;; amdgpu-corpus repo=ROCm/rocBLAS kind=compiled arch=gfx906 opt=O3
	.amdgcn_target "amdgcn-amd-amdhsa--gfx906"
	.amdhsa_code_object_version 6
	.section	.text._ZL17rocblas_trsv_initPi,"axG",@progbits,_ZL17rocblas_trsv_initPi,comdat
	.globl	_ZL17rocblas_trsv_initPi        ; -- Begin function _ZL17rocblas_trsv_initPi
	.p2align	8
	.type	_ZL17rocblas_trsv_initPi,@function
_ZL17rocblas_trsv_initPi:               ; @_ZL17rocblas_trsv_initPi
; %bb.0:
	s_load_dwordx2 s[0:1], s[4:5], 0x0
	s_mov_b32 s7, 0
	s_lshl_b64 s[2:3], s[6:7], 2
	v_mov_b32_e32 v0, 0
	v_mov_b32_e32 v1, -1
	s_waitcnt lgkmcnt(0)
	s_add_u32 s0, s0, s2
	s_addc_u32 s1, s1, s3
	global_store_dword v0, v1, s[0:1]
	s_endpgm
	.section	.rodata,"a",@progbits
	.p2align	6, 0x0
	.amdhsa_kernel _ZL17rocblas_trsv_initPi
		.amdhsa_group_segment_fixed_size 0
		.amdhsa_private_segment_fixed_size 0
		.amdhsa_kernarg_size 8
		.amdhsa_user_sgpr_count 6
		.amdhsa_user_sgpr_private_segment_buffer 1
		.amdhsa_user_sgpr_dispatch_ptr 0
		.amdhsa_user_sgpr_queue_ptr 0
		.amdhsa_user_sgpr_kernarg_segment_ptr 1
		.amdhsa_user_sgpr_dispatch_id 0
		.amdhsa_user_sgpr_flat_scratch_init 0
		.amdhsa_user_sgpr_private_segment_size 0
		.amdhsa_uses_dynamic_stack 0
		.amdhsa_system_sgpr_private_segment_wavefront_offset 0
		.amdhsa_system_sgpr_workgroup_id_x 1
		.amdhsa_system_sgpr_workgroup_id_y 0
		.amdhsa_system_sgpr_workgroup_id_z 0
		.amdhsa_system_sgpr_workgroup_info 0
		.amdhsa_system_vgpr_workitem_id 0
		.amdhsa_next_free_vgpr 2
		.amdhsa_next_free_sgpr 8
		.amdhsa_reserve_vcc 0
		.amdhsa_reserve_flat_scratch 0
		.amdhsa_float_round_mode_32 0
		.amdhsa_float_round_mode_16_64 0
		.amdhsa_float_denorm_mode_32 3
		.amdhsa_float_denorm_mode_16_64 3
		.amdhsa_dx10_clamp 1
		.amdhsa_ieee_mode 1
		.amdhsa_fp16_overflow 0
		.amdhsa_exception_fp_ieee_invalid_op 0
		.amdhsa_exception_fp_denorm_src 0
		.amdhsa_exception_fp_ieee_div_zero 0
		.amdhsa_exception_fp_ieee_overflow 0
		.amdhsa_exception_fp_ieee_underflow 0
		.amdhsa_exception_fp_ieee_inexact 0
		.amdhsa_exception_int_div_zero 0
	.end_amdhsa_kernel
	.section	.text._ZL17rocblas_trsv_initPi,"axG",@progbits,_ZL17rocblas_trsv_initPi,comdat
.Lfunc_end0:
	.size	_ZL17rocblas_trsv_initPi, .Lfunc_end0-_ZL17rocblas_trsv_initPi
                                        ; -- End function
	.set _ZL17rocblas_trsv_initPi.num_vgpr, 2
	.set _ZL17rocblas_trsv_initPi.num_agpr, 0
	.set _ZL17rocblas_trsv_initPi.numbered_sgpr, 8
	.set _ZL17rocblas_trsv_initPi.num_named_barrier, 0
	.set _ZL17rocblas_trsv_initPi.private_seg_size, 0
	.set _ZL17rocblas_trsv_initPi.uses_vcc, 0
	.set _ZL17rocblas_trsv_initPi.uses_flat_scratch, 0
	.set _ZL17rocblas_trsv_initPi.has_dyn_sized_stack, 0
	.set _ZL17rocblas_trsv_initPi.has_recursion, 0
	.set _ZL17rocblas_trsv_initPi.has_indirect_call, 0
	.section	.AMDGPU.csdata,"",@progbits
; Kernel info:
; codeLenInByte = 48
; TotalNumSgprs: 12
; NumVgprs: 2
; ScratchSize: 0
; MemoryBound: 0
; FloatMode: 240
; IeeeMode: 1
; LDSByteSize: 0 bytes/workgroup (compile time only)
; SGPRBlocks: 1
; VGPRBlocks: 0
; NumSGPRsForWavesPerEU: 12
; NumVGPRsForWavesPerEU: 2
; Occupancy: 10
; WaveLimiterHint : 0
; COMPUTE_PGM_RSRC2:SCRATCH_EN: 0
; COMPUTE_PGM_RSRC2:USER_SGPR: 6
; COMPUTE_PGM_RSRC2:TRAP_HANDLER: 0
; COMPUTE_PGM_RSRC2:TGID_X_EN: 1
; COMPUTE_PGM_RSRC2:TGID_Y_EN: 0
; COMPUTE_PGM_RSRC2:TGID_Z_EN: 0
; COMPUTE_PGM_RSRC2:TIDIG_COMP_CNT: 0
	.section	.text._ZL19rocblas_trsv_deviceILi64ELi16ELb0ELb0ELb0ELb1EfPKfS1_PfEviT7_lllT6_T8_lllPii,"axG",@progbits,_ZL19rocblas_trsv_deviceILi64ELi16ELb0ELb0ELb0ELb1EfPKfS1_PfEviT7_lllT6_T8_lllPii,comdat
	.globl	_ZL19rocblas_trsv_deviceILi64ELi16ELb0ELb0ELb0ELb1EfPKfS1_PfEviT7_lllT6_T8_lllPii ; -- Begin function _ZL19rocblas_trsv_deviceILi64ELi16ELb0ELb0ELb0ELb1EfPKfS1_PfEviT7_lllT6_T8_lllPii
	.p2align	8
	.type	_ZL19rocblas_trsv_deviceILi64ELi16ELb0ELb0ELb0ELb1EfPKfS1_PfEviT7_lllT6_T8_lllPii,@function
_ZL19rocblas_trsv_deviceILi64ELi16ELb0ELb0ELb0ELb1EfPKfS1_PfEviT7_lllT6_T8_lllPii: ; @_ZL19rocblas_trsv_deviceILi64ELi16ELb0ELb0ELb0ELb1EfPKfS1_PfEviT7_lllT6_T8_lllPii
; %bb.0:
	s_load_dwordx16 s[16:31], s[4:5], 0x8
	s_load_dword s36, s[4:5], 0x0
	s_mov_b32 s34, s7
	s_mov_b32 s35, 0
	s_waitcnt lgkmcnt(0)
	s_mul_i32 s0, s23, s7
	s_mul_hi_u32 s1, s22, s7
	s_add_i32 s1, s1, s0
	s_mul_i32 s0, s22, s7
	s_load_dword s7, s[4:5], 0x60
	s_lshl_b64 s[0:1], s[0:1], 2
	s_add_u32 s2, s16, s0
	s_addc_u32 s3, s17, s1
	s_lshl_b64 s[0:1], s[18:19], 2
	s_load_dword s16, s[24:25], 0x0
	s_load_dword s85, s[4:5], 0x6c
	s_add_u32 s83, s2, s0
	s_addc_u32 s84, s3, s1
	s_waitcnt lgkmcnt(0)
	s_add_i32 s7, s7, -1
	s_sub_i32 s33, s7, s6
	s_cmp_eq_u32 s6, 0
	s_cbranch_scc1 .LBB1_10
; %bb.1:
	s_lshl_b32 s2, s33, 6
	v_add3_u32 v8, v1, s2, 64
	v_ashrrev_i32_e32 v2, 31, v8
	v_mul_lo_u32 v6, s20, v2
	v_mul_lo_u32 v7, s21, v8
	v_mad_u64_u32 v[2:3], s[0:1], s20, v8, 0
	v_add_u32_e32 v4, s2, v0
	v_ashrrev_i32_e32 v5, 31, v4
	v_add3_u32 v3, v3, v6, v7
	v_lshlrev_b64 v[2:3], 2, v[2:3]
	v_mov_b32_e32 v6, s84
	v_add_co_u32_e64 v7, s[0:1], s83, v2
	v_addc_co_u32_e64 v6, s[0:1], v6, v3, s[0:1]
	v_lshlrev_b64 v[2:3], 2, v[4:5]
	v_cmp_gt_i32_e32 vcc, s36, v4
	v_add_co_u32_e64 v2, s[0:1], v7, v2
	v_addc_co_u32_e64 v3, s[0:1], v6, v3, s[0:1]
	v_cmp_gt_i32_e64 s[0:1], s36, v8
	s_and_b64 s[2:3], vcc, s[0:1]
	v_mov_b32_e32 v5, 0
	v_mov_b32_e32 v4, 0
	s_barrier
	s_and_saveexec_b64 s[0:1], s[2:3]
	s_cbranch_execz .LBB1_3
; %bb.2:
	global_load_dword v4, v[2:3], off
.LBB1_3:
	s_or_b64 exec, exec, s[0:1]
	v_add_u32_e32 v6, 16, v8
	v_cmp_gt_i32_e64 s[0:1], s36, v6
	s_and_b64 s[0:1], vcc, s[0:1]
	s_waitcnt vmcnt(0)
	s_barrier
	s_and_saveexec_b64 s[2:3], s[0:1]
	s_cbranch_execz .LBB1_5
; %bb.4:
	s_lshl_b64 s[0:1], s[20:21], 6
	v_mov_b32_e32 v6, s1
	v_add_co_u32_e64 v5, s[0:1], s0, v2
	v_addc_co_u32_e64 v6, s[0:1], v3, v6, s[0:1]
	global_load_dword v5, v[5:6], off
.LBB1_5:
	s_or_b64 exec, exec, s[2:3]
	v_add_u32_e32 v6, 32, v8
	v_cmp_gt_i32_e64 s[0:1], s36, v6
	s_and_b64 s[0:1], vcc, s[0:1]
	v_mov_b32_e32 v6, 0
	v_mov_b32_e32 v7, 0
	s_waitcnt vmcnt(0)
	s_barrier
	s_and_saveexec_b64 s[2:3], s[0:1]
	s_cbranch_execz .LBB1_7
; %bb.6:
	s_lshl_b64 s[0:1], s[20:21], 7
	v_mov_b32_e32 v7, s1
	v_add_co_u32_e64 v9, s[0:1], s0, v2
	v_addc_co_u32_e64 v10, s[0:1], v3, v7, s[0:1]
	global_load_dword v7, v[9:10], off
.LBB1_7:
	s_or_b64 exec, exec, s[2:3]
	v_add_u32_e32 v8, 48, v8
	v_cmp_gt_i32_e64 s[0:1], s36, v8
	s_and_b64 s[2:3], vcc, s[0:1]
	s_waitcnt vmcnt(0)
	s_barrier
	s_and_saveexec_b64 s[0:1], s[2:3]
	s_cbranch_execz .LBB1_9
; %bb.8:
	v_mov_b32_e32 v6, 0xc0
	v_mad_u64_u32 v[2:3], s[2:3], s20, v6, v[2:3]
	s_mul_i32 s2, s21, 0xc0
	v_add_u32_e32 v3, s2, v3
	global_load_dword v6, v[2:3], off
.LBB1_9:
	s_or_b64 exec, exec, s[0:1]
	s_branch .LBB1_11
.LBB1_10:
                                        ; implicit-def: $vgpr6
                                        ; implicit-def: $vgpr7
                                        ; implicit-def: $vgpr5
                                        ; implicit-def: $vgpr4
.LBB1_11:
	s_ashr_i32 s37, s36, 31
	s_lshr_b32 s0, s37, 26
	s_add_i32 s0, s36, s0
	s_andn2_b32 s0, s0, 63
	s_sub_i32 s82, s36, s0
	s_add_i32 s0, s36, -1
	s_ashr_i32 s1, s0, 31
	s_lshr_b32 s1, s1, 26
	s_add_i32 s0, s0, s1
	s_ashr_i32 s0, s0, 6
	s_cmp_eq_u32 s0, s33
	s_cselect_b64 s[0:1], -1, 0
	s_cmp_lg_u32 s82, 0
	s_cselect_b64 s[2:3], -1, 0
	s_and_b64 s[18:19], s[2:3], s[0:1]
	s_mov_b64 s[2:3], -1
	s_and_b64 vcc, exec, s[18:19]
	v_cmp_le_u32_e64 s[0:1], v1, v0
	s_cbranch_vccnz .LBB1_27
; %bb.12:
	s_add_u32 s2, s20, 1
	s_addc_u32 s3, s21, 0
	s_lshl_b32 s8, s33, 6
	s_ashr_i32 s9, s8, 31
	s_mul_hi_u32 s10, s2, s8
	s_mul_i32 s9, s2, s9
	s_add_i32 s9, s10, s9
	s_mul_i32 s3, s3, s8
	s_add_i32 s3, s9, s3
	s_mul_i32 s2, s2, s8
	s_lshl_b64 s[2:3], s[2:3], 2
	s_add_u32 s2, s83, s2
	s_addc_u32 s3, s84, s3
	v_lshlrev_b32_e32 v8, 2, v0
	v_mov_b32_e32 v3, s3
	v_add_co_u32_e32 v2, vcc, s2, v8
	v_mov_b32_e32 v9, 0
	v_addc_co_u32_e32 v3, vcc, 0, v3, vcc
	s_mov_b64 s[2:3], 0
	s_and_saveexec_b64 s[8:9], s[0:1]
	s_xor_b64 s[0:1], exec, s[8:9]
	s_cbranch_execnz .LBB1_1092
; %bb.13:
	s_andn2_saveexec_b64 s[0:1], s[0:1]
	s_cbranch_execnz .LBB1_1093
.LBB1_14:
	s_or_b64 exec, exec, s[0:1]
	s_and_saveexec_b64 s[0:1], s[2:3]
.LBB1_15:
	v_lshl_add_u32 v10, v1, 8, v8
	ds_write_b32 v10, v9
.LBB1_16:
	s_or_b64 exec, exec, s[0:1]
	v_add_u32_e32 v9, 16, v1
	v_cmp_le_u32_e32 vcc, v9, v0
	s_mov_b64 s[0:1], 0
	s_and_saveexec_b64 s[2:3], vcc
	s_xor_b64 s[2:3], exec, s[2:3]
	s_cbranch_execnz .LBB1_1094
; %bb.17:
	s_or_saveexec_b64 s[2:3], s[2:3]
	v_mov_b32_e32 v10, 0
	s_xor_b64 exec, exec, s[2:3]
	s_cbranch_execnz .LBB1_1095
.LBB1_18:
	s_or_b64 exec, exec, s[2:3]
	s_and_saveexec_b64 s[2:3], s[0:1]
.LBB1_19:
	v_lshl_add_u32 v9, v9, 8, v8
	ds_write_b32 v9, v10
.LBB1_20:
	s_or_b64 exec, exec, s[2:3]
	v_add_u32_e32 v9, 32, v1
	v_cmp_le_u32_e32 vcc, v9, v0
	s_mov_b64 s[0:1], 0
	s_and_saveexec_b64 s[2:3], vcc
	s_xor_b64 s[2:3], exec, s[2:3]
	s_cbranch_execnz .LBB1_1096
; %bb.21:
	s_or_saveexec_b64 s[2:3], s[2:3]
	v_mov_b32_e32 v10, 0
	s_xor_b64 exec, exec, s[2:3]
	s_cbranch_execnz .LBB1_1097
.LBB1_22:
	s_or_b64 exec, exec, s[2:3]
	s_and_saveexec_b64 s[2:3], s[0:1]
.LBB1_23:
	v_lshl_add_u32 v8, v9, 8, v8
	ds_write_b32 v8, v10
.LBB1_24:
	s_or_b64 exec, exec, s[2:3]
	v_add_u32_e32 v8, 48, v1
	v_cmp_le_u32_e32 vcc, v8, v0
	s_mov_b64 s[0:1], -1
	s_mov_b64 s[2:3], 0
	s_mov_b64 s[8:9], 0
	s_and_saveexec_b64 s[10:11], vcc
	s_xor_b64 s[10:11], exec, s[10:11]
; %bb.25:
	v_or_b32_e32 v9, v8, v0
	v_cmp_gt_u32_e32 vcc, 64, v9
	s_and_b64 s[8:9], vcc, exec
	s_xor_b64 s[0:1], exec, -1
; %bb.26:
	s_or_b64 exec, exec, s[10:11]
	v_lshl_add_u32 v9, v8, 6, v0
	s_and_b64 vcc, exec, s[2:3]
	s_cbranch_vccnz .LBB1_28
	s_branch .LBB1_43
.LBB1_27:
	s_mov_b64 s[0:1], 0
	s_mov_b64 s[8:9], 0
                                        ; implicit-def: $vgpr9
                                        ; implicit-def: $vgpr2_vgpr3
                                        ; implicit-def: $vgpr8
	s_and_b64 vcc, exec, s[2:3]
	s_cbranch_vccz .LBB1_43
.LBB1_28:
	s_add_u32 s0, s20, 1
	s_addc_u32 s1, s21, 0
	s_lshl_b32 s2, s33, 6
	s_ashr_i32 s3, s2, 31
	s_mul_hi_u32 s10, s0, s2
	s_mul_i32 s3, s0, s3
	s_add_i32 s3, s10, s3
	s_mul_i32 s1, s1, s2
	s_add_i32 s1, s3, s1
	s_mul_i32 s0, s0, s2
	s_lshl_b64 s[0:1], s[0:1], 2
	s_add_u32 s0, s83, s0
	s_addc_u32 s1, s84, s1
	v_lshlrev_b32_e32 v8, 2, v0
	v_mov_b32_e32 v3, s1
	v_add_co_u32_e64 v2, s[0:1], s0, v8
	v_addc_co_u32_e64 v3, s[0:1], 0, v3, s[0:1]
	v_max_i32_e32 v10, v1, v0
	v_cmp_le_u32_e64 s[0:1], v1, v0
	v_cmp_le_i32_e64 s[2:3], s82, v10
	v_cmp_gt_i32_e32 vcc, s82, v0
	v_mov_b32_e32 v9, 0
	s_or_b64 s[0:1], s[2:3], s[0:1]
	s_mov_b64 s[2:3], 0
	s_and_saveexec_b64 s[10:11], s[0:1]
	s_xor_b64 s[10:11], exec, s[10:11]
	s_cbranch_execnz .LBB1_1098
; %bb.29:
	s_andn2_saveexec_b64 s[10:11], s[10:11]
	s_cbranch_execnz .LBB1_1099
.LBB1_30:
	s_or_b64 exec, exec, s[10:11]
	s_and_saveexec_b64 s[0:1], s[2:3]
.LBB1_31:
	v_lshl_add_u32 v10, v1, 8, v8
	ds_write_b32 v10, v9
.LBB1_32:
	s_or_b64 exec, exec, s[0:1]
	v_add_u32_e32 v9, 16, v1
	v_cmp_gt_u32_e64 s[0:1], v9, v0
	v_cmp_gt_i32_e64 s[2:3], s82, v9
	s_and_b64 s[0:1], s[0:1], s[2:3]
	s_and_b64 s[0:1], s[0:1], vcc
	s_xor_b64 s[0:1], s[0:1], -1
	s_mov_b64 s[2:3], 0
	s_and_saveexec_b64 s[10:11], s[0:1]
	s_xor_b64 s[10:11], exec, s[10:11]
	s_cbranch_execnz .LBB1_1100
; %bb.33:
	s_or_saveexec_b64 s[10:11], s[10:11]
	v_mov_b32_e32 v10, 0
	s_xor_b64 exec, exec, s[10:11]
	s_cbranch_execnz .LBB1_1101
.LBB1_34:
	s_or_b64 exec, exec, s[10:11]
	s_and_saveexec_b64 s[0:1], s[2:3]
.LBB1_35:
	v_lshl_add_u32 v9, v9, 8, v8
	ds_write_b32 v9, v10
.LBB1_36:
	s_or_b64 exec, exec, s[0:1]
	v_add_u32_e32 v9, 32, v1
	v_cmp_gt_u32_e64 s[0:1], v9, v0
	v_cmp_gt_i32_e64 s[2:3], s82, v9
	s_and_b64 s[0:1], s[0:1], s[2:3]
	s_and_b64 s[0:1], s[0:1], vcc
	s_xor_b64 s[0:1], s[0:1], -1
	s_mov_b64 s[2:3], 0
	s_and_saveexec_b64 s[10:11], s[0:1]
	s_xor_b64 s[10:11], exec, s[10:11]
	s_cbranch_execnz .LBB1_1102
; %bb.37:
	s_or_saveexec_b64 s[10:11], s[10:11]
	v_mov_b32_e32 v10, 0
	s_xor_b64 exec, exec, s[10:11]
	s_cbranch_execnz .LBB1_1103
.LBB1_38:
	s_or_b64 exec, exec, s[10:11]
	s_and_saveexec_b64 s[0:1], s[2:3]
.LBB1_39:
	v_lshl_add_u32 v8, v9, 8, v8
	ds_write_b32 v8, v10
.LBB1_40:
	s_or_b64 exec, exec, s[0:1]
	v_add_u32_e32 v8, 48, v1
	v_cmp_gt_u32_e64 s[0:1], v8, v0
	v_cmp_gt_i32_e64 s[2:3], s82, v8
	s_and_b64 s[0:1], s[0:1], s[2:3]
	s_and_b64 s[2:3], s[0:1], vcc
	s_mov_b64 s[0:1], -1
	s_xor_b64 s[10:11], s[2:3], -1
	s_and_saveexec_b64 s[2:3], s[10:11]
; %bb.41:
	v_or_b32_e32 v9, v8, v0
	v_cmp_gt_u32_e32 vcc, 64, v9
	s_andn2_b64 s[0:1], s[8:9], exec
	s_and_b64 s[8:9], vcc, exec
	s_or_b64 s[8:9], s[0:1], s[8:9]
	s_xor_b64 s[0:1], exec, -1
; %bb.42:
	s_or_b64 exec, exec, s[2:3]
	v_lshl_add_u32 v9, v8, 6, v0
.LBB1_43:
	v_mov_b32_e32 v10, 0
	s_and_saveexec_b64 s[2:3], s[0:1]
	s_cbranch_execnz .LBB1_1065
; %bb.44:
	s_or_b64 exec, exec, s[2:3]
	s_and_saveexec_b64 s[0:1], s[8:9]
.LBB1_45:
	v_lshlrev_b32_e32 v2, 2, v9
	ds_write_b32 v2, v10
.LBB1_46:
	s_or_b64 exec, exec, s[0:1]
	s_cmp_lt_i32 s6, 5
	s_cselect_b64 s[0:1], -1, 0
	s_or_b64 s[22:23], s[0:1], s[18:19]
	s_and_b64 vcc, exec, s[22:23]
	s_waitcnt vmcnt(0) lgkmcnt(0)
	s_barrier
	s_cbranch_vccnz .LBB1_1022
; %bb.47:
	v_or_b32_e32 v2, v0, v1
	v_cmp_eq_u32_e32 vcc, 0, v2
	s_and_saveexec_b64 s[0:1], vcc
; %bb.48:
	s_movk_i32 s2, 0x3c00
	v_mov_b32_e32 v2, 1.0
	v_add_u32_e64 v3, s2, 0
	ds_write2_b32 v3, v2, v2 offset0:190 offset1:255
; %bb.49:
	s_or_b64 exec, exec, s[0:1]
	v_lshlrev_b32_e32 v3, 6, v1
	v_add_u32_e32 v9, v3, v0
	v_and_b32_e32 v8, v3, v0
	v_xor_b32_e32 v3, v3, v0
	v_lshrrev_b16_e32 v3, 1, v3
	v_add_u16_e32 v8, v8, v3
	v_and_b32_e32 v2, 1, v0
	v_sub_u32_e32 v3, 1, v8
	v_cmp_lt_u32_e64 s[2:3], 3, v9
	v_cmp_gt_u32_e64 s[0:1], 4, v9
	v_mov_b32_e32 v10, 0
	s_waitcnt lgkmcnt(0)
	s_barrier
	buffer_wbinvl1_vol
	s_and_saveexec_b64 s[10:11], s[0:1]
	s_cbranch_execz .LBB1_53
; %bb.50:
	v_lshlrev_b32_e32 v10, 8, v3
	v_lshlrev_b32_e32 v11, 2, v2
	ds_read_b32 v12, v11 offset:16112
	ds_read_b32 v10, v10 offset:16120
	v_mov_b32_e32 v11, 0
	v_cmp_gt_u32_e64 s[8:9], 2, v9
	s_waitcnt lgkmcnt(0)
	v_fma_f32 v10, v12, v10, 0
	s_and_saveexec_b64 s[12:13], s[8:9]
	s_cbranch_execz .LBB1_52
; %bb.51:
	v_lshlrev_b32_e32 v12, 2, v0
	ds_read_b32 v12, v12 offset:16368
	ds_read_b32 v11, v11 offset:16380
	s_waitcnt lgkmcnt(0)
	v_fmac_f32_e32 v10, v12, v11
.LBB1_52:
	s_or_b64 exec, exec, s[12:13]
.LBB1_53:
	s_or_b64 exec, exec, s[10:11]
	v_mov_b32_e32 v11, 0x4000
	v_cmp_ne_u32_e64 s[8:9], 0, v2
	s_xor_b64 s[10:11], s[2:3], -1
	v_lshl_add_u32 v8, v8, 2, v11
	s_and_b64 s[38:39], s[8:9], s[10:11]
	s_and_saveexec_b64 s[2:3], s[38:39]
; %bb.54:
	v_xor_b32_e32 v11, 0x80000000, v10
	ds_write_b32 v8, v11
; %bb.55:
	s_or_b64 exec, exec, s[2:3]
	v_cmp_eq_u32_e64 s[2:3], 0, v2
	s_and_b64 s[24:25], s[2:3], s[10:11]
	s_waitcnt lgkmcnt(0)
	s_barrier
	s_and_saveexec_b64 s[2:3], s[24:25]
	s_cbranch_execz .LBB1_57
; %bb.56:
	v_mov_b32_e32 v11, 0
	ds_read_b32 v11, v11 offset:15856
	ds_read_b32 v12, v8
	s_waitcnt lgkmcnt(0)
	v_fma_f32 v10, -v11, v12, v10
.LBB1_57:
	s_or_b64 exec, exec, s[2:3]
	s_barrier
	s_and_saveexec_b64 s[2:3], s[24:25]
; %bb.58:
	v_xor_b32_e32 v11, 0x80000000, v10
	ds_write_b32 v8, v11
; %bb.59:
	s_or_b64 exec, exec, s[2:3]
	s_waitcnt lgkmcnt(0)
	s_barrier
	s_barrier
	s_and_saveexec_b64 s[2:3], s[0:1]
; %bb.60:
	v_lshlrev_b32_e32 v11, 2, v2
	v_lshl_or_b32 v11, v3, 8, v11
	ds_write_b32 v11, v10 offset:16112
; %bb.61:
	s_or_b64 exec, exec, s[2:3]
	s_waitcnt lgkmcnt(0)
	s_barrier
	s_barrier
	s_and_saveexec_b64 s[2:3], vcc
; %bb.62:
	s_movk_i32 s8, 0x3c00
	v_mov_b32_e32 v10, 1.0
	v_add_u32_e64 v11, s8, 0
	ds_write2_b32 v11, v10, v10 offset0:60 offset1:125
; %bb.63:
	s_or_b64 exec, exec, s[2:3]
	v_lshrrev_b32_e32 v12, 2, v9
	v_and_b32_e32 v10, 3, v0
	v_sub_u32_e32 v11, 3, v12
	v_cmp_lt_u32_e64 s[8:9], 15, v9
	v_cmp_gt_u32_e64 s[2:3], 16, v9
	v_mov_b32_e32 v13, 0
	s_waitcnt lgkmcnt(0)
	s_barrier
	buffer_wbinvl1_vol
	s_and_saveexec_b64 s[12:13], s[2:3]
	s_cbranch_execz .LBB1_69
; %bb.64:
	v_lshlrev_b32_e32 v15, 2, v10
	v_lshlrev_b32_e32 v14, 8, v11
	ds_read_b32 v13, v15 offset:15584
	ds_read_b32 v16, v14 offset:15600
	v_cmp_gt_u32_e64 s[10:11], 12, v9
	s_waitcnt lgkmcnt(0)
	v_fma_f32 v13, v13, v16, 0
	s_and_saveexec_b64 s[14:15], s[10:11]
	s_cbranch_execnz .LBB1_1108
; %bb.65:
	s_or_b64 exec, exec, s[14:15]
	v_cmp_gt_u32_e64 s[10:11], 8, v9
	s_and_saveexec_b64 s[14:15], s[10:11]
	s_cbranch_execnz .LBB1_1109
.LBB1_66:
	s_or_b64 exec, exec, s[14:15]
	v_cmp_gt_u32_e64 s[10:11], 4, v9
	s_and_saveexec_b64 s[14:15], s[10:11]
	s_cbranch_execz .LBB1_68
.LBB1_67:
	v_lshlrev_b32_e32 v14, 2, v0
	v_mov_b32_e32 v15, 0
	ds_read_b32 v14, v14 offset:16352
	ds_read_b32 v15, v15 offset:16380
	s_waitcnt lgkmcnt(0)
	v_fmac_f32_e32 v13, v14, v15
.LBB1_68:
	s_or_b64 exec, exec, s[14:15]
.LBB1_69:
                                        ; implicit-def: $vgpr27 : SGPR spill to VGPR lane
	v_writelane_b32 v27, s16, 0
	s_or_b64 exec, exec, s[12:13]
	v_mov_b32_e32 v14, 0x4000
	v_cmp_eq_u32_e64 s[10:11], 3, v10
	s_xor_b64 s[12:13], s[8:9], -1
	v_lshl_add_u32 v12, v12, 2, v14
	s_and_b64 s[42:43], s[10:11], s[12:13]
	s_and_saveexec_b64 s[8:9], s[42:43]
; %bb.70:
	v_xor_b32_e32 v14, 0x80000000, v13
	ds_write_b32 v12, v14
; %bb.71:
	s_or_b64 exec, exec, s[8:9]
	v_cmp_ne_u32_e64 s[8:9], 3, v10
	s_and_b64 s[44:45], s[8:9], s[12:13]
	s_waitcnt lgkmcnt(0)
	s_barrier
	s_and_saveexec_b64 s[8:9], s[44:45]
	s_cbranch_execz .LBB1_73
; %bb.72:
	v_lshlrev_b32_e32 v14, 2, v10
	ds_read_b32 v14, v14 offset:15328
	ds_read_b32 v15, v12
	s_waitcnt lgkmcnt(0)
	v_fma_f32 v13, -v14, v15, v13
.LBB1_73:
	s_or_b64 exec, exec, s[8:9]
	v_cmp_eq_u32_e64 s[8:9], 2, v10
	s_and_b64 s[46:47], s[8:9], s[12:13]
	s_barrier
	s_and_saveexec_b64 s[8:9], s[46:47]
; %bb.74:
	v_xor_b32_e32 v14, 0x80000000, v13
	ds_write_b32 v12, v14
; %bb.75:
	s_or_b64 exec, exec, s[8:9]
	v_cmp_gt_u32_e64 s[8:9], 2, v10
	s_and_b64 s[48:49], s[8:9], s[12:13]
	s_waitcnt lgkmcnt(0)
	s_barrier
	s_and_saveexec_b64 s[8:9], s[48:49]
	s_cbranch_execz .LBB1_77
; %bb.76:
	v_lshlrev_b32_e32 v14, 2, v10
	ds_read_b32 v14, v14 offset:15072
	ds_read_b32 v15, v12
	s_waitcnt lgkmcnt(0)
	v_fma_f32 v13, -v14, v15, v13
.LBB1_77:
	s_or_b64 exec, exec, s[8:9]
	v_cmp_eq_u32_e64 s[8:9], 1, v10
	s_and_b64 s[50:51], s[8:9], s[12:13]
	s_barrier
	s_and_saveexec_b64 s[8:9], s[50:51]
; %bb.78:
	v_xor_b32_e32 v14, 0x80000000, v13
	ds_write_b32 v12, v14
; %bb.79:
	s_or_b64 exec, exec, s[8:9]
	v_cmp_eq_u32_e64 s[8:9], 0, v10
	s_and_b64 s[40:41], s[8:9], s[12:13]
	s_waitcnt lgkmcnt(0)
	s_barrier
	s_and_saveexec_b64 s[8:9], s[40:41]
	s_cbranch_execz .LBB1_81
; %bb.80:
	v_mov_b32_e32 v14, 0
	ds_read_b32 v14, v14 offset:14816
	ds_read_b32 v15, v12
	s_waitcnt lgkmcnt(0)
	v_fma_f32 v13, -v14, v15, v13
.LBB1_81:
	s_or_b64 exec, exec, s[8:9]
	s_barrier
	s_and_saveexec_b64 s[8:9], s[40:41]
; %bb.82:
	v_xor_b32_e32 v14, 0x80000000, v13
	ds_write_b32 v12, v14
; %bb.83:
	s_or_b64 exec, exec, s[8:9]
	s_waitcnt lgkmcnt(0)
	s_barrier
	s_barrier
	s_and_saveexec_b64 s[8:9], s[2:3]
; %bb.84:
	v_lshlrev_b32_e32 v14, 2, v10
	v_lshl_or_b32 v14, v11, 8, v14
	ds_write_b32 v14, v13 offset:15584
; %bb.85:
	s_or_b64 exec, exec, s[8:9]
	s_waitcnt lgkmcnt(0)
	s_barrier
	s_barrier
	s_and_saveexec_b64 s[8:9], vcc
; %bb.86:
	s_movk_i32 s10, 0x3800
	v_mov_b32_e32 v13, 1.0
	v_add_u32_e64 v14, s10, 0
	ds_write2_b32 v14, v13, v13 offset0:186 offset1:251
; %bb.87:
	s_or_b64 exec, exec, s[8:9]
	v_mov_b32_e32 v13, 0
	s_waitcnt lgkmcnt(0)
	s_barrier
	buffer_wbinvl1_vol
	s_and_saveexec_b64 s[10:11], s[0:1]
	s_cbranch_execz .LBB1_91
; %bb.88:
	v_lshlrev_b32_e32 v13, 8, v3
	v_lshlrev_b32_e32 v14, 2, v2
	ds_read_b32 v15, v14 offset:15072
	ds_read_b32 v13, v13 offset:15080
	v_mov_b32_e32 v14, 0
	v_cmp_gt_u32_e64 s[8:9], 2, v9
	s_waitcnt lgkmcnt(0)
	v_fma_f32 v13, v15, v13, 0
	s_and_saveexec_b64 s[12:13], s[8:9]
	s_cbranch_execz .LBB1_90
; %bb.89:
	v_lshlrev_b32_e32 v15, 2, v0
	ds_read_b32 v15, v15 offset:15328
	ds_read_b32 v14, v14 offset:15340
	s_waitcnt lgkmcnt(0)
	v_fmac_f32_e32 v13, v15, v14
.LBB1_90:
	s_or_b64 exec, exec, s[12:13]
.LBB1_91:
	s_or_b64 exec, exec, s[10:11]
	s_and_saveexec_b64 s[8:9], s[38:39]
; %bb.92:
	v_xor_b32_e32 v14, 0x80000000, v13
	ds_write_b32 v8, v14
; %bb.93:
	s_or_b64 exec, exec, s[8:9]
	s_waitcnt lgkmcnt(0)
	s_barrier
	s_and_saveexec_b64 s[8:9], s[24:25]
	s_cbranch_execz .LBB1_95
; %bb.94:
	v_mov_b32_e32 v14, 0
	ds_read_b32 v14, v14 offset:14816
	ds_read_b32 v15, v8
	s_waitcnt lgkmcnt(0)
	v_fma_f32 v13, -v14, v15, v13
.LBB1_95:
	s_or_b64 exec, exec, s[8:9]
	s_barrier
	s_and_saveexec_b64 s[8:9], s[24:25]
; %bb.96:
	v_xor_b32_e32 v14, 0x80000000, v13
	ds_write_b32 v8, v14
; %bb.97:
	s_or_b64 exec, exec, s[8:9]
	s_waitcnt lgkmcnt(0)
	s_barrier
	s_barrier
	s_and_saveexec_b64 s[8:9], s[0:1]
; %bb.98:
	v_lshlrev_b32_e32 v14, 2, v2
	v_lshl_or_b32 v14, v3, 8, v14
	ds_write_b32 v14, v13 offset:15072
; %bb.99:
	s_or_b64 exec, exec, s[8:9]
	s_waitcnt lgkmcnt(0)
	s_barrier
	s_barrier
	s_and_saveexec_b64 s[8:9], vcc
; %bb.100:
	s_movk_i32 s10, 0x3800
	v_mov_b32_e32 v13, 1.0
	v_add_u32_e64 v14, s10, 0
	ds_write2_b32 v14, v13, v13 offset0:56 offset1:121
; %bb.101:
	s_or_b64 exec, exec, s[8:9]
	v_lshrrev_b32_e32 v15, 3, v9
	v_and_b32_e32 v13, 7, v0
	v_sub_u32_e32 v14, 7, v15
	v_cmp_lt_u32_e64 s[8:9], 63, v9
	v_cmp_gt_u32_e64 s[14:15], 64, v9
	v_mov_b32_e32 v16, 0
	s_waitcnt lgkmcnt(0)
	s_barrier
	buffer_wbinvl1_vol
	s_and_saveexec_b64 s[12:13], s[14:15]
	s_cbranch_execz .LBB1_111
; %bb.102:
	v_lshlrev_b32_e32 v18, 2, v13
	v_lshlrev_b32_e32 v17, 8, v14
	ds_read_b32 v16, v18 offset:14528
	ds_read_b32 v19, v17 offset:14560
	v_cmp_gt_u32_e64 s[10:11], 56, v9
	s_waitcnt lgkmcnt(0)
	v_fma_f32 v16, v16, v19, 0
	s_and_saveexec_b64 s[16:17], s[10:11]
	s_cbranch_execnz .LBB1_1110
; %bb.103:
	s_or_b64 exec, exec, s[16:17]
	v_cmp_gt_u32_e64 s[10:11], 48, v9
	s_and_saveexec_b64 s[16:17], s[10:11]
	s_cbranch_execnz .LBB1_1111
.LBB1_104:
	s_or_b64 exec, exec, s[16:17]
	v_cmp_gt_u32_e64 s[10:11], 40, v9
	s_and_saveexec_b64 s[16:17], s[10:11]
	s_cbranch_execnz .LBB1_1112
.LBB1_105:
	s_or_b64 exec, exec, s[16:17]
	v_cmp_gt_u32_e64 s[10:11], 32, v9
	s_and_saveexec_b64 s[16:17], s[10:11]
	s_cbranch_execnz .LBB1_1113
.LBB1_106:
	s_or_b64 exec, exec, s[16:17]
	v_cmp_gt_u32_e64 s[10:11], 24, v9
	s_and_saveexec_b64 s[16:17], s[10:11]
	s_cbranch_execnz .LBB1_1114
.LBB1_107:
	s_or_b64 exec, exec, s[16:17]
	s_and_saveexec_b64 s[10:11], s[2:3]
	s_cbranch_execnz .LBB1_1115
.LBB1_108:
	s_or_b64 exec, exec, s[10:11]
	v_cmp_gt_u32_e64 s[10:11], 8, v9
	s_and_saveexec_b64 s[16:17], s[10:11]
	s_cbranch_execz .LBB1_110
.LBB1_109:
	v_lshlrev_b32_e32 v17, 2, v0
	v_mov_b32_e32 v18, 0
	ds_read_b32 v17, v17 offset:16320
	ds_read_b32 v18, v18 offset:16380
	s_waitcnt lgkmcnt(0)
	v_fmac_f32_e32 v16, v17, v18
.LBB1_110:
	s_or_b64 exec, exec, s[16:17]
.LBB1_111:
	s_or_b64 exec, exec, s[12:13]
	v_mov_b32_e32 v17, 0x4000
	v_cmp_eq_u32_e64 s[10:11], 7, v13
	s_xor_b64 s[12:13], s[8:9], -1
	v_lshl_add_u32 v15, v15, 2, v17
	s_and_b64 s[52:53], s[10:11], s[12:13]
	s_and_saveexec_b64 s[8:9], s[52:53]
; %bb.112:
	v_xor_b32_e32 v17, 0x80000000, v16
	ds_write_b32 v15, v17
; %bb.113:
	s_or_b64 exec, exec, s[8:9]
	v_cmp_ne_u32_e64 s[8:9], 7, v13
	s_and_b64 s[54:55], s[8:9], s[12:13]
	s_waitcnt lgkmcnt(0)
	s_barrier
	s_and_saveexec_b64 s[8:9], s[54:55]
	s_cbranch_execz .LBB1_115
; %bb.114:
	v_lshlrev_b32_e32 v17, 2, v13
	ds_read_b32 v17, v17 offset:14272
	ds_read_b32 v18, v15
	s_waitcnt lgkmcnt(0)
	v_fma_f32 v16, -v17, v18, v16
.LBB1_115:
	s_or_b64 exec, exec, s[8:9]
	v_cmp_eq_u32_e64 s[8:9], 6, v13
	s_and_b64 s[56:57], s[8:9], s[12:13]
	s_barrier
	s_and_saveexec_b64 s[8:9], s[56:57]
; %bb.116:
	v_xor_b32_e32 v17, 0x80000000, v16
	ds_write_b32 v15, v17
; %bb.117:
	s_or_b64 exec, exec, s[8:9]
	v_cmp_gt_u32_e64 s[8:9], 6, v13
	s_and_b64 s[58:59], s[8:9], s[12:13]
	s_waitcnt lgkmcnt(0)
	s_barrier
	s_and_saveexec_b64 s[8:9], s[58:59]
	s_cbranch_execz .LBB1_119
; %bb.118:
	v_lshlrev_b32_e32 v17, 2, v13
	ds_read_b32 v17, v17 offset:14016
	ds_read_b32 v18, v15
	s_waitcnt lgkmcnt(0)
	v_fma_f32 v16, -v17, v18, v16
.LBB1_119:
	s_or_b64 exec, exec, s[8:9]
	v_cmp_eq_u32_e64 s[8:9], 5, v13
	s_and_b64 s[60:61], s[8:9], s[12:13]
	s_barrier
	s_and_saveexec_b64 s[8:9], s[60:61]
; %bb.120:
	v_xor_b32_e32 v17, 0x80000000, v16
	ds_write_b32 v15, v17
; %bb.121:
	s_or_b64 exec, exec, s[8:9]
	v_cmp_gt_u32_e64 s[8:9], 5, v13
	;; [unrolled: 23-line block ×5, first 2 shown]
	s_and_b64 s[76:77], s[8:9], s[12:13]
	s_waitcnt lgkmcnt(0)
	s_barrier
	s_and_saveexec_b64 s[8:9], s[76:77]
	s_cbranch_execz .LBB1_135
; %bb.134:
	v_lshlrev_b32_e32 v17, 2, v13
	ds_read_b32 v17, v17 offset:12992
	ds_read_b32 v18, v15
	s_waitcnt lgkmcnt(0)
	v_fma_f32 v16, -v17, v18, v16
.LBB1_135:
	s_or_b64 exec, exec, s[8:9]
	v_cmp_eq_u32_e64 s[8:9], 1, v13
	s_and_b64 s[78:79], s[8:9], s[12:13]
	s_barrier
	s_and_saveexec_b64 s[8:9], s[78:79]
; %bb.136:
	v_xor_b32_e32 v17, 0x80000000, v16
	ds_write_b32 v15, v17
; %bb.137:
	s_or_b64 exec, exec, s[8:9]
	v_cmp_eq_u32_e64 s[8:9], 0, v13
	s_and_b64 s[62:63], s[8:9], s[12:13]
	s_waitcnt lgkmcnt(0)
	s_barrier
	s_and_saveexec_b64 s[8:9], s[62:63]
	s_cbranch_execz .LBB1_139
; %bb.138:
	v_mov_b32_e32 v17, 0
	ds_read_b32 v17, v17 offset:12736
	ds_read_b32 v18, v15
	s_waitcnt lgkmcnt(0)
	v_fma_f32 v16, -v17, v18, v16
.LBB1_139:
	s_or_b64 exec, exec, s[8:9]
	s_barrier
	s_and_saveexec_b64 s[8:9], s[62:63]
; %bb.140:
	v_xor_b32_e32 v17, 0x80000000, v16
	ds_write_b32 v15, v17
; %bb.141:
	s_or_b64 exec, exec, s[8:9]
	s_waitcnt lgkmcnt(0)
	s_barrier
	s_barrier
	s_and_saveexec_b64 s[8:9], s[14:15]
; %bb.142:
	v_lshlrev_b32_e32 v17, 2, v13
	v_lshl_or_b32 v17, v14, 8, v17
	ds_write_b32 v17, v16 offset:14528
; %bb.143:
	s_or_b64 exec, exec, s[8:9]
	s_waitcnt lgkmcnt(0)
	s_barrier
	s_barrier
	s_and_saveexec_b64 s[8:9], vcc
; %bb.144:
	s_movk_i32 s10, 0x3400
	v_mov_b32_e32 v16, 1.0
	v_add_u32_e64 v17, s10, 0
	ds_write2_b32 v17, v16, v16 offset0:182 offset1:247
; %bb.145:
	s_or_b64 exec, exec, s[8:9]
	v_mov_b32_e32 v16, 0
	s_waitcnt lgkmcnt(0)
	s_barrier
	buffer_wbinvl1_vol
	s_and_saveexec_b64 s[10:11], s[0:1]
	s_cbranch_execz .LBB1_149
; %bb.146:
	v_lshlrev_b32_e32 v16, 8, v3
	v_lshlrev_b32_e32 v17, 2, v2
	ds_read_b32 v18, v17 offset:14032
	ds_read_b32 v16, v16 offset:14040
	v_mov_b32_e32 v17, 0
	v_cmp_gt_u32_e64 s[8:9], 2, v9
	s_waitcnt lgkmcnt(0)
	v_fma_f32 v16, v18, v16, 0
	s_and_saveexec_b64 s[12:13], s[8:9]
	s_cbranch_execz .LBB1_148
; %bb.147:
	v_lshlrev_b32_e32 v18, 2, v0
	ds_read_b32 v18, v18 offset:14288
	ds_read_b32 v17, v17 offset:14300
	s_waitcnt lgkmcnt(0)
	v_fmac_f32_e32 v16, v18, v17
.LBB1_148:
	s_or_b64 exec, exec, s[12:13]
.LBB1_149:
	s_or_b64 exec, exec, s[10:11]
	s_and_saveexec_b64 s[8:9], s[38:39]
; %bb.150:
	v_xor_b32_e32 v17, 0x80000000, v16
	ds_write_b32 v8, v17
; %bb.151:
	s_or_b64 exec, exec, s[8:9]
	s_waitcnt lgkmcnt(0)
	s_barrier
	s_and_saveexec_b64 s[8:9], s[24:25]
	s_cbranch_execz .LBB1_153
; %bb.152:
	v_mov_b32_e32 v17, 0
	ds_read_b32 v17, v17 offset:13776
	ds_read_b32 v18, v8
	s_waitcnt lgkmcnt(0)
	v_fma_f32 v16, -v17, v18, v16
.LBB1_153:
	s_or_b64 exec, exec, s[8:9]
	s_barrier
	s_and_saveexec_b64 s[8:9], s[24:25]
; %bb.154:
	v_xor_b32_e32 v17, 0x80000000, v16
	ds_write_b32 v8, v17
; %bb.155:
	s_or_b64 exec, exec, s[8:9]
	s_waitcnt lgkmcnt(0)
	s_barrier
	s_barrier
	s_and_saveexec_b64 s[8:9], s[0:1]
; %bb.156:
	v_lshlrev_b32_e32 v17, 2, v2
	v_lshl_or_b32 v17, v3, 8, v17
	ds_write_b32 v17, v16 offset:14032
; %bb.157:
	s_or_b64 exec, exec, s[8:9]
	s_waitcnt lgkmcnt(0)
	s_barrier
	s_barrier
	s_and_saveexec_b64 s[8:9], vcc
; %bb.158:
	s_movk_i32 s10, 0x3400
	v_mov_b32_e32 v16, 1.0
	v_add_u32_e64 v17, s10, 0
	ds_write2_b32 v17, v16, v16 offset0:52 offset1:117
; %bb.159:
	s_or_b64 exec, exec, s[8:9]
	v_mov_b32_e32 v16, 0
	s_waitcnt lgkmcnt(0)
	s_barrier
	buffer_wbinvl1_vol
	s_and_saveexec_b64 s[10:11], s[2:3]
	s_cbranch_execz .LBB1_165
; %bb.160:
	v_lshlrev_b32_e32 v18, 2, v10
	v_lshlrev_b32_e32 v17, 8, v11
	ds_read_b32 v16, v18 offset:13504
	ds_read_b32 v19, v17 offset:13520
	v_cmp_gt_u32_e64 s[8:9], 12, v9
	s_waitcnt lgkmcnt(0)
	v_fma_f32 v16, v16, v19, 0
	s_and_saveexec_b64 s[12:13], s[8:9]
	s_cbranch_execnz .LBB1_1116
; %bb.161:
	s_or_b64 exec, exec, s[12:13]
	v_cmp_gt_u32_e64 s[8:9], 8, v9
	s_and_saveexec_b64 s[12:13], s[8:9]
	s_cbranch_execnz .LBB1_1117
.LBB1_162:
	s_or_b64 exec, exec, s[12:13]
	v_cmp_gt_u32_e64 s[8:9], 4, v9
	s_and_saveexec_b64 s[12:13], s[8:9]
	s_cbranch_execz .LBB1_164
.LBB1_163:
	v_lshlrev_b32_e32 v17, 2, v0
	v_mov_b32_e32 v18, 0
	ds_read_b32 v17, v17 offset:14272
	ds_read_b32 v18, v18 offset:14300
	s_waitcnt lgkmcnt(0)
	v_fmac_f32_e32 v16, v17, v18
.LBB1_164:
	s_or_b64 exec, exec, s[12:13]
.LBB1_165:
	s_or_b64 exec, exec, s[10:11]
	s_and_saveexec_b64 s[8:9], s[42:43]
; %bb.166:
	v_xor_b32_e32 v17, 0x80000000, v16
	ds_write_b32 v12, v17
; %bb.167:
	s_or_b64 exec, exec, s[8:9]
	s_waitcnt lgkmcnt(0)
	s_barrier
	s_and_saveexec_b64 s[8:9], s[44:45]
	s_cbranch_execz .LBB1_169
; %bb.168:
	v_lshlrev_b32_e32 v17, 2, v10
	ds_read_b32 v17, v17 offset:13248
	ds_read_b32 v18, v12
	s_waitcnt lgkmcnt(0)
	v_fma_f32 v16, -v17, v18, v16
.LBB1_169:
	s_or_b64 exec, exec, s[8:9]
	s_barrier
	s_and_saveexec_b64 s[8:9], s[46:47]
; %bb.170:
	v_xor_b32_e32 v17, 0x80000000, v16
	ds_write_b32 v12, v17
; %bb.171:
	s_or_b64 exec, exec, s[8:9]
	s_waitcnt lgkmcnt(0)
	s_barrier
	s_and_saveexec_b64 s[8:9], s[48:49]
	s_cbranch_execz .LBB1_173
; %bb.172:
	v_lshlrev_b32_e32 v17, 2, v10
	ds_read_b32 v17, v17 offset:12992
	ds_read_b32 v18, v12
	s_waitcnt lgkmcnt(0)
	v_fma_f32 v16, -v17, v18, v16
.LBB1_173:
	s_or_b64 exec, exec, s[8:9]
	s_barrier
	s_and_saveexec_b64 s[8:9], s[50:51]
; %bb.174:
	v_xor_b32_e32 v17, 0x80000000, v16
	ds_write_b32 v12, v17
; %bb.175:
	s_or_b64 exec, exec, s[8:9]
	s_waitcnt lgkmcnt(0)
	s_barrier
	s_and_saveexec_b64 s[8:9], s[40:41]
	s_cbranch_execz .LBB1_177
; %bb.176:
	v_mov_b32_e32 v17, 0
	ds_read_b32 v17, v17 offset:12736
	ds_read_b32 v18, v12
	s_waitcnt lgkmcnt(0)
	v_fma_f32 v16, -v17, v18, v16
.LBB1_177:
	s_or_b64 exec, exec, s[8:9]
	s_barrier
	s_and_saveexec_b64 s[8:9], s[40:41]
; %bb.178:
	v_xor_b32_e32 v17, 0x80000000, v16
	ds_write_b32 v12, v17
; %bb.179:
	s_or_b64 exec, exec, s[8:9]
	s_waitcnt lgkmcnt(0)
	s_barrier
	s_barrier
	s_and_saveexec_b64 s[8:9], s[2:3]
; %bb.180:
	v_lshlrev_b32_e32 v17, 2, v10
	v_lshl_or_b32 v17, v11, 8, v17
	ds_write_b32 v17, v16 offset:13504
; %bb.181:
	s_or_b64 exec, exec, s[8:9]
	s_waitcnt lgkmcnt(0)
	s_barrier
	s_barrier
	s_and_saveexec_b64 s[8:9], vcc
; %bb.182:
	s_movk_i32 s10, 0x3000
	v_mov_b32_e32 v16, 1.0
	v_add_u32_e64 v17, s10, 0
	ds_write2_b32 v17, v16, v16 offset0:178 offset1:243
; %bb.183:
	s_or_b64 exec, exec, s[8:9]
	v_mov_b32_e32 v16, 0
	s_waitcnt lgkmcnt(0)
	s_barrier
	buffer_wbinvl1_vol
	s_and_saveexec_b64 s[10:11], s[0:1]
	s_cbranch_execz .LBB1_187
; %bb.184:
	v_lshlrev_b32_e32 v16, 8, v3
	v_lshlrev_b32_e32 v17, 2, v2
	ds_read_b32 v18, v17 offset:12992
	ds_read_b32 v16, v16 offset:13000
	v_mov_b32_e32 v17, 0
	v_cmp_gt_u32_e64 s[8:9], 2, v9
	s_waitcnt lgkmcnt(0)
	v_fma_f32 v16, v18, v16, 0
	s_and_saveexec_b64 s[12:13], s[8:9]
	s_cbranch_execz .LBB1_186
; %bb.185:
	v_lshlrev_b32_e32 v18, 2, v0
	ds_read_b32 v18, v18 offset:13248
	ds_read_b32 v17, v17 offset:13260
	s_waitcnt lgkmcnt(0)
	v_fmac_f32_e32 v16, v18, v17
.LBB1_186:
	s_or_b64 exec, exec, s[12:13]
.LBB1_187:
	s_or_b64 exec, exec, s[10:11]
	s_and_saveexec_b64 s[8:9], s[38:39]
; %bb.188:
	v_xor_b32_e32 v17, 0x80000000, v16
	ds_write_b32 v8, v17
; %bb.189:
	s_or_b64 exec, exec, s[8:9]
	s_waitcnt lgkmcnt(0)
	s_barrier
	s_and_saveexec_b64 s[8:9], s[24:25]
	s_cbranch_execz .LBB1_191
; %bb.190:
	v_mov_b32_e32 v17, 0
	ds_read_b32 v17, v17 offset:12736
	ds_read_b32 v18, v8
	s_waitcnt lgkmcnt(0)
	v_fma_f32 v16, -v17, v18, v16
.LBB1_191:
	s_or_b64 exec, exec, s[8:9]
	s_barrier
	s_and_saveexec_b64 s[8:9], s[24:25]
; %bb.192:
	v_xor_b32_e32 v17, 0x80000000, v16
	ds_write_b32 v8, v17
; %bb.193:
	s_or_b64 exec, exec, s[8:9]
	s_waitcnt lgkmcnt(0)
	s_barrier
	s_barrier
	s_and_saveexec_b64 s[8:9], s[0:1]
; %bb.194:
	v_lshlrev_b32_e32 v17, 2, v2
	v_lshl_or_b32 v17, v3, 8, v17
	ds_write_b32 v17, v16 offset:12992
; %bb.195:
	s_or_b64 exec, exec, s[8:9]
	s_waitcnt lgkmcnt(0)
	s_barrier
	s_barrier
	s_and_saveexec_b64 s[8:9], vcc
; %bb.196:
	s_movk_i32 s10, 0x3000
	v_mov_b32_e32 v16, 1.0
	v_add_u32_e64 v17, s10, 0
	ds_write2_b32 v17, v16, v16 offset0:48 offset1:113
; %bb.197:
	s_or_b64 exec, exec, s[8:9]
	s_movk_i32 s8, 0xff
	v_lshrrev_b32_e32 v18, 4, v9
	v_cmp_lt_u32_e64 s[10:11], s8, v9
	s_movk_i32 s8, 0x100
	v_and_b32_e32 v16, 15, v0
	v_sub_u32_e32 v17, 15, v18
	v_cmp_gt_u32_e64 s[8:9], s8, v9
	v_mov_b32_e32 v19, 0
	s_waitcnt lgkmcnt(0)
	s_barrier
	buffer_wbinvl1_vol
	s_and_saveexec_b64 s[16:17], s[8:9]
	s_cbranch_execz .LBB1_225
; %bb.198:
	v_lshlrev_b32_e32 v21, 2, v16
	v_lshlrev_b32_e32 v20, 8, v17
	ds_read_b32 v19, v21 offset:12416
	ds_read_b32 v22, v20 offset:12480
	s_movk_i32 s12, 0xf0
	v_cmp_gt_u32_e64 s[12:13], s12, v9
	s_waitcnt lgkmcnt(0)
	v_fma_f32 v19, v19, v22, 0
	s_and_saveexec_b64 s[80:81], s[12:13]
	s_cbranch_execz .LBB1_200
; %bb.199:
	ds_read_b32 v22, v21 offset:12672
	ds_read_b32 v23, v20 offset:12484
	s_waitcnt lgkmcnt(0)
	v_fmac_f32_e32 v19, v22, v23
.LBB1_200:
	s_or_b64 exec, exec, s[80:81]
	s_movk_i32 s12, 0xe0
	v_cmp_gt_u32_e64 s[12:13], s12, v9
	s_and_saveexec_b64 s[80:81], s[12:13]
	s_cbranch_execz .LBB1_202
; %bb.201:
	ds_read_b32 v22, v21 offset:12928
	ds_read_b32 v23, v20 offset:12488
	s_waitcnt lgkmcnt(0)
	v_fmac_f32_e32 v19, v22, v23
.LBB1_202:
	s_or_b64 exec, exec, s[80:81]
	s_movk_i32 s12, 0xd0
	v_cmp_gt_u32_e64 s[12:13], s12, v9
	;; [unrolled: 11-line block ×10, first 2 shown]
	s_and_saveexec_b64 s[80:81], s[12:13]
	s_cbranch_execnz .LBB1_1118
; %bb.219:
	s_or_b64 exec, exec, s[80:81]
	s_and_saveexec_b64 s[12:13], s[14:15]
	s_cbranch_execnz .LBB1_1119
.LBB1_220:
	s_or_b64 exec, exec, s[12:13]
	v_cmp_gt_u32_e64 s[12:13], 48, v9
	s_and_saveexec_b64 s[80:81], s[12:13]
	s_cbranch_execnz .LBB1_1120
.LBB1_221:
	s_or_b64 exec, exec, s[80:81]
	v_cmp_gt_u32_e64 s[12:13], 32, v9
	s_and_saveexec_b64 s[80:81], s[12:13]
	s_cbranch_execnz .LBB1_1121
.LBB1_222:
	s_or_b64 exec, exec, s[80:81]
	v_cmp_gt_u32_e64 s[12:13], 16, v9
	s_and_saveexec_b64 s[80:81], s[12:13]
	s_cbranch_execz .LBB1_224
.LBB1_223:
	v_lshlrev_b32_e32 v20, 2, v0
	v_mov_b32_e32 v21, 0
	ds_read_b32 v20, v20 offset:16256
	ds_read_b32 v21, v21 offset:16380
	s_waitcnt lgkmcnt(0)
	v_fmac_f32_e32 v19, v20, v21
.LBB1_224:
	s_or_b64 exec, exec, s[80:81]
.LBB1_225:
	s_or_b64 exec, exec, s[16:17]
	v_mov_b32_e32 v20, 0x4000
	v_lshl_add_u32 v18, v18, 2, v20
	v_cmp_eq_u32_e64 s[12:13], 15, v16
	s_xor_b64 s[16:17], s[10:11], -1
	s_and_b64 s[12:13], s[12:13], s[16:17]
	s_mov_b64 s[10:11], exec
	v_writelane_b32 v27, s12, 1
	v_writelane_b32 v27, s13, 2
	s_and_b64 s[12:13], s[10:11], s[12:13]
	s_mov_b64 exec, s[12:13]
; %bb.226:
	v_xor_b32_e32 v20, 0x80000000, v19
	ds_write_b32 v18, v20
; %bb.227:
	s_or_b64 exec, exec, s[10:11]
	v_cmp_ne_u32_e64 s[10:11], 15, v16
	s_waitcnt lgkmcnt(0)
	s_barrier
	s_and_b64 s[12:13], s[10:11], s[16:17]
	s_mov_b64 s[10:11], exec
	v_writelane_b32 v27, s12, 3
	v_writelane_b32 v27, s13, 4
	s_and_b64 s[12:13], s[10:11], s[12:13]
	s_mov_b64 exec, s[12:13]
	s_cbranch_execz .LBB1_229
; %bb.228:
	v_lshlrev_b32_e32 v20, 2, v16
	ds_read_b32 v20, v20 offset:12160
	ds_read_b32 v21, v18
	s_waitcnt lgkmcnt(0)
	v_fma_f32 v19, -v20, v21, v19
.LBB1_229:
	s_or_b64 exec, exec, s[10:11]
	v_cmp_eq_u32_e64 s[10:11], 14, v16
	s_barrier
	s_and_b64 s[12:13], s[10:11], s[16:17]
	s_mov_b64 s[10:11], exec
	v_writelane_b32 v27, s12, 5
	v_writelane_b32 v27, s13, 6
	s_and_b64 s[12:13], s[10:11], s[12:13]
	s_mov_b64 exec, s[12:13]
; %bb.230:
	v_xor_b32_e32 v20, 0x80000000, v19
	ds_write_b32 v18, v20
; %bb.231:
	s_or_b64 exec, exec, s[10:11]
	v_cmp_gt_u32_e64 s[10:11], 14, v16
	s_waitcnt lgkmcnt(0)
	s_barrier
	s_and_b64 s[12:13], s[10:11], s[16:17]
	s_mov_b64 s[10:11], exec
	v_writelane_b32 v27, s12, 7
	v_writelane_b32 v27, s13, 8
	s_and_b64 s[12:13], s[10:11], s[12:13]
	s_mov_b64 exec, s[12:13]
	s_cbranch_execz .LBB1_233
; %bb.232:
	v_lshlrev_b32_e32 v20, 2, v16
	ds_read_b32 v20, v20 offset:11904
	ds_read_b32 v21, v18
	s_waitcnt lgkmcnt(0)
	v_fma_f32 v19, -v20, v21, v19
.LBB1_233:
	s_or_b64 exec, exec, s[10:11]
	v_cmp_eq_u32_e64 s[10:11], 13, v16
	s_barrier
	s_and_b64 s[12:13], s[10:11], s[16:17]
	s_mov_b64 s[10:11], exec
	v_writelane_b32 v27, s12, 9
	v_writelane_b32 v27, s13, 10
	s_and_b64 s[12:13], s[10:11], s[12:13]
	s_mov_b64 exec, s[12:13]
; %bb.234:
	v_xor_b32_e32 v20, 0x80000000, v19
	ds_write_b32 v18, v20
; %bb.235:
	s_or_b64 exec, exec, s[10:11]
	v_cmp_gt_u32_e64 s[10:11], 13, v16
	;; [unrolled: 31-line block ×12, first 2 shown]
	s_waitcnt lgkmcnt(0)
	s_barrier
	s_and_b64 s[12:13], s[10:11], s[16:17]
	s_mov_b64 s[10:11], exec
	v_writelane_b32 v27, s12, 51
	v_writelane_b32 v27, s13, 52
	s_and_b64 s[12:13], s[10:11], s[12:13]
	s_mov_b64 exec, s[12:13]
	s_cbranch_execz .LBB1_277
; %bb.276:
	v_lshlrev_b32_e32 v20, 2, v16
	ds_read_b32 v20, v20 offset:9088
	ds_read_b32 v21, v18
	s_waitcnt lgkmcnt(0)
	v_fma_f32 v19, -v20, v21, v19
.LBB1_277:
	s_or_b64 exec, exec, s[10:11]
	v_cmp_eq_u32_e64 s[10:11], 2, v16
	s_and_b64 s[86:87], s[10:11], s[16:17]
	s_barrier
	s_and_saveexec_b64 s[10:11], s[86:87]
; %bb.278:
	v_xor_b32_e32 v20, 0x80000000, v19
	ds_write_b32 v18, v20
; %bb.279:
	s_or_b64 exec, exec, s[10:11]
	v_cmp_gt_u32_e64 s[10:11], 2, v16
	s_and_b64 s[88:89], s[10:11], s[16:17]
	s_waitcnt lgkmcnt(0)
	s_barrier
	s_and_saveexec_b64 s[10:11], s[88:89]
	s_cbranch_execz .LBB1_281
; %bb.280:
	v_lshlrev_b32_e32 v20, 2, v16
	ds_read_b32 v20, v20 offset:8832
	ds_read_b32 v21, v18
	s_waitcnt lgkmcnt(0)
	v_fma_f32 v19, -v20, v21, v19
.LBB1_281:
	s_or_b64 exec, exec, s[10:11]
	v_cmp_eq_u32_e64 s[10:11], 1, v16
	s_and_b64 s[92:93], s[10:11], s[16:17]
	s_barrier
	s_and_saveexec_b64 s[10:11], s[92:93]
; %bb.282:
	v_xor_b32_e32 v20, 0x80000000, v19
	ds_write_b32 v18, v20
; %bb.283:
	s_or_b64 exec, exec, s[10:11]
	v_cmp_eq_u32_e64 s[10:11], 0, v16
	s_and_b64 s[90:91], s[10:11], s[16:17]
	s_waitcnt lgkmcnt(0)
	s_barrier
	s_and_saveexec_b64 s[10:11], s[90:91]
	s_cbranch_execz .LBB1_285
; %bb.284:
	v_mov_b32_e32 v20, 0
	ds_read_b32 v20, v20 offset:8576
	ds_read_b32 v21, v18
	s_waitcnt lgkmcnt(0)
	v_fma_f32 v19, -v20, v21, v19
.LBB1_285:
	s_or_b64 exec, exec, s[10:11]
	s_barrier
	s_and_saveexec_b64 s[10:11], s[90:91]
; %bb.286:
	v_xor_b32_e32 v20, 0x80000000, v19
	ds_write_b32 v18, v20
; %bb.287:
	s_or_b64 exec, exec, s[10:11]
	s_waitcnt lgkmcnt(0)
	s_barrier
	s_barrier
	s_and_saveexec_b64 s[10:11], s[8:9]
; %bb.288:
	v_lshlrev_b32_e32 v20, 2, v16
	v_lshl_or_b32 v20, v17, 8, v20
	ds_write_b32 v20, v19 offset:12416
; %bb.289:
	s_or_b64 exec, exec, s[10:11]
	s_waitcnt lgkmcnt(0)
	s_barrier
	s_barrier
	s_and_saveexec_b64 s[10:11], vcc
; %bb.290:
	s_movk_i32 s12, 0x2c00
	v_mov_b32_e32 v19, 1.0
	v_add_u32_e64 v20, s12, 0
	ds_write2_b32 v20, v19, v19 offset0:174 offset1:239
; %bb.291:
	s_or_b64 exec, exec, s[10:11]
	v_mov_b32_e32 v19, 0
	s_waitcnt lgkmcnt(0)
	s_barrier
	buffer_wbinvl1_vol
	s_and_saveexec_b64 s[12:13], s[0:1]
	s_cbranch_execz .LBB1_295
; %bb.292:
	v_lshlrev_b32_e32 v19, 8, v3
	v_lshlrev_b32_e32 v20, 2, v2
	ds_read_b32 v21, v20 offset:11952
	ds_read_b32 v19, v19 offset:11960
	v_mov_b32_e32 v20, 0
	v_cmp_gt_u32_e64 s[10:11], 2, v9
	s_waitcnt lgkmcnt(0)
	v_fma_f32 v19, v21, v19, 0
	s_and_saveexec_b64 s[16:17], s[10:11]
	s_cbranch_execz .LBB1_294
; %bb.293:
	v_lshlrev_b32_e32 v21, 2, v0
	ds_read_b32 v21, v21 offset:12208
	ds_read_b32 v20, v20 offset:12220
	s_waitcnt lgkmcnt(0)
	v_fmac_f32_e32 v19, v21, v20
.LBB1_294:
	s_or_b64 exec, exec, s[16:17]
.LBB1_295:
	s_or_b64 exec, exec, s[12:13]
	s_and_saveexec_b64 s[10:11], s[38:39]
; %bb.296:
	v_xor_b32_e32 v20, 0x80000000, v19
	ds_write_b32 v8, v20
; %bb.297:
	s_or_b64 exec, exec, s[10:11]
	s_waitcnt lgkmcnt(0)
	s_barrier
	s_and_saveexec_b64 s[10:11], s[24:25]
	s_cbranch_execz .LBB1_299
; %bb.298:
	v_mov_b32_e32 v20, 0
	ds_read_b32 v20, v20 offset:11696
	ds_read_b32 v21, v8
	s_waitcnt lgkmcnt(0)
	v_fma_f32 v19, -v20, v21, v19
.LBB1_299:
	s_or_b64 exec, exec, s[10:11]
	s_barrier
	s_and_saveexec_b64 s[10:11], s[24:25]
; %bb.300:
	v_xor_b32_e32 v20, 0x80000000, v19
	ds_write_b32 v8, v20
; %bb.301:
	s_or_b64 exec, exec, s[10:11]
	s_waitcnt lgkmcnt(0)
	s_barrier
	s_barrier
	s_and_saveexec_b64 s[10:11], s[0:1]
; %bb.302:
	v_lshlrev_b32_e32 v20, 2, v2
	v_lshl_or_b32 v20, v3, 8, v20
	ds_write_b32 v20, v19 offset:11952
; %bb.303:
	s_or_b64 exec, exec, s[10:11]
	s_waitcnt lgkmcnt(0)
	s_barrier
	s_barrier
	s_and_saveexec_b64 s[10:11], vcc
; %bb.304:
	s_movk_i32 s12, 0x2c00
	v_mov_b32_e32 v19, 1.0
	v_add_u32_e64 v20, s12, 0
	ds_write2_b32 v20, v19, v19 offset0:44 offset1:109
; %bb.305:
	s_or_b64 exec, exec, s[10:11]
	v_mov_b32_e32 v19, 0
	s_waitcnt lgkmcnt(0)
	s_barrier
	buffer_wbinvl1_vol
	s_and_saveexec_b64 s[12:13], s[2:3]
	s_cbranch_execz .LBB1_311
; %bb.306:
	v_lshlrev_b32_e32 v21, 2, v10
	v_lshlrev_b32_e32 v20, 8, v11
	ds_read_b32 v19, v21 offset:11424
	ds_read_b32 v22, v20 offset:11440
	v_cmp_gt_u32_e64 s[10:11], 12, v9
	s_waitcnt lgkmcnt(0)
	v_fma_f32 v19, v19, v22, 0
	s_and_saveexec_b64 s[16:17], s[10:11]
	s_cbranch_execnz .LBB1_1122
; %bb.307:
	s_or_b64 exec, exec, s[16:17]
	v_cmp_gt_u32_e64 s[10:11], 8, v9
	s_and_saveexec_b64 s[16:17], s[10:11]
	s_cbranch_execnz .LBB1_1123
.LBB1_308:
	s_or_b64 exec, exec, s[16:17]
	v_cmp_gt_u32_e64 s[10:11], 4, v9
	s_and_saveexec_b64 s[16:17], s[10:11]
	s_cbranch_execz .LBB1_310
.LBB1_309:
	v_lshlrev_b32_e32 v20, 2, v0
	v_mov_b32_e32 v21, 0
	ds_read_b32 v20, v20 offset:12192
	ds_read_b32 v21, v21 offset:12220
	s_waitcnt lgkmcnt(0)
	v_fmac_f32_e32 v19, v20, v21
.LBB1_310:
	s_or_b64 exec, exec, s[16:17]
.LBB1_311:
	s_or_b64 exec, exec, s[12:13]
	s_and_saveexec_b64 s[10:11], s[42:43]
; %bb.312:
	v_xor_b32_e32 v20, 0x80000000, v19
	ds_write_b32 v12, v20
; %bb.313:
	s_or_b64 exec, exec, s[10:11]
	s_waitcnt lgkmcnt(0)
	s_barrier
	s_and_saveexec_b64 s[10:11], s[44:45]
	s_cbranch_execz .LBB1_315
; %bb.314:
	v_lshlrev_b32_e32 v20, 2, v10
	ds_read_b32 v20, v20 offset:11168
	ds_read_b32 v21, v12
	s_waitcnt lgkmcnt(0)
	v_fma_f32 v19, -v20, v21, v19
.LBB1_315:
	s_or_b64 exec, exec, s[10:11]
	s_barrier
	s_and_saveexec_b64 s[10:11], s[46:47]
; %bb.316:
	v_xor_b32_e32 v20, 0x80000000, v19
	ds_write_b32 v12, v20
; %bb.317:
	s_or_b64 exec, exec, s[10:11]
	s_waitcnt lgkmcnt(0)
	s_barrier
	s_and_saveexec_b64 s[10:11], s[48:49]
	s_cbranch_execz .LBB1_319
; %bb.318:
	v_lshlrev_b32_e32 v20, 2, v10
	ds_read_b32 v20, v20 offset:10912
	ds_read_b32 v21, v12
	s_waitcnt lgkmcnt(0)
	v_fma_f32 v19, -v20, v21, v19
.LBB1_319:
	s_or_b64 exec, exec, s[10:11]
	s_barrier
	s_and_saveexec_b64 s[10:11], s[50:51]
; %bb.320:
	v_xor_b32_e32 v20, 0x80000000, v19
	ds_write_b32 v12, v20
; %bb.321:
	s_or_b64 exec, exec, s[10:11]
	s_waitcnt lgkmcnt(0)
	s_barrier
	s_and_saveexec_b64 s[10:11], s[40:41]
	s_cbranch_execz .LBB1_323
; %bb.322:
	v_mov_b32_e32 v20, 0
	ds_read_b32 v20, v20 offset:10656
	ds_read_b32 v21, v12
	s_waitcnt lgkmcnt(0)
	v_fma_f32 v19, -v20, v21, v19
.LBB1_323:
	s_or_b64 exec, exec, s[10:11]
	s_barrier
	s_and_saveexec_b64 s[10:11], s[40:41]
; %bb.324:
	v_xor_b32_e32 v20, 0x80000000, v19
	ds_write_b32 v12, v20
; %bb.325:
	s_or_b64 exec, exec, s[10:11]
	s_waitcnt lgkmcnt(0)
	s_barrier
	s_barrier
	s_and_saveexec_b64 s[10:11], s[2:3]
; %bb.326:
	v_lshlrev_b32_e32 v20, 2, v10
	v_lshl_or_b32 v20, v11, 8, v20
	ds_write_b32 v20, v19 offset:11424
; %bb.327:
	s_or_b64 exec, exec, s[10:11]
	s_waitcnt lgkmcnt(0)
	s_barrier
	s_barrier
	s_and_saveexec_b64 s[10:11], vcc
; %bb.328:
	s_movk_i32 s12, 0x2800
	v_mov_b32_e32 v19, 1.0
	v_add_u32_e64 v20, s12, 0
	ds_write2_b32 v20, v19, v19 offset0:170 offset1:235
; %bb.329:
	s_or_b64 exec, exec, s[10:11]
	v_mov_b32_e32 v19, 0
	s_waitcnt lgkmcnt(0)
	s_barrier
	buffer_wbinvl1_vol
	s_and_saveexec_b64 s[12:13], s[0:1]
	s_cbranch_execz .LBB1_333
; %bb.330:
	v_lshlrev_b32_e32 v19, 8, v3
	v_lshlrev_b32_e32 v20, 2, v2
	ds_read_b32 v21, v20 offset:10912
	ds_read_b32 v19, v19 offset:10920
	v_mov_b32_e32 v20, 0
	v_cmp_gt_u32_e64 s[10:11], 2, v9
	s_waitcnt lgkmcnt(0)
	v_fma_f32 v19, v21, v19, 0
	s_and_saveexec_b64 s[16:17], s[10:11]
	s_cbranch_execz .LBB1_332
; %bb.331:
	v_lshlrev_b32_e32 v21, 2, v0
	ds_read_b32 v21, v21 offset:11168
	ds_read_b32 v20, v20 offset:11180
	s_waitcnt lgkmcnt(0)
	v_fmac_f32_e32 v19, v21, v20
.LBB1_332:
	s_or_b64 exec, exec, s[16:17]
.LBB1_333:
	s_or_b64 exec, exec, s[12:13]
	s_and_saveexec_b64 s[10:11], s[38:39]
; %bb.334:
	v_xor_b32_e32 v20, 0x80000000, v19
	ds_write_b32 v8, v20
; %bb.335:
	s_or_b64 exec, exec, s[10:11]
	s_waitcnt lgkmcnt(0)
	s_barrier
	s_and_saveexec_b64 s[10:11], s[24:25]
	s_cbranch_execz .LBB1_337
; %bb.336:
	v_mov_b32_e32 v20, 0
	ds_read_b32 v20, v20 offset:10656
	ds_read_b32 v21, v8
	s_waitcnt lgkmcnt(0)
	v_fma_f32 v19, -v20, v21, v19
.LBB1_337:
	s_or_b64 exec, exec, s[10:11]
	s_barrier
	s_and_saveexec_b64 s[10:11], s[24:25]
; %bb.338:
	v_xor_b32_e32 v20, 0x80000000, v19
	ds_write_b32 v8, v20
; %bb.339:
	s_or_b64 exec, exec, s[10:11]
	s_waitcnt lgkmcnt(0)
	s_barrier
	s_barrier
	s_and_saveexec_b64 s[10:11], s[0:1]
; %bb.340:
	v_lshlrev_b32_e32 v20, 2, v2
	v_lshl_or_b32 v20, v3, 8, v20
	ds_write_b32 v20, v19 offset:10912
; %bb.341:
	s_or_b64 exec, exec, s[10:11]
	s_waitcnt lgkmcnt(0)
	s_barrier
	s_barrier
	s_and_saveexec_b64 s[10:11], vcc
; %bb.342:
	s_movk_i32 s12, 0x2800
	v_mov_b32_e32 v19, 1.0
	v_add_u32_e64 v20, s12, 0
	ds_write2_b32 v20, v19, v19 offset0:40 offset1:105
; %bb.343:
	s_or_b64 exec, exec, s[10:11]
	v_mov_b32_e32 v19, 0
	s_waitcnt lgkmcnt(0)
	s_barrier
	buffer_wbinvl1_vol
	s_and_saveexec_b64 s[12:13], s[14:15]
	s_cbranch_execz .LBB1_353
; %bb.344:
	v_lshlrev_b32_e32 v21, 2, v13
	v_lshlrev_b32_e32 v20, 8, v14
	ds_read_b32 v19, v21 offset:10368
	ds_read_b32 v22, v20 offset:10400
	v_cmp_gt_u32_e64 s[10:11], 56, v9
	s_waitcnt lgkmcnt(0)
	v_fma_f32 v19, v19, v22, 0
	s_and_saveexec_b64 s[16:17], s[10:11]
	s_cbranch_execnz .LBB1_1124
; %bb.345:
	s_or_b64 exec, exec, s[16:17]
	v_cmp_gt_u32_e64 s[10:11], 48, v9
	s_and_saveexec_b64 s[16:17], s[10:11]
	s_cbranch_execnz .LBB1_1125
.LBB1_346:
	s_or_b64 exec, exec, s[16:17]
	v_cmp_gt_u32_e64 s[10:11], 40, v9
	s_and_saveexec_b64 s[16:17], s[10:11]
	s_cbranch_execnz .LBB1_1126
.LBB1_347:
	s_or_b64 exec, exec, s[16:17]
	v_cmp_gt_u32_e64 s[10:11], 32, v9
	s_and_saveexec_b64 s[16:17], s[10:11]
	s_cbranch_execnz .LBB1_1127
.LBB1_348:
	s_or_b64 exec, exec, s[16:17]
	v_cmp_gt_u32_e64 s[10:11], 24, v9
	s_and_saveexec_b64 s[16:17], s[10:11]
	s_cbranch_execnz .LBB1_1128
.LBB1_349:
	s_or_b64 exec, exec, s[16:17]
	s_and_saveexec_b64 s[10:11], s[2:3]
	s_cbranch_execnz .LBB1_1129
.LBB1_350:
	s_or_b64 exec, exec, s[10:11]
	v_cmp_gt_u32_e64 s[10:11], 8, v9
	s_and_saveexec_b64 s[16:17], s[10:11]
	s_cbranch_execz .LBB1_352
.LBB1_351:
	v_lshlrev_b32_e32 v20, 2, v0
	v_mov_b32_e32 v21, 0
	ds_read_b32 v20, v20 offset:12160
	ds_read_b32 v21, v21 offset:12220
	s_waitcnt lgkmcnt(0)
	v_fmac_f32_e32 v19, v20, v21
.LBB1_352:
	s_or_b64 exec, exec, s[16:17]
.LBB1_353:
	s_or_b64 exec, exec, s[12:13]
	s_and_saveexec_b64 s[10:11], s[52:53]
; %bb.354:
	v_xor_b32_e32 v20, 0x80000000, v19
	ds_write_b32 v15, v20
; %bb.355:
	s_or_b64 exec, exec, s[10:11]
	s_waitcnt lgkmcnt(0)
	s_barrier
	s_and_saveexec_b64 s[10:11], s[54:55]
	s_cbranch_execz .LBB1_357
; %bb.356:
	v_lshlrev_b32_e32 v20, 2, v13
	ds_read_b32 v20, v20 offset:10112
	ds_read_b32 v21, v15
	s_waitcnt lgkmcnt(0)
	v_fma_f32 v19, -v20, v21, v19
.LBB1_357:
	s_or_b64 exec, exec, s[10:11]
	s_barrier
	s_and_saveexec_b64 s[10:11], s[56:57]
; %bb.358:
	v_xor_b32_e32 v20, 0x80000000, v19
	ds_write_b32 v15, v20
; %bb.359:
	s_or_b64 exec, exec, s[10:11]
	s_waitcnt lgkmcnt(0)
	s_barrier
	s_and_saveexec_b64 s[10:11], s[58:59]
	s_cbranch_execz .LBB1_361
; %bb.360:
	v_lshlrev_b32_e32 v20, 2, v13
	ds_read_b32 v20, v20 offset:9856
	ds_read_b32 v21, v15
	s_waitcnt lgkmcnt(0)
	v_fma_f32 v19, -v20, v21, v19
.LBB1_361:
	s_or_b64 exec, exec, s[10:11]
	s_barrier
	;; [unrolled: 19-line block ×6, first 2 shown]
	s_and_saveexec_b64 s[10:11], s[78:79]
; %bb.378:
	v_xor_b32_e32 v20, 0x80000000, v19
	ds_write_b32 v15, v20
; %bb.379:
	s_or_b64 exec, exec, s[10:11]
	s_waitcnt lgkmcnt(0)
	s_barrier
	s_and_saveexec_b64 s[10:11], s[62:63]
	s_cbranch_execz .LBB1_381
; %bb.380:
	v_mov_b32_e32 v20, 0
	ds_read_b32 v20, v20 offset:8576
	ds_read_b32 v21, v15
	s_waitcnt lgkmcnt(0)
	v_fma_f32 v19, -v20, v21, v19
.LBB1_381:
	s_or_b64 exec, exec, s[10:11]
	s_barrier
	s_and_saveexec_b64 s[10:11], s[62:63]
; %bb.382:
	v_xor_b32_e32 v20, 0x80000000, v19
	ds_write_b32 v15, v20
; %bb.383:
	s_or_b64 exec, exec, s[10:11]
	s_waitcnt lgkmcnt(0)
	s_barrier
	s_barrier
	s_and_saveexec_b64 s[10:11], s[14:15]
; %bb.384:
	v_lshlrev_b32_e32 v20, 2, v13
	v_lshl_or_b32 v20, v14, 8, v20
	ds_write_b32 v20, v19 offset:10368
; %bb.385:
	s_or_b64 exec, exec, s[10:11]
	s_waitcnt lgkmcnt(0)
	s_barrier
	s_barrier
	s_and_saveexec_b64 s[10:11], vcc
; %bb.386:
	s_movk_i32 s12, 0x2400
	v_mov_b32_e32 v19, 1.0
	v_add_u32_e64 v20, s12, 0
	ds_write2_b32 v20, v19, v19 offset0:166 offset1:231
; %bb.387:
	s_or_b64 exec, exec, s[10:11]
	v_mov_b32_e32 v19, 0
	s_waitcnt lgkmcnt(0)
	s_barrier
	buffer_wbinvl1_vol
	s_and_saveexec_b64 s[12:13], s[0:1]
	s_cbranch_execz .LBB1_391
; %bb.388:
	v_lshlrev_b32_e32 v19, 8, v3
	v_lshlrev_b32_e32 v20, 2, v2
	ds_read_b32 v21, v20 offset:9872
	ds_read_b32 v19, v19 offset:9880
	v_mov_b32_e32 v20, 0
	v_cmp_gt_u32_e64 s[10:11], 2, v9
	s_waitcnt lgkmcnt(0)
	v_fma_f32 v19, v21, v19, 0
	s_and_saveexec_b64 s[16:17], s[10:11]
	s_cbranch_execz .LBB1_390
; %bb.389:
	v_lshlrev_b32_e32 v21, 2, v0
	ds_read_b32 v21, v21 offset:10128
	ds_read_b32 v20, v20 offset:10140
	s_waitcnt lgkmcnt(0)
	v_fmac_f32_e32 v19, v21, v20
.LBB1_390:
	s_or_b64 exec, exec, s[16:17]
.LBB1_391:
	s_or_b64 exec, exec, s[12:13]
	s_and_saveexec_b64 s[10:11], s[38:39]
; %bb.392:
	v_xor_b32_e32 v20, 0x80000000, v19
	ds_write_b32 v8, v20
; %bb.393:
	s_or_b64 exec, exec, s[10:11]
	s_waitcnt lgkmcnt(0)
	s_barrier
	s_and_saveexec_b64 s[10:11], s[24:25]
	s_cbranch_execz .LBB1_395
; %bb.394:
	v_mov_b32_e32 v20, 0
	ds_read_b32 v20, v20 offset:9616
	ds_read_b32 v21, v8
	s_waitcnt lgkmcnt(0)
	v_fma_f32 v19, -v20, v21, v19
.LBB1_395:
	s_or_b64 exec, exec, s[10:11]
	s_barrier
	s_and_saveexec_b64 s[10:11], s[24:25]
; %bb.396:
	v_xor_b32_e32 v20, 0x80000000, v19
	ds_write_b32 v8, v20
; %bb.397:
	s_or_b64 exec, exec, s[10:11]
	s_waitcnt lgkmcnt(0)
	s_barrier
	s_barrier
	s_and_saveexec_b64 s[10:11], s[0:1]
; %bb.398:
	v_lshlrev_b32_e32 v20, 2, v2
	v_lshl_or_b32 v20, v3, 8, v20
	ds_write_b32 v20, v19 offset:9872
; %bb.399:
	s_or_b64 exec, exec, s[10:11]
	s_waitcnt lgkmcnt(0)
	s_barrier
	s_barrier
	s_and_saveexec_b64 s[10:11], vcc
; %bb.400:
	s_movk_i32 s12, 0x2400
	v_mov_b32_e32 v19, 1.0
	v_add_u32_e64 v20, s12, 0
	ds_write2_b32 v20, v19, v19 offset0:36 offset1:101
; %bb.401:
	s_or_b64 exec, exec, s[10:11]
	v_mov_b32_e32 v19, 0
	s_waitcnt lgkmcnt(0)
	s_barrier
	buffer_wbinvl1_vol
	s_and_saveexec_b64 s[12:13], s[2:3]
	s_cbranch_execz .LBB1_407
; %bb.402:
	v_lshlrev_b32_e32 v21, 2, v10
	v_lshlrev_b32_e32 v20, 8, v11
	ds_read_b32 v19, v21 offset:9344
	ds_read_b32 v22, v20 offset:9360
	v_cmp_gt_u32_e64 s[10:11], 12, v9
	s_waitcnt lgkmcnt(0)
	v_fma_f32 v19, v19, v22, 0
	s_and_saveexec_b64 s[16:17], s[10:11]
	s_cbranch_execnz .LBB1_1130
; %bb.403:
	s_or_b64 exec, exec, s[16:17]
	v_cmp_gt_u32_e64 s[10:11], 8, v9
	s_and_saveexec_b64 s[16:17], s[10:11]
	s_cbranch_execnz .LBB1_1131
.LBB1_404:
	s_or_b64 exec, exec, s[16:17]
	v_cmp_gt_u32_e64 s[10:11], 4, v9
	s_and_saveexec_b64 s[16:17], s[10:11]
	s_cbranch_execz .LBB1_406
.LBB1_405:
	v_lshlrev_b32_e32 v20, 2, v0
	v_mov_b32_e32 v21, 0
	ds_read_b32 v20, v20 offset:10112
	ds_read_b32 v21, v21 offset:10140
	s_waitcnt lgkmcnt(0)
	v_fmac_f32_e32 v19, v20, v21
.LBB1_406:
	s_or_b64 exec, exec, s[16:17]
.LBB1_407:
	s_or_b64 exec, exec, s[12:13]
	s_and_saveexec_b64 s[10:11], s[42:43]
; %bb.408:
	v_xor_b32_e32 v20, 0x80000000, v19
	ds_write_b32 v12, v20
; %bb.409:
	s_or_b64 exec, exec, s[10:11]
	s_waitcnt lgkmcnt(0)
	s_barrier
	s_and_saveexec_b64 s[10:11], s[44:45]
	s_cbranch_execz .LBB1_411
; %bb.410:
	v_lshlrev_b32_e32 v20, 2, v10
	ds_read_b32 v20, v20 offset:9088
	ds_read_b32 v21, v12
	s_waitcnt lgkmcnt(0)
	v_fma_f32 v19, -v20, v21, v19
.LBB1_411:
	s_or_b64 exec, exec, s[10:11]
	s_barrier
	s_and_saveexec_b64 s[10:11], s[46:47]
; %bb.412:
	v_xor_b32_e32 v20, 0x80000000, v19
	ds_write_b32 v12, v20
; %bb.413:
	s_or_b64 exec, exec, s[10:11]
	s_waitcnt lgkmcnt(0)
	s_barrier
	s_and_saveexec_b64 s[10:11], s[48:49]
	s_cbranch_execz .LBB1_415
; %bb.414:
	v_lshlrev_b32_e32 v20, 2, v10
	ds_read_b32 v20, v20 offset:8832
	ds_read_b32 v21, v12
	s_waitcnt lgkmcnt(0)
	v_fma_f32 v19, -v20, v21, v19
.LBB1_415:
	s_or_b64 exec, exec, s[10:11]
	s_barrier
	s_and_saveexec_b64 s[10:11], s[50:51]
; %bb.416:
	v_xor_b32_e32 v20, 0x80000000, v19
	ds_write_b32 v12, v20
; %bb.417:
	s_or_b64 exec, exec, s[10:11]
	s_waitcnt lgkmcnt(0)
	s_barrier
	s_and_saveexec_b64 s[10:11], s[40:41]
	s_cbranch_execz .LBB1_419
; %bb.418:
	v_mov_b32_e32 v20, 0
	ds_read_b32 v20, v20 offset:8576
	ds_read_b32 v21, v12
	s_waitcnt lgkmcnt(0)
	v_fma_f32 v19, -v20, v21, v19
.LBB1_419:
	s_or_b64 exec, exec, s[10:11]
	s_barrier
	s_and_saveexec_b64 s[10:11], s[40:41]
; %bb.420:
	v_xor_b32_e32 v20, 0x80000000, v19
	ds_write_b32 v12, v20
; %bb.421:
	s_or_b64 exec, exec, s[10:11]
	s_waitcnt lgkmcnt(0)
	s_barrier
	s_barrier
	s_and_saveexec_b64 s[10:11], s[2:3]
; %bb.422:
	v_lshlrev_b32_e32 v20, 2, v10
	v_lshl_or_b32 v20, v11, 8, v20
	ds_write_b32 v20, v19 offset:9344
; %bb.423:
	s_or_b64 exec, exec, s[10:11]
	s_waitcnt lgkmcnt(0)
	s_barrier
	s_barrier
	s_and_saveexec_b64 s[10:11], vcc
; %bb.424:
	s_movk_i32 s12, 0x2000
	v_mov_b32_e32 v19, 1.0
	v_add_u32_e64 v20, s12, 0
	ds_write2_b32 v20, v19, v19 offset0:162 offset1:227
; %bb.425:
	s_or_b64 exec, exec, s[10:11]
	v_mov_b32_e32 v19, 0
	s_waitcnt lgkmcnt(0)
	s_barrier
	buffer_wbinvl1_vol
	s_and_saveexec_b64 s[12:13], s[0:1]
	s_cbranch_execz .LBB1_429
; %bb.426:
	v_lshlrev_b32_e32 v19, 8, v3
	v_lshlrev_b32_e32 v20, 2, v2
	ds_read_b32 v21, v20 offset:8832
	ds_read_b32 v19, v19 offset:8840
	v_mov_b32_e32 v20, 0
	v_cmp_gt_u32_e64 s[10:11], 2, v9
	s_waitcnt lgkmcnt(0)
	v_fma_f32 v19, v21, v19, 0
	s_and_saveexec_b64 s[16:17], s[10:11]
	s_cbranch_execz .LBB1_428
; %bb.427:
	v_lshlrev_b32_e32 v21, 2, v0
	ds_read_b32 v21, v21 offset:9088
	ds_read_b32 v20, v20 offset:9100
	s_waitcnt lgkmcnt(0)
	v_fmac_f32_e32 v19, v21, v20
.LBB1_428:
	s_or_b64 exec, exec, s[16:17]
.LBB1_429:
	s_or_b64 exec, exec, s[12:13]
	s_and_saveexec_b64 s[10:11], s[38:39]
; %bb.430:
	v_xor_b32_e32 v20, 0x80000000, v19
	ds_write_b32 v8, v20
; %bb.431:
	s_or_b64 exec, exec, s[10:11]
	s_waitcnt lgkmcnt(0)
	s_barrier
	s_and_saveexec_b64 s[10:11], s[24:25]
	s_cbranch_execz .LBB1_433
; %bb.432:
	v_mov_b32_e32 v20, 0
	ds_read_b32 v20, v20 offset:8576
	ds_read_b32 v21, v8
	s_waitcnt lgkmcnt(0)
	v_fma_f32 v19, -v20, v21, v19
.LBB1_433:
	s_or_b64 exec, exec, s[10:11]
	s_barrier
	s_and_saveexec_b64 s[10:11], s[24:25]
; %bb.434:
	v_xor_b32_e32 v20, 0x80000000, v19
	ds_write_b32 v8, v20
; %bb.435:
	s_or_b64 exec, exec, s[10:11]
	s_waitcnt lgkmcnt(0)
	s_barrier
	s_barrier
	s_and_saveexec_b64 s[10:11], s[0:1]
; %bb.436:
	v_lshlrev_b32_e32 v20, 2, v2
	v_lshl_or_b32 v20, v3, 8, v20
	ds_write_b32 v20, v19 offset:8832
; %bb.437:
	s_or_b64 exec, exec, s[10:11]
	s_waitcnt lgkmcnt(0)
	s_barrier
	s_barrier
	s_and_saveexec_b64 s[10:11], vcc
; %bb.438:
	s_movk_i32 s12, 0x2000
	v_mov_b32_e32 v19, 1.0
	v_add_u32_e64 v20, s12, 0
	ds_write2_b32 v20, v19, v19 offset0:32 offset1:97
; %bb.439:
	s_or_b64 exec, exec, s[10:11]
	s_movk_i32 s10, 0x3ff
	v_lshrrev_b32_e32 v22, 5, v9
	v_cmp_lt_u32_e64 s[12:13], s10, v9
	s_movk_i32 s10, 0x400
	v_and_b32_e32 v19, 31, v0
	v_sub_u32_e32 v20, 31, v22
	v_cmp_gt_u32_e64 s[10:11], s10, v9
	v_mov_b32_e32 v21, 0
	s_waitcnt lgkmcnt(0)
	s_barrier
	buffer_wbinvl1_vol
	s_and_saveexec_b64 s[94:95], s[10:11]
	s_cbranch_execz .LBB1_501
; %bb.440:
	v_lshlrev_b32_e32 v24, 2, v19
	v_lshlrev_b32_e32 v23, 8, v20
	ds_read_b32 v21, v24 offset:8192
	ds_read_b32 v25, v23 offset:8320
	s_movk_i32 s16, 0x3e0
	v_cmp_gt_u32_e64 s[16:17], s16, v9
	s_waitcnt lgkmcnt(0)
	v_fma_f32 v21, v21, v25, 0
	s_and_saveexec_b64 s[80:81], s[16:17]
	s_cbranch_execz .LBB1_442
; %bb.441:
	ds_read_b32 v25, v24 offset:8448
	ds_read_b32 v26, v23 offset:8324
	s_waitcnt lgkmcnt(0)
	v_fmac_f32_e32 v21, v25, v26
.LBB1_442:
	s_or_b64 exec, exec, s[80:81]
	s_movk_i32 s16, 0x3c0
	v_cmp_gt_u32_e64 s[16:17], s16, v9
	s_and_saveexec_b64 s[80:81], s[16:17]
	s_cbranch_execz .LBB1_444
; %bb.443:
	ds_read_b32 v25, v24 offset:8704
	ds_read_b32 v26, v23 offset:8328
	s_waitcnt lgkmcnt(0)
	v_fmac_f32_e32 v21, v25, v26
.LBB1_444:
	s_or_b64 exec, exec, s[80:81]
	s_movk_i32 s16, 0x3a0
	v_cmp_gt_u32_e64 s[16:17], s16, v9
	;; [unrolled: 11-line block ×22, first 2 shown]
	s_and_saveexec_b64 s[80:81], s[16:17]
	s_cbranch_execz .LBB1_486
; %bb.485:
	ds_read_b32 v25, v24 offset:14080
	ds_read_b32 v26, v23 offset:8412
	s_waitcnt lgkmcnt(0)
	v_fmac_f32_e32 v21, v25, v26
.LBB1_486:
	s_or_b64 exec, exec, s[80:81]
	s_and_saveexec_b64 s[16:17], s[8:9]
	s_cbranch_execz .LBB1_488
; %bb.487:
	ds_read_b32 v25, v24 offset:14336
	ds_read_b32 v26, v23 offset:8416
	s_waitcnt lgkmcnt(0)
	v_fmac_f32_e32 v21, v25, v26
.LBB1_488:
	s_or_b64 exec, exec, s[16:17]
	s_movk_i32 s16, 0xe0
	v_cmp_gt_u32_e64 s[16:17], s16, v9
	s_and_saveexec_b64 s[80:81], s[16:17]
	s_cbranch_execz .LBB1_490
; %bb.489:
	ds_read_b32 v25, v24 offset:14592
	ds_read_b32 v26, v23 offset:8420
	s_waitcnt lgkmcnt(0)
	v_fmac_f32_e32 v21, v25, v26
.LBB1_490:
	s_or_b64 exec, exec, s[80:81]
	s_movk_i32 s16, 0xc0
	v_cmp_gt_u32_e64 s[16:17], s16, v9
	;; [unrolled: 11-line block ×5, first 2 shown]
	s_and_saveexec_b64 s[80:81], s[16:17]
	s_cbranch_execnz .LBB1_1132
; %bb.497:
	s_or_b64 exec, exec, s[80:81]
	s_and_saveexec_b64 s[16:17], s[14:15]
	s_cbranch_execnz .LBB1_1133
.LBB1_498:
	s_or_b64 exec, exec, s[16:17]
	v_cmp_gt_u32_e64 s[16:17], 32, v9
	s_and_saveexec_b64 s[80:81], s[16:17]
	s_cbranch_execz .LBB1_500
.LBB1_499:
	v_lshlrev_b32_e32 v23, 2, v0
	v_mov_b32_e32 v24, 0
	ds_read_b32 v23, v23 offset:16128
	ds_read_b32 v24, v24 offset:16380
	s_waitcnt lgkmcnt(0)
	v_fmac_f32_e32 v21, v23, v24
.LBB1_500:
	s_or_b64 exec, exec, s[80:81]
.LBB1_501:
	s_or_b64 exec, exec, s[94:95]
	v_mov_b32_e32 v23, 0x4000
	v_cmp_eq_u32_e64 s[16:17], 31, v19
	s_xor_b64 s[94:95], s[12:13], -1
	v_lshl_add_u32 v22, v22, 2, v23
	s_and_b64 s[16:17], s[16:17], s[94:95]
	s_and_saveexec_b64 s[12:13], s[16:17]
; %bb.502:
	v_xor_b32_e32 v23, 0x80000000, v21
	ds_write_b32 v22, v23
; %bb.503:
	s_or_b64 exec, exec, s[12:13]
	v_cmp_ne_u32_e64 s[12:13], 31, v19
	s_and_b64 s[16:17], s[12:13], s[94:95]
	s_waitcnt lgkmcnt(0)
	s_barrier
	s_and_saveexec_b64 s[12:13], s[16:17]
	s_cbranch_execz .LBB1_505
; %bb.504:
	v_lshlrev_b32_e32 v23, 2, v19
	ds_read_b32 v23, v23 offset:7936
	ds_read_b32 v24, v22
	s_waitcnt lgkmcnt(0)
	v_fma_f32 v21, -v23, v24, v21
.LBB1_505:
	s_or_b64 exec, exec, s[12:13]
	v_cmp_eq_u32_e64 s[12:13], 30, v19
	s_and_b64 s[16:17], s[12:13], s[94:95]
	s_barrier
	s_and_saveexec_b64 s[12:13], s[16:17]
; %bb.506:
	v_xor_b32_e32 v23, 0x80000000, v21
	ds_write_b32 v22, v23
; %bb.507:
	s_or_b64 exec, exec, s[12:13]
	v_cmp_gt_u32_e64 s[12:13], 30, v19
	s_and_b64 s[16:17], s[12:13], s[94:95]
	s_waitcnt lgkmcnt(0)
	s_barrier
	s_and_saveexec_b64 s[12:13], s[16:17]
	s_cbranch_execz .LBB1_509
; %bb.508:
	v_lshlrev_b32_e32 v23, 2, v19
	ds_read_b32 v23, v23 offset:7680
	ds_read_b32 v24, v22
	s_waitcnt lgkmcnt(0)
	v_fma_f32 v21, -v23, v24, v21
.LBB1_509:
	s_or_b64 exec, exec, s[12:13]
	v_cmp_eq_u32_e64 s[12:13], 29, v19
	s_and_b64 s[16:17], s[12:13], s[94:95]
	s_barrier
	s_and_saveexec_b64 s[12:13], s[16:17]
; %bb.510:
	v_xor_b32_e32 v23, 0x80000000, v21
	ds_write_b32 v22, v23
; %bb.511:
	s_or_b64 exec, exec, s[12:13]
	v_cmp_gt_u32_e64 s[12:13], 29, v19
	;; [unrolled: 23-line block ×29, first 2 shown]
	s_and_b64 s[16:17], s[12:13], s[94:95]
	s_waitcnt lgkmcnt(0)
	s_barrier
	s_and_saveexec_b64 s[12:13], s[16:17]
	s_cbranch_execz .LBB1_621
; %bb.620:
	v_lshlrev_b32_e32 v23, 2, v19
	ds_read_b32 v23, v23 offset:512
	ds_read_b32 v24, v22
	s_waitcnt lgkmcnt(0)
	v_fma_f32 v21, -v23, v24, v21
.LBB1_621:
	s_or_b64 exec, exec, s[12:13]
	v_cmp_eq_u32_e64 s[12:13], 1, v19
	s_and_b64 s[16:17], s[12:13], s[94:95]
	s_barrier
	s_and_saveexec_b64 s[12:13], s[16:17]
; %bb.622:
	v_xor_b32_e32 v23, 0x80000000, v21
	ds_write_b32 v22, v23
; %bb.623:
	s_or_b64 exec, exec, s[12:13]
	v_cmp_eq_u32_e64 s[12:13], 0, v19
	s_and_b64 s[12:13], s[12:13], s[94:95]
	s_waitcnt lgkmcnt(0)
	s_barrier
	s_and_saveexec_b64 s[16:17], s[12:13]
	s_cbranch_execz .LBB1_625
; %bb.624:
	v_mov_b32_e32 v23, 0
	ds_read_b32 v23, v23 offset:256
	ds_read_b32 v24, v22
	s_waitcnt lgkmcnt(0)
	v_fma_f32 v21, -v23, v24, v21
.LBB1_625:
	s_or_b64 exec, exec, s[16:17]
	s_barrier
	s_and_saveexec_b64 s[16:17], s[12:13]
; %bb.626:
	v_xor_b32_e32 v23, 0x80000000, v21
	ds_write_b32 v22, v23
; %bb.627:
	s_or_b64 exec, exec, s[16:17]
	s_waitcnt lgkmcnt(0)
	s_barrier
	s_barrier
	s_and_saveexec_b64 s[12:13], s[10:11]
; %bb.628:
	v_lshlrev_b32_e32 v19, 2, v19
	v_lshl_or_b32 v19, v20, 8, v19
	ds_write_b32 v19, v21 offset:8192
; %bb.629:
	s_or_b64 exec, exec, s[12:13]
	s_waitcnt lgkmcnt(0)
	s_barrier
	s_barrier
	s_and_saveexec_b64 s[10:11], vcc
; %bb.630:
	s_movk_i32 s12, 0x1c00
	v_mov_b32_e32 v19, 1.0
	v_add_u32_e64 v20, s12, 0
	ds_write2_b32 v20, v19, v19 offset0:158 offset1:223
; %bb.631:
	s_or_b64 exec, exec, s[10:11]
	v_mov_b32_e32 v19, 0
	s_waitcnt lgkmcnt(0)
	s_barrier
	buffer_wbinvl1_vol
	s_and_saveexec_b64 s[12:13], s[0:1]
	s_cbranch_execz .LBB1_635
; %bb.632:
	v_lshlrev_b32_e32 v19, 8, v3
	v_lshlrev_b32_e32 v20, 2, v2
	ds_read_b32 v21, v20 offset:7792
	ds_read_b32 v19, v19 offset:7800
	v_mov_b32_e32 v20, 0
	v_cmp_gt_u32_e64 s[10:11], 2, v9
	s_waitcnt lgkmcnt(0)
	v_fma_f32 v19, v21, v19, 0
	s_and_saveexec_b64 s[16:17], s[10:11]
	s_cbranch_execz .LBB1_634
; %bb.633:
	v_lshlrev_b32_e32 v21, 2, v0
	ds_read_b32 v21, v21 offset:8048
	ds_read_b32 v20, v20 offset:8060
	s_waitcnt lgkmcnt(0)
	v_fmac_f32_e32 v19, v21, v20
.LBB1_634:
	s_or_b64 exec, exec, s[16:17]
.LBB1_635:
	s_or_b64 exec, exec, s[12:13]
	s_and_saveexec_b64 s[10:11], s[38:39]
; %bb.636:
	v_xor_b32_e32 v20, 0x80000000, v19
	ds_write_b32 v8, v20
; %bb.637:
	s_or_b64 exec, exec, s[10:11]
	s_waitcnt lgkmcnt(0)
	s_barrier
	s_and_saveexec_b64 s[10:11], s[24:25]
	s_cbranch_execz .LBB1_639
; %bb.638:
	v_mov_b32_e32 v20, 0
	ds_read_b32 v20, v20 offset:7536
	ds_read_b32 v21, v8
	s_waitcnt lgkmcnt(0)
	v_fma_f32 v19, -v20, v21, v19
.LBB1_639:
	s_or_b64 exec, exec, s[10:11]
	s_barrier
	s_and_saveexec_b64 s[10:11], s[24:25]
; %bb.640:
	v_xor_b32_e32 v20, 0x80000000, v19
	ds_write_b32 v8, v20
; %bb.641:
	s_or_b64 exec, exec, s[10:11]
	s_waitcnt lgkmcnt(0)
	s_barrier
	s_barrier
	s_and_saveexec_b64 s[10:11], s[0:1]
; %bb.642:
	v_lshlrev_b32_e32 v20, 2, v2
	v_lshl_or_b32 v20, v3, 8, v20
	ds_write_b32 v20, v19 offset:7792
; %bb.643:
	s_or_b64 exec, exec, s[10:11]
	s_waitcnt lgkmcnt(0)
	s_barrier
	s_barrier
	s_and_saveexec_b64 s[10:11], vcc
; %bb.644:
	s_movk_i32 s12, 0x1c00
	v_mov_b32_e32 v19, 1.0
	v_add_u32_e64 v20, s12, 0
	ds_write2_b32 v20, v19, v19 offset0:28 offset1:93
; %bb.645:
	s_or_b64 exec, exec, s[10:11]
	v_mov_b32_e32 v19, 0
	s_waitcnt lgkmcnt(0)
	s_barrier
	buffer_wbinvl1_vol
	s_and_saveexec_b64 s[12:13], s[2:3]
	s_cbranch_execz .LBB1_651
; %bb.646:
	v_lshlrev_b32_e32 v21, 2, v10
	v_lshlrev_b32_e32 v20, 8, v11
	ds_read_b32 v19, v21 offset:7264
	ds_read_b32 v22, v20 offset:7280
	v_cmp_gt_u32_e64 s[10:11], 12, v9
	s_waitcnt lgkmcnt(0)
	v_fma_f32 v19, v19, v22, 0
	s_and_saveexec_b64 s[16:17], s[10:11]
	s_cbranch_execnz .LBB1_1134
; %bb.647:
	s_or_b64 exec, exec, s[16:17]
	v_cmp_gt_u32_e64 s[10:11], 8, v9
	s_and_saveexec_b64 s[16:17], s[10:11]
	s_cbranch_execnz .LBB1_1135
.LBB1_648:
	s_or_b64 exec, exec, s[16:17]
	v_cmp_gt_u32_e64 s[10:11], 4, v9
	s_and_saveexec_b64 s[16:17], s[10:11]
	s_cbranch_execz .LBB1_650
.LBB1_649:
	v_lshlrev_b32_e32 v20, 2, v0
	v_mov_b32_e32 v21, 0
	ds_read_b32 v20, v20 offset:8032
	ds_read_b32 v21, v21 offset:8060
	s_waitcnt lgkmcnt(0)
	v_fmac_f32_e32 v19, v20, v21
.LBB1_650:
	s_or_b64 exec, exec, s[16:17]
.LBB1_651:
	s_or_b64 exec, exec, s[12:13]
	s_and_saveexec_b64 s[10:11], s[42:43]
; %bb.652:
	v_xor_b32_e32 v20, 0x80000000, v19
	ds_write_b32 v12, v20
; %bb.653:
	s_or_b64 exec, exec, s[10:11]
	s_waitcnt lgkmcnt(0)
	s_barrier
	s_and_saveexec_b64 s[10:11], s[44:45]
	s_cbranch_execz .LBB1_655
; %bb.654:
	v_lshlrev_b32_e32 v20, 2, v10
	ds_read_b32 v20, v20 offset:7008
	ds_read_b32 v21, v12
	s_waitcnt lgkmcnt(0)
	v_fma_f32 v19, -v20, v21, v19
.LBB1_655:
	s_or_b64 exec, exec, s[10:11]
	s_barrier
	s_and_saveexec_b64 s[10:11], s[46:47]
; %bb.656:
	v_xor_b32_e32 v20, 0x80000000, v19
	ds_write_b32 v12, v20
; %bb.657:
	s_or_b64 exec, exec, s[10:11]
	s_waitcnt lgkmcnt(0)
	s_barrier
	s_and_saveexec_b64 s[10:11], s[48:49]
	s_cbranch_execz .LBB1_659
; %bb.658:
	v_lshlrev_b32_e32 v20, 2, v10
	ds_read_b32 v20, v20 offset:6752
	ds_read_b32 v21, v12
	s_waitcnt lgkmcnt(0)
	v_fma_f32 v19, -v20, v21, v19
.LBB1_659:
	s_or_b64 exec, exec, s[10:11]
	s_barrier
	s_and_saveexec_b64 s[10:11], s[50:51]
; %bb.660:
	v_xor_b32_e32 v20, 0x80000000, v19
	ds_write_b32 v12, v20
; %bb.661:
	s_or_b64 exec, exec, s[10:11]
	s_waitcnt lgkmcnt(0)
	s_barrier
	s_and_saveexec_b64 s[10:11], s[40:41]
	s_cbranch_execz .LBB1_663
; %bb.662:
	v_mov_b32_e32 v20, 0
	ds_read_b32 v20, v20 offset:6496
	ds_read_b32 v21, v12
	s_waitcnt lgkmcnt(0)
	v_fma_f32 v19, -v20, v21, v19
.LBB1_663:
	s_or_b64 exec, exec, s[10:11]
	s_barrier
	s_and_saveexec_b64 s[10:11], s[40:41]
; %bb.664:
	v_xor_b32_e32 v20, 0x80000000, v19
	ds_write_b32 v12, v20
; %bb.665:
	s_or_b64 exec, exec, s[10:11]
	s_waitcnt lgkmcnt(0)
	s_barrier
	s_barrier
	s_and_saveexec_b64 s[10:11], s[2:3]
; %bb.666:
	v_lshlrev_b32_e32 v20, 2, v10
	v_lshl_or_b32 v20, v11, 8, v20
	ds_write_b32 v20, v19 offset:7264
; %bb.667:
	s_or_b64 exec, exec, s[10:11]
	s_waitcnt lgkmcnt(0)
	s_barrier
	s_barrier
	s_and_saveexec_b64 s[10:11], vcc
; %bb.668:
	s_movk_i32 s12, 0x1800
	v_mov_b32_e32 v19, 1.0
	v_add_u32_e64 v20, s12, 0
	ds_write2_b32 v20, v19, v19 offset0:154 offset1:219
; %bb.669:
	s_or_b64 exec, exec, s[10:11]
	v_mov_b32_e32 v19, 0
	s_waitcnt lgkmcnt(0)
	s_barrier
	buffer_wbinvl1_vol
	s_and_saveexec_b64 s[12:13], s[0:1]
	s_cbranch_execz .LBB1_673
; %bb.670:
	v_lshlrev_b32_e32 v19, 8, v3
	v_lshlrev_b32_e32 v20, 2, v2
	ds_read_b32 v21, v20 offset:6752
	ds_read_b32 v19, v19 offset:6760
	v_mov_b32_e32 v20, 0
	v_cmp_gt_u32_e64 s[10:11], 2, v9
	s_waitcnt lgkmcnt(0)
	v_fma_f32 v19, v21, v19, 0
	s_and_saveexec_b64 s[16:17], s[10:11]
	s_cbranch_execz .LBB1_672
; %bb.671:
	v_lshlrev_b32_e32 v21, 2, v0
	ds_read_b32 v21, v21 offset:7008
	ds_read_b32 v20, v20 offset:7020
	s_waitcnt lgkmcnt(0)
	v_fmac_f32_e32 v19, v21, v20
.LBB1_672:
	s_or_b64 exec, exec, s[16:17]
.LBB1_673:
	s_or_b64 exec, exec, s[12:13]
	s_and_saveexec_b64 s[10:11], s[38:39]
; %bb.674:
	v_xor_b32_e32 v20, 0x80000000, v19
	ds_write_b32 v8, v20
; %bb.675:
	s_or_b64 exec, exec, s[10:11]
	s_waitcnt lgkmcnt(0)
	s_barrier
	s_and_saveexec_b64 s[10:11], s[24:25]
	s_cbranch_execz .LBB1_677
; %bb.676:
	v_mov_b32_e32 v20, 0
	ds_read_b32 v20, v20 offset:6496
	ds_read_b32 v21, v8
	s_waitcnt lgkmcnt(0)
	v_fma_f32 v19, -v20, v21, v19
.LBB1_677:
	s_or_b64 exec, exec, s[10:11]
	s_barrier
	s_and_saveexec_b64 s[10:11], s[24:25]
; %bb.678:
	v_xor_b32_e32 v20, 0x80000000, v19
	ds_write_b32 v8, v20
; %bb.679:
	s_or_b64 exec, exec, s[10:11]
	s_waitcnt lgkmcnt(0)
	s_barrier
	s_barrier
	s_and_saveexec_b64 s[10:11], s[0:1]
; %bb.680:
	v_lshlrev_b32_e32 v20, 2, v2
	v_lshl_or_b32 v20, v3, 8, v20
	ds_write_b32 v20, v19 offset:6752
; %bb.681:
	s_or_b64 exec, exec, s[10:11]
	s_waitcnt lgkmcnt(0)
	s_barrier
	s_barrier
	s_and_saveexec_b64 s[10:11], vcc
; %bb.682:
	s_movk_i32 s12, 0x1800
	v_mov_b32_e32 v19, 1.0
	v_add_u32_e64 v20, s12, 0
	ds_write2_b32 v20, v19, v19 offset0:24 offset1:89
; %bb.683:
	s_or_b64 exec, exec, s[10:11]
	v_mov_b32_e32 v19, 0
	s_waitcnt lgkmcnt(0)
	s_barrier
	buffer_wbinvl1_vol
	s_and_saveexec_b64 s[12:13], s[14:15]
	s_cbranch_execz .LBB1_693
; %bb.684:
	v_lshlrev_b32_e32 v21, 2, v13
	v_lshlrev_b32_e32 v20, 8, v14
	ds_read_b32 v19, v21 offset:6208
	ds_read_b32 v22, v20 offset:6240
	v_cmp_gt_u32_e64 s[10:11], 56, v9
	s_waitcnt lgkmcnt(0)
	v_fma_f32 v19, v19, v22, 0
	s_and_saveexec_b64 s[16:17], s[10:11]
	s_cbranch_execnz .LBB1_1136
; %bb.685:
	s_or_b64 exec, exec, s[16:17]
	v_cmp_gt_u32_e64 s[10:11], 48, v9
	s_and_saveexec_b64 s[16:17], s[10:11]
	s_cbranch_execnz .LBB1_1137
.LBB1_686:
	s_or_b64 exec, exec, s[16:17]
	v_cmp_gt_u32_e64 s[10:11], 40, v9
	s_and_saveexec_b64 s[16:17], s[10:11]
	s_cbranch_execnz .LBB1_1138
.LBB1_687:
	s_or_b64 exec, exec, s[16:17]
	v_cmp_gt_u32_e64 s[10:11], 32, v9
	s_and_saveexec_b64 s[16:17], s[10:11]
	s_cbranch_execnz .LBB1_1139
.LBB1_688:
	s_or_b64 exec, exec, s[16:17]
	v_cmp_gt_u32_e64 s[10:11], 24, v9
	s_and_saveexec_b64 s[16:17], s[10:11]
	s_cbranch_execnz .LBB1_1140
.LBB1_689:
	s_or_b64 exec, exec, s[16:17]
	s_and_saveexec_b64 s[10:11], s[2:3]
	s_cbranch_execnz .LBB1_1141
.LBB1_690:
	s_or_b64 exec, exec, s[10:11]
	v_cmp_gt_u32_e64 s[10:11], 8, v9
	s_and_saveexec_b64 s[16:17], s[10:11]
	s_cbranch_execz .LBB1_692
.LBB1_691:
	v_lshlrev_b32_e32 v20, 2, v0
	v_mov_b32_e32 v21, 0
	ds_read_b32 v20, v20 offset:8000
	ds_read_b32 v21, v21 offset:8060
	s_waitcnt lgkmcnt(0)
	v_fmac_f32_e32 v19, v20, v21
.LBB1_692:
	s_or_b64 exec, exec, s[16:17]
.LBB1_693:
	s_or_b64 exec, exec, s[12:13]
	s_and_saveexec_b64 s[10:11], s[52:53]
; %bb.694:
	v_xor_b32_e32 v20, 0x80000000, v19
	ds_write_b32 v15, v20
; %bb.695:
	s_or_b64 exec, exec, s[10:11]
	s_waitcnt lgkmcnt(0)
	s_barrier
	s_and_saveexec_b64 s[10:11], s[54:55]
	s_cbranch_execz .LBB1_697
; %bb.696:
	v_lshlrev_b32_e32 v20, 2, v13
	ds_read_b32 v20, v20 offset:5952
	ds_read_b32 v21, v15
	s_waitcnt lgkmcnt(0)
	v_fma_f32 v19, -v20, v21, v19
.LBB1_697:
	s_or_b64 exec, exec, s[10:11]
	s_barrier
	s_and_saveexec_b64 s[10:11], s[56:57]
; %bb.698:
	v_xor_b32_e32 v20, 0x80000000, v19
	ds_write_b32 v15, v20
; %bb.699:
	s_or_b64 exec, exec, s[10:11]
	s_waitcnt lgkmcnt(0)
	s_barrier
	s_and_saveexec_b64 s[10:11], s[58:59]
	s_cbranch_execz .LBB1_701
; %bb.700:
	v_lshlrev_b32_e32 v20, 2, v13
	ds_read_b32 v20, v20 offset:5696
	ds_read_b32 v21, v15
	s_waitcnt lgkmcnt(0)
	v_fma_f32 v19, -v20, v21, v19
.LBB1_701:
	s_or_b64 exec, exec, s[10:11]
	s_barrier
	;; [unrolled: 19-line block ×6, first 2 shown]
	s_and_saveexec_b64 s[10:11], s[78:79]
; %bb.718:
	v_xor_b32_e32 v20, 0x80000000, v19
	ds_write_b32 v15, v20
; %bb.719:
	s_or_b64 exec, exec, s[10:11]
	s_waitcnt lgkmcnt(0)
	s_barrier
	s_and_saveexec_b64 s[10:11], s[62:63]
	s_cbranch_execz .LBB1_721
; %bb.720:
	v_mov_b32_e32 v20, 0
	ds_read_b32 v20, v20 offset:4416
	ds_read_b32 v21, v15
	s_waitcnt lgkmcnt(0)
	v_fma_f32 v19, -v20, v21, v19
.LBB1_721:
	s_or_b64 exec, exec, s[10:11]
	s_barrier
	s_and_saveexec_b64 s[10:11], s[62:63]
; %bb.722:
	v_xor_b32_e32 v20, 0x80000000, v19
	ds_write_b32 v15, v20
; %bb.723:
	s_or_b64 exec, exec, s[10:11]
	s_waitcnt lgkmcnt(0)
	s_barrier
	s_barrier
	s_and_saveexec_b64 s[10:11], s[14:15]
; %bb.724:
	v_lshlrev_b32_e32 v20, 2, v13
	v_lshl_or_b32 v20, v14, 8, v20
	ds_write_b32 v20, v19 offset:6208
; %bb.725:
	s_or_b64 exec, exec, s[10:11]
	s_waitcnt lgkmcnt(0)
	s_barrier
	s_barrier
	s_and_saveexec_b64 s[10:11], vcc
; %bb.726:
	s_movk_i32 s12, 0x1400
	v_mov_b32_e32 v19, 1.0
	v_add_u32_e64 v20, s12, 0
	ds_write2_b32 v20, v19, v19 offset0:150 offset1:215
; %bb.727:
	s_or_b64 exec, exec, s[10:11]
	v_mov_b32_e32 v19, 0
	s_waitcnt lgkmcnt(0)
	s_barrier
	buffer_wbinvl1_vol
	s_and_saveexec_b64 s[12:13], s[0:1]
	s_cbranch_execz .LBB1_731
; %bb.728:
	v_lshlrev_b32_e32 v19, 8, v3
	v_lshlrev_b32_e32 v20, 2, v2
	ds_read_b32 v21, v20 offset:5712
	ds_read_b32 v19, v19 offset:5720
	v_mov_b32_e32 v20, 0
	v_cmp_gt_u32_e64 s[10:11], 2, v9
	s_waitcnt lgkmcnt(0)
	v_fma_f32 v19, v21, v19, 0
	s_and_saveexec_b64 s[16:17], s[10:11]
	s_cbranch_execz .LBB1_730
; %bb.729:
	v_lshlrev_b32_e32 v21, 2, v0
	ds_read_b32 v21, v21 offset:5968
	ds_read_b32 v20, v20 offset:5980
	s_waitcnt lgkmcnt(0)
	v_fmac_f32_e32 v19, v21, v20
.LBB1_730:
	s_or_b64 exec, exec, s[16:17]
.LBB1_731:
	s_or_b64 exec, exec, s[12:13]
	s_and_saveexec_b64 s[10:11], s[38:39]
; %bb.732:
	v_xor_b32_e32 v20, 0x80000000, v19
	ds_write_b32 v8, v20
; %bb.733:
	s_or_b64 exec, exec, s[10:11]
	s_waitcnt lgkmcnt(0)
	s_barrier
	s_and_saveexec_b64 s[10:11], s[24:25]
	s_cbranch_execz .LBB1_735
; %bb.734:
	v_mov_b32_e32 v20, 0
	ds_read_b32 v20, v20 offset:5456
	ds_read_b32 v21, v8
	s_waitcnt lgkmcnt(0)
	v_fma_f32 v19, -v20, v21, v19
.LBB1_735:
	s_or_b64 exec, exec, s[10:11]
	s_barrier
	s_and_saveexec_b64 s[10:11], s[24:25]
; %bb.736:
	v_xor_b32_e32 v20, 0x80000000, v19
	ds_write_b32 v8, v20
; %bb.737:
	s_or_b64 exec, exec, s[10:11]
	s_waitcnt lgkmcnt(0)
	s_barrier
	s_barrier
	s_and_saveexec_b64 s[10:11], s[0:1]
; %bb.738:
	v_lshlrev_b32_e32 v20, 2, v2
	v_lshl_or_b32 v20, v3, 8, v20
	ds_write_b32 v20, v19 offset:5712
; %bb.739:
	s_or_b64 exec, exec, s[10:11]
	s_waitcnt lgkmcnt(0)
	s_barrier
	s_barrier
	s_and_saveexec_b64 s[10:11], vcc
; %bb.740:
	s_movk_i32 s12, 0x1400
	v_mov_b32_e32 v19, 1.0
	v_add_u32_e64 v20, s12, 0
	ds_write2_b32 v20, v19, v19 offset0:20 offset1:85
; %bb.741:
	s_or_b64 exec, exec, s[10:11]
	v_mov_b32_e32 v19, 0
	s_waitcnt lgkmcnt(0)
	s_barrier
	buffer_wbinvl1_vol
	s_and_saveexec_b64 s[12:13], s[2:3]
	s_cbranch_execz .LBB1_747
; %bb.742:
	v_lshlrev_b32_e32 v21, 2, v10
	v_lshlrev_b32_e32 v20, 8, v11
	ds_read_b32 v19, v21 offset:5184
	ds_read_b32 v22, v20 offset:5200
	v_cmp_gt_u32_e64 s[10:11], 12, v9
	s_waitcnt lgkmcnt(0)
	v_fma_f32 v19, v19, v22, 0
	s_and_saveexec_b64 s[16:17], s[10:11]
	s_cbranch_execnz .LBB1_1142
; %bb.743:
	s_or_b64 exec, exec, s[16:17]
	v_cmp_gt_u32_e64 s[10:11], 8, v9
	s_and_saveexec_b64 s[16:17], s[10:11]
	s_cbranch_execnz .LBB1_1143
.LBB1_744:
	s_or_b64 exec, exec, s[16:17]
	v_cmp_gt_u32_e64 s[10:11], 4, v9
	s_and_saveexec_b64 s[16:17], s[10:11]
	s_cbranch_execz .LBB1_746
.LBB1_745:
	v_lshlrev_b32_e32 v20, 2, v0
	v_mov_b32_e32 v21, 0
	ds_read_b32 v20, v20 offset:5952
	ds_read_b32 v21, v21 offset:5980
	s_waitcnt lgkmcnt(0)
	v_fmac_f32_e32 v19, v20, v21
.LBB1_746:
	s_or_b64 exec, exec, s[16:17]
.LBB1_747:
	s_or_b64 exec, exec, s[12:13]
	s_and_saveexec_b64 s[10:11], s[42:43]
; %bb.748:
	v_xor_b32_e32 v20, 0x80000000, v19
	ds_write_b32 v12, v20
; %bb.749:
	s_or_b64 exec, exec, s[10:11]
	s_waitcnt lgkmcnt(0)
	s_barrier
	s_and_saveexec_b64 s[10:11], s[44:45]
	s_cbranch_execz .LBB1_751
; %bb.750:
	v_lshlrev_b32_e32 v20, 2, v10
	ds_read_b32 v20, v20 offset:4928
	ds_read_b32 v21, v12
	s_waitcnt lgkmcnt(0)
	v_fma_f32 v19, -v20, v21, v19
.LBB1_751:
	s_or_b64 exec, exec, s[10:11]
	s_barrier
	s_and_saveexec_b64 s[10:11], s[46:47]
; %bb.752:
	v_xor_b32_e32 v20, 0x80000000, v19
	ds_write_b32 v12, v20
; %bb.753:
	s_or_b64 exec, exec, s[10:11]
	s_waitcnt lgkmcnt(0)
	s_barrier
	s_and_saveexec_b64 s[10:11], s[48:49]
	s_cbranch_execz .LBB1_755
; %bb.754:
	v_lshlrev_b32_e32 v20, 2, v10
	ds_read_b32 v20, v20 offset:4672
	ds_read_b32 v21, v12
	s_waitcnt lgkmcnt(0)
	v_fma_f32 v19, -v20, v21, v19
.LBB1_755:
	s_or_b64 exec, exec, s[10:11]
	s_barrier
	s_and_saveexec_b64 s[10:11], s[50:51]
; %bb.756:
	v_xor_b32_e32 v20, 0x80000000, v19
	ds_write_b32 v12, v20
; %bb.757:
	s_or_b64 exec, exec, s[10:11]
	s_waitcnt lgkmcnt(0)
	s_barrier
	s_and_saveexec_b64 s[10:11], s[40:41]
	s_cbranch_execz .LBB1_759
; %bb.758:
	v_mov_b32_e32 v20, 0
	ds_read_b32 v20, v20 offset:4416
	ds_read_b32 v21, v12
	s_waitcnt lgkmcnt(0)
	v_fma_f32 v19, -v20, v21, v19
.LBB1_759:
	s_or_b64 exec, exec, s[10:11]
	s_barrier
	s_and_saveexec_b64 s[10:11], s[40:41]
; %bb.760:
	v_xor_b32_e32 v20, 0x80000000, v19
	ds_write_b32 v12, v20
; %bb.761:
	s_or_b64 exec, exec, s[10:11]
	s_waitcnt lgkmcnt(0)
	s_barrier
	s_barrier
	s_and_saveexec_b64 s[10:11], s[2:3]
; %bb.762:
	v_lshlrev_b32_e32 v20, 2, v10
	v_lshl_or_b32 v20, v11, 8, v20
	ds_write_b32 v20, v19 offset:5184
; %bb.763:
	s_or_b64 exec, exec, s[10:11]
	s_waitcnt lgkmcnt(0)
	s_barrier
	s_barrier
	s_and_saveexec_b64 s[10:11], vcc
; %bb.764:
	s_movk_i32 s12, 0x1000
	v_mov_b32_e32 v19, 1.0
	v_add_u32_e64 v20, s12, 0
	ds_write2_b32 v20, v19, v19 offset0:146 offset1:211
; %bb.765:
	s_or_b64 exec, exec, s[10:11]
	v_mov_b32_e32 v19, 0
	s_waitcnt lgkmcnt(0)
	s_barrier
	buffer_wbinvl1_vol
	s_and_saveexec_b64 s[12:13], s[0:1]
	s_cbranch_execz .LBB1_769
; %bb.766:
	v_lshlrev_b32_e32 v19, 8, v3
	v_lshlrev_b32_e32 v20, 2, v2
	ds_read_b32 v21, v20 offset:4672
	ds_read_b32 v19, v19 offset:4680
	v_mov_b32_e32 v20, 0
	v_cmp_gt_u32_e64 s[10:11], 2, v9
	s_waitcnt lgkmcnt(0)
	v_fma_f32 v19, v21, v19, 0
	s_and_saveexec_b64 s[16:17], s[10:11]
	s_cbranch_execz .LBB1_768
; %bb.767:
	v_lshlrev_b32_e32 v21, 2, v0
	ds_read_b32 v21, v21 offset:4928
	ds_read_b32 v20, v20 offset:4940
	s_waitcnt lgkmcnt(0)
	v_fmac_f32_e32 v19, v21, v20
.LBB1_768:
	s_or_b64 exec, exec, s[16:17]
.LBB1_769:
	s_or_b64 exec, exec, s[12:13]
	s_and_saveexec_b64 s[10:11], s[38:39]
; %bb.770:
	v_xor_b32_e32 v20, 0x80000000, v19
	ds_write_b32 v8, v20
; %bb.771:
	s_or_b64 exec, exec, s[10:11]
	s_waitcnt lgkmcnt(0)
	s_barrier
	s_and_saveexec_b64 s[10:11], s[24:25]
	s_cbranch_execz .LBB1_773
; %bb.772:
	v_mov_b32_e32 v20, 0
	ds_read_b32 v20, v20 offset:4416
	ds_read_b32 v21, v8
	s_waitcnt lgkmcnt(0)
	v_fma_f32 v19, -v20, v21, v19
.LBB1_773:
	s_or_b64 exec, exec, s[10:11]
	s_barrier
	s_and_saveexec_b64 s[10:11], s[24:25]
; %bb.774:
	v_xor_b32_e32 v20, 0x80000000, v19
	ds_write_b32 v8, v20
; %bb.775:
	s_or_b64 exec, exec, s[10:11]
	s_waitcnt lgkmcnt(0)
	s_barrier
	s_barrier
	s_and_saveexec_b64 s[10:11], s[0:1]
; %bb.776:
	v_lshlrev_b32_e32 v20, 2, v2
	v_lshl_or_b32 v20, v3, 8, v20
	ds_write_b32 v20, v19 offset:4672
; %bb.777:
	s_or_b64 exec, exec, s[10:11]
	s_waitcnt lgkmcnt(0)
	s_barrier
	s_barrier
	s_and_saveexec_b64 s[10:11], vcc
; %bb.778:
	s_movk_i32 s12, 0x1000
	v_mov_b32_e32 v19, 1.0
	v_add_u32_e64 v20, s12, 0
	ds_write2_b32 v20, v19, v19 offset0:16 offset1:81
; %bb.779:
	s_or_b64 exec, exec, s[10:11]
	v_mov_b32_e32 v19, 0
	s_waitcnt lgkmcnt(0)
	s_barrier
	buffer_wbinvl1_vol
	s_and_saveexec_b64 s[12:13], s[8:9]
	s_cbranch_execz .LBB1_807
; %bb.780:
	v_lshlrev_b32_e32 v21, 2, v16
	v_lshlrev_b32_e32 v20, 8, v17
	ds_read_b32 v19, v21 offset:4096
	ds_read_b32 v22, v20 offset:4160
	s_movk_i32 s10, 0xf0
	v_cmp_gt_u32_e64 s[10:11], s10, v9
	s_waitcnt lgkmcnt(0)
	v_fma_f32 v19, v19, v22, 0
	s_and_saveexec_b64 s[16:17], s[10:11]
	s_cbranch_execz .LBB1_782
; %bb.781:
	ds_read_b32 v22, v21 offset:4352
	ds_read_b32 v23, v20 offset:4164
	s_waitcnt lgkmcnt(0)
	v_fmac_f32_e32 v19, v22, v23
.LBB1_782:
	s_or_b64 exec, exec, s[16:17]
	s_movk_i32 s10, 0xe0
	v_cmp_gt_u32_e64 s[10:11], s10, v9
	s_and_saveexec_b64 s[16:17], s[10:11]
	s_cbranch_execz .LBB1_784
; %bb.783:
	ds_read_b32 v22, v21 offset:4608
	ds_read_b32 v23, v20 offset:4168
	s_waitcnt lgkmcnt(0)
	v_fmac_f32_e32 v19, v22, v23
.LBB1_784:
	s_or_b64 exec, exec, s[16:17]
	s_movk_i32 s10, 0xd0
	v_cmp_gt_u32_e64 s[10:11], s10, v9
	;; [unrolled: 11-line block ×10, first 2 shown]
	s_and_saveexec_b64 s[16:17], s[10:11]
	s_cbranch_execnz .LBB1_1144
; %bb.801:
	s_or_b64 exec, exec, s[16:17]
	s_and_saveexec_b64 s[10:11], s[14:15]
	s_cbranch_execnz .LBB1_1145
.LBB1_802:
	s_or_b64 exec, exec, s[10:11]
	v_cmp_gt_u32_e64 s[10:11], 48, v9
	s_and_saveexec_b64 s[16:17], s[10:11]
	s_cbranch_execnz .LBB1_1146
.LBB1_803:
	s_or_b64 exec, exec, s[16:17]
	v_cmp_gt_u32_e64 s[10:11], 32, v9
	s_and_saveexec_b64 s[16:17], s[10:11]
	s_cbranch_execnz .LBB1_1147
.LBB1_804:
	s_or_b64 exec, exec, s[16:17]
	v_cmp_gt_u32_e64 s[10:11], 16, v9
	s_and_saveexec_b64 s[16:17], s[10:11]
	s_cbranch_execz .LBB1_806
.LBB1_805:
	v_lshlrev_b32_e32 v20, 2, v0
	v_mov_b32_e32 v21, 0
	ds_read_b32 v20, v20 offset:7936
	ds_read_b32 v21, v21 offset:8060
	s_waitcnt lgkmcnt(0)
	v_fmac_f32_e32 v19, v20, v21
.LBB1_806:
	s_or_b64 exec, exec, s[16:17]
.LBB1_807:
	s_or_b64 exec, exec, s[12:13]
	s_mov_b64 s[10:11], exec
	v_readlane_b32 s12, v27, 1
	v_readlane_b32 s13, v27, 2
	s_and_b64 s[12:13], s[10:11], s[12:13]
	s_mov_b64 exec, s[12:13]
; %bb.808:
	v_xor_b32_e32 v20, 0x80000000, v19
	ds_write_b32 v18, v20
; %bb.809:
	s_or_b64 exec, exec, s[10:11]
	s_waitcnt lgkmcnt(0)
	s_barrier
	s_mov_b64 s[10:11], exec
	v_readlane_b32 s12, v27, 3
	v_readlane_b32 s13, v27, 4
	s_and_b64 s[12:13], s[10:11], s[12:13]
	s_mov_b64 exec, s[12:13]
	s_cbranch_execz .LBB1_811
; %bb.810:
	v_lshlrev_b32_e32 v20, 2, v16
	ds_read_b32 v20, v20 offset:3840
	ds_read_b32 v21, v18
	s_waitcnt lgkmcnt(0)
	v_fma_f32 v19, -v20, v21, v19
.LBB1_811:
	s_or_b64 exec, exec, s[10:11]
	s_barrier
	s_mov_b64 s[10:11], exec
	v_readlane_b32 s12, v27, 5
	v_readlane_b32 s13, v27, 6
	s_and_b64 s[12:13], s[10:11], s[12:13]
	s_mov_b64 exec, s[12:13]
; %bb.812:
	v_xor_b32_e32 v20, 0x80000000, v19
	ds_write_b32 v18, v20
; %bb.813:
	s_or_b64 exec, exec, s[10:11]
	s_waitcnt lgkmcnt(0)
	s_barrier
	s_mov_b64 s[10:11], exec
	v_readlane_b32 s12, v27, 7
	v_readlane_b32 s13, v27, 8
	s_and_b64 s[12:13], s[10:11], s[12:13]
	s_mov_b64 exec, s[12:13]
	s_cbranch_execz .LBB1_815
; %bb.814:
	v_lshlrev_b32_e32 v20, 2, v16
	ds_read_b32 v20, v20 offset:3584
	ds_read_b32 v21, v18
	s_waitcnt lgkmcnt(0)
	v_fma_f32 v19, -v20, v21, v19
.LBB1_815:
	s_or_b64 exec, exec, s[10:11]
	s_barrier
	;; [unrolled: 27-line block ×13, first 2 shown]
	s_and_saveexec_b64 s[10:11], s[86:87]
; %bb.860:
	v_xor_b32_e32 v20, 0x80000000, v19
	ds_write_b32 v18, v20
; %bb.861:
	s_or_b64 exec, exec, s[10:11]
	s_waitcnt lgkmcnt(0)
	s_barrier
	s_and_saveexec_b64 s[10:11], s[88:89]
	s_cbranch_execz .LBB1_863
; %bb.862:
	v_lshlrev_b32_e32 v20, 2, v16
	ds_read_b32 v20, v20 offset:512
	ds_read_b32 v21, v18
	s_waitcnt lgkmcnt(0)
	v_fma_f32 v19, -v20, v21, v19
.LBB1_863:
	s_or_b64 exec, exec, s[10:11]
	s_barrier
	s_and_saveexec_b64 s[10:11], s[92:93]
; %bb.864:
	v_xor_b32_e32 v20, 0x80000000, v19
	ds_write_b32 v18, v20
; %bb.865:
	s_or_b64 exec, exec, s[10:11]
	s_waitcnt lgkmcnt(0)
	s_barrier
	s_and_saveexec_b64 s[10:11], s[90:91]
	s_cbranch_execz .LBB1_867
; %bb.866:
	v_mov_b32_e32 v20, 0
	ds_read_b32 v20, v20 offset:256
	ds_read_b32 v21, v18
	s_waitcnt lgkmcnt(0)
	v_fma_f32 v19, -v20, v21, v19
.LBB1_867:
	s_or_b64 exec, exec, s[10:11]
	s_barrier
	s_and_saveexec_b64 s[10:11], s[90:91]
; %bb.868:
	v_xor_b32_e32 v20, 0x80000000, v19
	ds_write_b32 v18, v20
; %bb.869:
	s_or_b64 exec, exec, s[10:11]
	s_waitcnt lgkmcnt(0)
	s_barrier
	s_barrier
	s_and_saveexec_b64 s[10:11], s[8:9]
; %bb.870:
	v_lshlrev_b32_e32 v16, 2, v16
	v_lshl_or_b32 v16, v17, 8, v16
	ds_write_b32 v16, v19 offset:4096
; %bb.871:
	s_or_b64 exec, exec, s[10:11]
	s_waitcnt lgkmcnt(0)
	s_barrier
	s_barrier
	s_and_saveexec_b64 s[8:9], vcc
; %bb.872:
	s_movk_i32 s10, 0xc00
	v_mov_b32_e32 v16, 1.0
	v_add_u32_e64 v17, s10, 0
	ds_write2_b32 v17, v16, v16 offset0:142 offset1:207
; %bb.873:
	s_or_b64 exec, exec, s[8:9]
	v_mov_b32_e32 v16, 0
	s_waitcnt lgkmcnt(0)
	s_barrier
	buffer_wbinvl1_vol
	s_and_saveexec_b64 s[10:11], s[0:1]
	s_cbranch_execz .LBB1_877
; %bb.874:
	v_lshlrev_b32_e32 v16, 8, v3
	v_lshlrev_b32_e32 v17, 2, v2
	ds_read_b32 v18, v17 offset:3632
	ds_read_b32 v16, v16 offset:3640
	v_mov_b32_e32 v17, 0
	v_cmp_gt_u32_e64 s[8:9], 2, v9
	s_waitcnt lgkmcnt(0)
	v_fma_f32 v16, v18, v16, 0
	s_and_saveexec_b64 s[12:13], s[8:9]
	s_cbranch_execz .LBB1_876
; %bb.875:
	v_lshlrev_b32_e32 v18, 2, v0
	ds_read_b32 v18, v18 offset:3888
	ds_read_b32 v17, v17 offset:3900
	s_waitcnt lgkmcnt(0)
	v_fmac_f32_e32 v16, v18, v17
.LBB1_876:
	s_or_b64 exec, exec, s[12:13]
.LBB1_877:
	s_or_b64 exec, exec, s[10:11]
	s_and_saveexec_b64 s[8:9], s[38:39]
; %bb.878:
	v_xor_b32_e32 v17, 0x80000000, v16
	ds_write_b32 v8, v17
; %bb.879:
	s_or_b64 exec, exec, s[8:9]
	s_waitcnt lgkmcnt(0)
	s_barrier
	s_and_saveexec_b64 s[8:9], s[24:25]
	s_cbranch_execz .LBB1_881
; %bb.880:
	v_mov_b32_e32 v17, 0
	ds_read_b32 v17, v17 offset:3376
	ds_read_b32 v18, v8
	s_waitcnt lgkmcnt(0)
	v_fma_f32 v16, -v17, v18, v16
.LBB1_881:
	s_or_b64 exec, exec, s[8:9]
	s_barrier
	s_and_saveexec_b64 s[8:9], s[24:25]
; %bb.882:
	v_xor_b32_e32 v17, 0x80000000, v16
	ds_write_b32 v8, v17
; %bb.883:
	s_or_b64 exec, exec, s[8:9]
	s_waitcnt lgkmcnt(0)
	s_barrier
	s_barrier
	s_and_saveexec_b64 s[8:9], s[0:1]
; %bb.884:
	v_lshlrev_b32_e32 v17, 2, v2
	v_lshl_or_b32 v17, v3, 8, v17
	ds_write_b32 v17, v16 offset:3632
; %bb.885:
	s_or_b64 exec, exec, s[8:9]
	s_waitcnt lgkmcnt(0)
	s_barrier
	s_barrier
	s_and_saveexec_b64 s[8:9], vcc
; %bb.886:
	s_movk_i32 s10, 0xc00
	v_mov_b32_e32 v16, 1.0
	v_add_u32_e64 v17, s10, 0
	ds_write2_b32 v17, v16, v16 offset0:12 offset1:77
; %bb.887:
	s_or_b64 exec, exec, s[8:9]
	v_mov_b32_e32 v16, 0
	s_waitcnt lgkmcnt(0)
	s_barrier
	buffer_wbinvl1_vol
	s_and_saveexec_b64 s[10:11], s[2:3]
	s_cbranch_execz .LBB1_893
; %bb.888:
	v_lshlrev_b32_e32 v18, 2, v10
	v_lshlrev_b32_e32 v17, 8, v11
	ds_read_b32 v16, v18 offset:3104
	ds_read_b32 v19, v17 offset:3120
	v_cmp_gt_u32_e64 s[8:9], 12, v9
	s_waitcnt lgkmcnt(0)
	v_fma_f32 v16, v16, v19, 0
	s_and_saveexec_b64 s[12:13], s[8:9]
	s_cbranch_execnz .LBB1_1148
; %bb.889:
	s_or_b64 exec, exec, s[12:13]
	v_cmp_gt_u32_e64 s[8:9], 8, v9
	s_and_saveexec_b64 s[12:13], s[8:9]
	s_cbranch_execnz .LBB1_1149
.LBB1_890:
	s_or_b64 exec, exec, s[12:13]
	v_cmp_gt_u32_e64 s[8:9], 4, v9
	s_and_saveexec_b64 s[12:13], s[8:9]
	s_cbranch_execz .LBB1_892
.LBB1_891:
	v_lshlrev_b32_e32 v17, 2, v0
	v_mov_b32_e32 v18, 0
	ds_read_b32 v17, v17 offset:3872
	ds_read_b32 v18, v18 offset:3900
	s_waitcnt lgkmcnt(0)
	v_fmac_f32_e32 v16, v17, v18
.LBB1_892:
	s_or_b64 exec, exec, s[12:13]
.LBB1_893:
	s_or_b64 exec, exec, s[10:11]
	s_and_saveexec_b64 s[8:9], s[42:43]
; %bb.894:
	v_xor_b32_e32 v17, 0x80000000, v16
	ds_write_b32 v12, v17
; %bb.895:
	s_or_b64 exec, exec, s[8:9]
	s_waitcnt lgkmcnt(0)
	s_barrier
	s_and_saveexec_b64 s[8:9], s[44:45]
	s_cbranch_execz .LBB1_897
; %bb.896:
	v_lshlrev_b32_e32 v17, 2, v10
	ds_read_b32 v17, v17 offset:2848
	ds_read_b32 v18, v12
	s_waitcnt lgkmcnt(0)
	v_fma_f32 v16, -v17, v18, v16
.LBB1_897:
	s_or_b64 exec, exec, s[8:9]
	s_barrier
	s_and_saveexec_b64 s[8:9], s[46:47]
; %bb.898:
	v_xor_b32_e32 v17, 0x80000000, v16
	ds_write_b32 v12, v17
; %bb.899:
	s_or_b64 exec, exec, s[8:9]
	s_waitcnt lgkmcnt(0)
	s_barrier
	s_and_saveexec_b64 s[8:9], s[48:49]
	s_cbranch_execz .LBB1_901
; %bb.900:
	v_lshlrev_b32_e32 v17, 2, v10
	ds_read_b32 v17, v17 offset:2592
	ds_read_b32 v18, v12
	s_waitcnt lgkmcnt(0)
	v_fma_f32 v16, -v17, v18, v16
.LBB1_901:
	s_or_b64 exec, exec, s[8:9]
	s_barrier
	s_and_saveexec_b64 s[8:9], s[50:51]
; %bb.902:
	v_xor_b32_e32 v17, 0x80000000, v16
	ds_write_b32 v12, v17
; %bb.903:
	s_or_b64 exec, exec, s[8:9]
	s_waitcnt lgkmcnt(0)
	s_barrier
	s_and_saveexec_b64 s[8:9], s[40:41]
	s_cbranch_execz .LBB1_905
; %bb.904:
	v_mov_b32_e32 v17, 0
	ds_read_b32 v17, v17 offset:2336
	ds_read_b32 v18, v12
	s_waitcnt lgkmcnt(0)
	v_fma_f32 v16, -v17, v18, v16
.LBB1_905:
	s_or_b64 exec, exec, s[8:9]
	s_barrier
	s_and_saveexec_b64 s[8:9], s[40:41]
; %bb.906:
	v_xor_b32_e32 v17, 0x80000000, v16
	ds_write_b32 v12, v17
; %bb.907:
	s_or_b64 exec, exec, s[8:9]
	s_waitcnt lgkmcnt(0)
	s_barrier
	s_barrier
	s_and_saveexec_b64 s[8:9], s[2:3]
; %bb.908:
	v_lshlrev_b32_e32 v17, 2, v10
	v_lshl_or_b32 v17, v11, 8, v17
	ds_write_b32 v17, v16 offset:3104
; %bb.909:
	s_or_b64 exec, exec, s[8:9]
	s_waitcnt lgkmcnt(0)
	s_barrier
	s_barrier
	s_and_saveexec_b64 s[8:9], vcc
; %bb.910:
	s_movk_i32 s10, 0x800
	v_mov_b32_e32 v16, 1.0
	v_add_u32_e64 v17, s10, 0
	ds_write2_b32 v17, v16, v16 offset0:138 offset1:203
; %bb.911:
	s_or_b64 exec, exec, s[8:9]
	v_mov_b32_e32 v16, 0
	s_waitcnt lgkmcnt(0)
	s_barrier
	buffer_wbinvl1_vol
	s_and_saveexec_b64 s[10:11], s[0:1]
	s_cbranch_execz .LBB1_915
; %bb.912:
	v_lshlrev_b32_e32 v16, 8, v3
	v_lshlrev_b32_e32 v17, 2, v2
	ds_read_b32 v18, v17 offset:2592
	ds_read_b32 v16, v16 offset:2600
	v_mov_b32_e32 v17, 0
	v_cmp_gt_u32_e64 s[8:9], 2, v9
	s_waitcnt lgkmcnt(0)
	v_fma_f32 v16, v18, v16, 0
	s_and_saveexec_b64 s[12:13], s[8:9]
	s_cbranch_execz .LBB1_914
; %bb.913:
	v_lshlrev_b32_e32 v18, 2, v0
	ds_read_b32 v18, v18 offset:2848
	ds_read_b32 v17, v17 offset:2860
	s_waitcnt lgkmcnt(0)
	v_fmac_f32_e32 v16, v18, v17
.LBB1_914:
	s_or_b64 exec, exec, s[12:13]
.LBB1_915:
	s_or_b64 exec, exec, s[10:11]
	s_and_saveexec_b64 s[8:9], s[38:39]
; %bb.916:
	v_xor_b32_e32 v17, 0x80000000, v16
	ds_write_b32 v8, v17
; %bb.917:
	s_or_b64 exec, exec, s[8:9]
	s_waitcnt lgkmcnt(0)
	s_barrier
	s_and_saveexec_b64 s[8:9], s[24:25]
	s_cbranch_execz .LBB1_919
; %bb.918:
	v_mov_b32_e32 v17, 0
	ds_read_b32 v17, v17 offset:2336
	ds_read_b32 v18, v8
	s_waitcnt lgkmcnt(0)
	v_fma_f32 v16, -v17, v18, v16
.LBB1_919:
	s_or_b64 exec, exec, s[8:9]
	s_barrier
	s_and_saveexec_b64 s[8:9], s[24:25]
; %bb.920:
	v_xor_b32_e32 v17, 0x80000000, v16
	ds_write_b32 v8, v17
; %bb.921:
	s_or_b64 exec, exec, s[8:9]
	s_waitcnt lgkmcnt(0)
	s_barrier
	s_barrier
	s_and_saveexec_b64 s[8:9], s[0:1]
; %bb.922:
	v_lshlrev_b32_e32 v17, 2, v2
	v_lshl_or_b32 v17, v3, 8, v17
	ds_write_b32 v17, v16 offset:2592
; %bb.923:
	s_or_b64 exec, exec, s[8:9]
	s_waitcnt lgkmcnt(0)
	s_barrier
	s_barrier
	s_and_saveexec_b64 s[8:9], vcc
; %bb.924:
	s_movk_i32 s10, 0x800
	v_mov_b32_e32 v16, 1.0
	v_add_u32_e64 v17, s10, 0
	ds_write2_b32 v17, v16, v16 offset0:8 offset1:73
; %bb.925:
	s_or_b64 exec, exec, s[8:9]
	v_mov_b32_e32 v16, 0
	s_waitcnt lgkmcnt(0)
	s_barrier
	buffer_wbinvl1_vol
	s_and_saveexec_b64 s[10:11], s[14:15]
	s_cbranch_execz .LBB1_935
; %bb.926:
	v_lshlrev_b32_e32 v18, 2, v13
	v_lshlrev_b32_e32 v17, 8, v14
	ds_read_b32 v16, v18 offset:2048
	ds_read_b32 v19, v17 offset:2080
	v_cmp_gt_u32_e64 s[8:9], 56, v9
	s_waitcnt lgkmcnt(0)
	v_fma_f32 v16, v16, v19, 0
	s_and_saveexec_b64 s[12:13], s[8:9]
	s_cbranch_execnz .LBB1_1150
; %bb.927:
	s_or_b64 exec, exec, s[12:13]
	v_cmp_gt_u32_e64 s[8:9], 48, v9
	s_and_saveexec_b64 s[12:13], s[8:9]
	s_cbranch_execnz .LBB1_1151
.LBB1_928:
	s_or_b64 exec, exec, s[12:13]
	v_cmp_gt_u32_e64 s[8:9], 40, v9
	s_and_saveexec_b64 s[12:13], s[8:9]
	s_cbranch_execnz .LBB1_1152
.LBB1_929:
	s_or_b64 exec, exec, s[12:13]
	v_cmp_gt_u32_e64 s[8:9], 32, v9
	s_and_saveexec_b64 s[12:13], s[8:9]
	s_cbranch_execnz .LBB1_1153
.LBB1_930:
	s_or_b64 exec, exec, s[12:13]
	v_cmp_gt_u32_e64 s[8:9], 24, v9
	s_and_saveexec_b64 s[12:13], s[8:9]
	s_cbranch_execnz .LBB1_1154
.LBB1_931:
	s_or_b64 exec, exec, s[12:13]
	s_and_saveexec_b64 s[8:9], s[2:3]
	s_cbranch_execnz .LBB1_1155
.LBB1_932:
	s_or_b64 exec, exec, s[8:9]
	v_cmp_gt_u32_e64 s[8:9], 8, v9
	s_and_saveexec_b64 s[12:13], s[8:9]
	s_cbranch_execz .LBB1_934
.LBB1_933:
	v_lshlrev_b32_e32 v17, 2, v0
	v_mov_b32_e32 v18, 0
	ds_read_b32 v17, v17 offset:3840
	ds_read_b32 v18, v18 offset:3900
	s_waitcnt lgkmcnt(0)
	v_fmac_f32_e32 v16, v17, v18
.LBB1_934:
	s_or_b64 exec, exec, s[12:13]
.LBB1_935:
	s_or_b64 exec, exec, s[10:11]
	s_and_saveexec_b64 s[8:9], s[52:53]
; %bb.936:
	v_xor_b32_e32 v17, 0x80000000, v16
	ds_write_b32 v15, v17
; %bb.937:
	s_or_b64 exec, exec, s[8:9]
	s_waitcnt lgkmcnt(0)
	s_barrier
	s_and_saveexec_b64 s[8:9], s[54:55]
	s_cbranch_execz .LBB1_939
; %bb.938:
	v_lshlrev_b32_e32 v17, 2, v13
	ds_read_b32 v17, v17 offset:1792
	ds_read_b32 v18, v15
	s_waitcnt lgkmcnt(0)
	v_fma_f32 v16, -v17, v18, v16
.LBB1_939:
	s_or_b64 exec, exec, s[8:9]
	s_barrier
	s_and_saveexec_b64 s[8:9], s[56:57]
; %bb.940:
	v_xor_b32_e32 v17, 0x80000000, v16
	ds_write_b32 v15, v17
; %bb.941:
	s_or_b64 exec, exec, s[8:9]
	s_waitcnt lgkmcnt(0)
	s_barrier
	s_and_saveexec_b64 s[8:9], s[58:59]
	s_cbranch_execz .LBB1_943
; %bb.942:
	v_lshlrev_b32_e32 v17, 2, v13
	ds_read_b32 v17, v17 offset:1536
	ds_read_b32 v18, v15
	s_waitcnt lgkmcnt(0)
	v_fma_f32 v16, -v17, v18, v16
.LBB1_943:
	s_or_b64 exec, exec, s[8:9]
	s_barrier
	;; [unrolled: 19-line block ×6, first 2 shown]
	s_and_saveexec_b64 s[8:9], s[78:79]
; %bb.960:
	v_xor_b32_e32 v17, 0x80000000, v16
	ds_write_b32 v15, v17
; %bb.961:
	s_or_b64 exec, exec, s[8:9]
	s_waitcnt lgkmcnt(0)
	s_barrier
	s_and_saveexec_b64 s[8:9], s[62:63]
	s_cbranch_execz .LBB1_963
; %bb.962:
	v_mov_b32_e32 v17, 0
	ds_read_b32 v17, v17 offset:256
	ds_read_b32 v18, v15
	s_waitcnt lgkmcnt(0)
	v_fma_f32 v16, -v17, v18, v16
.LBB1_963:
	s_or_b64 exec, exec, s[8:9]
	s_barrier
	s_and_saveexec_b64 s[8:9], s[62:63]
; %bb.964:
	v_xor_b32_e32 v17, 0x80000000, v16
	ds_write_b32 v15, v17
; %bb.965:
	s_or_b64 exec, exec, s[8:9]
	s_waitcnt lgkmcnt(0)
	s_barrier
	s_barrier
	s_and_saveexec_b64 s[8:9], s[14:15]
; %bb.966:
	v_lshlrev_b32_e32 v13, 2, v13
	v_lshl_or_b32 v13, v14, 8, v13
	ds_write_b32 v13, v16 offset:2048
; %bb.967:
	s_or_b64 exec, exec, s[8:9]
	s_waitcnt lgkmcnt(0)
	s_barrier
	s_barrier
	s_and_saveexec_b64 s[8:9], vcc
; %bb.968:
	s_movk_i32 s10, 0x400
	v_mov_b32_e32 v13, 1.0
	v_add_u32_e64 v14, s10, 0
	ds_write2_b32 v14, v13, v13 offset0:134 offset1:199
; %bb.969:
	s_or_b64 exec, exec, s[8:9]
	v_mov_b32_e32 v13, 0
	s_waitcnt lgkmcnt(0)
	s_barrier
	buffer_wbinvl1_vol
	s_and_saveexec_b64 s[10:11], s[0:1]
	s_cbranch_execz .LBB1_973
; %bb.970:
	v_lshlrev_b32_e32 v13, 8, v3
	v_lshlrev_b32_e32 v14, 2, v2
	ds_read_b32 v15, v14 offset:1552
	ds_read_b32 v13, v13 offset:1560
	v_mov_b32_e32 v14, 0
	v_cmp_gt_u32_e64 s[8:9], 2, v9
	s_waitcnt lgkmcnt(0)
	v_fma_f32 v13, v15, v13, 0
	s_and_saveexec_b64 s[12:13], s[8:9]
	s_cbranch_execz .LBB1_972
; %bb.971:
	v_lshlrev_b32_e32 v15, 2, v0
	ds_read_b32 v15, v15 offset:1808
	ds_read_b32 v14, v14 offset:1820
	s_waitcnt lgkmcnt(0)
	v_fmac_f32_e32 v13, v15, v14
.LBB1_972:
	s_or_b64 exec, exec, s[12:13]
.LBB1_973:
	s_or_b64 exec, exec, s[10:11]
	s_and_saveexec_b64 s[8:9], s[38:39]
; %bb.974:
	v_xor_b32_e32 v14, 0x80000000, v13
	ds_write_b32 v8, v14
; %bb.975:
	s_or_b64 exec, exec, s[8:9]
	s_waitcnt lgkmcnt(0)
	s_barrier
	s_and_saveexec_b64 s[8:9], s[24:25]
	s_cbranch_execz .LBB1_977
; %bb.976:
	v_mov_b32_e32 v14, 0
	ds_read_b32 v14, v14 offset:1296
	ds_read_b32 v15, v8
	s_waitcnt lgkmcnt(0)
	v_fma_f32 v13, -v14, v15, v13
.LBB1_977:
	s_or_b64 exec, exec, s[8:9]
	s_barrier
	s_and_saveexec_b64 s[8:9], s[24:25]
; %bb.978:
	v_xor_b32_e32 v14, 0x80000000, v13
	ds_write_b32 v8, v14
; %bb.979:
	s_or_b64 exec, exec, s[8:9]
	s_waitcnt lgkmcnt(0)
	s_barrier
	s_barrier
	s_and_saveexec_b64 s[8:9], s[0:1]
; %bb.980:
	v_lshlrev_b32_e32 v14, 2, v2
	v_lshl_or_b32 v14, v3, 8, v14
	ds_write_b32 v14, v13 offset:1552
; %bb.981:
	s_or_b64 exec, exec, s[8:9]
	s_waitcnt lgkmcnt(0)
	s_barrier
	s_barrier
	s_and_saveexec_b64 s[8:9], vcc
; %bb.982:
	s_movk_i32 s10, 0x400
	v_mov_b32_e32 v13, 1.0
	v_add_u32_e64 v14, s10, 0
	ds_write2_b32 v14, v13, v13 offset0:4 offset1:69
; %bb.983:
	s_or_b64 exec, exec, s[8:9]
	v_mov_b32_e32 v13, 0
	s_waitcnt lgkmcnt(0)
	s_barrier
	buffer_wbinvl1_vol
	s_and_saveexec_b64 s[10:11], s[2:3]
	s_cbranch_execz .LBB1_989
; %bb.984:
	v_lshlrev_b32_e32 v15, 2, v10
	v_lshlrev_b32_e32 v14, 8, v11
	ds_read_b32 v13, v15 offset:1024
	ds_read_b32 v16, v14 offset:1040
	v_cmp_gt_u32_e64 s[8:9], 12, v9
	s_waitcnt lgkmcnt(0)
	v_fma_f32 v13, v13, v16, 0
	s_and_saveexec_b64 s[12:13], s[8:9]
	s_cbranch_execnz .LBB1_1156
; %bb.985:
	s_or_b64 exec, exec, s[12:13]
	v_cmp_gt_u32_e64 s[8:9], 8, v9
	s_and_saveexec_b64 s[12:13], s[8:9]
	s_cbranch_execnz .LBB1_1157
.LBB1_986:
	s_or_b64 exec, exec, s[12:13]
	v_cmp_gt_u32_e64 s[8:9], 4, v9
	s_and_saveexec_b64 s[12:13], s[8:9]
	s_cbranch_execz .LBB1_988
.LBB1_987:
	v_lshlrev_b32_e32 v14, 2, v0
	v_mov_b32_e32 v15, 0
	ds_read_b32 v14, v14 offset:1792
	ds_read_b32 v15, v15 offset:1820
	s_waitcnt lgkmcnt(0)
	v_fmac_f32_e32 v13, v14, v15
.LBB1_988:
	s_or_b64 exec, exec, s[12:13]
.LBB1_989:
	s_or_b64 exec, exec, s[10:11]
	s_and_saveexec_b64 s[8:9], s[42:43]
; %bb.990:
	v_xor_b32_e32 v14, 0x80000000, v13
	ds_write_b32 v12, v14
; %bb.991:
	s_or_b64 exec, exec, s[8:9]
	s_waitcnt lgkmcnt(0)
	s_barrier
	s_and_saveexec_b64 s[8:9], s[44:45]
	v_readlane_b32 s16, v27, 0
	s_cbranch_execz .LBB1_993
; %bb.992:
	v_lshlrev_b32_e32 v14, 2, v10
	ds_read_b32 v14, v14 offset:768
	ds_read_b32 v15, v12
	s_waitcnt lgkmcnt(0)
	v_fma_f32 v13, -v14, v15, v13
.LBB1_993:
	s_or_b64 exec, exec, s[8:9]
	s_barrier
	s_and_saveexec_b64 s[8:9], s[46:47]
; %bb.994:
	v_xor_b32_e32 v14, 0x80000000, v13
	ds_write_b32 v12, v14
; %bb.995:
	s_or_b64 exec, exec, s[8:9]
	s_waitcnt lgkmcnt(0)
	s_barrier
	s_and_saveexec_b64 s[8:9], s[48:49]
	s_cbranch_execz .LBB1_997
; %bb.996:
	v_lshlrev_b32_e32 v14, 2, v10
	ds_read_b32 v14, v14 offset:512
	ds_read_b32 v15, v12
	s_waitcnt lgkmcnt(0)
	v_fma_f32 v13, -v14, v15, v13
.LBB1_997:
	s_or_b64 exec, exec, s[8:9]
	s_barrier
	s_and_saveexec_b64 s[8:9], s[50:51]
; %bb.998:
	v_xor_b32_e32 v14, 0x80000000, v13
	ds_write_b32 v12, v14
; %bb.999:
	s_or_b64 exec, exec, s[8:9]
	s_waitcnt lgkmcnt(0)
	s_barrier
	s_and_saveexec_b64 s[8:9], s[40:41]
	s_cbranch_execz .LBB1_1001
; %bb.1000:
	v_mov_b32_e32 v14, 0
	ds_read_b32 v14, v14 offset:256
	ds_read_b32 v15, v12
	s_waitcnt lgkmcnt(0)
	v_fma_f32 v13, -v14, v15, v13
.LBB1_1001:
	s_or_b64 exec, exec, s[8:9]
	s_barrier
	s_and_saveexec_b64 s[8:9], s[40:41]
; %bb.1002:
	v_xor_b32_e32 v14, 0x80000000, v13
	ds_write_b32 v12, v14
; %bb.1003:
	s_or_b64 exec, exec, s[8:9]
	s_waitcnt lgkmcnt(0)
	s_barrier
	s_barrier
	s_and_saveexec_b64 s[8:9], s[2:3]
; %bb.1004:
	v_lshlrev_b32_e32 v10, 2, v10
	v_lshl_or_b32 v10, v11, 8, v10
	ds_write_b32 v10, v13 offset:1024
; %bb.1005:
	s_or_b64 exec, exec, s[8:9]
	s_waitcnt lgkmcnt(0)
	s_barrier
	s_barrier
	s_and_saveexec_b64 s[2:3], vcc
; %bb.1006:
	v_mov_b32_e32 v10, 1.0
	v_mov_b32_e32 v11, 0
	ds_write2_b32 v11, v10, v10 offset0:130 offset1:195
; %bb.1007:
	s_or_b64 exec, exec, s[2:3]
	v_mov_b32_e32 v10, 0
	s_waitcnt lgkmcnt(0)
	s_barrier
	buffer_wbinvl1_vol
	s_and_saveexec_b64 s[8:9], s[0:1]
	s_cbranch_execz .LBB1_1011
; %bb.1008:
	v_lshlrev_b32_e32 v10, 8, v3
	v_lshlrev_b32_e32 v11, 2, v2
	ds_read_b32 v12, v11 offset:512
	ds_read_b32 v10, v10 offset:520
	v_mov_b32_e32 v11, 0
	v_cmp_gt_u32_e64 s[2:3], 2, v9
	s_waitcnt lgkmcnt(0)
	v_fma_f32 v10, v12, v10, 0
	s_and_saveexec_b64 s[10:11], s[2:3]
	s_cbranch_execz .LBB1_1010
; %bb.1009:
	v_lshlrev_b32_e32 v9, 2, v0
	ds_read_b32 v9, v9 offset:768
	ds_read_b32 v11, v11 offset:780
	s_waitcnt lgkmcnt(0)
	v_fmac_f32_e32 v10, v9, v11
.LBB1_1010:
	s_or_b64 exec, exec, s[10:11]
.LBB1_1011:
	s_or_b64 exec, exec, s[8:9]
	s_and_saveexec_b64 s[2:3], s[38:39]
; %bb.1012:
	v_xor_b32_e32 v9, 0x80000000, v10
	ds_write_b32 v8, v9
; %bb.1013:
	s_or_b64 exec, exec, s[2:3]
	s_waitcnt lgkmcnt(0)
	s_barrier
	s_and_saveexec_b64 s[2:3], s[24:25]
	s_cbranch_execz .LBB1_1015
; %bb.1014:
	v_mov_b32_e32 v9, 0
	ds_read_b32 v9, v9 offset:256
	ds_read_b32 v11, v8
	s_waitcnt lgkmcnt(0)
	v_fma_f32 v10, -v9, v11, v10
.LBB1_1015:
	s_or_b64 exec, exec, s[2:3]
	s_barrier
	s_and_saveexec_b64 s[2:3], s[24:25]
; %bb.1016:
	v_xor_b32_e32 v9, 0x80000000, v10
	ds_write_b32 v8, v9
; %bb.1017:
	s_or_b64 exec, exec, s[2:3]
	s_waitcnt lgkmcnt(0)
	s_barrier
	s_barrier
	s_and_saveexec_b64 s[2:3], s[0:1]
; %bb.1018:
	v_lshlrev_b32_e32 v2, 2, v2
	v_lshl_or_b32 v2, v3, 8, v2
	ds_write_b32 v2, v10 offset:512
; %bb.1019:
	s_or_b64 exec, exec, s[2:3]
	s_waitcnt lgkmcnt(0)
	s_barrier
	s_barrier
	s_and_saveexec_b64 s[0:1], vcc
; %bb.1020:
	v_mov_b32_e32 v2, 1.0
	v_mov_b32_e32 v3, 0
	ds_write2_b32 v3, v2, v2 offset1:65
; %bb.1021:
	s_or_b64 exec, exec, s[0:1]
.LBB1_1022:
	s_load_dwordx4 s[12:15], s[4:5], 0x48
	v_cmp_le_i32_e32 vcc, s82, v0
	v_mov_b32_e32 v9, 0
	v_lshl_add_u32 v2, s33, 6, v0
	s_waitcnt lgkmcnt(0)
	s_mul_i32 s1, s13, s34
	s_mul_hi_u32 s2, s12, s34
	s_mul_i32 s0, s12, s34
	s_add_i32 s1, s2, s1
	s_lshl_b64 s[0:1], s[0:1], 2
	s_add_u32 s2, s26, s0
	s_addc_u32 s3, s27, s1
	s_lshl_b64 s[0:1], s[28:29], 2
	s_add_u32 s38, s2, s0
	s_addc_u32 s39, s3, s1
	s_and_b64 s[12:13], vcc, s[18:19]
	v_cmp_eq_u32_e64 s[0:1], 0, v1
	s_xor_b64 s[2:3], s[12:13], -1
	s_and_b64 s[4:5], s[0:1], s[2:3]
	s_barrier
	s_and_saveexec_b64 s[2:3], s[4:5]
	s_cbranch_execz .LBB1_1024
; %bb.1023:
	v_ashrrev_i32_e32 v3, 31, v2
	v_mul_lo_u32 v10, s31, v2
	v_mad_u64_u32 v[8:9], s[4:5], s30, v2, 0
	v_mul_lo_u32 v3, s30, v3
	v_add3_u32 v9, v9, v3, v10
	v_lshlrev_b64 v[8:9], 2, v[8:9]
	v_mov_b32_e32 v3, s39
	v_add_co_u32_e32 v8, vcc, s38, v8
	v_addc_co_u32_e32 v9, vcc, v3, v9, vcc
	global_load_dword v3, v[8:9], off
	s_waitcnt vmcnt(0)
	v_mul_f32_e64 v9, v3, -s16
.LBB1_1024:
	s_or_b64 exec, exec, s[2:3]
	s_and_b32 s2, 0xffff, s85
	v_mad_u32_u24 v8, v1, s2, v0
	s_cmp_lt_i32 s6, 1
	v_cmp_eq_u32_e64 s[2:3], 0, v8
	s_cbranch_scc1 .LBB1_1050
; %bb.1025:
	v_ashrrev_i32_e32 v3, 31, v2
	v_cmp_gt_i32_e64 s[10:11], s36, v2
	v_lshlrev_b64 v[2:3], 2, v[2:3]
	s_lshl_b64 s[4:5], s[34:35], 2
	s_add_u32 s16, s14, s4
	v_mov_b32_e32 v11, 0x5000
	v_mov_b32_e32 v13, s84
	v_add_co_u32_e32 v12, vcc, s83, v2
	s_mul_i32 s8, s21, 0xc0
	s_mul_hi_u32 s9, s20, 0xc0
	s_mov_b32 s40, 0
	s_addc_u32 s17, s15, s5
	v_cmp_gt_u32_e64 s[4:5], 64, v8
	v_lshl_add_u32 v10, v8, 2, v11
	v_lshl_or_b32 v11, v1, 2, v11
	s_add_i32 s41, s33, 1
	v_addc_co_u32_e32 v13, vcc, v13, v3, vcc
	s_lshl_b64 s[24:25], s[20:21], 6
	s_lshl_b64 s[26:27], s[20:21], 7
	s_add_i32 s42, s9, s8
	s_mul_i32 s43, s20, 0xc0
	v_mov_b32_e32 v15, -1
	v_mov_b32_e32 v14, 0
	s_branch .LBB1_1028
.LBB1_1026:                             ;   in Loop: Header=BB1_1028 Depth=1
	ds_read_b32 v2, v11 offset:192
	s_waitcnt vmcnt(0) lgkmcnt(0)
	v_fmac_f32_e32 v9, v16, v2
.LBB1_1027:                             ;   in Loop: Header=BB1_1028 Depth=1
	s_or_b64 exec, exec, s[28:29]
	s_add_i32 s40, s40, 1
	s_cmp_eq_u32 s40, s6
	s_cbranch_scc1 .LBB1_1050
.LBB1_1028:                             ; =>This Loop Header: Depth=1
                                        ;     Child Loop BB1_1030 Depth 2
	v_cmp_gt_i32_e32 vcc, s40, v15
	s_and_b64 s[28:29], s[2:3], vcc
	s_and_saveexec_b64 s[8:9], s[28:29]
	s_cbranch_execz .LBB1_1031
; %bb.1029:                             ;   in Loop: Header=BB1_1028 Depth=1
	global_load_dword v15, v14, s[16:17]
	s_waitcnt vmcnt(0)
	v_cmp_le_i32_e32 vcc, s40, v15
	s_cbranch_vccnz .LBB1_1031
.LBB1_1030:                             ;   Parent Loop BB1_1028 Depth=1
                                        ; =>  This Inner Loop Header: Depth=2
	buffer_wbinvl1_vol
	global_load_dword v15, v14, s[16:17]
	s_waitcnt vmcnt(0)
	v_cmp_gt_i32_e32 vcc, s40, v15
	s_cbranch_vccnz .LBB1_1030
.LBB1_1031:                             ;   in Loop: Header=BB1_1028 Depth=1
	s_or_b64 exec, exec, s[8:9]
	s_sub_i32 s44, s7, s40
	s_lshl_b32 s45, s44, 6
	buffer_wbinvl1_vol
	s_barrier
	s_and_saveexec_b64 s[8:9], s[4:5]
	s_cbranch_execz .LBB1_1035
; %bb.1032:                             ;   in Loop: Header=BB1_1028 Depth=1
	s_ashr_i32 s28, s45, 31
	v_mov_b32_e32 v3, s28
	v_or_b32_e32 v2, s45, v8
	v_cmp_gt_i64_e32 vcc, s[36:37], v[2:3]
	v_mov_b32_e32 v16, 0
	s_and_saveexec_b64 s[28:29], vcc
	s_cbranch_execz .LBB1_1034
; %bb.1033:                             ;   in Loop: Header=BB1_1028 Depth=1
	v_mul_lo_u32 v16, v3, s30
	v_mul_lo_u32 v17, v2, s31
	v_mad_u64_u32 v[2:3], s[46:47], v2, s30, 0
	v_add3_u32 v3, v3, v17, v16
	v_lshlrev_b64 v[2:3], 2, v[2:3]
	v_mov_b32_e32 v16, s39
	v_add_co_u32_e32 v2, vcc, s38, v2
	v_addc_co_u32_e32 v3, vcc, v16, v3, vcc
	global_load_dword v16, v[2:3], off
.LBB1_1034:                             ;   in Loop: Header=BB1_1028 Depth=1
	s_or_b64 exec, exec, s[28:29]
	s_waitcnt vmcnt(0)
	ds_write_b32 v10, v16
.LBB1_1035:                             ;   in Loop: Header=BB1_1028 Depth=1
	s_or_b64 exec, exec, s[8:9]
	v_add_u32_e32 v16, s45, v1
	v_ashrrev_i32_e32 v17, 31, v16
	v_mul_lo_u32 v18, s21, v16
	v_mad_u64_u32 v[2:3], s[8:9], s20, v16, 0
	v_mul_lo_u32 v17, s20, v17
	s_cmp_lg_u32 s44, s41
	s_cselect_b64 s[8:9], -1, 0
	s_waitcnt lgkmcnt(0)
	v_add3_u32 v3, v3, v17, v18
	v_lshlrev_b64 v[2:3], 2, v[2:3]
	v_cndmask_b32_e64 v17, 0, 1, s[8:9]
	v_add_co_u32_e32 v2, vcc, v12, v2
	v_addc_co_u32_e32 v3, vcc, v13, v3, vcc
	v_cmp_gt_i32_e32 vcc, s36, v16
	s_and_b64 s[44:45], s[10:11], vcc
	v_cmp_ne_u32_e64 s[8:9], 1, v17
	s_barrier
	s_and_saveexec_b64 s[28:29], s[44:45]
	s_cbranch_execz .LBB1_1039
; %bb.1036:                             ;   in Loop: Header=BB1_1028 Depth=1
	s_and_b64 vcc, exec, s[8:9]
	v_mov_b32_e32 v17, v4
	s_cbranch_vccnz .LBB1_1038
; %bb.1037:                             ;   in Loop: Header=BB1_1028 Depth=1
	global_load_dword v17, v[2:3], off
.LBB1_1038:                             ;   in Loop: Header=BB1_1028 Depth=1
	ds_read_b32 v18, v11
	s_waitcnt vmcnt(0) lgkmcnt(0)
	v_fmac_f32_e32 v9, v17, v18
.LBB1_1039:                             ;   in Loop: Header=BB1_1028 Depth=1
	s_or_b64 exec, exec, s[28:29]
	v_add_u32_e32 v17, 16, v16
	v_cmp_gt_i32_e32 vcc, s36, v17
	s_and_b64 s[44:45], s[10:11], vcc
	s_and_saveexec_b64 s[28:29], s[44:45]
	s_cbranch_execz .LBB1_1043
; %bb.1040:                             ;   in Loop: Header=BB1_1028 Depth=1
	s_and_b64 vcc, exec, s[8:9]
	v_mov_b32_e32 v17, v5
	s_cbranch_vccnz .LBB1_1042
; %bb.1041:                             ;   in Loop: Header=BB1_1028 Depth=1
	v_mov_b32_e32 v18, s25
	v_add_co_u32_e32 v17, vcc, s24, v2
	v_addc_co_u32_e32 v18, vcc, v3, v18, vcc
	global_load_dword v17, v[17:18], off
.LBB1_1042:                             ;   in Loop: Header=BB1_1028 Depth=1
	ds_read_b32 v18, v11 offset:64
	s_waitcnt vmcnt(0) lgkmcnt(0)
	v_fmac_f32_e32 v9, v17, v18
.LBB1_1043:                             ;   in Loop: Header=BB1_1028 Depth=1
	s_or_b64 exec, exec, s[28:29]
	v_add_u32_e32 v17, 32, v16
	v_cmp_gt_i32_e32 vcc, s36, v17
	s_and_b64 s[44:45], s[10:11], vcc
	s_and_saveexec_b64 s[28:29], s[44:45]
	s_cbranch_execz .LBB1_1047
; %bb.1044:                             ;   in Loop: Header=BB1_1028 Depth=1
	s_and_b64 vcc, exec, s[8:9]
	v_mov_b32_e32 v17, v7
	s_cbranch_vccnz .LBB1_1046
; %bb.1045:                             ;   in Loop: Header=BB1_1028 Depth=1
	v_mov_b32_e32 v18, s27
	v_add_co_u32_e32 v17, vcc, s26, v2
	v_addc_co_u32_e32 v18, vcc, v3, v18, vcc
	global_load_dword v17, v[17:18], off
.LBB1_1046:                             ;   in Loop: Header=BB1_1028 Depth=1
	ds_read_b32 v18, v11 offset:128
	s_waitcnt vmcnt(0) lgkmcnt(0)
	v_fmac_f32_e32 v9, v17, v18
.LBB1_1047:                             ;   in Loop: Header=BB1_1028 Depth=1
	s_or_b64 exec, exec, s[28:29]
	v_add_u32_e32 v16, 48, v16
	v_cmp_gt_i32_e32 vcc, s36, v16
	s_and_b64 s[44:45], s[10:11], vcc
	s_and_saveexec_b64 s[28:29], s[44:45]
	s_cbranch_execz .LBB1_1027
; %bb.1048:                             ;   in Loop: Header=BB1_1028 Depth=1
	s_and_b64 vcc, exec, s[8:9]
	v_mov_b32_e32 v16, v6
	s_cbranch_vccnz .LBB1_1026
; %bb.1049:                             ;   in Loop: Header=BB1_1028 Depth=1
	v_mov_b32_e32 v16, s42
	v_add_co_u32_e32 v2, vcc, s43, v2
	v_addc_co_u32_e32 v3, vcc, v3, v16, vcc
	global_load_dword v16, v[2:3], off
	s_branch .LBB1_1026
.LBB1_1050:
	v_lshl_add_u32 v2, v1, 6, v0
	s_xor_b64 s[2:3], s[18:19], -1
	s_xor_b64 s[4:5], s[22:23], -1
	v_lshlrev_b32_e32 v2, 2, v2
	ds_write_b32 v2, v9 offset:16384
	s_waitcnt lgkmcnt(0)
	s_barrier
	s_and_saveexec_b64 s[6:7], s[0:1]
	s_cbranch_execz .LBB1_1052
; %bb.1051:
	v_lshlrev_b32_e32 v7, 2, v0
	ds_read2st64_b32 v[3:4], v7 offset0:65 offset1:66
	ds_read2st64_b32 v[5:6], v7 offset0:67 offset1:68
	;; [unrolled: 1-line block ×5, first 2 shown]
	s_waitcnt lgkmcnt(4)
	v_add_f32_e32 v3, v9, v3
	v_add_f32_e32 v3, v3, v4
	s_waitcnt lgkmcnt(3)
	v_add_f32_e32 v3, v3, v5
	v_add_f32_e32 v3, v3, v6
	;; [unrolled: 3-line block ×4, first 2 shown]
	ds_read2st64_b32 v[3:4], v7 offset0:75 offset1:76
	ds_read2st64_b32 v[5:6], v7 offset0:77 offset1:78
	ds_read_b32 v7, v7 offset:20224
	s_waitcnt lgkmcnt(3)
	v_add_f32_e32 v9, v9, v14
	v_add_f32_e32 v9, v9, v15
	s_waitcnt lgkmcnt(2)
	v_add_f32_e32 v3, v9, v3
	v_add_f32_e32 v3, v3, v4
	;; [unrolled: 3-line block ×3, first 2 shown]
	s_waitcnt lgkmcnt(0)
	v_add_f32_e32 v3, v3, v7
	v_cndmask_b32_e64 v9, -v3, 0, s[12:13]
.LBB1_1052:
	s_or_b64 exec, exec, s[6:7]
	s_andn2_b64 vcc, exec, s[4:5]
	s_cbranch_vccnz .LBB1_1066
; %bb.1053:
	v_mov_b32_e32 v3, 0x5000
	v_lshl_or_b32 v4, v1, 2, v3
	s_and_saveexec_b64 s[4:5], s[0:1]
; %bb.1054:
	v_lshl_add_u32 v3, v0, 2, v4
	ds_write_b32 v3, v9
; %bb.1055:
	s_or_b64 exec, exec, s[4:5]
	v_cmp_le_u32_e32 vcc, v0, v1
	v_mov_b32_e32 v3, 0
	s_waitcnt lgkmcnt(0)
	s_barrier
	s_and_saveexec_b64 s[4:5], vcc
	s_cbranch_execz .LBB1_1057
; %bb.1056:
	ds_read_b32 v3, v2
	ds_read_b32 v5, v4
	s_waitcnt lgkmcnt(0)
	v_fma_f32 v3, v3, v5, 0
.LBB1_1057:
	s_or_b64 exec, exec, s[4:5]
	v_add_u32_e32 v5, 16, v1
	v_cmp_le_u32_e32 vcc, v0, v5
	s_and_saveexec_b64 s[4:5], vcc
	s_cbranch_execz .LBB1_1059
; %bb.1058:
	ds_read_b32 v5, v2 offset:4096
	ds_read_b32 v6, v4 offset:64
	s_waitcnt lgkmcnt(0)
	v_fmac_f32_e32 v3, v5, v6
.LBB1_1059:
	s_or_b64 exec, exec, s[4:5]
	v_add_u32_e32 v5, 32, v1
	v_cmp_le_u32_e32 vcc, v0, v5
	s_and_saveexec_b64 s[4:5], vcc
	s_cbranch_execz .LBB1_1061
; %bb.1060:
	ds_read_b32 v5, v2 offset:8192
	ds_read_b32 v6, v4 offset:128
	s_waitcnt lgkmcnt(0)
	v_fmac_f32_e32 v3, v5, v6
.LBB1_1061:
	s_or_b64 exec, exec, s[4:5]
	v_add_u32_e32 v1, 48, v1
	v_add_u32_e32 v5, 0x4000, v2
	v_cmp_le_u32_e32 vcc, v0, v1
	s_and_saveexec_b64 s[4:5], vcc
	s_cbranch_execz .LBB1_1063
; %bb.1062:
	ds_read_b32 v1, v2 offset:12288
	ds_read_b32 v2, v4 offset:192
	s_waitcnt lgkmcnt(0)
	v_fmac_f32_e32 v3, v1, v2
.LBB1_1063:
	s_or_b64 exec, exec, s[4:5]
	s_mov_b64 s[6:7], 0
	s_mov_b64 s[4:5], 0
	ds_write_b32 v5, v3
	s_waitcnt lgkmcnt(0)
	s_barrier
                                        ; implicit-def: $vgpr1
	s_and_saveexec_b64 s[8:9], s[0:1]
	s_cbranch_execz .LBB1_1104
; %bb.1064:
	v_lshlrev_b32_e32 v12, 2, v0
	ds_read2st64_b32 v[1:2], v12 offset0:65 offset1:66
	ds_read2st64_b32 v[4:5], v12 offset0:67 offset1:68
	;; [unrolled: 1-line block ×4, first 2 shown]
	s_mov_b64 s[4:5], exec
	s_waitcnt lgkmcnt(3)
	v_add_f32_e32 v1, v3, v1
	v_add_f32_e32 v1, v2, v1
	s_waitcnt lgkmcnt(2)
	v_add_f32_e32 v1, v4, v1
	v_add_f32_e32 v1, v5, v1
	;; [unrolled: 3-line block ×3, first 2 shown]
	s_waitcnt lgkmcnt(0)
	v_add_f32_e32 v3, v10, v1
	ds_read2st64_b32 v[1:2], v12 offset0:73 offset1:74
	v_add_f32_e32 v7, v11, v3
	ds_read2st64_b32 v[3:4], v12 offset0:75 offset1:76
	ds_read2st64_b32 v[5:6], v12 offset0:77 offset1:78
	ds_read_b32 v10, v12 offset:20224
	s_waitcnt lgkmcnt(3)
	v_add_f32_e32 v1, v1, v7
	v_add_f32_e32 v1, v2, v1
	s_waitcnt lgkmcnt(2)
	v_add_f32_e32 v1, v3, v1
	v_add_f32_e32 v1, v4, v1
	;; [unrolled: 3-line block ×3, first 2 shown]
	s_waitcnt lgkmcnt(0)
	v_add_f32_e32 v1, v10, v1
	s_or_b64 exec, exec, s[8:9]
	s_and_b64 vcc, exec, s[6:7]
	s_cbranch_vccnz .LBB1_1067
	s_branch .LBB1_1105
.LBB1_1065:
	v_mad_u64_u32 v[10:11], s[0:1], s20, v8, 0
	s_or_b64 s[8:9], s[8:9], exec
	v_mad_u64_u32 v[11:12], s[0:1], s21, v8, v[11:12]
	v_lshlrev_b64 v[10:11], 2, v[10:11]
	v_add_co_u32_e32 v2, vcc, v2, v10
	v_addc_co_u32_e32 v3, vcc, v3, v11, vcc
	global_load_dword v2, v[2:3], off
	s_waitcnt vmcnt(0)
	v_xor_b32_e32 v10, 0x80000000, v2
	s_or_b64 exec, exec, s[2:3]
	s_and_saveexec_b64 s[0:1], s[8:9]
	s_cbranch_execnz .LBB1_45
	s_branch .LBB1_46
.LBB1_1066:
	s_mov_b64 s[4:5], 0
                                        ; implicit-def: $vgpr1
	s_cbranch_execz .LBB1_1105
.LBB1_1067:
	v_mov_b32_e32 v1, 0x3c00
	v_lshl_add_u32 v1, v0, 2, v1
	v_mov_b32_e32 v3, 63
	v_mov_b32_e32 v2, 0
	s_branch .LBB1_1069
.LBB1_1068:                             ;   in Loop: Header=BB1_1069 Depth=1
	s_or_b64 exec, exec, s[6:7]
	v_subrev_co_u32_e32 v3, vcc, 1, v3
	s_andn2_b64 vcc, exec, vcc
	v_add_u32_e32 v1, 0xfffffc00, v1
	s_barrier
	s_cbranch_vccz .LBB1_1085
.LBB1_1069:                             ; =>This Inner Loop Header: Depth=1
	v_cmp_eq_u32_e32 vcc, v0, v3
	s_and_b64 s[8:9], s[0:1], vcc
	s_and_saveexec_b64 s[6:7], s[8:9]
; %bb.1070:                             ;   in Loop: Header=BB1_1069 Depth=1
	ds_write_b32 v2, v9 offset:20736
; %bb.1071:                             ;   in Loop: Header=BB1_1069 Depth=1
	s_or_b64 exec, exec, s[6:7]
	v_cmp_lt_u32_e32 vcc, v0, v3
	s_and_b64 s[8:9], s[0:1], vcc
	s_waitcnt lgkmcnt(0)
	s_barrier
	s_and_saveexec_b64 s[6:7], s[8:9]
	s_cbranch_execz .LBB1_1073
; %bb.1072:                             ;   in Loop: Header=BB1_1069 Depth=1
	ds_read_b32 v4, v1 offset:768
	ds_read_b32 v5, v2 offset:20736
	s_waitcnt lgkmcnt(0)
	v_fmac_f32_e32 v9, v4, v5
.LBB1_1073:                             ;   in Loop: Header=BB1_1069 Depth=1
	s_or_b64 exec, exec, s[6:7]
	v_add_u32_e32 v3, -1, v3
	v_cmp_eq_u32_e32 vcc, v0, v3
	s_and_b64 s[8:9], s[0:1], vcc
	s_barrier
	s_and_saveexec_b64 s[6:7], s[8:9]
; %bb.1074:                             ;   in Loop: Header=BB1_1069 Depth=1
	ds_write_b32 v2, v9 offset:20736
; %bb.1075:                             ;   in Loop: Header=BB1_1069 Depth=1
	s_or_b64 exec, exec, s[6:7]
	v_cmp_lt_u32_e32 vcc, v0, v3
	s_and_b64 s[8:9], s[0:1], vcc
	s_waitcnt lgkmcnt(0)
	s_barrier
	s_and_saveexec_b64 s[6:7], s[8:9]
	s_cbranch_execz .LBB1_1077
; %bb.1076:                             ;   in Loop: Header=BB1_1069 Depth=1
	ds_read_b32 v4, v1 offset:512
	ds_read_b32 v5, v2 offset:20736
	s_waitcnt lgkmcnt(0)
	v_fmac_f32_e32 v9, v4, v5
.LBB1_1077:                             ;   in Loop: Header=BB1_1069 Depth=1
	s_or_b64 exec, exec, s[6:7]
	v_add_u32_e32 v3, -1, v3
	v_cmp_eq_u32_e32 vcc, v0, v3
	s_and_b64 s[8:9], s[0:1], vcc
	s_barrier
	;; [unrolled: 22-line block ×3, first 2 shown]
	s_and_saveexec_b64 s[6:7], s[8:9]
; %bb.1082:                             ;   in Loop: Header=BB1_1069 Depth=1
	ds_write_b32 v2, v9 offset:20736
; %bb.1083:                             ;   in Loop: Header=BB1_1069 Depth=1
	s_or_b64 exec, exec, s[6:7]
	v_cmp_lt_u32_e32 vcc, v0, v3
	s_and_b64 s[8:9], s[0:1], vcc
	s_waitcnt lgkmcnt(0)
	s_barrier
	s_and_saveexec_b64 s[6:7], s[8:9]
	s_cbranch_execz .LBB1_1068
; %bb.1084:                             ;   in Loop: Header=BB1_1069 Depth=1
	ds_read_b32 v4, v1
	ds_read_b32 v5, v2 offset:20736
	s_waitcnt lgkmcnt(0)
	v_fmac_f32_e32 v9, v4, v5
	s_branch .LBB1_1068
.LBB1_1085:
	s_mov_b64 s[6:7], -1
	s_and_b64 vcc, exec, s[2:3]
	s_cbranch_vccnz .LBB1_1106
; %bb.1086:
	s_andn2_b64 vcc, exec, s[6:7]
	s_cbranch_vccz .LBB1_1107
.LBB1_1087:
	s_and_saveexec_b64 s[0:1], s[4:5]
	s_cbranch_execz .LBB1_1089
.LBB1_1088:
	s_lshl_b32 s2, s33, 6
	s_ashr_i32 s3, s2, 31
	v_mov_b32_e32 v0, s3
	v_add_co_u32_e32 v1, vcc, s2, v8
	v_addc_co_u32_e32 v0, vcc, 0, v0, vcc
	v_mul_lo_u32 v2, v0, s30
	v_mul_lo_u32 v3, v1, s31
	v_mad_u64_u32 v[0:1], s[2:3], v1, s30, 0
	v_add3_u32 v1, v1, v3, v2
	v_lshlrev_b64 v[0:1], 2, v[0:1]
	v_mov_b32_e32 v2, s39
	v_add_co_u32_e32 v0, vcc, s38, v0
	v_addc_co_u32_e32 v1, vcc, v2, v1, vcc
	global_store_dword v[0:1], v9, off
.LBB1_1089:
	s_or_b64 exec, exec, s[0:1]
	v_cmp_eq_u32_e32 vcc, 0, v8
	s_waitcnt vmcnt(0)
	buffer_wbinvl1_vol
	s_barrier
	s_and_saveexec_b64 s[0:1], vcc
	s_cbranch_execz .LBB1_1091
; %bb.1090:
	s_lshl_b64 s[2:3], s[34:35], 2
	s_add_u32 s2, s14, s2
	s_addc_u32 s3, s15, s3
	v_mov_b32_e32 v0, 0
	global_load_dword v1, v0, s[2:3]
	s_waitcnt vmcnt(0)
	v_add_u32_e32 v1, 1, v1
	global_store_dword v0, v1, s[2:3]
.LBB1_1091:
	s_or_b64 exec, exec, s[0:1]
	s_waitcnt vmcnt(0)
	buffer_wbinvl1_vol
	s_endpgm
.LBB1_1092:
	v_or_b32_e32 v10, v1, v0
	v_cmp_gt_u32_e32 vcc, 64, v10
	s_and_b64 s[2:3], vcc, exec
	s_andn2_saveexec_b64 s[0:1], s[0:1]
	s_cbranch_execz .LBB1_14
.LBB1_1093:
	v_mad_u64_u32 v[9:10], s[8:9], s20, v1, 0
	s_or_b64 s[2:3], s[2:3], exec
	v_mad_u64_u32 v[10:11], s[8:9], s21, v1, v[10:11]
	v_lshlrev_b64 v[9:10], 2, v[9:10]
	v_add_co_u32_e32 v9, vcc, v2, v9
	v_addc_co_u32_e32 v10, vcc, v3, v10, vcc
	global_load_dword v9, v[9:10], off
	s_waitcnt vmcnt(0)
	v_xor_b32_e32 v9, 0x80000000, v9
	s_or_b64 exec, exec, s[0:1]
	s_and_saveexec_b64 s[0:1], s[2:3]
	s_cbranch_execnz .LBB1_15
	s_branch .LBB1_16
.LBB1_1094:
	v_or_b32_e32 v10, v9, v0
	v_cmp_gt_u32_e32 vcc, 64, v10
	s_and_b64 s[0:1], vcc, exec
	s_or_saveexec_b64 s[2:3], s[2:3]
	v_mov_b32_e32 v10, 0
	s_xor_b64 exec, exec, s[2:3]
	s_cbranch_execz .LBB1_18
.LBB1_1095:
	v_mad_u64_u32 v[10:11], s[8:9], s20, v9, 0
	s_or_b64 s[0:1], s[0:1], exec
	v_mad_u64_u32 v[11:12], s[8:9], s21, v9, v[11:12]
	v_lshlrev_b64 v[10:11], 2, v[10:11]
	v_add_co_u32_e32 v10, vcc, v2, v10
	v_addc_co_u32_e32 v11, vcc, v3, v11, vcc
	global_load_dword v10, v[10:11], off
	s_waitcnt vmcnt(0)
	v_xor_b32_e32 v10, 0x80000000, v10
	s_or_b64 exec, exec, s[2:3]
	s_and_saveexec_b64 s[2:3], s[0:1]
	s_cbranch_execnz .LBB1_19
	s_branch .LBB1_20
.LBB1_1096:
	v_or_b32_e32 v10, v9, v0
	v_cmp_gt_u32_e32 vcc, 64, v10
	s_and_b64 s[0:1], vcc, exec
	s_or_saveexec_b64 s[2:3], s[2:3]
	v_mov_b32_e32 v10, 0
	s_xor_b64 exec, exec, s[2:3]
	s_cbranch_execz .LBB1_22
.LBB1_1097:
	v_mad_u64_u32 v[10:11], s[8:9], s20, v9, 0
	s_or_b64 s[0:1], s[0:1], exec
	v_mad_u64_u32 v[11:12], s[8:9], s21, v9, v[11:12]
	v_lshlrev_b64 v[10:11], 2, v[10:11]
	v_add_co_u32_e32 v10, vcc, v2, v10
	v_addc_co_u32_e32 v11, vcc, v3, v11, vcc
	global_load_dword v10, v[10:11], off
	s_waitcnt vmcnt(0)
	v_xor_b32_e32 v10, 0x80000000, v10
	s_or_b64 exec, exec, s[2:3]
	s_and_saveexec_b64 s[2:3], s[0:1]
	s_cbranch_execnz .LBB1_23
	s_branch .LBB1_24
.LBB1_1098:
	v_or_b32_e32 v10, v1, v0
	v_cmp_gt_u32_e64 s[0:1], 64, v10
	s_and_b64 s[2:3], s[0:1], exec
	s_andn2_saveexec_b64 s[10:11], s[10:11]
	s_cbranch_execz .LBB1_30
.LBB1_1099:
	v_mad_u64_u32 v[9:10], s[0:1], s20, v1, 0
	s_or_b64 s[2:3], s[2:3], exec
	v_mad_u64_u32 v[10:11], s[0:1], s21, v1, v[10:11]
	v_lshlrev_b64 v[9:10], 2, v[9:10]
	v_add_co_u32_e64 v9, s[0:1], v2, v9
	v_addc_co_u32_e64 v10, s[0:1], v3, v10, s[0:1]
	global_load_dword v9, v[9:10], off
	s_waitcnt vmcnt(0)
	v_xor_b32_e32 v9, 0x80000000, v9
	s_or_b64 exec, exec, s[10:11]
	s_and_saveexec_b64 s[0:1], s[2:3]
	s_cbranch_execnz .LBB1_31
	s_branch .LBB1_32
.LBB1_1100:
	v_or_b32_e32 v10, v9, v0
	v_cmp_gt_u32_e64 s[0:1], 64, v10
	s_and_b64 s[2:3], s[0:1], exec
	s_or_saveexec_b64 s[10:11], s[10:11]
	v_mov_b32_e32 v10, 0
	s_xor_b64 exec, exec, s[10:11]
	s_cbranch_execz .LBB1_34
.LBB1_1101:
	v_mad_u64_u32 v[10:11], s[0:1], s20, v9, 0
	s_or_b64 s[2:3], s[2:3], exec
	v_mad_u64_u32 v[11:12], s[0:1], s21, v9, v[11:12]
	v_lshlrev_b64 v[10:11], 2, v[10:11]
	v_add_co_u32_e64 v10, s[0:1], v2, v10
	v_addc_co_u32_e64 v11, s[0:1], v3, v11, s[0:1]
	global_load_dword v10, v[10:11], off
	s_waitcnt vmcnt(0)
	v_xor_b32_e32 v10, 0x80000000, v10
	s_or_b64 exec, exec, s[10:11]
	s_and_saveexec_b64 s[0:1], s[2:3]
	s_cbranch_execnz .LBB1_35
	s_branch .LBB1_36
.LBB1_1102:
	v_or_b32_e32 v10, v9, v0
	v_cmp_gt_u32_e64 s[0:1], 64, v10
	s_and_b64 s[2:3], s[0:1], exec
	s_or_saveexec_b64 s[10:11], s[10:11]
	v_mov_b32_e32 v10, 0
	s_xor_b64 exec, exec, s[10:11]
	s_cbranch_execz .LBB1_38
.LBB1_1103:
	v_mad_u64_u32 v[10:11], s[0:1], s20, v9, 0
	s_or_b64 s[2:3], s[2:3], exec
	v_mad_u64_u32 v[11:12], s[0:1], s21, v9, v[11:12]
	v_lshlrev_b64 v[10:11], 2, v[10:11]
	v_add_co_u32_e64 v10, s[0:1], v2, v10
	v_addc_co_u32_e64 v11, s[0:1], v3, v11, s[0:1]
	global_load_dword v10, v[10:11], off
	s_waitcnt vmcnt(0)
	v_xor_b32_e32 v10, 0x80000000, v10
	s_or_b64 exec, exec, s[10:11]
	s_and_saveexec_b64 s[0:1], s[2:3]
	s_cbranch_execnz .LBB1_39
	s_branch .LBB1_40
.LBB1_1104:
	s_or_b64 exec, exec, s[8:9]
	s_and_b64 vcc, exec, s[6:7]
	s_cbranch_vccnz .LBB1_1067
.LBB1_1105:
	v_mov_b32_e32 v9, v1
	s_and_saveexec_b64 s[0:1], s[4:5]
	s_cbranch_execnz .LBB1_1088
	s_branch .LBB1_1089
.LBB1_1106:
	s_andn2_b64 s[2:3], s[4:5], exec
	s_and_b64 s[4:5], s[0:1], exec
	s_or_b64 s[4:5], s[2:3], s[4:5]
	s_cbranch_execnz .LBB1_1087
.LBB1_1107:
	v_cmp_gt_i32_e32 vcc, s82, v0
	s_and_b64 s[0:1], s[0:1], vcc
	s_andn2_b64 s[2:3], s[4:5], exec
	s_and_b64 s[0:1], s[0:1], exec
	s_or_b64 s[4:5], s[2:3], s[0:1]
	s_and_saveexec_b64 s[0:1], s[4:5]
	s_cbranch_execnz .LBB1_1088
	s_branch .LBB1_1089
.LBB1_1108:
	ds_read_b32 v16, v15 offset:15840
	ds_read_b32 v17, v14 offset:15604
	s_waitcnt lgkmcnt(0)
	v_fmac_f32_e32 v13, v16, v17
	s_or_b64 exec, exec, s[14:15]
	v_cmp_gt_u32_e64 s[10:11], 8, v9
	s_and_saveexec_b64 s[14:15], s[10:11]
	s_cbranch_execz .LBB1_66
.LBB1_1109:
	ds_read_b32 v15, v15 offset:16096
	ds_read_b32 v14, v14 offset:15608
	s_waitcnt lgkmcnt(0)
	v_fmac_f32_e32 v13, v15, v14
	s_or_b64 exec, exec, s[14:15]
	v_cmp_gt_u32_e64 s[10:11], 4, v9
	s_and_saveexec_b64 s[14:15], s[10:11]
	s_cbranch_execnz .LBB1_67
	s_branch .LBB1_68
.LBB1_1110:
	ds_read_b32 v19, v18 offset:14784
	ds_read_b32 v20, v17 offset:14564
	s_waitcnt lgkmcnt(0)
	v_fmac_f32_e32 v16, v19, v20
	s_or_b64 exec, exec, s[16:17]
	v_cmp_gt_u32_e64 s[10:11], 48, v9
	s_and_saveexec_b64 s[16:17], s[10:11]
	s_cbranch_execz .LBB1_104
.LBB1_1111:
	ds_read_b32 v19, v18 offset:15040
	ds_read_b32 v20, v17 offset:14568
	s_waitcnt lgkmcnt(0)
	v_fmac_f32_e32 v16, v19, v20
	s_or_b64 exec, exec, s[16:17]
	v_cmp_gt_u32_e64 s[10:11], 40, v9
	s_and_saveexec_b64 s[16:17], s[10:11]
	s_cbranch_execz .LBB1_105
.LBB1_1112:
	ds_read_b32 v19, v18 offset:15296
	ds_read_b32 v20, v17 offset:14572
	s_waitcnt lgkmcnt(0)
	v_fmac_f32_e32 v16, v19, v20
	s_or_b64 exec, exec, s[16:17]
	v_cmp_gt_u32_e64 s[10:11], 32, v9
	s_and_saveexec_b64 s[16:17], s[10:11]
	s_cbranch_execz .LBB1_106
.LBB1_1113:
	ds_read_b32 v19, v18 offset:15552
	ds_read_b32 v20, v17 offset:14576
	s_waitcnt lgkmcnt(0)
	v_fmac_f32_e32 v16, v19, v20
	s_or_b64 exec, exec, s[16:17]
	v_cmp_gt_u32_e64 s[10:11], 24, v9
	s_and_saveexec_b64 s[16:17], s[10:11]
	s_cbranch_execz .LBB1_107
.LBB1_1114:
	ds_read_b32 v19, v18 offset:15808
	ds_read_b32 v20, v17 offset:14580
	s_waitcnt lgkmcnt(0)
	v_fmac_f32_e32 v16, v19, v20
	s_or_b64 exec, exec, s[16:17]
	s_and_saveexec_b64 s[10:11], s[2:3]
	s_cbranch_execz .LBB1_108
.LBB1_1115:
	ds_read_b32 v18, v18 offset:16064
	ds_read_b32 v17, v17 offset:14584
	s_waitcnt lgkmcnt(0)
	v_fmac_f32_e32 v16, v18, v17
	s_or_b64 exec, exec, s[10:11]
	v_cmp_gt_u32_e64 s[10:11], 8, v9
	s_and_saveexec_b64 s[16:17], s[10:11]
	s_cbranch_execnz .LBB1_109
	s_branch .LBB1_110
.LBB1_1116:
	ds_read_b32 v19, v18 offset:13760
	ds_read_b32 v20, v17 offset:13524
	s_waitcnt lgkmcnt(0)
	v_fmac_f32_e32 v16, v19, v20
	s_or_b64 exec, exec, s[12:13]
	v_cmp_gt_u32_e64 s[8:9], 8, v9
	s_and_saveexec_b64 s[12:13], s[8:9]
	s_cbranch_execz .LBB1_162
.LBB1_1117:
	ds_read_b32 v18, v18 offset:14016
	ds_read_b32 v17, v17 offset:13528
	s_waitcnt lgkmcnt(0)
	v_fmac_f32_e32 v16, v18, v17
	s_or_b64 exec, exec, s[12:13]
	v_cmp_gt_u32_e64 s[8:9], 4, v9
	s_and_saveexec_b64 s[12:13], s[8:9]
	s_cbranch_execnz .LBB1_163
	s_branch .LBB1_164
.LBB1_1118:
	ds_read_b32 v22, v21 offset:15232
	ds_read_b32 v23, v20 offset:12524
	s_waitcnt lgkmcnt(0)
	v_fmac_f32_e32 v19, v22, v23
	s_or_b64 exec, exec, s[80:81]
	s_and_saveexec_b64 s[12:13], s[14:15]
	s_cbranch_execz .LBB1_220
.LBB1_1119:
	ds_read_b32 v22, v21 offset:15488
	ds_read_b32 v23, v20 offset:12528
	s_waitcnt lgkmcnt(0)
	v_fmac_f32_e32 v19, v22, v23
	s_or_b64 exec, exec, s[12:13]
	v_cmp_gt_u32_e64 s[12:13], 48, v9
	s_and_saveexec_b64 s[80:81], s[12:13]
	s_cbranch_execz .LBB1_221
.LBB1_1120:
	ds_read_b32 v22, v21 offset:15744
	ds_read_b32 v23, v20 offset:12532
	s_waitcnt lgkmcnt(0)
	v_fmac_f32_e32 v19, v22, v23
	s_or_b64 exec, exec, s[80:81]
	v_cmp_gt_u32_e64 s[12:13], 32, v9
	s_and_saveexec_b64 s[80:81], s[12:13]
	s_cbranch_execz .LBB1_222
.LBB1_1121:
	ds_read_b32 v21, v21 offset:16000
	ds_read_b32 v20, v20 offset:12536
	s_waitcnt lgkmcnt(0)
	v_fmac_f32_e32 v19, v21, v20
	s_or_b64 exec, exec, s[80:81]
	v_cmp_gt_u32_e64 s[12:13], 16, v9
	s_and_saveexec_b64 s[80:81], s[12:13]
	s_cbranch_execnz .LBB1_223
	s_branch .LBB1_224
.LBB1_1122:
	ds_read_b32 v22, v21 offset:11680
	ds_read_b32 v23, v20 offset:11444
	s_waitcnt lgkmcnt(0)
	v_fmac_f32_e32 v19, v22, v23
	s_or_b64 exec, exec, s[16:17]
	v_cmp_gt_u32_e64 s[10:11], 8, v9
	s_and_saveexec_b64 s[16:17], s[10:11]
	s_cbranch_execz .LBB1_308
.LBB1_1123:
	ds_read_b32 v21, v21 offset:11936
	ds_read_b32 v20, v20 offset:11448
	s_waitcnt lgkmcnt(0)
	v_fmac_f32_e32 v19, v21, v20
	s_or_b64 exec, exec, s[16:17]
	v_cmp_gt_u32_e64 s[10:11], 4, v9
	s_and_saveexec_b64 s[16:17], s[10:11]
	s_cbranch_execnz .LBB1_309
	s_branch .LBB1_310
.LBB1_1124:
	ds_read_b32 v22, v21 offset:10624
	ds_read_b32 v23, v20 offset:10404
	s_waitcnt lgkmcnt(0)
	v_fmac_f32_e32 v19, v22, v23
	s_or_b64 exec, exec, s[16:17]
	v_cmp_gt_u32_e64 s[10:11], 48, v9
	s_and_saveexec_b64 s[16:17], s[10:11]
	s_cbranch_execz .LBB1_346
.LBB1_1125:
	ds_read_b32 v22, v21 offset:10880
	ds_read_b32 v23, v20 offset:10408
	s_waitcnt lgkmcnt(0)
	v_fmac_f32_e32 v19, v22, v23
	s_or_b64 exec, exec, s[16:17]
	v_cmp_gt_u32_e64 s[10:11], 40, v9
	s_and_saveexec_b64 s[16:17], s[10:11]
	s_cbranch_execz .LBB1_347
.LBB1_1126:
	ds_read_b32 v22, v21 offset:11136
	ds_read_b32 v23, v20 offset:10412
	s_waitcnt lgkmcnt(0)
	v_fmac_f32_e32 v19, v22, v23
	s_or_b64 exec, exec, s[16:17]
	v_cmp_gt_u32_e64 s[10:11], 32, v9
	s_and_saveexec_b64 s[16:17], s[10:11]
	s_cbranch_execz .LBB1_348
.LBB1_1127:
	ds_read_b32 v22, v21 offset:11392
	ds_read_b32 v23, v20 offset:10416
	s_waitcnt lgkmcnt(0)
	v_fmac_f32_e32 v19, v22, v23
	s_or_b64 exec, exec, s[16:17]
	v_cmp_gt_u32_e64 s[10:11], 24, v9
	s_and_saveexec_b64 s[16:17], s[10:11]
	s_cbranch_execz .LBB1_349
.LBB1_1128:
	ds_read_b32 v22, v21 offset:11648
	ds_read_b32 v23, v20 offset:10420
	s_waitcnt lgkmcnt(0)
	v_fmac_f32_e32 v19, v22, v23
	s_or_b64 exec, exec, s[16:17]
	s_and_saveexec_b64 s[10:11], s[2:3]
	s_cbranch_execz .LBB1_350
.LBB1_1129:
	ds_read_b32 v21, v21 offset:11904
	ds_read_b32 v20, v20 offset:10424
	s_waitcnt lgkmcnt(0)
	v_fmac_f32_e32 v19, v21, v20
	s_or_b64 exec, exec, s[10:11]
	v_cmp_gt_u32_e64 s[10:11], 8, v9
	s_and_saveexec_b64 s[16:17], s[10:11]
	s_cbranch_execnz .LBB1_351
	s_branch .LBB1_352
.LBB1_1130:
	ds_read_b32 v22, v21 offset:9600
	ds_read_b32 v23, v20 offset:9364
	s_waitcnt lgkmcnt(0)
	v_fmac_f32_e32 v19, v22, v23
	s_or_b64 exec, exec, s[16:17]
	v_cmp_gt_u32_e64 s[10:11], 8, v9
	s_and_saveexec_b64 s[16:17], s[10:11]
	s_cbranch_execz .LBB1_404
.LBB1_1131:
	ds_read_b32 v21, v21 offset:9856
	ds_read_b32 v20, v20 offset:9368
	s_waitcnt lgkmcnt(0)
	v_fmac_f32_e32 v19, v21, v20
	s_or_b64 exec, exec, s[16:17]
	v_cmp_gt_u32_e64 s[10:11], 4, v9
	s_and_saveexec_b64 s[16:17], s[10:11]
	s_cbranch_execnz .LBB1_405
	s_branch .LBB1_406
.LBB1_1132:
	ds_read_b32 v25, v24 offset:15616
	ds_read_b32 v26, v23 offset:8436
	s_waitcnt lgkmcnt(0)
	v_fmac_f32_e32 v21, v25, v26
	s_or_b64 exec, exec, s[80:81]
	s_and_saveexec_b64 s[16:17], s[14:15]
	s_cbranch_execz .LBB1_498
.LBB1_1133:
	ds_read_b32 v24, v24 offset:15872
	ds_read_b32 v23, v23 offset:8440
	s_waitcnt lgkmcnt(0)
	v_fmac_f32_e32 v21, v24, v23
	s_or_b64 exec, exec, s[16:17]
	v_cmp_gt_u32_e64 s[16:17], 32, v9
	s_and_saveexec_b64 s[80:81], s[16:17]
	s_cbranch_execnz .LBB1_499
	s_branch .LBB1_500
.LBB1_1134:
	ds_read_b32 v22, v21 offset:7520
	ds_read_b32 v23, v20 offset:7284
	s_waitcnt lgkmcnt(0)
	v_fmac_f32_e32 v19, v22, v23
	s_or_b64 exec, exec, s[16:17]
	v_cmp_gt_u32_e64 s[10:11], 8, v9
	s_and_saveexec_b64 s[16:17], s[10:11]
	s_cbranch_execz .LBB1_648
.LBB1_1135:
	ds_read_b32 v21, v21 offset:7776
	ds_read_b32 v20, v20 offset:7288
	s_waitcnt lgkmcnt(0)
	v_fmac_f32_e32 v19, v21, v20
	s_or_b64 exec, exec, s[16:17]
	v_cmp_gt_u32_e64 s[10:11], 4, v9
	s_and_saveexec_b64 s[16:17], s[10:11]
	s_cbranch_execnz .LBB1_649
	s_branch .LBB1_650
.LBB1_1136:
	ds_read_b32 v22, v21 offset:6464
	ds_read_b32 v23, v20 offset:6244
	s_waitcnt lgkmcnt(0)
	v_fmac_f32_e32 v19, v22, v23
	s_or_b64 exec, exec, s[16:17]
	v_cmp_gt_u32_e64 s[10:11], 48, v9
	s_and_saveexec_b64 s[16:17], s[10:11]
	s_cbranch_execz .LBB1_686
.LBB1_1137:
	ds_read_b32 v22, v21 offset:6720
	ds_read_b32 v23, v20 offset:6248
	s_waitcnt lgkmcnt(0)
	v_fmac_f32_e32 v19, v22, v23
	s_or_b64 exec, exec, s[16:17]
	v_cmp_gt_u32_e64 s[10:11], 40, v9
	s_and_saveexec_b64 s[16:17], s[10:11]
	s_cbranch_execz .LBB1_687
.LBB1_1138:
	ds_read_b32 v22, v21 offset:6976
	ds_read_b32 v23, v20 offset:6252
	s_waitcnt lgkmcnt(0)
	v_fmac_f32_e32 v19, v22, v23
	s_or_b64 exec, exec, s[16:17]
	v_cmp_gt_u32_e64 s[10:11], 32, v9
	s_and_saveexec_b64 s[16:17], s[10:11]
	s_cbranch_execz .LBB1_688
.LBB1_1139:
	ds_read_b32 v22, v21 offset:7232
	ds_read_b32 v23, v20 offset:6256
	s_waitcnt lgkmcnt(0)
	v_fmac_f32_e32 v19, v22, v23
	s_or_b64 exec, exec, s[16:17]
	v_cmp_gt_u32_e64 s[10:11], 24, v9
	s_and_saveexec_b64 s[16:17], s[10:11]
	s_cbranch_execz .LBB1_689
.LBB1_1140:
	ds_read_b32 v22, v21 offset:7488
	ds_read_b32 v23, v20 offset:6260
	s_waitcnt lgkmcnt(0)
	v_fmac_f32_e32 v19, v22, v23
	s_or_b64 exec, exec, s[16:17]
	s_and_saveexec_b64 s[10:11], s[2:3]
	s_cbranch_execz .LBB1_690
.LBB1_1141:
	ds_read_b32 v21, v21 offset:7744
	ds_read_b32 v20, v20 offset:6264
	s_waitcnt lgkmcnt(0)
	v_fmac_f32_e32 v19, v21, v20
	s_or_b64 exec, exec, s[10:11]
	v_cmp_gt_u32_e64 s[10:11], 8, v9
	s_and_saveexec_b64 s[16:17], s[10:11]
	s_cbranch_execnz .LBB1_691
	s_branch .LBB1_692
.LBB1_1142:
	ds_read_b32 v22, v21 offset:5440
	ds_read_b32 v23, v20 offset:5204
	s_waitcnt lgkmcnt(0)
	v_fmac_f32_e32 v19, v22, v23
	s_or_b64 exec, exec, s[16:17]
	v_cmp_gt_u32_e64 s[10:11], 8, v9
	s_and_saveexec_b64 s[16:17], s[10:11]
	s_cbranch_execz .LBB1_744
.LBB1_1143:
	ds_read_b32 v21, v21 offset:5696
	ds_read_b32 v20, v20 offset:5208
	s_waitcnt lgkmcnt(0)
	v_fmac_f32_e32 v19, v21, v20
	s_or_b64 exec, exec, s[16:17]
	v_cmp_gt_u32_e64 s[10:11], 4, v9
	s_and_saveexec_b64 s[16:17], s[10:11]
	s_cbranch_execnz .LBB1_745
	s_branch .LBB1_746
.LBB1_1144:
	ds_read_b32 v22, v21 offset:6912
	ds_read_b32 v23, v20 offset:4204
	s_waitcnt lgkmcnt(0)
	v_fmac_f32_e32 v19, v22, v23
	s_or_b64 exec, exec, s[16:17]
	s_and_saveexec_b64 s[10:11], s[14:15]
	s_cbranch_execz .LBB1_802
.LBB1_1145:
	ds_read_b32 v22, v21 offset:7168
	ds_read_b32 v23, v20 offset:4208
	s_waitcnt lgkmcnt(0)
	v_fmac_f32_e32 v19, v22, v23
	s_or_b64 exec, exec, s[10:11]
	v_cmp_gt_u32_e64 s[10:11], 48, v9
	s_and_saveexec_b64 s[16:17], s[10:11]
	s_cbranch_execz .LBB1_803
.LBB1_1146:
	ds_read_b32 v22, v21 offset:7424
	ds_read_b32 v23, v20 offset:4212
	s_waitcnt lgkmcnt(0)
	v_fmac_f32_e32 v19, v22, v23
	s_or_b64 exec, exec, s[16:17]
	v_cmp_gt_u32_e64 s[10:11], 32, v9
	s_and_saveexec_b64 s[16:17], s[10:11]
	s_cbranch_execz .LBB1_804
.LBB1_1147:
	ds_read_b32 v21, v21 offset:7680
	ds_read_b32 v20, v20 offset:4216
	s_waitcnt lgkmcnt(0)
	v_fmac_f32_e32 v19, v21, v20
	s_or_b64 exec, exec, s[16:17]
	v_cmp_gt_u32_e64 s[10:11], 16, v9
	s_and_saveexec_b64 s[16:17], s[10:11]
	s_cbranch_execnz .LBB1_805
	s_branch .LBB1_806
.LBB1_1148:
	ds_read_b32 v19, v18 offset:3360
	ds_read_b32 v20, v17 offset:3124
	s_waitcnt lgkmcnt(0)
	v_fmac_f32_e32 v16, v19, v20
	s_or_b64 exec, exec, s[12:13]
	v_cmp_gt_u32_e64 s[8:9], 8, v9
	s_and_saveexec_b64 s[12:13], s[8:9]
	s_cbranch_execz .LBB1_890
.LBB1_1149:
	ds_read_b32 v18, v18 offset:3616
	ds_read_b32 v17, v17 offset:3128
	s_waitcnt lgkmcnt(0)
	v_fmac_f32_e32 v16, v18, v17
	s_or_b64 exec, exec, s[12:13]
	v_cmp_gt_u32_e64 s[8:9], 4, v9
	s_and_saveexec_b64 s[12:13], s[8:9]
	s_cbranch_execnz .LBB1_891
	s_branch .LBB1_892
.LBB1_1150:
	ds_read_b32 v19, v18 offset:2304
	ds_read_b32 v20, v17 offset:2084
	s_waitcnt lgkmcnt(0)
	v_fmac_f32_e32 v16, v19, v20
	s_or_b64 exec, exec, s[12:13]
	v_cmp_gt_u32_e64 s[8:9], 48, v9
	s_and_saveexec_b64 s[12:13], s[8:9]
	s_cbranch_execz .LBB1_928
.LBB1_1151:
	ds_read_b32 v19, v18 offset:2560
	ds_read_b32 v20, v17 offset:2088
	s_waitcnt lgkmcnt(0)
	v_fmac_f32_e32 v16, v19, v20
	s_or_b64 exec, exec, s[12:13]
	v_cmp_gt_u32_e64 s[8:9], 40, v9
	s_and_saveexec_b64 s[12:13], s[8:9]
	s_cbranch_execz .LBB1_929
.LBB1_1152:
	ds_read_b32 v19, v18 offset:2816
	ds_read_b32 v20, v17 offset:2092
	s_waitcnt lgkmcnt(0)
	v_fmac_f32_e32 v16, v19, v20
	s_or_b64 exec, exec, s[12:13]
	v_cmp_gt_u32_e64 s[8:9], 32, v9
	s_and_saveexec_b64 s[12:13], s[8:9]
	s_cbranch_execz .LBB1_930
.LBB1_1153:
	ds_read_b32 v19, v18 offset:3072
	ds_read_b32 v20, v17 offset:2096
	s_waitcnt lgkmcnt(0)
	v_fmac_f32_e32 v16, v19, v20
	s_or_b64 exec, exec, s[12:13]
	v_cmp_gt_u32_e64 s[8:9], 24, v9
	s_and_saveexec_b64 s[12:13], s[8:9]
	s_cbranch_execz .LBB1_931
.LBB1_1154:
	ds_read_b32 v19, v18 offset:3328
	ds_read_b32 v20, v17 offset:2100
	s_waitcnt lgkmcnt(0)
	v_fmac_f32_e32 v16, v19, v20
	s_or_b64 exec, exec, s[12:13]
	s_and_saveexec_b64 s[8:9], s[2:3]
	s_cbranch_execz .LBB1_932
.LBB1_1155:
	ds_read_b32 v18, v18 offset:3584
	ds_read_b32 v17, v17 offset:2104
	s_waitcnt lgkmcnt(0)
	v_fmac_f32_e32 v16, v18, v17
	s_or_b64 exec, exec, s[8:9]
	v_cmp_gt_u32_e64 s[8:9], 8, v9
	s_and_saveexec_b64 s[12:13], s[8:9]
	s_cbranch_execnz .LBB1_933
	s_branch .LBB1_934
.LBB1_1156:
	ds_read_b32 v16, v15 offset:1280
	ds_read_b32 v17, v14 offset:1044
	s_waitcnt lgkmcnt(0)
	v_fmac_f32_e32 v13, v16, v17
	s_or_b64 exec, exec, s[12:13]
	v_cmp_gt_u32_e64 s[8:9], 8, v9
	s_and_saveexec_b64 s[12:13], s[8:9]
	s_cbranch_execz .LBB1_986
.LBB1_1157:
	ds_read_b32 v15, v15 offset:1536
	ds_read_b32 v14, v14 offset:1048
	s_waitcnt lgkmcnt(0)
	v_fmac_f32_e32 v13, v15, v14
	s_or_b64 exec, exec, s[12:13]
	v_cmp_gt_u32_e64 s[8:9], 4, v9
	s_and_saveexec_b64 s[12:13], s[8:9]
	s_cbranch_execnz .LBB1_987
	s_branch .LBB1_988
	.section	.rodata,"a",@progbits
	.p2align	6, 0x0
	.amdhsa_kernel _ZL19rocblas_trsv_deviceILi64ELi16ELb0ELb0ELb0ELb1EfPKfS1_PfEviT7_lllT6_T8_lllPii
		.amdhsa_group_segment_fixed_size 20740
		.amdhsa_private_segment_fixed_size 0
		.amdhsa_kernarg_size 352
		.amdhsa_user_sgpr_count 6
		.amdhsa_user_sgpr_private_segment_buffer 1
		.amdhsa_user_sgpr_dispatch_ptr 0
		.amdhsa_user_sgpr_queue_ptr 0
		.amdhsa_user_sgpr_kernarg_segment_ptr 1
		.amdhsa_user_sgpr_dispatch_id 0
		.amdhsa_user_sgpr_flat_scratch_init 0
		.amdhsa_user_sgpr_private_segment_size 0
		.amdhsa_uses_dynamic_stack 0
		.amdhsa_system_sgpr_private_segment_wavefront_offset 0
		.amdhsa_system_sgpr_workgroup_id_x 1
		.amdhsa_system_sgpr_workgroup_id_y 0
		.amdhsa_system_sgpr_workgroup_id_z 1
		.amdhsa_system_sgpr_workgroup_info 0
		.amdhsa_system_vgpr_workitem_id 1
		.amdhsa_next_free_vgpr 29
		.amdhsa_next_free_sgpr 96
		.amdhsa_reserve_vcc 1
		.amdhsa_reserve_flat_scratch 0
		.amdhsa_float_round_mode_32 0
		.amdhsa_float_round_mode_16_64 0
		.amdhsa_float_denorm_mode_32 3
		.amdhsa_float_denorm_mode_16_64 3
		.amdhsa_dx10_clamp 1
		.amdhsa_ieee_mode 1
		.amdhsa_fp16_overflow 0
		.amdhsa_exception_fp_ieee_invalid_op 0
		.amdhsa_exception_fp_denorm_src 0
		.amdhsa_exception_fp_ieee_div_zero 0
		.amdhsa_exception_fp_ieee_overflow 0
		.amdhsa_exception_fp_ieee_underflow 0
		.amdhsa_exception_fp_ieee_inexact 0
		.amdhsa_exception_int_div_zero 0
	.end_amdhsa_kernel
	.section	.text._ZL19rocblas_trsv_deviceILi64ELi16ELb0ELb0ELb0ELb1EfPKfS1_PfEviT7_lllT6_T8_lllPii,"axG",@progbits,_ZL19rocblas_trsv_deviceILi64ELi16ELb0ELb0ELb0ELb1EfPKfS1_PfEviT7_lllT6_T8_lllPii,comdat
.Lfunc_end1:
	.size	_ZL19rocblas_trsv_deviceILi64ELi16ELb0ELb0ELb0ELb1EfPKfS1_PfEviT7_lllT6_T8_lllPii, .Lfunc_end1-_ZL19rocblas_trsv_deviceILi64ELi16ELb0ELb0ELb0ELb1EfPKfS1_PfEviT7_lllT6_T8_lllPii
                                        ; -- End function
	.set _ZL19rocblas_trsv_deviceILi64ELi16ELb0ELb0ELb0ELb1EfPKfS1_PfEviT7_lllT6_T8_lllPii.num_vgpr, 28
	.set _ZL19rocblas_trsv_deviceILi64ELi16ELb0ELb0ELb0ELb1EfPKfS1_PfEviT7_lllT6_T8_lllPii.num_agpr, 0
	.set _ZL19rocblas_trsv_deviceILi64ELi16ELb0ELb0ELb0ELb1EfPKfS1_PfEviT7_lllT6_T8_lllPii.numbered_sgpr, 96
	.set _ZL19rocblas_trsv_deviceILi64ELi16ELb0ELb0ELb0ELb1EfPKfS1_PfEviT7_lllT6_T8_lllPii.num_named_barrier, 0
	.set _ZL19rocblas_trsv_deviceILi64ELi16ELb0ELb0ELb0ELb1EfPKfS1_PfEviT7_lllT6_T8_lllPii.private_seg_size, 0
	.set _ZL19rocblas_trsv_deviceILi64ELi16ELb0ELb0ELb0ELb1EfPKfS1_PfEviT7_lllT6_T8_lllPii.uses_vcc, 1
	.set _ZL19rocblas_trsv_deviceILi64ELi16ELb0ELb0ELb0ELb1EfPKfS1_PfEviT7_lllT6_T8_lllPii.uses_flat_scratch, 0
	.set _ZL19rocblas_trsv_deviceILi64ELi16ELb0ELb0ELb0ELb1EfPKfS1_PfEviT7_lllT6_T8_lllPii.has_dyn_sized_stack, 0
	.set _ZL19rocblas_trsv_deviceILi64ELi16ELb0ELb0ELb0ELb1EfPKfS1_PfEviT7_lllT6_T8_lllPii.has_recursion, 0
	.set _ZL19rocblas_trsv_deviceILi64ELi16ELb0ELb0ELb0ELb1EfPKfS1_PfEviT7_lllT6_T8_lllPii.has_indirect_call, 0
	.section	.AMDGPU.csdata,"",@progbits
; Kernel info:
; codeLenInByte = 30124
; TotalNumSgprs: 100
; NumVgprs: 28
; ScratchSize: 0
; MemoryBound: 0
; FloatMode: 240
; IeeeMode: 1
; LDSByteSize: 20740 bytes/workgroup (compile time only)
; SGPRBlocks: 12
; VGPRBlocks: 7
; NumSGPRsForWavesPerEU: 100
; NumVGPRsForWavesPerEU: 29
; Occupancy: 8
; WaveLimiterHint : 0
; COMPUTE_PGM_RSRC2:SCRATCH_EN: 0
; COMPUTE_PGM_RSRC2:USER_SGPR: 6
; COMPUTE_PGM_RSRC2:TRAP_HANDLER: 0
; COMPUTE_PGM_RSRC2:TGID_X_EN: 1
; COMPUTE_PGM_RSRC2:TGID_Y_EN: 0
; COMPUTE_PGM_RSRC2:TGID_Z_EN: 1
; COMPUTE_PGM_RSRC2:TIDIG_COMP_CNT: 1
	.section	.text._ZL19rocblas_trsv_deviceILi64ELi16ELb0ELb1ELb0ELb1EfPKfS1_PfEviT7_lllT6_T8_lllPii,"axG",@progbits,_ZL19rocblas_trsv_deviceILi64ELi16ELb0ELb1ELb0ELb1EfPKfS1_PfEviT7_lllT6_T8_lllPii,comdat
	.globl	_ZL19rocblas_trsv_deviceILi64ELi16ELb0ELb1ELb0ELb1EfPKfS1_PfEviT7_lllT6_T8_lllPii ; -- Begin function _ZL19rocblas_trsv_deviceILi64ELi16ELb0ELb1ELb0ELb1EfPKfS1_PfEviT7_lllT6_T8_lllPii
	.p2align	8
	.type	_ZL19rocblas_trsv_deviceILi64ELi16ELb0ELb1ELb0ELb1EfPKfS1_PfEviT7_lllT6_T8_lllPii,@function
_ZL19rocblas_trsv_deviceILi64ELi16ELb0ELb1ELb0ELb1EfPKfS1_PfEviT7_lllT6_T8_lllPii: ; @_ZL19rocblas_trsv_deviceILi64ELi16ELb0ELb1ELb0ELb1EfPKfS1_PfEviT7_lllT6_T8_lllPii
; %bb.0:
	s_load_dwordx16 s[36:51], s[4:5], 0x8
	s_load_dword s33, s[4:5], 0x0
	s_mov_b32 s22, s7
	s_mov_b32 s23, 0
	s_waitcnt lgkmcnt(0)
	s_mul_i32 s0, s43, s7
	s_mul_hi_u32 s1, s42, s7
	s_add_i32 s1, s1, s0
	s_mul_i32 s0, s42, s7
	s_lshl_b64 s[0:1], s[0:1], 2
	s_add_u32 s2, s36, s0
	s_addc_u32 s3, s37, s1
	s_load_dword s37, s[44:45], 0x0
	s_load_dword s36, s[4:5], 0x6c
	s_lshl_b64 s[0:1], s[38:39], 2
	s_add_u32 s86, s2, s0
	s_addc_u32 s87, s3, s1
	s_cmp_eq_u32 s6, 0
	s_cbranch_scc1 .LBB2_10
; %bb.1:
	s_lshl_b32 s2, s6, 6
	v_add_u32_e32 v6, s2, v0
	v_ashrrev_i32_e32 v2, 31, v6
	v_mul_lo_u32 v7, s40, v2
	v_mul_lo_u32 v8, s41, v6
	v_mad_u64_u32 v[4:5], s[0:1], s40, v6, 0
	v_add_u32_e32 v2, s2, v1
	v_subrev_u32_e32 v2, 64, v2
	v_add3_u32 v5, v5, v7, v8
	v_lshlrev_b64 v[4:5], 2, v[4:5]
	v_ashrrev_i32_e32 v3, 31, v2
	v_cmp_gt_i32_e32 vcc, s33, v6
	v_mov_b32_e32 v6, s87
	v_add_co_u32_e64 v7, s[0:1], s86, v4
	v_lshlrev_b64 v[3:4], 2, v[2:3]
	v_addc_co_u32_e64 v5, s[0:1], v6, v5, s[0:1]
	v_add_co_u32_e64 v3, s[0:1], v7, v3
	v_addc_co_u32_e64 v4, s[0:1], v5, v4, s[0:1]
	v_cmp_gt_i32_e64 s[0:1], s33, v2
	s_and_b64 s[2:3], s[0:1], vcc
	v_mov_b32_e32 v7, 0
	v_mov_b32_e32 v8, 0
	s_waitcnt lgkmcnt(0)
	s_barrier
	s_and_saveexec_b64 s[0:1], s[2:3]
	s_cbranch_execz .LBB2_3
; %bb.2:
	global_load_dword v8, v[3:4], off
.LBB2_3:
	s_or_b64 exec, exec, s[0:1]
	v_add_u32_e32 v5, 16, v2
	v_cmp_gt_i32_e64 s[0:1], s33, v5
	s_and_b64 s[2:3], s[0:1], vcc
	s_waitcnt vmcnt(0)
	s_barrier
	s_and_saveexec_b64 s[0:1], s[2:3]
	s_cbranch_execz .LBB2_5
; %bb.4:
	global_load_dword v7, v[3:4], off offset:64
.LBB2_5:
	s_or_b64 exec, exec, s[0:1]
	v_add_u32_e32 v5, 32, v2
	v_cmp_gt_i32_e64 s[0:1], s33, v5
	s_and_b64 s[2:3], s[0:1], vcc
	v_mov_b32_e32 v9, 0
	v_mov_b32_e32 v10, 0
	s_waitcnt vmcnt(0)
	s_barrier
	s_and_saveexec_b64 s[0:1], s[2:3]
	s_cbranch_execz .LBB2_7
; %bb.6:
	global_load_dword v10, v[3:4], off offset:128
.LBB2_7:
	s_or_b64 exec, exec, s[0:1]
	v_add_u32_e32 v2, 48, v2
	v_cmp_gt_i32_e64 s[0:1], s33, v2
	s_and_b64 s[2:3], s[0:1], vcc
	s_waitcnt vmcnt(0)
	s_barrier
	s_and_saveexec_b64 s[0:1], s[2:3]
	s_cbranch_execz .LBB2_9
; %bb.8:
	global_load_dword v9, v[3:4], off offset:192
.LBB2_9:
	s_or_b64 exec, exec, s[0:1]
	s_branch .LBB2_11
.LBB2_10:
                                        ; implicit-def: $vgpr9
                                        ; implicit-def: $vgpr10
                                        ; implicit-def: $vgpr7
                                        ; implicit-def: $vgpr8
.LBB2_11:
	s_ashr_i32 s0, s33, 31
	s_lshr_b32 s0, s0, 26
	s_add_i32 s0, s33, s0
	s_andn2_b32 s0, s0, 63
	s_sub_i32 s7, s33, s0
	s_add_i32 s0, s33, -1
	s_ashr_i32 s1, s0, 31
	s_lshr_b32 s1, s1, 26
	s_add_i32 s0, s0, s1
	s_ashr_i32 s0, s0, 6
	s_cmp_eq_u32 s0, s6
	s_cselect_b64 s[0:1], -1, 0
	s_cmp_lg_u32 s7, 0
	s_cselect_b64 s[2:3], -1, 0
	s_and_b64 s[24:25], s[2:3], s[0:1]
	s_cmp_lt_i32 s6, 5
	s_cselect_b64 s[2:3], -1, 0
	s_mov_b64 s[12:13], -1
	s_or_b64 s[0:1], s[2:3], s[24:25]
	v_lshlrev_b32_e32 v4, 6, v0
	s_and_b64 vcc, exec, s[24:25]
	v_cmp_le_u32_e64 s[8:9], v1, v0
	v_lshlrev_b32_e32 v6, 2, v0
	s_cbranch_vccnz .LBB2_27
; %bb.12:
	s_add_u32 s10, s40, 1
	s_addc_u32 s11, s41, 0
	s_lshl_b32 s12, s6, 6
	s_ashr_i32 s13, s12, 31
	s_mul_hi_u32 s14, s10, s12
	s_mul_i32 s13, s10, s13
	s_add_i32 s13, s14, s13
	s_mul_i32 s11, s11, s12
	s_add_i32 s11, s13, s11
	s_mul_i32 s10, s10, s12
	s_lshl_b64 s[10:11], s[10:11], 2
	s_add_u32 s10, s86, s10
	s_addc_u32 s11, s87, s11
	v_lshlrev_b32_e32 v2, 2, v0
	v_mov_b32_e32 v3, s11
	v_add_co_u32_e32 v2, vcc, s10, v2
	v_mov_b32_e32 v5, 0
	v_addc_co_u32_e32 v3, vcc, 0, v3, vcc
	s_mov_b64 s[10:11], 0
	s_and_saveexec_b64 s[12:13], s[8:9]
	s_xor_b64 s[8:9], exec, s[12:13]
	s_cbranch_execnz .LBB2_1149
; %bb.13:
	s_andn2_saveexec_b64 s[8:9], s[8:9]
	s_cbranch_execnz .LBB2_1150
.LBB2_14:
	s_or_b64 exec, exec, s[8:9]
	s_and_saveexec_b64 s[8:9], s[10:11]
.LBB2_15:
	v_add_u32_e32 v11, v1, v4
	v_lshl_add_u32 v12, v1, 6, v0
	v_cndmask_b32_e64 v11, v12, v11, s[2:3]
	v_lshlrev_b32_e32 v11, 2, v11
	ds_write_b32 v11, v5
.LBB2_16:
	s_or_b64 exec, exec, s[8:9]
	v_add_u32_e32 v5, 16, v1
	v_cmp_le_u32_e32 vcc, v5, v0
	s_mov_b64 s[2:3], 0
	s_and_saveexec_b64 s[8:9], vcc
	s_xor_b64 s[8:9], exec, s[8:9]
	s_cbranch_execnz .LBB2_1151
; %bb.17:
	s_or_saveexec_b64 s[8:9], s[8:9]
	v_mov_b32_e32 v11, 0
	s_xor_b64 exec, exec, s[8:9]
	s_cbranch_execnz .LBB2_1152
.LBB2_18:
	s_or_b64 exec, exec, s[8:9]
	s_and_saveexec_b64 s[8:9], s[2:3]
.LBB2_19:
	v_add_u32_e32 v12, v5, v4
	v_lshl_add_u32 v5, v5, 6, v0
	v_cndmask_b32_e64 v5, v5, v12, s[0:1]
	v_lshlrev_b32_e32 v5, 2, v5
	ds_write_b32 v5, v11
.LBB2_20:
	s_or_b64 exec, exec, s[8:9]
	v_add_u32_e32 v5, 32, v1
	v_cmp_le_u32_e32 vcc, v5, v0
	s_mov_b64 s[2:3], 0
	s_and_saveexec_b64 s[8:9], vcc
	s_xor_b64 s[8:9], exec, s[8:9]
	s_cbranch_execnz .LBB2_1153
; %bb.21:
	s_or_saveexec_b64 s[8:9], s[8:9]
	v_mov_b32_e32 v11, 0
	s_xor_b64 exec, exec, s[8:9]
	s_cbranch_execnz .LBB2_1154
.LBB2_22:
	s_or_b64 exec, exec, s[8:9]
	s_and_saveexec_b64 s[8:9], s[2:3]
.LBB2_23:
	v_add_u32_e32 v12, v5, v4
	v_lshl_add_u32 v5, v5, 6, v0
	v_cndmask_b32_e64 v5, v5, v12, s[0:1]
	v_lshlrev_b32_e32 v5, 2, v5
	ds_write_b32 v5, v11
.LBB2_24:
	s_or_b64 exec, exec, s[8:9]
	v_add_u32_e32 v5, 48, v1
	v_add_u32_e32 v11, v5, v4
	v_lshl_add_u32 v12, v5, 6, v0
	v_cmp_le_u32_e32 vcc, v5, v0
	s_mov_b64 s[2:3], -1
	s_mov_b64 s[12:13], 0
	s_mov_b64 s[10:11], 0
	s_and_saveexec_b64 s[8:9], vcc
	s_xor_b64 s[8:9], exec, s[8:9]
; %bb.25:
	v_or_b32_e32 v13, v5, v0
	v_cmp_gt_u32_e32 vcc, 64, v13
	s_and_b64 s[10:11], vcc, exec
	s_xor_b64 s[2:3], exec, -1
; %bb.26:
	s_or_b64 exec, exec, s[8:9]
	v_cndmask_b32_e64 v11, v12, v11, s[0:1]
	s_and_b64 vcc, exec, s[12:13]
	s_cbranch_vccnz .LBB2_28
	s_branch .LBB2_43
.LBB2_27:
	s_mov_b64 s[2:3], 0
	s_mov_b64 s[10:11], 0
                                        ; implicit-def: $vgpr11
                                        ; implicit-def: $vgpr2_vgpr3
                                        ; implicit-def: $vgpr5
	s_and_b64 vcc, exec, s[12:13]
	s_cbranch_vccz .LBB2_43
.LBB2_28:
	s_add_u32 s2, s40, 1
	s_addc_u32 s3, s41, 0
	s_lshl_b32 s8, s6, 6
	s_ashr_i32 s9, s8, 31
	s_mul_hi_u32 s12, s2, s8
	s_mul_i32 s9, s2, s9
	s_add_i32 s9, s12, s9
	s_mul_i32 s3, s3, s8
	s_add_i32 s3, s9, s3
	s_mul_i32 s2, s2, s8
	s_lshl_b64 s[2:3], s[2:3], 2
	s_add_u32 s2, s86, s2
	s_addc_u32 s3, s87, s3
	v_lshlrev_b32_e32 v2, 2, v0
	v_mov_b32_e32 v3, s3
	v_add_co_u32_e64 v2, s[2:3], s2, v2
	v_addc_co_u32_e64 v3, s[2:3], 0, v3, s[2:3]
	v_max_i32_e32 v11, v1, v0
	v_cmp_le_u32_e64 s[2:3], v1, v0
	v_cmp_le_i32_e64 s[8:9], s7, v11
	v_cmp_gt_i32_e32 vcc, s7, v0
	v_mov_b32_e32 v5, 0
	s_or_b64 s[2:3], s[8:9], s[2:3]
	s_mov_b64 s[8:9], 0
	s_and_saveexec_b64 s[12:13], s[2:3]
	s_xor_b64 s[12:13], exec, s[12:13]
	s_cbranch_execnz .LBB2_1155
; %bb.29:
	s_andn2_saveexec_b64 s[12:13], s[12:13]
	s_cbranch_execnz .LBB2_1156
.LBB2_30:
	s_or_b64 exec, exec, s[12:13]
	s_and_saveexec_b64 s[2:3], s[8:9]
.LBB2_31:
	v_lshlrev_b32_e32 v11, 2, v4
	v_lshl_add_u32 v11, v1, 2, v11
	ds_write_b32 v11, v5
.LBB2_32:
	s_or_b64 exec, exec, s[2:3]
	v_add_u32_e32 v5, 16, v1
	v_cmp_gt_u32_e64 s[2:3], v5, v0
	v_cmp_gt_i32_e64 s[8:9], s7, v5
	s_and_b64 s[2:3], s[2:3], s[8:9]
	s_and_b64 s[2:3], s[2:3], vcc
	s_xor_b64 s[2:3], s[2:3], -1
	s_mov_b64 s[8:9], 0
	s_and_saveexec_b64 s[12:13], s[2:3]
	s_xor_b64 s[12:13], exec, s[12:13]
	s_cbranch_execnz .LBB2_1157
; %bb.33:
	s_or_saveexec_b64 s[12:13], s[12:13]
	v_mov_b32_e32 v11, 0
	s_xor_b64 exec, exec, s[12:13]
	s_cbranch_execnz .LBB2_1158
.LBB2_34:
	s_or_b64 exec, exec, s[12:13]
	s_and_saveexec_b64 s[2:3], s[8:9]
.LBB2_35:
	v_add_u32_e32 v12, v5, v4
	v_lshl_add_u32 v5, v5, 6, v0
	v_cndmask_b32_e64 v5, v5, v12, s[0:1]
	v_lshlrev_b32_e32 v5, 2, v5
	ds_write_b32 v5, v11
.LBB2_36:
	s_or_b64 exec, exec, s[2:3]
	v_add_u32_e32 v5, 32, v1
	v_cmp_gt_u32_e64 s[2:3], v5, v0
	v_cmp_gt_i32_e64 s[8:9], s7, v5
	s_and_b64 s[2:3], s[2:3], s[8:9]
	s_and_b64 s[2:3], s[2:3], vcc
	s_xor_b64 s[2:3], s[2:3], -1
	s_mov_b64 s[8:9], 0
	s_and_saveexec_b64 s[12:13], s[2:3]
	s_xor_b64 s[12:13], exec, s[12:13]
	s_cbranch_execnz .LBB2_1159
; %bb.37:
	s_or_saveexec_b64 s[12:13], s[12:13]
	v_mov_b32_e32 v11, 0
	s_xor_b64 exec, exec, s[12:13]
	s_cbranch_execnz .LBB2_1160
.LBB2_38:
	s_or_b64 exec, exec, s[12:13]
	s_and_saveexec_b64 s[2:3], s[8:9]
.LBB2_39:
	v_add_u32_e32 v12, v5, v4
	v_lshl_add_u32 v5, v5, 6, v0
	v_cndmask_b32_e64 v5, v5, v12, s[0:1]
	v_lshlrev_b32_e32 v5, 2, v5
	ds_write_b32 v5, v11
.LBB2_40:
	s_or_b64 exec, exec, s[2:3]
	v_add_u32_e32 v5, 48, v1
	v_cmp_gt_u32_e64 s[2:3], v5, v0
	v_cmp_gt_i32_e64 s[8:9], s7, v5
	s_and_b64 s[2:3], s[2:3], s[8:9]
	s_and_b64 s[8:9], s[2:3], vcc
	v_add_u32_e32 v4, v5, v4
	v_lshl_add_u32 v11, v5, 6, v0
	s_mov_b64 s[2:3], -1
	s_xor_b64 s[12:13], s[8:9], -1
	s_and_saveexec_b64 s[8:9], s[12:13]
; %bb.41:
	v_or_b32_e32 v12, v5, v0
	v_cmp_gt_u32_e32 vcc, 64, v12
	s_andn2_b64 s[2:3], s[10:11], exec
	s_and_b64 s[10:11], vcc, exec
	s_or_b64 s[10:11], s[2:3], s[10:11]
	s_xor_b64 s[2:3], exec, -1
; %bb.42:
	s_or_b64 exec, exec, s[8:9]
	v_cndmask_b32_e64 v11, v11, v4, s[0:1]
.LBB2_43:
	v_mov_b32_e32 v4, 0
	s_and_saveexec_b64 s[8:9], s[2:3]
	s_cbranch_execnz .LBB2_1127
; %bb.44:
	s_or_b64 exec, exec, s[8:9]
	s_xor_b64 s[0:1], s[0:1], -1
	s_and_saveexec_b64 s[2:3], s[10:11]
.LBB2_45:
	v_lshlrev_b32_e32 v2, 2, v11
	ds_write_b32 v2, v4
.LBB2_46:
	s_or_b64 exec, exec, s[2:3]
	v_cndmask_b32_e64 v2, 0, 1, s[0:1]
	v_cmp_ne_u32_e64 s[56:57], 1, v2
	s_andn2_b64 vcc, exec, s[0:1]
	s_waitcnt vmcnt(0) lgkmcnt(0)
	s_barrier
	s_cbranch_vccnz .LBB2_1084
; %bb.47:
	v_or_b32_e32 v2, v0, v1
	v_cmp_eq_u32_e32 vcc, 0, v2
	s_and_saveexec_b64 s[0:1], vcc
	s_cbranch_execz .LBB2_49
; %bb.48:
	v_mov_b32_e32 v4, 0
	ds_read_b32 v3, v4 offset:16376
	v_mov_b32_e32 v2, 1.0
	ds_write_b32 v4, v2 offset:16380
	s_waitcnt lgkmcnt(1)
	ds_write_b64 v4, v[2:3] offset:16120
.LBB2_49:
	s_or_b64 exec, exec, s[0:1]
	v_lshlrev_b32_e32 v3, 6, v1
	v_add_u32_e32 v5, v3, v0
	v_and_b32_e32 v4, v3, v0
	v_xor_b32_e32 v3, v3, v0
	v_lshrrev_b16_e32 v3, 1, v3
	v_add_u16_e32 v4, v4, v3
	v_and_b32_e32 v2, 1, v0
	v_sub_u32_e32 v3, 1, v4
	v_cmp_lt_u32_e64 s[8:9], 3, v5
	v_cmp_gt_u32_e64 s[2:3], 4, v5
	v_mov_b32_e32 v11, 0
	s_waitcnt lgkmcnt(0)
	s_barrier
	buffer_wbinvl1_vol
	s_and_saveexec_b64 s[0:1], s[2:3]
	s_cbranch_execz .LBB2_53
; %bb.50:
	v_lshlrev_b32_e32 v11, 8, v3
	v_lshlrev_b32_e32 v12, 2, v2
	ds_read_b32 v13, v12 offset:16112
	ds_read_b32 v11, v11 offset:16120
	v_mov_b32_e32 v12, 0
	v_cmp_gt_u32_e64 s[10:11], 2, v5
	s_waitcnt lgkmcnt(0)
	v_fma_f32 v11, v13, v11, 0
	s_and_saveexec_b64 s[12:13], s[10:11]
	s_cbranch_execz .LBB2_52
; %bb.51:
	v_lshlrev_b32_e32 v13, 2, v0
	ds_read_b32 v13, v13 offset:16368
	ds_read_b32 v12, v12 offset:16380
	s_waitcnt lgkmcnt(0)
	v_fmac_f32_e32 v11, v13, v12
.LBB2_52:
	s_or_b64 exec, exec, s[12:13]
.LBB2_53:
	s_or_b64 exec, exec, s[0:1]
	v_mov_b32_e32 v12, 0x4000
	v_cmp_ne_u32_e64 s[10:11], 0, v2
	s_xor_b64 s[0:1], s[8:9], -1
	v_lshl_add_u32 v4, v4, 2, v12
	s_and_b64 s[28:29], s[10:11], s[0:1]
	s_and_saveexec_b64 s[8:9], s[28:29]
; %bb.54:
	v_xor_b32_e32 v12, 0x80000000, v11
	ds_write_b32 v4, v12
; %bb.55:
	s_or_b64 exec, exec, s[8:9]
	v_cmp_eq_u32_e64 s[8:9], 0, v2
	s_and_b64 s[26:27], s[8:9], s[0:1]
	s_waitcnt lgkmcnt(0)
	s_barrier
	s_and_saveexec_b64 s[0:1], s[26:27]
	s_cbranch_execz .LBB2_57
; %bb.56:
	v_mov_b32_e32 v12, 0
	ds_read_b32 v12, v12 offset:15856
	ds_read_b32 v13, v4
	s_waitcnt lgkmcnt(0)
	v_fma_f32 v11, -v12, v13, v11
.LBB2_57:
	s_or_b64 exec, exec, s[0:1]
	s_barrier
	s_and_saveexec_b64 s[0:1], s[26:27]
; %bb.58:
	v_xor_b32_e32 v12, 0x80000000, v11
	ds_write_b32 v4, v12
; %bb.59:
	s_or_b64 exec, exec, s[0:1]
	s_waitcnt lgkmcnt(0)
	s_barrier
	s_barrier
	s_and_saveexec_b64 s[0:1], s[2:3]
; %bb.60:
	v_lshlrev_b32_e32 v12, 2, v2
	v_lshl_or_b32 v12, v3, 8, v12
	ds_write_b32 v12, v11 offset:16112
; %bb.61:
	s_or_b64 exec, exec, s[0:1]
	v_cmp_eq_u32_e64 s[12:13], 0, v1
	v_cmp_gt_u32_e64 s[8:9], 2, v0
	s_and_b64 s[30:31], s[12:13], s[8:9]
	s_waitcnt lgkmcnt(0)
	s_barrier
	s_barrier
	s_and_saveexec_b64 s[0:1], s[30:31]
	s_cbranch_execz .LBB2_63
; %bb.62:
	v_lshlrev_b32_e32 v11, 2, v0
	s_movk_i32 s8, 0xfc
	v_mad_u32_u24 v12, v0, s8, v11
	ds_read_b32 v13, v12 offset:16112
	s_waitcnt lgkmcnt(0)
	ds_write_b32 v11, v13 offset:15608
	ds_read_b32 v12, v12 offset:16116
	s_waitcnt lgkmcnt(0)
	ds_write_b32 v11, v12 offset:15864
.LBB2_63:
	s_or_b64 exec, exec, s[0:1]
	s_waitcnt lgkmcnt(0)
	s_barrier
	s_and_saveexec_b64 s[0:1], vcc
	s_cbranch_execz .LBB2_65
; %bb.64:
	v_mov_b32_e32 v13, 0
	ds_read_b32 v12, v13 offset:15856
	v_mov_b32_e32 v11, 1.0
	ds_write_b32 v13, v11 offset:15860
	s_waitcnt lgkmcnt(1)
	ds_write_b64 v13, v[11:12] offset:15600
.LBB2_65:
	s_or_b64 exec, exec, s[0:1]
	v_lshrrev_b32_e32 v13, 2, v5
	v_and_b32_e32 v11, 3, v0
	v_sub_u32_e32 v12, 3, v13
	v_cmp_lt_u32_e64 s[8:9], 15, v5
	v_cmp_gt_u32_e64 s[18:19], 16, v5
	v_mov_b32_e32 v14, 0
	s_waitcnt lgkmcnt(0)
	s_barrier
	buffer_wbinvl1_vol
	s_and_saveexec_b64 s[0:1], s[18:19]
	s_cbranch_execz .LBB2_71
; %bb.66:
	v_lshlrev_b32_e32 v16, 2, v11
	v_lshlrev_b32_e32 v15, 8, v12
	ds_read_b32 v14, v16 offset:15584
	ds_read_b32 v17, v15 offset:15600
	v_cmp_gt_u32_e64 s[10:11], 12, v5
	s_waitcnt lgkmcnt(0)
	v_fma_f32 v14, v14, v17, 0
	s_and_saveexec_b64 s[14:15], s[10:11]
	s_cbranch_execnz .LBB2_1172
; %bb.67:
	s_or_b64 exec, exec, s[14:15]
	v_cmp_gt_u32_e64 s[10:11], 8, v5
	s_and_saveexec_b64 s[14:15], s[10:11]
	s_cbranch_execnz .LBB2_1173
.LBB2_68:
	s_or_b64 exec, exec, s[14:15]
	v_cmp_gt_u32_e64 s[10:11], 4, v5
	s_and_saveexec_b64 s[14:15], s[10:11]
	s_cbranch_execz .LBB2_70
.LBB2_69:
	v_lshlrev_b32_e32 v15, 2, v0
	v_mov_b32_e32 v16, 0
	ds_read_b32 v15, v15 offset:16352
	ds_read_b32 v16, v16 offset:16380
	s_waitcnt lgkmcnt(0)
	v_fmac_f32_e32 v14, v15, v16
.LBB2_70:
	s_or_b64 exec, exec, s[14:15]
.LBB2_71:
                                        ; implicit-def: $vgpr28 : SGPR spill to VGPR lane
	v_writelane_b32 v28, s37, 0
	s_or_b64 exec, exec, s[0:1]
	v_mov_b32_e32 v15, 0x4000
	v_cmp_eq_u32_e64 s[10:11], 3, v11
	s_xor_b64 s[0:1], s[8:9], -1
	v_lshl_add_u32 v13, v13, 2, v15
	s_and_b64 s[36:37], s[10:11], s[0:1]
	s_and_saveexec_b64 s[8:9], s[36:37]
; %bb.72:
	v_xor_b32_e32 v15, 0x80000000, v14
	ds_write_b32 v13, v15
; %bb.73:
	s_or_b64 exec, exec, s[8:9]
	v_cmp_ne_u32_e64 s[8:9], 3, v11
	s_and_b64 s[38:39], s[8:9], s[0:1]
	s_waitcnt lgkmcnt(0)
	s_barrier
	s_and_saveexec_b64 s[8:9], s[38:39]
	s_cbranch_execz .LBB2_75
; %bb.74:
	v_lshlrev_b32_e32 v15, 2, v11
	ds_read_b32 v15, v15 offset:15328
	ds_read_b32 v16, v13
	s_waitcnt lgkmcnt(0)
	v_fma_f32 v14, -v15, v16, v14
.LBB2_75:
	s_or_b64 exec, exec, s[8:9]
	v_cmp_eq_u32_e64 s[8:9], 2, v11
	s_and_b64 s[42:43], s[8:9], s[0:1]
	s_barrier
	s_and_saveexec_b64 s[8:9], s[42:43]
; %bb.76:
	v_xor_b32_e32 v15, 0x80000000, v14
	ds_write_b32 v13, v15
; %bb.77:
	s_or_b64 exec, exec, s[8:9]
	v_cmp_gt_u32_e64 s[8:9], 2, v11
	s_and_b64 s[44:45], s[8:9], s[0:1]
	s_waitcnt lgkmcnt(0)
	s_barrier
	s_and_saveexec_b64 s[8:9], s[44:45]
	s_cbranch_execz .LBB2_79
; %bb.78:
	v_lshlrev_b32_e32 v15, 2, v11
	ds_read_b32 v15, v15 offset:15072
	ds_read_b32 v16, v13
	s_waitcnt lgkmcnt(0)
	v_fma_f32 v14, -v15, v16, v14
.LBB2_79:
	s_or_b64 exec, exec, s[8:9]
	v_cmp_eq_u32_e64 s[8:9], 1, v11
	s_and_b64 s[52:53], s[8:9], s[0:1]
	s_barrier
	s_and_saveexec_b64 s[8:9], s[52:53]
; %bb.80:
	v_xor_b32_e32 v15, 0x80000000, v14
	ds_write_b32 v13, v15
; %bb.81:
	s_or_b64 exec, exec, s[8:9]
	v_cmp_eq_u32_e64 s[8:9], 0, v11
	s_and_b64 s[34:35], s[8:9], s[0:1]
	s_waitcnt lgkmcnt(0)
	s_barrier
	s_and_saveexec_b64 s[0:1], s[34:35]
	s_cbranch_execz .LBB2_83
; %bb.82:
	v_mov_b32_e32 v15, 0
	ds_read_b32 v15, v15 offset:14816
	ds_read_b32 v16, v13
	s_waitcnt lgkmcnt(0)
	v_fma_f32 v14, -v15, v16, v14
.LBB2_83:
	s_or_b64 exec, exec, s[0:1]
	s_barrier
	s_and_saveexec_b64 s[0:1], s[34:35]
; %bb.84:
	v_xor_b32_e32 v15, 0x80000000, v14
	ds_write_b32 v13, v15
; %bb.85:
	s_or_b64 exec, exec, s[0:1]
	s_waitcnt lgkmcnt(0)
	s_barrier
	s_barrier
	s_and_saveexec_b64 s[0:1], s[18:19]
; %bb.86:
	v_lshlrev_b32_e32 v15, 2, v11
	v_lshl_or_b32 v15, v12, 8, v15
	ds_write_b32 v15, v14 offset:15584
; %bb.87:
	s_or_b64 exec, exec, s[0:1]
	v_cmp_gt_u32_e64 s[8:9], 4, v0
	s_and_b64 s[54:55], s[12:13], s[8:9]
	s_waitcnt lgkmcnt(0)
	s_barrier
	s_barrier
	s_and_saveexec_b64 s[0:1], s[54:55]
	s_cbranch_execz .LBB2_89
; %bb.88:
	v_lshlrev_b32_e32 v14, 8, v0
	ds_read_b32 v15, v14 offset:15584
	s_movk_i32 s8, 0xff04
	v_mad_i32_i24 v16, v0, s8, v14
	s_waitcnt lgkmcnt(0)
	ds_write_b32 v16, v15 offset:14576
	ds_read_b32 v15, v14 offset:15588
	s_waitcnt lgkmcnt(0)
	ds_write_b32 v16, v15 offset:14832
	ds_read_b32 v15, v14 offset:15592
	;; [unrolled: 3-line block ×3, first 2 shown]
	s_waitcnt lgkmcnt(0)
	ds_write_b32 v16, v14 offset:15344
.LBB2_89:
	s_or_b64 exec, exec, s[0:1]
	s_waitcnt lgkmcnt(0)
	s_barrier
	s_and_saveexec_b64 s[0:1], vcc
	s_cbranch_execz .LBB2_91
; %bb.90:
	v_mov_b32_e32 v16, 0
	ds_read_b32 v15, v16 offset:15336
	v_mov_b32_e32 v14, 1.0
	ds_write_b32 v16, v14 offset:15340
	s_waitcnt lgkmcnt(1)
	ds_write_b64 v16, v[14:15] offset:15080
.LBB2_91:
	s_or_b64 exec, exec, s[0:1]
	v_mov_b32_e32 v14, 0
	s_waitcnt lgkmcnt(0)
	s_barrier
	buffer_wbinvl1_vol
	s_and_saveexec_b64 s[0:1], s[2:3]
	s_cbranch_execz .LBB2_95
; %bb.92:
	v_lshlrev_b32_e32 v14, 8, v3
	v_lshlrev_b32_e32 v15, 2, v2
	ds_read_b32 v16, v15 offset:15072
	ds_read_b32 v14, v14 offset:15080
	v_mov_b32_e32 v15, 0
	v_cmp_gt_u32_e64 s[8:9], 2, v5
	s_waitcnt lgkmcnt(0)
	v_fma_f32 v14, v16, v14, 0
	s_and_saveexec_b64 s[10:11], s[8:9]
	s_cbranch_execz .LBB2_94
; %bb.93:
	v_lshlrev_b32_e32 v16, 2, v0
	ds_read_b32 v16, v16 offset:15328
	ds_read_b32 v15, v15 offset:15340
	s_waitcnt lgkmcnt(0)
	v_fmac_f32_e32 v14, v16, v15
.LBB2_94:
	s_or_b64 exec, exec, s[10:11]
.LBB2_95:
	s_or_b64 exec, exec, s[0:1]
	s_and_saveexec_b64 s[0:1], s[28:29]
; %bb.96:
	v_xor_b32_e32 v15, 0x80000000, v14
	ds_write_b32 v4, v15
; %bb.97:
	s_or_b64 exec, exec, s[0:1]
	s_waitcnt lgkmcnt(0)
	s_barrier
	s_and_saveexec_b64 s[0:1], s[26:27]
	s_cbranch_execz .LBB2_99
; %bb.98:
	v_mov_b32_e32 v15, 0
	ds_read_b32 v15, v15 offset:14816
	ds_read_b32 v16, v4
	s_waitcnt lgkmcnt(0)
	v_fma_f32 v14, -v15, v16, v14
.LBB2_99:
	s_or_b64 exec, exec, s[0:1]
	s_barrier
	s_and_saveexec_b64 s[0:1], s[26:27]
; %bb.100:
	v_xor_b32_e32 v15, 0x80000000, v14
	ds_write_b32 v4, v15
; %bb.101:
	s_or_b64 exec, exec, s[0:1]
	s_waitcnt lgkmcnt(0)
	s_barrier
	s_barrier
	s_and_saveexec_b64 s[0:1], s[2:3]
; %bb.102:
	v_lshlrev_b32_e32 v15, 2, v2
	v_lshl_or_b32 v15, v3, 8, v15
	ds_write_b32 v15, v14 offset:15072
; %bb.103:
	s_or_b64 exec, exec, s[0:1]
	s_waitcnt lgkmcnt(0)
	s_barrier
	s_barrier
	s_and_saveexec_b64 s[0:1], s[30:31]
	s_cbranch_execz .LBB2_105
; %bb.104:
	v_lshlrev_b32_e32 v14, 2, v0
	s_movk_i32 s8, 0xfc
	v_mad_u32_u24 v15, v0, s8, v14
	ds_read_b32 v16, v15 offset:15072
	s_waitcnt lgkmcnt(0)
	ds_write_b32 v14, v16 offset:14568
	ds_read_b32 v15, v15 offset:15076
	s_waitcnt lgkmcnt(0)
	ds_write_b32 v14, v15 offset:14824
.LBB2_105:
	s_or_b64 exec, exec, s[0:1]
	s_waitcnt lgkmcnt(0)
	s_barrier
	s_and_saveexec_b64 s[0:1], vcc
	s_cbranch_execz .LBB2_107
; %bb.106:
	v_mov_b32_e32 v16, 0
	ds_read_b32 v15, v16 offset:14816
	v_mov_b32_e32 v14, 1.0
	ds_write_b32 v16, v14 offset:14820
	s_waitcnt lgkmcnt(1)
	ds_write_b64 v16, v[14:15] offset:14560
.LBB2_107:
	s_or_b64 exec, exec, s[0:1]
	v_lshrrev_b32_e32 v16, 3, v5
	v_and_b32_e32 v14, 7, v0
	v_sub_u32_e32 v15, 7, v16
	v_cmp_lt_u32_e64 s[10:11], 63, v5
	v_cmp_gt_u32_e64 s[8:9], 64, v5
	v_mov_b32_e32 v17, 0
	s_waitcnt lgkmcnt(0)
	s_barrier
	buffer_wbinvl1_vol
	s_and_saveexec_b64 s[0:1], s[8:9]
	s_cbranch_execz .LBB2_117
; %bb.108:
	v_lshlrev_b32_e32 v19, 2, v14
	v_lshlrev_b32_e32 v18, 8, v15
	ds_read_b32 v17, v19 offset:14528
	ds_read_b32 v20, v18 offset:14560
	v_cmp_gt_u32_e64 s[14:15], 56, v5
	s_waitcnt lgkmcnt(0)
	v_fma_f32 v17, v17, v20, 0
	s_and_saveexec_b64 s[16:17], s[14:15]
	s_cbranch_execnz .LBB2_1174
; %bb.109:
	s_or_b64 exec, exec, s[16:17]
	v_cmp_gt_u32_e64 s[14:15], 48, v5
	s_and_saveexec_b64 s[16:17], s[14:15]
	s_cbranch_execnz .LBB2_1175
.LBB2_110:
	s_or_b64 exec, exec, s[16:17]
	v_cmp_gt_u32_e64 s[14:15], 40, v5
	s_and_saveexec_b64 s[16:17], s[14:15]
	s_cbranch_execnz .LBB2_1176
.LBB2_111:
	s_or_b64 exec, exec, s[16:17]
	v_cmp_gt_u32_e64 s[14:15], 32, v5
	s_and_saveexec_b64 s[16:17], s[14:15]
	s_cbranch_execnz .LBB2_1177
.LBB2_112:
	s_or_b64 exec, exec, s[16:17]
	v_cmp_gt_u32_e64 s[14:15], 24, v5
	s_and_saveexec_b64 s[16:17], s[14:15]
	s_cbranch_execnz .LBB2_1178
.LBB2_113:
	s_or_b64 exec, exec, s[16:17]
	s_and_saveexec_b64 s[14:15], s[18:19]
	s_cbranch_execnz .LBB2_1179
.LBB2_114:
	s_or_b64 exec, exec, s[14:15]
	v_cmp_gt_u32_e64 s[14:15], 8, v5
	s_and_saveexec_b64 s[16:17], s[14:15]
	s_cbranch_execz .LBB2_116
.LBB2_115:
	v_lshlrev_b32_e32 v18, 2, v0
	v_mov_b32_e32 v19, 0
	ds_read_b32 v18, v18 offset:16320
	ds_read_b32 v19, v19 offset:16380
	s_waitcnt lgkmcnt(0)
	v_fmac_f32_e32 v17, v18, v19
.LBB2_116:
	s_or_b64 exec, exec, s[16:17]
.LBB2_117:
	v_writelane_b32 v28, s56, 1
	v_writelane_b32 v28, s57, 2
	s_or_b64 exec, exec, s[0:1]
	v_mov_b32_e32 v18, 0x4000
	v_cmp_eq_u32_e64 s[14:15], 7, v14
	s_xor_b64 s[0:1], s[10:11], -1
	v_lshl_add_u32 v16, v16, 2, v18
	s_and_b64 s[56:57], s[14:15], s[0:1]
	s_and_saveexec_b64 s[10:11], s[56:57]
; %bb.118:
	v_xor_b32_e32 v18, 0x80000000, v17
	ds_write_b32 v16, v18
; %bb.119:
	s_or_b64 exec, exec, s[10:11]
	v_cmp_ne_u32_e64 s[10:11], 7, v14
	s_and_b64 s[58:59], s[10:11], s[0:1]
	s_waitcnt lgkmcnt(0)
	s_barrier
	s_and_saveexec_b64 s[10:11], s[58:59]
	s_cbranch_execz .LBB2_121
; %bb.120:
	v_lshlrev_b32_e32 v18, 2, v14
	ds_read_b32 v18, v18 offset:14272
	ds_read_b32 v19, v16
	s_waitcnt lgkmcnt(0)
	v_fma_f32 v17, -v18, v19, v17
.LBB2_121:
	s_or_b64 exec, exec, s[10:11]
	v_cmp_eq_u32_e64 s[10:11], 6, v14
	s_and_b64 s[60:61], s[10:11], s[0:1]
	s_barrier
	s_and_saveexec_b64 s[10:11], s[60:61]
; %bb.122:
	v_xor_b32_e32 v18, 0x80000000, v17
	ds_write_b32 v16, v18
; %bb.123:
	s_or_b64 exec, exec, s[10:11]
	v_cmp_gt_u32_e64 s[10:11], 6, v14
	s_and_b64 s[62:63], s[10:11], s[0:1]
	s_waitcnt lgkmcnt(0)
	s_barrier
	s_and_saveexec_b64 s[10:11], s[62:63]
	s_cbranch_execz .LBB2_125
; %bb.124:
	v_lshlrev_b32_e32 v18, 2, v14
	ds_read_b32 v18, v18 offset:14016
	ds_read_b32 v19, v16
	s_waitcnt lgkmcnt(0)
	v_fma_f32 v17, -v18, v19, v17
.LBB2_125:
	s_or_b64 exec, exec, s[10:11]
	v_cmp_eq_u32_e64 s[10:11], 5, v14
	s_and_b64 s[64:65], s[10:11], s[0:1]
	s_barrier
	s_and_saveexec_b64 s[10:11], s[64:65]
; %bb.126:
	v_xor_b32_e32 v18, 0x80000000, v17
	ds_write_b32 v16, v18
; %bb.127:
	s_or_b64 exec, exec, s[10:11]
	v_cmp_gt_u32_e64 s[10:11], 5, v14
	;; [unrolled: 23-line block ×5, first 2 shown]
	s_and_b64 s[80:81], s[10:11], s[0:1]
	s_waitcnt lgkmcnt(0)
	s_barrier
	s_and_saveexec_b64 s[10:11], s[80:81]
	s_cbranch_execz .LBB2_141
; %bb.140:
	v_lshlrev_b32_e32 v18, 2, v14
	ds_read_b32 v18, v18 offset:12992
	ds_read_b32 v19, v16
	s_waitcnt lgkmcnt(0)
	v_fma_f32 v17, -v18, v19, v17
.LBB2_141:
	s_or_b64 exec, exec, s[10:11]
	v_cmp_eq_u32_e64 s[10:11], 1, v14
	s_and_b64 s[82:83], s[10:11], s[0:1]
	s_barrier
	s_and_saveexec_b64 s[10:11], s[82:83]
; %bb.142:
	v_xor_b32_e32 v18, 0x80000000, v17
	ds_write_b32 v16, v18
; %bb.143:
	s_or_b64 exec, exec, s[10:11]
	v_cmp_eq_u32_e64 s[10:11], 0, v14
	s_and_b64 s[66:67], s[10:11], s[0:1]
	s_waitcnt lgkmcnt(0)
	s_barrier
	s_and_saveexec_b64 s[0:1], s[66:67]
	s_cbranch_execz .LBB2_145
; %bb.144:
	v_mov_b32_e32 v18, 0
	ds_read_b32 v18, v18 offset:12736
	ds_read_b32 v19, v16
	s_waitcnt lgkmcnt(0)
	v_fma_f32 v17, -v18, v19, v17
.LBB2_145:
	s_or_b64 exec, exec, s[0:1]
	s_barrier
	s_and_saveexec_b64 s[0:1], s[66:67]
; %bb.146:
	v_xor_b32_e32 v18, 0x80000000, v17
	ds_write_b32 v16, v18
; %bb.147:
	s_or_b64 exec, exec, s[0:1]
	s_waitcnt lgkmcnt(0)
	s_barrier
	s_barrier
	s_and_saveexec_b64 s[0:1], s[8:9]
; %bb.148:
	v_lshlrev_b32_e32 v18, 2, v14
	v_lshl_or_b32 v18, v15, 8, v18
	ds_write_b32 v18, v17 offset:14528
; %bb.149:
	s_or_b64 exec, exec, s[0:1]
	v_cmp_gt_u32_e64 s[10:11], 8, v0
	s_and_b64 s[84:85], s[12:13], s[10:11]
	s_waitcnt lgkmcnt(0)
	s_barrier
	s_barrier
	s_and_saveexec_b64 s[0:1], s[84:85]
	s_cbranch_execz .LBB2_151
; %bb.150:
	v_lshlrev_b32_e32 v17, 8, v0
	ds_read_b32 v18, v17 offset:14528
	s_movk_i32 s10, 0xff04
	v_mad_i32_i24 v19, v0, s10, v17
	s_waitcnt lgkmcnt(0)
	ds_write_b32 v19, v18 offset:12512
	ds_read_b32 v18, v17 offset:14532
	s_waitcnt lgkmcnt(0)
	ds_write_b32 v19, v18 offset:12768
	ds_read_b32 v18, v17 offset:14536
	;; [unrolled: 3-line block ×7, first 2 shown]
	s_waitcnt lgkmcnt(0)
	ds_write_b32 v19, v17 offset:14304
.LBB2_151:
	s_or_b64 exec, exec, s[0:1]
	s_waitcnt lgkmcnt(0)
	s_barrier
	s_and_saveexec_b64 s[0:1], vcc
	s_cbranch_execz .LBB2_153
; %bb.152:
	v_mov_b32_e32 v19, 0
	ds_read_b32 v18, v19 offset:14296
	v_mov_b32_e32 v17, 1.0
	ds_write_b32 v19, v17 offset:14300
	s_waitcnt lgkmcnt(1)
	ds_write_b64 v19, v[17:18] offset:14040
.LBB2_153:
	s_or_b64 exec, exec, s[0:1]
	v_mov_b32_e32 v17, 0
	s_waitcnt lgkmcnt(0)
	s_barrier
	buffer_wbinvl1_vol
	s_and_saveexec_b64 s[0:1], s[2:3]
	s_cbranch_execz .LBB2_157
; %bb.154:
	v_lshlrev_b32_e32 v17, 8, v3
	v_lshlrev_b32_e32 v18, 2, v2
	ds_read_b32 v19, v18 offset:14032
	ds_read_b32 v17, v17 offset:14040
	v_mov_b32_e32 v18, 0
	v_cmp_gt_u32_e64 s[10:11], 2, v5
	s_waitcnt lgkmcnt(0)
	v_fma_f32 v17, v19, v17, 0
	s_and_saveexec_b64 s[14:15], s[10:11]
	s_cbranch_execz .LBB2_156
; %bb.155:
	v_lshlrev_b32_e32 v19, 2, v0
	ds_read_b32 v19, v19 offset:14288
	ds_read_b32 v18, v18 offset:14300
	s_waitcnt lgkmcnt(0)
	v_fmac_f32_e32 v17, v19, v18
.LBB2_156:
	s_or_b64 exec, exec, s[14:15]
.LBB2_157:
	s_or_b64 exec, exec, s[0:1]
	s_and_saveexec_b64 s[0:1], s[28:29]
; %bb.158:
	v_xor_b32_e32 v18, 0x80000000, v17
	ds_write_b32 v4, v18
; %bb.159:
	s_or_b64 exec, exec, s[0:1]
	s_waitcnt lgkmcnt(0)
	s_barrier
	s_and_saveexec_b64 s[0:1], s[26:27]
	s_cbranch_execz .LBB2_161
; %bb.160:
	v_mov_b32_e32 v18, 0
	ds_read_b32 v18, v18 offset:13776
	ds_read_b32 v19, v4
	s_waitcnt lgkmcnt(0)
	v_fma_f32 v17, -v18, v19, v17
.LBB2_161:
	s_or_b64 exec, exec, s[0:1]
	s_barrier
	s_and_saveexec_b64 s[0:1], s[26:27]
; %bb.162:
	v_xor_b32_e32 v18, 0x80000000, v17
	ds_write_b32 v4, v18
; %bb.163:
	s_or_b64 exec, exec, s[0:1]
	s_waitcnt lgkmcnt(0)
	s_barrier
	s_barrier
	s_and_saveexec_b64 s[0:1], s[2:3]
; %bb.164:
	v_lshlrev_b32_e32 v18, 2, v2
	v_lshl_or_b32 v18, v3, 8, v18
	ds_write_b32 v18, v17 offset:14032
; %bb.165:
	s_or_b64 exec, exec, s[0:1]
	s_waitcnt lgkmcnt(0)
	s_barrier
	s_barrier
	s_and_saveexec_b64 s[0:1], s[30:31]
	s_cbranch_execz .LBB2_167
; %bb.166:
	v_lshlrev_b32_e32 v17, 2, v0
	s_movk_i32 s10, 0xfc
	v_mad_u32_u24 v18, v0, s10, v17
	ds_read_b32 v19, v18 offset:14032
	s_waitcnt lgkmcnt(0)
	ds_write_b32 v17, v19 offset:13528
	ds_read_b32 v18, v18 offset:14036
	s_waitcnt lgkmcnt(0)
	ds_write_b32 v17, v18 offset:13784
.LBB2_167:
	s_or_b64 exec, exec, s[0:1]
	s_waitcnt lgkmcnt(0)
	s_barrier
	s_and_saveexec_b64 s[0:1], vcc
	s_cbranch_execz .LBB2_169
; %bb.168:
	v_mov_b32_e32 v19, 0
	ds_read_b32 v18, v19 offset:13776
	v_mov_b32_e32 v17, 1.0
	ds_write_b32 v19, v17 offset:13780
	s_waitcnt lgkmcnt(1)
	ds_write_b64 v19, v[17:18] offset:13520
.LBB2_169:
	s_or_b64 exec, exec, s[0:1]
	v_mov_b32_e32 v17, 0
	s_waitcnt lgkmcnt(0)
	s_barrier
	buffer_wbinvl1_vol
	s_and_saveexec_b64 s[0:1], s[18:19]
	s_cbranch_execz .LBB2_175
; %bb.170:
	v_lshlrev_b32_e32 v19, 2, v11
	v_lshlrev_b32_e32 v18, 8, v12
	ds_read_b32 v17, v19 offset:13504
	ds_read_b32 v20, v18 offset:13520
	v_cmp_gt_u32_e64 s[10:11], 12, v5
	s_waitcnt lgkmcnt(0)
	v_fma_f32 v17, v17, v20, 0
	s_and_saveexec_b64 s[14:15], s[10:11]
	s_cbranch_execnz .LBB2_1180
; %bb.171:
	s_or_b64 exec, exec, s[14:15]
	v_cmp_gt_u32_e64 s[10:11], 8, v5
	s_and_saveexec_b64 s[14:15], s[10:11]
	s_cbranch_execnz .LBB2_1181
.LBB2_172:
	s_or_b64 exec, exec, s[14:15]
	v_cmp_gt_u32_e64 s[10:11], 4, v5
	s_and_saveexec_b64 s[14:15], s[10:11]
	s_cbranch_execz .LBB2_174
.LBB2_173:
	v_lshlrev_b32_e32 v18, 2, v0
	v_mov_b32_e32 v19, 0
	ds_read_b32 v18, v18 offset:14272
	ds_read_b32 v19, v19 offset:14300
	s_waitcnt lgkmcnt(0)
	v_fmac_f32_e32 v17, v18, v19
.LBB2_174:
	s_or_b64 exec, exec, s[14:15]
.LBB2_175:
	s_or_b64 exec, exec, s[0:1]
	s_and_saveexec_b64 s[0:1], s[36:37]
; %bb.176:
	v_xor_b32_e32 v18, 0x80000000, v17
	ds_write_b32 v13, v18
; %bb.177:
	s_or_b64 exec, exec, s[0:1]
	s_waitcnt lgkmcnt(0)
	s_barrier
	s_and_saveexec_b64 s[0:1], s[38:39]
	s_cbranch_execz .LBB2_179
; %bb.178:
	v_lshlrev_b32_e32 v18, 2, v11
	ds_read_b32 v18, v18 offset:13248
	ds_read_b32 v19, v13
	s_waitcnt lgkmcnt(0)
	v_fma_f32 v17, -v18, v19, v17
.LBB2_179:
	s_or_b64 exec, exec, s[0:1]
	s_barrier
	s_and_saveexec_b64 s[0:1], s[42:43]
; %bb.180:
	v_xor_b32_e32 v18, 0x80000000, v17
	ds_write_b32 v13, v18
; %bb.181:
	s_or_b64 exec, exec, s[0:1]
	s_waitcnt lgkmcnt(0)
	s_barrier
	s_and_saveexec_b64 s[0:1], s[44:45]
	s_cbranch_execz .LBB2_183
; %bb.182:
	v_lshlrev_b32_e32 v18, 2, v11
	ds_read_b32 v18, v18 offset:12992
	ds_read_b32 v19, v13
	s_waitcnt lgkmcnt(0)
	v_fma_f32 v17, -v18, v19, v17
.LBB2_183:
	s_or_b64 exec, exec, s[0:1]
	s_barrier
	s_and_saveexec_b64 s[0:1], s[52:53]
; %bb.184:
	v_xor_b32_e32 v18, 0x80000000, v17
	ds_write_b32 v13, v18
; %bb.185:
	s_or_b64 exec, exec, s[0:1]
	s_waitcnt lgkmcnt(0)
	s_barrier
	s_and_saveexec_b64 s[0:1], s[34:35]
	s_cbranch_execz .LBB2_187
; %bb.186:
	v_mov_b32_e32 v18, 0
	ds_read_b32 v18, v18 offset:12736
	ds_read_b32 v19, v13
	s_waitcnt lgkmcnt(0)
	v_fma_f32 v17, -v18, v19, v17
.LBB2_187:
	s_or_b64 exec, exec, s[0:1]
	s_barrier
	s_and_saveexec_b64 s[0:1], s[34:35]
; %bb.188:
	v_xor_b32_e32 v18, 0x80000000, v17
	ds_write_b32 v13, v18
; %bb.189:
	s_or_b64 exec, exec, s[0:1]
	s_waitcnt lgkmcnt(0)
	s_barrier
	s_barrier
	s_and_saveexec_b64 s[0:1], s[18:19]
; %bb.190:
	v_lshlrev_b32_e32 v18, 2, v11
	v_lshl_or_b32 v18, v12, 8, v18
	ds_write_b32 v18, v17 offset:13504
; %bb.191:
	s_or_b64 exec, exec, s[0:1]
	s_waitcnt lgkmcnt(0)
	s_barrier
	s_barrier
	s_and_saveexec_b64 s[0:1], s[54:55]
	s_cbranch_execz .LBB2_193
; %bb.192:
	v_lshlrev_b32_e32 v17, 8, v0
	ds_read_b32 v18, v17 offset:13504
	s_movk_i32 s10, 0xff04
	v_mad_i32_i24 v19, v0, s10, v17
	s_waitcnt lgkmcnt(0)
	ds_write_b32 v19, v18 offset:12496
	ds_read_b32 v18, v17 offset:13508
	s_waitcnt lgkmcnt(0)
	ds_write_b32 v19, v18 offset:12752
	ds_read_b32 v18, v17 offset:13512
	;; [unrolled: 3-line block ×3, first 2 shown]
	s_waitcnt lgkmcnt(0)
	ds_write_b32 v19, v17 offset:13264
.LBB2_193:
	s_or_b64 exec, exec, s[0:1]
	s_waitcnt lgkmcnt(0)
	s_barrier
	s_and_saveexec_b64 s[0:1], vcc
	s_cbranch_execz .LBB2_195
; %bb.194:
	v_mov_b32_e32 v19, 0
	ds_read_b32 v18, v19 offset:13256
	v_mov_b32_e32 v17, 1.0
	ds_write_b32 v19, v17 offset:13260
	s_waitcnt lgkmcnt(1)
	ds_write_b64 v19, v[17:18] offset:13000
.LBB2_195:
	s_or_b64 exec, exec, s[0:1]
	v_mov_b32_e32 v17, 0
	s_waitcnt lgkmcnt(0)
	s_barrier
	buffer_wbinvl1_vol
	s_and_saveexec_b64 s[0:1], s[2:3]
	s_cbranch_execz .LBB2_199
; %bb.196:
	v_lshlrev_b32_e32 v17, 8, v3
	v_lshlrev_b32_e32 v18, 2, v2
	ds_read_b32 v19, v18 offset:12992
	ds_read_b32 v17, v17 offset:13000
	v_mov_b32_e32 v18, 0
	v_cmp_gt_u32_e64 s[10:11], 2, v5
	s_waitcnt lgkmcnt(0)
	v_fma_f32 v17, v19, v17, 0
	s_and_saveexec_b64 s[14:15], s[10:11]
	s_cbranch_execz .LBB2_198
; %bb.197:
	v_lshlrev_b32_e32 v19, 2, v0
	ds_read_b32 v19, v19 offset:13248
	ds_read_b32 v18, v18 offset:13260
	s_waitcnt lgkmcnt(0)
	v_fmac_f32_e32 v17, v19, v18
.LBB2_198:
	s_or_b64 exec, exec, s[14:15]
.LBB2_199:
	s_or_b64 exec, exec, s[0:1]
	s_and_saveexec_b64 s[0:1], s[28:29]
; %bb.200:
	v_xor_b32_e32 v18, 0x80000000, v17
	ds_write_b32 v4, v18
; %bb.201:
	s_or_b64 exec, exec, s[0:1]
	s_waitcnt lgkmcnt(0)
	s_barrier
	s_and_saveexec_b64 s[0:1], s[26:27]
	s_cbranch_execz .LBB2_203
; %bb.202:
	v_mov_b32_e32 v18, 0
	ds_read_b32 v18, v18 offset:12736
	ds_read_b32 v19, v4
	s_waitcnt lgkmcnt(0)
	v_fma_f32 v17, -v18, v19, v17
.LBB2_203:
	s_or_b64 exec, exec, s[0:1]
	s_barrier
	s_and_saveexec_b64 s[0:1], s[26:27]
; %bb.204:
	v_xor_b32_e32 v18, 0x80000000, v17
	ds_write_b32 v4, v18
; %bb.205:
	s_or_b64 exec, exec, s[0:1]
	s_waitcnt lgkmcnt(0)
	s_barrier
	s_barrier
	s_and_saveexec_b64 s[0:1], s[2:3]
; %bb.206:
	v_lshlrev_b32_e32 v18, 2, v2
	v_lshl_or_b32 v18, v3, 8, v18
	ds_write_b32 v18, v17 offset:12992
; %bb.207:
	s_or_b64 exec, exec, s[0:1]
	s_waitcnt lgkmcnt(0)
	s_barrier
	s_barrier
	s_and_saveexec_b64 s[0:1], s[30:31]
	s_cbranch_execz .LBB2_209
; %bb.208:
	v_lshlrev_b32_e32 v17, 2, v0
	s_movk_i32 s10, 0xfc
	v_mad_u32_u24 v18, v0, s10, v17
	ds_read_b32 v19, v18 offset:12992
	s_waitcnt lgkmcnt(0)
	ds_write_b32 v17, v19 offset:12488
	ds_read_b32 v18, v18 offset:12996
	s_waitcnt lgkmcnt(0)
	ds_write_b32 v17, v18 offset:12744
.LBB2_209:
	s_or_b64 exec, exec, s[0:1]
	s_waitcnt lgkmcnt(0)
	s_barrier
	s_and_saveexec_b64 s[0:1], vcc
	s_cbranch_execz .LBB2_211
; %bb.210:
	v_mov_b32_e32 v19, 0
	ds_read_b32 v18, v19 offset:12736
	v_mov_b32_e32 v17, 1.0
	ds_write_b32 v19, v17 offset:12740
	s_waitcnt lgkmcnt(1)
	ds_write_b64 v19, v[17:18] offset:12480
.LBB2_211:
	s_or_b64 exec, exec, s[0:1]
	s_movk_i32 s0, 0xff
	v_lshrrev_b32_e32 v19, 4, v5
	v_cmp_lt_u32_e64 s[14:15], s0, v5
	s_movk_i32 s0, 0x100
	v_and_b32_e32 v17, 15, v0
	v_sub_u32_e32 v18, 15, v19
	v_cmp_gt_u32_e64 s[10:11], s0, v5
	v_mov_b32_e32 v20, 0
	s_waitcnt lgkmcnt(0)
	s_barrier
	buffer_wbinvl1_vol
	s_and_saveexec_b64 s[0:1], s[10:11]
	s_cbranch_execz .LBB2_239
; %bb.212:
	v_lshlrev_b32_e32 v22, 2, v17
	v_lshlrev_b32_e32 v21, 8, v18
	ds_read_b32 v20, v22 offset:12416
	ds_read_b32 v23, v21 offset:12480
	s_movk_i32 s16, 0xf0
	v_cmp_gt_u32_e64 s[16:17], s16, v5
	s_waitcnt lgkmcnt(0)
	v_fma_f32 v20, v20, v23, 0
	s_and_saveexec_b64 s[20:21], s[16:17]
	s_cbranch_execz .LBB2_214
; %bb.213:
	ds_read_b32 v23, v22 offset:12672
	ds_read_b32 v24, v21 offset:12484
	s_waitcnt lgkmcnt(0)
	v_fmac_f32_e32 v20, v23, v24
.LBB2_214:
	s_or_b64 exec, exec, s[20:21]
	s_movk_i32 s16, 0xe0
	v_cmp_gt_u32_e64 s[16:17], s16, v5
	s_and_saveexec_b64 s[20:21], s[16:17]
	s_cbranch_execz .LBB2_216
; %bb.215:
	ds_read_b32 v23, v22 offset:12928
	ds_read_b32 v24, v21 offset:12488
	s_waitcnt lgkmcnt(0)
	v_fmac_f32_e32 v20, v23, v24
.LBB2_216:
	s_or_b64 exec, exec, s[20:21]
	s_movk_i32 s16, 0xd0
	v_cmp_gt_u32_e64 s[16:17], s16, v5
	;; [unrolled: 11-line block ×10, first 2 shown]
	s_and_saveexec_b64 s[20:21], s[16:17]
	s_cbranch_execnz .LBB2_1182
; %bb.233:
	s_or_b64 exec, exec, s[20:21]
	s_and_saveexec_b64 s[16:17], s[8:9]
	s_cbranch_execnz .LBB2_1183
.LBB2_234:
	s_or_b64 exec, exec, s[16:17]
	v_cmp_gt_u32_e64 s[16:17], 48, v5
	s_and_saveexec_b64 s[20:21], s[16:17]
	s_cbranch_execnz .LBB2_1184
.LBB2_235:
	s_or_b64 exec, exec, s[20:21]
	v_cmp_gt_u32_e64 s[16:17], 32, v5
	s_and_saveexec_b64 s[20:21], s[16:17]
	s_cbranch_execnz .LBB2_1185
.LBB2_236:
	s_or_b64 exec, exec, s[20:21]
	v_cmp_gt_u32_e64 s[16:17], 16, v5
	s_and_saveexec_b64 s[20:21], s[16:17]
	s_cbranch_execz .LBB2_238
.LBB2_237:
	v_lshlrev_b32_e32 v21, 2, v0
	v_mov_b32_e32 v22, 0
	ds_read_b32 v21, v21 offset:16256
	ds_read_b32 v22, v22 offset:16380
	s_waitcnt lgkmcnt(0)
	v_fmac_f32_e32 v20, v21, v22
.LBB2_238:
	s_or_b64 exec, exec, s[20:21]
.LBB2_239:
	s_or_b64 exec, exec, s[0:1]
	v_mov_b32_e32 v21, 0x4000
	v_lshl_add_u32 v19, v19, 2, v21
	v_cmp_eq_u32_e64 s[16:17], 15, v17
	s_xor_b64 s[20:21], s[14:15], -1
	s_and_b64 s[14:15], s[16:17], s[20:21]
	s_mov_b64 s[0:1], exec
	v_writelane_b32 v28, s14, 3
	v_writelane_b32 v28, s15, 4
	s_and_b64 s[14:15], s[0:1], s[14:15]
	s_mov_b64 exec, s[14:15]
; %bb.240:
	v_xor_b32_e32 v21, 0x80000000, v20
	ds_write_b32 v19, v21
; %bb.241:
	s_or_b64 exec, exec, s[0:1]
	v_cmp_ne_u32_e64 s[14:15], 15, v17
	s_waitcnt lgkmcnt(0)
	s_barrier
	s_and_b64 s[14:15], s[14:15], s[20:21]
	s_mov_b64 s[0:1], exec
	v_writelane_b32 v28, s14, 5
	v_writelane_b32 v28, s15, 6
	s_and_b64 s[14:15], s[0:1], s[14:15]
	s_mov_b64 exec, s[14:15]
	s_cbranch_execz .LBB2_243
; %bb.242:
	v_lshlrev_b32_e32 v21, 2, v17
	ds_read_b32 v21, v21 offset:12160
	ds_read_b32 v22, v19
	s_waitcnt lgkmcnt(0)
	v_fma_f32 v20, -v21, v22, v20
.LBB2_243:
	s_or_b64 exec, exec, s[0:1]
	v_cmp_eq_u32_e64 s[14:15], 14, v17
	s_barrier
	s_and_b64 s[14:15], s[14:15], s[20:21]
	s_mov_b64 s[0:1], exec
	v_writelane_b32 v28, s14, 7
	v_writelane_b32 v28, s15, 8
	s_and_b64 s[14:15], s[0:1], s[14:15]
	s_mov_b64 exec, s[14:15]
; %bb.244:
	v_xor_b32_e32 v21, 0x80000000, v20
	ds_write_b32 v19, v21
; %bb.245:
	s_or_b64 exec, exec, s[0:1]
	v_cmp_gt_u32_e64 s[14:15], 14, v17
	s_waitcnt lgkmcnt(0)
	s_barrier
	s_and_b64 s[14:15], s[14:15], s[20:21]
	s_mov_b64 s[0:1], exec
	v_writelane_b32 v28, s14, 9
	v_writelane_b32 v28, s15, 10
	s_and_b64 s[14:15], s[0:1], s[14:15]
	s_mov_b64 exec, s[14:15]
	s_cbranch_execz .LBB2_247
; %bb.246:
	v_lshlrev_b32_e32 v21, 2, v17
	ds_read_b32 v21, v21 offset:11904
	ds_read_b32 v22, v19
	s_waitcnt lgkmcnt(0)
	v_fma_f32 v20, -v21, v22, v20
.LBB2_247:
	s_or_b64 exec, exec, s[0:1]
	v_cmp_eq_u32_e64 s[14:15], 13, v17
	s_barrier
	s_and_b64 s[14:15], s[14:15], s[20:21]
	s_mov_b64 s[0:1], exec
	v_writelane_b32 v28, s14, 11
	v_writelane_b32 v28, s15, 12
	s_and_b64 s[14:15], s[0:1], s[14:15]
	s_mov_b64 exec, s[14:15]
; %bb.248:
	v_xor_b32_e32 v21, 0x80000000, v20
	ds_write_b32 v19, v21
; %bb.249:
	s_or_b64 exec, exec, s[0:1]
	v_cmp_gt_u32_e64 s[14:15], 13, v17
	;; [unrolled: 31-line block ×13, first 2 shown]
	s_and_b64 s[0:1], s[14:15], s[20:21]
	s_waitcnt lgkmcnt(0)
	s_barrier
	s_and_saveexec_b64 s[14:15], s[0:1]
	s_cbranch_execz .LBB2_295
; %bb.294:
	v_lshlrev_b32_e32 v21, 2, v17
	ds_read_b32 v21, v21 offset:8832
	ds_read_b32 v22, v19
	s_waitcnt lgkmcnt(0)
	v_fma_f32 v20, -v21, v22, v20
.LBB2_295:
	s_or_b64 exec, exec, s[14:15]
	v_cmp_eq_u32_e64 s[14:15], 1, v17
	s_barrier
	s_and_b64 s[16:17], s[14:15], s[20:21]
	s_mov_b64 s[14:15], exec
	v_writelane_b32 v28, s16, 57
	v_writelane_b32 v28, s17, 58
	s_and_b64 s[16:17], s[14:15], s[16:17]
	s_mov_b64 exec, s[16:17]
; %bb.296:
	v_xor_b32_e32 v21, 0x80000000, v20
	ds_write_b32 v19, v21
; %bb.297:
	s_or_b64 exec, exec, s[14:15]
	v_cmp_eq_u32_e64 s[14:15], 0, v17
	s_and_b64 s[92:93], s[14:15], s[20:21]
	s_waitcnt lgkmcnt(0)
	s_barrier
	s_and_saveexec_b64 s[14:15], s[92:93]
	s_cbranch_execz .LBB2_299
; %bb.298:
	v_mov_b32_e32 v21, 0
	ds_read_b32 v21, v21 offset:8576
	ds_read_b32 v22, v19
	s_waitcnt lgkmcnt(0)
	v_fma_f32 v20, -v21, v22, v20
.LBB2_299:
	s_or_b64 exec, exec, s[14:15]
	s_barrier
	s_and_saveexec_b64 s[14:15], s[92:93]
; %bb.300:
	v_xor_b32_e32 v21, 0x80000000, v20
	ds_write_b32 v19, v21
; %bb.301:
	s_or_b64 exec, exec, s[14:15]
	s_waitcnt lgkmcnt(0)
	s_barrier
	s_barrier
	s_and_saveexec_b64 s[14:15], s[10:11]
; %bb.302:
	v_lshlrev_b32_e32 v21, 2, v17
	v_lshl_or_b32 v21, v18, 8, v21
	ds_write_b32 v21, v20 offset:12416
; %bb.303:
	s_or_b64 exec, exec, s[14:15]
	v_cmp_gt_u32_e64 s[14:15], 16, v0
	s_and_b64 s[88:89], s[12:13], s[14:15]
	s_waitcnt lgkmcnt(0)
	s_barrier
	s_barrier
	s_and_saveexec_b64 s[14:15], s[88:89]
	s_cbranch_execz .LBB2_305
; %bb.304:
	v_lshlrev_b32_e32 v20, 8, v0
	ds_read_b32 v21, v20 offset:12416
	s_movk_i32 s16, 0xff04
	v_mad_i32_i24 v22, v0, s16, v20
	s_waitcnt lgkmcnt(0)
	ds_write_b32 v22, v21 offset:8384
	ds_read_b32 v21, v20 offset:12420
	s_waitcnt lgkmcnt(0)
	ds_write_b32 v22, v21 offset:8640
	ds_read_b32 v21, v20 offset:12424
	;; [unrolled: 3-line block ×15, first 2 shown]
	s_waitcnt lgkmcnt(0)
	ds_write_b32 v22, v20 offset:12224
.LBB2_305:
	s_or_b64 exec, exec, s[14:15]
	s_waitcnt lgkmcnt(0)
	s_barrier
	s_and_saveexec_b64 s[14:15], vcc
	s_cbranch_execz .LBB2_307
; %bb.306:
	v_mov_b32_e32 v22, 0
	ds_read_b32 v21, v22 offset:12216
	v_mov_b32_e32 v20, 1.0
	ds_write_b32 v22, v20 offset:12220
	s_waitcnt lgkmcnt(1)
	ds_write_b64 v22, v[20:21] offset:11960
.LBB2_307:
	s_or_b64 exec, exec, s[14:15]
	v_mov_b32_e32 v20, 0
	s_waitcnt lgkmcnt(0)
	s_barrier
	buffer_wbinvl1_vol
	s_and_saveexec_b64 s[16:17], s[2:3]
	s_cbranch_execz .LBB2_311
; %bb.308:
	v_lshlrev_b32_e32 v20, 8, v3
	v_lshlrev_b32_e32 v21, 2, v2
	ds_read_b32 v22, v21 offset:11952
	ds_read_b32 v20, v20 offset:11960
	v_mov_b32_e32 v21, 0
	v_cmp_gt_u32_e64 s[14:15], 2, v5
	s_waitcnt lgkmcnt(0)
	v_fma_f32 v20, v22, v20, 0
	s_and_saveexec_b64 s[20:21], s[14:15]
	s_cbranch_execz .LBB2_310
; %bb.309:
	v_lshlrev_b32_e32 v22, 2, v0
	ds_read_b32 v22, v22 offset:12208
	ds_read_b32 v21, v21 offset:12220
	s_waitcnt lgkmcnt(0)
	v_fmac_f32_e32 v20, v22, v21
.LBB2_310:
	s_or_b64 exec, exec, s[20:21]
.LBB2_311:
	s_or_b64 exec, exec, s[16:17]
	s_and_saveexec_b64 s[14:15], s[28:29]
; %bb.312:
	v_xor_b32_e32 v21, 0x80000000, v20
	ds_write_b32 v4, v21
; %bb.313:
	s_or_b64 exec, exec, s[14:15]
	s_waitcnt lgkmcnt(0)
	s_barrier
	s_and_saveexec_b64 s[14:15], s[26:27]
	s_cbranch_execz .LBB2_315
; %bb.314:
	v_mov_b32_e32 v21, 0
	ds_read_b32 v21, v21 offset:11696
	ds_read_b32 v22, v4
	s_waitcnt lgkmcnt(0)
	v_fma_f32 v20, -v21, v22, v20
.LBB2_315:
	s_or_b64 exec, exec, s[14:15]
	s_barrier
	s_and_saveexec_b64 s[14:15], s[26:27]
; %bb.316:
	v_xor_b32_e32 v21, 0x80000000, v20
	ds_write_b32 v4, v21
; %bb.317:
	s_or_b64 exec, exec, s[14:15]
	s_waitcnt lgkmcnt(0)
	s_barrier
	s_barrier
	s_and_saveexec_b64 s[14:15], s[2:3]
; %bb.318:
	v_lshlrev_b32_e32 v21, 2, v2
	v_lshl_or_b32 v21, v3, 8, v21
	ds_write_b32 v21, v20 offset:11952
; %bb.319:
	s_or_b64 exec, exec, s[14:15]
	s_waitcnt lgkmcnt(0)
	s_barrier
	s_barrier
	s_and_saveexec_b64 s[14:15], s[30:31]
	s_cbranch_execz .LBB2_321
; %bb.320:
	v_lshlrev_b32_e32 v20, 2, v0
	s_movk_i32 s16, 0xfc
	v_mad_u32_u24 v21, v0, s16, v20
	ds_read_b32 v22, v21 offset:11952
	s_waitcnt lgkmcnt(0)
	ds_write_b32 v20, v22 offset:11448
	ds_read_b32 v21, v21 offset:11956
	s_waitcnt lgkmcnt(0)
	ds_write_b32 v20, v21 offset:11704
.LBB2_321:
	s_or_b64 exec, exec, s[14:15]
	s_waitcnt lgkmcnt(0)
	s_barrier
	s_and_saveexec_b64 s[14:15], vcc
	s_cbranch_execz .LBB2_323
; %bb.322:
	v_mov_b32_e32 v22, 0
	ds_read_b32 v21, v22 offset:11696
	v_mov_b32_e32 v20, 1.0
	ds_write_b32 v22, v20 offset:11700
	s_waitcnt lgkmcnt(1)
	ds_write_b64 v22, v[20:21] offset:11440
.LBB2_323:
	s_or_b64 exec, exec, s[14:15]
	v_mov_b32_e32 v20, 0
	s_waitcnt lgkmcnt(0)
	s_barrier
	buffer_wbinvl1_vol
	s_and_saveexec_b64 s[16:17], s[18:19]
	s_cbranch_execz .LBB2_329
; %bb.324:
	v_lshlrev_b32_e32 v22, 2, v11
	v_lshlrev_b32_e32 v21, 8, v12
	ds_read_b32 v20, v22 offset:11424
	ds_read_b32 v23, v21 offset:11440
	v_cmp_gt_u32_e64 s[14:15], 12, v5
	s_waitcnt lgkmcnt(0)
	v_fma_f32 v20, v20, v23, 0
	s_and_saveexec_b64 s[20:21], s[14:15]
	s_cbranch_execnz .LBB2_1186
; %bb.325:
	s_or_b64 exec, exec, s[20:21]
	v_cmp_gt_u32_e64 s[14:15], 8, v5
	s_and_saveexec_b64 s[20:21], s[14:15]
	s_cbranch_execnz .LBB2_1187
.LBB2_326:
	s_or_b64 exec, exec, s[20:21]
	v_cmp_gt_u32_e64 s[14:15], 4, v5
	s_and_saveexec_b64 s[20:21], s[14:15]
	s_cbranch_execz .LBB2_328
.LBB2_327:
	v_lshlrev_b32_e32 v21, 2, v0
	v_mov_b32_e32 v22, 0
	ds_read_b32 v21, v21 offset:12192
	ds_read_b32 v22, v22 offset:12220
	s_waitcnt lgkmcnt(0)
	v_fmac_f32_e32 v20, v21, v22
.LBB2_328:
	s_or_b64 exec, exec, s[20:21]
.LBB2_329:
	s_or_b64 exec, exec, s[16:17]
	s_and_saveexec_b64 s[14:15], s[36:37]
; %bb.330:
	v_xor_b32_e32 v21, 0x80000000, v20
	ds_write_b32 v13, v21
; %bb.331:
	s_or_b64 exec, exec, s[14:15]
	s_waitcnt lgkmcnt(0)
	s_barrier
	s_and_saveexec_b64 s[14:15], s[38:39]
	s_cbranch_execz .LBB2_333
; %bb.332:
	v_lshlrev_b32_e32 v21, 2, v11
	ds_read_b32 v21, v21 offset:11168
	ds_read_b32 v22, v13
	s_waitcnt lgkmcnt(0)
	v_fma_f32 v20, -v21, v22, v20
.LBB2_333:
	s_or_b64 exec, exec, s[14:15]
	s_barrier
	s_and_saveexec_b64 s[14:15], s[42:43]
; %bb.334:
	v_xor_b32_e32 v21, 0x80000000, v20
	ds_write_b32 v13, v21
; %bb.335:
	s_or_b64 exec, exec, s[14:15]
	s_waitcnt lgkmcnt(0)
	s_barrier
	s_and_saveexec_b64 s[14:15], s[44:45]
	s_cbranch_execz .LBB2_337
; %bb.336:
	v_lshlrev_b32_e32 v21, 2, v11
	ds_read_b32 v21, v21 offset:10912
	ds_read_b32 v22, v13
	s_waitcnt lgkmcnt(0)
	v_fma_f32 v20, -v21, v22, v20
.LBB2_337:
	s_or_b64 exec, exec, s[14:15]
	s_barrier
	s_and_saveexec_b64 s[14:15], s[52:53]
; %bb.338:
	v_xor_b32_e32 v21, 0x80000000, v20
	ds_write_b32 v13, v21
; %bb.339:
	s_or_b64 exec, exec, s[14:15]
	s_waitcnt lgkmcnt(0)
	s_barrier
	s_and_saveexec_b64 s[14:15], s[34:35]
	s_cbranch_execz .LBB2_341
; %bb.340:
	v_mov_b32_e32 v21, 0
	ds_read_b32 v21, v21 offset:10656
	ds_read_b32 v22, v13
	s_waitcnt lgkmcnt(0)
	v_fma_f32 v20, -v21, v22, v20
.LBB2_341:
	s_or_b64 exec, exec, s[14:15]
	s_barrier
	s_and_saveexec_b64 s[14:15], s[34:35]
; %bb.342:
	v_xor_b32_e32 v21, 0x80000000, v20
	ds_write_b32 v13, v21
; %bb.343:
	s_or_b64 exec, exec, s[14:15]
	s_waitcnt lgkmcnt(0)
	s_barrier
	s_barrier
	s_and_saveexec_b64 s[14:15], s[18:19]
; %bb.344:
	v_lshlrev_b32_e32 v21, 2, v11
	v_lshl_or_b32 v21, v12, 8, v21
	ds_write_b32 v21, v20 offset:11424
; %bb.345:
	s_or_b64 exec, exec, s[14:15]
	s_waitcnt lgkmcnt(0)
	s_barrier
	s_barrier
	s_and_saveexec_b64 s[14:15], s[54:55]
	s_cbranch_execz .LBB2_347
; %bb.346:
	v_lshlrev_b32_e32 v20, 8, v0
	ds_read_b32 v21, v20 offset:11424
	s_movk_i32 s16, 0xff04
	v_mad_i32_i24 v22, v0, s16, v20
	s_waitcnt lgkmcnt(0)
	ds_write_b32 v22, v21 offset:10416
	ds_read_b32 v21, v20 offset:11428
	s_waitcnt lgkmcnt(0)
	ds_write_b32 v22, v21 offset:10672
	ds_read_b32 v21, v20 offset:11432
	;; [unrolled: 3-line block ×3, first 2 shown]
	s_waitcnt lgkmcnt(0)
	ds_write_b32 v22, v20 offset:11184
.LBB2_347:
	s_or_b64 exec, exec, s[14:15]
	s_waitcnt lgkmcnt(0)
	s_barrier
	s_and_saveexec_b64 s[14:15], vcc
	s_cbranch_execz .LBB2_349
; %bb.348:
	v_mov_b32_e32 v22, 0
	ds_read_b32 v21, v22 offset:11176
	v_mov_b32_e32 v20, 1.0
	ds_write_b32 v22, v20 offset:11180
	s_waitcnt lgkmcnt(1)
	ds_write_b64 v22, v[20:21] offset:10920
.LBB2_349:
	s_or_b64 exec, exec, s[14:15]
	v_mov_b32_e32 v20, 0
	s_waitcnt lgkmcnt(0)
	s_barrier
	buffer_wbinvl1_vol
	s_and_saveexec_b64 s[16:17], s[2:3]
	s_cbranch_execz .LBB2_353
; %bb.350:
	v_lshlrev_b32_e32 v20, 8, v3
	v_lshlrev_b32_e32 v21, 2, v2
	ds_read_b32 v22, v21 offset:10912
	ds_read_b32 v20, v20 offset:10920
	v_mov_b32_e32 v21, 0
	v_cmp_gt_u32_e64 s[14:15], 2, v5
	s_waitcnt lgkmcnt(0)
	v_fma_f32 v20, v22, v20, 0
	s_and_saveexec_b64 s[20:21], s[14:15]
	s_cbranch_execz .LBB2_352
; %bb.351:
	v_lshlrev_b32_e32 v22, 2, v0
	ds_read_b32 v22, v22 offset:11168
	ds_read_b32 v21, v21 offset:11180
	s_waitcnt lgkmcnt(0)
	v_fmac_f32_e32 v20, v22, v21
.LBB2_352:
	s_or_b64 exec, exec, s[20:21]
.LBB2_353:
	s_or_b64 exec, exec, s[16:17]
	s_and_saveexec_b64 s[14:15], s[28:29]
; %bb.354:
	v_xor_b32_e32 v21, 0x80000000, v20
	ds_write_b32 v4, v21
; %bb.355:
	s_or_b64 exec, exec, s[14:15]
	s_waitcnt lgkmcnt(0)
	s_barrier
	s_and_saveexec_b64 s[14:15], s[26:27]
	s_cbranch_execz .LBB2_357
; %bb.356:
	v_mov_b32_e32 v21, 0
	ds_read_b32 v21, v21 offset:10656
	ds_read_b32 v22, v4
	s_waitcnt lgkmcnt(0)
	v_fma_f32 v20, -v21, v22, v20
.LBB2_357:
	s_or_b64 exec, exec, s[14:15]
	s_barrier
	s_and_saveexec_b64 s[14:15], s[26:27]
; %bb.358:
	v_xor_b32_e32 v21, 0x80000000, v20
	ds_write_b32 v4, v21
; %bb.359:
	s_or_b64 exec, exec, s[14:15]
	s_waitcnt lgkmcnt(0)
	s_barrier
	s_barrier
	s_and_saveexec_b64 s[14:15], s[2:3]
; %bb.360:
	v_lshlrev_b32_e32 v21, 2, v2
	v_lshl_or_b32 v21, v3, 8, v21
	ds_write_b32 v21, v20 offset:10912
; %bb.361:
	s_or_b64 exec, exec, s[14:15]
	s_waitcnt lgkmcnt(0)
	s_barrier
	s_barrier
	s_and_saveexec_b64 s[14:15], s[30:31]
	s_cbranch_execz .LBB2_363
; %bb.362:
	v_lshlrev_b32_e32 v20, 2, v0
	s_movk_i32 s16, 0xfc
	v_mad_u32_u24 v21, v0, s16, v20
	ds_read_b32 v22, v21 offset:10912
	s_waitcnt lgkmcnt(0)
	ds_write_b32 v20, v22 offset:10408
	ds_read_b32 v21, v21 offset:10916
	s_waitcnt lgkmcnt(0)
	ds_write_b32 v20, v21 offset:10664
.LBB2_363:
	s_or_b64 exec, exec, s[14:15]
	s_waitcnt lgkmcnt(0)
	s_barrier
	s_and_saveexec_b64 s[14:15], vcc
	s_cbranch_execz .LBB2_365
; %bb.364:
	v_mov_b32_e32 v22, 0
	ds_read_b32 v21, v22 offset:10656
	v_mov_b32_e32 v20, 1.0
	ds_write_b32 v22, v20 offset:10660
	s_waitcnt lgkmcnt(1)
	ds_write_b64 v22, v[20:21] offset:10400
.LBB2_365:
	s_or_b64 exec, exec, s[14:15]
	v_mov_b32_e32 v20, 0
	s_waitcnt lgkmcnt(0)
	s_barrier
	buffer_wbinvl1_vol
	s_and_saveexec_b64 s[16:17], s[8:9]
	s_cbranch_execz .LBB2_375
; %bb.366:
	v_lshlrev_b32_e32 v22, 2, v14
	v_lshlrev_b32_e32 v21, 8, v15
	ds_read_b32 v20, v22 offset:10368
	ds_read_b32 v23, v21 offset:10400
	v_cmp_gt_u32_e64 s[14:15], 56, v5
	s_waitcnt lgkmcnt(0)
	v_fma_f32 v20, v20, v23, 0
	s_and_saveexec_b64 s[20:21], s[14:15]
	s_cbranch_execnz .LBB2_1188
; %bb.367:
	s_or_b64 exec, exec, s[20:21]
	v_cmp_gt_u32_e64 s[14:15], 48, v5
	s_and_saveexec_b64 s[20:21], s[14:15]
	s_cbranch_execnz .LBB2_1189
.LBB2_368:
	s_or_b64 exec, exec, s[20:21]
	v_cmp_gt_u32_e64 s[14:15], 40, v5
	s_and_saveexec_b64 s[20:21], s[14:15]
	s_cbranch_execnz .LBB2_1190
.LBB2_369:
	s_or_b64 exec, exec, s[20:21]
	v_cmp_gt_u32_e64 s[14:15], 32, v5
	s_and_saveexec_b64 s[20:21], s[14:15]
	s_cbranch_execnz .LBB2_1191
.LBB2_370:
	s_or_b64 exec, exec, s[20:21]
	v_cmp_gt_u32_e64 s[14:15], 24, v5
	s_and_saveexec_b64 s[20:21], s[14:15]
	s_cbranch_execnz .LBB2_1192
.LBB2_371:
	s_or_b64 exec, exec, s[20:21]
	s_and_saveexec_b64 s[14:15], s[18:19]
	s_cbranch_execnz .LBB2_1193
.LBB2_372:
	s_or_b64 exec, exec, s[14:15]
	v_cmp_gt_u32_e64 s[14:15], 8, v5
	s_and_saveexec_b64 s[20:21], s[14:15]
	s_cbranch_execz .LBB2_374
.LBB2_373:
	v_lshlrev_b32_e32 v21, 2, v0
	v_mov_b32_e32 v22, 0
	ds_read_b32 v21, v21 offset:12160
	ds_read_b32 v22, v22 offset:12220
	s_waitcnt lgkmcnt(0)
	v_fmac_f32_e32 v20, v21, v22
.LBB2_374:
	s_or_b64 exec, exec, s[20:21]
.LBB2_375:
	s_or_b64 exec, exec, s[16:17]
	s_and_saveexec_b64 s[14:15], s[56:57]
; %bb.376:
	v_xor_b32_e32 v21, 0x80000000, v20
	ds_write_b32 v16, v21
; %bb.377:
	s_or_b64 exec, exec, s[14:15]
	s_waitcnt lgkmcnt(0)
	s_barrier
	s_and_saveexec_b64 s[14:15], s[58:59]
	s_cbranch_execz .LBB2_379
; %bb.378:
	v_lshlrev_b32_e32 v21, 2, v14
	ds_read_b32 v21, v21 offset:10112
	ds_read_b32 v22, v16
	s_waitcnt lgkmcnt(0)
	v_fma_f32 v20, -v21, v22, v20
.LBB2_379:
	s_or_b64 exec, exec, s[14:15]
	s_barrier
	s_and_saveexec_b64 s[14:15], s[60:61]
; %bb.380:
	v_xor_b32_e32 v21, 0x80000000, v20
	ds_write_b32 v16, v21
; %bb.381:
	s_or_b64 exec, exec, s[14:15]
	s_waitcnt lgkmcnt(0)
	s_barrier
	s_and_saveexec_b64 s[14:15], s[62:63]
	s_cbranch_execz .LBB2_383
; %bb.382:
	v_lshlrev_b32_e32 v21, 2, v14
	ds_read_b32 v21, v21 offset:9856
	ds_read_b32 v22, v16
	s_waitcnt lgkmcnt(0)
	v_fma_f32 v20, -v21, v22, v20
.LBB2_383:
	s_or_b64 exec, exec, s[14:15]
	s_barrier
	;; [unrolled: 19-line block ×6, first 2 shown]
	s_and_saveexec_b64 s[14:15], s[82:83]
; %bb.400:
	v_xor_b32_e32 v21, 0x80000000, v20
	ds_write_b32 v16, v21
; %bb.401:
	s_or_b64 exec, exec, s[14:15]
	s_waitcnt lgkmcnt(0)
	s_barrier
	s_and_saveexec_b64 s[14:15], s[66:67]
	s_cbranch_execz .LBB2_403
; %bb.402:
	v_mov_b32_e32 v21, 0
	ds_read_b32 v21, v21 offset:8576
	ds_read_b32 v22, v16
	s_waitcnt lgkmcnt(0)
	v_fma_f32 v20, -v21, v22, v20
.LBB2_403:
	s_or_b64 exec, exec, s[14:15]
	s_barrier
	s_and_saveexec_b64 s[14:15], s[66:67]
; %bb.404:
	v_xor_b32_e32 v21, 0x80000000, v20
	ds_write_b32 v16, v21
; %bb.405:
	s_or_b64 exec, exec, s[14:15]
	s_waitcnt lgkmcnt(0)
	s_barrier
	s_barrier
	s_and_saveexec_b64 s[14:15], s[8:9]
; %bb.406:
	v_lshlrev_b32_e32 v21, 2, v14
	v_lshl_or_b32 v21, v15, 8, v21
	ds_write_b32 v21, v20 offset:10368
; %bb.407:
	s_or_b64 exec, exec, s[14:15]
	s_waitcnt lgkmcnt(0)
	s_barrier
	s_barrier
	s_and_saveexec_b64 s[14:15], s[84:85]
	s_cbranch_execz .LBB2_409
; %bb.408:
	v_lshlrev_b32_e32 v20, 8, v0
	ds_read_b32 v21, v20 offset:10368
	s_movk_i32 s16, 0xff04
	v_mad_i32_i24 v22, v0, s16, v20
	s_waitcnt lgkmcnt(0)
	ds_write_b32 v22, v21 offset:8352
	ds_read_b32 v21, v20 offset:10372
	s_waitcnt lgkmcnt(0)
	ds_write_b32 v22, v21 offset:8608
	ds_read_b32 v21, v20 offset:10376
	;; [unrolled: 3-line block ×7, first 2 shown]
	s_waitcnt lgkmcnt(0)
	ds_write_b32 v22, v20 offset:10144
.LBB2_409:
	s_or_b64 exec, exec, s[14:15]
	s_waitcnt lgkmcnt(0)
	s_barrier
	s_and_saveexec_b64 s[14:15], vcc
	s_cbranch_execz .LBB2_411
; %bb.410:
	v_mov_b32_e32 v22, 0
	ds_read_b32 v21, v22 offset:10136
	v_mov_b32_e32 v20, 1.0
	ds_write_b32 v22, v20 offset:10140
	s_waitcnt lgkmcnt(1)
	ds_write_b64 v22, v[20:21] offset:9880
.LBB2_411:
	s_or_b64 exec, exec, s[14:15]
	v_mov_b32_e32 v20, 0
	s_waitcnt lgkmcnt(0)
	s_barrier
	buffer_wbinvl1_vol
	s_and_saveexec_b64 s[16:17], s[2:3]
	s_cbranch_execz .LBB2_415
; %bb.412:
	v_lshlrev_b32_e32 v20, 8, v3
	v_lshlrev_b32_e32 v21, 2, v2
	ds_read_b32 v22, v21 offset:9872
	ds_read_b32 v20, v20 offset:9880
	v_mov_b32_e32 v21, 0
	v_cmp_gt_u32_e64 s[14:15], 2, v5
	s_waitcnt lgkmcnt(0)
	v_fma_f32 v20, v22, v20, 0
	s_and_saveexec_b64 s[20:21], s[14:15]
	s_cbranch_execz .LBB2_414
; %bb.413:
	v_lshlrev_b32_e32 v22, 2, v0
	ds_read_b32 v22, v22 offset:10128
	ds_read_b32 v21, v21 offset:10140
	s_waitcnt lgkmcnt(0)
	v_fmac_f32_e32 v20, v22, v21
.LBB2_414:
	s_or_b64 exec, exec, s[20:21]
.LBB2_415:
	s_or_b64 exec, exec, s[16:17]
	s_and_saveexec_b64 s[14:15], s[28:29]
; %bb.416:
	v_xor_b32_e32 v21, 0x80000000, v20
	ds_write_b32 v4, v21
; %bb.417:
	s_or_b64 exec, exec, s[14:15]
	s_waitcnt lgkmcnt(0)
	s_barrier
	s_and_saveexec_b64 s[14:15], s[26:27]
	s_cbranch_execz .LBB2_419
; %bb.418:
	v_mov_b32_e32 v21, 0
	ds_read_b32 v21, v21 offset:9616
	ds_read_b32 v22, v4
	s_waitcnt lgkmcnt(0)
	v_fma_f32 v20, -v21, v22, v20
.LBB2_419:
	s_or_b64 exec, exec, s[14:15]
	s_barrier
	s_and_saveexec_b64 s[14:15], s[26:27]
; %bb.420:
	v_xor_b32_e32 v21, 0x80000000, v20
	ds_write_b32 v4, v21
; %bb.421:
	s_or_b64 exec, exec, s[14:15]
	s_waitcnt lgkmcnt(0)
	s_barrier
	s_barrier
	s_and_saveexec_b64 s[14:15], s[2:3]
; %bb.422:
	v_lshlrev_b32_e32 v21, 2, v2
	v_lshl_or_b32 v21, v3, 8, v21
	ds_write_b32 v21, v20 offset:9872
; %bb.423:
	s_or_b64 exec, exec, s[14:15]
	s_waitcnt lgkmcnt(0)
	s_barrier
	s_barrier
	s_and_saveexec_b64 s[14:15], s[30:31]
	s_cbranch_execz .LBB2_425
; %bb.424:
	v_lshlrev_b32_e32 v20, 2, v0
	s_movk_i32 s16, 0xfc
	v_mad_u32_u24 v21, v0, s16, v20
	ds_read_b32 v22, v21 offset:9872
	s_waitcnt lgkmcnt(0)
	ds_write_b32 v20, v22 offset:9368
	ds_read_b32 v21, v21 offset:9876
	s_waitcnt lgkmcnt(0)
	ds_write_b32 v20, v21 offset:9624
.LBB2_425:
	s_or_b64 exec, exec, s[14:15]
	s_waitcnt lgkmcnt(0)
	s_barrier
	s_and_saveexec_b64 s[14:15], vcc
	s_cbranch_execz .LBB2_427
; %bb.426:
	v_mov_b32_e32 v22, 0
	ds_read_b32 v21, v22 offset:9616
	v_mov_b32_e32 v20, 1.0
	ds_write_b32 v22, v20 offset:9620
	s_waitcnt lgkmcnt(1)
	ds_write_b64 v22, v[20:21] offset:9360
.LBB2_427:
	s_or_b64 exec, exec, s[14:15]
	v_mov_b32_e32 v20, 0
	s_waitcnt lgkmcnt(0)
	s_barrier
	buffer_wbinvl1_vol
	s_and_saveexec_b64 s[16:17], s[18:19]
	s_cbranch_execz .LBB2_433
; %bb.428:
	v_lshlrev_b32_e32 v22, 2, v11
	v_lshlrev_b32_e32 v21, 8, v12
	ds_read_b32 v20, v22 offset:9344
	ds_read_b32 v23, v21 offset:9360
	v_cmp_gt_u32_e64 s[14:15], 12, v5
	s_waitcnt lgkmcnt(0)
	v_fma_f32 v20, v20, v23, 0
	s_and_saveexec_b64 s[20:21], s[14:15]
	s_cbranch_execnz .LBB2_1194
; %bb.429:
	s_or_b64 exec, exec, s[20:21]
	v_cmp_gt_u32_e64 s[14:15], 8, v5
	s_and_saveexec_b64 s[20:21], s[14:15]
	s_cbranch_execnz .LBB2_1195
.LBB2_430:
	s_or_b64 exec, exec, s[20:21]
	v_cmp_gt_u32_e64 s[14:15], 4, v5
	s_and_saveexec_b64 s[20:21], s[14:15]
	s_cbranch_execz .LBB2_432
.LBB2_431:
	v_lshlrev_b32_e32 v21, 2, v0
	v_mov_b32_e32 v22, 0
	ds_read_b32 v21, v21 offset:10112
	ds_read_b32 v22, v22 offset:10140
	s_waitcnt lgkmcnt(0)
	v_fmac_f32_e32 v20, v21, v22
.LBB2_432:
	s_or_b64 exec, exec, s[20:21]
.LBB2_433:
	s_or_b64 exec, exec, s[16:17]
	s_and_saveexec_b64 s[14:15], s[36:37]
; %bb.434:
	v_xor_b32_e32 v21, 0x80000000, v20
	ds_write_b32 v13, v21
; %bb.435:
	s_or_b64 exec, exec, s[14:15]
	s_waitcnt lgkmcnt(0)
	s_barrier
	s_and_saveexec_b64 s[14:15], s[38:39]
	s_cbranch_execz .LBB2_437
; %bb.436:
	v_lshlrev_b32_e32 v21, 2, v11
	ds_read_b32 v21, v21 offset:9088
	ds_read_b32 v22, v13
	s_waitcnt lgkmcnt(0)
	v_fma_f32 v20, -v21, v22, v20
.LBB2_437:
	s_or_b64 exec, exec, s[14:15]
	s_barrier
	s_and_saveexec_b64 s[14:15], s[42:43]
; %bb.438:
	v_xor_b32_e32 v21, 0x80000000, v20
	ds_write_b32 v13, v21
; %bb.439:
	s_or_b64 exec, exec, s[14:15]
	s_waitcnt lgkmcnt(0)
	s_barrier
	s_and_saveexec_b64 s[14:15], s[44:45]
	s_cbranch_execz .LBB2_441
; %bb.440:
	v_lshlrev_b32_e32 v21, 2, v11
	ds_read_b32 v21, v21 offset:8832
	ds_read_b32 v22, v13
	s_waitcnt lgkmcnt(0)
	v_fma_f32 v20, -v21, v22, v20
.LBB2_441:
	s_or_b64 exec, exec, s[14:15]
	s_barrier
	s_and_saveexec_b64 s[14:15], s[52:53]
; %bb.442:
	v_xor_b32_e32 v21, 0x80000000, v20
	ds_write_b32 v13, v21
; %bb.443:
	s_or_b64 exec, exec, s[14:15]
	s_waitcnt lgkmcnt(0)
	s_barrier
	s_and_saveexec_b64 s[14:15], s[34:35]
	s_cbranch_execz .LBB2_445
; %bb.444:
	v_mov_b32_e32 v21, 0
	ds_read_b32 v21, v21 offset:8576
	ds_read_b32 v22, v13
	s_waitcnt lgkmcnt(0)
	v_fma_f32 v20, -v21, v22, v20
.LBB2_445:
	s_or_b64 exec, exec, s[14:15]
	s_barrier
	s_and_saveexec_b64 s[14:15], s[34:35]
; %bb.446:
	v_xor_b32_e32 v21, 0x80000000, v20
	ds_write_b32 v13, v21
; %bb.447:
	s_or_b64 exec, exec, s[14:15]
	s_waitcnt lgkmcnt(0)
	s_barrier
	s_barrier
	s_and_saveexec_b64 s[14:15], s[18:19]
; %bb.448:
	v_lshlrev_b32_e32 v21, 2, v11
	v_lshl_or_b32 v21, v12, 8, v21
	ds_write_b32 v21, v20 offset:9344
; %bb.449:
	s_or_b64 exec, exec, s[14:15]
	s_waitcnt lgkmcnt(0)
	s_barrier
	s_barrier
	s_and_saveexec_b64 s[14:15], s[54:55]
	s_cbranch_execz .LBB2_451
; %bb.450:
	v_lshlrev_b32_e32 v20, 8, v0
	ds_read_b32 v21, v20 offset:9344
	s_movk_i32 s16, 0xff04
	v_mad_i32_i24 v22, v0, s16, v20
	s_waitcnt lgkmcnt(0)
	ds_write_b32 v22, v21 offset:8336
	ds_read_b32 v21, v20 offset:9348
	s_waitcnt lgkmcnt(0)
	ds_write_b32 v22, v21 offset:8592
	ds_read_b32 v21, v20 offset:9352
	;; [unrolled: 3-line block ×3, first 2 shown]
	s_waitcnt lgkmcnt(0)
	ds_write_b32 v22, v20 offset:9104
.LBB2_451:
	s_or_b64 exec, exec, s[14:15]
	s_waitcnt lgkmcnt(0)
	s_barrier
	s_and_saveexec_b64 s[14:15], vcc
	s_cbranch_execz .LBB2_453
; %bb.452:
	v_mov_b32_e32 v22, 0
	ds_read_b32 v21, v22 offset:9096
	v_mov_b32_e32 v20, 1.0
	ds_write_b32 v22, v20 offset:9100
	s_waitcnt lgkmcnt(1)
	ds_write_b64 v22, v[20:21] offset:8840
.LBB2_453:
	s_or_b64 exec, exec, s[14:15]
	v_mov_b32_e32 v20, 0
	s_waitcnt lgkmcnt(0)
	s_barrier
	buffer_wbinvl1_vol
	s_and_saveexec_b64 s[16:17], s[2:3]
	s_cbranch_execz .LBB2_457
; %bb.454:
	v_lshlrev_b32_e32 v20, 8, v3
	v_lshlrev_b32_e32 v21, 2, v2
	ds_read_b32 v22, v21 offset:8832
	ds_read_b32 v20, v20 offset:8840
	v_mov_b32_e32 v21, 0
	v_cmp_gt_u32_e64 s[14:15], 2, v5
	s_waitcnt lgkmcnt(0)
	v_fma_f32 v20, v22, v20, 0
	s_and_saveexec_b64 s[20:21], s[14:15]
	s_cbranch_execz .LBB2_456
; %bb.455:
	v_lshlrev_b32_e32 v22, 2, v0
	ds_read_b32 v22, v22 offset:9088
	ds_read_b32 v21, v21 offset:9100
	s_waitcnt lgkmcnt(0)
	v_fmac_f32_e32 v20, v22, v21
.LBB2_456:
	s_or_b64 exec, exec, s[20:21]
.LBB2_457:
	s_or_b64 exec, exec, s[16:17]
	s_and_saveexec_b64 s[14:15], s[28:29]
; %bb.458:
	v_xor_b32_e32 v21, 0x80000000, v20
	ds_write_b32 v4, v21
; %bb.459:
	s_or_b64 exec, exec, s[14:15]
	s_waitcnt lgkmcnt(0)
	s_barrier
	s_and_saveexec_b64 s[14:15], s[26:27]
	s_cbranch_execz .LBB2_461
; %bb.460:
	v_mov_b32_e32 v21, 0
	ds_read_b32 v21, v21 offset:8576
	ds_read_b32 v22, v4
	s_waitcnt lgkmcnt(0)
	v_fma_f32 v20, -v21, v22, v20
.LBB2_461:
	s_or_b64 exec, exec, s[14:15]
	s_barrier
	s_and_saveexec_b64 s[14:15], s[26:27]
; %bb.462:
	v_xor_b32_e32 v21, 0x80000000, v20
	ds_write_b32 v4, v21
; %bb.463:
	s_or_b64 exec, exec, s[14:15]
	s_waitcnt lgkmcnt(0)
	s_barrier
	s_barrier
	s_and_saveexec_b64 s[14:15], s[2:3]
; %bb.464:
	v_lshlrev_b32_e32 v21, 2, v2
	v_lshl_or_b32 v21, v3, 8, v21
	ds_write_b32 v21, v20 offset:8832
; %bb.465:
	s_or_b64 exec, exec, s[14:15]
	s_waitcnt lgkmcnt(0)
	s_barrier
	s_barrier
	s_and_saveexec_b64 s[14:15], s[30:31]
	s_cbranch_execz .LBB2_467
; %bb.466:
	v_lshlrev_b32_e32 v20, 2, v0
	s_movk_i32 s16, 0xfc
	v_mad_u32_u24 v21, v0, s16, v20
	ds_read_b32 v22, v21 offset:8832
	s_waitcnt lgkmcnt(0)
	ds_write_b32 v20, v22 offset:8328
	ds_read_b32 v21, v21 offset:8836
	s_waitcnt lgkmcnt(0)
	ds_write_b32 v20, v21 offset:8584
.LBB2_467:
	s_or_b64 exec, exec, s[14:15]
	s_waitcnt lgkmcnt(0)
	s_barrier
	s_and_saveexec_b64 s[14:15], vcc
	s_cbranch_execz .LBB2_469
; %bb.468:
	v_mov_b32_e32 v22, 0
	ds_read_b32 v21, v22 offset:8576
	v_mov_b32_e32 v20, 1.0
	ds_write_b32 v22, v20 offset:8580
	s_waitcnt lgkmcnt(1)
	ds_write_b64 v22, v[20:21] offset:8320
.LBB2_469:
	s_or_b64 exec, exec, s[14:15]
	s_movk_i32 s14, 0x3ff
	v_lshrrev_b32_e32 v23, 5, v5
	v_cmp_lt_u32_e64 s[16:17], s14, v5
	s_movk_i32 s14, 0x400
	v_and_b32_e32 v20, 31, v0
	v_sub_u32_e32 v21, 31, v23
	v_cmp_gt_u32_e64 s[14:15], s14, v5
	v_mov_b32_e32 v22, 0
	s_waitcnt lgkmcnt(0)
	s_barrier
	buffer_wbinvl1_vol
	s_and_saveexec_b64 s[90:91], s[14:15]
	s_cbranch_execz .LBB2_531
; %bb.470:
	v_lshlrev_b32_e32 v25, 2, v20
	v_lshlrev_b32_e32 v24, 8, v21
	ds_read_b32 v22, v25 offset:8192
	ds_read_b32 v26, v24 offset:8320
	s_movk_i32 s20, 0x3e0
	v_cmp_gt_u32_e64 s[20:21], s20, v5
	s_waitcnt lgkmcnt(0)
	v_fma_f32 v22, v22, v26, 0
	s_and_saveexec_b64 s[94:95], s[20:21]
	s_cbranch_execz .LBB2_472
; %bb.471:
	ds_read_b32 v26, v25 offset:8448
	ds_read_b32 v27, v24 offset:8324
	s_waitcnt lgkmcnt(0)
	v_fmac_f32_e32 v22, v26, v27
.LBB2_472:
	s_or_b64 exec, exec, s[94:95]
	s_movk_i32 s20, 0x3c0
	v_cmp_gt_u32_e64 s[20:21], s20, v5
	s_and_saveexec_b64 s[94:95], s[20:21]
	s_cbranch_execz .LBB2_474
; %bb.473:
	ds_read_b32 v26, v25 offset:8704
	ds_read_b32 v27, v24 offset:8328
	s_waitcnt lgkmcnt(0)
	v_fmac_f32_e32 v22, v26, v27
.LBB2_474:
	s_or_b64 exec, exec, s[94:95]
	s_movk_i32 s20, 0x3a0
	v_cmp_gt_u32_e64 s[20:21], s20, v5
	;; [unrolled: 11-line block ×22, first 2 shown]
	s_and_saveexec_b64 s[94:95], s[20:21]
	s_cbranch_execz .LBB2_516
; %bb.515:
	ds_read_b32 v26, v25 offset:14080
	ds_read_b32 v27, v24 offset:8412
	s_waitcnt lgkmcnt(0)
	v_fmac_f32_e32 v22, v26, v27
.LBB2_516:
	s_or_b64 exec, exec, s[94:95]
	s_and_saveexec_b64 s[20:21], s[10:11]
	s_cbranch_execz .LBB2_518
; %bb.517:
	ds_read_b32 v26, v25 offset:14336
	ds_read_b32 v27, v24 offset:8416
	s_waitcnt lgkmcnt(0)
	v_fmac_f32_e32 v22, v26, v27
.LBB2_518:
	s_or_b64 exec, exec, s[20:21]
	s_movk_i32 s20, 0xe0
	v_cmp_gt_u32_e64 s[20:21], s20, v5
	s_and_saveexec_b64 s[94:95], s[20:21]
	s_cbranch_execz .LBB2_520
; %bb.519:
	ds_read_b32 v26, v25 offset:14592
	ds_read_b32 v27, v24 offset:8420
	s_waitcnt lgkmcnt(0)
	v_fmac_f32_e32 v22, v26, v27
.LBB2_520:
	s_or_b64 exec, exec, s[94:95]
	s_movk_i32 s20, 0xc0
	v_cmp_gt_u32_e64 s[20:21], s20, v5
	;; [unrolled: 11-line block ×5, first 2 shown]
	s_and_saveexec_b64 s[94:95], s[20:21]
	s_cbranch_execnz .LBB2_1196
; %bb.527:
	s_or_b64 exec, exec, s[94:95]
	s_and_saveexec_b64 s[20:21], s[8:9]
	s_cbranch_execnz .LBB2_1197
.LBB2_528:
	s_or_b64 exec, exec, s[20:21]
	v_cmp_gt_u32_e64 s[20:21], 32, v5
	s_and_saveexec_b64 s[94:95], s[20:21]
	s_cbranch_execz .LBB2_530
.LBB2_529:
	v_lshlrev_b32_e32 v24, 2, v0
	v_mov_b32_e32 v25, 0
	ds_read_b32 v24, v24 offset:16128
	ds_read_b32 v25, v25 offset:16380
	s_waitcnt lgkmcnt(0)
	v_fmac_f32_e32 v22, v24, v25
.LBB2_530:
	s_or_b64 exec, exec, s[94:95]
.LBB2_531:
	s_or_b64 exec, exec, s[90:91]
	v_mov_b32_e32 v24, 0x4000
	v_cmp_eq_u32_e64 s[20:21], 31, v20
	s_xor_b64 s[90:91], s[16:17], -1
	v_lshl_add_u32 v23, v23, 2, v24
	s_and_b64 s[20:21], s[20:21], s[90:91]
	s_and_saveexec_b64 s[16:17], s[20:21]
; %bb.532:
	v_xor_b32_e32 v24, 0x80000000, v22
	ds_write_b32 v23, v24
; %bb.533:
	s_or_b64 exec, exec, s[16:17]
	v_cmp_ne_u32_e64 s[16:17], 31, v20
	s_and_b64 s[20:21], s[16:17], s[90:91]
	s_waitcnt lgkmcnt(0)
	s_barrier
	s_and_saveexec_b64 s[16:17], s[20:21]
	s_cbranch_execz .LBB2_535
; %bb.534:
	v_lshlrev_b32_e32 v24, 2, v20
	ds_read_b32 v24, v24 offset:7936
	ds_read_b32 v25, v23
	s_waitcnt lgkmcnt(0)
	v_fma_f32 v22, -v24, v25, v22
.LBB2_535:
	s_or_b64 exec, exec, s[16:17]
	v_cmp_eq_u32_e64 s[16:17], 30, v20
	s_and_b64 s[20:21], s[16:17], s[90:91]
	s_barrier
	s_and_saveexec_b64 s[16:17], s[20:21]
; %bb.536:
	v_xor_b32_e32 v24, 0x80000000, v22
	ds_write_b32 v23, v24
; %bb.537:
	s_or_b64 exec, exec, s[16:17]
	v_cmp_gt_u32_e64 s[16:17], 30, v20
	s_and_b64 s[20:21], s[16:17], s[90:91]
	s_waitcnt lgkmcnt(0)
	s_barrier
	s_and_saveexec_b64 s[16:17], s[20:21]
	s_cbranch_execz .LBB2_539
; %bb.538:
	v_lshlrev_b32_e32 v24, 2, v20
	ds_read_b32 v24, v24 offset:7680
	ds_read_b32 v25, v23
	s_waitcnt lgkmcnt(0)
	v_fma_f32 v22, -v24, v25, v22
.LBB2_539:
	s_or_b64 exec, exec, s[16:17]
	v_cmp_eq_u32_e64 s[16:17], 29, v20
	s_and_b64 s[20:21], s[16:17], s[90:91]
	s_barrier
	s_and_saveexec_b64 s[16:17], s[20:21]
; %bb.540:
	v_xor_b32_e32 v24, 0x80000000, v22
	ds_write_b32 v23, v24
; %bb.541:
	s_or_b64 exec, exec, s[16:17]
	v_cmp_gt_u32_e64 s[16:17], 29, v20
	s_and_b64 s[20:21], s[16:17], s[90:91]
	s_waitcnt lgkmcnt(0)
	s_barrier
	s_and_saveexec_b64 s[16:17], s[20:21]
	s_cbranch_execz .LBB2_543
; %bb.542:
	v_lshlrev_b32_e32 v24, 2, v20
	ds_read_b32 v24, v24 offset:7424
	ds_read_b32 v25, v23
	s_waitcnt lgkmcnt(0)
	v_fma_f32 v22, -v24, v25, v22
.LBB2_543:
	s_or_b64 exec, exec, s[16:17]
	v_cmp_eq_u32_e64 s[16:17], 28, v20
	s_and_b64 s[20:21], s[16:17], s[90:91]
	s_barrier
	s_and_saveexec_b64 s[16:17], s[20:21]
; %bb.544:
	v_xor_b32_e32 v24, 0x80000000, v22
	ds_write_b32 v23, v24
; %bb.545:
	s_or_b64 exec, exec, s[16:17]
	v_cmp_gt_u32_e64 s[16:17], 28, v20
	s_and_b64 s[20:21], s[16:17], s[90:91]
	s_waitcnt lgkmcnt(0)
	s_barrier
	s_and_saveexec_b64 s[16:17], s[20:21]
	s_cbranch_execz .LBB2_547
; %bb.546:
	v_lshlrev_b32_e32 v24, 2, v20
	ds_read_b32 v24, v24 offset:7168
	ds_read_b32 v25, v23
	s_waitcnt lgkmcnt(0)
	v_fma_f32 v22, -v24, v25, v22
.LBB2_547:
	s_or_b64 exec, exec, s[16:17]
	v_cmp_eq_u32_e64 s[16:17], 27, v20
	s_and_b64 s[20:21], s[16:17], s[90:91]
	s_barrier
	s_and_saveexec_b64 s[16:17], s[20:21]
; %bb.548:
	v_xor_b32_e32 v24, 0x80000000, v22
	ds_write_b32 v23, v24
; %bb.549:
	s_or_b64 exec, exec, s[16:17]
	v_cmp_gt_u32_e64 s[16:17], 27, v20
	s_and_b64 s[20:21], s[16:17], s[90:91]
	s_waitcnt lgkmcnt(0)
	s_barrier
	s_and_saveexec_b64 s[16:17], s[20:21]
	s_cbranch_execz .LBB2_551
; %bb.550:
	v_lshlrev_b32_e32 v24, 2, v20
	ds_read_b32 v24, v24 offset:6912
	ds_read_b32 v25, v23
	s_waitcnt lgkmcnt(0)
	v_fma_f32 v22, -v24, v25, v22
.LBB2_551:
	s_or_b64 exec, exec, s[16:17]
	v_cmp_eq_u32_e64 s[16:17], 26, v20
	s_and_b64 s[20:21], s[16:17], s[90:91]
	s_barrier
	s_and_saveexec_b64 s[16:17], s[20:21]
; %bb.552:
	v_xor_b32_e32 v24, 0x80000000, v22
	ds_write_b32 v23, v24
; %bb.553:
	s_or_b64 exec, exec, s[16:17]
	v_cmp_gt_u32_e64 s[16:17], 26, v20
	s_and_b64 s[20:21], s[16:17], s[90:91]
	s_waitcnt lgkmcnt(0)
	s_barrier
	s_and_saveexec_b64 s[16:17], s[20:21]
	s_cbranch_execz .LBB2_555
; %bb.554:
	v_lshlrev_b32_e32 v24, 2, v20
	ds_read_b32 v24, v24 offset:6656
	ds_read_b32 v25, v23
	s_waitcnt lgkmcnt(0)
	v_fma_f32 v22, -v24, v25, v22
.LBB2_555:
	s_or_b64 exec, exec, s[16:17]
	v_cmp_eq_u32_e64 s[16:17], 25, v20
	s_and_b64 s[20:21], s[16:17], s[90:91]
	s_barrier
	s_and_saveexec_b64 s[16:17], s[20:21]
; %bb.556:
	v_xor_b32_e32 v24, 0x80000000, v22
	ds_write_b32 v23, v24
; %bb.557:
	s_or_b64 exec, exec, s[16:17]
	v_cmp_gt_u32_e64 s[16:17], 25, v20
	s_and_b64 s[20:21], s[16:17], s[90:91]
	s_waitcnt lgkmcnt(0)
	s_barrier
	s_and_saveexec_b64 s[16:17], s[20:21]
	s_cbranch_execz .LBB2_559
; %bb.558:
	v_lshlrev_b32_e32 v24, 2, v20
	ds_read_b32 v24, v24 offset:6400
	ds_read_b32 v25, v23
	s_waitcnt lgkmcnt(0)
	v_fma_f32 v22, -v24, v25, v22
.LBB2_559:
	s_or_b64 exec, exec, s[16:17]
	v_cmp_eq_u32_e64 s[16:17], 24, v20
	s_and_b64 s[20:21], s[16:17], s[90:91]
	s_barrier
	s_and_saveexec_b64 s[16:17], s[20:21]
; %bb.560:
	v_xor_b32_e32 v24, 0x80000000, v22
	ds_write_b32 v23, v24
; %bb.561:
	s_or_b64 exec, exec, s[16:17]
	v_cmp_gt_u32_e64 s[16:17], 24, v20
	s_and_b64 s[20:21], s[16:17], s[90:91]
	s_waitcnt lgkmcnt(0)
	s_barrier
	s_and_saveexec_b64 s[16:17], s[20:21]
	s_cbranch_execz .LBB2_563
; %bb.562:
	v_lshlrev_b32_e32 v24, 2, v20
	ds_read_b32 v24, v24 offset:6144
	ds_read_b32 v25, v23
	s_waitcnt lgkmcnt(0)
	v_fma_f32 v22, -v24, v25, v22
.LBB2_563:
	s_or_b64 exec, exec, s[16:17]
	v_cmp_eq_u32_e64 s[16:17], 23, v20
	s_and_b64 s[20:21], s[16:17], s[90:91]
	s_barrier
	s_and_saveexec_b64 s[16:17], s[20:21]
; %bb.564:
	v_xor_b32_e32 v24, 0x80000000, v22
	ds_write_b32 v23, v24
; %bb.565:
	s_or_b64 exec, exec, s[16:17]
	v_cmp_gt_u32_e64 s[16:17], 23, v20
	s_and_b64 s[20:21], s[16:17], s[90:91]
	s_waitcnt lgkmcnt(0)
	s_barrier
	s_and_saveexec_b64 s[16:17], s[20:21]
	s_cbranch_execz .LBB2_567
; %bb.566:
	v_lshlrev_b32_e32 v24, 2, v20
	ds_read_b32 v24, v24 offset:5888
	ds_read_b32 v25, v23
	s_waitcnt lgkmcnt(0)
	v_fma_f32 v22, -v24, v25, v22
.LBB2_567:
	s_or_b64 exec, exec, s[16:17]
	v_cmp_eq_u32_e64 s[16:17], 22, v20
	s_and_b64 s[20:21], s[16:17], s[90:91]
	s_barrier
	s_and_saveexec_b64 s[16:17], s[20:21]
; %bb.568:
	v_xor_b32_e32 v24, 0x80000000, v22
	ds_write_b32 v23, v24
; %bb.569:
	s_or_b64 exec, exec, s[16:17]
	v_cmp_gt_u32_e64 s[16:17], 22, v20
	s_and_b64 s[20:21], s[16:17], s[90:91]
	s_waitcnt lgkmcnt(0)
	s_barrier
	s_and_saveexec_b64 s[16:17], s[20:21]
	s_cbranch_execz .LBB2_571
; %bb.570:
	v_lshlrev_b32_e32 v24, 2, v20
	ds_read_b32 v24, v24 offset:5632
	ds_read_b32 v25, v23
	s_waitcnt lgkmcnt(0)
	v_fma_f32 v22, -v24, v25, v22
.LBB2_571:
	s_or_b64 exec, exec, s[16:17]
	v_cmp_eq_u32_e64 s[16:17], 21, v20
	s_and_b64 s[20:21], s[16:17], s[90:91]
	s_barrier
	s_and_saveexec_b64 s[16:17], s[20:21]
; %bb.572:
	v_xor_b32_e32 v24, 0x80000000, v22
	ds_write_b32 v23, v24
; %bb.573:
	s_or_b64 exec, exec, s[16:17]
	v_cmp_gt_u32_e64 s[16:17], 21, v20
	s_and_b64 s[20:21], s[16:17], s[90:91]
	s_waitcnt lgkmcnt(0)
	s_barrier
	s_and_saveexec_b64 s[16:17], s[20:21]
	s_cbranch_execz .LBB2_575
; %bb.574:
	v_lshlrev_b32_e32 v24, 2, v20
	ds_read_b32 v24, v24 offset:5376
	ds_read_b32 v25, v23
	s_waitcnt lgkmcnt(0)
	v_fma_f32 v22, -v24, v25, v22
.LBB2_575:
	s_or_b64 exec, exec, s[16:17]
	v_cmp_eq_u32_e64 s[16:17], 20, v20
	s_and_b64 s[20:21], s[16:17], s[90:91]
	s_barrier
	s_and_saveexec_b64 s[16:17], s[20:21]
; %bb.576:
	v_xor_b32_e32 v24, 0x80000000, v22
	ds_write_b32 v23, v24
; %bb.577:
	s_or_b64 exec, exec, s[16:17]
	v_cmp_gt_u32_e64 s[16:17], 20, v20
	s_and_b64 s[20:21], s[16:17], s[90:91]
	s_waitcnt lgkmcnt(0)
	s_barrier
	s_and_saveexec_b64 s[16:17], s[20:21]
	s_cbranch_execz .LBB2_579
; %bb.578:
	v_lshlrev_b32_e32 v24, 2, v20
	ds_read_b32 v24, v24 offset:5120
	ds_read_b32 v25, v23
	s_waitcnt lgkmcnt(0)
	v_fma_f32 v22, -v24, v25, v22
.LBB2_579:
	s_or_b64 exec, exec, s[16:17]
	v_cmp_eq_u32_e64 s[16:17], 19, v20
	s_and_b64 s[20:21], s[16:17], s[90:91]
	s_barrier
	s_and_saveexec_b64 s[16:17], s[20:21]
; %bb.580:
	v_xor_b32_e32 v24, 0x80000000, v22
	ds_write_b32 v23, v24
; %bb.581:
	s_or_b64 exec, exec, s[16:17]
	v_cmp_gt_u32_e64 s[16:17], 19, v20
	s_and_b64 s[20:21], s[16:17], s[90:91]
	s_waitcnt lgkmcnt(0)
	s_barrier
	s_and_saveexec_b64 s[16:17], s[20:21]
	s_cbranch_execz .LBB2_583
; %bb.582:
	v_lshlrev_b32_e32 v24, 2, v20
	ds_read_b32 v24, v24 offset:4864
	ds_read_b32 v25, v23
	s_waitcnt lgkmcnt(0)
	v_fma_f32 v22, -v24, v25, v22
.LBB2_583:
	s_or_b64 exec, exec, s[16:17]
	v_cmp_eq_u32_e64 s[16:17], 18, v20
	s_and_b64 s[20:21], s[16:17], s[90:91]
	s_barrier
	s_and_saveexec_b64 s[16:17], s[20:21]
; %bb.584:
	v_xor_b32_e32 v24, 0x80000000, v22
	ds_write_b32 v23, v24
; %bb.585:
	s_or_b64 exec, exec, s[16:17]
	v_cmp_gt_u32_e64 s[16:17], 18, v20
	s_and_b64 s[20:21], s[16:17], s[90:91]
	s_waitcnt lgkmcnt(0)
	s_barrier
	s_and_saveexec_b64 s[16:17], s[20:21]
	s_cbranch_execz .LBB2_587
; %bb.586:
	v_lshlrev_b32_e32 v24, 2, v20
	ds_read_b32 v24, v24 offset:4608
	ds_read_b32 v25, v23
	s_waitcnt lgkmcnt(0)
	v_fma_f32 v22, -v24, v25, v22
.LBB2_587:
	s_or_b64 exec, exec, s[16:17]
	v_cmp_eq_u32_e64 s[16:17], 17, v20
	s_and_b64 s[20:21], s[16:17], s[90:91]
	s_barrier
	s_and_saveexec_b64 s[16:17], s[20:21]
; %bb.588:
	v_xor_b32_e32 v24, 0x80000000, v22
	ds_write_b32 v23, v24
; %bb.589:
	s_or_b64 exec, exec, s[16:17]
	v_cmp_gt_u32_e64 s[16:17], 17, v20
	s_and_b64 s[20:21], s[16:17], s[90:91]
	s_waitcnt lgkmcnt(0)
	s_barrier
	s_and_saveexec_b64 s[16:17], s[20:21]
	s_cbranch_execz .LBB2_591
; %bb.590:
	v_lshlrev_b32_e32 v24, 2, v20
	ds_read_b32 v24, v24 offset:4352
	ds_read_b32 v25, v23
	s_waitcnt lgkmcnt(0)
	v_fma_f32 v22, -v24, v25, v22
.LBB2_591:
	s_or_b64 exec, exec, s[16:17]
	v_cmp_eq_u32_e64 s[16:17], 16, v20
	s_and_b64 s[20:21], s[16:17], s[90:91]
	s_barrier
	s_and_saveexec_b64 s[16:17], s[20:21]
; %bb.592:
	v_xor_b32_e32 v24, 0x80000000, v22
	ds_write_b32 v23, v24
; %bb.593:
	s_or_b64 exec, exec, s[16:17]
	v_cmp_gt_u32_e64 s[16:17], 16, v20
	s_and_b64 s[20:21], s[16:17], s[90:91]
	s_waitcnt lgkmcnt(0)
	s_barrier
	s_and_saveexec_b64 s[16:17], s[20:21]
	s_cbranch_execz .LBB2_595
; %bb.594:
	v_lshlrev_b32_e32 v24, 2, v20
	ds_read_b32 v24, v24 offset:4096
	ds_read_b32 v25, v23
	s_waitcnt lgkmcnt(0)
	v_fma_f32 v22, -v24, v25, v22
.LBB2_595:
	s_or_b64 exec, exec, s[16:17]
	v_cmp_eq_u32_e64 s[16:17], 15, v20
	s_and_b64 s[20:21], s[16:17], s[90:91]
	s_barrier
	s_and_saveexec_b64 s[16:17], s[20:21]
; %bb.596:
	v_xor_b32_e32 v24, 0x80000000, v22
	ds_write_b32 v23, v24
; %bb.597:
	s_or_b64 exec, exec, s[16:17]
	v_cmp_gt_u32_e64 s[16:17], 15, v20
	s_and_b64 s[20:21], s[16:17], s[90:91]
	s_waitcnt lgkmcnt(0)
	s_barrier
	s_and_saveexec_b64 s[16:17], s[20:21]
	s_cbranch_execz .LBB2_599
; %bb.598:
	v_lshlrev_b32_e32 v24, 2, v20
	ds_read_b32 v24, v24 offset:3840
	ds_read_b32 v25, v23
	s_waitcnt lgkmcnt(0)
	v_fma_f32 v22, -v24, v25, v22
.LBB2_599:
	s_or_b64 exec, exec, s[16:17]
	v_cmp_eq_u32_e64 s[16:17], 14, v20
	s_and_b64 s[20:21], s[16:17], s[90:91]
	s_barrier
	s_and_saveexec_b64 s[16:17], s[20:21]
; %bb.600:
	v_xor_b32_e32 v24, 0x80000000, v22
	ds_write_b32 v23, v24
; %bb.601:
	s_or_b64 exec, exec, s[16:17]
	v_cmp_gt_u32_e64 s[16:17], 14, v20
	s_and_b64 s[20:21], s[16:17], s[90:91]
	s_waitcnt lgkmcnt(0)
	s_barrier
	s_and_saveexec_b64 s[16:17], s[20:21]
	s_cbranch_execz .LBB2_603
; %bb.602:
	v_lshlrev_b32_e32 v24, 2, v20
	ds_read_b32 v24, v24 offset:3584
	ds_read_b32 v25, v23
	s_waitcnt lgkmcnt(0)
	v_fma_f32 v22, -v24, v25, v22
.LBB2_603:
	s_or_b64 exec, exec, s[16:17]
	v_cmp_eq_u32_e64 s[16:17], 13, v20
	s_and_b64 s[20:21], s[16:17], s[90:91]
	s_barrier
	s_and_saveexec_b64 s[16:17], s[20:21]
; %bb.604:
	v_xor_b32_e32 v24, 0x80000000, v22
	ds_write_b32 v23, v24
; %bb.605:
	s_or_b64 exec, exec, s[16:17]
	v_cmp_gt_u32_e64 s[16:17], 13, v20
	s_and_b64 s[20:21], s[16:17], s[90:91]
	s_waitcnt lgkmcnt(0)
	s_barrier
	s_and_saveexec_b64 s[16:17], s[20:21]
	s_cbranch_execz .LBB2_607
; %bb.606:
	v_lshlrev_b32_e32 v24, 2, v20
	ds_read_b32 v24, v24 offset:3328
	ds_read_b32 v25, v23
	s_waitcnt lgkmcnt(0)
	v_fma_f32 v22, -v24, v25, v22
.LBB2_607:
	s_or_b64 exec, exec, s[16:17]
	v_cmp_eq_u32_e64 s[16:17], 12, v20
	s_and_b64 s[20:21], s[16:17], s[90:91]
	s_barrier
	s_and_saveexec_b64 s[16:17], s[20:21]
; %bb.608:
	v_xor_b32_e32 v24, 0x80000000, v22
	ds_write_b32 v23, v24
; %bb.609:
	s_or_b64 exec, exec, s[16:17]
	v_cmp_gt_u32_e64 s[16:17], 12, v20
	s_and_b64 s[20:21], s[16:17], s[90:91]
	s_waitcnt lgkmcnt(0)
	s_barrier
	s_and_saveexec_b64 s[16:17], s[20:21]
	s_cbranch_execz .LBB2_611
; %bb.610:
	v_lshlrev_b32_e32 v24, 2, v20
	ds_read_b32 v24, v24 offset:3072
	ds_read_b32 v25, v23
	s_waitcnt lgkmcnt(0)
	v_fma_f32 v22, -v24, v25, v22
.LBB2_611:
	s_or_b64 exec, exec, s[16:17]
	v_cmp_eq_u32_e64 s[16:17], 11, v20
	s_and_b64 s[20:21], s[16:17], s[90:91]
	s_barrier
	s_and_saveexec_b64 s[16:17], s[20:21]
; %bb.612:
	v_xor_b32_e32 v24, 0x80000000, v22
	ds_write_b32 v23, v24
; %bb.613:
	s_or_b64 exec, exec, s[16:17]
	v_cmp_gt_u32_e64 s[16:17], 11, v20
	s_and_b64 s[20:21], s[16:17], s[90:91]
	s_waitcnt lgkmcnt(0)
	s_barrier
	s_and_saveexec_b64 s[16:17], s[20:21]
	s_cbranch_execz .LBB2_615
; %bb.614:
	v_lshlrev_b32_e32 v24, 2, v20
	ds_read_b32 v24, v24 offset:2816
	ds_read_b32 v25, v23
	s_waitcnt lgkmcnt(0)
	v_fma_f32 v22, -v24, v25, v22
.LBB2_615:
	s_or_b64 exec, exec, s[16:17]
	v_cmp_eq_u32_e64 s[16:17], 10, v20
	s_and_b64 s[20:21], s[16:17], s[90:91]
	s_barrier
	s_and_saveexec_b64 s[16:17], s[20:21]
; %bb.616:
	v_xor_b32_e32 v24, 0x80000000, v22
	ds_write_b32 v23, v24
; %bb.617:
	s_or_b64 exec, exec, s[16:17]
	v_cmp_gt_u32_e64 s[16:17], 10, v20
	s_and_b64 s[20:21], s[16:17], s[90:91]
	s_waitcnt lgkmcnt(0)
	s_barrier
	s_and_saveexec_b64 s[16:17], s[20:21]
	s_cbranch_execz .LBB2_619
; %bb.618:
	v_lshlrev_b32_e32 v24, 2, v20
	ds_read_b32 v24, v24 offset:2560
	ds_read_b32 v25, v23
	s_waitcnt lgkmcnt(0)
	v_fma_f32 v22, -v24, v25, v22
.LBB2_619:
	s_or_b64 exec, exec, s[16:17]
	v_cmp_eq_u32_e64 s[16:17], 9, v20
	s_and_b64 s[20:21], s[16:17], s[90:91]
	s_barrier
	s_and_saveexec_b64 s[16:17], s[20:21]
; %bb.620:
	v_xor_b32_e32 v24, 0x80000000, v22
	ds_write_b32 v23, v24
; %bb.621:
	s_or_b64 exec, exec, s[16:17]
	v_cmp_gt_u32_e64 s[16:17], 9, v20
	s_and_b64 s[20:21], s[16:17], s[90:91]
	s_waitcnt lgkmcnt(0)
	s_barrier
	s_and_saveexec_b64 s[16:17], s[20:21]
	s_cbranch_execz .LBB2_623
; %bb.622:
	v_lshlrev_b32_e32 v24, 2, v20
	ds_read_b32 v24, v24 offset:2304
	ds_read_b32 v25, v23
	s_waitcnt lgkmcnt(0)
	v_fma_f32 v22, -v24, v25, v22
.LBB2_623:
	s_or_b64 exec, exec, s[16:17]
	v_cmp_eq_u32_e64 s[16:17], 8, v20
	s_and_b64 s[20:21], s[16:17], s[90:91]
	s_barrier
	s_and_saveexec_b64 s[16:17], s[20:21]
; %bb.624:
	v_xor_b32_e32 v24, 0x80000000, v22
	ds_write_b32 v23, v24
; %bb.625:
	s_or_b64 exec, exec, s[16:17]
	v_cmp_gt_u32_e64 s[16:17], 8, v20
	s_and_b64 s[20:21], s[16:17], s[90:91]
	s_waitcnt lgkmcnt(0)
	s_barrier
	s_and_saveexec_b64 s[16:17], s[20:21]
	s_cbranch_execz .LBB2_627
; %bb.626:
	v_lshlrev_b32_e32 v24, 2, v20
	ds_read_b32 v24, v24 offset:2048
	ds_read_b32 v25, v23
	s_waitcnt lgkmcnt(0)
	v_fma_f32 v22, -v24, v25, v22
.LBB2_627:
	s_or_b64 exec, exec, s[16:17]
	v_cmp_eq_u32_e64 s[16:17], 7, v20
	s_and_b64 s[20:21], s[16:17], s[90:91]
	s_barrier
	s_and_saveexec_b64 s[16:17], s[20:21]
; %bb.628:
	v_xor_b32_e32 v24, 0x80000000, v22
	ds_write_b32 v23, v24
; %bb.629:
	s_or_b64 exec, exec, s[16:17]
	v_cmp_gt_u32_e64 s[16:17], 7, v20
	s_and_b64 s[20:21], s[16:17], s[90:91]
	s_waitcnt lgkmcnt(0)
	s_barrier
	s_and_saveexec_b64 s[16:17], s[20:21]
	s_cbranch_execz .LBB2_631
; %bb.630:
	v_lshlrev_b32_e32 v24, 2, v20
	ds_read_b32 v24, v24 offset:1792
	ds_read_b32 v25, v23
	s_waitcnt lgkmcnt(0)
	v_fma_f32 v22, -v24, v25, v22
.LBB2_631:
	s_or_b64 exec, exec, s[16:17]
	v_cmp_eq_u32_e64 s[16:17], 6, v20
	s_and_b64 s[20:21], s[16:17], s[90:91]
	s_barrier
	s_and_saveexec_b64 s[16:17], s[20:21]
; %bb.632:
	v_xor_b32_e32 v24, 0x80000000, v22
	ds_write_b32 v23, v24
; %bb.633:
	s_or_b64 exec, exec, s[16:17]
	v_cmp_gt_u32_e64 s[16:17], 6, v20
	s_and_b64 s[20:21], s[16:17], s[90:91]
	s_waitcnt lgkmcnt(0)
	s_barrier
	s_and_saveexec_b64 s[16:17], s[20:21]
	s_cbranch_execz .LBB2_635
; %bb.634:
	v_lshlrev_b32_e32 v24, 2, v20
	ds_read_b32 v24, v24 offset:1536
	ds_read_b32 v25, v23
	s_waitcnt lgkmcnt(0)
	v_fma_f32 v22, -v24, v25, v22
.LBB2_635:
	s_or_b64 exec, exec, s[16:17]
	v_cmp_eq_u32_e64 s[16:17], 5, v20
	s_and_b64 s[20:21], s[16:17], s[90:91]
	s_barrier
	s_and_saveexec_b64 s[16:17], s[20:21]
; %bb.636:
	v_xor_b32_e32 v24, 0x80000000, v22
	ds_write_b32 v23, v24
; %bb.637:
	s_or_b64 exec, exec, s[16:17]
	v_cmp_gt_u32_e64 s[16:17], 5, v20
	s_and_b64 s[20:21], s[16:17], s[90:91]
	s_waitcnt lgkmcnt(0)
	s_barrier
	s_and_saveexec_b64 s[16:17], s[20:21]
	s_cbranch_execz .LBB2_639
; %bb.638:
	v_lshlrev_b32_e32 v24, 2, v20
	ds_read_b32 v24, v24 offset:1280
	ds_read_b32 v25, v23
	s_waitcnt lgkmcnt(0)
	v_fma_f32 v22, -v24, v25, v22
.LBB2_639:
	s_or_b64 exec, exec, s[16:17]
	v_cmp_eq_u32_e64 s[16:17], 4, v20
	s_and_b64 s[20:21], s[16:17], s[90:91]
	s_barrier
	s_and_saveexec_b64 s[16:17], s[20:21]
; %bb.640:
	v_xor_b32_e32 v24, 0x80000000, v22
	ds_write_b32 v23, v24
; %bb.641:
	s_or_b64 exec, exec, s[16:17]
	v_cmp_gt_u32_e64 s[16:17], 4, v20
	s_and_b64 s[20:21], s[16:17], s[90:91]
	s_waitcnt lgkmcnt(0)
	s_barrier
	s_and_saveexec_b64 s[16:17], s[20:21]
	s_cbranch_execz .LBB2_643
; %bb.642:
	v_lshlrev_b32_e32 v24, 2, v20
	ds_read_b32 v24, v24 offset:1024
	ds_read_b32 v25, v23
	s_waitcnt lgkmcnt(0)
	v_fma_f32 v22, -v24, v25, v22
.LBB2_643:
	s_or_b64 exec, exec, s[16:17]
	v_cmp_eq_u32_e64 s[16:17], 3, v20
	s_and_b64 s[20:21], s[16:17], s[90:91]
	s_barrier
	s_and_saveexec_b64 s[16:17], s[20:21]
; %bb.644:
	v_xor_b32_e32 v24, 0x80000000, v22
	ds_write_b32 v23, v24
; %bb.645:
	s_or_b64 exec, exec, s[16:17]
	v_cmp_gt_u32_e64 s[16:17], 3, v20
	s_and_b64 s[20:21], s[16:17], s[90:91]
	s_waitcnt lgkmcnt(0)
	s_barrier
	s_and_saveexec_b64 s[16:17], s[20:21]
	s_cbranch_execz .LBB2_647
; %bb.646:
	v_lshlrev_b32_e32 v24, 2, v20
	ds_read_b32 v24, v24 offset:768
	ds_read_b32 v25, v23
	s_waitcnt lgkmcnt(0)
	v_fma_f32 v22, -v24, v25, v22
.LBB2_647:
	s_or_b64 exec, exec, s[16:17]
	v_cmp_eq_u32_e64 s[16:17], 2, v20
	s_and_b64 s[20:21], s[16:17], s[90:91]
	s_barrier
	s_and_saveexec_b64 s[16:17], s[20:21]
; %bb.648:
	v_xor_b32_e32 v24, 0x80000000, v22
	ds_write_b32 v23, v24
; %bb.649:
	s_or_b64 exec, exec, s[16:17]
	v_cmp_gt_u32_e64 s[16:17], 2, v20
	s_and_b64 s[20:21], s[16:17], s[90:91]
	s_waitcnt lgkmcnt(0)
	s_barrier
	s_and_saveexec_b64 s[16:17], s[20:21]
	s_cbranch_execz .LBB2_651
; %bb.650:
	v_lshlrev_b32_e32 v24, 2, v20
	ds_read_b32 v24, v24 offset:512
	ds_read_b32 v25, v23
	s_waitcnt lgkmcnt(0)
	v_fma_f32 v22, -v24, v25, v22
.LBB2_651:
	s_or_b64 exec, exec, s[16:17]
	v_cmp_eq_u32_e64 s[16:17], 1, v20
	s_and_b64 s[20:21], s[16:17], s[90:91]
	s_barrier
	s_and_saveexec_b64 s[16:17], s[20:21]
; %bb.652:
	v_xor_b32_e32 v24, 0x80000000, v22
	ds_write_b32 v23, v24
; %bb.653:
	s_or_b64 exec, exec, s[16:17]
	v_cmp_eq_u32_e64 s[16:17], 0, v20
	s_and_b64 s[16:17], s[16:17], s[90:91]
	s_waitcnt lgkmcnt(0)
	s_barrier
	s_and_saveexec_b64 s[20:21], s[16:17]
	s_cbranch_execz .LBB2_655
; %bb.654:
	v_mov_b32_e32 v24, 0
	ds_read_b32 v24, v24 offset:256
	ds_read_b32 v25, v23
	s_waitcnt lgkmcnt(0)
	v_fma_f32 v22, -v24, v25, v22
.LBB2_655:
	s_or_b64 exec, exec, s[20:21]
	s_barrier
	s_and_saveexec_b64 s[20:21], s[16:17]
; %bb.656:
	v_xor_b32_e32 v24, 0x80000000, v22
	ds_write_b32 v23, v24
; %bb.657:
	s_or_b64 exec, exec, s[20:21]
	s_waitcnt lgkmcnt(0)
	s_barrier
	s_barrier
	s_and_saveexec_b64 s[16:17], s[14:15]
; %bb.658:
	v_lshlrev_b32_e32 v20, 2, v20
	v_lshl_or_b32 v20, v21, 8, v20
	ds_write_b32 v20, v22 offset:8192
; %bb.659:
	s_or_b64 exec, exec, s[16:17]
	v_cmp_gt_u32_e64 s[14:15], 32, v0
	s_and_b64 s[14:15], s[12:13], s[14:15]
	s_waitcnt lgkmcnt(0)
	s_barrier
	s_barrier
	s_and_saveexec_b64 s[12:13], s[14:15]
	s_cbranch_execz .LBB2_661
; %bb.660:
	v_lshlrev_b32_e32 v20, 8, v0
	ds_read_b32 v21, v20 offset:8192
	s_movk_i32 s14, 0xff04
	v_mad_i32_i24 v22, v0, s14, v20
	s_waitcnt lgkmcnt(0)
	ds_write_b32 v22, v21 offset:128
	ds_read_b32 v21, v20 offset:8196
	s_waitcnt lgkmcnt(0)
	ds_write_b32 v22, v21 offset:384
	ds_read_b32 v21, v20 offset:8200
	;; [unrolled: 3-line block ×31, first 2 shown]
	s_waitcnt lgkmcnt(0)
	ds_write_b32 v22, v20 offset:8064
.LBB2_661:
	s_or_b64 exec, exec, s[12:13]
	s_waitcnt lgkmcnt(0)
	s_barrier
	s_and_saveexec_b64 s[12:13], vcc
	s_cbranch_execz .LBB2_663
; %bb.662:
	v_mov_b32_e32 v22, 0
	ds_read_b32 v21, v22 offset:8056
	v_mov_b32_e32 v20, 1.0
	ds_write_b32 v22, v20 offset:8060
	s_waitcnt lgkmcnt(1)
	ds_write_b64 v22, v[20:21] offset:7800
.LBB2_663:
	s_or_b64 exec, exec, s[12:13]
	v_mov_b32_e32 v20, 0
	s_waitcnt lgkmcnt(0)
	s_barrier
	buffer_wbinvl1_vol
	s_and_saveexec_b64 s[14:15], s[2:3]
	s_cbranch_execz .LBB2_667
; %bb.664:
	v_lshlrev_b32_e32 v20, 8, v3
	v_lshlrev_b32_e32 v21, 2, v2
	ds_read_b32 v22, v21 offset:7792
	ds_read_b32 v20, v20 offset:7800
	v_mov_b32_e32 v21, 0
	v_cmp_gt_u32_e64 s[12:13], 2, v5
	s_waitcnt lgkmcnt(0)
	v_fma_f32 v20, v22, v20, 0
	s_and_saveexec_b64 s[16:17], s[12:13]
	s_cbranch_execz .LBB2_666
; %bb.665:
	v_lshlrev_b32_e32 v22, 2, v0
	ds_read_b32 v22, v22 offset:8048
	ds_read_b32 v21, v21 offset:8060
	s_waitcnt lgkmcnt(0)
	v_fmac_f32_e32 v20, v22, v21
.LBB2_666:
	s_or_b64 exec, exec, s[16:17]
.LBB2_667:
	s_or_b64 exec, exec, s[14:15]
	s_and_saveexec_b64 s[12:13], s[28:29]
; %bb.668:
	v_xor_b32_e32 v21, 0x80000000, v20
	ds_write_b32 v4, v21
; %bb.669:
	s_or_b64 exec, exec, s[12:13]
	s_waitcnt lgkmcnt(0)
	s_barrier
	s_and_saveexec_b64 s[12:13], s[26:27]
	s_cbranch_execz .LBB2_671
; %bb.670:
	v_mov_b32_e32 v21, 0
	ds_read_b32 v21, v21 offset:7536
	ds_read_b32 v22, v4
	s_waitcnt lgkmcnt(0)
	v_fma_f32 v20, -v21, v22, v20
.LBB2_671:
	s_or_b64 exec, exec, s[12:13]
	s_barrier
	s_and_saveexec_b64 s[12:13], s[26:27]
; %bb.672:
	v_xor_b32_e32 v21, 0x80000000, v20
	ds_write_b32 v4, v21
; %bb.673:
	s_or_b64 exec, exec, s[12:13]
	s_waitcnt lgkmcnt(0)
	s_barrier
	s_barrier
	s_and_saveexec_b64 s[12:13], s[2:3]
; %bb.674:
	v_lshlrev_b32_e32 v21, 2, v2
	v_lshl_or_b32 v21, v3, 8, v21
	ds_write_b32 v21, v20 offset:7792
; %bb.675:
	s_or_b64 exec, exec, s[12:13]
	s_waitcnt lgkmcnt(0)
	s_barrier
	s_barrier
	s_and_saveexec_b64 s[12:13], s[30:31]
	s_cbranch_execz .LBB2_677
; %bb.676:
	v_lshlrev_b32_e32 v20, 2, v0
	s_movk_i32 s14, 0xfc
	v_mad_u32_u24 v21, v0, s14, v20
	ds_read_b32 v22, v21 offset:7792
	s_waitcnt lgkmcnt(0)
	ds_write_b32 v20, v22 offset:7288
	ds_read_b32 v21, v21 offset:7796
	s_waitcnt lgkmcnt(0)
	ds_write_b32 v20, v21 offset:7544
.LBB2_677:
	s_or_b64 exec, exec, s[12:13]
	s_waitcnt lgkmcnt(0)
	s_barrier
	s_and_saveexec_b64 s[12:13], vcc
	s_cbranch_execz .LBB2_679
; %bb.678:
	v_mov_b32_e32 v22, 0
	ds_read_b32 v21, v22 offset:7536
	v_mov_b32_e32 v20, 1.0
	ds_write_b32 v22, v20 offset:7540
	s_waitcnt lgkmcnt(1)
	ds_write_b64 v22, v[20:21] offset:7280
.LBB2_679:
	s_or_b64 exec, exec, s[12:13]
	v_mov_b32_e32 v20, 0
	s_waitcnt lgkmcnt(0)
	s_barrier
	buffer_wbinvl1_vol
	s_and_saveexec_b64 s[14:15], s[18:19]
	s_cbranch_execz .LBB2_685
; %bb.680:
	v_lshlrev_b32_e32 v22, 2, v11
	v_lshlrev_b32_e32 v21, 8, v12
	ds_read_b32 v20, v22 offset:7264
	ds_read_b32 v23, v21 offset:7280
	v_cmp_gt_u32_e64 s[12:13], 12, v5
	s_waitcnt lgkmcnt(0)
	v_fma_f32 v20, v20, v23, 0
	s_and_saveexec_b64 s[16:17], s[12:13]
	s_cbranch_execnz .LBB2_1198
; %bb.681:
	s_or_b64 exec, exec, s[16:17]
	v_cmp_gt_u32_e64 s[12:13], 8, v5
	s_and_saveexec_b64 s[16:17], s[12:13]
	s_cbranch_execnz .LBB2_1199
.LBB2_682:
	s_or_b64 exec, exec, s[16:17]
	v_cmp_gt_u32_e64 s[12:13], 4, v5
	s_and_saveexec_b64 s[16:17], s[12:13]
	s_cbranch_execz .LBB2_684
.LBB2_683:
	v_lshlrev_b32_e32 v21, 2, v0
	v_mov_b32_e32 v22, 0
	ds_read_b32 v21, v21 offset:8032
	ds_read_b32 v22, v22 offset:8060
	s_waitcnt lgkmcnt(0)
	v_fmac_f32_e32 v20, v21, v22
.LBB2_684:
	s_or_b64 exec, exec, s[16:17]
.LBB2_685:
	s_or_b64 exec, exec, s[14:15]
	s_and_saveexec_b64 s[12:13], s[36:37]
; %bb.686:
	v_xor_b32_e32 v21, 0x80000000, v20
	ds_write_b32 v13, v21
; %bb.687:
	s_or_b64 exec, exec, s[12:13]
	s_waitcnt lgkmcnt(0)
	s_barrier
	s_and_saveexec_b64 s[12:13], s[38:39]
	s_cbranch_execz .LBB2_689
; %bb.688:
	v_lshlrev_b32_e32 v21, 2, v11
	ds_read_b32 v21, v21 offset:7008
	ds_read_b32 v22, v13
	s_waitcnt lgkmcnt(0)
	v_fma_f32 v20, -v21, v22, v20
.LBB2_689:
	s_or_b64 exec, exec, s[12:13]
	s_barrier
	s_and_saveexec_b64 s[12:13], s[42:43]
; %bb.690:
	v_xor_b32_e32 v21, 0x80000000, v20
	ds_write_b32 v13, v21
; %bb.691:
	s_or_b64 exec, exec, s[12:13]
	s_waitcnt lgkmcnt(0)
	s_barrier
	s_and_saveexec_b64 s[12:13], s[44:45]
	s_cbranch_execz .LBB2_693
; %bb.692:
	v_lshlrev_b32_e32 v21, 2, v11
	ds_read_b32 v21, v21 offset:6752
	ds_read_b32 v22, v13
	s_waitcnt lgkmcnt(0)
	v_fma_f32 v20, -v21, v22, v20
.LBB2_693:
	s_or_b64 exec, exec, s[12:13]
	s_barrier
	s_and_saveexec_b64 s[12:13], s[52:53]
; %bb.694:
	v_xor_b32_e32 v21, 0x80000000, v20
	ds_write_b32 v13, v21
; %bb.695:
	s_or_b64 exec, exec, s[12:13]
	s_waitcnt lgkmcnt(0)
	s_barrier
	s_and_saveexec_b64 s[12:13], s[34:35]
	s_cbranch_execz .LBB2_697
; %bb.696:
	v_mov_b32_e32 v21, 0
	ds_read_b32 v21, v21 offset:6496
	ds_read_b32 v22, v13
	s_waitcnt lgkmcnt(0)
	v_fma_f32 v20, -v21, v22, v20
.LBB2_697:
	s_or_b64 exec, exec, s[12:13]
	s_barrier
	s_and_saveexec_b64 s[12:13], s[34:35]
; %bb.698:
	v_xor_b32_e32 v21, 0x80000000, v20
	ds_write_b32 v13, v21
; %bb.699:
	s_or_b64 exec, exec, s[12:13]
	s_waitcnt lgkmcnt(0)
	s_barrier
	s_barrier
	s_and_saveexec_b64 s[12:13], s[18:19]
; %bb.700:
	v_lshlrev_b32_e32 v21, 2, v11
	v_lshl_or_b32 v21, v12, 8, v21
	ds_write_b32 v21, v20 offset:7264
; %bb.701:
	s_or_b64 exec, exec, s[12:13]
	s_waitcnt lgkmcnt(0)
	s_barrier
	s_barrier
	s_and_saveexec_b64 s[12:13], s[54:55]
	s_cbranch_execz .LBB2_703
; %bb.702:
	v_lshlrev_b32_e32 v20, 8, v0
	ds_read_b32 v21, v20 offset:7264
	s_movk_i32 s14, 0xff04
	v_mad_i32_i24 v22, v0, s14, v20
	s_waitcnt lgkmcnt(0)
	ds_write_b32 v22, v21 offset:6256
	ds_read_b32 v21, v20 offset:7268
	s_waitcnt lgkmcnt(0)
	ds_write_b32 v22, v21 offset:6512
	ds_read_b32 v21, v20 offset:7272
	;; [unrolled: 3-line block ×3, first 2 shown]
	s_waitcnt lgkmcnt(0)
	ds_write_b32 v22, v20 offset:7024
.LBB2_703:
	s_or_b64 exec, exec, s[12:13]
	s_waitcnt lgkmcnt(0)
	s_barrier
	s_and_saveexec_b64 s[12:13], vcc
	s_cbranch_execz .LBB2_705
; %bb.704:
	v_mov_b32_e32 v22, 0
	ds_read_b32 v21, v22 offset:7016
	v_mov_b32_e32 v20, 1.0
	ds_write_b32 v22, v20 offset:7020
	s_waitcnt lgkmcnt(1)
	ds_write_b64 v22, v[20:21] offset:6760
.LBB2_705:
	s_or_b64 exec, exec, s[12:13]
	v_mov_b32_e32 v20, 0
	s_waitcnt lgkmcnt(0)
	s_barrier
	buffer_wbinvl1_vol
	s_and_saveexec_b64 s[14:15], s[2:3]
	s_cbranch_execz .LBB2_709
; %bb.706:
	v_lshlrev_b32_e32 v20, 8, v3
	v_lshlrev_b32_e32 v21, 2, v2
	ds_read_b32 v22, v21 offset:6752
	ds_read_b32 v20, v20 offset:6760
	v_mov_b32_e32 v21, 0
	v_cmp_gt_u32_e64 s[12:13], 2, v5
	s_waitcnt lgkmcnt(0)
	v_fma_f32 v20, v22, v20, 0
	s_and_saveexec_b64 s[16:17], s[12:13]
	s_cbranch_execz .LBB2_708
; %bb.707:
	v_lshlrev_b32_e32 v22, 2, v0
	ds_read_b32 v22, v22 offset:7008
	ds_read_b32 v21, v21 offset:7020
	s_waitcnt lgkmcnt(0)
	v_fmac_f32_e32 v20, v22, v21
.LBB2_708:
	s_or_b64 exec, exec, s[16:17]
.LBB2_709:
	s_or_b64 exec, exec, s[14:15]
	s_and_saveexec_b64 s[12:13], s[28:29]
; %bb.710:
	v_xor_b32_e32 v21, 0x80000000, v20
	ds_write_b32 v4, v21
; %bb.711:
	s_or_b64 exec, exec, s[12:13]
	s_waitcnt lgkmcnt(0)
	s_barrier
	s_and_saveexec_b64 s[12:13], s[26:27]
	s_cbranch_execz .LBB2_713
; %bb.712:
	v_mov_b32_e32 v21, 0
	ds_read_b32 v21, v21 offset:6496
	ds_read_b32 v22, v4
	s_waitcnt lgkmcnt(0)
	v_fma_f32 v20, -v21, v22, v20
.LBB2_713:
	s_or_b64 exec, exec, s[12:13]
	s_barrier
	s_and_saveexec_b64 s[12:13], s[26:27]
; %bb.714:
	v_xor_b32_e32 v21, 0x80000000, v20
	ds_write_b32 v4, v21
; %bb.715:
	s_or_b64 exec, exec, s[12:13]
	s_waitcnt lgkmcnt(0)
	s_barrier
	s_barrier
	s_and_saveexec_b64 s[12:13], s[2:3]
; %bb.716:
	v_lshlrev_b32_e32 v21, 2, v2
	v_lshl_or_b32 v21, v3, 8, v21
	ds_write_b32 v21, v20 offset:6752
; %bb.717:
	s_or_b64 exec, exec, s[12:13]
	s_waitcnt lgkmcnt(0)
	s_barrier
	s_barrier
	s_and_saveexec_b64 s[12:13], s[30:31]
	s_cbranch_execz .LBB2_719
; %bb.718:
	v_lshlrev_b32_e32 v20, 2, v0
	s_movk_i32 s14, 0xfc
	v_mad_u32_u24 v21, v0, s14, v20
	ds_read_b32 v22, v21 offset:6752
	s_waitcnt lgkmcnt(0)
	ds_write_b32 v20, v22 offset:6248
	ds_read_b32 v21, v21 offset:6756
	s_waitcnt lgkmcnt(0)
	ds_write_b32 v20, v21 offset:6504
.LBB2_719:
	s_or_b64 exec, exec, s[12:13]
	s_waitcnt lgkmcnt(0)
	s_barrier
	s_and_saveexec_b64 s[12:13], vcc
	s_cbranch_execz .LBB2_721
; %bb.720:
	v_mov_b32_e32 v22, 0
	ds_read_b32 v21, v22 offset:6496
	v_mov_b32_e32 v20, 1.0
	ds_write_b32 v22, v20 offset:6500
	s_waitcnt lgkmcnt(1)
	ds_write_b64 v22, v[20:21] offset:6240
.LBB2_721:
	s_or_b64 exec, exec, s[12:13]
	v_mov_b32_e32 v20, 0
	s_waitcnt lgkmcnt(0)
	s_barrier
	buffer_wbinvl1_vol
	s_and_saveexec_b64 s[14:15], s[8:9]
	s_cbranch_execz .LBB2_731
; %bb.722:
	v_lshlrev_b32_e32 v22, 2, v14
	v_lshlrev_b32_e32 v21, 8, v15
	ds_read_b32 v20, v22 offset:6208
	ds_read_b32 v23, v21 offset:6240
	v_cmp_gt_u32_e64 s[12:13], 56, v5
	s_waitcnt lgkmcnt(0)
	v_fma_f32 v20, v20, v23, 0
	s_and_saveexec_b64 s[16:17], s[12:13]
	s_cbranch_execnz .LBB2_1200
; %bb.723:
	s_or_b64 exec, exec, s[16:17]
	v_cmp_gt_u32_e64 s[12:13], 48, v5
	s_and_saveexec_b64 s[16:17], s[12:13]
	s_cbranch_execnz .LBB2_1201
.LBB2_724:
	s_or_b64 exec, exec, s[16:17]
	v_cmp_gt_u32_e64 s[12:13], 40, v5
	s_and_saveexec_b64 s[16:17], s[12:13]
	s_cbranch_execnz .LBB2_1202
.LBB2_725:
	s_or_b64 exec, exec, s[16:17]
	v_cmp_gt_u32_e64 s[12:13], 32, v5
	s_and_saveexec_b64 s[16:17], s[12:13]
	s_cbranch_execnz .LBB2_1203
.LBB2_726:
	s_or_b64 exec, exec, s[16:17]
	v_cmp_gt_u32_e64 s[12:13], 24, v5
	s_and_saveexec_b64 s[16:17], s[12:13]
	s_cbranch_execnz .LBB2_1204
.LBB2_727:
	s_or_b64 exec, exec, s[16:17]
	s_and_saveexec_b64 s[12:13], s[18:19]
	s_cbranch_execnz .LBB2_1205
.LBB2_728:
	s_or_b64 exec, exec, s[12:13]
	v_cmp_gt_u32_e64 s[12:13], 8, v5
	s_and_saveexec_b64 s[16:17], s[12:13]
	s_cbranch_execz .LBB2_730
.LBB2_729:
	v_lshlrev_b32_e32 v21, 2, v0
	v_mov_b32_e32 v22, 0
	ds_read_b32 v21, v21 offset:8000
	ds_read_b32 v22, v22 offset:8060
	s_waitcnt lgkmcnt(0)
	v_fmac_f32_e32 v20, v21, v22
.LBB2_730:
	s_or_b64 exec, exec, s[16:17]
.LBB2_731:
	s_or_b64 exec, exec, s[14:15]
	s_and_saveexec_b64 s[12:13], s[56:57]
; %bb.732:
	v_xor_b32_e32 v21, 0x80000000, v20
	ds_write_b32 v16, v21
; %bb.733:
	s_or_b64 exec, exec, s[12:13]
	s_waitcnt lgkmcnt(0)
	s_barrier
	s_and_saveexec_b64 s[12:13], s[58:59]
	s_cbranch_execz .LBB2_735
; %bb.734:
	v_lshlrev_b32_e32 v21, 2, v14
	ds_read_b32 v21, v21 offset:5952
	ds_read_b32 v22, v16
	s_waitcnt lgkmcnt(0)
	v_fma_f32 v20, -v21, v22, v20
.LBB2_735:
	s_or_b64 exec, exec, s[12:13]
	s_barrier
	s_and_saveexec_b64 s[12:13], s[60:61]
; %bb.736:
	v_xor_b32_e32 v21, 0x80000000, v20
	ds_write_b32 v16, v21
; %bb.737:
	s_or_b64 exec, exec, s[12:13]
	s_waitcnt lgkmcnt(0)
	s_barrier
	s_and_saveexec_b64 s[12:13], s[62:63]
	s_cbranch_execz .LBB2_739
; %bb.738:
	v_lshlrev_b32_e32 v21, 2, v14
	ds_read_b32 v21, v21 offset:5696
	ds_read_b32 v22, v16
	s_waitcnt lgkmcnt(0)
	v_fma_f32 v20, -v21, v22, v20
.LBB2_739:
	s_or_b64 exec, exec, s[12:13]
	s_barrier
	;; [unrolled: 19-line block ×6, first 2 shown]
	s_and_saveexec_b64 s[12:13], s[82:83]
; %bb.756:
	v_xor_b32_e32 v21, 0x80000000, v20
	ds_write_b32 v16, v21
; %bb.757:
	s_or_b64 exec, exec, s[12:13]
	s_waitcnt lgkmcnt(0)
	s_barrier
	s_and_saveexec_b64 s[12:13], s[66:67]
	s_cbranch_execz .LBB2_759
; %bb.758:
	v_mov_b32_e32 v21, 0
	ds_read_b32 v21, v21 offset:4416
	ds_read_b32 v22, v16
	s_waitcnt lgkmcnt(0)
	v_fma_f32 v20, -v21, v22, v20
.LBB2_759:
	s_or_b64 exec, exec, s[12:13]
	s_barrier
	s_and_saveexec_b64 s[12:13], s[66:67]
; %bb.760:
	v_xor_b32_e32 v21, 0x80000000, v20
	ds_write_b32 v16, v21
; %bb.761:
	s_or_b64 exec, exec, s[12:13]
	s_waitcnt lgkmcnt(0)
	s_barrier
	s_barrier
	s_and_saveexec_b64 s[12:13], s[8:9]
; %bb.762:
	v_lshlrev_b32_e32 v21, 2, v14
	v_lshl_or_b32 v21, v15, 8, v21
	ds_write_b32 v21, v20 offset:6208
; %bb.763:
	s_or_b64 exec, exec, s[12:13]
	s_waitcnt lgkmcnt(0)
	s_barrier
	s_barrier
	s_and_saveexec_b64 s[12:13], s[84:85]
	s_cbranch_execz .LBB2_765
; %bb.764:
	v_lshlrev_b32_e32 v20, 8, v0
	ds_read_b32 v21, v20 offset:6208
	s_movk_i32 s14, 0xff04
	v_mad_i32_i24 v22, v0, s14, v20
	s_waitcnt lgkmcnt(0)
	ds_write_b32 v22, v21 offset:4192
	ds_read_b32 v21, v20 offset:6212
	s_waitcnt lgkmcnt(0)
	ds_write_b32 v22, v21 offset:4448
	ds_read_b32 v21, v20 offset:6216
	;; [unrolled: 3-line block ×7, first 2 shown]
	s_waitcnt lgkmcnt(0)
	ds_write_b32 v22, v20 offset:5984
.LBB2_765:
	s_or_b64 exec, exec, s[12:13]
	s_waitcnt lgkmcnt(0)
	s_barrier
	s_and_saveexec_b64 s[12:13], vcc
	s_cbranch_execz .LBB2_767
; %bb.766:
	v_mov_b32_e32 v22, 0
	ds_read_b32 v21, v22 offset:5976
	v_mov_b32_e32 v20, 1.0
	ds_write_b32 v22, v20 offset:5980
	s_waitcnt lgkmcnt(1)
	ds_write_b64 v22, v[20:21] offset:5720
.LBB2_767:
	s_or_b64 exec, exec, s[12:13]
	v_mov_b32_e32 v20, 0
	s_waitcnt lgkmcnt(0)
	s_barrier
	buffer_wbinvl1_vol
	s_and_saveexec_b64 s[14:15], s[2:3]
	s_cbranch_execz .LBB2_771
; %bb.768:
	v_lshlrev_b32_e32 v20, 8, v3
	v_lshlrev_b32_e32 v21, 2, v2
	ds_read_b32 v22, v21 offset:5712
	ds_read_b32 v20, v20 offset:5720
	v_mov_b32_e32 v21, 0
	v_cmp_gt_u32_e64 s[12:13], 2, v5
	s_waitcnt lgkmcnt(0)
	v_fma_f32 v20, v22, v20, 0
	s_and_saveexec_b64 s[16:17], s[12:13]
	s_cbranch_execz .LBB2_770
; %bb.769:
	v_lshlrev_b32_e32 v22, 2, v0
	ds_read_b32 v22, v22 offset:5968
	ds_read_b32 v21, v21 offset:5980
	s_waitcnt lgkmcnt(0)
	v_fmac_f32_e32 v20, v22, v21
.LBB2_770:
	s_or_b64 exec, exec, s[16:17]
.LBB2_771:
	s_or_b64 exec, exec, s[14:15]
	s_and_saveexec_b64 s[12:13], s[28:29]
; %bb.772:
	v_xor_b32_e32 v21, 0x80000000, v20
	ds_write_b32 v4, v21
; %bb.773:
	s_or_b64 exec, exec, s[12:13]
	s_waitcnt lgkmcnt(0)
	s_barrier
	s_and_saveexec_b64 s[12:13], s[26:27]
	s_cbranch_execz .LBB2_775
; %bb.774:
	v_mov_b32_e32 v21, 0
	ds_read_b32 v21, v21 offset:5456
	ds_read_b32 v22, v4
	s_waitcnt lgkmcnt(0)
	v_fma_f32 v20, -v21, v22, v20
.LBB2_775:
	s_or_b64 exec, exec, s[12:13]
	s_barrier
	s_and_saveexec_b64 s[12:13], s[26:27]
; %bb.776:
	v_xor_b32_e32 v21, 0x80000000, v20
	ds_write_b32 v4, v21
; %bb.777:
	s_or_b64 exec, exec, s[12:13]
	s_waitcnt lgkmcnt(0)
	s_barrier
	s_barrier
	s_and_saveexec_b64 s[12:13], s[2:3]
; %bb.778:
	v_lshlrev_b32_e32 v21, 2, v2
	v_lshl_or_b32 v21, v3, 8, v21
	ds_write_b32 v21, v20 offset:5712
; %bb.779:
	s_or_b64 exec, exec, s[12:13]
	s_waitcnt lgkmcnt(0)
	s_barrier
	s_barrier
	s_and_saveexec_b64 s[12:13], s[30:31]
	s_cbranch_execz .LBB2_781
; %bb.780:
	v_lshlrev_b32_e32 v20, 2, v0
	s_movk_i32 s14, 0xfc
	v_mad_u32_u24 v21, v0, s14, v20
	ds_read_b32 v22, v21 offset:5712
	s_waitcnt lgkmcnt(0)
	ds_write_b32 v20, v22 offset:5208
	ds_read_b32 v21, v21 offset:5716
	s_waitcnt lgkmcnt(0)
	ds_write_b32 v20, v21 offset:5464
.LBB2_781:
	s_or_b64 exec, exec, s[12:13]
	s_waitcnt lgkmcnt(0)
	s_barrier
	s_and_saveexec_b64 s[12:13], vcc
	s_cbranch_execz .LBB2_783
; %bb.782:
	v_mov_b32_e32 v22, 0
	ds_read_b32 v21, v22 offset:5456
	v_mov_b32_e32 v20, 1.0
	ds_write_b32 v22, v20 offset:5460
	s_waitcnt lgkmcnt(1)
	ds_write_b64 v22, v[20:21] offset:5200
.LBB2_783:
	s_or_b64 exec, exec, s[12:13]
	v_mov_b32_e32 v20, 0
	s_waitcnt lgkmcnt(0)
	s_barrier
	buffer_wbinvl1_vol
	s_and_saveexec_b64 s[14:15], s[18:19]
	s_cbranch_execz .LBB2_789
; %bb.784:
	v_lshlrev_b32_e32 v22, 2, v11
	v_lshlrev_b32_e32 v21, 8, v12
	ds_read_b32 v20, v22 offset:5184
	ds_read_b32 v23, v21 offset:5200
	v_cmp_gt_u32_e64 s[12:13], 12, v5
	s_waitcnt lgkmcnt(0)
	v_fma_f32 v20, v20, v23, 0
	s_and_saveexec_b64 s[16:17], s[12:13]
	s_cbranch_execnz .LBB2_1206
; %bb.785:
	s_or_b64 exec, exec, s[16:17]
	v_cmp_gt_u32_e64 s[12:13], 8, v5
	s_and_saveexec_b64 s[16:17], s[12:13]
	s_cbranch_execnz .LBB2_1207
.LBB2_786:
	s_or_b64 exec, exec, s[16:17]
	v_cmp_gt_u32_e64 s[12:13], 4, v5
	s_and_saveexec_b64 s[16:17], s[12:13]
	s_cbranch_execz .LBB2_788
.LBB2_787:
	v_lshlrev_b32_e32 v21, 2, v0
	v_mov_b32_e32 v22, 0
	ds_read_b32 v21, v21 offset:5952
	ds_read_b32 v22, v22 offset:5980
	s_waitcnt lgkmcnt(0)
	v_fmac_f32_e32 v20, v21, v22
.LBB2_788:
	s_or_b64 exec, exec, s[16:17]
.LBB2_789:
	s_or_b64 exec, exec, s[14:15]
	s_and_saveexec_b64 s[12:13], s[36:37]
; %bb.790:
	v_xor_b32_e32 v21, 0x80000000, v20
	ds_write_b32 v13, v21
; %bb.791:
	s_or_b64 exec, exec, s[12:13]
	s_waitcnt lgkmcnt(0)
	s_barrier
	s_and_saveexec_b64 s[12:13], s[38:39]
	s_cbranch_execz .LBB2_793
; %bb.792:
	v_lshlrev_b32_e32 v21, 2, v11
	ds_read_b32 v21, v21 offset:4928
	ds_read_b32 v22, v13
	s_waitcnt lgkmcnt(0)
	v_fma_f32 v20, -v21, v22, v20
.LBB2_793:
	s_or_b64 exec, exec, s[12:13]
	s_barrier
	s_and_saveexec_b64 s[12:13], s[42:43]
; %bb.794:
	v_xor_b32_e32 v21, 0x80000000, v20
	ds_write_b32 v13, v21
; %bb.795:
	s_or_b64 exec, exec, s[12:13]
	s_waitcnt lgkmcnt(0)
	s_barrier
	s_and_saveexec_b64 s[12:13], s[44:45]
	s_cbranch_execz .LBB2_797
; %bb.796:
	v_lshlrev_b32_e32 v21, 2, v11
	ds_read_b32 v21, v21 offset:4672
	ds_read_b32 v22, v13
	s_waitcnt lgkmcnt(0)
	v_fma_f32 v20, -v21, v22, v20
.LBB2_797:
	s_or_b64 exec, exec, s[12:13]
	s_barrier
	s_and_saveexec_b64 s[12:13], s[52:53]
; %bb.798:
	v_xor_b32_e32 v21, 0x80000000, v20
	ds_write_b32 v13, v21
; %bb.799:
	s_or_b64 exec, exec, s[12:13]
	s_waitcnt lgkmcnt(0)
	s_barrier
	s_and_saveexec_b64 s[12:13], s[34:35]
	s_cbranch_execz .LBB2_801
; %bb.800:
	v_mov_b32_e32 v21, 0
	ds_read_b32 v21, v21 offset:4416
	ds_read_b32 v22, v13
	s_waitcnt lgkmcnt(0)
	v_fma_f32 v20, -v21, v22, v20
.LBB2_801:
	s_or_b64 exec, exec, s[12:13]
	s_barrier
	s_and_saveexec_b64 s[12:13], s[34:35]
; %bb.802:
	v_xor_b32_e32 v21, 0x80000000, v20
	ds_write_b32 v13, v21
; %bb.803:
	s_or_b64 exec, exec, s[12:13]
	s_waitcnt lgkmcnt(0)
	s_barrier
	s_barrier
	s_and_saveexec_b64 s[12:13], s[18:19]
; %bb.804:
	v_lshlrev_b32_e32 v21, 2, v11
	v_lshl_or_b32 v21, v12, 8, v21
	ds_write_b32 v21, v20 offset:5184
; %bb.805:
	s_or_b64 exec, exec, s[12:13]
	s_waitcnt lgkmcnt(0)
	s_barrier
	s_barrier
	s_and_saveexec_b64 s[12:13], s[54:55]
	s_cbranch_execz .LBB2_807
; %bb.806:
	v_lshlrev_b32_e32 v20, 8, v0
	ds_read_b32 v21, v20 offset:5184
	s_movk_i32 s14, 0xff04
	v_mad_i32_i24 v22, v0, s14, v20
	s_waitcnt lgkmcnt(0)
	ds_write_b32 v22, v21 offset:4176
	ds_read_b32 v21, v20 offset:5188
	s_waitcnt lgkmcnt(0)
	ds_write_b32 v22, v21 offset:4432
	ds_read_b32 v21, v20 offset:5192
	s_waitcnt lgkmcnt(0)
	ds_write_b32 v22, v21 offset:4688
	ds_read_b32 v20, v20 offset:5196
	s_waitcnt lgkmcnt(0)
	ds_write_b32 v22, v20 offset:4944
.LBB2_807:
	s_or_b64 exec, exec, s[12:13]
	s_waitcnt lgkmcnt(0)
	s_barrier
	s_and_saveexec_b64 s[12:13], vcc
	s_cbranch_execz .LBB2_809
; %bb.808:
	v_mov_b32_e32 v22, 0
	ds_read_b32 v21, v22 offset:4936
	v_mov_b32_e32 v20, 1.0
	ds_write_b32 v22, v20 offset:4940
	s_waitcnt lgkmcnt(1)
	ds_write_b64 v22, v[20:21] offset:4680
.LBB2_809:
	s_or_b64 exec, exec, s[12:13]
	v_mov_b32_e32 v20, 0
	s_waitcnt lgkmcnt(0)
	s_barrier
	buffer_wbinvl1_vol
	s_and_saveexec_b64 s[14:15], s[2:3]
	s_cbranch_execz .LBB2_813
; %bb.810:
	v_lshlrev_b32_e32 v20, 8, v3
	v_lshlrev_b32_e32 v21, 2, v2
	ds_read_b32 v22, v21 offset:4672
	ds_read_b32 v20, v20 offset:4680
	v_mov_b32_e32 v21, 0
	v_cmp_gt_u32_e64 s[12:13], 2, v5
	s_waitcnt lgkmcnt(0)
	v_fma_f32 v20, v22, v20, 0
	s_and_saveexec_b64 s[16:17], s[12:13]
	s_cbranch_execz .LBB2_812
; %bb.811:
	v_lshlrev_b32_e32 v22, 2, v0
	ds_read_b32 v22, v22 offset:4928
	ds_read_b32 v21, v21 offset:4940
	s_waitcnt lgkmcnt(0)
	v_fmac_f32_e32 v20, v22, v21
.LBB2_812:
	s_or_b64 exec, exec, s[16:17]
.LBB2_813:
	s_or_b64 exec, exec, s[14:15]
	s_and_saveexec_b64 s[12:13], s[28:29]
; %bb.814:
	v_xor_b32_e32 v21, 0x80000000, v20
	ds_write_b32 v4, v21
; %bb.815:
	s_or_b64 exec, exec, s[12:13]
	s_waitcnt lgkmcnt(0)
	s_barrier
	s_and_saveexec_b64 s[12:13], s[26:27]
	s_cbranch_execz .LBB2_817
; %bb.816:
	v_mov_b32_e32 v21, 0
	ds_read_b32 v21, v21 offset:4416
	ds_read_b32 v22, v4
	s_waitcnt lgkmcnt(0)
	v_fma_f32 v20, -v21, v22, v20
.LBB2_817:
	s_or_b64 exec, exec, s[12:13]
	s_barrier
	s_and_saveexec_b64 s[12:13], s[26:27]
; %bb.818:
	v_xor_b32_e32 v21, 0x80000000, v20
	ds_write_b32 v4, v21
; %bb.819:
	s_or_b64 exec, exec, s[12:13]
	s_waitcnt lgkmcnt(0)
	s_barrier
	s_barrier
	s_and_saveexec_b64 s[12:13], s[2:3]
; %bb.820:
	v_lshlrev_b32_e32 v21, 2, v2
	v_lshl_or_b32 v21, v3, 8, v21
	ds_write_b32 v21, v20 offset:4672
; %bb.821:
	s_or_b64 exec, exec, s[12:13]
	s_waitcnt lgkmcnt(0)
	s_barrier
	s_barrier
	s_and_saveexec_b64 s[12:13], s[30:31]
	s_cbranch_execz .LBB2_823
; %bb.822:
	v_lshlrev_b32_e32 v20, 2, v0
	s_movk_i32 s14, 0xfc
	v_mad_u32_u24 v21, v0, s14, v20
	ds_read_b32 v22, v21 offset:4672
	s_waitcnt lgkmcnt(0)
	ds_write_b32 v20, v22 offset:4168
	ds_read_b32 v21, v21 offset:4676
	s_waitcnt lgkmcnt(0)
	ds_write_b32 v20, v21 offset:4424
.LBB2_823:
	s_or_b64 exec, exec, s[12:13]
	s_waitcnt lgkmcnt(0)
	s_barrier
	s_and_saveexec_b64 s[12:13], vcc
	s_cbranch_execz .LBB2_825
; %bb.824:
	v_mov_b32_e32 v22, 0
	ds_read_b32 v21, v22 offset:4416
	v_mov_b32_e32 v20, 1.0
	ds_write_b32 v22, v20 offset:4420
	s_waitcnt lgkmcnt(1)
	ds_write_b64 v22, v[20:21] offset:4160
.LBB2_825:
	s_or_b64 exec, exec, s[12:13]
	v_mov_b32_e32 v20, 0
	s_waitcnt lgkmcnt(0)
	s_barrier
	buffer_wbinvl1_vol
	s_and_saveexec_b64 s[14:15], s[10:11]
	s_cbranch_execz .LBB2_853
; %bb.826:
	v_lshlrev_b32_e32 v22, 2, v17
	v_lshlrev_b32_e32 v21, 8, v18
	ds_read_b32 v20, v22 offset:4096
	ds_read_b32 v23, v21 offset:4160
	s_movk_i32 s12, 0xf0
	v_cmp_gt_u32_e64 s[12:13], s12, v5
	s_waitcnt lgkmcnt(0)
	v_fma_f32 v20, v20, v23, 0
	s_and_saveexec_b64 s[16:17], s[12:13]
	s_cbranch_execz .LBB2_828
; %bb.827:
	ds_read_b32 v23, v22 offset:4352
	ds_read_b32 v24, v21 offset:4164
	s_waitcnt lgkmcnt(0)
	v_fmac_f32_e32 v20, v23, v24
.LBB2_828:
	s_or_b64 exec, exec, s[16:17]
	s_movk_i32 s12, 0xe0
	v_cmp_gt_u32_e64 s[12:13], s12, v5
	s_and_saveexec_b64 s[16:17], s[12:13]
	s_cbranch_execz .LBB2_830
; %bb.829:
	ds_read_b32 v23, v22 offset:4608
	ds_read_b32 v24, v21 offset:4168
	s_waitcnt lgkmcnt(0)
	v_fmac_f32_e32 v20, v23, v24
.LBB2_830:
	s_or_b64 exec, exec, s[16:17]
	s_movk_i32 s12, 0xd0
	v_cmp_gt_u32_e64 s[12:13], s12, v5
	;; [unrolled: 11-line block ×10, first 2 shown]
	s_and_saveexec_b64 s[16:17], s[12:13]
	s_cbranch_execnz .LBB2_1208
; %bb.847:
	s_or_b64 exec, exec, s[16:17]
	s_and_saveexec_b64 s[12:13], s[8:9]
	s_cbranch_execnz .LBB2_1209
.LBB2_848:
	s_or_b64 exec, exec, s[12:13]
	v_cmp_gt_u32_e64 s[12:13], 48, v5
	s_and_saveexec_b64 s[16:17], s[12:13]
	s_cbranch_execnz .LBB2_1210
.LBB2_849:
	s_or_b64 exec, exec, s[16:17]
	v_cmp_gt_u32_e64 s[12:13], 32, v5
	s_and_saveexec_b64 s[16:17], s[12:13]
	s_cbranch_execnz .LBB2_1211
.LBB2_850:
	s_or_b64 exec, exec, s[16:17]
	v_cmp_gt_u32_e64 s[12:13], 16, v5
	s_and_saveexec_b64 s[16:17], s[12:13]
	s_cbranch_execz .LBB2_852
.LBB2_851:
	v_lshlrev_b32_e32 v21, 2, v0
	v_mov_b32_e32 v22, 0
	ds_read_b32 v21, v21 offset:7936
	ds_read_b32 v22, v22 offset:8060
	s_waitcnt lgkmcnt(0)
	v_fmac_f32_e32 v20, v21, v22
.LBB2_852:
	s_or_b64 exec, exec, s[16:17]
.LBB2_853:
	s_or_b64 exec, exec, s[14:15]
	s_mov_b64 s[12:13], exec
	v_readlane_b32 s14, v28, 3
	v_readlane_b32 s15, v28, 4
	s_and_b64 s[14:15], s[12:13], s[14:15]
	s_mov_b64 exec, s[14:15]
; %bb.854:
	v_xor_b32_e32 v21, 0x80000000, v20
	ds_write_b32 v19, v21
; %bb.855:
	s_or_b64 exec, exec, s[12:13]
	s_waitcnt lgkmcnt(0)
	s_barrier
	s_mov_b64 s[12:13], exec
	v_readlane_b32 s14, v28, 5
	v_readlane_b32 s15, v28, 6
	s_and_b64 s[14:15], s[12:13], s[14:15]
	s_mov_b64 exec, s[14:15]
	s_cbranch_execz .LBB2_857
; %bb.856:
	v_lshlrev_b32_e32 v21, 2, v17
	ds_read_b32 v21, v21 offset:3840
	ds_read_b32 v22, v19
	s_waitcnt lgkmcnt(0)
	v_fma_f32 v20, -v21, v22, v20
.LBB2_857:
	s_or_b64 exec, exec, s[12:13]
	s_barrier
	s_mov_b64 s[12:13], exec
	v_readlane_b32 s14, v28, 7
	v_readlane_b32 s15, v28, 8
	s_and_b64 s[14:15], s[12:13], s[14:15]
	s_mov_b64 exec, s[14:15]
; %bb.858:
	v_xor_b32_e32 v21, 0x80000000, v20
	ds_write_b32 v19, v21
; %bb.859:
	s_or_b64 exec, exec, s[12:13]
	s_waitcnt lgkmcnt(0)
	s_barrier
	s_mov_b64 s[12:13], exec
	v_readlane_b32 s14, v28, 9
	v_readlane_b32 s15, v28, 10
	s_and_b64 s[14:15], s[12:13], s[14:15]
	s_mov_b64 exec, s[14:15]
	s_cbranch_execz .LBB2_861
; %bb.860:
	v_lshlrev_b32_e32 v21, 2, v17
	ds_read_b32 v21, v21 offset:3584
	ds_read_b32 v22, v19
	s_waitcnt lgkmcnt(0)
	v_fma_f32 v20, -v21, v22, v20
.LBB2_861:
	s_or_b64 exec, exec, s[12:13]
	s_barrier
	;; [unrolled: 27-line block ×13, first 2 shown]
	s_mov_b64 s[12:13], exec
	v_readlane_b32 s14, v28, 55
	v_readlane_b32 s15, v28, 56
	s_and_b64 s[14:15], s[12:13], s[14:15]
	s_mov_b64 exec, s[14:15]
; %bb.906:
	v_xor_b32_e32 v21, 0x80000000, v20
	ds_write_b32 v19, v21
; %bb.907:
	s_or_b64 exec, exec, s[12:13]
	s_waitcnt lgkmcnt(0)
	s_barrier
	s_and_saveexec_b64 s[12:13], s[0:1]
	s_cbranch_execz .LBB2_909
; %bb.908:
	v_lshlrev_b32_e32 v21, 2, v17
	ds_read_b32 v21, v21 offset:512
	ds_read_b32 v22, v19
	s_waitcnt lgkmcnt(0)
	v_fma_f32 v20, -v21, v22, v20
.LBB2_909:
	s_or_b64 exec, exec, s[12:13]
	s_barrier
	s_mov_b64 s[0:1], exec
	v_readlane_b32 s12, v28, 57
	v_readlane_b32 s13, v28, 58
	s_and_b64 s[12:13], s[0:1], s[12:13]
	s_mov_b64 exec, s[12:13]
; %bb.910:
	v_xor_b32_e32 v21, 0x80000000, v20
	ds_write_b32 v19, v21
; %bb.911:
	s_or_b64 exec, exec, s[0:1]
	s_waitcnt lgkmcnt(0)
	s_barrier
	s_and_saveexec_b64 s[0:1], s[92:93]
	s_cbranch_execz .LBB2_913
; %bb.912:
	v_mov_b32_e32 v21, 0
	ds_read_b32 v21, v21 offset:256
	ds_read_b32 v22, v19
	s_waitcnt lgkmcnt(0)
	v_fma_f32 v20, -v21, v22, v20
.LBB2_913:
	s_or_b64 exec, exec, s[0:1]
	s_barrier
	s_and_saveexec_b64 s[0:1], s[92:93]
; %bb.914:
	v_xor_b32_e32 v21, 0x80000000, v20
	ds_write_b32 v19, v21
; %bb.915:
	s_or_b64 exec, exec, s[0:1]
	s_waitcnt lgkmcnt(0)
	s_barrier
	s_barrier
	s_and_saveexec_b64 s[0:1], s[10:11]
; %bb.916:
	v_lshlrev_b32_e32 v17, 2, v17
	v_lshl_or_b32 v17, v18, 8, v17
	ds_write_b32 v17, v20 offset:4096
; %bb.917:
	s_or_b64 exec, exec, s[0:1]
	s_waitcnt lgkmcnt(0)
	s_barrier
	s_barrier
	s_and_saveexec_b64 s[0:1], s[88:89]
	s_cbranch_execz .LBB2_919
; %bb.918:
	v_lshlrev_b32_e32 v17, 8, v0
	ds_read_b32 v18, v17 offset:4096
	s_movk_i32 s10, 0xff04
	v_mad_i32_i24 v19, v0, s10, v17
	s_waitcnt lgkmcnt(0)
	ds_write_b32 v19, v18 offset:64
	ds_read_b32 v18, v17 offset:4100
	s_waitcnt lgkmcnt(0)
	ds_write_b32 v19, v18 offset:320
	ds_read_b32 v18, v17 offset:4104
	s_waitcnt lgkmcnt(0)
	ds_write_b32 v19, v18 offset:576
	ds_read_b32 v18, v17 offset:4108
	s_waitcnt lgkmcnt(0)
	ds_write_b32 v19, v18 offset:832
	ds_read_b32 v18, v17 offset:4112
	s_waitcnt lgkmcnt(0)
	ds_write_b32 v19, v18 offset:1088
	ds_read_b32 v18, v17 offset:4116
	s_waitcnt lgkmcnt(0)
	ds_write_b32 v19, v18 offset:1344
	ds_read_b32 v18, v17 offset:4120
	s_waitcnt lgkmcnt(0)
	ds_write_b32 v19, v18 offset:1600
	ds_read_b32 v18, v17 offset:4124
	s_waitcnt lgkmcnt(0)
	ds_write_b32 v19, v18 offset:1856
	ds_read_b32 v18, v17 offset:4128
	s_waitcnt lgkmcnt(0)
	ds_write_b32 v19, v18 offset:2112
	ds_read_b32 v18, v17 offset:4132
	s_waitcnt lgkmcnt(0)
	ds_write_b32 v19, v18 offset:2368
	ds_read_b32 v18, v17 offset:4136
	s_waitcnt lgkmcnt(0)
	ds_write_b32 v19, v18 offset:2624
	ds_read_b32 v18, v17 offset:4140
	s_waitcnt lgkmcnt(0)
	ds_write_b32 v19, v18 offset:2880
	ds_read_b32 v18, v17 offset:4144
	s_waitcnt lgkmcnt(0)
	ds_write_b32 v19, v18 offset:3136
	ds_read_b32 v18, v17 offset:4148
	s_waitcnt lgkmcnt(0)
	ds_write_b32 v19, v18 offset:3392
	ds_read_b32 v18, v17 offset:4152
	s_waitcnt lgkmcnt(0)
	ds_write_b32 v19, v18 offset:3648
	ds_read_b32 v17, v17 offset:4156
	s_waitcnt lgkmcnt(0)
	ds_write_b32 v19, v17 offset:3904
.LBB2_919:
	s_or_b64 exec, exec, s[0:1]
	s_waitcnt lgkmcnt(0)
	s_barrier
	s_and_saveexec_b64 s[0:1], vcc
	s_cbranch_execz .LBB2_921
; %bb.920:
	v_mov_b32_e32 v19, 0
	ds_read_b32 v18, v19 offset:3896
	v_mov_b32_e32 v17, 1.0
	ds_write_b32 v19, v17 offset:3900
	s_waitcnt lgkmcnt(1)
	ds_write_b64 v19, v[17:18] offset:3640
.LBB2_921:
	s_or_b64 exec, exec, s[0:1]
	v_mov_b32_e32 v17, 0
	s_waitcnt lgkmcnt(0)
	s_barrier
	buffer_wbinvl1_vol
	s_and_saveexec_b64 s[0:1], s[2:3]
	s_cbranch_execz .LBB2_925
; %bb.922:
	v_lshlrev_b32_e32 v17, 8, v3
	v_lshlrev_b32_e32 v18, 2, v2
	ds_read_b32 v19, v18 offset:3632
	ds_read_b32 v17, v17 offset:3640
	v_mov_b32_e32 v18, 0
	v_cmp_gt_u32_e64 s[10:11], 2, v5
	s_waitcnt lgkmcnt(0)
	v_fma_f32 v17, v19, v17, 0
	s_and_saveexec_b64 s[12:13], s[10:11]
	s_cbranch_execz .LBB2_924
; %bb.923:
	v_lshlrev_b32_e32 v19, 2, v0
	ds_read_b32 v19, v19 offset:3888
	ds_read_b32 v18, v18 offset:3900
	s_waitcnt lgkmcnt(0)
	v_fmac_f32_e32 v17, v19, v18
.LBB2_924:
	s_or_b64 exec, exec, s[12:13]
.LBB2_925:
	s_or_b64 exec, exec, s[0:1]
	s_and_saveexec_b64 s[0:1], s[28:29]
; %bb.926:
	v_xor_b32_e32 v18, 0x80000000, v17
	ds_write_b32 v4, v18
; %bb.927:
	s_or_b64 exec, exec, s[0:1]
	s_waitcnt lgkmcnt(0)
	s_barrier
	s_and_saveexec_b64 s[0:1], s[26:27]
	s_cbranch_execz .LBB2_929
; %bb.928:
	v_mov_b32_e32 v18, 0
	ds_read_b32 v18, v18 offset:3376
	ds_read_b32 v19, v4
	s_waitcnt lgkmcnt(0)
	v_fma_f32 v17, -v18, v19, v17
.LBB2_929:
	s_or_b64 exec, exec, s[0:1]
	s_barrier
	s_and_saveexec_b64 s[0:1], s[26:27]
; %bb.930:
	v_xor_b32_e32 v18, 0x80000000, v17
	ds_write_b32 v4, v18
; %bb.931:
	s_or_b64 exec, exec, s[0:1]
	s_waitcnt lgkmcnt(0)
	s_barrier
	s_barrier
	s_and_saveexec_b64 s[0:1], s[2:3]
; %bb.932:
	v_lshlrev_b32_e32 v18, 2, v2
	v_lshl_or_b32 v18, v3, 8, v18
	ds_write_b32 v18, v17 offset:3632
; %bb.933:
	s_or_b64 exec, exec, s[0:1]
	s_waitcnt lgkmcnt(0)
	s_barrier
	s_barrier
	s_and_saveexec_b64 s[0:1], s[30:31]
	s_cbranch_execz .LBB2_935
; %bb.934:
	v_lshlrev_b32_e32 v17, 2, v0
	s_movk_i32 s10, 0xfc
	v_mad_u32_u24 v18, v0, s10, v17
	ds_read_b32 v19, v18 offset:3632
	s_waitcnt lgkmcnt(0)
	ds_write_b32 v17, v19 offset:3128
	ds_read_b32 v18, v18 offset:3636
	s_waitcnt lgkmcnt(0)
	ds_write_b32 v17, v18 offset:3384
.LBB2_935:
	s_or_b64 exec, exec, s[0:1]
	s_waitcnt lgkmcnt(0)
	s_barrier
	s_and_saveexec_b64 s[0:1], vcc
	s_cbranch_execz .LBB2_937
; %bb.936:
	v_mov_b32_e32 v19, 0
	ds_read_b32 v18, v19 offset:3376
	v_mov_b32_e32 v17, 1.0
	ds_write_b32 v19, v17 offset:3380
	s_waitcnt lgkmcnt(1)
	ds_write_b64 v19, v[17:18] offset:3120
.LBB2_937:
	s_or_b64 exec, exec, s[0:1]
	v_mov_b32_e32 v17, 0
	s_waitcnt lgkmcnt(0)
	s_barrier
	buffer_wbinvl1_vol
	s_and_saveexec_b64 s[0:1], s[18:19]
	s_cbranch_execz .LBB2_943
; %bb.938:
	v_lshlrev_b32_e32 v19, 2, v11
	v_lshlrev_b32_e32 v18, 8, v12
	ds_read_b32 v17, v19 offset:3104
	ds_read_b32 v20, v18 offset:3120
	v_cmp_gt_u32_e64 s[10:11], 12, v5
	s_waitcnt lgkmcnt(0)
	v_fma_f32 v17, v17, v20, 0
	s_and_saveexec_b64 s[12:13], s[10:11]
	s_cbranch_execnz .LBB2_1212
; %bb.939:
	s_or_b64 exec, exec, s[12:13]
	v_cmp_gt_u32_e64 s[10:11], 8, v5
	s_and_saveexec_b64 s[12:13], s[10:11]
	s_cbranch_execnz .LBB2_1213
.LBB2_940:
	s_or_b64 exec, exec, s[12:13]
	v_cmp_gt_u32_e64 s[10:11], 4, v5
	s_and_saveexec_b64 s[12:13], s[10:11]
	s_cbranch_execz .LBB2_942
.LBB2_941:
	v_lshlrev_b32_e32 v18, 2, v0
	v_mov_b32_e32 v19, 0
	ds_read_b32 v18, v18 offset:3872
	ds_read_b32 v19, v19 offset:3900
	s_waitcnt lgkmcnt(0)
	v_fmac_f32_e32 v17, v18, v19
.LBB2_942:
	s_or_b64 exec, exec, s[12:13]
.LBB2_943:
	s_or_b64 exec, exec, s[0:1]
	s_and_saveexec_b64 s[0:1], s[36:37]
; %bb.944:
	v_xor_b32_e32 v18, 0x80000000, v17
	ds_write_b32 v13, v18
; %bb.945:
	s_or_b64 exec, exec, s[0:1]
	s_waitcnt lgkmcnt(0)
	s_barrier
	s_and_saveexec_b64 s[0:1], s[38:39]
	s_cbranch_execz .LBB2_947
; %bb.946:
	v_lshlrev_b32_e32 v18, 2, v11
	ds_read_b32 v18, v18 offset:2848
	ds_read_b32 v19, v13
	s_waitcnt lgkmcnt(0)
	v_fma_f32 v17, -v18, v19, v17
.LBB2_947:
	s_or_b64 exec, exec, s[0:1]
	s_barrier
	s_and_saveexec_b64 s[0:1], s[42:43]
; %bb.948:
	v_xor_b32_e32 v18, 0x80000000, v17
	ds_write_b32 v13, v18
; %bb.949:
	s_or_b64 exec, exec, s[0:1]
	s_waitcnt lgkmcnt(0)
	s_barrier
	s_and_saveexec_b64 s[0:1], s[44:45]
	s_cbranch_execz .LBB2_951
; %bb.950:
	v_lshlrev_b32_e32 v18, 2, v11
	ds_read_b32 v18, v18 offset:2592
	ds_read_b32 v19, v13
	s_waitcnt lgkmcnt(0)
	v_fma_f32 v17, -v18, v19, v17
.LBB2_951:
	s_or_b64 exec, exec, s[0:1]
	s_barrier
	s_and_saveexec_b64 s[0:1], s[52:53]
; %bb.952:
	v_xor_b32_e32 v18, 0x80000000, v17
	ds_write_b32 v13, v18
; %bb.953:
	s_or_b64 exec, exec, s[0:1]
	s_waitcnt lgkmcnt(0)
	s_barrier
	s_and_saveexec_b64 s[0:1], s[34:35]
	s_cbranch_execz .LBB2_955
; %bb.954:
	v_mov_b32_e32 v18, 0
	ds_read_b32 v18, v18 offset:2336
	ds_read_b32 v19, v13
	s_waitcnt lgkmcnt(0)
	v_fma_f32 v17, -v18, v19, v17
.LBB2_955:
	s_or_b64 exec, exec, s[0:1]
	s_barrier
	s_and_saveexec_b64 s[0:1], s[34:35]
; %bb.956:
	v_xor_b32_e32 v18, 0x80000000, v17
	ds_write_b32 v13, v18
; %bb.957:
	s_or_b64 exec, exec, s[0:1]
	s_waitcnt lgkmcnt(0)
	s_barrier
	s_barrier
	s_and_saveexec_b64 s[0:1], s[18:19]
; %bb.958:
	v_lshlrev_b32_e32 v18, 2, v11
	v_lshl_or_b32 v18, v12, 8, v18
	ds_write_b32 v18, v17 offset:3104
; %bb.959:
	s_or_b64 exec, exec, s[0:1]
	s_waitcnt lgkmcnt(0)
	s_barrier
	s_barrier
	s_and_saveexec_b64 s[0:1], s[54:55]
	s_cbranch_execz .LBB2_961
; %bb.960:
	v_lshlrev_b32_e32 v17, 8, v0
	ds_read_b32 v18, v17 offset:3104
	s_movk_i32 s10, 0xff04
	v_mad_i32_i24 v19, v0, s10, v17
	s_waitcnt lgkmcnt(0)
	ds_write_b32 v19, v18 offset:2096
	ds_read_b32 v18, v17 offset:3108
	s_waitcnt lgkmcnt(0)
	ds_write_b32 v19, v18 offset:2352
	ds_read_b32 v18, v17 offset:3112
	s_waitcnt lgkmcnt(0)
	ds_write_b32 v19, v18 offset:2608
	ds_read_b32 v17, v17 offset:3116
	s_waitcnt lgkmcnt(0)
	ds_write_b32 v19, v17 offset:2864
.LBB2_961:
	s_or_b64 exec, exec, s[0:1]
	s_waitcnt lgkmcnt(0)
	s_barrier
	s_and_saveexec_b64 s[0:1], vcc
	s_cbranch_execz .LBB2_963
; %bb.962:
	v_mov_b32_e32 v19, 0
	ds_read_b32 v18, v19 offset:2856
	v_mov_b32_e32 v17, 1.0
	ds_write_b32 v19, v17 offset:2860
	s_waitcnt lgkmcnt(1)
	ds_write_b64 v19, v[17:18] offset:2600
.LBB2_963:
	s_or_b64 exec, exec, s[0:1]
	v_mov_b32_e32 v17, 0
	s_waitcnt lgkmcnt(0)
	s_barrier
	buffer_wbinvl1_vol
	s_and_saveexec_b64 s[0:1], s[2:3]
	s_cbranch_execz .LBB2_967
; %bb.964:
	v_lshlrev_b32_e32 v17, 8, v3
	v_lshlrev_b32_e32 v18, 2, v2
	ds_read_b32 v19, v18 offset:2592
	ds_read_b32 v17, v17 offset:2600
	v_mov_b32_e32 v18, 0
	v_cmp_gt_u32_e64 s[10:11], 2, v5
	s_waitcnt lgkmcnt(0)
	v_fma_f32 v17, v19, v17, 0
	s_and_saveexec_b64 s[12:13], s[10:11]
	s_cbranch_execz .LBB2_966
; %bb.965:
	v_lshlrev_b32_e32 v19, 2, v0
	ds_read_b32 v19, v19 offset:2848
	ds_read_b32 v18, v18 offset:2860
	s_waitcnt lgkmcnt(0)
	v_fmac_f32_e32 v17, v19, v18
.LBB2_966:
	s_or_b64 exec, exec, s[12:13]
.LBB2_967:
	s_or_b64 exec, exec, s[0:1]
	s_and_saveexec_b64 s[0:1], s[28:29]
; %bb.968:
	v_xor_b32_e32 v18, 0x80000000, v17
	ds_write_b32 v4, v18
; %bb.969:
	s_or_b64 exec, exec, s[0:1]
	s_waitcnt lgkmcnt(0)
	s_barrier
	s_and_saveexec_b64 s[0:1], s[26:27]
	s_cbranch_execz .LBB2_971
; %bb.970:
	v_mov_b32_e32 v18, 0
	ds_read_b32 v18, v18 offset:2336
	ds_read_b32 v19, v4
	s_waitcnt lgkmcnt(0)
	v_fma_f32 v17, -v18, v19, v17
.LBB2_971:
	s_or_b64 exec, exec, s[0:1]
	s_barrier
	s_and_saveexec_b64 s[0:1], s[26:27]
; %bb.972:
	v_xor_b32_e32 v18, 0x80000000, v17
	ds_write_b32 v4, v18
; %bb.973:
	s_or_b64 exec, exec, s[0:1]
	s_waitcnt lgkmcnt(0)
	s_barrier
	s_barrier
	s_and_saveexec_b64 s[0:1], s[2:3]
; %bb.974:
	v_lshlrev_b32_e32 v18, 2, v2
	v_lshl_or_b32 v18, v3, 8, v18
	ds_write_b32 v18, v17 offset:2592
; %bb.975:
	s_or_b64 exec, exec, s[0:1]
	s_waitcnt lgkmcnt(0)
	s_barrier
	s_barrier
	s_and_saveexec_b64 s[0:1], s[30:31]
	s_cbranch_execz .LBB2_977
; %bb.976:
	v_lshlrev_b32_e32 v17, 2, v0
	s_movk_i32 s10, 0xfc
	v_mad_u32_u24 v18, v0, s10, v17
	ds_read_b32 v19, v18 offset:2592
	s_waitcnt lgkmcnt(0)
	ds_write_b32 v17, v19 offset:2088
	ds_read_b32 v18, v18 offset:2596
	s_waitcnt lgkmcnt(0)
	ds_write_b32 v17, v18 offset:2344
.LBB2_977:
	s_or_b64 exec, exec, s[0:1]
	s_waitcnt lgkmcnt(0)
	s_barrier
	s_and_saveexec_b64 s[0:1], vcc
	s_cbranch_execz .LBB2_979
; %bb.978:
	v_mov_b32_e32 v19, 0
	ds_read_b32 v18, v19 offset:2336
	v_mov_b32_e32 v17, 1.0
	ds_write_b32 v19, v17 offset:2340
	s_waitcnt lgkmcnt(1)
	ds_write_b64 v19, v[17:18] offset:2080
.LBB2_979:
	s_or_b64 exec, exec, s[0:1]
	v_mov_b32_e32 v17, 0
	s_waitcnt lgkmcnt(0)
	s_barrier
	buffer_wbinvl1_vol
	s_and_saveexec_b64 s[0:1], s[8:9]
	s_cbranch_execz .LBB2_989
; %bb.980:
	v_lshlrev_b32_e32 v19, 2, v14
	v_lshlrev_b32_e32 v18, 8, v15
	ds_read_b32 v17, v19 offset:2048
	ds_read_b32 v20, v18 offset:2080
	v_cmp_gt_u32_e64 s[10:11], 56, v5
	s_waitcnt lgkmcnt(0)
	v_fma_f32 v17, v17, v20, 0
	s_and_saveexec_b64 s[12:13], s[10:11]
	s_cbranch_execnz .LBB2_1214
; %bb.981:
	s_or_b64 exec, exec, s[12:13]
	v_cmp_gt_u32_e64 s[10:11], 48, v5
	s_and_saveexec_b64 s[12:13], s[10:11]
	s_cbranch_execnz .LBB2_1215
.LBB2_982:
	s_or_b64 exec, exec, s[12:13]
	v_cmp_gt_u32_e64 s[10:11], 40, v5
	s_and_saveexec_b64 s[12:13], s[10:11]
	s_cbranch_execnz .LBB2_1216
.LBB2_983:
	s_or_b64 exec, exec, s[12:13]
	v_cmp_gt_u32_e64 s[10:11], 32, v5
	s_and_saveexec_b64 s[12:13], s[10:11]
	s_cbranch_execnz .LBB2_1217
.LBB2_984:
	s_or_b64 exec, exec, s[12:13]
	v_cmp_gt_u32_e64 s[10:11], 24, v5
	s_and_saveexec_b64 s[12:13], s[10:11]
	s_cbranch_execnz .LBB2_1218
.LBB2_985:
	s_or_b64 exec, exec, s[12:13]
	s_and_saveexec_b64 s[10:11], s[18:19]
	s_cbranch_execnz .LBB2_1219
.LBB2_986:
	s_or_b64 exec, exec, s[10:11]
	v_cmp_gt_u32_e64 s[10:11], 8, v5
	s_and_saveexec_b64 s[12:13], s[10:11]
	s_cbranch_execz .LBB2_988
.LBB2_987:
	v_lshlrev_b32_e32 v18, 2, v0
	v_mov_b32_e32 v19, 0
	ds_read_b32 v18, v18 offset:3840
	ds_read_b32 v19, v19 offset:3900
	s_waitcnt lgkmcnt(0)
	v_fmac_f32_e32 v17, v18, v19
.LBB2_988:
	s_or_b64 exec, exec, s[12:13]
.LBB2_989:
	s_or_b64 exec, exec, s[0:1]
	s_and_saveexec_b64 s[0:1], s[56:57]
; %bb.990:
	v_xor_b32_e32 v18, 0x80000000, v17
	ds_write_b32 v16, v18
; %bb.991:
	s_or_b64 exec, exec, s[0:1]
	s_waitcnt lgkmcnt(0)
	s_barrier
	s_and_saveexec_b64 s[0:1], s[58:59]
	v_readlane_b32 s56, v28, 1
	v_readlane_b32 s57, v28, 2
	s_cbranch_execz .LBB2_993
; %bb.992:
	v_lshlrev_b32_e32 v18, 2, v14
	ds_read_b32 v18, v18 offset:1792
	ds_read_b32 v19, v16
	s_waitcnt lgkmcnt(0)
	v_fma_f32 v17, -v18, v19, v17
.LBB2_993:
	s_or_b64 exec, exec, s[0:1]
	s_barrier
	s_and_saveexec_b64 s[0:1], s[60:61]
; %bb.994:
	v_xor_b32_e32 v18, 0x80000000, v17
	ds_write_b32 v16, v18
; %bb.995:
	s_or_b64 exec, exec, s[0:1]
	s_waitcnt lgkmcnt(0)
	s_barrier
	s_and_saveexec_b64 s[0:1], s[62:63]
	s_cbranch_execz .LBB2_997
; %bb.996:
	v_lshlrev_b32_e32 v18, 2, v14
	ds_read_b32 v18, v18 offset:1536
	ds_read_b32 v19, v16
	s_waitcnt lgkmcnt(0)
	v_fma_f32 v17, -v18, v19, v17
.LBB2_997:
	s_or_b64 exec, exec, s[0:1]
	s_barrier
	s_and_saveexec_b64 s[0:1], s[64:65]
; %bb.998:
	v_xor_b32_e32 v18, 0x80000000, v17
	ds_write_b32 v16, v18
; %bb.999:
	s_or_b64 exec, exec, s[0:1]
	s_waitcnt lgkmcnt(0)
	s_barrier
	s_and_saveexec_b64 s[0:1], s[68:69]
	s_cbranch_execz .LBB2_1001
; %bb.1000:
	v_lshlrev_b32_e32 v18, 2, v14
	ds_read_b32 v18, v18 offset:1280
	ds_read_b32 v19, v16
	s_waitcnt lgkmcnt(0)
	v_fma_f32 v17, -v18, v19, v17
.LBB2_1001:
	s_or_b64 exec, exec, s[0:1]
	s_barrier
	s_and_saveexec_b64 s[0:1], s[70:71]
; %bb.1002:
	v_xor_b32_e32 v18, 0x80000000, v17
	ds_write_b32 v16, v18
; %bb.1003:
	s_or_b64 exec, exec, s[0:1]
	s_waitcnt lgkmcnt(0)
	s_barrier
	s_and_saveexec_b64 s[0:1], s[72:73]
	s_cbranch_execz .LBB2_1005
; %bb.1004:
	v_lshlrev_b32_e32 v18, 2, v14
	ds_read_b32 v18, v18 offset:1024
	ds_read_b32 v19, v16
	s_waitcnt lgkmcnt(0)
	v_fma_f32 v17, -v18, v19, v17
.LBB2_1005:
	s_or_b64 exec, exec, s[0:1]
	s_barrier
	s_and_saveexec_b64 s[0:1], s[74:75]
; %bb.1006:
	v_xor_b32_e32 v18, 0x80000000, v17
	ds_write_b32 v16, v18
; %bb.1007:
	s_or_b64 exec, exec, s[0:1]
	s_waitcnt lgkmcnt(0)
	s_barrier
	s_and_saveexec_b64 s[0:1], s[76:77]
	s_cbranch_execz .LBB2_1009
; %bb.1008:
	v_lshlrev_b32_e32 v18, 2, v14
	ds_read_b32 v18, v18 offset:768
	ds_read_b32 v19, v16
	s_waitcnt lgkmcnt(0)
	v_fma_f32 v17, -v18, v19, v17
.LBB2_1009:
	s_or_b64 exec, exec, s[0:1]
	s_barrier
	s_and_saveexec_b64 s[0:1], s[78:79]
; %bb.1010:
	v_xor_b32_e32 v18, 0x80000000, v17
	ds_write_b32 v16, v18
; %bb.1011:
	s_or_b64 exec, exec, s[0:1]
	s_waitcnt lgkmcnt(0)
	s_barrier
	s_and_saveexec_b64 s[0:1], s[80:81]
	s_cbranch_execz .LBB2_1013
; %bb.1012:
	v_lshlrev_b32_e32 v18, 2, v14
	ds_read_b32 v18, v18 offset:512
	ds_read_b32 v19, v16
	s_waitcnt lgkmcnt(0)
	v_fma_f32 v17, -v18, v19, v17
.LBB2_1013:
	s_or_b64 exec, exec, s[0:1]
	s_barrier
	s_and_saveexec_b64 s[0:1], s[82:83]
; %bb.1014:
	v_xor_b32_e32 v18, 0x80000000, v17
	ds_write_b32 v16, v18
; %bb.1015:
	s_or_b64 exec, exec, s[0:1]
	s_waitcnt lgkmcnt(0)
	s_barrier
	s_and_saveexec_b64 s[0:1], s[66:67]
	s_cbranch_execz .LBB2_1017
; %bb.1016:
	v_mov_b32_e32 v18, 0
	ds_read_b32 v18, v18 offset:256
	ds_read_b32 v19, v16
	s_waitcnt lgkmcnt(0)
	v_fma_f32 v17, -v18, v19, v17
.LBB2_1017:
	s_or_b64 exec, exec, s[0:1]
	s_barrier
	s_and_saveexec_b64 s[0:1], s[66:67]
; %bb.1018:
	v_xor_b32_e32 v18, 0x80000000, v17
	ds_write_b32 v16, v18
; %bb.1019:
	s_or_b64 exec, exec, s[0:1]
	s_waitcnt lgkmcnt(0)
	s_barrier
	s_barrier
	s_and_saveexec_b64 s[0:1], s[8:9]
; %bb.1020:
	v_lshlrev_b32_e32 v14, 2, v14
	v_lshl_or_b32 v14, v15, 8, v14
	ds_write_b32 v14, v17 offset:2048
; %bb.1021:
	s_or_b64 exec, exec, s[0:1]
	s_waitcnt lgkmcnt(0)
	s_barrier
	s_barrier
	s_and_saveexec_b64 s[0:1], s[84:85]
	s_cbranch_execz .LBB2_1023
; %bb.1022:
	v_lshlrev_b32_e32 v14, 8, v0
	ds_read_b32 v15, v14 offset:2048
	s_movk_i32 s8, 0xff04
	v_mad_i32_i24 v16, v0, s8, v14
	s_waitcnt lgkmcnt(0)
	ds_write_b32 v16, v15 offset:32
	ds_read_b32 v15, v14 offset:2052
	s_waitcnt lgkmcnt(0)
	ds_write_b32 v16, v15 offset:288
	ds_read_b32 v15, v14 offset:2056
	;; [unrolled: 3-line block ×7, first 2 shown]
	s_waitcnt lgkmcnt(0)
	ds_write_b32 v16, v14 offset:1824
.LBB2_1023:
	s_or_b64 exec, exec, s[0:1]
	s_waitcnt lgkmcnt(0)
	s_barrier
	s_and_saveexec_b64 s[0:1], vcc
	s_cbranch_execz .LBB2_1025
; %bb.1024:
	v_mov_b32_e32 v16, 0
	ds_read_b32 v15, v16 offset:1816
	v_mov_b32_e32 v14, 1.0
	ds_write_b32 v16, v14 offset:1820
	s_waitcnt lgkmcnt(1)
	ds_write_b64 v16, v[14:15] offset:1560
.LBB2_1025:
	s_or_b64 exec, exec, s[0:1]
	v_mov_b32_e32 v14, 0
	s_waitcnt lgkmcnt(0)
	s_barrier
	buffer_wbinvl1_vol
	s_and_saveexec_b64 s[0:1], s[2:3]
	s_cbranch_execz .LBB2_1029
; %bb.1026:
	v_lshlrev_b32_e32 v14, 8, v3
	v_lshlrev_b32_e32 v15, 2, v2
	ds_read_b32 v16, v15 offset:1552
	ds_read_b32 v14, v14 offset:1560
	v_mov_b32_e32 v15, 0
	v_cmp_gt_u32_e64 s[8:9], 2, v5
	s_waitcnt lgkmcnt(0)
	v_fma_f32 v14, v16, v14, 0
	s_and_saveexec_b64 s[10:11], s[8:9]
	s_cbranch_execz .LBB2_1028
; %bb.1027:
	v_lshlrev_b32_e32 v16, 2, v0
	ds_read_b32 v16, v16 offset:1808
	ds_read_b32 v15, v15 offset:1820
	s_waitcnt lgkmcnt(0)
	v_fmac_f32_e32 v14, v16, v15
.LBB2_1028:
	s_or_b64 exec, exec, s[10:11]
.LBB2_1029:
	s_or_b64 exec, exec, s[0:1]
	s_and_saveexec_b64 s[0:1], s[28:29]
; %bb.1030:
	v_xor_b32_e32 v15, 0x80000000, v14
	ds_write_b32 v4, v15
; %bb.1031:
	s_or_b64 exec, exec, s[0:1]
	s_waitcnt lgkmcnt(0)
	s_barrier
	s_and_saveexec_b64 s[0:1], s[26:27]
	s_cbranch_execz .LBB2_1033
; %bb.1032:
	v_mov_b32_e32 v15, 0
	ds_read_b32 v15, v15 offset:1296
	ds_read_b32 v16, v4
	s_waitcnt lgkmcnt(0)
	v_fma_f32 v14, -v15, v16, v14
.LBB2_1033:
	s_or_b64 exec, exec, s[0:1]
	s_barrier
	s_and_saveexec_b64 s[0:1], s[26:27]
; %bb.1034:
	v_xor_b32_e32 v15, 0x80000000, v14
	ds_write_b32 v4, v15
; %bb.1035:
	s_or_b64 exec, exec, s[0:1]
	s_waitcnt lgkmcnt(0)
	s_barrier
	s_barrier
	s_and_saveexec_b64 s[0:1], s[2:3]
; %bb.1036:
	v_lshlrev_b32_e32 v15, 2, v2
	v_lshl_or_b32 v15, v3, 8, v15
	ds_write_b32 v15, v14 offset:1552
; %bb.1037:
	s_or_b64 exec, exec, s[0:1]
	s_waitcnt lgkmcnt(0)
	s_barrier
	s_barrier
	s_and_saveexec_b64 s[0:1], s[30:31]
	s_cbranch_execz .LBB2_1039
; %bb.1038:
	v_lshlrev_b32_e32 v14, 2, v0
	s_movk_i32 s8, 0xfc
	v_mad_u32_u24 v15, v0, s8, v14
	ds_read_b32 v16, v15 offset:1552
	s_waitcnt lgkmcnt(0)
	ds_write_b32 v14, v16 offset:1048
	ds_read_b32 v15, v15 offset:1556
	s_waitcnt lgkmcnt(0)
	ds_write_b32 v14, v15 offset:1304
.LBB2_1039:
	s_or_b64 exec, exec, s[0:1]
	s_waitcnt lgkmcnt(0)
	s_barrier
	s_and_saveexec_b64 s[0:1], vcc
	s_cbranch_execz .LBB2_1041
; %bb.1040:
	v_mov_b32_e32 v16, 0
	ds_read_b32 v15, v16 offset:1296
	v_mov_b32_e32 v14, 1.0
	ds_write_b32 v16, v14 offset:1300
	s_waitcnt lgkmcnt(1)
	ds_write_b64 v16, v[14:15] offset:1040
.LBB2_1041:
	s_or_b64 exec, exec, s[0:1]
	v_mov_b32_e32 v14, 0
	s_waitcnt lgkmcnt(0)
	s_barrier
	buffer_wbinvl1_vol
	s_and_saveexec_b64 s[0:1], s[18:19]
	s_cbranch_execz .LBB2_1047
; %bb.1042:
	v_lshlrev_b32_e32 v16, 2, v11
	v_lshlrev_b32_e32 v15, 8, v12
	ds_read_b32 v14, v16 offset:1024
	ds_read_b32 v17, v15 offset:1040
	v_cmp_gt_u32_e64 s[8:9], 12, v5
	s_waitcnt lgkmcnt(0)
	v_fma_f32 v14, v14, v17, 0
	s_and_saveexec_b64 s[10:11], s[8:9]
	s_cbranch_execnz .LBB2_1220
; %bb.1043:
	s_or_b64 exec, exec, s[10:11]
	v_cmp_gt_u32_e64 s[8:9], 8, v5
	s_and_saveexec_b64 s[10:11], s[8:9]
	s_cbranch_execnz .LBB2_1221
.LBB2_1044:
	s_or_b64 exec, exec, s[10:11]
	v_cmp_gt_u32_e64 s[8:9], 4, v5
	s_and_saveexec_b64 s[10:11], s[8:9]
	s_cbranch_execz .LBB2_1046
.LBB2_1045:
	v_lshlrev_b32_e32 v15, 2, v0
	v_mov_b32_e32 v16, 0
	ds_read_b32 v15, v15 offset:1792
	ds_read_b32 v16, v16 offset:1820
	s_waitcnt lgkmcnt(0)
	v_fmac_f32_e32 v14, v15, v16
.LBB2_1046:
	s_or_b64 exec, exec, s[10:11]
.LBB2_1047:
	s_or_b64 exec, exec, s[0:1]
	s_and_saveexec_b64 s[0:1], s[36:37]
; %bb.1048:
	v_xor_b32_e32 v15, 0x80000000, v14
	ds_write_b32 v13, v15
; %bb.1049:
	s_or_b64 exec, exec, s[0:1]
	s_waitcnt lgkmcnt(0)
	s_barrier
	s_and_saveexec_b64 s[0:1], s[38:39]
	s_load_dword s36, s[4:5], 0x6c
	v_readlane_b32 s37, v28, 0
	s_cbranch_execz .LBB2_1051
; %bb.1050:
	v_lshlrev_b32_e32 v15, 2, v11
	ds_read_b32 v15, v15 offset:768
	ds_read_b32 v16, v13
	s_waitcnt lgkmcnt(0)
	v_fma_f32 v14, -v15, v16, v14
.LBB2_1051:
	s_or_b64 exec, exec, s[0:1]
	s_waitcnt lgkmcnt(0)
	s_barrier
	s_and_saveexec_b64 s[0:1], s[42:43]
; %bb.1052:
	v_xor_b32_e32 v15, 0x80000000, v14
	ds_write_b32 v13, v15
; %bb.1053:
	s_or_b64 exec, exec, s[0:1]
	s_waitcnt lgkmcnt(0)
	s_barrier
	s_and_saveexec_b64 s[0:1], s[44:45]
	s_cbranch_execz .LBB2_1055
; %bb.1054:
	v_lshlrev_b32_e32 v15, 2, v11
	ds_read_b32 v15, v15 offset:512
	ds_read_b32 v16, v13
	s_waitcnt lgkmcnt(0)
	v_fma_f32 v14, -v15, v16, v14
.LBB2_1055:
	s_or_b64 exec, exec, s[0:1]
	s_barrier
	s_and_saveexec_b64 s[0:1], s[52:53]
; %bb.1056:
	v_xor_b32_e32 v15, 0x80000000, v14
	ds_write_b32 v13, v15
; %bb.1057:
	s_or_b64 exec, exec, s[0:1]
	s_waitcnt lgkmcnt(0)
	s_barrier
	s_and_saveexec_b64 s[0:1], s[34:35]
	s_cbranch_execz .LBB2_1059
; %bb.1058:
	v_mov_b32_e32 v15, 0
	ds_read_b32 v15, v15 offset:256
	ds_read_b32 v16, v13
	s_waitcnt lgkmcnt(0)
	v_fma_f32 v14, -v15, v16, v14
.LBB2_1059:
	s_or_b64 exec, exec, s[0:1]
	s_barrier
	s_and_saveexec_b64 s[0:1], s[34:35]
; %bb.1060:
	v_xor_b32_e32 v15, 0x80000000, v14
	ds_write_b32 v13, v15
; %bb.1061:
	s_or_b64 exec, exec, s[0:1]
	s_waitcnt lgkmcnt(0)
	s_barrier
	s_barrier
	s_and_saveexec_b64 s[0:1], s[18:19]
; %bb.1062:
	v_lshlrev_b32_e32 v11, 2, v11
	v_lshl_or_b32 v11, v12, 8, v11
	ds_write_b32 v11, v14 offset:1024
; %bb.1063:
	s_or_b64 exec, exec, s[0:1]
	s_waitcnt lgkmcnt(0)
	s_barrier
	s_barrier
	s_and_saveexec_b64 s[0:1], s[54:55]
	s_cbranch_execz .LBB2_1065
; %bb.1064:
	v_lshlrev_b32_e32 v11, 8, v0
	ds_read_b32 v12, v11 offset:1024
	s_movk_i32 s8, 0xff04
	v_mad_i32_i24 v13, v0, s8, v11
	s_waitcnt lgkmcnt(0)
	ds_write_b32 v13, v12 offset:16
	ds_read_b32 v12, v11 offset:1028
	s_waitcnt lgkmcnt(0)
	ds_write_b32 v13, v12 offset:272
	ds_read_b32 v12, v11 offset:1032
	;; [unrolled: 3-line block ×3, first 2 shown]
	s_waitcnt lgkmcnt(0)
	ds_write_b32 v13, v11 offset:784
.LBB2_1065:
	s_or_b64 exec, exec, s[0:1]
	s_waitcnt lgkmcnt(0)
	s_barrier
	s_and_saveexec_b64 s[0:1], vcc
	s_cbranch_execz .LBB2_1067
; %bb.1066:
	v_mov_b32_e32 v13, 0
	ds_read_b32 v12, v13 offset:776
	v_mov_b32_e32 v11, 1.0
	ds_write_b32 v13, v11 offset:780
	s_waitcnt lgkmcnt(1)
	ds_write_b64 v13, v[11:12] offset:520
.LBB2_1067:
	s_or_b64 exec, exec, s[0:1]
	v_mov_b32_e32 v11, 0
	s_waitcnt lgkmcnt(0)
	s_barrier
	buffer_wbinvl1_vol
	s_and_saveexec_b64 s[0:1], s[2:3]
	s_cbranch_execz .LBB2_1071
; %bb.1068:
	v_lshlrev_b32_e32 v11, 8, v3
	v_lshlrev_b32_e32 v12, 2, v2
	ds_read_b32 v13, v12 offset:512
	ds_read_b32 v11, v11 offset:520
	v_mov_b32_e32 v12, 0
	v_cmp_gt_u32_e64 s[8:9], 2, v5
	s_waitcnt lgkmcnt(0)
	v_fma_f32 v11, v13, v11, 0
	s_and_saveexec_b64 s[10:11], s[8:9]
	s_cbranch_execz .LBB2_1070
; %bb.1069:
	v_lshlrev_b32_e32 v5, 2, v0
	ds_read_b32 v5, v5 offset:768
	ds_read_b32 v12, v12 offset:780
	s_waitcnt lgkmcnt(0)
	v_fmac_f32_e32 v11, v5, v12
.LBB2_1070:
	s_or_b64 exec, exec, s[10:11]
.LBB2_1071:
	s_or_b64 exec, exec, s[0:1]
	s_and_saveexec_b64 s[0:1], s[28:29]
; %bb.1072:
	v_xor_b32_e32 v5, 0x80000000, v11
	ds_write_b32 v4, v5
; %bb.1073:
	s_or_b64 exec, exec, s[0:1]
	s_waitcnt lgkmcnt(0)
	s_barrier
	s_and_saveexec_b64 s[0:1], s[26:27]
	s_cbranch_execz .LBB2_1075
; %bb.1074:
	v_mov_b32_e32 v5, 0
	ds_read_b32 v5, v5 offset:256
	ds_read_b32 v12, v4
	s_waitcnt lgkmcnt(0)
	v_fma_f32 v11, -v5, v12, v11
.LBB2_1075:
	s_or_b64 exec, exec, s[0:1]
	s_barrier
	s_and_saveexec_b64 s[0:1], s[26:27]
; %bb.1076:
	v_xor_b32_e32 v5, 0x80000000, v11
	ds_write_b32 v4, v5
; %bb.1077:
	s_or_b64 exec, exec, s[0:1]
	s_waitcnt lgkmcnt(0)
	s_barrier
	s_barrier
	s_and_saveexec_b64 s[0:1], s[2:3]
; %bb.1078:
	v_lshlrev_b32_e32 v2, 2, v2
	v_lshl_or_b32 v2, v3, 8, v2
	ds_write_b32 v2, v11 offset:512
; %bb.1079:
	s_or_b64 exec, exec, s[0:1]
	s_waitcnt lgkmcnt(0)
	s_barrier
	s_barrier
	s_and_saveexec_b64 s[0:1], s[30:31]
	s_cbranch_execz .LBB2_1081
; %bb.1080:
	v_lshlrev_b32_e32 v2, 2, v0
	s_movk_i32 s2, 0xfc
	v_mad_u32_u24 v3, v0, s2, v2
	ds_read_b32 v4, v3 offset:512
	s_waitcnt lgkmcnt(0)
	ds_write_b32 v2, v4 offset:8
	ds_read_b32 v3, v3 offset:516
	s_waitcnt lgkmcnt(0)
	ds_write_b32 v2, v3 offset:264
.LBB2_1081:
	s_or_b64 exec, exec, s[0:1]
	s_waitcnt lgkmcnt(0)
	s_barrier
	s_and_saveexec_b64 s[0:1], vcc
	s_cbranch_execz .LBB2_1083
; %bb.1082:
	v_mov_b32_e32 v4, 0
	ds_read_b32 v3, v4 offset:256
	v_mov_b32_e32 v2, 1.0
	ds_write_b32 v4, v2 offset:260
	s_waitcnt lgkmcnt(1)
	ds_write_b64 v4, v[2:3]
.LBB2_1083:
	s_or_b64 exec, exec, s[0:1]
.LBB2_1084:
	s_load_dwordx4 s[12:15], s[4:5], 0x48
	v_cmp_le_i32_e32 vcc, s7, v0
	v_mov_b32_e32 v12, 0
	v_lshl_add_u32 v2, s6, 6, v0
	s_waitcnt lgkmcnt(0)
	s_mul_i32 s1, s13, s22
	s_mul_hi_u32 s2, s12, s22
	s_mul_i32 s0, s12, s22
	s_add_i32 s1, s2, s1
	s_lshl_b64 s[0:1], s[0:1], 2
	s_add_u32 s2, s46, s0
	s_addc_u32 s3, s47, s1
	s_lshl_b64 s[0:1], s[48:49], 2
	s_add_u32 s20, s2, s0
	s_addc_u32 s21, s3, s1
	s_and_b64 s[16:17], vcc, s[24:25]
	v_cmp_eq_u32_e64 s[2:3], 0, v1
	s_xor_b64 s[0:1], s[16:17], -1
	s_and_b64 s[4:5], s[2:3], s[0:1]
	s_barrier
	s_and_saveexec_b64 s[0:1], s[4:5]
	s_cbranch_execz .LBB2_1086
; %bb.1085:
	v_ashrrev_i32_e32 v5, 31, v2
	v_mul_lo_u32 v11, s51, v2
	v_mad_u64_u32 v[3:4], s[4:5], s50, v2, 0
	v_mul_lo_u32 v5, s50, v5
	v_add3_u32 v4, v4, v5, v11
	v_lshlrev_b64 v[3:4], 2, v[3:4]
	v_mov_b32_e32 v5, s21
	v_add_co_u32_e32 v3, vcc, s20, v3
	v_addc_co_u32_e32 v4, vcc, v5, v4, vcc
	global_load_dword v3, v[3:4], off
	s_waitcnt vmcnt(0)
	v_mul_f32_e64 v12, v3, -s37
.LBB2_1086:
	s_or_b64 exec, exec, s[0:1]
	s_and_b32 s0, 0xffff, s36
	v_mad_u32_u24 v11, v1, s0, v0
	s_cmp_lt_i32 s6, 1
	v_cmp_eq_u32_e64 s[4:5], 0, v11
	s_cbranch_scc1 .LBB2_1112
; %bb.1087:
	v_mad_u64_u32 v[3:4], s[0:1], s40, v2, 0
	v_cmp_gt_i32_e64 s[8:9], s33, v2
	s_mov_b32 s26, 0
	v_mad_u64_u32 v[4:5], s[0:1], s41, v2, v[4:5]
	s_lshl_b64 s[0:1], s[22:23], 2
	s_add_u32 s0, s14, s0
	v_lshlrev_b64 v[2:3], 2, v[3:4]
	v_mov_b32_e32 v5, 0x5000
	v_mov_b32_e32 v4, s87
	v_add_co_u32_e32 v15, vcc, s86, v2
	s_addc_u32 s1, s15, s1
	v_cmp_gt_u32_e64 s[12:13], 64, v11
	v_lshl_add_u32 v13, v11, 2, v5
	v_lshl_or_b32 v14, v1, 2, v5
	s_add_i32 s27, s6, -1
	v_addc_co_u32_e32 v16, vcc, v4, v3, vcc
	v_mov_b32_e32 v17, -1
	v_mov_b32_e32 v3, 0
	s_branch .LBB2_1090
.LBB2_1088:                             ;   in Loop: Header=BB2_1090 Depth=1
	ds_read_b32 v4, v14 offset:192
	s_waitcnt vmcnt(0) lgkmcnt(0)
	v_fmac_f32_e32 v12, v2, v4
.LBB2_1089:                             ;   in Loop: Header=BB2_1090 Depth=1
	s_or_b64 exec, exec, s[18:19]
	s_add_i32 s26, s26, 1
	s_cmp_eq_u32 s26, s6
	s_cbranch_scc1 .LBB2_1112
.LBB2_1090:                             ; =>This Loop Header: Depth=1
                                        ;     Child Loop BB2_1092 Depth 2
	v_cmp_gt_i32_e32 vcc, s26, v17
	s_and_b64 s[18:19], s[4:5], vcc
	s_and_saveexec_b64 s[10:11], s[18:19]
	s_cbranch_execz .LBB2_1093
; %bb.1091:                             ;   in Loop: Header=BB2_1090 Depth=1
	global_load_dword v17, v3, s[0:1]
	s_waitcnt vmcnt(0)
	v_cmp_le_i32_e32 vcc, s26, v17
	s_cbranch_vccnz .LBB2_1093
.LBB2_1092:                             ;   Parent Loop BB2_1090 Depth=1
                                        ; =>  This Inner Loop Header: Depth=2
	buffer_wbinvl1_vol
	global_load_dword v17, v3, s[0:1]
	s_waitcnt vmcnt(0)
	v_cmp_gt_i32_e32 vcc, s26, v17
	s_cbranch_vccnz .LBB2_1092
.LBB2_1093:                             ;   in Loop: Header=BB2_1090 Depth=1
	s_or_b64 exec, exec, s[10:11]
	s_lshl_b32 s28, s26, 6
	buffer_wbinvl1_vol
	s_barrier
	s_and_saveexec_b64 s[10:11], s[12:13]
	s_cbranch_execz .LBB2_1097
; %bb.1094:                             ;   in Loop: Header=BB2_1090 Depth=1
	v_or_b32_e32 v4, s28, v11
	v_cmp_gt_i32_e32 vcc, s33, v4
	v_mov_b32_e32 v2, 0
	s_and_saveexec_b64 s[18:19], vcc
	s_cbranch_execz .LBB2_1096
; %bb.1095:                             ;   in Loop: Header=BB2_1090 Depth=1
	v_mad_u64_u32 v[18:19], s[30:31], s50, v4, 0
	v_mov_b32_e32 v2, v19
	v_mad_u64_u32 v[4:5], s[30:31], s51, v4, v[2:3]
	v_mov_b32_e32 v2, s21
	v_mov_b32_e32 v19, v4
	v_lshlrev_b64 v[4:5], 2, v[18:19]
	v_add_co_u32_e32 v4, vcc, s20, v4
	v_addc_co_u32_e32 v5, vcc, v2, v5, vcc
	global_load_dword v2, v[4:5], off
.LBB2_1096:                             ;   in Loop: Header=BB2_1090 Depth=1
	s_or_b64 exec, exec, s[18:19]
	s_waitcnt vmcnt(0)
	ds_write_b32 v13, v2
.LBB2_1097:                             ;   in Loop: Header=BB2_1090 Depth=1
	s_or_b64 exec, exec, s[10:11]
	v_add_u32_e32 v2, s28, v1
	v_lshlrev_b64 v[4:5], 2, v[2:3]
	s_cmp_lg_u32 s26, s27
	v_add_co_u32_e32 v4, vcc, v15, v4
	s_cselect_b64 s[10:11], -1, 0
	v_addc_co_u32_e32 v5, vcc, v16, v5, vcc
	v_cmp_gt_i32_e32 vcc, s33, v2
	v_cndmask_b32_e64 v18, 0, 1, s[10:11]
	s_and_b64 s[28:29], vcc, s[8:9]
	v_cmp_ne_u32_e64 s[10:11], 1, v18
	s_waitcnt lgkmcnt(0)
	s_barrier
	s_and_saveexec_b64 s[18:19], s[28:29]
	s_cbranch_execz .LBB2_1101
; %bb.1098:                             ;   in Loop: Header=BB2_1090 Depth=1
	s_and_b64 vcc, exec, s[10:11]
	v_mov_b32_e32 v18, v8
	s_cbranch_vccnz .LBB2_1100
; %bb.1099:                             ;   in Loop: Header=BB2_1090 Depth=1
	global_load_dword v18, v[4:5], off
.LBB2_1100:                             ;   in Loop: Header=BB2_1090 Depth=1
	ds_read_b32 v19, v14
	s_waitcnt vmcnt(0) lgkmcnt(0)
	v_fmac_f32_e32 v12, v18, v19
.LBB2_1101:                             ;   in Loop: Header=BB2_1090 Depth=1
	s_or_b64 exec, exec, s[18:19]
	v_add_u32_e32 v18, 16, v2
	v_cmp_gt_i32_e32 vcc, s33, v18
	s_and_b64 s[28:29], vcc, s[8:9]
	s_and_saveexec_b64 s[18:19], s[28:29]
	s_cbranch_execz .LBB2_1105
; %bb.1102:                             ;   in Loop: Header=BB2_1090 Depth=1
	s_and_b64 vcc, exec, s[10:11]
	v_mov_b32_e32 v18, v7
	s_cbranch_vccnz .LBB2_1104
; %bb.1103:                             ;   in Loop: Header=BB2_1090 Depth=1
	global_load_dword v18, v[4:5], off offset:64
.LBB2_1104:                             ;   in Loop: Header=BB2_1090 Depth=1
	ds_read_b32 v19, v14 offset:64
	s_waitcnt vmcnt(0) lgkmcnt(0)
	v_fmac_f32_e32 v12, v18, v19
.LBB2_1105:                             ;   in Loop: Header=BB2_1090 Depth=1
	s_or_b64 exec, exec, s[18:19]
	v_add_u32_e32 v18, 32, v2
	v_cmp_gt_i32_e32 vcc, s33, v18
	s_and_b64 s[28:29], vcc, s[8:9]
	s_and_saveexec_b64 s[18:19], s[28:29]
	s_cbranch_execz .LBB2_1109
; %bb.1106:                             ;   in Loop: Header=BB2_1090 Depth=1
	s_and_b64 vcc, exec, s[10:11]
	v_mov_b32_e32 v18, v10
	s_cbranch_vccnz .LBB2_1108
; %bb.1107:                             ;   in Loop: Header=BB2_1090 Depth=1
	global_load_dword v18, v[4:5], off offset:128
.LBB2_1108:                             ;   in Loop: Header=BB2_1090 Depth=1
	ds_read_b32 v19, v14 offset:128
	s_waitcnt vmcnt(0) lgkmcnt(0)
	v_fmac_f32_e32 v12, v18, v19
.LBB2_1109:                             ;   in Loop: Header=BB2_1090 Depth=1
	s_or_b64 exec, exec, s[18:19]
	v_add_u32_e32 v2, 48, v2
	v_cmp_gt_i32_e32 vcc, s33, v2
	s_and_b64 s[28:29], vcc, s[8:9]
	s_and_saveexec_b64 s[18:19], s[28:29]
	s_cbranch_execz .LBB2_1089
; %bb.1110:                             ;   in Loop: Header=BB2_1090 Depth=1
	s_and_b64 vcc, exec, s[10:11]
	v_mov_b32_e32 v2, v9
	s_cbranch_vccnz .LBB2_1088
; %bb.1111:                             ;   in Loop: Header=BB2_1090 Depth=1
	global_load_dword v2, v[4:5], off offset:192
	s_branch .LBB2_1088
.LBB2_1112:
	v_lshl_add_u32 v2, v1, 6, v0
	s_xor_b64 s[0:1], s[24:25], -1
	v_lshlrev_b32_e32 v2, 2, v2
	ds_write_b32 v2, v12 offset:16384
	s_waitcnt lgkmcnt(0)
	s_barrier
	s_and_saveexec_b64 s[4:5], s[2:3]
	s_cbranch_execz .LBB2_1114
; %bb.1113:
	v_lshlrev_b32_e32 v5, 2, v0
	ds_read2st64_b32 v[3:4], v5 offset0:65 offset1:66
	ds_read2st64_b32 v[7:8], v5 offset0:67 offset1:68
	ds_read2st64_b32 v[9:10], v5 offset0:69 offset1:70
	ds_read2st64_b32 v[13:14], v5 offset0:71 offset1:72
	ds_read2st64_b32 v[15:16], v5 offset0:73 offset1:74
	s_waitcnt lgkmcnt(4)
	v_add_f32_e32 v3, v12, v3
	v_add_f32_e32 v3, v3, v4
	s_waitcnt lgkmcnt(3)
	v_add_f32_e32 v3, v3, v7
	v_add_f32_e32 v3, v3, v8
	s_waitcnt lgkmcnt(2)
	v_add_f32_e32 v3, v3, v9
	v_add_f32_e32 v3, v3, v10
	s_waitcnt lgkmcnt(1)
	v_add_f32_e32 v3, v3, v13
	v_add_f32_e32 v9, v3, v14
	ds_read2st64_b32 v[3:4], v5 offset0:75 offset1:76
	ds_read2st64_b32 v[7:8], v5 offset0:77 offset1:78
	ds_read_b32 v5, v5 offset:20224
	s_waitcnt lgkmcnt(3)
	v_add_f32_e32 v9, v9, v15
	v_add_f32_e32 v9, v9, v16
	s_waitcnt lgkmcnt(2)
	v_add_f32_e32 v3, v9, v3
	v_add_f32_e32 v3, v3, v4
	;; [unrolled: 3-line block ×3, first 2 shown]
	s_waitcnt lgkmcnt(0)
	v_add_f32_e32 v3, v3, v5
	v_cndmask_b32_e64 v12, -v3, 0, s[16:17]
.LBB2_1114:
	s_or_b64 exec, exec, s[4:5]
	s_and_b64 vcc, exec, s[56:57]
	s_cbranch_vccnz .LBB2_1128
; %bb.1115:
	v_mov_b32_e32 v3, 0x5000
	v_lshl_or_b32 v4, v1, 2, v3
	s_and_saveexec_b64 s[4:5], s[2:3]
; %bb.1116:
	v_lshl_add_u32 v3, v0, 2, v4
	ds_write_b32 v3, v12
; %bb.1117:
	s_or_b64 exec, exec, s[4:5]
	v_cmp_le_u32_e32 vcc, v1, v0
	v_mov_b32_e32 v3, 0
	s_waitcnt lgkmcnt(0)
	s_barrier
	s_and_saveexec_b64 s[4:5], vcc
	s_cbranch_execz .LBB2_1119
; %bb.1118:
	ds_read_b32 v3, v2
	ds_read_b32 v5, v4
	s_waitcnt lgkmcnt(0)
	v_fma_f32 v3, v3, v5, 0
.LBB2_1119:
	s_or_b64 exec, exec, s[4:5]
	v_add_u32_e32 v5, 16, v1
	v_cmp_ge_u32_e32 vcc, v0, v5
	s_and_saveexec_b64 s[4:5], vcc
	s_cbranch_execz .LBB2_1121
; %bb.1120:
	ds_read_b32 v5, v2 offset:4096
	ds_read_b32 v7, v4 offset:64
	s_waitcnt lgkmcnt(0)
	v_fmac_f32_e32 v3, v5, v7
.LBB2_1121:
	s_or_b64 exec, exec, s[4:5]
	v_add_u32_e32 v5, 32, v1
	v_cmp_ge_u32_e32 vcc, v0, v5
	s_and_saveexec_b64 s[4:5], vcc
	s_cbranch_execz .LBB2_1123
; %bb.1122:
	ds_read_b32 v5, v2 offset:8192
	ds_read_b32 v7, v4 offset:128
	s_waitcnt lgkmcnt(0)
	v_fmac_f32_e32 v3, v5, v7
.LBB2_1123:
	s_or_b64 exec, exec, s[4:5]
	v_add_u32_e32 v1, 48, v1
	v_add_u32_e32 v5, 0x4000, v2
	v_cmp_ge_u32_e32 vcc, v0, v1
	s_and_saveexec_b64 s[4:5], vcc
	s_cbranch_execz .LBB2_1125
; %bb.1124:
	ds_read_b32 v1, v2 offset:12288
	ds_read_b32 v2, v4 offset:192
	s_waitcnt lgkmcnt(0)
	v_fmac_f32_e32 v3, v1, v2
.LBB2_1125:
	s_or_b64 exec, exec, s[4:5]
	s_mov_b64 s[8:9], 0
	s_mov_b64 s[4:5], 0
	ds_write_b32 v5, v3
	s_waitcnt lgkmcnt(0)
	s_barrier
                                        ; implicit-def: $vgpr4
                                        ; implicit-def: $vgpr1_vgpr2
	s_and_saveexec_b64 s[10:11], s[2:3]
	s_cbranch_execz .LBB2_1161
; %bb.1126:
	v_lshlrev_b32_e32 v13, 2, v0
	ds_read2st64_b32 v[1:2], v13 offset0:65 offset1:66
	ds_read2st64_b32 v[4:5], v13 offset0:67 offset1:68
	;; [unrolled: 1-line block ×4, first 2 shown]
	s_mov_b64 s[4:5], exec
	s_waitcnt lgkmcnt(3)
	v_add_f32_e32 v1, v3, v1
	v_add_f32_e32 v1, v2, v1
	s_waitcnt lgkmcnt(2)
	v_add_f32_e32 v1, v4, v1
	v_add_f32_e32 v1, v5, v1
	ds_read2st64_b32 v[2:3], v13 offset0:73 offset1:74
	s_waitcnt lgkmcnt(2)
	v_add_f32_e32 v1, v7, v1
	v_add_f32_e32 v1, v8, v1
	s_waitcnt lgkmcnt(1)
	v_add_f32_e32 v1, v9, v1
	v_add_f32_e32 v1, v10, v1
	ds_read2st64_b32 v[4:5], v13 offset0:75 offset1:76
	ds_read2st64_b32 v[7:8], v13 offset0:77 offset1:78
	ds_read_b32 v9, v13 offset:20224
	v_lshl_add_u32 v13, s6, 6, v11
	s_waitcnt lgkmcnt(3)
	v_add_f32_e32 v10, v2, v1
	v_mad_u64_u32 v[1:2], s[12:13], s50, v13, 0
	v_add_f32_e32 v3, v3, v10
	s_waitcnt lgkmcnt(2)
	v_add_f32_e32 v3, v4, v3
	v_add_f32_e32 v4, v5, v3
	v_mad_u64_u32 v[2:3], s[12:13], s51, v13, v[2:3]
	s_waitcnt lgkmcnt(1)
	v_add_f32_e32 v3, v7, v4
	v_add_f32_e32 v3, v8, v3
	s_waitcnt lgkmcnt(0)
	v_add_f32_e32 v4, v9, v3
	s_or_b64 exec, exec, s[10:11]
	s_and_b64 vcc, exec, s[8:9]
	s_cbranch_vccnz .LBB2_1129
	s_branch .LBB2_1162
.LBB2_1127:
	v_mad_u64_u32 v[12:13], s[2:3], s40, v5, 0
	s_or_b64 s[10:11], s[10:11], exec
	v_mov_b32_e32 v4, v13
	v_mad_u64_u32 v[4:5], s[2:3], s41, v5, v[4:5]
	v_mov_b32_e32 v13, v4
	v_lshlrev_b64 v[4:5], 2, v[12:13]
	v_add_co_u32_e32 v2, vcc, v2, v4
	v_addc_co_u32_e32 v3, vcc, v3, v5, vcc
	global_load_dword v2, v[2:3], off
	s_waitcnt vmcnt(0)
	v_xor_b32_e32 v4, 0x80000000, v2
	s_or_b64 exec, exec, s[8:9]
	s_xor_b64 s[0:1], s[0:1], -1
	s_and_saveexec_b64 s[2:3], s[10:11]
	s_cbranch_execnz .LBB2_45
	s_branch .LBB2_46
.LBB2_1128:
	s_mov_b64 s[4:5], 0
                                        ; implicit-def: $vgpr4
                                        ; implicit-def: $vgpr1_vgpr2
	s_cbranch_execz .LBB2_1162
.LBB2_1129:
	s_mov_b32 s10, 0
	v_mov_b32_e32 v1, 0
	v_mov_b32_e32 v2, v0
	s_branch .LBB2_1131
.LBB2_1130:                             ;   in Loop: Header=BB2_1131 Depth=1
	s_or_b64 exec, exec, s[8:9]
	s_add_i32 s10, s10, 4
	v_add_u32_e32 v6, 0x400, v6
	s_cmp_lg_u32 s10, 64
	v_add_u32_e32 v2, -4, v2
	s_barrier
	s_cbranch_scc0 .LBB2_1147
.LBB2_1131:                             ; =>This Inner Loop Header: Depth=1
	v_cmp_eq_u32_e32 vcc, 0, v2
	s_and_b64 s[12:13], s[2:3], vcc
	s_and_saveexec_b64 s[8:9], s[12:13]
; %bb.1132:                             ;   in Loop: Header=BB2_1131 Depth=1
	ds_write_b32 v1, v12 offset:20736
; %bb.1133:                             ;   in Loop: Header=BB2_1131 Depth=1
	s_or_b64 exec, exec, s[8:9]
	v_cmp_lt_u32_e32 vcc, s10, v0
	s_and_b64 s[12:13], s[2:3], vcc
	s_waitcnt lgkmcnt(0)
	s_barrier
	s_and_saveexec_b64 s[8:9], s[12:13]
	s_cbranch_execz .LBB2_1135
; %bb.1134:                             ;   in Loop: Header=BB2_1131 Depth=1
	ds_read_b32 v3, v6
	ds_read_b32 v4, v1 offset:20736
	s_waitcnt lgkmcnt(0)
	v_fmac_f32_e32 v12, v3, v4
.LBB2_1135:                             ;   in Loop: Header=BB2_1131 Depth=1
	s_or_b64 exec, exec, s[8:9]
	s_or_b32 s11, s10, 1
	v_cmp_eq_u32_e32 vcc, s11, v0
	s_and_b64 s[12:13], s[2:3], vcc
	s_barrier
	s_and_saveexec_b64 s[8:9], s[12:13]
; %bb.1136:                             ;   in Loop: Header=BB2_1131 Depth=1
	ds_write_b32 v1, v12 offset:20736
; %bb.1137:                             ;   in Loop: Header=BB2_1131 Depth=1
	s_or_b64 exec, exec, s[8:9]
	v_cmp_lt_u32_e32 vcc, s11, v0
	s_and_b64 s[12:13], s[2:3], vcc
	s_waitcnt lgkmcnt(0)
	s_barrier
	s_and_saveexec_b64 s[8:9], s[12:13]
	s_cbranch_execz .LBB2_1139
; %bb.1138:                             ;   in Loop: Header=BB2_1131 Depth=1
	ds_read_b32 v3, v6 offset:256
	ds_read_b32 v4, v1 offset:20736
	s_waitcnt lgkmcnt(0)
	v_fmac_f32_e32 v12, v3, v4
.LBB2_1139:                             ;   in Loop: Header=BB2_1131 Depth=1
	s_or_b64 exec, exec, s[8:9]
	s_or_b32 s11, s10, 2
	v_cmp_eq_u32_e32 vcc, s11, v0
	s_and_b64 s[12:13], s[2:3], vcc
	s_barrier
	s_and_saveexec_b64 s[8:9], s[12:13]
; %bb.1140:                             ;   in Loop: Header=BB2_1131 Depth=1
	ds_write_b32 v1, v12 offset:20736
; %bb.1141:                             ;   in Loop: Header=BB2_1131 Depth=1
	s_or_b64 exec, exec, s[8:9]
	v_cmp_lt_u32_e32 vcc, s11, v0
	s_and_b64 s[12:13], s[2:3], vcc
	s_waitcnt lgkmcnt(0)
	s_barrier
	s_and_saveexec_b64 s[8:9], s[12:13]
	s_cbranch_execz .LBB2_1143
; %bb.1142:                             ;   in Loop: Header=BB2_1131 Depth=1
	ds_read_b32 v3, v6 offset:512
	ds_read_b32 v4, v1 offset:20736
	s_waitcnt lgkmcnt(0)
	v_fmac_f32_e32 v12, v3, v4
.LBB2_1143:                             ;   in Loop: Header=BB2_1131 Depth=1
	s_or_b64 exec, exec, s[8:9]
	s_or_b32 s11, s10, 3
	v_cmp_eq_u32_e32 vcc, s11, v0
	s_and_b64 s[12:13], s[2:3], vcc
	s_barrier
	s_and_saveexec_b64 s[8:9], s[12:13]
; %bb.1144:                             ;   in Loop: Header=BB2_1131 Depth=1
	ds_write_b32 v1, v12 offset:20736
; %bb.1145:                             ;   in Loop: Header=BB2_1131 Depth=1
	s_or_b64 exec, exec, s[8:9]
	v_cmp_lt_u32_e32 vcc, s11, v0
	s_and_b64 s[12:13], s[2:3], vcc
	s_waitcnt lgkmcnt(0)
	s_barrier
	s_and_saveexec_b64 s[8:9], s[12:13]
	s_cbranch_execz .LBB2_1130
; %bb.1146:                             ;   in Loop: Header=BB2_1131 Depth=1
	ds_read_b32 v3, v6 offset:768
	ds_read_b32 v4, v1 offset:20736
	s_waitcnt lgkmcnt(0)
	v_fmac_f32_e32 v12, v3, v4
	s_branch .LBB2_1130
.LBB2_1147:
	s_and_b64 vcc, exec, s[0:1]
	s_cbranch_vccz .LBB2_1163
; %bb.1148:
	s_and_b64 s[0:1], s[2:3], exec
	s_cbranch_execz .LBB2_1164
	s_branch .LBB2_1165
.LBB2_1149:
	v_or_b32_e32 v11, v1, v0
	v_cmp_gt_u32_e32 vcc, 64, v11
	s_and_b64 s[10:11], vcc, exec
	s_andn2_saveexec_b64 s[8:9], s[8:9]
	s_cbranch_execz .LBB2_14
.LBB2_1150:
	v_mad_u64_u32 v[11:12], s[12:13], s40, v1, 0
	s_or_b64 s[10:11], s[10:11], exec
	v_mov_b32_e32 v5, v12
	v_mad_u64_u32 v[12:13], s[12:13], s41, v1, v[5:6]
	v_lshlrev_b64 v[11:12], 2, v[11:12]
	v_add_co_u32_e32 v11, vcc, v2, v11
	v_addc_co_u32_e32 v12, vcc, v3, v12, vcc
	global_load_dword v5, v[11:12], off
	s_waitcnt vmcnt(0)
	v_xor_b32_e32 v5, 0x80000000, v5
	s_or_b64 exec, exec, s[8:9]
	s_and_saveexec_b64 s[8:9], s[10:11]
	s_cbranch_execnz .LBB2_15
	s_branch .LBB2_16
.LBB2_1151:
	v_or_b32_e32 v11, v5, v0
	v_cmp_gt_u32_e32 vcc, 64, v11
	s_and_b64 s[2:3], vcc, exec
	s_or_saveexec_b64 s[8:9], s[8:9]
	v_mov_b32_e32 v11, 0
	s_xor_b64 exec, exec, s[8:9]
	s_cbranch_execz .LBB2_18
.LBB2_1152:
	v_mad_u64_u32 v[11:12], s[10:11], s40, v5, 0
	s_or_b64 s[2:3], s[2:3], exec
	v_mad_u64_u32 v[12:13], s[10:11], s41, v5, v[12:13]
	v_lshlrev_b64 v[11:12], 2, v[11:12]
	v_add_co_u32_e32 v11, vcc, v2, v11
	v_addc_co_u32_e32 v12, vcc, v3, v12, vcc
	global_load_dword v11, v[11:12], off
	s_waitcnt vmcnt(0)
	v_xor_b32_e32 v11, 0x80000000, v11
	s_or_b64 exec, exec, s[8:9]
	s_and_saveexec_b64 s[8:9], s[2:3]
	s_cbranch_execnz .LBB2_19
	s_branch .LBB2_20
.LBB2_1153:
	v_or_b32_e32 v11, v5, v0
	v_cmp_gt_u32_e32 vcc, 64, v11
	s_and_b64 s[2:3], vcc, exec
	s_or_saveexec_b64 s[8:9], s[8:9]
	v_mov_b32_e32 v11, 0
	s_xor_b64 exec, exec, s[8:9]
	s_cbranch_execz .LBB2_22
.LBB2_1154:
	v_mad_u64_u32 v[11:12], s[10:11], s40, v5, 0
	s_or_b64 s[2:3], s[2:3], exec
	v_mad_u64_u32 v[12:13], s[10:11], s41, v5, v[12:13]
	v_lshlrev_b64 v[11:12], 2, v[11:12]
	v_add_co_u32_e32 v11, vcc, v2, v11
	v_addc_co_u32_e32 v12, vcc, v3, v12, vcc
	global_load_dword v11, v[11:12], off
	s_waitcnt vmcnt(0)
	v_xor_b32_e32 v11, 0x80000000, v11
	s_or_b64 exec, exec, s[8:9]
	s_and_saveexec_b64 s[8:9], s[2:3]
	s_cbranch_execnz .LBB2_23
	s_branch .LBB2_24
.LBB2_1155:
	v_or_b32_e32 v11, v1, v0
	v_cmp_gt_u32_e64 s[2:3], 64, v11
	s_and_b64 s[8:9], s[2:3], exec
	s_andn2_saveexec_b64 s[12:13], s[12:13]
	s_cbranch_execz .LBB2_30
.LBB2_1156:
	v_mad_u64_u32 v[11:12], s[2:3], s40, v1, 0
	s_or_b64 s[8:9], s[8:9], exec
	v_mov_b32_e32 v5, v12
	v_mad_u64_u32 v[12:13], s[2:3], s41, v1, v[5:6]
	v_lshlrev_b64 v[11:12], 2, v[11:12]
	v_add_co_u32_e64 v11, s[2:3], v2, v11
	v_addc_co_u32_e64 v12, s[2:3], v3, v12, s[2:3]
	global_load_dword v5, v[11:12], off
	s_waitcnt vmcnt(0)
	v_xor_b32_e32 v5, 0x80000000, v5
	s_or_b64 exec, exec, s[12:13]
	s_and_saveexec_b64 s[2:3], s[8:9]
	s_cbranch_execnz .LBB2_31
	s_branch .LBB2_32
.LBB2_1157:
	v_or_b32_e32 v11, v5, v0
	v_cmp_gt_u32_e64 s[2:3], 64, v11
	s_and_b64 s[8:9], s[2:3], exec
	s_or_saveexec_b64 s[12:13], s[12:13]
	v_mov_b32_e32 v11, 0
	s_xor_b64 exec, exec, s[12:13]
	s_cbranch_execz .LBB2_34
.LBB2_1158:
	v_mad_u64_u32 v[11:12], s[2:3], s40, v5, 0
	s_or_b64 s[8:9], s[8:9], exec
	v_mad_u64_u32 v[12:13], s[2:3], s41, v5, v[12:13]
	v_lshlrev_b64 v[11:12], 2, v[11:12]
	v_add_co_u32_e64 v11, s[2:3], v2, v11
	v_addc_co_u32_e64 v12, s[2:3], v3, v12, s[2:3]
	global_load_dword v11, v[11:12], off
	s_waitcnt vmcnt(0)
	v_xor_b32_e32 v11, 0x80000000, v11
	s_or_b64 exec, exec, s[12:13]
	s_and_saveexec_b64 s[2:3], s[8:9]
	s_cbranch_execnz .LBB2_35
	s_branch .LBB2_36
.LBB2_1159:
	v_or_b32_e32 v11, v5, v0
	v_cmp_gt_u32_e64 s[2:3], 64, v11
	s_and_b64 s[8:9], s[2:3], exec
	s_or_saveexec_b64 s[12:13], s[12:13]
	v_mov_b32_e32 v11, 0
	s_xor_b64 exec, exec, s[12:13]
	s_cbranch_execz .LBB2_38
.LBB2_1160:
	v_mad_u64_u32 v[11:12], s[2:3], s40, v5, 0
	s_or_b64 s[8:9], s[8:9], exec
	v_mad_u64_u32 v[12:13], s[2:3], s41, v5, v[12:13]
	v_lshlrev_b64 v[11:12], 2, v[11:12]
	v_add_co_u32_e64 v11, s[2:3], v2, v11
	v_addc_co_u32_e64 v12, s[2:3], v3, v12, s[2:3]
	global_load_dword v11, v[11:12], off
	s_waitcnt vmcnt(0)
	v_xor_b32_e32 v11, 0x80000000, v11
	s_or_b64 exec, exec, s[12:13]
	s_and_saveexec_b64 s[2:3], s[8:9]
	s_cbranch_execnz .LBB2_39
	s_branch .LBB2_40
.LBB2_1161:
	s_or_b64 exec, exec, s[10:11]
	s_and_b64 vcc, exec, s[8:9]
	s_cbranch_vccnz .LBB2_1129
.LBB2_1162:
	v_mov_b32_e32 v12, v4
	s_and_saveexec_b64 s[0:1], s[4:5]
	s_cbranch_execnz .LBB2_1168
	s_branch .LBB2_1169
.LBB2_1163:
	s_mov_b64 s[0:1], 0
.LBB2_1164:
	v_cmp_gt_i32_e32 vcc, s7, v0
	s_and_b64 s[2:3], s[2:3], vcc
	s_andn2_b64 s[0:1], s[0:1], exec
	s_and_b64 s[2:3], s[2:3], exec
	s_or_b64 s[0:1], s[0:1], s[2:3]
.LBB2_1165:
                                        ; implicit-def: $vgpr1_vgpr2
	s_and_saveexec_b64 s[2:3], s[0:1]
	s_cbranch_execz .LBB2_1167
; %bb.1166:
	s_lshl_b32 s0, s6, 6
	s_ashr_i32 s1, s0, 31
	v_mov_b32_e32 v0, s1
	v_add_co_u32_e32 v1, vcc, s0, v11
	v_addc_co_u32_e32 v0, vcc, 0, v0, vcc
	v_mul_lo_u32 v0, v0, s50
	v_mul_lo_u32 v3, v1, s51
	v_mad_u64_u32 v[1:2], s[0:1], v1, s50, 0
	s_or_b64 s[4:5], s[4:5], exec
	v_add3_u32 v2, v2, v3, v0
.LBB2_1167:
	s_or_b64 exec, exec, s[2:3]
	s_and_saveexec_b64 s[0:1], s[4:5]
	s_cbranch_execz .LBB2_1169
.LBB2_1168:
	v_lshlrev_b64 v[0:1], 2, v[1:2]
	v_mov_b32_e32 v2, s21
	v_add_co_u32_e32 v0, vcc, s20, v0
	v_addc_co_u32_e32 v1, vcc, v2, v1, vcc
	global_store_dword v[0:1], v12, off
.LBB2_1169:
	s_or_b64 exec, exec, s[0:1]
	v_cmp_eq_u32_e32 vcc, 0, v11
	s_waitcnt vmcnt(0)
	buffer_wbinvl1_vol
	s_barrier
	s_and_saveexec_b64 s[0:1], vcc
	s_cbranch_execz .LBB2_1171
; %bb.1170:
	s_lshl_b64 s[2:3], s[22:23], 2
	s_add_u32 s2, s14, s2
	s_addc_u32 s3, s15, s3
	v_mov_b32_e32 v0, 0
	global_load_dword v1, v0, s[2:3]
	s_waitcnt vmcnt(0)
	v_add_u32_e32 v1, 1, v1
	global_store_dword v0, v1, s[2:3]
.LBB2_1171:
	s_or_b64 exec, exec, s[0:1]
	s_waitcnt vmcnt(0)
	buffer_wbinvl1_vol
	s_endpgm
.LBB2_1172:
	ds_read_b32 v17, v16 offset:15840
	ds_read_b32 v18, v15 offset:15604
	s_waitcnt lgkmcnt(0)
	v_fmac_f32_e32 v14, v17, v18
	s_or_b64 exec, exec, s[14:15]
	v_cmp_gt_u32_e64 s[10:11], 8, v5
	s_and_saveexec_b64 s[14:15], s[10:11]
	s_cbranch_execz .LBB2_68
.LBB2_1173:
	ds_read_b32 v16, v16 offset:16096
	ds_read_b32 v15, v15 offset:15608
	s_waitcnt lgkmcnt(0)
	v_fmac_f32_e32 v14, v16, v15
	s_or_b64 exec, exec, s[14:15]
	v_cmp_gt_u32_e64 s[10:11], 4, v5
	s_and_saveexec_b64 s[14:15], s[10:11]
	s_cbranch_execnz .LBB2_69
	s_branch .LBB2_70
.LBB2_1174:
	ds_read_b32 v20, v19 offset:14784
	ds_read_b32 v21, v18 offset:14564
	s_waitcnt lgkmcnt(0)
	v_fmac_f32_e32 v17, v20, v21
	s_or_b64 exec, exec, s[16:17]
	v_cmp_gt_u32_e64 s[14:15], 48, v5
	s_and_saveexec_b64 s[16:17], s[14:15]
	s_cbranch_execz .LBB2_110
.LBB2_1175:
	ds_read_b32 v20, v19 offset:15040
	ds_read_b32 v21, v18 offset:14568
	s_waitcnt lgkmcnt(0)
	v_fmac_f32_e32 v17, v20, v21
	s_or_b64 exec, exec, s[16:17]
	v_cmp_gt_u32_e64 s[14:15], 40, v5
	s_and_saveexec_b64 s[16:17], s[14:15]
	s_cbranch_execz .LBB2_111
.LBB2_1176:
	ds_read_b32 v20, v19 offset:15296
	ds_read_b32 v21, v18 offset:14572
	s_waitcnt lgkmcnt(0)
	v_fmac_f32_e32 v17, v20, v21
	s_or_b64 exec, exec, s[16:17]
	v_cmp_gt_u32_e64 s[14:15], 32, v5
	s_and_saveexec_b64 s[16:17], s[14:15]
	s_cbranch_execz .LBB2_112
.LBB2_1177:
	ds_read_b32 v20, v19 offset:15552
	ds_read_b32 v21, v18 offset:14576
	s_waitcnt lgkmcnt(0)
	v_fmac_f32_e32 v17, v20, v21
	s_or_b64 exec, exec, s[16:17]
	v_cmp_gt_u32_e64 s[14:15], 24, v5
	s_and_saveexec_b64 s[16:17], s[14:15]
	s_cbranch_execz .LBB2_113
.LBB2_1178:
	ds_read_b32 v20, v19 offset:15808
	ds_read_b32 v21, v18 offset:14580
	s_waitcnt lgkmcnt(0)
	v_fmac_f32_e32 v17, v20, v21
	s_or_b64 exec, exec, s[16:17]
	s_and_saveexec_b64 s[14:15], s[18:19]
	s_cbranch_execz .LBB2_114
.LBB2_1179:
	ds_read_b32 v19, v19 offset:16064
	ds_read_b32 v18, v18 offset:14584
	s_waitcnt lgkmcnt(0)
	v_fmac_f32_e32 v17, v19, v18
	s_or_b64 exec, exec, s[14:15]
	v_cmp_gt_u32_e64 s[14:15], 8, v5
	s_and_saveexec_b64 s[16:17], s[14:15]
	s_cbranch_execnz .LBB2_115
	s_branch .LBB2_116
.LBB2_1180:
	ds_read_b32 v20, v19 offset:13760
	ds_read_b32 v21, v18 offset:13524
	s_waitcnt lgkmcnt(0)
	v_fmac_f32_e32 v17, v20, v21
	s_or_b64 exec, exec, s[14:15]
	v_cmp_gt_u32_e64 s[10:11], 8, v5
	s_and_saveexec_b64 s[14:15], s[10:11]
	s_cbranch_execz .LBB2_172
.LBB2_1181:
	ds_read_b32 v19, v19 offset:14016
	ds_read_b32 v18, v18 offset:13528
	s_waitcnt lgkmcnt(0)
	v_fmac_f32_e32 v17, v19, v18
	s_or_b64 exec, exec, s[14:15]
	v_cmp_gt_u32_e64 s[10:11], 4, v5
	s_and_saveexec_b64 s[14:15], s[10:11]
	s_cbranch_execnz .LBB2_173
	s_branch .LBB2_174
.LBB2_1182:
	ds_read_b32 v23, v22 offset:15232
	ds_read_b32 v24, v21 offset:12524
	s_waitcnt lgkmcnt(0)
	v_fmac_f32_e32 v20, v23, v24
	s_or_b64 exec, exec, s[20:21]
	s_and_saveexec_b64 s[16:17], s[8:9]
	s_cbranch_execz .LBB2_234
.LBB2_1183:
	ds_read_b32 v23, v22 offset:15488
	ds_read_b32 v24, v21 offset:12528
	s_waitcnt lgkmcnt(0)
	v_fmac_f32_e32 v20, v23, v24
	s_or_b64 exec, exec, s[16:17]
	v_cmp_gt_u32_e64 s[16:17], 48, v5
	s_and_saveexec_b64 s[20:21], s[16:17]
	s_cbranch_execz .LBB2_235
.LBB2_1184:
	ds_read_b32 v23, v22 offset:15744
	ds_read_b32 v24, v21 offset:12532
	s_waitcnt lgkmcnt(0)
	v_fmac_f32_e32 v20, v23, v24
	s_or_b64 exec, exec, s[20:21]
	v_cmp_gt_u32_e64 s[16:17], 32, v5
	s_and_saveexec_b64 s[20:21], s[16:17]
	s_cbranch_execz .LBB2_236
.LBB2_1185:
	ds_read_b32 v22, v22 offset:16000
	ds_read_b32 v21, v21 offset:12536
	s_waitcnt lgkmcnt(0)
	v_fmac_f32_e32 v20, v22, v21
	s_or_b64 exec, exec, s[20:21]
	v_cmp_gt_u32_e64 s[16:17], 16, v5
	s_and_saveexec_b64 s[20:21], s[16:17]
	s_cbranch_execnz .LBB2_237
	s_branch .LBB2_238
.LBB2_1186:
	ds_read_b32 v23, v22 offset:11680
	ds_read_b32 v24, v21 offset:11444
	s_waitcnt lgkmcnt(0)
	v_fmac_f32_e32 v20, v23, v24
	s_or_b64 exec, exec, s[20:21]
	v_cmp_gt_u32_e64 s[14:15], 8, v5
	s_and_saveexec_b64 s[20:21], s[14:15]
	s_cbranch_execz .LBB2_326
.LBB2_1187:
	ds_read_b32 v22, v22 offset:11936
	ds_read_b32 v21, v21 offset:11448
	s_waitcnt lgkmcnt(0)
	v_fmac_f32_e32 v20, v22, v21
	s_or_b64 exec, exec, s[20:21]
	v_cmp_gt_u32_e64 s[14:15], 4, v5
	s_and_saveexec_b64 s[20:21], s[14:15]
	s_cbranch_execnz .LBB2_327
	s_branch .LBB2_328
.LBB2_1188:
	ds_read_b32 v23, v22 offset:10624
	ds_read_b32 v24, v21 offset:10404
	s_waitcnt lgkmcnt(0)
	v_fmac_f32_e32 v20, v23, v24
	s_or_b64 exec, exec, s[20:21]
	v_cmp_gt_u32_e64 s[14:15], 48, v5
	s_and_saveexec_b64 s[20:21], s[14:15]
	s_cbranch_execz .LBB2_368
.LBB2_1189:
	ds_read_b32 v23, v22 offset:10880
	ds_read_b32 v24, v21 offset:10408
	s_waitcnt lgkmcnt(0)
	v_fmac_f32_e32 v20, v23, v24
	s_or_b64 exec, exec, s[20:21]
	v_cmp_gt_u32_e64 s[14:15], 40, v5
	s_and_saveexec_b64 s[20:21], s[14:15]
	s_cbranch_execz .LBB2_369
.LBB2_1190:
	ds_read_b32 v23, v22 offset:11136
	ds_read_b32 v24, v21 offset:10412
	s_waitcnt lgkmcnt(0)
	v_fmac_f32_e32 v20, v23, v24
	s_or_b64 exec, exec, s[20:21]
	v_cmp_gt_u32_e64 s[14:15], 32, v5
	s_and_saveexec_b64 s[20:21], s[14:15]
	s_cbranch_execz .LBB2_370
.LBB2_1191:
	ds_read_b32 v23, v22 offset:11392
	ds_read_b32 v24, v21 offset:10416
	s_waitcnt lgkmcnt(0)
	v_fmac_f32_e32 v20, v23, v24
	s_or_b64 exec, exec, s[20:21]
	v_cmp_gt_u32_e64 s[14:15], 24, v5
	s_and_saveexec_b64 s[20:21], s[14:15]
	s_cbranch_execz .LBB2_371
.LBB2_1192:
	ds_read_b32 v23, v22 offset:11648
	ds_read_b32 v24, v21 offset:10420
	s_waitcnt lgkmcnt(0)
	v_fmac_f32_e32 v20, v23, v24
	s_or_b64 exec, exec, s[20:21]
	s_and_saveexec_b64 s[14:15], s[18:19]
	s_cbranch_execz .LBB2_372
.LBB2_1193:
	ds_read_b32 v22, v22 offset:11904
	ds_read_b32 v21, v21 offset:10424
	s_waitcnt lgkmcnt(0)
	v_fmac_f32_e32 v20, v22, v21
	s_or_b64 exec, exec, s[14:15]
	v_cmp_gt_u32_e64 s[14:15], 8, v5
	s_and_saveexec_b64 s[20:21], s[14:15]
	s_cbranch_execnz .LBB2_373
	s_branch .LBB2_374
.LBB2_1194:
	ds_read_b32 v23, v22 offset:9600
	ds_read_b32 v24, v21 offset:9364
	s_waitcnt lgkmcnt(0)
	v_fmac_f32_e32 v20, v23, v24
	s_or_b64 exec, exec, s[20:21]
	v_cmp_gt_u32_e64 s[14:15], 8, v5
	s_and_saveexec_b64 s[20:21], s[14:15]
	s_cbranch_execz .LBB2_430
.LBB2_1195:
	ds_read_b32 v22, v22 offset:9856
	ds_read_b32 v21, v21 offset:9368
	s_waitcnt lgkmcnt(0)
	v_fmac_f32_e32 v20, v22, v21
	s_or_b64 exec, exec, s[20:21]
	v_cmp_gt_u32_e64 s[14:15], 4, v5
	s_and_saveexec_b64 s[20:21], s[14:15]
	s_cbranch_execnz .LBB2_431
	s_branch .LBB2_432
.LBB2_1196:
	ds_read_b32 v26, v25 offset:15616
	ds_read_b32 v27, v24 offset:8436
	s_waitcnt lgkmcnt(0)
	v_fmac_f32_e32 v22, v26, v27
	s_or_b64 exec, exec, s[94:95]
	s_and_saveexec_b64 s[20:21], s[8:9]
	s_cbranch_execz .LBB2_528
.LBB2_1197:
	ds_read_b32 v25, v25 offset:15872
	ds_read_b32 v24, v24 offset:8440
	s_waitcnt lgkmcnt(0)
	v_fmac_f32_e32 v22, v25, v24
	s_or_b64 exec, exec, s[20:21]
	v_cmp_gt_u32_e64 s[20:21], 32, v5
	s_and_saveexec_b64 s[94:95], s[20:21]
	s_cbranch_execnz .LBB2_529
	s_branch .LBB2_530
.LBB2_1198:
	ds_read_b32 v23, v22 offset:7520
	ds_read_b32 v24, v21 offset:7284
	s_waitcnt lgkmcnt(0)
	v_fmac_f32_e32 v20, v23, v24
	s_or_b64 exec, exec, s[16:17]
	v_cmp_gt_u32_e64 s[12:13], 8, v5
	s_and_saveexec_b64 s[16:17], s[12:13]
	s_cbranch_execz .LBB2_682
.LBB2_1199:
	ds_read_b32 v22, v22 offset:7776
	ds_read_b32 v21, v21 offset:7288
	s_waitcnt lgkmcnt(0)
	v_fmac_f32_e32 v20, v22, v21
	s_or_b64 exec, exec, s[16:17]
	v_cmp_gt_u32_e64 s[12:13], 4, v5
	s_and_saveexec_b64 s[16:17], s[12:13]
	s_cbranch_execnz .LBB2_683
	s_branch .LBB2_684
.LBB2_1200:
	ds_read_b32 v23, v22 offset:6464
	ds_read_b32 v24, v21 offset:6244
	s_waitcnt lgkmcnt(0)
	v_fmac_f32_e32 v20, v23, v24
	s_or_b64 exec, exec, s[16:17]
	v_cmp_gt_u32_e64 s[12:13], 48, v5
	s_and_saveexec_b64 s[16:17], s[12:13]
	s_cbranch_execz .LBB2_724
.LBB2_1201:
	ds_read_b32 v23, v22 offset:6720
	ds_read_b32 v24, v21 offset:6248
	s_waitcnt lgkmcnt(0)
	v_fmac_f32_e32 v20, v23, v24
	s_or_b64 exec, exec, s[16:17]
	v_cmp_gt_u32_e64 s[12:13], 40, v5
	s_and_saveexec_b64 s[16:17], s[12:13]
	s_cbranch_execz .LBB2_725
.LBB2_1202:
	ds_read_b32 v23, v22 offset:6976
	ds_read_b32 v24, v21 offset:6252
	s_waitcnt lgkmcnt(0)
	v_fmac_f32_e32 v20, v23, v24
	s_or_b64 exec, exec, s[16:17]
	v_cmp_gt_u32_e64 s[12:13], 32, v5
	s_and_saveexec_b64 s[16:17], s[12:13]
	s_cbranch_execz .LBB2_726
.LBB2_1203:
	ds_read_b32 v23, v22 offset:7232
	ds_read_b32 v24, v21 offset:6256
	s_waitcnt lgkmcnt(0)
	v_fmac_f32_e32 v20, v23, v24
	s_or_b64 exec, exec, s[16:17]
	v_cmp_gt_u32_e64 s[12:13], 24, v5
	s_and_saveexec_b64 s[16:17], s[12:13]
	s_cbranch_execz .LBB2_727
.LBB2_1204:
	ds_read_b32 v23, v22 offset:7488
	ds_read_b32 v24, v21 offset:6260
	s_waitcnt lgkmcnt(0)
	v_fmac_f32_e32 v20, v23, v24
	s_or_b64 exec, exec, s[16:17]
	s_and_saveexec_b64 s[12:13], s[18:19]
	s_cbranch_execz .LBB2_728
.LBB2_1205:
	ds_read_b32 v22, v22 offset:7744
	ds_read_b32 v21, v21 offset:6264
	s_waitcnt lgkmcnt(0)
	v_fmac_f32_e32 v20, v22, v21
	s_or_b64 exec, exec, s[12:13]
	v_cmp_gt_u32_e64 s[12:13], 8, v5
	s_and_saveexec_b64 s[16:17], s[12:13]
	s_cbranch_execnz .LBB2_729
	s_branch .LBB2_730
.LBB2_1206:
	ds_read_b32 v23, v22 offset:5440
	ds_read_b32 v24, v21 offset:5204
	s_waitcnt lgkmcnt(0)
	v_fmac_f32_e32 v20, v23, v24
	s_or_b64 exec, exec, s[16:17]
	v_cmp_gt_u32_e64 s[12:13], 8, v5
	s_and_saveexec_b64 s[16:17], s[12:13]
	s_cbranch_execz .LBB2_786
.LBB2_1207:
	ds_read_b32 v22, v22 offset:5696
	ds_read_b32 v21, v21 offset:5208
	s_waitcnt lgkmcnt(0)
	v_fmac_f32_e32 v20, v22, v21
	s_or_b64 exec, exec, s[16:17]
	v_cmp_gt_u32_e64 s[12:13], 4, v5
	s_and_saveexec_b64 s[16:17], s[12:13]
	s_cbranch_execnz .LBB2_787
	s_branch .LBB2_788
.LBB2_1208:
	ds_read_b32 v23, v22 offset:6912
	ds_read_b32 v24, v21 offset:4204
	s_waitcnt lgkmcnt(0)
	v_fmac_f32_e32 v20, v23, v24
	s_or_b64 exec, exec, s[16:17]
	s_and_saveexec_b64 s[12:13], s[8:9]
	s_cbranch_execz .LBB2_848
.LBB2_1209:
	ds_read_b32 v23, v22 offset:7168
	ds_read_b32 v24, v21 offset:4208
	s_waitcnt lgkmcnt(0)
	v_fmac_f32_e32 v20, v23, v24
	s_or_b64 exec, exec, s[12:13]
	v_cmp_gt_u32_e64 s[12:13], 48, v5
	s_and_saveexec_b64 s[16:17], s[12:13]
	s_cbranch_execz .LBB2_849
.LBB2_1210:
	ds_read_b32 v23, v22 offset:7424
	ds_read_b32 v24, v21 offset:4212
	s_waitcnt lgkmcnt(0)
	v_fmac_f32_e32 v20, v23, v24
	s_or_b64 exec, exec, s[16:17]
	v_cmp_gt_u32_e64 s[12:13], 32, v5
	s_and_saveexec_b64 s[16:17], s[12:13]
	s_cbranch_execz .LBB2_850
.LBB2_1211:
	ds_read_b32 v22, v22 offset:7680
	ds_read_b32 v21, v21 offset:4216
	s_waitcnt lgkmcnt(0)
	v_fmac_f32_e32 v20, v22, v21
	s_or_b64 exec, exec, s[16:17]
	v_cmp_gt_u32_e64 s[12:13], 16, v5
	s_and_saveexec_b64 s[16:17], s[12:13]
	s_cbranch_execnz .LBB2_851
	s_branch .LBB2_852
.LBB2_1212:
	ds_read_b32 v20, v19 offset:3360
	ds_read_b32 v21, v18 offset:3124
	s_waitcnt lgkmcnt(0)
	v_fmac_f32_e32 v17, v20, v21
	s_or_b64 exec, exec, s[12:13]
	v_cmp_gt_u32_e64 s[10:11], 8, v5
	s_and_saveexec_b64 s[12:13], s[10:11]
	s_cbranch_execz .LBB2_940
.LBB2_1213:
	ds_read_b32 v19, v19 offset:3616
	ds_read_b32 v18, v18 offset:3128
	s_waitcnt lgkmcnt(0)
	v_fmac_f32_e32 v17, v19, v18
	s_or_b64 exec, exec, s[12:13]
	v_cmp_gt_u32_e64 s[10:11], 4, v5
	s_and_saveexec_b64 s[12:13], s[10:11]
	s_cbranch_execnz .LBB2_941
	s_branch .LBB2_942
.LBB2_1214:
	ds_read_b32 v20, v19 offset:2304
	ds_read_b32 v21, v18 offset:2084
	s_waitcnt lgkmcnt(0)
	v_fmac_f32_e32 v17, v20, v21
	s_or_b64 exec, exec, s[12:13]
	v_cmp_gt_u32_e64 s[10:11], 48, v5
	s_and_saveexec_b64 s[12:13], s[10:11]
	s_cbranch_execz .LBB2_982
.LBB2_1215:
	ds_read_b32 v20, v19 offset:2560
	ds_read_b32 v21, v18 offset:2088
	s_waitcnt lgkmcnt(0)
	v_fmac_f32_e32 v17, v20, v21
	s_or_b64 exec, exec, s[12:13]
	v_cmp_gt_u32_e64 s[10:11], 40, v5
	s_and_saveexec_b64 s[12:13], s[10:11]
	s_cbranch_execz .LBB2_983
.LBB2_1216:
	ds_read_b32 v20, v19 offset:2816
	ds_read_b32 v21, v18 offset:2092
	s_waitcnt lgkmcnt(0)
	v_fmac_f32_e32 v17, v20, v21
	s_or_b64 exec, exec, s[12:13]
	v_cmp_gt_u32_e64 s[10:11], 32, v5
	s_and_saveexec_b64 s[12:13], s[10:11]
	s_cbranch_execz .LBB2_984
.LBB2_1217:
	ds_read_b32 v20, v19 offset:3072
	ds_read_b32 v21, v18 offset:2096
	s_waitcnt lgkmcnt(0)
	v_fmac_f32_e32 v17, v20, v21
	s_or_b64 exec, exec, s[12:13]
	v_cmp_gt_u32_e64 s[10:11], 24, v5
	s_and_saveexec_b64 s[12:13], s[10:11]
	s_cbranch_execz .LBB2_985
.LBB2_1218:
	ds_read_b32 v20, v19 offset:3328
	ds_read_b32 v21, v18 offset:2100
	s_waitcnt lgkmcnt(0)
	v_fmac_f32_e32 v17, v20, v21
	s_or_b64 exec, exec, s[12:13]
	s_and_saveexec_b64 s[10:11], s[18:19]
	s_cbranch_execz .LBB2_986
.LBB2_1219:
	ds_read_b32 v19, v19 offset:3584
	ds_read_b32 v18, v18 offset:2104
	s_waitcnt lgkmcnt(0)
	v_fmac_f32_e32 v17, v19, v18
	s_or_b64 exec, exec, s[10:11]
	v_cmp_gt_u32_e64 s[10:11], 8, v5
	s_and_saveexec_b64 s[12:13], s[10:11]
	s_cbranch_execnz .LBB2_987
	s_branch .LBB2_988
.LBB2_1220:
	ds_read_b32 v17, v16 offset:1280
	ds_read_b32 v18, v15 offset:1044
	s_waitcnt lgkmcnt(0)
	v_fmac_f32_e32 v14, v17, v18
	s_or_b64 exec, exec, s[10:11]
	v_cmp_gt_u32_e64 s[8:9], 8, v5
	s_and_saveexec_b64 s[10:11], s[8:9]
	s_cbranch_execz .LBB2_1044
.LBB2_1221:
	ds_read_b32 v16, v16 offset:1536
	ds_read_b32 v15, v15 offset:1048
	s_waitcnt lgkmcnt(0)
	v_fmac_f32_e32 v14, v16, v15
	s_or_b64 exec, exec, s[10:11]
	v_cmp_gt_u32_e64 s[8:9], 4, v5
	s_and_saveexec_b64 s[10:11], s[8:9]
	s_cbranch_execnz .LBB2_1045
	s_branch .LBB2_1046
	.section	.rodata,"a",@progbits
	.p2align	6, 0x0
	.amdhsa_kernel _ZL19rocblas_trsv_deviceILi64ELi16ELb0ELb1ELb0ELb1EfPKfS1_PfEviT7_lllT6_T8_lllPii
		.amdhsa_group_segment_fixed_size 20740
		.amdhsa_private_segment_fixed_size 0
		.amdhsa_kernarg_size 352
		.amdhsa_user_sgpr_count 6
		.amdhsa_user_sgpr_private_segment_buffer 1
		.amdhsa_user_sgpr_dispatch_ptr 0
		.amdhsa_user_sgpr_queue_ptr 0
		.amdhsa_user_sgpr_kernarg_segment_ptr 1
		.amdhsa_user_sgpr_dispatch_id 0
		.amdhsa_user_sgpr_flat_scratch_init 0
		.amdhsa_user_sgpr_private_segment_size 0
		.amdhsa_uses_dynamic_stack 0
		.amdhsa_system_sgpr_private_segment_wavefront_offset 0
		.amdhsa_system_sgpr_workgroup_id_x 1
		.amdhsa_system_sgpr_workgroup_id_y 0
		.amdhsa_system_sgpr_workgroup_id_z 1
		.amdhsa_system_sgpr_workgroup_info 0
		.amdhsa_system_vgpr_workitem_id 1
		.amdhsa_next_free_vgpr 29
		.amdhsa_next_free_sgpr 96
		.amdhsa_reserve_vcc 1
		.amdhsa_reserve_flat_scratch 0
		.amdhsa_float_round_mode_32 0
		.amdhsa_float_round_mode_16_64 0
		.amdhsa_float_denorm_mode_32 3
		.amdhsa_float_denorm_mode_16_64 3
		.amdhsa_dx10_clamp 1
		.amdhsa_ieee_mode 1
		.amdhsa_fp16_overflow 0
		.amdhsa_exception_fp_ieee_invalid_op 0
		.amdhsa_exception_fp_denorm_src 0
		.amdhsa_exception_fp_ieee_div_zero 0
		.amdhsa_exception_fp_ieee_overflow 0
		.amdhsa_exception_fp_ieee_underflow 0
		.amdhsa_exception_fp_ieee_inexact 0
		.amdhsa_exception_int_div_zero 0
	.end_amdhsa_kernel
	.section	.text._ZL19rocblas_trsv_deviceILi64ELi16ELb0ELb1ELb0ELb1EfPKfS1_PfEviT7_lllT6_T8_lllPii,"axG",@progbits,_ZL19rocblas_trsv_deviceILi64ELi16ELb0ELb1ELb0ELb1EfPKfS1_PfEviT7_lllT6_T8_lllPii,comdat
.Lfunc_end2:
	.size	_ZL19rocblas_trsv_deviceILi64ELi16ELb0ELb1ELb0ELb1EfPKfS1_PfEviT7_lllT6_T8_lllPii, .Lfunc_end2-_ZL19rocblas_trsv_deviceILi64ELi16ELb0ELb1ELb0ELb1EfPKfS1_PfEviT7_lllT6_T8_lllPii
                                        ; -- End function
	.set _ZL19rocblas_trsv_deviceILi64ELi16ELb0ELb1ELb0ELb1EfPKfS1_PfEviT7_lllT6_T8_lllPii.num_vgpr, 29
	.set _ZL19rocblas_trsv_deviceILi64ELi16ELb0ELb1ELb0ELb1EfPKfS1_PfEviT7_lllT6_T8_lllPii.num_agpr, 0
	.set _ZL19rocblas_trsv_deviceILi64ELi16ELb0ELb1ELb0ELb1EfPKfS1_PfEviT7_lllT6_T8_lllPii.numbered_sgpr, 96
	.set _ZL19rocblas_trsv_deviceILi64ELi16ELb0ELb1ELb0ELb1EfPKfS1_PfEviT7_lllT6_T8_lllPii.num_named_barrier, 0
	.set _ZL19rocblas_trsv_deviceILi64ELi16ELb0ELb1ELb0ELb1EfPKfS1_PfEviT7_lllT6_T8_lllPii.private_seg_size, 0
	.set _ZL19rocblas_trsv_deviceILi64ELi16ELb0ELb1ELb0ELb1EfPKfS1_PfEviT7_lllT6_T8_lllPii.uses_vcc, 1
	.set _ZL19rocblas_trsv_deviceILi64ELi16ELb0ELb1ELb0ELb1EfPKfS1_PfEviT7_lllT6_T8_lllPii.uses_flat_scratch, 0
	.set _ZL19rocblas_trsv_deviceILi64ELi16ELb0ELb1ELb0ELb1EfPKfS1_PfEviT7_lllT6_T8_lllPii.has_dyn_sized_stack, 0
	.set _ZL19rocblas_trsv_deviceILi64ELi16ELb0ELb1ELb0ELb1EfPKfS1_PfEviT7_lllT6_T8_lllPii.has_recursion, 0
	.set _ZL19rocblas_trsv_deviceILi64ELi16ELb0ELb1ELb0ELb1EfPKfS1_PfEviT7_lllT6_T8_lllPii.has_indirect_call, 0
	.section	.AMDGPU.csdata,"",@progbits
; Kernel info:
; codeLenInByte = 35128
; TotalNumSgprs: 100
; NumVgprs: 29
; ScratchSize: 0
; MemoryBound: 0
; FloatMode: 240
; IeeeMode: 1
; LDSByteSize: 20740 bytes/workgroup (compile time only)
; SGPRBlocks: 12
; VGPRBlocks: 7
; NumSGPRsForWavesPerEU: 100
; NumVGPRsForWavesPerEU: 29
; Occupancy: 8
; WaveLimiterHint : 0
; COMPUTE_PGM_RSRC2:SCRATCH_EN: 0
; COMPUTE_PGM_RSRC2:USER_SGPR: 6
; COMPUTE_PGM_RSRC2:TRAP_HANDLER: 0
; COMPUTE_PGM_RSRC2:TGID_X_EN: 1
; COMPUTE_PGM_RSRC2:TGID_Y_EN: 0
; COMPUTE_PGM_RSRC2:TGID_Z_EN: 1
; COMPUTE_PGM_RSRC2:TIDIG_COMP_CNT: 1
	.section	.text._ZL19rocblas_trsv_deviceILi64ELi16ELb0ELb1ELb1ELb1EfPKfS1_PfEviT7_lllT6_T8_lllPii,"axG",@progbits,_ZL19rocblas_trsv_deviceILi64ELi16ELb0ELb1ELb1ELb1EfPKfS1_PfEviT7_lllT6_T8_lllPii,comdat
	.globl	_ZL19rocblas_trsv_deviceILi64ELi16ELb0ELb1ELb1ELb1EfPKfS1_PfEviT7_lllT6_T8_lllPii ; -- Begin function _ZL19rocblas_trsv_deviceILi64ELi16ELb0ELb1ELb1ELb1EfPKfS1_PfEviT7_lllT6_T8_lllPii
	.p2align	8
	.type	_ZL19rocblas_trsv_deviceILi64ELi16ELb0ELb1ELb1ELb1EfPKfS1_PfEviT7_lllT6_T8_lllPii,@function
_ZL19rocblas_trsv_deviceILi64ELi16ELb0ELb1ELb1ELb1EfPKfS1_PfEviT7_lllT6_T8_lllPii: ; @_ZL19rocblas_trsv_deviceILi64ELi16ELb0ELb1ELb1ELb1EfPKfS1_PfEviT7_lllT6_T8_lllPii
; %bb.0:
	s_load_dwordx16 s[36:51], s[4:5], 0x8
	s_load_dword s33, s[4:5], 0x0
	s_mov_b32 s22, s7
	s_mov_b32 s23, 0
	s_waitcnt lgkmcnt(0)
	s_mul_i32 s0, s43, s7
	s_mul_hi_u32 s1, s42, s7
	s_add_i32 s1, s1, s0
	s_mul_i32 s0, s42, s7
	s_lshl_b64 s[0:1], s[0:1], 2
	s_add_u32 s2, s36, s0
	s_addc_u32 s3, s37, s1
	s_load_dword s37, s[44:45], 0x0
	s_load_dword s36, s[4:5], 0x6c
	s_lshl_b64 s[0:1], s[38:39], 2
	s_add_u32 s86, s2, s0
	s_addc_u32 s87, s3, s1
	s_cmp_eq_u32 s6, 0
	s_cbranch_scc1 .LBB3_10
; %bb.1:
	s_lshl_b32 s2, s6, 6
	v_add_u32_e32 v6, s2, v0
	v_ashrrev_i32_e32 v2, 31, v6
	v_mul_lo_u32 v7, s40, v2
	v_mul_lo_u32 v8, s41, v6
	v_mad_u64_u32 v[4:5], s[0:1], s40, v6, 0
	v_add_u32_e32 v2, s2, v1
	v_subrev_u32_e32 v2, 64, v2
	v_add3_u32 v5, v5, v7, v8
	v_lshlrev_b64 v[4:5], 2, v[4:5]
	v_ashrrev_i32_e32 v3, 31, v2
	v_cmp_gt_i32_e32 vcc, s33, v6
	v_mov_b32_e32 v6, s87
	v_add_co_u32_e64 v7, s[0:1], s86, v4
	v_lshlrev_b64 v[3:4], 2, v[2:3]
	v_addc_co_u32_e64 v5, s[0:1], v6, v5, s[0:1]
	v_add_co_u32_e64 v3, s[0:1], v7, v3
	v_addc_co_u32_e64 v4, s[0:1], v5, v4, s[0:1]
	v_cmp_gt_i32_e64 s[0:1], s33, v2
	s_and_b64 s[2:3], s[0:1], vcc
	v_mov_b32_e32 v7, 0
	v_mov_b32_e32 v8, 0
	s_waitcnt lgkmcnt(0)
	s_barrier
	s_and_saveexec_b64 s[0:1], s[2:3]
	s_cbranch_execz .LBB3_3
; %bb.2:
	global_load_dword v8, v[3:4], off
.LBB3_3:
	s_or_b64 exec, exec, s[0:1]
	v_add_u32_e32 v5, 16, v2
	v_cmp_gt_i32_e64 s[0:1], s33, v5
	s_and_b64 s[2:3], s[0:1], vcc
	s_waitcnt vmcnt(0)
	s_barrier
	s_and_saveexec_b64 s[0:1], s[2:3]
	s_cbranch_execz .LBB3_5
; %bb.4:
	global_load_dword v7, v[3:4], off offset:64
.LBB3_5:
	s_or_b64 exec, exec, s[0:1]
	v_add_u32_e32 v5, 32, v2
	v_cmp_gt_i32_e64 s[0:1], s33, v5
	s_and_b64 s[2:3], s[0:1], vcc
	v_mov_b32_e32 v9, 0
	v_mov_b32_e32 v10, 0
	s_waitcnt vmcnt(0)
	s_barrier
	s_and_saveexec_b64 s[0:1], s[2:3]
	s_cbranch_execz .LBB3_7
; %bb.6:
	global_load_dword v10, v[3:4], off offset:128
.LBB3_7:
	s_or_b64 exec, exec, s[0:1]
	v_add_u32_e32 v2, 48, v2
	v_cmp_gt_i32_e64 s[0:1], s33, v2
	s_and_b64 s[2:3], s[0:1], vcc
	s_waitcnt vmcnt(0)
	s_barrier
	s_and_saveexec_b64 s[0:1], s[2:3]
	s_cbranch_execz .LBB3_9
; %bb.8:
	global_load_dword v9, v[3:4], off offset:192
.LBB3_9:
	s_or_b64 exec, exec, s[0:1]
	s_branch .LBB3_11
.LBB3_10:
                                        ; implicit-def: $vgpr9
                                        ; implicit-def: $vgpr10
                                        ; implicit-def: $vgpr7
                                        ; implicit-def: $vgpr8
.LBB3_11:
	s_ashr_i32 s0, s33, 31
	s_lshr_b32 s0, s0, 26
	s_add_i32 s0, s33, s0
	s_andn2_b32 s0, s0, 63
	s_sub_i32 s7, s33, s0
	s_add_i32 s0, s33, -1
	s_ashr_i32 s1, s0, 31
	s_lshr_b32 s1, s1, 26
	s_add_i32 s0, s0, s1
	s_ashr_i32 s0, s0, 6
	s_cmp_eq_u32 s0, s6
	s_cselect_b64 s[0:1], -1, 0
	s_cmp_lg_u32 s7, 0
	s_cselect_b64 s[2:3], -1, 0
	s_and_b64 s[24:25], s[2:3], s[0:1]
	s_cmp_lt_i32 s6, 5
	s_cselect_b64 s[2:3], -1, 0
	s_mov_b64 s[12:13], -1
	s_or_b64 s[0:1], s[2:3], s[24:25]
	v_lshlrev_b32_e32 v4, 6, v0
	s_and_b64 vcc, exec, s[24:25]
	v_cmp_le_u32_e64 s[8:9], v1, v0
	v_lshlrev_b32_e32 v6, 2, v0
	s_cbranch_vccnz .LBB3_27
; %bb.12:
	s_add_u32 s10, s40, 1
	s_addc_u32 s11, s41, 0
	s_lshl_b32 s12, s6, 6
	s_ashr_i32 s13, s12, 31
	s_mul_hi_u32 s14, s10, s12
	s_mul_i32 s13, s10, s13
	s_add_i32 s13, s14, s13
	s_mul_i32 s11, s11, s12
	s_add_i32 s11, s13, s11
	s_mul_i32 s10, s10, s12
	s_lshl_b64 s[10:11], s[10:11], 2
	s_add_u32 s10, s86, s10
	s_addc_u32 s11, s87, s11
	v_lshlrev_b32_e32 v2, 2, v0
	v_mov_b32_e32 v3, s11
	v_add_co_u32_e32 v2, vcc, s10, v2
	v_mov_b32_e32 v5, 0
	v_addc_co_u32_e32 v3, vcc, 0, v3, vcc
	s_mov_b64 s[10:11], 0
	s_and_saveexec_b64 s[12:13], s[8:9]
	s_xor_b64 s[8:9], exec, s[12:13]
	s_cbranch_execnz .LBB3_1149
; %bb.13:
	s_andn2_saveexec_b64 s[8:9], s[8:9]
	s_cbranch_execnz .LBB3_1150
.LBB3_14:
	s_or_b64 exec, exec, s[8:9]
	s_and_saveexec_b64 s[8:9], s[10:11]
.LBB3_15:
	v_add_u32_e32 v11, v1, v4
	v_lshl_add_u32 v12, v1, 6, v0
	v_cndmask_b32_e64 v11, v12, v11, s[2:3]
	v_lshlrev_b32_e32 v11, 2, v11
	ds_write_b32 v11, v5
.LBB3_16:
	s_or_b64 exec, exec, s[8:9]
	v_add_u32_e32 v5, 16, v1
	v_cmp_le_u32_e32 vcc, v5, v0
	s_mov_b64 s[2:3], 0
	s_and_saveexec_b64 s[8:9], vcc
	s_xor_b64 s[8:9], exec, s[8:9]
	s_cbranch_execnz .LBB3_1151
; %bb.17:
	s_or_saveexec_b64 s[8:9], s[8:9]
	v_mov_b32_e32 v11, 0
	s_xor_b64 exec, exec, s[8:9]
	s_cbranch_execnz .LBB3_1152
.LBB3_18:
	s_or_b64 exec, exec, s[8:9]
	s_and_saveexec_b64 s[8:9], s[2:3]
.LBB3_19:
	v_add_u32_e32 v12, v5, v4
	v_lshl_add_u32 v5, v5, 6, v0
	v_cndmask_b32_e64 v5, v5, v12, s[0:1]
	v_lshlrev_b32_e32 v5, 2, v5
	ds_write_b32 v5, v11
.LBB3_20:
	s_or_b64 exec, exec, s[8:9]
	v_add_u32_e32 v5, 32, v1
	v_cmp_le_u32_e32 vcc, v5, v0
	s_mov_b64 s[2:3], 0
	s_and_saveexec_b64 s[8:9], vcc
	s_xor_b64 s[8:9], exec, s[8:9]
	s_cbranch_execnz .LBB3_1153
; %bb.21:
	s_or_saveexec_b64 s[8:9], s[8:9]
	v_mov_b32_e32 v11, 0
	s_xor_b64 exec, exec, s[8:9]
	s_cbranch_execnz .LBB3_1154
.LBB3_22:
	s_or_b64 exec, exec, s[8:9]
	s_and_saveexec_b64 s[8:9], s[2:3]
.LBB3_23:
	v_add_u32_e32 v12, v5, v4
	v_lshl_add_u32 v5, v5, 6, v0
	v_cndmask_b32_e64 v5, v5, v12, s[0:1]
	v_lshlrev_b32_e32 v5, 2, v5
	ds_write_b32 v5, v11
.LBB3_24:
	s_or_b64 exec, exec, s[8:9]
	v_add_u32_e32 v5, 48, v1
	v_add_u32_e32 v11, v5, v4
	v_lshl_add_u32 v12, v5, 6, v0
	v_cmp_le_u32_e32 vcc, v5, v0
	s_mov_b64 s[2:3], -1
	s_mov_b64 s[12:13], 0
	s_mov_b64 s[10:11], 0
	s_and_saveexec_b64 s[8:9], vcc
	s_xor_b64 s[8:9], exec, s[8:9]
; %bb.25:
	v_or_b32_e32 v13, v5, v0
	v_cmp_gt_u32_e32 vcc, 64, v13
	s_and_b64 s[10:11], vcc, exec
	s_xor_b64 s[2:3], exec, -1
; %bb.26:
	s_or_b64 exec, exec, s[8:9]
	v_cndmask_b32_e64 v11, v12, v11, s[0:1]
	s_and_b64 vcc, exec, s[12:13]
	s_cbranch_vccnz .LBB3_28
	s_branch .LBB3_43
.LBB3_27:
	s_mov_b64 s[2:3], 0
	s_mov_b64 s[10:11], 0
                                        ; implicit-def: $vgpr11
                                        ; implicit-def: $vgpr2_vgpr3
                                        ; implicit-def: $vgpr5
	s_and_b64 vcc, exec, s[12:13]
	s_cbranch_vccz .LBB3_43
.LBB3_28:
	s_add_u32 s2, s40, 1
	s_addc_u32 s3, s41, 0
	s_lshl_b32 s8, s6, 6
	s_ashr_i32 s9, s8, 31
	s_mul_hi_u32 s12, s2, s8
	s_mul_i32 s9, s2, s9
	s_add_i32 s9, s12, s9
	s_mul_i32 s3, s3, s8
	s_add_i32 s3, s9, s3
	s_mul_i32 s2, s2, s8
	s_lshl_b64 s[2:3], s[2:3], 2
	s_add_u32 s2, s86, s2
	s_addc_u32 s3, s87, s3
	v_lshlrev_b32_e32 v2, 2, v0
	v_mov_b32_e32 v3, s3
	v_add_co_u32_e64 v2, s[2:3], s2, v2
	v_addc_co_u32_e64 v3, s[2:3], 0, v3, s[2:3]
	v_max_i32_e32 v11, v1, v0
	v_cmp_le_u32_e64 s[2:3], v1, v0
	v_cmp_le_i32_e64 s[8:9], s7, v11
	v_cmp_gt_i32_e32 vcc, s7, v0
	v_mov_b32_e32 v5, 0
	s_or_b64 s[2:3], s[8:9], s[2:3]
	s_mov_b64 s[8:9], 0
	s_and_saveexec_b64 s[12:13], s[2:3]
	s_xor_b64 s[12:13], exec, s[12:13]
	s_cbranch_execnz .LBB3_1155
; %bb.29:
	s_andn2_saveexec_b64 s[12:13], s[12:13]
	s_cbranch_execnz .LBB3_1156
.LBB3_30:
	s_or_b64 exec, exec, s[12:13]
	s_and_saveexec_b64 s[2:3], s[8:9]
.LBB3_31:
	v_lshlrev_b32_e32 v11, 2, v4
	v_lshl_add_u32 v11, v1, 2, v11
	ds_write_b32 v11, v5
.LBB3_32:
	s_or_b64 exec, exec, s[2:3]
	v_add_u32_e32 v5, 16, v1
	v_cmp_gt_u32_e64 s[2:3], v5, v0
	v_cmp_gt_i32_e64 s[8:9], s7, v5
	s_and_b64 s[2:3], s[2:3], s[8:9]
	s_and_b64 s[2:3], s[2:3], vcc
	s_xor_b64 s[2:3], s[2:3], -1
	s_mov_b64 s[8:9], 0
	s_and_saveexec_b64 s[12:13], s[2:3]
	s_xor_b64 s[12:13], exec, s[12:13]
	s_cbranch_execnz .LBB3_1157
; %bb.33:
	s_or_saveexec_b64 s[12:13], s[12:13]
	v_mov_b32_e32 v11, 0
	s_xor_b64 exec, exec, s[12:13]
	s_cbranch_execnz .LBB3_1158
.LBB3_34:
	s_or_b64 exec, exec, s[12:13]
	s_and_saveexec_b64 s[2:3], s[8:9]
.LBB3_35:
	v_add_u32_e32 v12, v5, v4
	v_lshl_add_u32 v5, v5, 6, v0
	v_cndmask_b32_e64 v5, v5, v12, s[0:1]
	v_lshlrev_b32_e32 v5, 2, v5
	ds_write_b32 v5, v11
.LBB3_36:
	s_or_b64 exec, exec, s[2:3]
	v_add_u32_e32 v5, 32, v1
	v_cmp_gt_u32_e64 s[2:3], v5, v0
	v_cmp_gt_i32_e64 s[8:9], s7, v5
	s_and_b64 s[2:3], s[2:3], s[8:9]
	s_and_b64 s[2:3], s[2:3], vcc
	s_xor_b64 s[2:3], s[2:3], -1
	s_mov_b64 s[8:9], 0
	s_and_saveexec_b64 s[12:13], s[2:3]
	s_xor_b64 s[12:13], exec, s[12:13]
	s_cbranch_execnz .LBB3_1159
; %bb.37:
	s_or_saveexec_b64 s[12:13], s[12:13]
	v_mov_b32_e32 v11, 0
	s_xor_b64 exec, exec, s[12:13]
	s_cbranch_execnz .LBB3_1160
.LBB3_38:
	s_or_b64 exec, exec, s[12:13]
	s_and_saveexec_b64 s[2:3], s[8:9]
.LBB3_39:
	v_add_u32_e32 v12, v5, v4
	v_lshl_add_u32 v5, v5, 6, v0
	v_cndmask_b32_e64 v5, v5, v12, s[0:1]
	v_lshlrev_b32_e32 v5, 2, v5
	ds_write_b32 v5, v11
.LBB3_40:
	s_or_b64 exec, exec, s[2:3]
	v_add_u32_e32 v5, 48, v1
	v_cmp_gt_u32_e64 s[2:3], v5, v0
	v_cmp_gt_i32_e64 s[8:9], s7, v5
	s_and_b64 s[2:3], s[2:3], s[8:9]
	s_and_b64 s[8:9], s[2:3], vcc
	v_add_u32_e32 v4, v5, v4
	v_lshl_add_u32 v11, v5, 6, v0
	s_mov_b64 s[2:3], -1
	s_xor_b64 s[12:13], s[8:9], -1
	s_and_saveexec_b64 s[8:9], s[12:13]
; %bb.41:
	v_or_b32_e32 v12, v5, v0
	v_cmp_gt_u32_e32 vcc, 64, v12
	s_andn2_b64 s[2:3], s[10:11], exec
	s_and_b64 s[10:11], vcc, exec
	s_or_b64 s[10:11], s[2:3], s[10:11]
	s_xor_b64 s[2:3], exec, -1
; %bb.42:
	s_or_b64 exec, exec, s[8:9]
	v_cndmask_b32_e64 v11, v11, v4, s[0:1]
.LBB3_43:
	v_mov_b32_e32 v4, 0
	s_and_saveexec_b64 s[8:9], s[2:3]
	s_cbranch_execnz .LBB3_1127
; %bb.44:
	s_or_b64 exec, exec, s[8:9]
	s_xor_b64 s[0:1], s[0:1], -1
	s_and_saveexec_b64 s[2:3], s[10:11]
.LBB3_45:
	v_lshlrev_b32_e32 v2, 2, v11
	ds_write_b32 v2, v4
.LBB3_46:
	s_or_b64 exec, exec, s[2:3]
	v_cndmask_b32_e64 v2, 0, 1, s[0:1]
	v_cmp_ne_u32_e64 s[56:57], 1, v2
	s_andn2_b64 vcc, exec, s[0:1]
	s_waitcnt vmcnt(0) lgkmcnt(0)
	s_barrier
	s_cbranch_vccnz .LBB3_1084
; %bb.47:
	v_or_b32_e32 v2, v0, v1
	v_cmp_eq_u32_e32 vcc, 0, v2
	s_and_saveexec_b64 s[0:1], vcc
	s_cbranch_execz .LBB3_49
; %bb.48:
	v_mov_b32_e32 v4, 0
	ds_read_b32 v3, v4 offset:16376
	v_mov_b32_e32 v2, 1.0
	ds_write_b32 v4, v2 offset:16380
	s_waitcnt lgkmcnt(1)
	ds_write_b64 v4, v[2:3] offset:16120
.LBB3_49:
	s_or_b64 exec, exec, s[0:1]
	v_lshlrev_b32_e32 v3, 6, v1
	v_add_u32_e32 v5, v3, v0
	v_and_b32_e32 v4, v3, v0
	v_xor_b32_e32 v3, v3, v0
	v_lshrrev_b16_e32 v3, 1, v3
	v_add_u16_e32 v4, v4, v3
	v_and_b32_e32 v2, 1, v0
	v_sub_u32_e32 v3, 1, v4
	v_cmp_lt_u32_e64 s[8:9], 3, v5
	v_cmp_gt_u32_e64 s[2:3], 4, v5
	v_mov_b32_e32 v11, 0
	s_waitcnt lgkmcnt(0)
	s_barrier
	buffer_wbinvl1_vol
	s_and_saveexec_b64 s[0:1], s[2:3]
	s_cbranch_execz .LBB3_53
; %bb.50:
	v_lshlrev_b32_e32 v11, 8, v3
	v_lshlrev_b32_e32 v12, 2, v2
	ds_read_b32 v13, v12 offset:16112
	ds_read_b32 v11, v11 offset:16120
	v_mov_b32_e32 v12, 0
	v_cmp_gt_u32_e64 s[10:11], 2, v5
	s_waitcnt lgkmcnt(0)
	v_fma_f32 v11, v13, v11, 0
	s_and_saveexec_b64 s[12:13], s[10:11]
	s_cbranch_execz .LBB3_52
; %bb.51:
	v_lshlrev_b32_e32 v13, 2, v0
	ds_read_b32 v13, v13 offset:16368
	ds_read_b32 v12, v12 offset:16380
	s_waitcnt lgkmcnt(0)
	v_fmac_f32_e32 v11, v13, v12
.LBB3_52:
	s_or_b64 exec, exec, s[12:13]
.LBB3_53:
	s_or_b64 exec, exec, s[0:1]
	v_mov_b32_e32 v12, 0x4000
	v_cmp_ne_u32_e64 s[10:11], 0, v2
	s_xor_b64 s[0:1], s[8:9], -1
	v_lshl_add_u32 v4, v4, 2, v12
	s_and_b64 s[28:29], s[10:11], s[0:1]
	s_and_saveexec_b64 s[8:9], s[28:29]
; %bb.54:
	v_xor_b32_e32 v12, 0x80000000, v11
	ds_write_b32 v4, v12
; %bb.55:
	s_or_b64 exec, exec, s[8:9]
	v_cmp_eq_u32_e64 s[8:9], 0, v2
	s_and_b64 s[26:27], s[8:9], s[0:1]
	s_waitcnt lgkmcnt(0)
	s_barrier
	s_and_saveexec_b64 s[0:1], s[26:27]
	s_cbranch_execz .LBB3_57
; %bb.56:
	v_mov_b32_e32 v12, 0
	ds_read_b32 v12, v12 offset:15856
	ds_read_b32 v13, v4
	s_waitcnt lgkmcnt(0)
	v_fma_f32 v11, -v12, v13, v11
.LBB3_57:
	s_or_b64 exec, exec, s[0:1]
	s_barrier
	s_and_saveexec_b64 s[0:1], s[26:27]
; %bb.58:
	v_xor_b32_e32 v12, 0x80000000, v11
	ds_write_b32 v4, v12
; %bb.59:
	s_or_b64 exec, exec, s[0:1]
	s_waitcnt lgkmcnt(0)
	s_barrier
	s_barrier
	s_and_saveexec_b64 s[0:1], s[2:3]
; %bb.60:
	v_lshlrev_b32_e32 v12, 2, v2
	v_lshl_or_b32 v12, v3, 8, v12
	ds_write_b32 v12, v11 offset:16112
; %bb.61:
	s_or_b64 exec, exec, s[0:1]
	v_cmp_eq_u32_e64 s[12:13], 0, v1
	v_cmp_gt_u32_e64 s[8:9], 2, v0
	s_and_b64 s[30:31], s[12:13], s[8:9]
	s_waitcnt lgkmcnt(0)
	s_barrier
	s_barrier
	s_and_saveexec_b64 s[0:1], s[30:31]
	s_cbranch_execz .LBB3_63
; %bb.62:
	v_lshlrev_b32_e32 v11, 2, v0
	s_movk_i32 s8, 0xfc
	v_mad_u32_u24 v12, v0, s8, v11
	ds_read_b32 v13, v12 offset:16112
	s_waitcnt lgkmcnt(0)
	ds_write_b32 v11, v13 offset:15608
	ds_read_b32 v12, v12 offset:16116
	s_waitcnt lgkmcnt(0)
	ds_write_b32 v11, v12 offset:15864
.LBB3_63:
	s_or_b64 exec, exec, s[0:1]
	s_waitcnt lgkmcnt(0)
	s_barrier
	s_and_saveexec_b64 s[0:1], vcc
	s_cbranch_execz .LBB3_65
; %bb.64:
	v_mov_b32_e32 v13, 0
	ds_read_b32 v12, v13 offset:15856
	v_mov_b32_e32 v11, 1.0
	ds_write_b32 v13, v11 offset:15860
	s_waitcnt lgkmcnt(1)
	ds_write_b64 v13, v[11:12] offset:15600
.LBB3_65:
	s_or_b64 exec, exec, s[0:1]
	v_lshrrev_b32_e32 v13, 2, v5
	v_and_b32_e32 v11, 3, v0
	v_sub_u32_e32 v12, 3, v13
	v_cmp_lt_u32_e64 s[8:9], 15, v5
	v_cmp_gt_u32_e64 s[18:19], 16, v5
	v_mov_b32_e32 v14, 0
	s_waitcnt lgkmcnt(0)
	s_barrier
	buffer_wbinvl1_vol
	s_and_saveexec_b64 s[0:1], s[18:19]
	s_cbranch_execz .LBB3_71
; %bb.66:
	v_lshlrev_b32_e32 v16, 2, v11
	v_lshlrev_b32_e32 v15, 8, v12
	ds_read_b32 v14, v16 offset:15584
	ds_read_b32 v17, v15 offset:15600
	v_cmp_gt_u32_e64 s[10:11], 12, v5
	s_waitcnt lgkmcnt(0)
	v_fma_f32 v14, v14, v17, 0
	s_and_saveexec_b64 s[14:15], s[10:11]
	s_cbranch_execnz .LBB3_1172
; %bb.67:
	s_or_b64 exec, exec, s[14:15]
	v_cmp_gt_u32_e64 s[10:11], 8, v5
	s_and_saveexec_b64 s[14:15], s[10:11]
	s_cbranch_execnz .LBB3_1173
.LBB3_68:
	s_or_b64 exec, exec, s[14:15]
	v_cmp_gt_u32_e64 s[10:11], 4, v5
	s_and_saveexec_b64 s[14:15], s[10:11]
	s_cbranch_execz .LBB3_70
.LBB3_69:
	v_lshlrev_b32_e32 v15, 2, v0
	v_mov_b32_e32 v16, 0
	ds_read_b32 v15, v15 offset:16352
	ds_read_b32 v16, v16 offset:16380
	s_waitcnt lgkmcnt(0)
	v_fmac_f32_e32 v14, v15, v16
.LBB3_70:
	s_or_b64 exec, exec, s[14:15]
.LBB3_71:
                                        ; implicit-def: $vgpr28 : SGPR spill to VGPR lane
	v_writelane_b32 v28, s37, 0
	s_or_b64 exec, exec, s[0:1]
	v_mov_b32_e32 v15, 0x4000
	v_cmp_eq_u32_e64 s[10:11], 3, v11
	s_xor_b64 s[0:1], s[8:9], -1
	v_lshl_add_u32 v13, v13, 2, v15
	s_and_b64 s[36:37], s[10:11], s[0:1]
	s_and_saveexec_b64 s[8:9], s[36:37]
; %bb.72:
	v_xor_b32_e32 v15, 0x80000000, v14
	ds_write_b32 v13, v15
; %bb.73:
	s_or_b64 exec, exec, s[8:9]
	v_cmp_ne_u32_e64 s[8:9], 3, v11
	s_and_b64 s[38:39], s[8:9], s[0:1]
	s_waitcnt lgkmcnt(0)
	s_barrier
	s_and_saveexec_b64 s[8:9], s[38:39]
	s_cbranch_execz .LBB3_75
; %bb.74:
	v_lshlrev_b32_e32 v15, 2, v11
	ds_read_b32 v15, v15 offset:15328
	ds_read_b32 v16, v13
	s_waitcnt lgkmcnt(0)
	v_fma_f32 v14, -v15, v16, v14
.LBB3_75:
	s_or_b64 exec, exec, s[8:9]
	v_cmp_eq_u32_e64 s[8:9], 2, v11
	s_and_b64 s[42:43], s[8:9], s[0:1]
	s_barrier
	s_and_saveexec_b64 s[8:9], s[42:43]
; %bb.76:
	v_xor_b32_e32 v15, 0x80000000, v14
	ds_write_b32 v13, v15
; %bb.77:
	s_or_b64 exec, exec, s[8:9]
	v_cmp_gt_u32_e64 s[8:9], 2, v11
	s_and_b64 s[44:45], s[8:9], s[0:1]
	s_waitcnt lgkmcnt(0)
	s_barrier
	s_and_saveexec_b64 s[8:9], s[44:45]
	s_cbranch_execz .LBB3_79
; %bb.78:
	v_lshlrev_b32_e32 v15, 2, v11
	ds_read_b32 v15, v15 offset:15072
	ds_read_b32 v16, v13
	s_waitcnt lgkmcnt(0)
	v_fma_f32 v14, -v15, v16, v14
.LBB3_79:
	s_or_b64 exec, exec, s[8:9]
	v_cmp_eq_u32_e64 s[8:9], 1, v11
	s_and_b64 s[52:53], s[8:9], s[0:1]
	s_barrier
	s_and_saveexec_b64 s[8:9], s[52:53]
; %bb.80:
	v_xor_b32_e32 v15, 0x80000000, v14
	ds_write_b32 v13, v15
; %bb.81:
	s_or_b64 exec, exec, s[8:9]
	v_cmp_eq_u32_e64 s[8:9], 0, v11
	s_and_b64 s[34:35], s[8:9], s[0:1]
	s_waitcnt lgkmcnt(0)
	s_barrier
	s_and_saveexec_b64 s[0:1], s[34:35]
	s_cbranch_execz .LBB3_83
; %bb.82:
	v_mov_b32_e32 v15, 0
	ds_read_b32 v15, v15 offset:14816
	ds_read_b32 v16, v13
	s_waitcnt lgkmcnt(0)
	v_fma_f32 v14, -v15, v16, v14
.LBB3_83:
	s_or_b64 exec, exec, s[0:1]
	s_barrier
	s_and_saveexec_b64 s[0:1], s[34:35]
; %bb.84:
	v_xor_b32_e32 v15, 0x80000000, v14
	ds_write_b32 v13, v15
; %bb.85:
	s_or_b64 exec, exec, s[0:1]
	s_waitcnt lgkmcnt(0)
	s_barrier
	s_barrier
	s_and_saveexec_b64 s[0:1], s[18:19]
; %bb.86:
	v_lshlrev_b32_e32 v15, 2, v11
	v_lshl_or_b32 v15, v12, 8, v15
	ds_write_b32 v15, v14 offset:15584
; %bb.87:
	s_or_b64 exec, exec, s[0:1]
	v_cmp_gt_u32_e64 s[8:9], 4, v0
	s_and_b64 s[54:55], s[12:13], s[8:9]
	s_waitcnt lgkmcnt(0)
	s_barrier
	s_barrier
	s_and_saveexec_b64 s[0:1], s[54:55]
	s_cbranch_execz .LBB3_89
; %bb.88:
	v_lshlrev_b32_e32 v14, 8, v0
	ds_read_b32 v15, v14 offset:15584
	s_movk_i32 s8, 0xff04
	v_mad_i32_i24 v16, v0, s8, v14
	s_waitcnt lgkmcnt(0)
	ds_write_b32 v16, v15 offset:14576
	ds_read_b32 v15, v14 offset:15588
	s_waitcnt lgkmcnt(0)
	ds_write_b32 v16, v15 offset:14832
	ds_read_b32 v15, v14 offset:15592
	s_waitcnt lgkmcnt(0)
	ds_write_b32 v16, v15 offset:15088
	ds_read_b32 v14, v14 offset:15596
	s_waitcnt lgkmcnt(0)
	ds_write_b32 v16, v14 offset:15344
.LBB3_89:
	s_or_b64 exec, exec, s[0:1]
	s_waitcnt lgkmcnt(0)
	s_barrier
	s_and_saveexec_b64 s[0:1], vcc
	s_cbranch_execz .LBB3_91
; %bb.90:
	v_mov_b32_e32 v16, 0
	ds_read_b32 v15, v16 offset:15336
	v_mov_b32_e32 v14, 1.0
	ds_write_b32 v16, v14 offset:15340
	s_waitcnt lgkmcnt(1)
	ds_write_b64 v16, v[14:15] offset:15080
.LBB3_91:
	s_or_b64 exec, exec, s[0:1]
	v_mov_b32_e32 v14, 0
	s_waitcnt lgkmcnt(0)
	s_barrier
	buffer_wbinvl1_vol
	s_and_saveexec_b64 s[0:1], s[2:3]
	s_cbranch_execz .LBB3_95
; %bb.92:
	v_lshlrev_b32_e32 v14, 8, v3
	v_lshlrev_b32_e32 v15, 2, v2
	ds_read_b32 v16, v15 offset:15072
	ds_read_b32 v14, v14 offset:15080
	v_mov_b32_e32 v15, 0
	v_cmp_gt_u32_e64 s[8:9], 2, v5
	s_waitcnt lgkmcnt(0)
	v_fma_f32 v14, v16, v14, 0
	s_and_saveexec_b64 s[10:11], s[8:9]
	s_cbranch_execz .LBB3_94
; %bb.93:
	v_lshlrev_b32_e32 v16, 2, v0
	ds_read_b32 v16, v16 offset:15328
	ds_read_b32 v15, v15 offset:15340
	s_waitcnt lgkmcnt(0)
	v_fmac_f32_e32 v14, v16, v15
.LBB3_94:
	s_or_b64 exec, exec, s[10:11]
.LBB3_95:
	s_or_b64 exec, exec, s[0:1]
	s_and_saveexec_b64 s[0:1], s[28:29]
; %bb.96:
	v_xor_b32_e32 v15, 0x80000000, v14
	ds_write_b32 v4, v15
; %bb.97:
	s_or_b64 exec, exec, s[0:1]
	s_waitcnt lgkmcnt(0)
	s_barrier
	s_and_saveexec_b64 s[0:1], s[26:27]
	s_cbranch_execz .LBB3_99
; %bb.98:
	v_mov_b32_e32 v15, 0
	ds_read_b32 v15, v15 offset:14816
	ds_read_b32 v16, v4
	s_waitcnt lgkmcnt(0)
	v_fma_f32 v14, -v15, v16, v14
.LBB3_99:
	s_or_b64 exec, exec, s[0:1]
	s_barrier
	s_and_saveexec_b64 s[0:1], s[26:27]
; %bb.100:
	v_xor_b32_e32 v15, 0x80000000, v14
	ds_write_b32 v4, v15
; %bb.101:
	s_or_b64 exec, exec, s[0:1]
	s_waitcnt lgkmcnt(0)
	s_barrier
	s_barrier
	s_and_saveexec_b64 s[0:1], s[2:3]
; %bb.102:
	v_lshlrev_b32_e32 v15, 2, v2
	v_lshl_or_b32 v15, v3, 8, v15
	ds_write_b32 v15, v14 offset:15072
; %bb.103:
	s_or_b64 exec, exec, s[0:1]
	s_waitcnt lgkmcnt(0)
	s_barrier
	s_barrier
	s_and_saveexec_b64 s[0:1], s[30:31]
	s_cbranch_execz .LBB3_105
; %bb.104:
	v_lshlrev_b32_e32 v14, 2, v0
	s_movk_i32 s8, 0xfc
	v_mad_u32_u24 v15, v0, s8, v14
	ds_read_b32 v16, v15 offset:15072
	s_waitcnt lgkmcnt(0)
	ds_write_b32 v14, v16 offset:14568
	ds_read_b32 v15, v15 offset:15076
	s_waitcnt lgkmcnt(0)
	ds_write_b32 v14, v15 offset:14824
.LBB3_105:
	s_or_b64 exec, exec, s[0:1]
	s_waitcnt lgkmcnt(0)
	s_barrier
	s_and_saveexec_b64 s[0:1], vcc
	s_cbranch_execz .LBB3_107
; %bb.106:
	v_mov_b32_e32 v16, 0
	ds_read_b32 v15, v16 offset:14816
	v_mov_b32_e32 v14, 1.0
	ds_write_b32 v16, v14 offset:14820
	s_waitcnt lgkmcnt(1)
	ds_write_b64 v16, v[14:15] offset:14560
.LBB3_107:
	s_or_b64 exec, exec, s[0:1]
	v_lshrrev_b32_e32 v16, 3, v5
	v_and_b32_e32 v14, 7, v0
	v_sub_u32_e32 v15, 7, v16
	v_cmp_lt_u32_e64 s[10:11], 63, v5
	v_cmp_gt_u32_e64 s[8:9], 64, v5
	v_mov_b32_e32 v17, 0
	s_waitcnt lgkmcnt(0)
	s_barrier
	buffer_wbinvl1_vol
	s_and_saveexec_b64 s[0:1], s[8:9]
	s_cbranch_execz .LBB3_117
; %bb.108:
	v_lshlrev_b32_e32 v19, 2, v14
	v_lshlrev_b32_e32 v18, 8, v15
	ds_read_b32 v17, v19 offset:14528
	ds_read_b32 v20, v18 offset:14560
	v_cmp_gt_u32_e64 s[14:15], 56, v5
	s_waitcnt lgkmcnt(0)
	v_fma_f32 v17, v17, v20, 0
	s_and_saveexec_b64 s[16:17], s[14:15]
	s_cbranch_execnz .LBB3_1174
; %bb.109:
	s_or_b64 exec, exec, s[16:17]
	v_cmp_gt_u32_e64 s[14:15], 48, v5
	s_and_saveexec_b64 s[16:17], s[14:15]
	s_cbranch_execnz .LBB3_1175
.LBB3_110:
	s_or_b64 exec, exec, s[16:17]
	v_cmp_gt_u32_e64 s[14:15], 40, v5
	s_and_saveexec_b64 s[16:17], s[14:15]
	s_cbranch_execnz .LBB3_1176
.LBB3_111:
	s_or_b64 exec, exec, s[16:17]
	v_cmp_gt_u32_e64 s[14:15], 32, v5
	s_and_saveexec_b64 s[16:17], s[14:15]
	s_cbranch_execnz .LBB3_1177
.LBB3_112:
	s_or_b64 exec, exec, s[16:17]
	v_cmp_gt_u32_e64 s[14:15], 24, v5
	s_and_saveexec_b64 s[16:17], s[14:15]
	s_cbranch_execnz .LBB3_1178
.LBB3_113:
	s_or_b64 exec, exec, s[16:17]
	s_and_saveexec_b64 s[14:15], s[18:19]
	s_cbranch_execnz .LBB3_1179
.LBB3_114:
	s_or_b64 exec, exec, s[14:15]
	v_cmp_gt_u32_e64 s[14:15], 8, v5
	s_and_saveexec_b64 s[16:17], s[14:15]
	s_cbranch_execz .LBB3_116
.LBB3_115:
	v_lshlrev_b32_e32 v18, 2, v0
	v_mov_b32_e32 v19, 0
	ds_read_b32 v18, v18 offset:16320
	ds_read_b32 v19, v19 offset:16380
	s_waitcnt lgkmcnt(0)
	v_fmac_f32_e32 v17, v18, v19
.LBB3_116:
	s_or_b64 exec, exec, s[16:17]
.LBB3_117:
	v_writelane_b32 v28, s56, 1
	v_writelane_b32 v28, s57, 2
	s_or_b64 exec, exec, s[0:1]
	v_mov_b32_e32 v18, 0x4000
	v_cmp_eq_u32_e64 s[14:15], 7, v14
	s_xor_b64 s[0:1], s[10:11], -1
	v_lshl_add_u32 v16, v16, 2, v18
	s_and_b64 s[56:57], s[14:15], s[0:1]
	s_and_saveexec_b64 s[10:11], s[56:57]
; %bb.118:
	v_xor_b32_e32 v18, 0x80000000, v17
	ds_write_b32 v16, v18
; %bb.119:
	s_or_b64 exec, exec, s[10:11]
	v_cmp_ne_u32_e64 s[10:11], 7, v14
	s_and_b64 s[58:59], s[10:11], s[0:1]
	s_waitcnt lgkmcnt(0)
	s_barrier
	s_and_saveexec_b64 s[10:11], s[58:59]
	s_cbranch_execz .LBB3_121
; %bb.120:
	v_lshlrev_b32_e32 v18, 2, v14
	ds_read_b32 v18, v18 offset:14272
	ds_read_b32 v19, v16
	s_waitcnt lgkmcnt(0)
	v_fma_f32 v17, -v18, v19, v17
.LBB3_121:
	s_or_b64 exec, exec, s[10:11]
	v_cmp_eq_u32_e64 s[10:11], 6, v14
	s_and_b64 s[60:61], s[10:11], s[0:1]
	s_barrier
	s_and_saveexec_b64 s[10:11], s[60:61]
; %bb.122:
	v_xor_b32_e32 v18, 0x80000000, v17
	ds_write_b32 v16, v18
; %bb.123:
	s_or_b64 exec, exec, s[10:11]
	v_cmp_gt_u32_e64 s[10:11], 6, v14
	s_and_b64 s[62:63], s[10:11], s[0:1]
	s_waitcnt lgkmcnt(0)
	s_barrier
	s_and_saveexec_b64 s[10:11], s[62:63]
	s_cbranch_execz .LBB3_125
; %bb.124:
	v_lshlrev_b32_e32 v18, 2, v14
	ds_read_b32 v18, v18 offset:14016
	ds_read_b32 v19, v16
	s_waitcnt lgkmcnt(0)
	v_fma_f32 v17, -v18, v19, v17
.LBB3_125:
	s_or_b64 exec, exec, s[10:11]
	v_cmp_eq_u32_e64 s[10:11], 5, v14
	s_and_b64 s[64:65], s[10:11], s[0:1]
	s_barrier
	s_and_saveexec_b64 s[10:11], s[64:65]
; %bb.126:
	v_xor_b32_e32 v18, 0x80000000, v17
	ds_write_b32 v16, v18
; %bb.127:
	s_or_b64 exec, exec, s[10:11]
	v_cmp_gt_u32_e64 s[10:11], 5, v14
	;; [unrolled: 23-line block ×5, first 2 shown]
	s_and_b64 s[80:81], s[10:11], s[0:1]
	s_waitcnt lgkmcnt(0)
	s_barrier
	s_and_saveexec_b64 s[10:11], s[80:81]
	s_cbranch_execz .LBB3_141
; %bb.140:
	v_lshlrev_b32_e32 v18, 2, v14
	ds_read_b32 v18, v18 offset:12992
	ds_read_b32 v19, v16
	s_waitcnt lgkmcnt(0)
	v_fma_f32 v17, -v18, v19, v17
.LBB3_141:
	s_or_b64 exec, exec, s[10:11]
	v_cmp_eq_u32_e64 s[10:11], 1, v14
	s_and_b64 s[82:83], s[10:11], s[0:1]
	s_barrier
	s_and_saveexec_b64 s[10:11], s[82:83]
; %bb.142:
	v_xor_b32_e32 v18, 0x80000000, v17
	ds_write_b32 v16, v18
; %bb.143:
	s_or_b64 exec, exec, s[10:11]
	v_cmp_eq_u32_e64 s[10:11], 0, v14
	s_and_b64 s[66:67], s[10:11], s[0:1]
	s_waitcnt lgkmcnt(0)
	s_barrier
	s_and_saveexec_b64 s[0:1], s[66:67]
	s_cbranch_execz .LBB3_145
; %bb.144:
	v_mov_b32_e32 v18, 0
	ds_read_b32 v18, v18 offset:12736
	ds_read_b32 v19, v16
	s_waitcnt lgkmcnt(0)
	v_fma_f32 v17, -v18, v19, v17
.LBB3_145:
	s_or_b64 exec, exec, s[0:1]
	s_barrier
	s_and_saveexec_b64 s[0:1], s[66:67]
; %bb.146:
	v_xor_b32_e32 v18, 0x80000000, v17
	ds_write_b32 v16, v18
; %bb.147:
	s_or_b64 exec, exec, s[0:1]
	s_waitcnt lgkmcnt(0)
	s_barrier
	s_barrier
	s_and_saveexec_b64 s[0:1], s[8:9]
; %bb.148:
	v_lshlrev_b32_e32 v18, 2, v14
	v_lshl_or_b32 v18, v15, 8, v18
	ds_write_b32 v18, v17 offset:14528
; %bb.149:
	s_or_b64 exec, exec, s[0:1]
	v_cmp_gt_u32_e64 s[10:11], 8, v0
	s_and_b64 s[84:85], s[12:13], s[10:11]
	s_waitcnt lgkmcnt(0)
	s_barrier
	s_barrier
	s_and_saveexec_b64 s[0:1], s[84:85]
	s_cbranch_execz .LBB3_151
; %bb.150:
	v_lshlrev_b32_e32 v17, 8, v0
	ds_read_b32 v18, v17 offset:14528
	s_movk_i32 s10, 0xff04
	v_mad_i32_i24 v19, v0, s10, v17
	s_waitcnt lgkmcnt(0)
	ds_write_b32 v19, v18 offset:12512
	ds_read_b32 v18, v17 offset:14532
	s_waitcnt lgkmcnt(0)
	ds_write_b32 v19, v18 offset:12768
	ds_read_b32 v18, v17 offset:14536
	;; [unrolled: 3-line block ×7, first 2 shown]
	s_waitcnt lgkmcnt(0)
	ds_write_b32 v19, v17 offset:14304
.LBB3_151:
	s_or_b64 exec, exec, s[0:1]
	s_waitcnt lgkmcnt(0)
	s_barrier
	s_and_saveexec_b64 s[0:1], vcc
	s_cbranch_execz .LBB3_153
; %bb.152:
	v_mov_b32_e32 v19, 0
	ds_read_b32 v18, v19 offset:14296
	v_mov_b32_e32 v17, 1.0
	ds_write_b32 v19, v17 offset:14300
	s_waitcnt lgkmcnt(1)
	ds_write_b64 v19, v[17:18] offset:14040
.LBB3_153:
	s_or_b64 exec, exec, s[0:1]
	v_mov_b32_e32 v17, 0
	s_waitcnt lgkmcnt(0)
	s_barrier
	buffer_wbinvl1_vol
	s_and_saveexec_b64 s[0:1], s[2:3]
	s_cbranch_execz .LBB3_157
; %bb.154:
	v_lshlrev_b32_e32 v17, 8, v3
	v_lshlrev_b32_e32 v18, 2, v2
	ds_read_b32 v19, v18 offset:14032
	ds_read_b32 v17, v17 offset:14040
	v_mov_b32_e32 v18, 0
	v_cmp_gt_u32_e64 s[10:11], 2, v5
	s_waitcnt lgkmcnt(0)
	v_fma_f32 v17, v19, v17, 0
	s_and_saveexec_b64 s[14:15], s[10:11]
	s_cbranch_execz .LBB3_156
; %bb.155:
	v_lshlrev_b32_e32 v19, 2, v0
	ds_read_b32 v19, v19 offset:14288
	ds_read_b32 v18, v18 offset:14300
	s_waitcnt lgkmcnt(0)
	v_fmac_f32_e32 v17, v19, v18
.LBB3_156:
	s_or_b64 exec, exec, s[14:15]
.LBB3_157:
	s_or_b64 exec, exec, s[0:1]
	s_and_saveexec_b64 s[0:1], s[28:29]
; %bb.158:
	v_xor_b32_e32 v18, 0x80000000, v17
	ds_write_b32 v4, v18
; %bb.159:
	s_or_b64 exec, exec, s[0:1]
	s_waitcnt lgkmcnt(0)
	s_barrier
	s_and_saveexec_b64 s[0:1], s[26:27]
	s_cbranch_execz .LBB3_161
; %bb.160:
	v_mov_b32_e32 v18, 0
	ds_read_b32 v18, v18 offset:13776
	ds_read_b32 v19, v4
	s_waitcnt lgkmcnt(0)
	v_fma_f32 v17, -v18, v19, v17
.LBB3_161:
	s_or_b64 exec, exec, s[0:1]
	s_barrier
	s_and_saveexec_b64 s[0:1], s[26:27]
; %bb.162:
	v_xor_b32_e32 v18, 0x80000000, v17
	ds_write_b32 v4, v18
; %bb.163:
	s_or_b64 exec, exec, s[0:1]
	s_waitcnt lgkmcnt(0)
	s_barrier
	s_barrier
	s_and_saveexec_b64 s[0:1], s[2:3]
; %bb.164:
	v_lshlrev_b32_e32 v18, 2, v2
	v_lshl_or_b32 v18, v3, 8, v18
	ds_write_b32 v18, v17 offset:14032
; %bb.165:
	s_or_b64 exec, exec, s[0:1]
	s_waitcnt lgkmcnt(0)
	s_barrier
	s_barrier
	s_and_saveexec_b64 s[0:1], s[30:31]
	s_cbranch_execz .LBB3_167
; %bb.166:
	v_lshlrev_b32_e32 v17, 2, v0
	s_movk_i32 s10, 0xfc
	v_mad_u32_u24 v18, v0, s10, v17
	ds_read_b32 v19, v18 offset:14032
	s_waitcnt lgkmcnt(0)
	ds_write_b32 v17, v19 offset:13528
	ds_read_b32 v18, v18 offset:14036
	s_waitcnt lgkmcnt(0)
	ds_write_b32 v17, v18 offset:13784
.LBB3_167:
	s_or_b64 exec, exec, s[0:1]
	s_waitcnt lgkmcnt(0)
	s_barrier
	s_and_saveexec_b64 s[0:1], vcc
	s_cbranch_execz .LBB3_169
; %bb.168:
	v_mov_b32_e32 v19, 0
	ds_read_b32 v18, v19 offset:13776
	v_mov_b32_e32 v17, 1.0
	ds_write_b32 v19, v17 offset:13780
	s_waitcnt lgkmcnt(1)
	ds_write_b64 v19, v[17:18] offset:13520
.LBB3_169:
	s_or_b64 exec, exec, s[0:1]
	v_mov_b32_e32 v17, 0
	s_waitcnt lgkmcnt(0)
	s_barrier
	buffer_wbinvl1_vol
	s_and_saveexec_b64 s[0:1], s[18:19]
	s_cbranch_execz .LBB3_175
; %bb.170:
	v_lshlrev_b32_e32 v19, 2, v11
	v_lshlrev_b32_e32 v18, 8, v12
	ds_read_b32 v17, v19 offset:13504
	ds_read_b32 v20, v18 offset:13520
	v_cmp_gt_u32_e64 s[10:11], 12, v5
	s_waitcnt lgkmcnt(0)
	v_fma_f32 v17, v17, v20, 0
	s_and_saveexec_b64 s[14:15], s[10:11]
	s_cbranch_execnz .LBB3_1180
; %bb.171:
	s_or_b64 exec, exec, s[14:15]
	v_cmp_gt_u32_e64 s[10:11], 8, v5
	s_and_saveexec_b64 s[14:15], s[10:11]
	s_cbranch_execnz .LBB3_1181
.LBB3_172:
	s_or_b64 exec, exec, s[14:15]
	v_cmp_gt_u32_e64 s[10:11], 4, v5
	s_and_saveexec_b64 s[14:15], s[10:11]
	s_cbranch_execz .LBB3_174
.LBB3_173:
	v_lshlrev_b32_e32 v18, 2, v0
	v_mov_b32_e32 v19, 0
	ds_read_b32 v18, v18 offset:14272
	ds_read_b32 v19, v19 offset:14300
	s_waitcnt lgkmcnt(0)
	v_fmac_f32_e32 v17, v18, v19
.LBB3_174:
	s_or_b64 exec, exec, s[14:15]
.LBB3_175:
	s_or_b64 exec, exec, s[0:1]
	s_and_saveexec_b64 s[0:1], s[36:37]
; %bb.176:
	v_xor_b32_e32 v18, 0x80000000, v17
	ds_write_b32 v13, v18
; %bb.177:
	s_or_b64 exec, exec, s[0:1]
	s_waitcnt lgkmcnt(0)
	s_barrier
	s_and_saveexec_b64 s[0:1], s[38:39]
	s_cbranch_execz .LBB3_179
; %bb.178:
	v_lshlrev_b32_e32 v18, 2, v11
	ds_read_b32 v18, v18 offset:13248
	ds_read_b32 v19, v13
	s_waitcnt lgkmcnt(0)
	v_fma_f32 v17, -v18, v19, v17
.LBB3_179:
	s_or_b64 exec, exec, s[0:1]
	s_barrier
	s_and_saveexec_b64 s[0:1], s[42:43]
; %bb.180:
	v_xor_b32_e32 v18, 0x80000000, v17
	ds_write_b32 v13, v18
; %bb.181:
	s_or_b64 exec, exec, s[0:1]
	s_waitcnt lgkmcnt(0)
	s_barrier
	s_and_saveexec_b64 s[0:1], s[44:45]
	s_cbranch_execz .LBB3_183
; %bb.182:
	v_lshlrev_b32_e32 v18, 2, v11
	ds_read_b32 v18, v18 offset:12992
	ds_read_b32 v19, v13
	s_waitcnt lgkmcnt(0)
	v_fma_f32 v17, -v18, v19, v17
.LBB3_183:
	s_or_b64 exec, exec, s[0:1]
	s_barrier
	s_and_saveexec_b64 s[0:1], s[52:53]
; %bb.184:
	v_xor_b32_e32 v18, 0x80000000, v17
	ds_write_b32 v13, v18
; %bb.185:
	s_or_b64 exec, exec, s[0:1]
	s_waitcnt lgkmcnt(0)
	s_barrier
	s_and_saveexec_b64 s[0:1], s[34:35]
	s_cbranch_execz .LBB3_187
; %bb.186:
	v_mov_b32_e32 v18, 0
	ds_read_b32 v18, v18 offset:12736
	ds_read_b32 v19, v13
	s_waitcnt lgkmcnt(0)
	v_fma_f32 v17, -v18, v19, v17
.LBB3_187:
	s_or_b64 exec, exec, s[0:1]
	s_barrier
	s_and_saveexec_b64 s[0:1], s[34:35]
; %bb.188:
	v_xor_b32_e32 v18, 0x80000000, v17
	ds_write_b32 v13, v18
; %bb.189:
	s_or_b64 exec, exec, s[0:1]
	s_waitcnt lgkmcnt(0)
	s_barrier
	s_barrier
	s_and_saveexec_b64 s[0:1], s[18:19]
; %bb.190:
	v_lshlrev_b32_e32 v18, 2, v11
	v_lshl_or_b32 v18, v12, 8, v18
	ds_write_b32 v18, v17 offset:13504
; %bb.191:
	s_or_b64 exec, exec, s[0:1]
	s_waitcnt lgkmcnt(0)
	s_barrier
	s_barrier
	s_and_saveexec_b64 s[0:1], s[54:55]
	s_cbranch_execz .LBB3_193
; %bb.192:
	v_lshlrev_b32_e32 v17, 8, v0
	ds_read_b32 v18, v17 offset:13504
	s_movk_i32 s10, 0xff04
	v_mad_i32_i24 v19, v0, s10, v17
	s_waitcnt lgkmcnt(0)
	ds_write_b32 v19, v18 offset:12496
	ds_read_b32 v18, v17 offset:13508
	s_waitcnt lgkmcnt(0)
	ds_write_b32 v19, v18 offset:12752
	ds_read_b32 v18, v17 offset:13512
	;; [unrolled: 3-line block ×3, first 2 shown]
	s_waitcnt lgkmcnt(0)
	ds_write_b32 v19, v17 offset:13264
.LBB3_193:
	s_or_b64 exec, exec, s[0:1]
	s_waitcnt lgkmcnt(0)
	s_barrier
	s_and_saveexec_b64 s[0:1], vcc
	s_cbranch_execz .LBB3_195
; %bb.194:
	v_mov_b32_e32 v19, 0
	ds_read_b32 v18, v19 offset:13256
	v_mov_b32_e32 v17, 1.0
	ds_write_b32 v19, v17 offset:13260
	s_waitcnt lgkmcnt(1)
	ds_write_b64 v19, v[17:18] offset:13000
.LBB3_195:
	s_or_b64 exec, exec, s[0:1]
	v_mov_b32_e32 v17, 0
	s_waitcnt lgkmcnt(0)
	s_barrier
	buffer_wbinvl1_vol
	s_and_saveexec_b64 s[0:1], s[2:3]
	s_cbranch_execz .LBB3_199
; %bb.196:
	v_lshlrev_b32_e32 v17, 8, v3
	v_lshlrev_b32_e32 v18, 2, v2
	ds_read_b32 v19, v18 offset:12992
	ds_read_b32 v17, v17 offset:13000
	v_mov_b32_e32 v18, 0
	v_cmp_gt_u32_e64 s[10:11], 2, v5
	s_waitcnt lgkmcnt(0)
	v_fma_f32 v17, v19, v17, 0
	s_and_saveexec_b64 s[14:15], s[10:11]
	s_cbranch_execz .LBB3_198
; %bb.197:
	v_lshlrev_b32_e32 v19, 2, v0
	ds_read_b32 v19, v19 offset:13248
	ds_read_b32 v18, v18 offset:13260
	s_waitcnt lgkmcnt(0)
	v_fmac_f32_e32 v17, v19, v18
.LBB3_198:
	s_or_b64 exec, exec, s[14:15]
.LBB3_199:
	s_or_b64 exec, exec, s[0:1]
	s_and_saveexec_b64 s[0:1], s[28:29]
; %bb.200:
	v_xor_b32_e32 v18, 0x80000000, v17
	ds_write_b32 v4, v18
; %bb.201:
	s_or_b64 exec, exec, s[0:1]
	s_waitcnt lgkmcnt(0)
	s_barrier
	s_and_saveexec_b64 s[0:1], s[26:27]
	s_cbranch_execz .LBB3_203
; %bb.202:
	v_mov_b32_e32 v18, 0
	ds_read_b32 v18, v18 offset:12736
	ds_read_b32 v19, v4
	s_waitcnt lgkmcnt(0)
	v_fma_f32 v17, -v18, v19, v17
.LBB3_203:
	s_or_b64 exec, exec, s[0:1]
	s_barrier
	s_and_saveexec_b64 s[0:1], s[26:27]
; %bb.204:
	v_xor_b32_e32 v18, 0x80000000, v17
	ds_write_b32 v4, v18
; %bb.205:
	s_or_b64 exec, exec, s[0:1]
	s_waitcnt lgkmcnt(0)
	s_barrier
	s_barrier
	s_and_saveexec_b64 s[0:1], s[2:3]
; %bb.206:
	v_lshlrev_b32_e32 v18, 2, v2
	v_lshl_or_b32 v18, v3, 8, v18
	ds_write_b32 v18, v17 offset:12992
; %bb.207:
	s_or_b64 exec, exec, s[0:1]
	s_waitcnt lgkmcnt(0)
	s_barrier
	s_barrier
	s_and_saveexec_b64 s[0:1], s[30:31]
	s_cbranch_execz .LBB3_209
; %bb.208:
	v_lshlrev_b32_e32 v17, 2, v0
	s_movk_i32 s10, 0xfc
	v_mad_u32_u24 v18, v0, s10, v17
	ds_read_b32 v19, v18 offset:12992
	s_waitcnt lgkmcnt(0)
	ds_write_b32 v17, v19 offset:12488
	ds_read_b32 v18, v18 offset:12996
	s_waitcnt lgkmcnt(0)
	ds_write_b32 v17, v18 offset:12744
.LBB3_209:
	s_or_b64 exec, exec, s[0:1]
	s_waitcnt lgkmcnt(0)
	s_barrier
	s_and_saveexec_b64 s[0:1], vcc
	s_cbranch_execz .LBB3_211
; %bb.210:
	v_mov_b32_e32 v19, 0
	ds_read_b32 v18, v19 offset:12736
	v_mov_b32_e32 v17, 1.0
	ds_write_b32 v19, v17 offset:12740
	s_waitcnt lgkmcnt(1)
	ds_write_b64 v19, v[17:18] offset:12480
.LBB3_211:
	s_or_b64 exec, exec, s[0:1]
	s_movk_i32 s0, 0xff
	v_lshrrev_b32_e32 v19, 4, v5
	v_cmp_lt_u32_e64 s[14:15], s0, v5
	s_movk_i32 s0, 0x100
	v_and_b32_e32 v17, 15, v0
	v_sub_u32_e32 v18, 15, v19
	v_cmp_gt_u32_e64 s[10:11], s0, v5
	v_mov_b32_e32 v20, 0
	s_waitcnt lgkmcnt(0)
	s_barrier
	buffer_wbinvl1_vol
	s_and_saveexec_b64 s[0:1], s[10:11]
	s_cbranch_execz .LBB3_239
; %bb.212:
	v_lshlrev_b32_e32 v22, 2, v17
	v_lshlrev_b32_e32 v21, 8, v18
	ds_read_b32 v20, v22 offset:12416
	ds_read_b32 v23, v21 offset:12480
	s_movk_i32 s16, 0xf0
	v_cmp_gt_u32_e64 s[16:17], s16, v5
	s_waitcnt lgkmcnt(0)
	v_fma_f32 v20, v20, v23, 0
	s_and_saveexec_b64 s[20:21], s[16:17]
	s_cbranch_execz .LBB3_214
; %bb.213:
	ds_read_b32 v23, v22 offset:12672
	ds_read_b32 v24, v21 offset:12484
	s_waitcnt lgkmcnt(0)
	v_fmac_f32_e32 v20, v23, v24
.LBB3_214:
	s_or_b64 exec, exec, s[20:21]
	s_movk_i32 s16, 0xe0
	v_cmp_gt_u32_e64 s[16:17], s16, v5
	s_and_saveexec_b64 s[20:21], s[16:17]
	s_cbranch_execz .LBB3_216
; %bb.215:
	ds_read_b32 v23, v22 offset:12928
	ds_read_b32 v24, v21 offset:12488
	s_waitcnt lgkmcnt(0)
	v_fmac_f32_e32 v20, v23, v24
.LBB3_216:
	s_or_b64 exec, exec, s[20:21]
	s_movk_i32 s16, 0xd0
	v_cmp_gt_u32_e64 s[16:17], s16, v5
	;; [unrolled: 11-line block ×10, first 2 shown]
	s_and_saveexec_b64 s[20:21], s[16:17]
	s_cbranch_execnz .LBB3_1182
; %bb.233:
	s_or_b64 exec, exec, s[20:21]
	s_and_saveexec_b64 s[16:17], s[8:9]
	s_cbranch_execnz .LBB3_1183
.LBB3_234:
	s_or_b64 exec, exec, s[16:17]
	v_cmp_gt_u32_e64 s[16:17], 48, v5
	s_and_saveexec_b64 s[20:21], s[16:17]
	s_cbranch_execnz .LBB3_1184
.LBB3_235:
	s_or_b64 exec, exec, s[20:21]
	v_cmp_gt_u32_e64 s[16:17], 32, v5
	s_and_saveexec_b64 s[20:21], s[16:17]
	s_cbranch_execnz .LBB3_1185
.LBB3_236:
	s_or_b64 exec, exec, s[20:21]
	v_cmp_gt_u32_e64 s[16:17], 16, v5
	s_and_saveexec_b64 s[20:21], s[16:17]
	s_cbranch_execz .LBB3_238
.LBB3_237:
	v_lshlrev_b32_e32 v21, 2, v0
	v_mov_b32_e32 v22, 0
	ds_read_b32 v21, v21 offset:16256
	ds_read_b32 v22, v22 offset:16380
	s_waitcnt lgkmcnt(0)
	v_fmac_f32_e32 v20, v21, v22
.LBB3_238:
	s_or_b64 exec, exec, s[20:21]
.LBB3_239:
	s_or_b64 exec, exec, s[0:1]
	v_mov_b32_e32 v21, 0x4000
	v_lshl_add_u32 v19, v19, 2, v21
	v_cmp_eq_u32_e64 s[16:17], 15, v17
	s_xor_b64 s[20:21], s[14:15], -1
	s_and_b64 s[14:15], s[16:17], s[20:21]
	s_mov_b64 s[0:1], exec
	v_writelane_b32 v28, s14, 3
	v_writelane_b32 v28, s15, 4
	s_and_b64 s[14:15], s[0:1], s[14:15]
	s_mov_b64 exec, s[14:15]
; %bb.240:
	v_xor_b32_e32 v21, 0x80000000, v20
	ds_write_b32 v19, v21
; %bb.241:
	s_or_b64 exec, exec, s[0:1]
	v_cmp_ne_u32_e64 s[14:15], 15, v17
	s_waitcnt lgkmcnt(0)
	s_barrier
	s_and_b64 s[14:15], s[14:15], s[20:21]
	s_mov_b64 s[0:1], exec
	v_writelane_b32 v28, s14, 5
	v_writelane_b32 v28, s15, 6
	s_and_b64 s[14:15], s[0:1], s[14:15]
	s_mov_b64 exec, s[14:15]
	s_cbranch_execz .LBB3_243
; %bb.242:
	v_lshlrev_b32_e32 v21, 2, v17
	ds_read_b32 v21, v21 offset:12160
	ds_read_b32 v22, v19
	s_waitcnt lgkmcnt(0)
	v_fma_f32 v20, -v21, v22, v20
.LBB3_243:
	s_or_b64 exec, exec, s[0:1]
	v_cmp_eq_u32_e64 s[14:15], 14, v17
	s_barrier
	s_and_b64 s[14:15], s[14:15], s[20:21]
	s_mov_b64 s[0:1], exec
	v_writelane_b32 v28, s14, 7
	v_writelane_b32 v28, s15, 8
	s_and_b64 s[14:15], s[0:1], s[14:15]
	s_mov_b64 exec, s[14:15]
; %bb.244:
	v_xor_b32_e32 v21, 0x80000000, v20
	ds_write_b32 v19, v21
; %bb.245:
	s_or_b64 exec, exec, s[0:1]
	v_cmp_gt_u32_e64 s[14:15], 14, v17
	s_waitcnt lgkmcnt(0)
	s_barrier
	s_and_b64 s[14:15], s[14:15], s[20:21]
	s_mov_b64 s[0:1], exec
	v_writelane_b32 v28, s14, 9
	v_writelane_b32 v28, s15, 10
	s_and_b64 s[14:15], s[0:1], s[14:15]
	s_mov_b64 exec, s[14:15]
	s_cbranch_execz .LBB3_247
; %bb.246:
	v_lshlrev_b32_e32 v21, 2, v17
	ds_read_b32 v21, v21 offset:11904
	ds_read_b32 v22, v19
	s_waitcnt lgkmcnt(0)
	v_fma_f32 v20, -v21, v22, v20
.LBB3_247:
	s_or_b64 exec, exec, s[0:1]
	v_cmp_eq_u32_e64 s[14:15], 13, v17
	s_barrier
	s_and_b64 s[14:15], s[14:15], s[20:21]
	s_mov_b64 s[0:1], exec
	v_writelane_b32 v28, s14, 11
	v_writelane_b32 v28, s15, 12
	s_and_b64 s[14:15], s[0:1], s[14:15]
	s_mov_b64 exec, s[14:15]
; %bb.248:
	v_xor_b32_e32 v21, 0x80000000, v20
	ds_write_b32 v19, v21
; %bb.249:
	s_or_b64 exec, exec, s[0:1]
	v_cmp_gt_u32_e64 s[14:15], 13, v17
	;; [unrolled: 31-line block ×13, first 2 shown]
	s_and_b64 s[0:1], s[14:15], s[20:21]
	s_waitcnt lgkmcnt(0)
	s_barrier
	s_and_saveexec_b64 s[14:15], s[0:1]
	s_cbranch_execz .LBB3_295
; %bb.294:
	v_lshlrev_b32_e32 v21, 2, v17
	ds_read_b32 v21, v21 offset:8832
	ds_read_b32 v22, v19
	s_waitcnt lgkmcnt(0)
	v_fma_f32 v20, -v21, v22, v20
.LBB3_295:
	s_or_b64 exec, exec, s[14:15]
	v_cmp_eq_u32_e64 s[14:15], 1, v17
	s_barrier
	s_and_b64 s[16:17], s[14:15], s[20:21]
	s_mov_b64 s[14:15], exec
	v_writelane_b32 v28, s16, 57
	v_writelane_b32 v28, s17, 58
	s_and_b64 s[16:17], s[14:15], s[16:17]
	s_mov_b64 exec, s[16:17]
; %bb.296:
	v_xor_b32_e32 v21, 0x80000000, v20
	ds_write_b32 v19, v21
; %bb.297:
	s_or_b64 exec, exec, s[14:15]
	v_cmp_eq_u32_e64 s[14:15], 0, v17
	s_and_b64 s[92:93], s[14:15], s[20:21]
	s_waitcnt lgkmcnt(0)
	s_barrier
	s_and_saveexec_b64 s[14:15], s[92:93]
	s_cbranch_execz .LBB3_299
; %bb.298:
	v_mov_b32_e32 v21, 0
	ds_read_b32 v21, v21 offset:8576
	ds_read_b32 v22, v19
	s_waitcnt lgkmcnt(0)
	v_fma_f32 v20, -v21, v22, v20
.LBB3_299:
	s_or_b64 exec, exec, s[14:15]
	s_barrier
	s_and_saveexec_b64 s[14:15], s[92:93]
; %bb.300:
	v_xor_b32_e32 v21, 0x80000000, v20
	ds_write_b32 v19, v21
; %bb.301:
	s_or_b64 exec, exec, s[14:15]
	s_waitcnt lgkmcnt(0)
	s_barrier
	s_barrier
	s_and_saveexec_b64 s[14:15], s[10:11]
; %bb.302:
	v_lshlrev_b32_e32 v21, 2, v17
	v_lshl_or_b32 v21, v18, 8, v21
	ds_write_b32 v21, v20 offset:12416
; %bb.303:
	s_or_b64 exec, exec, s[14:15]
	v_cmp_gt_u32_e64 s[14:15], 16, v0
	s_and_b64 s[88:89], s[12:13], s[14:15]
	s_waitcnt lgkmcnt(0)
	s_barrier
	s_barrier
	s_and_saveexec_b64 s[14:15], s[88:89]
	s_cbranch_execz .LBB3_305
; %bb.304:
	v_lshlrev_b32_e32 v20, 8, v0
	ds_read_b32 v21, v20 offset:12416
	s_movk_i32 s16, 0xff04
	v_mad_i32_i24 v22, v0, s16, v20
	s_waitcnt lgkmcnt(0)
	ds_write_b32 v22, v21 offset:8384
	ds_read_b32 v21, v20 offset:12420
	s_waitcnt lgkmcnt(0)
	ds_write_b32 v22, v21 offset:8640
	ds_read_b32 v21, v20 offset:12424
	;; [unrolled: 3-line block ×15, first 2 shown]
	s_waitcnt lgkmcnt(0)
	ds_write_b32 v22, v20 offset:12224
.LBB3_305:
	s_or_b64 exec, exec, s[14:15]
	s_waitcnt lgkmcnt(0)
	s_barrier
	s_and_saveexec_b64 s[14:15], vcc
	s_cbranch_execz .LBB3_307
; %bb.306:
	v_mov_b32_e32 v22, 0
	ds_read_b32 v21, v22 offset:12216
	v_mov_b32_e32 v20, 1.0
	ds_write_b32 v22, v20 offset:12220
	s_waitcnt lgkmcnt(1)
	ds_write_b64 v22, v[20:21] offset:11960
.LBB3_307:
	s_or_b64 exec, exec, s[14:15]
	v_mov_b32_e32 v20, 0
	s_waitcnt lgkmcnt(0)
	s_barrier
	buffer_wbinvl1_vol
	s_and_saveexec_b64 s[16:17], s[2:3]
	s_cbranch_execz .LBB3_311
; %bb.308:
	v_lshlrev_b32_e32 v20, 8, v3
	v_lshlrev_b32_e32 v21, 2, v2
	ds_read_b32 v22, v21 offset:11952
	ds_read_b32 v20, v20 offset:11960
	v_mov_b32_e32 v21, 0
	v_cmp_gt_u32_e64 s[14:15], 2, v5
	s_waitcnt lgkmcnt(0)
	v_fma_f32 v20, v22, v20, 0
	s_and_saveexec_b64 s[20:21], s[14:15]
	s_cbranch_execz .LBB3_310
; %bb.309:
	v_lshlrev_b32_e32 v22, 2, v0
	ds_read_b32 v22, v22 offset:12208
	ds_read_b32 v21, v21 offset:12220
	s_waitcnt lgkmcnt(0)
	v_fmac_f32_e32 v20, v22, v21
.LBB3_310:
	s_or_b64 exec, exec, s[20:21]
.LBB3_311:
	s_or_b64 exec, exec, s[16:17]
	s_and_saveexec_b64 s[14:15], s[28:29]
; %bb.312:
	v_xor_b32_e32 v21, 0x80000000, v20
	ds_write_b32 v4, v21
; %bb.313:
	s_or_b64 exec, exec, s[14:15]
	s_waitcnt lgkmcnt(0)
	s_barrier
	s_and_saveexec_b64 s[14:15], s[26:27]
	s_cbranch_execz .LBB3_315
; %bb.314:
	v_mov_b32_e32 v21, 0
	ds_read_b32 v21, v21 offset:11696
	ds_read_b32 v22, v4
	s_waitcnt lgkmcnt(0)
	v_fma_f32 v20, -v21, v22, v20
.LBB3_315:
	s_or_b64 exec, exec, s[14:15]
	s_barrier
	s_and_saveexec_b64 s[14:15], s[26:27]
; %bb.316:
	v_xor_b32_e32 v21, 0x80000000, v20
	ds_write_b32 v4, v21
; %bb.317:
	s_or_b64 exec, exec, s[14:15]
	s_waitcnt lgkmcnt(0)
	s_barrier
	s_barrier
	s_and_saveexec_b64 s[14:15], s[2:3]
; %bb.318:
	v_lshlrev_b32_e32 v21, 2, v2
	v_lshl_or_b32 v21, v3, 8, v21
	ds_write_b32 v21, v20 offset:11952
; %bb.319:
	s_or_b64 exec, exec, s[14:15]
	s_waitcnt lgkmcnt(0)
	s_barrier
	s_barrier
	s_and_saveexec_b64 s[14:15], s[30:31]
	s_cbranch_execz .LBB3_321
; %bb.320:
	v_lshlrev_b32_e32 v20, 2, v0
	s_movk_i32 s16, 0xfc
	v_mad_u32_u24 v21, v0, s16, v20
	ds_read_b32 v22, v21 offset:11952
	s_waitcnt lgkmcnt(0)
	ds_write_b32 v20, v22 offset:11448
	ds_read_b32 v21, v21 offset:11956
	s_waitcnt lgkmcnt(0)
	ds_write_b32 v20, v21 offset:11704
.LBB3_321:
	s_or_b64 exec, exec, s[14:15]
	s_waitcnt lgkmcnt(0)
	s_barrier
	s_and_saveexec_b64 s[14:15], vcc
	s_cbranch_execz .LBB3_323
; %bb.322:
	v_mov_b32_e32 v22, 0
	ds_read_b32 v21, v22 offset:11696
	v_mov_b32_e32 v20, 1.0
	ds_write_b32 v22, v20 offset:11700
	s_waitcnt lgkmcnt(1)
	ds_write_b64 v22, v[20:21] offset:11440
.LBB3_323:
	s_or_b64 exec, exec, s[14:15]
	v_mov_b32_e32 v20, 0
	s_waitcnt lgkmcnt(0)
	s_barrier
	buffer_wbinvl1_vol
	s_and_saveexec_b64 s[16:17], s[18:19]
	s_cbranch_execz .LBB3_329
; %bb.324:
	v_lshlrev_b32_e32 v22, 2, v11
	v_lshlrev_b32_e32 v21, 8, v12
	ds_read_b32 v20, v22 offset:11424
	ds_read_b32 v23, v21 offset:11440
	v_cmp_gt_u32_e64 s[14:15], 12, v5
	s_waitcnt lgkmcnt(0)
	v_fma_f32 v20, v20, v23, 0
	s_and_saveexec_b64 s[20:21], s[14:15]
	s_cbranch_execnz .LBB3_1186
; %bb.325:
	s_or_b64 exec, exec, s[20:21]
	v_cmp_gt_u32_e64 s[14:15], 8, v5
	s_and_saveexec_b64 s[20:21], s[14:15]
	s_cbranch_execnz .LBB3_1187
.LBB3_326:
	s_or_b64 exec, exec, s[20:21]
	v_cmp_gt_u32_e64 s[14:15], 4, v5
	s_and_saveexec_b64 s[20:21], s[14:15]
	s_cbranch_execz .LBB3_328
.LBB3_327:
	v_lshlrev_b32_e32 v21, 2, v0
	v_mov_b32_e32 v22, 0
	ds_read_b32 v21, v21 offset:12192
	ds_read_b32 v22, v22 offset:12220
	s_waitcnt lgkmcnt(0)
	v_fmac_f32_e32 v20, v21, v22
.LBB3_328:
	s_or_b64 exec, exec, s[20:21]
.LBB3_329:
	s_or_b64 exec, exec, s[16:17]
	s_and_saveexec_b64 s[14:15], s[36:37]
; %bb.330:
	v_xor_b32_e32 v21, 0x80000000, v20
	ds_write_b32 v13, v21
; %bb.331:
	s_or_b64 exec, exec, s[14:15]
	s_waitcnt lgkmcnt(0)
	s_barrier
	s_and_saveexec_b64 s[14:15], s[38:39]
	s_cbranch_execz .LBB3_333
; %bb.332:
	v_lshlrev_b32_e32 v21, 2, v11
	ds_read_b32 v21, v21 offset:11168
	ds_read_b32 v22, v13
	s_waitcnt lgkmcnt(0)
	v_fma_f32 v20, -v21, v22, v20
.LBB3_333:
	s_or_b64 exec, exec, s[14:15]
	s_barrier
	s_and_saveexec_b64 s[14:15], s[42:43]
; %bb.334:
	v_xor_b32_e32 v21, 0x80000000, v20
	ds_write_b32 v13, v21
; %bb.335:
	s_or_b64 exec, exec, s[14:15]
	s_waitcnt lgkmcnt(0)
	s_barrier
	s_and_saveexec_b64 s[14:15], s[44:45]
	s_cbranch_execz .LBB3_337
; %bb.336:
	v_lshlrev_b32_e32 v21, 2, v11
	ds_read_b32 v21, v21 offset:10912
	ds_read_b32 v22, v13
	s_waitcnt lgkmcnt(0)
	v_fma_f32 v20, -v21, v22, v20
.LBB3_337:
	s_or_b64 exec, exec, s[14:15]
	s_barrier
	s_and_saveexec_b64 s[14:15], s[52:53]
; %bb.338:
	v_xor_b32_e32 v21, 0x80000000, v20
	ds_write_b32 v13, v21
; %bb.339:
	s_or_b64 exec, exec, s[14:15]
	s_waitcnt lgkmcnt(0)
	s_barrier
	s_and_saveexec_b64 s[14:15], s[34:35]
	s_cbranch_execz .LBB3_341
; %bb.340:
	v_mov_b32_e32 v21, 0
	ds_read_b32 v21, v21 offset:10656
	ds_read_b32 v22, v13
	s_waitcnt lgkmcnt(0)
	v_fma_f32 v20, -v21, v22, v20
.LBB3_341:
	s_or_b64 exec, exec, s[14:15]
	s_barrier
	s_and_saveexec_b64 s[14:15], s[34:35]
; %bb.342:
	v_xor_b32_e32 v21, 0x80000000, v20
	ds_write_b32 v13, v21
; %bb.343:
	s_or_b64 exec, exec, s[14:15]
	s_waitcnt lgkmcnt(0)
	s_barrier
	s_barrier
	s_and_saveexec_b64 s[14:15], s[18:19]
; %bb.344:
	v_lshlrev_b32_e32 v21, 2, v11
	v_lshl_or_b32 v21, v12, 8, v21
	ds_write_b32 v21, v20 offset:11424
; %bb.345:
	s_or_b64 exec, exec, s[14:15]
	s_waitcnt lgkmcnt(0)
	s_barrier
	s_barrier
	s_and_saveexec_b64 s[14:15], s[54:55]
	s_cbranch_execz .LBB3_347
; %bb.346:
	v_lshlrev_b32_e32 v20, 8, v0
	ds_read_b32 v21, v20 offset:11424
	s_movk_i32 s16, 0xff04
	v_mad_i32_i24 v22, v0, s16, v20
	s_waitcnt lgkmcnt(0)
	ds_write_b32 v22, v21 offset:10416
	ds_read_b32 v21, v20 offset:11428
	s_waitcnt lgkmcnt(0)
	ds_write_b32 v22, v21 offset:10672
	ds_read_b32 v21, v20 offset:11432
	;; [unrolled: 3-line block ×3, first 2 shown]
	s_waitcnt lgkmcnt(0)
	ds_write_b32 v22, v20 offset:11184
.LBB3_347:
	s_or_b64 exec, exec, s[14:15]
	s_waitcnt lgkmcnt(0)
	s_barrier
	s_and_saveexec_b64 s[14:15], vcc
	s_cbranch_execz .LBB3_349
; %bb.348:
	v_mov_b32_e32 v22, 0
	ds_read_b32 v21, v22 offset:11176
	v_mov_b32_e32 v20, 1.0
	ds_write_b32 v22, v20 offset:11180
	s_waitcnt lgkmcnt(1)
	ds_write_b64 v22, v[20:21] offset:10920
.LBB3_349:
	s_or_b64 exec, exec, s[14:15]
	v_mov_b32_e32 v20, 0
	s_waitcnt lgkmcnt(0)
	s_barrier
	buffer_wbinvl1_vol
	s_and_saveexec_b64 s[16:17], s[2:3]
	s_cbranch_execz .LBB3_353
; %bb.350:
	v_lshlrev_b32_e32 v20, 8, v3
	v_lshlrev_b32_e32 v21, 2, v2
	ds_read_b32 v22, v21 offset:10912
	ds_read_b32 v20, v20 offset:10920
	v_mov_b32_e32 v21, 0
	v_cmp_gt_u32_e64 s[14:15], 2, v5
	s_waitcnt lgkmcnt(0)
	v_fma_f32 v20, v22, v20, 0
	s_and_saveexec_b64 s[20:21], s[14:15]
	s_cbranch_execz .LBB3_352
; %bb.351:
	v_lshlrev_b32_e32 v22, 2, v0
	ds_read_b32 v22, v22 offset:11168
	ds_read_b32 v21, v21 offset:11180
	s_waitcnt lgkmcnt(0)
	v_fmac_f32_e32 v20, v22, v21
.LBB3_352:
	s_or_b64 exec, exec, s[20:21]
.LBB3_353:
	s_or_b64 exec, exec, s[16:17]
	s_and_saveexec_b64 s[14:15], s[28:29]
; %bb.354:
	v_xor_b32_e32 v21, 0x80000000, v20
	ds_write_b32 v4, v21
; %bb.355:
	s_or_b64 exec, exec, s[14:15]
	s_waitcnt lgkmcnt(0)
	s_barrier
	s_and_saveexec_b64 s[14:15], s[26:27]
	s_cbranch_execz .LBB3_357
; %bb.356:
	v_mov_b32_e32 v21, 0
	ds_read_b32 v21, v21 offset:10656
	ds_read_b32 v22, v4
	s_waitcnt lgkmcnt(0)
	v_fma_f32 v20, -v21, v22, v20
.LBB3_357:
	s_or_b64 exec, exec, s[14:15]
	s_barrier
	s_and_saveexec_b64 s[14:15], s[26:27]
; %bb.358:
	v_xor_b32_e32 v21, 0x80000000, v20
	ds_write_b32 v4, v21
; %bb.359:
	s_or_b64 exec, exec, s[14:15]
	s_waitcnt lgkmcnt(0)
	s_barrier
	s_barrier
	s_and_saveexec_b64 s[14:15], s[2:3]
; %bb.360:
	v_lshlrev_b32_e32 v21, 2, v2
	v_lshl_or_b32 v21, v3, 8, v21
	ds_write_b32 v21, v20 offset:10912
; %bb.361:
	s_or_b64 exec, exec, s[14:15]
	s_waitcnt lgkmcnt(0)
	s_barrier
	s_barrier
	s_and_saveexec_b64 s[14:15], s[30:31]
	s_cbranch_execz .LBB3_363
; %bb.362:
	v_lshlrev_b32_e32 v20, 2, v0
	s_movk_i32 s16, 0xfc
	v_mad_u32_u24 v21, v0, s16, v20
	ds_read_b32 v22, v21 offset:10912
	s_waitcnt lgkmcnt(0)
	ds_write_b32 v20, v22 offset:10408
	ds_read_b32 v21, v21 offset:10916
	s_waitcnt lgkmcnt(0)
	ds_write_b32 v20, v21 offset:10664
.LBB3_363:
	s_or_b64 exec, exec, s[14:15]
	s_waitcnt lgkmcnt(0)
	s_barrier
	s_and_saveexec_b64 s[14:15], vcc
	s_cbranch_execz .LBB3_365
; %bb.364:
	v_mov_b32_e32 v22, 0
	ds_read_b32 v21, v22 offset:10656
	v_mov_b32_e32 v20, 1.0
	ds_write_b32 v22, v20 offset:10660
	s_waitcnt lgkmcnt(1)
	ds_write_b64 v22, v[20:21] offset:10400
.LBB3_365:
	s_or_b64 exec, exec, s[14:15]
	v_mov_b32_e32 v20, 0
	s_waitcnt lgkmcnt(0)
	s_barrier
	buffer_wbinvl1_vol
	s_and_saveexec_b64 s[16:17], s[8:9]
	s_cbranch_execz .LBB3_375
; %bb.366:
	v_lshlrev_b32_e32 v22, 2, v14
	v_lshlrev_b32_e32 v21, 8, v15
	ds_read_b32 v20, v22 offset:10368
	ds_read_b32 v23, v21 offset:10400
	v_cmp_gt_u32_e64 s[14:15], 56, v5
	s_waitcnt lgkmcnt(0)
	v_fma_f32 v20, v20, v23, 0
	s_and_saveexec_b64 s[20:21], s[14:15]
	s_cbranch_execnz .LBB3_1188
; %bb.367:
	s_or_b64 exec, exec, s[20:21]
	v_cmp_gt_u32_e64 s[14:15], 48, v5
	s_and_saveexec_b64 s[20:21], s[14:15]
	s_cbranch_execnz .LBB3_1189
.LBB3_368:
	s_or_b64 exec, exec, s[20:21]
	v_cmp_gt_u32_e64 s[14:15], 40, v5
	s_and_saveexec_b64 s[20:21], s[14:15]
	s_cbranch_execnz .LBB3_1190
.LBB3_369:
	s_or_b64 exec, exec, s[20:21]
	v_cmp_gt_u32_e64 s[14:15], 32, v5
	s_and_saveexec_b64 s[20:21], s[14:15]
	s_cbranch_execnz .LBB3_1191
.LBB3_370:
	s_or_b64 exec, exec, s[20:21]
	v_cmp_gt_u32_e64 s[14:15], 24, v5
	s_and_saveexec_b64 s[20:21], s[14:15]
	s_cbranch_execnz .LBB3_1192
.LBB3_371:
	s_or_b64 exec, exec, s[20:21]
	s_and_saveexec_b64 s[14:15], s[18:19]
	s_cbranch_execnz .LBB3_1193
.LBB3_372:
	s_or_b64 exec, exec, s[14:15]
	v_cmp_gt_u32_e64 s[14:15], 8, v5
	s_and_saveexec_b64 s[20:21], s[14:15]
	s_cbranch_execz .LBB3_374
.LBB3_373:
	v_lshlrev_b32_e32 v21, 2, v0
	v_mov_b32_e32 v22, 0
	ds_read_b32 v21, v21 offset:12160
	ds_read_b32 v22, v22 offset:12220
	s_waitcnt lgkmcnt(0)
	v_fmac_f32_e32 v20, v21, v22
.LBB3_374:
	s_or_b64 exec, exec, s[20:21]
.LBB3_375:
	s_or_b64 exec, exec, s[16:17]
	s_and_saveexec_b64 s[14:15], s[56:57]
; %bb.376:
	v_xor_b32_e32 v21, 0x80000000, v20
	ds_write_b32 v16, v21
; %bb.377:
	s_or_b64 exec, exec, s[14:15]
	s_waitcnt lgkmcnt(0)
	s_barrier
	s_and_saveexec_b64 s[14:15], s[58:59]
	s_cbranch_execz .LBB3_379
; %bb.378:
	v_lshlrev_b32_e32 v21, 2, v14
	ds_read_b32 v21, v21 offset:10112
	ds_read_b32 v22, v16
	s_waitcnt lgkmcnt(0)
	v_fma_f32 v20, -v21, v22, v20
.LBB3_379:
	s_or_b64 exec, exec, s[14:15]
	s_barrier
	s_and_saveexec_b64 s[14:15], s[60:61]
; %bb.380:
	v_xor_b32_e32 v21, 0x80000000, v20
	ds_write_b32 v16, v21
; %bb.381:
	s_or_b64 exec, exec, s[14:15]
	s_waitcnt lgkmcnt(0)
	s_barrier
	s_and_saveexec_b64 s[14:15], s[62:63]
	s_cbranch_execz .LBB3_383
; %bb.382:
	v_lshlrev_b32_e32 v21, 2, v14
	ds_read_b32 v21, v21 offset:9856
	ds_read_b32 v22, v16
	s_waitcnt lgkmcnt(0)
	v_fma_f32 v20, -v21, v22, v20
.LBB3_383:
	s_or_b64 exec, exec, s[14:15]
	s_barrier
	;; [unrolled: 19-line block ×6, first 2 shown]
	s_and_saveexec_b64 s[14:15], s[82:83]
; %bb.400:
	v_xor_b32_e32 v21, 0x80000000, v20
	ds_write_b32 v16, v21
; %bb.401:
	s_or_b64 exec, exec, s[14:15]
	s_waitcnt lgkmcnt(0)
	s_barrier
	s_and_saveexec_b64 s[14:15], s[66:67]
	s_cbranch_execz .LBB3_403
; %bb.402:
	v_mov_b32_e32 v21, 0
	ds_read_b32 v21, v21 offset:8576
	ds_read_b32 v22, v16
	s_waitcnt lgkmcnt(0)
	v_fma_f32 v20, -v21, v22, v20
.LBB3_403:
	s_or_b64 exec, exec, s[14:15]
	s_barrier
	s_and_saveexec_b64 s[14:15], s[66:67]
; %bb.404:
	v_xor_b32_e32 v21, 0x80000000, v20
	ds_write_b32 v16, v21
; %bb.405:
	s_or_b64 exec, exec, s[14:15]
	s_waitcnt lgkmcnt(0)
	s_barrier
	s_barrier
	s_and_saveexec_b64 s[14:15], s[8:9]
; %bb.406:
	v_lshlrev_b32_e32 v21, 2, v14
	v_lshl_or_b32 v21, v15, 8, v21
	ds_write_b32 v21, v20 offset:10368
; %bb.407:
	s_or_b64 exec, exec, s[14:15]
	s_waitcnt lgkmcnt(0)
	s_barrier
	s_barrier
	s_and_saveexec_b64 s[14:15], s[84:85]
	s_cbranch_execz .LBB3_409
; %bb.408:
	v_lshlrev_b32_e32 v20, 8, v0
	ds_read_b32 v21, v20 offset:10368
	s_movk_i32 s16, 0xff04
	v_mad_i32_i24 v22, v0, s16, v20
	s_waitcnt lgkmcnt(0)
	ds_write_b32 v22, v21 offset:8352
	ds_read_b32 v21, v20 offset:10372
	s_waitcnt lgkmcnt(0)
	ds_write_b32 v22, v21 offset:8608
	ds_read_b32 v21, v20 offset:10376
	;; [unrolled: 3-line block ×7, first 2 shown]
	s_waitcnt lgkmcnt(0)
	ds_write_b32 v22, v20 offset:10144
.LBB3_409:
	s_or_b64 exec, exec, s[14:15]
	s_waitcnt lgkmcnt(0)
	s_barrier
	s_and_saveexec_b64 s[14:15], vcc
	s_cbranch_execz .LBB3_411
; %bb.410:
	v_mov_b32_e32 v22, 0
	ds_read_b32 v21, v22 offset:10136
	v_mov_b32_e32 v20, 1.0
	ds_write_b32 v22, v20 offset:10140
	s_waitcnt lgkmcnt(1)
	ds_write_b64 v22, v[20:21] offset:9880
.LBB3_411:
	s_or_b64 exec, exec, s[14:15]
	v_mov_b32_e32 v20, 0
	s_waitcnt lgkmcnt(0)
	s_barrier
	buffer_wbinvl1_vol
	s_and_saveexec_b64 s[16:17], s[2:3]
	s_cbranch_execz .LBB3_415
; %bb.412:
	v_lshlrev_b32_e32 v20, 8, v3
	v_lshlrev_b32_e32 v21, 2, v2
	ds_read_b32 v22, v21 offset:9872
	ds_read_b32 v20, v20 offset:9880
	v_mov_b32_e32 v21, 0
	v_cmp_gt_u32_e64 s[14:15], 2, v5
	s_waitcnt lgkmcnt(0)
	v_fma_f32 v20, v22, v20, 0
	s_and_saveexec_b64 s[20:21], s[14:15]
	s_cbranch_execz .LBB3_414
; %bb.413:
	v_lshlrev_b32_e32 v22, 2, v0
	ds_read_b32 v22, v22 offset:10128
	ds_read_b32 v21, v21 offset:10140
	s_waitcnt lgkmcnt(0)
	v_fmac_f32_e32 v20, v22, v21
.LBB3_414:
	s_or_b64 exec, exec, s[20:21]
.LBB3_415:
	s_or_b64 exec, exec, s[16:17]
	s_and_saveexec_b64 s[14:15], s[28:29]
; %bb.416:
	v_xor_b32_e32 v21, 0x80000000, v20
	ds_write_b32 v4, v21
; %bb.417:
	s_or_b64 exec, exec, s[14:15]
	s_waitcnt lgkmcnt(0)
	s_barrier
	s_and_saveexec_b64 s[14:15], s[26:27]
	s_cbranch_execz .LBB3_419
; %bb.418:
	v_mov_b32_e32 v21, 0
	ds_read_b32 v21, v21 offset:9616
	ds_read_b32 v22, v4
	s_waitcnt lgkmcnt(0)
	v_fma_f32 v20, -v21, v22, v20
.LBB3_419:
	s_or_b64 exec, exec, s[14:15]
	s_barrier
	s_and_saveexec_b64 s[14:15], s[26:27]
; %bb.420:
	v_xor_b32_e32 v21, 0x80000000, v20
	ds_write_b32 v4, v21
; %bb.421:
	s_or_b64 exec, exec, s[14:15]
	s_waitcnt lgkmcnt(0)
	s_barrier
	s_barrier
	s_and_saveexec_b64 s[14:15], s[2:3]
; %bb.422:
	v_lshlrev_b32_e32 v21, 2, v2
	v_lshl_or_b32 v21, v3, 8, v21
	ds_write_b32 v21, v20 offset:9872
; %bb.423:
	s_or_b64 exec, exec, s[14:15]
	s_waitcnt lgkmcnt(0)
	s_barrier
	s_barrier
	s_and_saveexec_b64 s[14:15], s[30:31]
	s_cbranch_execz .LBB3_425
; %bb.424:
	v_lshlrev_b32_e32 v20, 2, v0
	s_movk_i32 s16, 0xfc
	v_mad_u32_u24 v21, v0, s16, v20
	ds_read_b32 v22, v21 offset:9872
	s_waitcnt lgkmcnt(0)
	ds_write_b32 v20, v22 offset:9368
	ds_read_b32 v21, v21 offset:9876
	s_waitcnt lgkmcnt(0)
	ds_write_b32 v20, v21 offset:9624
.LBB3_425:
	s_or_b64 exec, exec, s[14:15]
	s_waitcnt lgkmcnt(0)
	s_barrier
	s_and_saveexec_b64 s[14:15], vcc
	s_cbranch_execz .LBB3_427
; %bb.426:
	v_mov_b32_e32 v22, 0
	ds_read_b32 v21, v22 offset:9616
	v_mov_b32_e32 v20, 1.0
	ds_write_b32 v22, v20 offset:9620
	s_waitcnt lgkmcnt(1)
	ds_write_b64 v22, v[20:21] offset:9360
.LBB3_427:
	s_or_b64 exec, exec, s[14:15]
	v_mov_b32_e32 v20, 0
	s_waitcnt lgkmcnt(0)
	s_barrier
	buffer_wbinvl1_vol
	s_and_saveexec_b64 s[16:17], s[18:19]
	s_cbranch_execz .LBB3_433
; %bb.428:
	v_lshlrev_b32_e32 v22, 2, v11
	v_lshlrev_b32_e32 v21, 8, v12
	ds_read_b32 v20, v22 offset:9344
	ds_read_b32 v23, v21 offset:9360
	v_cmp_gt_u32_e64 s[14:15], 12, v5
	s_waitcnt lgkmcnt(0)
	v_fma_f32 v20, v20, v23, 0
	s_and_saveexec_b64 s[20:21], s[14:15]
	s_cbranch_execnz .LBB3_1194
; %bb.429:
	s_or_b64 exec, exec, s[20:21]
	v_cmp_gt_u32_e64 s[14:15], 8, v5
	s_and_saveexec_b64 s[20:21], s[14:15]
	s_cbranch_execnz .LBB3_1195
.LBB3_430:
	s_or_b64 exec, exec, s[20:21]
	v_cmp_gt_u32_e64 s[14:15], 4, v5
	s_and_saveexec_b64 s[20:21], s[14:15]
	s_cbranch_execz .LBB3_432
.LBB3_431:
	v_lshlrev_b32_e32 v21, 2, v0
	v_mov_b32_e32 v22, 0
	ds_read_b32 v21, v21 offset:10112
	ds_read_b32 v22, v22 offset:10140
	s_waitcnt lgkmcnt(0)
	v_fmac_f32_e32 v20, v21, v22
.LBB3_432:
	s_or_b64 exec, exec, s[20:21]
.LBB3_433:
	s_or_b64 exec, exec, s[16:17]
	s_and_saveexec_b64 s[14:15], s[36:37]
; %bb.434:
	v_xor_b32_e32 v21, 0x80000000, v20
	ds_write_b32 v13, v21
; %bb.435:
	s_or_b64 exec, exec, s[14:15]
	s_waitcnt lgkmcnt(0)
	s_barrier
	s_and_saveexec_b64 s[14:15], s[38:39]
	s_cbranch_execz .LBB3_437
; %bb.436:
	v_lshlrev_b32_e32 v21, 2, v11
	ds_read_b32 v21, v21 offset:9088
	ds_read_b32 v22, v13
	s_waitcnt lgkmcnt(0)
	v_fma_f32 v20, -v21, v22, v20
.LBB3_437:
	s_or_b64 exec, exec, s[14:15]
	s_barrier
	s_and_saveexec_b64 s[14:15], s[42:43]
; %bb.438:
	v_xor_b32_e32 v21, 0x80000000, v20
	ds_write_b32 v13, v21
; %bb.439:
	s_or_b64 exec, exec, s[14:15]
	s_waitcnt lgkmcnt(0)
	s_barrier
	s_and_saveexec_b64 s[14:15], s[44:45]
	s_cbranch_execz .LBB3_441
; %bb.440:
	v_lshlrev_b32_e32 v21, 2, v11
	ds_read_b32 v21, v21 offset:8832
	ds_read_b32 v22, v13
	s_waitcnt lgkmcnt(0)
	v_fma_f32 v20, -v21, v22, v20
.LBB3_441:
	s_or_b64 exec, exec, s[14:15]
	s_barrier
	s_and_saveexec_b64 s[14:15], s[52:53]
; %bb.442:
	v_xor_b32_e32 v21, 0x80000000, v20
	ds_write_b32 v13, v21
; %bb.443:
	s_or_b64 exec, exec, s[14:15]
	s_waitcnt lgkmcnt(0)
	s_barrier
	s_and_saveexec_b64 s[14:15], s[34:35]
	s_cbranch_execz .LBB3_445
; %bb.444:
	v_mov_b32_e32 v21, 0
	ds_read_b32 v21, v21 offset:8576
	ds_read_b32 v22, v13
	s_waitcnt lgkmcnt(0)
	v_fma_f32 v20, -v21, v22, v20
.LBB3_445:
	s_or_b64 exec, exec, s[14:15]
	s_barrier
	s_and_saveexec_b64 s[14:15], s[34:35]
; %bb.446:
	v_xor_b32_e32 v21, 0x80000000, v20
	ds_write_b32 v13, v21
; %bb.447:
	s_or_b64 exec, exec, s[14:15]
	s_waitcnt lgkmcnt(0)
	s_barrier
	s_barrier
	s_and_saveexec_b64 s[14:15], s[18:19]
; %bb.448:
	v_lshlrev_b32_e32 v21, 2, v11
	v_lshl_or_b32 v21, v12, 8, v21
	ds_write_b32 v21, v20 offset:9344
; %bb.449:
	s_or_b64 exec, exec, s[14:15]
	s_waitcnt lgkmcnt(0)
	s_barrier
	s_barrier
	s_and_saveexec_b64 s[14:15], s[54:55]
	s_cbranch_execz .LBB3_451
; %bb.450:
	v_lshlrev_b32_e32 v20, 8, v0
	ds_read_b32 v21, v20 offset:9344
	s_movk_i32 s16, 0xff04
	v_mad_i32_i24 v22, v0, s16, v20
	s_waitcnt lgkmcnt(0)
	ds_write_b32 v22, v21 offset:8336
	ds_read_b32 v21, v20 offset:9348
	s_waitcnt lgkmcnt(0)
	ds_write_b32 v22, v21 offset:8592
	ds_read_b32 v21, v20 offset:9352
	;; [unrolled: 3-line block ×3, first 2 shown]
	s_waitcnt lgkmcnt(0)
	ds_write_b32 v22, v20 offset:9104
.LBB3_451:
	s_or_b64 exec, exec, s[14:15]
	s_waitcnt lgkmcnt(0)
	s_barrier
	s_and_saveexec_b64 s[14:15], vcc
	s_cbranch_execz .LBB3_453
; %bb.452:
	v_mov_b32_e32 v22, 0
	ds_read_b32 v21, v22 offset:9096
	v_mov_b32_e32 v20, 1.0
	ds_write_b32 v22, v20 offset:9100
	s_waitcnt lgkmcnt(1)
	ds_write_b64 v22, v[20:21] offset:8840
.LBB3_453:
	s_or_b64 exec, exec, s[14:15]
	v_mov_b32_e32 v20, 0
	s_waitcnt lgkmcnt(0)
	s_barrier
	buffer_wbinvl1_vol
	s_and_saveexec_b64 s[16:17], s[2:3]
	s_cbranch_execz .LBB3_457
; %bb.454:
	v_lshlrev_b32_e32 v20, 8, v3
	v_lshlrev_b32_e32 v21, 2, v2
	ds_read_b32 v22, v21 offset:8832
	ds_read_b32 v20, v20 offset:8840
	v_mov_b32_e32 v21, 0
	v_cmp_gt_u32_e64 s[14:15], 2, v5
	s_waitcnt lgkmcnt(0)
	v_fma_f32 v20, v22, v20, 0
	s_and_saveexec_b64 s[20:21], s[14:15]
	s_cbranch_execz .LBB3_456
; %bb.455:
	v_lshlrev_b32_e32 v22, 2, v0
	ds_read_b32 v22, v22 offset:9088
	ds_read_b32 v21, v21 offset:9100
	s_waitcnt lgkmcnt(0)
	v_fmac_f32_e32 v20, v22, v21
.LBB3_456:
	s_or_b64 exec, exec, s[20:21]
.LBB3_457:
	s_or_b64 exec, exec, s[16:17]
	s_and_saveexec_b64 s[14:15], s[28:29]
; %bb.458:
	v_xor_b32_e32 v21, 0x80000000, v20
	ds_write_b32 v4, v21
; %bb.459:
	s_or_b64 exec, exec, s[14:15]
	s_waitcnt lgkmcnt(0)
	s_barrier
	s_and_saveexec_b64 s[14:15], s[26:27]
	s_cbranch_execz .LBB3_461
; %bb.460:
	v_mov_b32_e32 v21, 0
	ds_read_b32 v21, v21 offset:8576
	ds_read_b32 v22, v4
	s_waitcnt lgkmcnt(0)
	v_fma_f32 v20, -v21, v22, v20
.LBB3_461:
	s_or_b64 exec, exec, s[14:15]
	s_barrier
	s_and_saveexec_b64 s[14:15], s[26:27]
; %bb.462:
	v_xor_b32_e32 v21, 0x80000000, v20
	ds_write_b32 v4, v21
; %bb.463:
	s_or_b64 exec, exec, s[14:15]
	s_waitcnt lgkmcnt(0)
	s_barrier
	s_barrier
	s_and_saveexec_b64 s[14:15], s[2:3]
; %bb.464:
	v_lshlrev_b32_e32 v21, 2, v2
	v_lshl_or_b32 v21, v3, 8, v21
	ds_write_b32 v21, v20 offset:8832
; %bb.465:
	s_or_b64 exec, exec, s[14:15]
	s_waitcnt lgkmcnt(0)
	s_barrier
	s_barrier
	s_and_saveexec_b64 s[14:15], s[30:31]
	s_cbranch_execz .LBB3_467
; %bb.466:
	v_lshlrev_b32_e32 v20, 2, v0
	s_movk_i32 s16, 0xfc
	v_mad_u32_u24 v21, v0, s16, v20
	ds_read_b32 v22, v21 offset:8832
	s_waitcnt lgkmcnt(0)
	ds_write_b32 v20, v22 offset:8328
	ds_read_b32 v21, v21 offset:8836
	s_waitcnt lgkmcnt(0)
	ds_write_b32 v20, v21 offset:8584
.LBB3_467:
	s_or_b64 exec, exec, s[14:15]
	s_waitcnt lgkmcnt(0)
	s_barrier
	s_and_saveexec_b64 s[14:15], vcc
	s_cbranch_execz .LBB3_469
; %bb.468:
	v_mov_b32_e32 v22, 0
	ds_read_b32 v21, v22 offset:8576
	v_mov_b32_e32 v20, 1.0
	ds_write_b32 v22, v20 offset:8580
	s_waitcnt lgkmcnt(1)
	ds_write_b64 v22, v[20:21] offset:8320
.LBB3_469:
	s_or_b64 exec, exec, s[14:15]
	s_movk_i32 s14, 0x3ff
	v_lshrrev_b32_e32 v23, 5, v5
	v_cmp_lt_u32_e64 s[16:17], s14, v5
	s_movk_i32 s14, 0x400
	v_and_b32_e32 v20, 31, v0
	v_sub_u32_e32 v21, 31, v23
	v_cmp_gt_u32_e64 s[14:15], s14, v5
	v_mov_b32_e32 v22, 0
	s_waitcnt lgkmcnt(0)
	s_barrier
	buffer_wbinvl1_vol
	s_and_saveexec_b64 s[90:91], s[14:15]
	s_cbranch_execz .LBB3_531
; %bb.470:
	v_lshlrev_b32_e32 v25, 2, v20
	v_lshlrev_b32_e32 v24, 8, v21
	ds_read_b32 v22, v25 offset:8192
	ds_read_b32 v26, v24 offset:8320
	s_movk_i32 s20, 0x3e0
	v_cmp_gt_u32_e64 s[20:21], s20, v5
	s_waitcnt lgkmcnt(0)
	v_fma_f32 v22, v22, v26, 0
	s_and_saveexec_b64 s[94:95], s[20:21]
	s_cbranch_execz .LBB3_472
; %bb.471:
	ds_read_b32 v26, v25 offset:8448
	ds_read_b32 v27, v24 offset:8324
	s_waitcnt lgkmcnt(0)
	v_fmac_f32_e32 v22, v26, v27
.LBB3_472:
	s_or_b64 exec, exec, s[94:95]
	s_movk_i32 s20, 0x3c0
	v_cmp_gt_u32_e64 s[20:21], s20, v5
	s_and_saveexec_b64 s[94:95], s[20:21]
	s_cbranch_execz .LBB3_474
; %bb.473:
	ds_read_b32 v26, v25 offset:8704
	ds_read_b32 v27, v24 offset:8328
	s_waitcnt lgkmcnt(0)
	v_fmac_f32_e32 v22, v26, v27
.LBB3_474:
	s_or_b64 exec, exec, s[94:95]
	s_movk_i32 s20, 0x3a0
	v_cmp_gt_u32_e64 s[20:21], s20, v5
	;; [unrolled: 11-line block ×22, first 2 shown]
	s_and_saveexec_b64 s[94:95], s[20:21]
	s_cbranch_execz .LBB3_516
; %bb.515:
	ds_read_b32 v26, v25 offset:14080
	ds_read_b32 v27, v24 offset:8412
	s_waitcnt lgkmcnt(0)
	v_fmac_f32_e32 v22, v26, v27
.LBB3_516:
	s_or_b64 exec, exec, s[94:95]
	s_and_saveexec_b64 s[20:21], s[10:11]
	s_cbranch_execz .LBB3_518
; %bb.517:
	ds_read_b32 v26, v25 offset:14336
	ds_read_b32 v27, v24 offset:8416
	s_waitcnt lgkmcnt(0)
	v_fmac_f32_e32 v22, v26, v27
.LBB3_518:
	s_or_b64 exec, exec, s[20:21]
	s_movk_i32 s20, 0xe0
	v_cmp_gt_u32_e64 s[20:21], s20, v5
	s_and_saveexec_b64 s[94:95], s[20:21]
	s_cbranch_execz .LBB3_520
; %bb.519:
	ds_read_b32 v26, v25 offset:14592
	ds_read_b32 v27, v24 offset:8420
	s_waitcnt lgkmcnt(0)
	v_fmac_f32_e32 v22, v26, v27
.LBB3_520:
	s_or_b64 exec, exec, s[94:95]
	s_movk_i32 s20, 0xc0
	v_cmp_gt_u32_e64 s[20:21], s20, v5
	s_and_saveexec_b64 s[94:95], s[20:21]
	s_cbranch_execz .LBB3_522
; %bb.521:
	ds_read_b32 v26, v25 offset:14848
	ds_read_b32 v27, v24 offset:8424
	s_waitcnt lgkmcnt(0)
	v_fmac_f32_e32 v22, v26, v27
.LBB3_522:
	s_or_b64 exec, exec, s[94:95]
	s_movk_i32 s20, 0xa0
	v_cmp_gt_u32_e64 s[20:21], s20, v5
	s_and_saveexec_b64 s[94:95], s[20:21]
	s_cbranch_execz .LBB3_524
; %bb.523:
	ds_read_b32 v26, v25 offset:15104
	ds_read_b32 v27, v24 offset:8428
	s_waitcnt lgkmcnt(0)
	v_fmac_f32_e32 v22, v26, v27
.LBB3_524:
	s_or_b64 exec, exec, s[94:95]
	s_movk_i32 s20, 0x80
	v_cmp_gt_u32_e64 s[20:21], s20, v5
	s_and_saveexec_b64 s[94:95], s[20:21]
	s_cbranch_execz .LBB3_526
; %bb.525:
	ds_read_b32 v26, v25 offset:15360
	ds_read_b32 v27, v24 offset:8432
	s_waitcnt lgkmcnt(0)
	v_fmac_f32_e32 v22, v26, v27
.LBB3_526:
	s_or_b64 exec, exec, s[94:95]
	s_movk_i32 s20, 0x60
	v_cmp_gt_u32_e64 s[20:21], s20, v5
	s_and_saveexec_b64 s[94:95], s[20:21]
	s_cbranch_execnz .LBB3_1196
; %bb.527:
	s_or_b64 exec, exec, s[94:95]
	s_and_saveexec_b64 s[20:21], s[8:9]
	s_cbranch_execnz .LBB3_1197
.LBB3_528:
	s_or_b64 exec, exec, s[20:21]
	v_cmp_gt_u32_e64 s[20:21], 32, v5
	s_and_saveexec_b64 s[94:95], s[20:21]
	s_cbranch_execz .LBB3_530
.LBB3_529:
	v_lshlrev_b32_e32 v24, 2, v0
	v_mov_b32_e32 v25, 0
	ds_read_b32 v24, v24 offset:16128
	ds_read_b32 v25, v25 offset:16380
	s_waitcnt lgkmcnt(0)
	v_fmac_f32_e32 v22, v24, v25
.LBB3_530:
	s_or_b64 exec, exec, s[94:95]
.LBB3_531:
	s_or_b64 exec, exec, s[90:91]
	v_mov_b32_e32 v24, 0x4000
	v_cmp_eq_u32_e64 s[20:21], 31, v20
	s_xor_b64 s[90:91], s[16:17], -1
	v_lshl_add_u32 v23, v23, 2, v24
	s_and_b64 s[20:21], s[20:21], s[90:91]
	s_and_saveexec_b64 s[16:17], s[20:21]
; %bb.532:
	v_xor_b32_e32 v24, 0x80000000, v22
	ds_write_b32 v23, v24
; %bb.533:
	s_or_b64 exec, exec, s[16:17]
	v_cmp_ne_u32_e64 s[16:17], 31, v20
	s_and_b64 s[20:21], s[16:17], s[90:91]
	s_waitcnt lgkmcnt(0)
	s_barrier
	s_and_saveexec_b64 s[16:17], s[20:21]
	s_cbranch_execz .LBB3_535
; %bb.534:
	v_lshlrev_b32_e32 v24, 2, v20
	ds_read_b32 v24, v24 offset:7936
	ds_read_b32 v25, v23
	s_waitcnt lgkmcnt(0)
	v_fma_f32 v22, -v24, v25, v22
.LBB3_535:
	s_or_b64 exec, exec, s[16:17]
	v_cmp_eq_u32_e64 s[16:17], 30, v20
	s_and_b64 s[20:21], s[16:17], s[90:91]
	s_barrier
	s_and_saveexec_b64 s[16:17], s[20:21]
; %bb.536:
	v_xor_b32_e32 v24, 0x80000000, v22
	ds_write_b32 v23, v24
; %bb.537:
	s_or_b64 exec, exec, s[16:17]
	v_cmp_gt_u32_e64 s[16:17], 30, v20
	s_and_b64 s[20:21], s[16:17], s[90:91]
	s_waitcnt lgkmcnt(0)
	s_barrier
	s_and_saveexec_b64 s[16:17], s[20:21]
	s_cbranch_execz .LBB3_539
; %bb.538:
	v_lshlrev_b32_e32 v24, 2, v20
	ds_read_b32 v24, v24 offset:7680
	ds_read_b32 v25, v23
	s_waitcnt lgkmcnt(0)
	v_fma_f32 v22, -v24, v25, v22
.LBB3_539:
	s_or_b64 exec, exec, s[16:17]
	v_cmp_eq_u32_e64 s[16:17], 29, v20
	s_and_b64 s[20:21], s[16:17], s[90:91]
	s_barrier
	s_and_saveexec_b64 s[16:17], s[20:21]
; %bb.540:
	v_xor_b32_e32 v24, 0x80000000, v22
	ds_write_b32 v23, v24
; %bb.541:
	s_or_b64 exec, exec, s[16:17]
	v_cmp_gt_u32_e64 s[16:17], 29, v20
	;; [unrolled: 23-line block ×29, first 2 shown]
	s_and_b64 s[20:21], s[16:17], s[90:91]
	s_waitcnt lgkmcnt(0)
	s_barrier
	s_and_saveexec_b64 s[16:17], s[20:21]
	s_cbranch_execz .LBB3_651
; %bb.650:
	v_lshlrev_b32_e32 v24, 2, v20
	ds_read_b32 v24, v24 offset:512
	ds_read_b32 v25, v23
	s_waitcnt lgkmcnt(0)
	v_fma_f32 v22, -v24, v25, v22
.LBB3_651:
	s_or_b64 exec, exec, s[16:17]
	v_cmp_eq_u32_e64 s[16:17], 1, v20
	s_and_b64 s[20:21], s[16:17], s[90:91]
	s_barrier
	s_and_saveexec_b64 s[16:17], s[20:21]
; %bb.652:
	v_xor_b32_e32 v24, 0x80000000, v22
	ds_write_b32 v23, v24
; %bb.653:
	s_or_b64 exec, exec, s[16:17]
	v_cmp_eq_u32_e64 s[16:17], 0, v20
	s_and_b64 s[16:17], s[16:17], s[90:91]
	s_waitcnt lgkmcnt(0)
	s_barrier
	s_and_saveexec_b64 s[20:21], s[16:17]
	s_cbranch_execz .LBB3_655
; %bb.654:
	v_mov_b32_e32 v24, 0
	ds_read_b32 v24, v24 offset:256
	ds_read_b32 v25, v23
	s_waitcnt lgkmcnt(0)
	v_fma_f32 v22, -v24, v25, v22
.LBB3_655:
	s_or_b64 exec, exec, s[20:21]
	s_barrier
	s_and_saveexec_b64 s[20:21], s[16:17]
; %bb.656:
	v_xor_b32_e32 v24, 0x80000000, v22
	ds_write_b32 v23, v24
; %bb.657:
	s_or_b64 exec, exec, s[20:21]
	s_waitcnt lgkmcnt(0)
	s_barrier
	s_barrier
	s_and_saveexec_b64 s[16:17], s[14:15]
; %bb.658:
	v_lshlrev_b32_e32 v20, 2, v20
	v_lshl_or_b32 v20, v21, 8, v20
	ds_write_b32 v20, v22 offset:8192
; %bb.659:
	s_or_b64 exec, exec, s[16:17]
	v_cmp_gt_u32_e64 s[14:15], 32, v0
	s_and_b64 s[14:15], s[12:13], s[14:15]
	s_waitcnt lgkmcnt(0)
	s_barrier
	s_barrier
	s_and_saveexec_b64 s[12:13], s[14:15]
	s_cbranch_execz .LBB3_661
; %bb.660:
	v_lshlrev_b32_e32 v20, 8, v0
	ds_read_b32 v21, v20 offset:8192
	s_movk_i32 s14, 0xff04
	v_mad_i32_i24 v22, v0, s14, v20
	s_waitcnt lgkmcnt(0)
	ds_write_b32 v22, v21 offset:128
	ds_read_b32 v21, v20 offset:8196
	s_waitcnt lgkmcnt(0)
	ds_write_b32 v22, v21 offset:384
	ds_read_b32 v21, v20 offset:8200
	;; [unrolled: 3-line block ×31, first 2 shown]
	s_waitcnt lgkmcnt(0)
	ds_write_b32 v22, v20 offset:8064
.LBB3_661:
	s_or_b64 exec, exec, s[12:13]
	s_waitcnt lgkmcnt(0)
	s_barrier
	s_and_saveexec_b64 s[12:13], vcc
	s_cbranch_execz .LBB3_663
; %bb.662:
	v_mov_b32_e32 v22, 0
	ds_read_b32 v21, v22 offset:8056
	v_mov_b32_e32 v20, 1.0
	ds_write_b32 v22, v20 offset:8060
	s_waitcnt lgkmcnt(1)
	ds_write_b64 v22, v[20:21] offset:7800
.LBB3_663:
	s_or_b64 exec, exec, s[12:13]
	v_mov_b32_e32 v20, 0
	s_waitcnt lgkmcnt(0)
	s_barrier
	buffer_wbinvl1_vol
	s_and_saveexec_b64 s[14:15], s[2:3]
	s_cbranch_execz .LBB3_667
; %bb.664:
	v_lshlrev_b32_e32 v20, 8, v3
	v_lshlrev_b32_e32 v21, 2, v2
	ds_read_b32 v22, v21 offset:7792
	ds_read_b32 v20, v20 offset:7800
	v_mov_b32_e32 v21, 0
	v_cmp_gt_u32_e64 s[12:13], 2, v5
	s_waitcnt lgkmcnt(0)
	v_fma_f32 v20, v22, v20, 0
	s_and_saveexec_b64 s[16:17], s[12:13]
	s_cbranch_execz .LBB3_666
; %bb.665:
	v_lshlrev_b32_e32 v22, 2, v0
	ds_read_b32 v22, v22 offset:8048
	ds_read_b32 v21, v21 offset:8060
	s_waitcnt lgkmcnt(0)
	v_fmac_f32_e32 v20, v22, v21
.LBB3_666:
	s_or_b64 exec, exec, s[16:17]
.LBB3_667:
	s_or_b64 exec, exec, s[14:15]
	s_and_saveexec_b64 s[12:13], s[28:29]
; %bb.668:
	v_xor_b32_e32 v21, 0x80000000, v20
	ds_write_b32 v4, v21
; %bb.669:
	s_or_b64 exec, exec, s[12:13]
	s_waitcnt lgkmcnt(0)
	s_barrier
	s_and_saveexec_b64 s[12:13], s[26:27]
	s_cbranch_execz .LBB3_671
; %bb.670:
	v_mov_b32_e32 v21, 0
	ds_read_b32 v21, v21 offset:7536
	ds_read_b32 v22, v4
	s_waitcnt lgkmcnt(0)
	v_fma_f32 v20, -v21, v22, v20
.LBB3_671:
	s_or_b64 exec, exec, s[12:13]
	s_barrier
	s_and_saveexec_b64 s[12:13], s[26:27]
; %bb.672:
	v_xor_b32_e32 v21, 0x80000000, v20
	ds_write_b32 v4, v21
; %bb.673:
	s_or_b64 exec, exec, s[12:13]
	s_waitcnt lgkmcnt(0)
	s_barrier
	s_barrier
	s_and_saveexec_b64 s[12:13], s[2:3]
; %bb.674:
	v_lshlrev_b32_e32 v21, 2, v2
	v_lshl_or_b32 v21, v3, 8, v21
	ds_write_b32 v21, v20 offset:7792
; %bb.675:
	s_or_b64 exec, exec, s[12:13]
	s_waitcnt lgkmcnt(0)
	s_barrier
	s_barrier
	s_and_saveexec_b64 s[12:13], s[30:31]
	s_cbranch_execz .LBB3_677
; %bb.676:
	v_lshlrev_b32_e32 v20, 2, v0
	s_movk_i32 s14, 0xfc
	v_mad_u32_u24 v21, v0, s14, v20
	ds_read_b32 v22, v21 offset:7792
	s_waitcnt lgkmcnt(0)
	ds_write_b32 v20, v22 offset:7288
	ds_read_b32 v21, v21 offset:7796
	s_waitcnt lgkmcnt(0)
	ds_write_b32 v20, v21 offset:7544
.LBB3_677:
	s_or_b64 exec, exec, s[12:13]
	s_waitcnt lgkmcnt(0)
	s_barrier
	s_and_saveexec_b64 s[12:13], vcc
	s_cbranch_execz .LBB3_679
; %bb.678:
	v_mov_b32_e32 v22, 0
	ds_read_b32 v21, v22 offset:7536
	v_mov_b32_e32 v20, 1.0
	ds_write_b32 v22, v20 offset:7540
	s_waitcnt lgkmcnt(1)
	ds_write_b64 v22, v[20:21] offset:7280
.LBB3_679:
	s_or_b64 exec, exec, s[12:13]
	v_mov_b32_e32 v20, 0
	s_waitcnt lgkmcnt(0)
	s_barrier
	buffer_wbinvl1_vol
	s_and_saveexec_b64 s[14:15], s[18:19]
	s_cbranch_execz .LBB3_685
; %bb.680:
	v_lshlrev_b32_e32 v22, 2, v11
	v_lshlrev_b32_e32 v21, 8, v12
	ds_read_b32 v20, v22 offset:7264
	ds_read_b32 v23, v21 offset:7280
	v_cmp_gt_u32_e64 s[12:13], 12, v5
	s_waitcnt lgkmcnt(0)
	v_fma_f32 v20, v20, v23, 0
	s_and_saveexec_b64 s[16:17], s[12:13]
	s_cbranch_execnz .LBB3_1198
; %bb.681:
	s_or_b64 exec, exec, s[16:17]
	v_cmp_gt_u32_e64 s[12:13], 8, v5
	s_and_saveexec_b64 s[16:17], s[12:13]
	s_cbranch_execnz .LBB3_1199
.LBB3_682:
	s_or_b64 exec, exec, s[16:17]
	v_cmp_gt_u32_e64 s[12:13], 4, v5
	s_and_saveexec_b64 s[16:17], s[12:13]
	s_cbranch_execz .LBB3_684
.LBB3_683:
	v_lshlrev_b32_e32 v21, 2, v0
	v_mov_b32_e32 v22, 0
	ds_read_b32 v21, v21 offset:8032
	ds_read_b32 v22, v22 offset:8060
	s_waitcnt lgkmcnt(0)
	v_fmac_f32_e32 v20, v21, v22
.LBB3_684:
	s_or_b64 exec, exec, s[16:17]
.LBB3_685:
	s_or_b64 exec, exec, s[14:15]
	s_and_saveexec_b64 s[12:13], s[36:37]
; %bb.686:
	v_xor_b32_e32 v21, 0x80000000, v20
	ds_write_b32 v13, v21
; %bb.687:
	s_or_b64 exec, exec, s[12:13]
	s_waitcnt lgkmcnt(0)
	s_barrier
	s_and_saveexec_b64 s[12:13], s[38:39]
	s_cbranch_execz .LBB3_689
; %bb.688:
	v_lshlrev_b32_e32 v21, 2, v11
	ds_read_b32 v21, v21 offset:7008
	ds_read_b32 v22, v13
	s_waitcnt lgkmcnt(0)
	v_fma_f32 v20, -v21, v22, v20
.LBB3_689:
	s_or_b64 exec, exec, s[12:13]
	s_barrier
	s_and_saveexec_b64 s[12:13], s[42:43]
; %bb.690:
	v_xor_b32_e32 v21, 0x80000000, v20
	ds_write_b32 v13, v21
; %bb.691:
	s_or_b64 exec, exec, s[12:13]
	s_waitcnt lgkmcnt(0)
	s_barrier
	s_and_saveexec_b64 s[12:13], s[44:45]
	s_cbranch_execz .LBB3_693
; %bb.692:
	v_lshlrev_b32_e32 v21, 2, v11
	ds_read_b32 v21, v21 offset:6752
	ds_read_b32 v22, v13
	s_waitcnt lgkmcnt(0)
	v_fma_f32 v20, -v21, v22, v20
.LBB3_693:
	s_or_b64 exec, exec, s[12:13]
	s_barrier
	s_and_saveexec_b64 s[12:13], s[52:53]
; %bb.694:
	v_xor_b32_e32 v21, 0x80000000, v20
	ds_write_b32 v13, v21
; %bb.695:
	s_or_b64 exec, exec, s[12:13]
	s_waitcnt lgkmcnt(0)
	s_barrier
	s_and_saveexec_b64 s[12:13], s[34:35]
	s_cbranch_execz .LBB3_697
; %bb.696:
	v_mov_b32_e32 v21, 0
	ds_read_b32 v21, v21 offset:6496
	ds_read_b32 v22, v13
	s_waitcnt lgkmcnt(0)
	v_fma_f32 v20, -v21, v22, v20
.LBB3_697:
	s_or_b64 exec, exec, s[12:13]
	s_barrier
	s_and_saveexec_b64 s[12:13], s[34:35]
; %bb.698:
	v_xor_b32_e32 v21, 0x80000000, v20
	ds_write_b32 v13, v21
; %bb.699:
	s_or_b64 exec, exec, s[12:13]
	s_waitcnt lgkmcnt(0)
	s_barrier
	s_barrier
	s_and_saveexec_b64 s[12:13], s[18:19]
; %bb.700:
	v_lshlrev_b32_e32 v21, 2, v11
	v_lshl_or_b32 v21, v12, 8, v21
	ds_write_b32 v21, v20 offset:7264
; %bb.701:
	s_or_b64 exec, exec, s[12:13]
	s_waitcnt lgkmcnt(0)
	s_barrier
	s_barrier
	s_and_saveexec_b64 s[12:13], s[54:55]
	s_cbranch_execz .LBB3_703
; %bb.702:
	v_lshlrev_b32_e32 v20, 8, v0
	ds_read_b32 v21, v20 offset:7264
	s_movk_i32 s14, 0xff04
	v_mad_i32_i24 v22, v0, s14, v20
	s_waitcnt lgkmcnt(0)
	ds_write_b32 v22, v21 offset:6256
	ds_read_b32 v21, v20 offset:7268
	s_waitcnt lgkmcnt(0)
	ds_write_b32 v22, v21 offset:6512
	ds_read_b32 v21, v20 offset:7272
	;; [unrolled: 3-line block ×3, first 2 shown]
	s_waitcnt lgkmcnt(0)
	ds_write_b32 v22, v20 offset:7024
.LBB3_703:
	s_or_b64 exec, exec, s[12:13]
	s_waitcnt lgkmcnt(0)
	s_barrier
	s_and_saveexec_b64 s[12:13], vcc
	s_cbranch_execz .LBB3_705
; %bb.704:
	v_mov_b32_e32 v22, 0
	ds_read_b32 v21, v22 offset:7016
	v_mov_b32_e32 v20, 1.0
	ds_write_b32 v22, v20 offset:7020
	s_waitcnt lgkmcnt(1)
	ds_write_b64 v22, v[20:21] offset:6760
.LBB3_705:
	s_or_b64 exec, exec, s[12:13]
	v_mov_b32_e32 v20, 0
	s_waitcnt lgkmcnt(0)
	s_barrier
	buffer_wbinvl1_vol
	s_and_saveexec_b64 s[14:15], s[2:3]
	s_cbranch_execz .LBB3_709
; %bb.706:
	v_lshlrev_b32_e32 v20, 8, v3
	v_lshlrev_b32_e32 v21, 2, v2
	ds_read_b32 v22, v21 offset:6752
	ds_read_b32 v20, v20 offset:6760
	v_mov_b32_e32 v21, 0
	v_cmp_gt_u32_e64 s[12:13], 2, v5
	s_waitcnt lgkmcnt(0)
	v_fma_f32 v20, v22, v20, 0
	s_and_saveexec_b64 s[16:17], s[12:13]
	s_cbranch_execz .LBB3_708
; %bb.707:
	v_lshlrev_b32_e32 v22, 2, v0
	ds_read_b32 v22, v22 offset:7008
	ds_read_b32 v21, v21 offset:7020
	s_waitcnt lgkmcnt(0)
	v_fmac_f32_e32 v20, v22, v21
.LBB3_708:
	s_or_b64 exec, exec, s[16:17]
.LBB3_709:
	s_or_b64 exec, exec, s[14:15]
	s_and_saveexec_b64 s[12:13], s[28:29]
; %bb.710:
	v_xor_b32_e32 v21, 0x80000000, v20
	ds_write_b32 v4, v21
; %bb.711:
	s_or_b64 exec, exec, s[12:13]
	s_waitcnt lgkmcnt(0)
	s_barrier
	s_and_saveexec_b64 s[12:13], s[26:27]
	s_cbranch_execz .LBB3_713
; %bb.712:
	v_mov_b32_e32 v21, 0
	ds_read_b32 v21, v21 offset:6496
	ds_read_b32 v22, v4
	s_waitcnt lgkmcnt(0)
	v_fma_f32 v20, -v21, v22, v20
.LBB3_713:
	s_or_b64 exec, exec, s[12:13]
	s_barrier
	s_and_saveexec_b64 s[12:13], s[26:27]
; %bb.714:
	v_xor_b32_e32 v21, 0x80000000, v20
	ds_write_b32 v4, v21
; %bb.715:
	s_or_b64 exec, exec, s[12:13]
	s_waitcnt lgkmcnt(0)
	s_barrier
	s_barrier
	s_and_saveexec_b64 s[12:13], s[2:3]
; %bb.716:
	v_lshlrev_b32_e32 v21, 2, v2
	v_lshl_or_b32 v21, v3, 8, v21
	ds_write_b32 v21, v20 offset:6752
; %bb.717:
	s_or_b64 exec, exec, s[12:13]
	s_waitcnt lgkmcnt(0)
	s_barrier
	s_barrier
	s_and_saveexec_b64 s[12:13], s[30:31]
	s_cbranch_execz .LBB3_719
; %bb.718:
	v_lshlrev_b32_e32 v20, 2, v0
	s_movk_i32 s14, 0xfc
	v_mad_u32_u24 v21, v0, s14, v20
	ds_read_b32 v22, v21 offset:6752
	s_waitcnt lgkmcnt(0)
	ds_write_b32 v20, v22 offset:6248
	ds_read_b32 v21, v21 offset:6756
	s_waitcnt lgkmcnt(0)
	ds_write_b32 v20, v21 offset:6504
.LBB3_719:
	s_or_b64 exec, exec, s[12:13]
	s_waitcnt lgkmcnt(0)
	s_barrier
	s_and_saveexec_b64 s[12:13], vcc
	s_cbranch_execz .LBB3_721
; %bb.720:
	v_mov_b32_e32 v22, 0
	ds_read_b32 v21, v22 offset:6496
	v_mov_b32_e32 v20, 1.0
	ds_write_b32 v22, v20 offset:6500
	s_waitcnt lgkmcnt(1)
	ds_write_b64 v22, v[20:21] offset:6240
.LBB3_721:
	s_or_b64 exec, exec, s[12:13]
	v_mov_b32_e32 v20, 0
	s_waitcnt lgkmcnt(0)
	s_barrier
	buffer_wbinvl1_vol
	s_and_saveexec_b64 s[14:15], s[8:9]
	s_cbranch_execz .LBB3_731
; %bb.722:
	v_lshlrev_b32_e32 v22, 2, v14
	v_lshlrev_b32_e32 v21, 8, v15
	ds_read_b32 v20, v22 offset:6208
	ds_read_b32 v23, v21 offset:6240
	v_cmp_gt_u32_e64 s[12:13], 56, v5
	s_waitcnt lgkmcnt(0)
	v_fma_f32 v20, v20, v23, 0
	s_and_saveexec_b64 s[16:17], s[12:13]
	s_cbranch_execnz .LBB3_1200
; %bb.723:
	s_or_b64 exec, exec, s[16:17]
	v_cmp_gt_u32_e64 s[12:13], 48, v5
	s_and_saveexec_b64 s[16:17], s[12:13]
	s_cbranch_execnz .LBB3_1201
.LBB3_724:
	s_or_b64 exec, exec, s[16:17]
	v_cmp_gt_u32_e64 s[12:13], 40, v5
	s_and_saveexec_b64 s[16:17], s[12:13]
	s_cbranch_execnz .LBB3_1202
.LBB3_725:
	s_or_b64 exec, exec, s[16:17]
	v_cmp_gt_u32_e64 s[12:13], 32, v5
	s_and_saveexec_b64 s[16:17], s[12:13]
	s_cbranch_execnz .LBB3_1203
.LBB3_726:
	s_or_b64 exec, exec, s[16:17]
	v_cmp_gt_u32_e64 s[12:13], 24, v5
	s_and_saveexec_b64 s[16:17], s[12:13]
	s_cbranch_execnz .LBB3_1204
.LBB3_727:
	s_or_b64 exec, exec, s[16:17]
	s_and_saveexec_b64 s[12:13], s[18:19]
	s_cbranch_execnz .LBB3_1205
.LBB3_728:
	s_or_b64 exec, exec, s[12:13]
	v_cmp_gt_u32_e64 s[12:13], 8, v5
	s_and_saveexec_b64 s[16:17], s[12:13]
	s_cbranch_execz .LBB3_730
.LBB3_729:
	v_lshlrev_b32_e32 v21, 2, v0
	v_mov_b32_e32 v22, 0
	ds_read_b32 v21, v21 offset:8000
	ds_read_b32 v22, v22 offset:8060
	s_waitcnt lgkmcnt(0)
	v_fmac_f32_e32 v20, v21, v22
.LBB3_730:
	s_or_b64 exec, exec, s[16:17]
.LBB3_731:
	s_or_b64 exec, exec, s[14:15]
	s_and_saveexec_b64 s[12:13], s[56:57]
; %bb.732:
	v_xor_b32_e32 v21, 0x80000000, v20
	ds_write_b32 v16, v21
; %bb.733:
	s_or_b64 exec, exec, s[12:13]
	s_waitcnt lgkmcnt(0)
	s_barrier
	s_and_saveexec_b64 s[12:13], s[58:59]
	s_cbranch_execz .LBB3_735
; %bb.734:
	v_lshlrev_b32_e32 v21, 2, v14
	ds_read_b32 v21, v21 offset:5952
	ds_read_b32 v22, v16
	s_waitcnt lgkmcnt(0)
	v_fma_f32 v20, -v21, v22, v20
.LBB3_735:
	s_or_b64 exec, exec, s[12:13]
	s_barrier
	s_and_saveexec_b64 s[12:13], s[60:61]
; %bb.736:
	v_xor_b32_e32 v21, 0x80000000, v20
	ds_write_b32 v16, v21
; %bb.737:
	s_or_b64 exec, exec, s[12:13]
	s_waitcnt lgkmcnt(0)
	s_barrier
	s_and_saveexec_b64 s[12:13], s[62:63]
	s_cbranch_execz .LBB3_739
; %bb.738:
	v_lshlrev_b32_e32 v21, 2, v14
	ds_read_b32 v21, v21 offset:5696
	ds_read_b32 v22, v16
	s_waitcnt lgkmcnt(0)
	v_fma_f32 v20, -v21, v22, v20
.LBB3_739:
	s_or_b64 exec, exec, s[12:13]
	s_barrier
	;; [unrolled: 19-line block ×6, first 2 shown]
	s_and_saveexec_b64 s[12:13], s[82:83]
; %bb.756:
	v_xor_b32_e32 v21, 0x80000000, v20
	ds_write_b32 v16, v21
; %bb.757:
	s_or_b64 exec, exec, s[12:13]
	s_waitcnt lgkmcnt(0)
	s_barrier
	s_and_saveexec_b64 s[12:13], s[66:67]
	s_cbranch_execz .LBB3_759
; %bb.758:
	v_mov_b32_e32 v21, 0
	ds_read_b32 v21, v21 offset:4416
	ds_read_b32 v22, v16
	s_waitcnt lgkmcnt(0)
	v_fma_f32 v20, -v21, v22, v20
.LBB3_759:
	s_or_b64 exec, exec, s[12:13]
	s_barrier
	s_and_saveexec_b64 s[12:13], s[66:67]
; %bb.760:
	v_xor_b32_e32 v21, 0x80000000, v20
	ds_write_b32 v16, v21
; %bb.761:
	s_or_b64 exec, exec, s[12:13]
	s_waitcnt lgkmcnt(0)
	s_barrier
	s_barrier
	s_and_saveexec_b64 s[12:13], s[8:9]
; %bb.762:
	v_lshlrev_b32_e32 v21, 2, v14
	v_lshl_or_b32 v21, v15, 8, v21
	ds_write_b32 v21, v20 offset:6208
; %bb.763:
	s_or_b64 exec, exec, s[12:13]
	s_waitcnt lgkmcnt(0)
	s_barrier
	s_barrier
	s_and_saveexec_b64 s[12:13], s[84:85]
	s_cbranch_execz .LBB3_765
; %bb.764:
	v_lshlrev_b32_e32 v20, 8, v0
	ds_read_b32 v21, v20 offset:6208
	s_movk_i32 s14, 0xff04
	v_mad_i32_i24 v22, v0, s14, v20
	s_waitcnt lgkmcnt(0)
	ds_write_b32 v22, v21 offset:4192
	ds_read_b32 v21, v20 offset:6212
	s_waitcnt lgkmcnt(0)
	ds_write_b32 v22, v21 offset:4448
	ds_read_b32 v21, v20 offset:6216
	s_waitcnt lgkmcnt(0)
	ds_write_b32 v22, v21 offset:4704
	ds_read_b32 v21, v20 offset:6220
	s_waitcnt lgkmcnt(0)
	ds_write_b32 v22, v21 offset:4960
	ds_read_b32 v21, v20 offset:6224
	s_waitcnt lgkmcnt(0)
	ds_write_b32 v22, v21 offset:5216
	ds_read_b32 v21, v20 offset:6228
	s_waitcnt lgkmcnt(0)
	ds_write_b32 v22, v21 offset:5472
	ds_read_b32 v21, v20 offset:6232
	s_waitcnt lgkmcnt(0)
	ds_write_b32 v22, v21 offset:5728
	ds_read_b32 v20, v20 offset:6236
	s_waitcnt lgkmcnt(0)
	ds_write_b32 v22, v20 offset:5984
.LBB3_765:
	s_or_b64 exec, exec, s[12:13]
	s_waitcnt lgkmcnt(0)
	s_barrier
	s_and_saveexec_b64 s[12:13], vcc
	s_cbranch_execz .LBB3_767
; %bb.766:
	v_mov_b32_e32 v22, 0
	ds_read_b32 v21, v22 offset:5976
	v_mov_b32_e32 v20, 1.0
	ds_write_b32 v22, v20 offset:5980
	s_waitcnt lgkmcnt(1)
	ds_write_b64 v22, v[20:21] offset:5720
.LBB3_767:
	s_or_b64 exec, exec, s[12:13]
	v_mov_b32_e32 v20, 0
	s_waitcnt lgkmcnt(0)
	s_barrier
	buffer_wbinvl1_vol
	s_and_saveexec_b64 s[14:15], s[2:3]
	s_cbranch_execz .LBB3_771
; %bb.768:
	v_lshlrev_b32_e32 v20, 8, v3
	v_lshlrev_b32_e32 v21, 2, v2
	ds_read_b32 v22, v21 offset:5712
	ds_read_b32 v20, v20 offset:5720
	v_mov_b32_e32 v21, 0
	v_cmp_gt_u32_e64 s[12:13], 2, v5
	s_waitcnt lgkmcnt(0)
	v_fma_f32 v20, v22, v20, 0
	s_and_saveexec_b64 s[16:17], s[12:13]
	s_cbranch_execz .LBB3_770
; %bb.769:
	v_lshlrev_b32_e32 v22, 2, v0
	ds_read_b32 v22, v22 offset:5968
	ds_read_b32 v21, v21 offset:5980
	s_waitcnt lgkmcnt(0)
	v_fmac_f32_e32 v20, v22, v21
.LBB3_770:
	s_or_b64 exec, exec, s[16:17]
.LBB3_771:
	s_or_b64 exec, exec, s[14:15]
	s_and_saveexec_b64 s[12:13], s[28:29]
; %bb.772:
	v_xor_b32_e32 v21, 0x80000000, v20
	ds_write_b32 v4, v21
; %bb.773:
	s_or_b64 exec, exec, s[12:13]
	s_waitcnt lgkmcnt(0)
	s_barrier
	s_and_saveexec_b64 s[12:13], s[26:27]
	s_cbranch_execz .LBB3_775
; %bb.774:
	v_mov_b32_e32 v21, 0
	ds_read_b32 v21, v21 offset:5456
	ds_read_b32 v22, v4
	s_waitcnt lgkmcnt(0)
	v_fma_f32 v20, -v21, v22, v20
.LBB3_775:
	s_or_b64 exec, exec, s[12:13]
	s_barrier
	s_and_saveexec_b64 s[12:13], s[26:27]
; %bb.776:
	v_xor_b32_e32 v21, 0x80000000, v20
	ds_write_b32 v4, v21
; %bb.777:
	s_or_b64 exec, exec, s[12:13]
	s_waitcnt lgkmcnt(0)
	s_barrier
	s_barrier
	s_and_saveexec_b64 s[12:13], s[2:3]
; %bb.778:
	v_lshlrev_b32_e32 v21, 2, v2
	v_lshl_or_b32 v21, v3, 8, v21
	ds_write_b32 v21, v20 offset:5712
; %bb.779:
	s_or_b64 exec, exec, s[12:13]
	s_waitcnt lgkmcnt(0)
	s_barrier
	s_barrier
	s_and_saveexec_b64 s[12:13], s[30:31]
	s_cbranch_execz .LBB3_781
; %bb.780:
	v_lshlrev_b32_e32 v20, 2, v0
	s_movk_i32 s14, 0xfc
	v_mad_u32_u24 v21, v0, s14, v20
	ds_read_b32 v22, v21 offset:5712
	s_waitcnt lgkmcnt(0)
	ds_write_b32 v20, v22 offset:5208
	ds_read_b32 v21, v21 offset:5716
	s_waitcnt lgkmcnt(0)
	ds_write_b32 v20, v21 offset:5464
.LBB3_781:
	s_or_b64 exec, exec, s[12:13]
	s_waitcnt lgkmcnt(0)
	s_barrier
	s_and_saveexec_b64 s[12:13], vcc
	s_cbranch_execz .LBB3_783
; %bb.782:
	v_mov_b32_e32 v22, 0
	ds_read_b32 v21, v22 offset:5456
	v_mov_b32_e32 v20, 1.0
	ds_write_b32 v22, v20 offset:5460
	s_waitcnt lgkmcnt(1)
	ds_write_b64 v22, v[20:21] offset:5200
.LBB3_783:
	s_or_b64 exec, exec, s[12:13]
	v_mov_b32_e32 v20, 0
	s_waitcnt lgkmcnt(0)
	s_barrier
	buffer_wbinvl1_vol
	s_and_saveexec_b64 s[14:15], s[18:19]
	s_cbranch_execz .LBB3_789
; %bb.784:
	v_lshlrev_b32_e32 v22, 2, v11
	v_lshlrev_b32_e32 v21, 8, v12
	ds_read_b32 v20, v22 offset:5184
	ds_read_b32 v23, v21 offset:5200
	v_cmp_gt_u32_e64 s[12:13], 12, v5
	s_waitcnt lgkmcnt(0)
	v_fma_f32 v20, v20, v23, 0
	s_and_saveexec_b64 s[16:17], s[12:13]
	s_cbranch_execnz .LBB3_1206
; %bb.785:
	s_or_b64 exec, exec, s[16:17]
	v_cmp_gt_u32_e64 s[12:13], 8, v5
	s_and_saveexec_b64 s[16:17], s[12:13]
	s_cbranch_execnz .LBB3_1207
.LBB3_786:
	s_or_b64 exec, exec, s[16:17]
	v_cmp_gt_u32_e64 s[12:13], 4, v5
	s_and_saveexec_b64 s[16:17], s[12:13]
	s_cbranch_execz .LBB3_788
.LBB3_787:
	v_lshlrev_b32_e32 v21, 2, v0
	v_mov_b32_e32 v22, 0
	ds_read_b32 v21, v21 offset:5952
	ds_read_b32 v22, v22 offset:5980
	s_waitcnt lgkmcnt(0)
	v_fmac_f32_e32 v20, v21, v22
.LBB3_788:
	s_or_b64 exec, exec, s[16:17]
.LBB3_789:
	s_or_b64 exec, exec, s[14:15]
	s_and_saveexec_b64 s[12:13], s[36:37]
; %bb.790:
	v_xor_b32_e32 v21, 0x80000000, v20
	ds_write_b32 v13, v21
; %bb.791:
	s_or_b64 exec, exec, s[12:13]
	s_waitcnt lgkmcnt(0)
	s_barrier
	s_and_saveexec_b64 s[12:13], s[38:39]
	s_cbranch_execz .LBB3_793
; %bb.792:
	v_lshlrev_b32_e32 v21, 2, v11
	ds_read_b32 v21, v21 offset:4928
	ds_read_b32 v22, v13
	s_waitcnt lgkmcnt(0)
	v_fma_f32 v20, -v21, v22, v20
.LBB3_793:
	s_or_b64 exec, exec, s[12:13]
	s_barrier
	s_and_saveexec_b64 s[12:13], s[42:43]
; %bb.794:
	v_xor_b32_e32 v21, 0x80000000, v20
	ds_write_b32 v13, v21
; %bb.795:
	s_or_b64 exec, exec, s[12:13]
	s_waitcnt lgkmcnt(0)
	s_barrier
	s_and_saveexec_b64 s[12:13], s[44:45]
	s_cbranch_execz .LBB3_797
; %bb.796:
	v_lshlrev_b32_e32 v21, 2, v11
	ds_read_b32 v21, v21 offset:4672
	ds_read_b32 v22, v13
	s_waitcnt lgkmcnt(0)
	v_fma_f32 v20, -v21, v22, v20
.LBB3_797:
	s_or_b64 exec, exec, s[12:13]
	s_barrier
	s_and_saveexec_b64 s[12:13], s[52:53]
; %bb.798:
	v_xor_b32_e32 v21, 0x80000000, v20
	ds_write_b32 v13, v21
; %bb.799:
	s_or_b64 exec, exec, s[12:13]
	s_waitcnt lgkmcnt(0)
	s_barrier
	s_and_saveexec_b64 s[12:13], s[34:35]
	s_cbranch_execz .LBB3_801
; %bb.800:
	v_mov_b32_e32 v21, 0
	ds_read_b32 v21, v21 offset:4416
	ds_read_b32 v22, v13
	s_waitcnt lgkmcnt(0)
	v_fma_f32 v20, -v21, v22, v20
.LBB3_801:
	s_or_b64 exec, exec, s[12:13]
	s_barrier
	s_and_saveexec_b64 s[12:13], s[34:35]
; %bb.802:
	v_xor_b32_e32 v21, 0x80000000, v20
	ds_write_b32 v13, v21
; %bb.803:
	s_or_b64 exec, exec, s[12:13]
	s_waitcnt lgkmcnt(0)
	s_barrier
	s_barrier
	s_and_saveexec_b64 s[12:13], s[18:19]
; %bb.804:
	v_lshlrev_b32_e32 v21, 2, v11
	v_lshl_or_b32 v21, v12, 8, v21
	ds_write_b32 v21, v20 offset:5184
; %bb.805:
	s_or_b64 exec, exec, s[12:13]
	s_waitcnt lgkmcnt(0)
	s_barrier
	s_barrier
	s_and_saveexec_b64 s[12:13], s[54:55]
	s_cbranch_execz .LBB3_807
; %bb.806:
	v_lshlrev_b32_e32 v20, 8, v0
	ds_read_b32 v21, v20 offset:5184
	s_movk_i32 s14, 0xff04
	v_mad_i32_i24 v22, v0, s14, v20
	s_waitcnt lgkmcnt(0)
	ds_write_b32 v22, v21 offset:4176
	ds_read_b32 v21, v20 offset:5188
	s_waitcnt lgkmcnt(0)
	ds_write_b32 v22, v21 offset:4432
	ds_read_b32 v21, v20 offset:5192
	;; [unrolled: 3-line block ×3, first 2 shown]
	s_waitcnt lgkmcnt(0)
	ds_write_b32 v22, v20 offset:4944
.LBB3_807:
	s_or_b64 exec, exec, s[12:13]
	s_waitcnt lgkmcnt(0)
	s_barrier
	s_and_saveexec_b64 s[12:13], vcc
	s_cbranch_execz .LBB3_809
; %bb.808:
	v_mov_b32_e32 v22, 0
	ds_read_b32 v21, v22 offset:4936
	v_mov_b32_e32 v20, 1.0
	ds_write_b32 v22, v20 offset:4940
	s_waitcnt lgkmcnt(1)
	ds_write_b64 v22, v[20:21] offset:4680
.LBB3_809:
	s_or_b64 exec, exec, s[12:13]
	v_mov_b32_e32 v20, 0
	s_waitcnt lgkmcnt(0)
	s_barrier
	buffer_wbinvl1_vol
	s_and_saveexec_b64 s[14:15], s[2:3]
	s_cbranch_execz .LBB3_813
; %bb.810:
	v_lshlrev_b32_e32 v20, 8, v3
	v_lshlrev_b32_e32 v21, 2, v2
	ds_read_b32 v22, v21 offset:4672
	ds_read_b32 v20, v20 offset:4680
	v_mov_b32_e32 v21, 0
	v_cmp_gt_u32_e64 s[12:13], 2, v5
	s_waitcnt lgkmcnt(0)
	v_fma_f32 v20, v22, v20, 0
	s_and_saveexec_b64 s[16:17], s[12:13]
	s_cbranch_execz .LBB3_812
; %bb.811:
	v_lshlrev_b32_e32 v22, 2, v0
	ds_read_b32 v22, v22 offset:4928
	ds_read_b32 v21, v21 offset:4940
	s_waitcnt lgkmcnt(0)
	v_fmac_f32_e32 v20, v22, v21
.LBB3_812:
	s_or_b64 exec, exec, s[16:17]
.LBB3_813:
	s_or_b64 exec, exec, s[14:15]
	s_and_saveexec_b64 s[12:13], s[28:29]
; %bb.814:
	v_xor_b32_e32 v21, 0x80000000, v20
	ds_write_b32 v4, v21
; %bb.815:
	s_or_b64 exec, exec, s[12:13]
	s_waitcnt lgkmcnt(0)
	s_barrier
	s_and_saveexec_b64 s[12:13], s[26:27]
	s_cbranch_execz .LBB3_817
; %bb.816:
	v_mov_b32_e32 v21, 0
	ds_read_b32 v21, v21 offset:4416
	ds_read_b32 v22, v4
	s_waitcnt lgkmcnt(0)
	v_fma_f32 v20, -v21, v22, v20
.LBB3_817:
	s_or_b64 exec, exec, s[12:13]
	s_barrier
	s_and_saveexec_b64 s[12:13], s[26:27]
; %bb.818:
	v_xor_b32_e32 v21, 0x80000000, v20
	ds_write_b32 v4, v21
; %bb.819:
	s_or_b64 exec, exec, s[12:13]
	s_waitcnt lgkmcnt(0)
	s_barrier
	s_barrier
	s_and_saveexec_b64 s[12:13], s[2:3]
; %bb.820:
	v_lshlrev_b32_e32 v21, 2, v2
	v_lshl_or_b32 v21, v3, 8, v21
	ds_write_b32 v21, v20 offset:4672
; %bb.821:
	s_or_b64 exec, exec, s[12:13]
	s_waitcnt lgkmcnt(0)
	s_barrier
	s_barrier
	s_and_saveexec_b64 s[12:13], s[30:31]
	s_cbranch_execz .LBB3_823
; %bb.822:
	v_lshlrev_b32_e32 v20, 2, v0
	s_movk_i32 s14, 0xfc
	v_mad_u32_u24 v21, v0, s14, v20
	ds_read_b32 v22, v21 offset:4672
	s_waitcnt lgkmcnt(0)
	ds_write_b32 v20, v22 offset:4168
	ds_read_b32 v21, v21 offset:4676
	s_waitcnt lgkmcnt(0)
	ds_write_b32 v20, v21 offset:4424
.LBB3_823:
	s_or_b64 exec, exec, s[12:13]
	s_waitcnt lgkmcnt(0)
	s_barrier
	s_and_saveexec_b64 s[12:13], vcc
	s_cbranch_execz .LBB3_825
; %bb.824:
	v_mov_b32_e32 v22, 0
	ds_read_b32 v21, v22 offset:4416
	v_mov_b32_e32 v20, 1.0
	ds_write_b32 v22, v20 offset:4420
	s_waitcnt lgkmcnt(1)
	ds_write_b64 v22, v[20:21] offset:4160
.LBB3_825:
	s_or_b64 exec, exec, s[12:13]
	v_mov_b32_e32 v20, 0
	s_waitcnt lgkmcnt(0)
	s_barrier
	buffer_wbinvl1_vol
	s_and_saveexec_b64 s[14:15], s[10:11]
	s_cbranch_execz .LBB3_853
; %bb.826:
	v_lshlrev_b32_e32 v22, 2, v17
	v_lshlrev_b32_e32 v21, 8, v18
	ds_read_b32 v20, v22 offset:4096
	ds_read_b32 v23, v21 offset:4160
	s_movk_i32 s12, 0xf0
	v_cmp_gt_u32_e64 s[12:13], s12, v5
	s_waitcnt lgkmcnt(0)
	v_fma_f32 v20, v20, v23, 0
	s_and_saveexec_b64 s[16:17], s[12:13]
	s_cbranch_execz .LBB3_828
; %bb.827:
	ds_read_b32 v23, v22 offset:4352
	ds_read_b32 v24, v21 offset:4164
	s_waitcnt lgkmcnt(0)
	v_fmac_f32_e32 v20, v23, v24
.LBB3_828:
	s_or_b64 exec, exec, s[16:17]
	s_movk_i32 s12, 0xe0
	v_cmp_gt_u32_e64 s[12:13], s12, v5
	s_and_saveexec_b64 s[16:17], s[12:13]
	s_cbranch_execz .LBB3_830
; %bb.829:
	ds_read_b32 v23, v22 offset:4608
	ds_read_b32 v24, v21 offset:4168
	s_waitcnt lgkmcnt(0)
	v_fmac_f32_e32 v20, v23, v24
.LBB3_830:
	s_or_b64 exec, exec, s[16:17]
	s_movk_i32 s12, 0xd0
	v_cmp_gt_u32_e64 s[12:13], s12, v5
	;; [unrolled: 11-line block ×10, first 2 shown]
	s_and_saveexec_b64 s[16:17], s[12:13]
	s_cbranch_execnz .LBB3_1208
; %bb.847:
	s_or_b64 exec, exec, s[16:17]
	s_and_saveexec_b64 s[12:13], s[8:9]
	s_cbranch_execnz .LBB3_1209
.LBB3_848:
	s_or_b64 exec, exec, s[12:13]
	v_cmp_gt_u32_e64 s[12:13], 48, v5
	s_and_saveexec_b64 s[16:17], s[12:13]
	s_cbranch_execnz .LBB3_1210
.LBB3_849:
	s_or_b64 exec, exec, s[16:17]
	v_cmp_gt_u32_e64 s[12:13], 32, v5
	s_and_saveexec_b64 s[16:17], s[12:13]
	s_cbranch_execnz .LBB3_1211
.LBB3_850:
	s_or_b64 exec, exec, s[16:17]
	v_cmp_gt_u32_e64 s[12:13], 16, v5
	s_and_saveexec_b64 s[16:17], s[12:13]
	s_cbranch_execz .LBB3_852
.LBB3_851:
	v_lshlrev_b32_e32 v21, 2, v0
	v_mov_b32_e32 v22, 0
	ds_read_b32 v21, v21 offset:7936
	ds_read_b32 v22, v22 offset:8060
	s_waitcnt lgkmcnt(0)
	v_fmac_f32_e32 v20, v21, v22
.LBB3_852:
	s_or_b64 exec, exec, s[16:17]
.LBB3_853:
	s_or_b64 exec, exec, s[14:15]
	s_mov_b64 s[12:13], exec
	v_readlane_b32 s14, v28, 3
	v_readlane_b32 s15, v28, 4
	s_and_b64 s[14:15], s[12:13], s[14:15]
	s_mov_b64 exec, s[14:15]
; %bb.854:
	v_xor_b32_e32 v21, 0x80000000, v20
	ds_write_b32 v19, v21
; %bb.855:
	s_or_b64 exec, exec, s[12:13]
	s_waitcnt lgkmcnt(0)
	s_barrier
	s_mov_b64 s[12:13], exec
	v_readlane_b32 s14, v28, 5
	v_readlane_b32 s15, v28, 6
	s_and_b64 s[14:15], s[12:13], s[14:15]
	s_mov_b64 exec, s[14:15]
	s_cbranch_execz .LBB3_857
; %bb.856:
	v_lshlrev_b32_e32 v21, 2, v17
	ds_read_b32 v21, v21 offset:3840
	ds_read_b32 v22, v19
	s_waitcnt lgkmcnt(0)
	v_fma_f32 v20, -v21, v22, v20
.LBB3_857:
	s_or_b64 exec, exec, s[12:13]
	s_barrier
	s_mov_b64 s[12:13], exec
	v_readlane_b32 s14, v28, 7
	v_readlane_b32 s15, v28, 8
	s_and_b64 s[14:15], s[12:13], s[14:15]
	s_mov_b64 exec, s[14:15]
; %bb.858:
	v_xor_b32_e32 v21, 0x80000000, v20
	ds_write_b32 v19, v21
; %bb.859:
	s_or_b64 exec, exec, s[12:13]
	s_waitcnt lgkmcnt(0)
	s_barrier
	s_mov_b64 s[12:13], exec
	v_readlane_b32 s14, v28, 9
	v_readlane_b32 s15, v28, 10
	s_and_b64 s[14:15], s[12:13], s[14:15]
	s_mov_b64 exec, s[14:15]
	s_cbranch_execz .LBB3_861
; %bb.860:
	v_lshlrev_b32_e32 v21, 2, v17
	ds_read_b32 v21, v21 offset:3584
	ds_read_b32 v22, v19
	s_waitcnt lgkmcnt(0)
	v_fma_f32 v20, -v21, v22, v20
.LBB3_861:
	s_or_b64 exec, exec, s[12:13]
	s_barrier
	;; [unrolled: 27-line block ×13, first 2 shown]
	s_mov_b64 s[12:13], exec
	v_readlane_b32 s14, v28, 55
	v_readlane_b32 s15, v28, 56
	s_and_b64 s[14:15], s[12:13], s[14:15]
	s_mov_b64 exec, s[14:15]
; %bb.906:
	v_xor_b32_e32 v21, 0x80000000, v20
	ds_write_b32 v19, v21
; %bb.907:
	s_or_b64 exec, exec, s[12:13]
	s_waitcnt lgkmcnt(0)
	s_barrier
	s_and_saveexec_b64 s[12:13], s[0:1]
	s_cbranch_execz .LBB3_909
; %bb.908:
	v_lshlrev_b32_e32 v21, 2, v17
	ds_read_b32 v21, v21 offset:512
	ds_read_b32 v22, v19
	s_waitcnt lgkmcnt(0)
	v_fma_f32 v20, -v21, v22, v20
.LBB3_909:
	s_or_b64 exec, exec, s[12:13]
	s_barrier
	s_mov_b64 s[0:1], exec
	v_readlane_b32 s12, v28, 57
	v_readlane_b32 s13, v28, 58
	s_and_b64 s[12:13], s[0:1], s[12:13]
	s_mov_b64 exec, s[12:13]
; %bb.910:
	v_xor_b32_e32 v21, 0x80000000, v20
	ds_write_b32 v19, v21
; %bb.911:
	s_or_b64 exec, exec, s[0:1]
	s_waitcnt lgkmcnt(0)
	s_barrier
	s_and_saveexec_b64 s[0:1], s[92:93]
	s_cbranch_execz .LBB3_913
; %bb.912:
	v_mov_b32_e32 v21, 0
	ds_read_b32 v21, v21 offset:256
	ds_read_b32 v22, v19
	s_waitcnt lgkmcnt(0)
	v_fma_f32 v20, -v21, v22, v20
.LBB3_913:
	s_or_b64 exec, exec, s[0:1]
	s_barrier
	s_and_saveexec_b64 s[0:1], s[92:93]
; %bb.914:
	v_xor_b32_e32 v21, 0x80000000, v20
	ds_write_b32 v19, v21
; %bb.915:
	s_or_b64 exec, exec, s[0:1]
	s_waitcnt lgkmcnt(0)
	s_barrier
	s_barrier
	s_and_saveexec_b64 s[0:1], s[10:11]
; %bb.916:
	v_lshlrev_b32_e32 v17, 2, v17
	v_lshl_or_b32 v17, v18, 8, v17
	ds_write_b32 v17, v20 offset:4096
; %bb.917:
	s_or_b64 exec, exec, s[0:1]
	s_waitcnt lgkmcnt(0)
	s_barrier
	s_barrier
	s_and_saveexec_b64 s[0:1], s[88:89]
	s_cbranch_execz .LBB3_919
; %bb.918:
	v_lshlrev_b32_e32 v17, 8, v0
	ds_read_b32 v18, v17 offset:4096
	s_movk_i32 s10, 0xff04
	v_mad_i32_i24 v19, v0, s10, v17
	s_waitcnt lgkmcnt(0)
	ds_write_b32 v19, v18 offset:64
	ds_read_b32 v18, v17 offset:4100
	s_waitcnt lgkmcnt(0)
	ds_write_b32 v19, v18 offset:320
	ds_read_b32 v18, v17 offset:4104
	;; [unrolled: 3-line block ×15, first 2 shown]
	s_waitcnt lgkmcnt(0)
	ds_write_b32 v19, v17 offset:3904
.LBB3_919:
	s_or_b64 exec, exec, s[0:1]
	s_waitcnt lgkmcnt(0)
	s_barrier
	s_and_saveexec_b64 s[0:1], vcc
	s_cbranch_execz .LBB3_921
; %bb.920:
	v_mov_b32_e32 v19, 0
	ds_read_b32 v18, v19 offset:3896
	v_mov_b32_e32 v17, 1.0
	ds_write_b32 v19, v17 offset:3900
	s_waitcnt lgkmcnt(1)
	ds_write_b64 v19, v[17:18] offset:3640
.LBB3_921:
	s_or_b64 exec, exec, s[0:1]
	v_mov_b32_e32 v17, 0
	s_waitcnt lgkmcnt(0)
	s_barrier
	buffer_wbinvl1_vol
	s_and_saveexec_b64 s[0:1], s[2:3]
	s_cbranch_execz .LBB3_925
; %bb.922:
	v_lshlrev_b32_e32 v17, 8, v3
	v_lshlrev_b32_e32 v18, 2, v2
	ds_read_b32 v19, v18 offset:3632
	ds_read_b32 v17, v17 offset:3640
	v_mov_b32_e32 v18, 0
	v_cmp_gt_u32_e64 s[10:11], 2, v5
	s_waitcnt lgkmcnt(0)
	v_fma_f32 v17, v19, v17, 0
	s_and_saveexec_b64 s[12:13], s[10:11]
	s_cbranch_execz .LBB3_924
; %bb.923:
	v_lshlrev_b32_e32 v19, 2, v0
	ds_read_b32 v19, v19 offset:3888
	ds_read_b32 v18, v18 offset:3900
	s_waitcnt lgkmcnt(0)
	v_fmac_f32_e32 v17, v19, v18
.LBB3_924:
	s_or_b64 exec, exec, s[12:13]
.LBB3_925:
	s_or_b64 exec, exec, s[0:1]
	s_and_saveexec_b64 s[0:1], s[28:29]
; %bb.926:
	v_xor_b32_e32 v18, 0x80000000, v17
	ds_write_b32 v4, v18
; %bb.927:
	s_or_b64 exec, exec, s[0:1]
	s_waitcnt lgkmcnt(0)
	s_barrier
	s_and_saveexec_b64 s[0:1], s[26:27]
	s_cbranch_execz .LBB3_929
; %bb.928:
	v_mov_b32_e32 v18, 0
	ds_read_b32 v18, v18 offset:3376
	ds_read_b32 v19, v4
	s_waitcnt lgkmcnt(0)
	v_fma_f32 v17, -v18, v19, v17
.LBB3_929:
	s_or_b64 exec, exec, s[0:1]
	s_barrier
	s_and_saveexec_b64 s[0:1], s[26:27]
; %bb.930:
	v_xor_b32_e32 v18, 0x80000000, v17
	ds_write_b32 v4, v18
; %bb.931:
	s_or_b64 exec, exec, s[0:1]
	s_waitcnt lgkmcnt(0)
	s_barrier
	s_barrier
	s_and_saveexec_b64 s[0:1], s[2:3]
; %bb.932:
	v_lshlrev_b32_e32 v18, 2, v2
	v_lshl_or_b32 v18, v3, 8, v18
	ds_write_b32 v18, v17 offset:3632
; %bb.933:
	s_or_b64 exec, exec, s[0:1]
	s_waitcnt lgkmcnt(0)
	s_barrier
	s_barrier
	s_and_saveexec_b64 s[0:1], s[30:31]
	s_cbranch_execz .LBB3_935
; %bb.934:
	v_lshlrev_b32_e32 v17, 2, v0
	s_movk_i32 s10, 0xfc
	v_mad_u32_u24 v18, v0, s10, v17
	ds_read_b32 v19, v18 offset:3632
	s_waitcnt lgkmcnt(0)
	ds_write_b32 v17, v19 offset:3128
	ds_read_b32 v18, v18 offset:3636
	s_waitcnt lgkmcnt(0)
	ds_write_b32 v17, v18 offset:3384
.LBB3_935:
	s_or_b64 exec, exec, s[0:1]
	s_waitcnt lgkmcnt(0)
	s_barrier
	s_and_saveexec_b64 s[0:1], vcc
	s_cbranch_execz .LBB3_937
; %bb.936:
	v_mov_b32_e32 v19, 0
	ds_read_b32 v18, v19 offset:3376
	v_mov_b32_e32 v17, 1.0
	ds_write_b32 v19, v17 offset:3380
	s_waitcnt lgkmcnt(1)
	ds_write_b64 v19, v[17:18] offset:3120
.LBB3_937:
	s_or_b64 exec, exec, s[0:1]
	v_mov_b32_e32 v17, 0
	s_waitcnt lgkmcnt(0)
	s_barrier
	buffer_wbinvl1_vol
	s_and_saveexec_b64 s[0:1], s[18:19]
	s_cbranch_execz .LBB3_943
; %bb.938:
	v_lshlrev_b32_e32 v19, 2, v11
	v_lshlrev_b32_e32 v18, 8, v12
	ds_read_b32 v17, v19 offset:3104
	ds_read_b32 v20, v18 offset:3120
	v_cmp_gt_u32_e64 s[10:11], 12, v5
	s_waitcnt lgkmcnt(0)
	v_fma_f32 v17, v17, v20, 0
	s_and_saveexec_b64 s[12:13], s[10:11]
	s_cbranch_execnz .LBB3_1212
; %bb.939:
	s_or_b64 exec, exec, s[12:13]
	v_cmp_gt_u32_e64 s[10:11], 8, v5
	s_and_saveexec_b64 s[12:13], s[10:11]
	s_cbranch_execnz .LBB3_1213
.LBB3_940:
	s_or_b64 exec, exec, s[12:13]
	v_cmp_gt_u32_e64 s[10:11], 4, v5
	s_and_saveexec_b64 s[12:13], s[10:11]
	s_cbranch_execz .LBB3_942
.LBB3_941:
	v_lshlrev_b32_e32 v18, 2, v0
	v_mov_b32_e32 v19, 0
	ds_read_b32 v18, v18 offset:3872
	ds_read_b32 v19, v19 offset:3900
	s_waitcnt lgkmcnt(0)
	v_fmac_f32_e32 v17, v18, v19
.LBB3_942:
	s_or_b64 exec, exec, s[12:13]
.LBB3_943:
	s_or_b64 exec, exec, s[0:1]
	s_and_saveexec_b64 s[0:1], s[36:37]
; %bb.944:
	v_xor_b32_e32 v18, 0x80000000, v17
	ds_write_b32 v13, v18
; %bb.945:
	s_or_b64 exec, exec, s[0:1]
	s_waitcnt lgkmcnt(0)
	s_barrier
	s_and_saveexec_b64 s[0:1], s[38:39]
	s_cbranch_execz .LBB3_947
; %bb.946:
	v_lshlrev_b32_e32 v18, 2, v11
	ds_read_b32 v18, v18 offset:2848
	ds_read_b32 v19, v13
	s_waitcnt lgkmcnt(0)
	v_fma_f32 v17, -v18, v19, v17
.LBB3_947:
	s_or_b64 exec, exec, s[0:1]
	s_barrier
	s_and_saveexec_b64 s[0:1], s[42:43]
; %bb.948:
	v_xor_b32_e32 v18, 0x80000000, v17
	ds_write_b32 v13, v18
; %bb.949:
	s_or_b64 exec, exec, s[0:1]
	s_waitcnt lgkmcnt(0)
	s_barrier
	s_and_saveexec_b64 s[0:1], s[44:45]
	s_cbranch_execz .LBB3_951
; %bb.950:
	v_lshlrev_b32_e32 v18, 2, v11
	ds_read_b32 v18, v18 offset:2592
	ds_read_b32 v19, v13
	s_waitcnt lgkmcnt(0)
	v_fma_f32 v17, -v18, v19, v17
.LBB3_951:
	s_or_b64 exec, exec, s[0:1]
	s_barrier
	s_and_saveexec_b64 s[0:1], s[52:53]
; %bb.952:
	v_xor_b32_e32 v18, 0x80000000, v17
	ds_write_b32 v13, v18
; %bb.953:
	s_or_b64 exec, exec, s[0:1]
	s_waitcnt lgkmcnt(0)
	s_barrier
	s_and_saveexec_b64 s[0:1], s[34:35]
	s_cbranch_execz .LBB3_955
; %bb.954:
	v_mov_b32_e32 v18, 0
	ds_read_b32 v18, v18 offset:2336
	ds_read_b32 v19, v13
	s_waitcnt lgkmcnt(0)
	v_fma_f32 v17, -v18, v19, v17
.LBB3_955:
	s_or_b64 exec, exec, s[0:1]
	s_barrier
	s_and_saveexec_b64 s[0:1], s[34:35]
; %bb.956:
	v_xor_b32_e32 v18, 0x80000000, v17
	ds_write_b32 v13, v18
; %bb.957:
	s_or_b64 exec, exec, s[0:1]
	s_waitcnt lgkmcnt(0)
	s_barrier
	s_barrier
	s_and_saveexec_b64 s[0:1], s[18:19]
; %bb.958:
	v_lshlrev_b32_e32 v18, 2, v11
	v_lshl_or_b32 v18, v12, 8, v18
	ds_write_b32 v18, v17 offset:3104
; %bb.959:
	s_or_b64 exec, exec, s[0:1]
	s_waitcnt lgkmcnt(0)
	s_barrier
	s_barrier
	s_and_saveexec_b64 s[0:1], s[54:55]
	s_cbranch_execz .LBB3_961
; %bb.960:
	v_lshlrev_b32_e32 v17, 8, v0
	ds_read_b32 v18, v17 offset:3104
	s_movk_i32 s10, 0xff04
	v_mad_i32_i24 v19, v0, s10, v17
	s_waitcnt lgkmcnt(0)
	ds_write_b32 v19, v18 offset:2096
	ds_read_b32 v18, v17 offset:3108
	s_waitcnt lgkmcnt(0)
	ds_write_b32 v19, v18 offset:2352
	ds_read_b32 v18, v17 offset:3112
	;; [unrolled: 3-line block ×3, first 2 shown]
	s_waitcnt lgkmcnt(0)
	ds_write_b32 v19, v17 offset:2864
.LBB3_961:
	s_or_b64 exec, exec, s[0:1]
	s_waitcnt lgkmcnt(0)
	s_barrier
	s_and_saveexec_b64 s[0:1], vcc
	s_cbranch_execz .LBB3_963
; %bb.962:
	v_mov_b32_e32 v19, 0
	ds_read_b32 v18, v19 offset:2856
	v_mov_b32_e32 v17, 1.0
	ds_write_b32 v19, v17 offset:2860
	s_waitcnt lgkmcnt(1)
	ds_write_b64 v19, v[17:18] offset:2600
.LBB3_963:
	s_or_b64 exec, exec, s[0:1]
	v_mov_b32_e32 v17, 0
	s_waitcnt lgkmcnt(0)
	s_barrier
	buffer_wbinvl1_vol
	s_and_saveexec_b64 s[0:1], s[2:3]
	s_cbranch_execz .LBB3_967
; %bb.964:
	v_lshlrev_b32_e32 v17, 8, v3
	v_lshlrev_b32_e32 v18, 2, v2
	ds_read_b32 v19, v18 offset:2592
	ds_read_b32 v17, v17 offset:2600
	v_mov_b32_e32 v18, 0
	v_cmp_gt_u32_e64 s[10:11], 2, v5
	s_waitcnt lgkmcnt(0)
	v_fma_f32 v17, v19, v17, 0
	s_and_saveexec_b64 s[12:13], s[10:11]
	s_cbranch_execz .LBB3_966
; %bb.965:
	v_lshlrev_b32_e32 v19, 2, v0
	ds_read_b32 v19, v19 offset:2848
	ds_read_b32 v18, v18 offset:2860
	s_waitcnt lgkmcnt(0)
	v_fmac_f32_e32 v17, v19, v18
.LBB3_966:
	s_or_b64 exec, exec, s[12:13]
.LBB3_967:
	s_or_b64 exec, exec, s[0:1]
	s_and_saveexec_b64 s[0:1], s[28:29]
; %bb.968:
	v_xor_b32_e32 v18, 0x80000000, v17
	ds_write_b32 v4, v18
; %bb.969:
	s_or_b64 exec, exec, s[0:1]
	s_waitcnt lgkmcnt(0)
	s_barrier
	s_and_saveexec_b64 s[0:1], s[26:27]
	s_cbranch_execz .LBB3_971
; %bb.970:
	v_mov_b32_e32 v18, 0
	ds_read_b32 v18, v18 offset:2336
	ds_read_b32 v19, v4
	s_waitcnt lgkmcnt(0)
	v_fma_f32 v17, -v18, v19, v17
.LBB3_971:
	s_or_b64 exec, exec, s[0:1]
	s_barrier
	s_and_saveexec_b64 s[0:1], s[26:27]
; %bb.972:
	v_xor_b32_e32 v18, 0x80000000, v17
	ds_write_b32 v4, v18
; %bb.973:
	s_or_b64 exec, exec, s[0:1]
	s_waitcnt lgkmcnt(0)
	s_barrier
	s_barrier
	s_and_saveexec_b64 s[0:1], s[2:3]
; %bb.974:
	v_lshlrev_b32_e32 v18, 2, v2
	v_lshl_or_b32 v18, v3, 8, v18
	ds_write_b32 v18, v17 offset:2592
; %bb.975:
	s_or_b64 exec, exec, s[0:1]
	s_waitcnt lgkmcnt(0)
	s_barrier
	s_barrier
	s_and_saveexec_b64 s[0:1], s[30:31]
	s_cbranch_execz .LBB3_977
; %bb.976:
	v_lshlrev_b32_e32 v17, 2, v0
	s_movk_i32 s10, 0xfc
	v_mad_u32_u24 v18, v0, s10, v17
	ds_read_b32 v19, v18 offset:2592
	s_waitcnt lgkmcnt(0)
	ds_write_b32 v17, v19 offset:2088
	ds_read_b32 v18, v18 offset:2596
	s_waitcnt lgkmcnt(0)
	ds_write_b32 v17, v18 offset:2344
.LBB3_977:
	s_or_b64 exec, exec, s[0:1]
	s_waitcnt lgkmcnt(0)
	s_barrier
	s_and_saveexec_b64 s[0:1], vcc
	s_cbranch_execz .LBB3_979
; %bb.978:
	v_mov_b32_e32 v19, 0
	ds_read_b32 v18, v19 offset:2336
	v_mov_b32_e32 v17, 1.0
	ds_write_b32 v19, v17 offset:2340
	s_waitcnt lgkmcnt(1)
	ds_write_b64 v19, v[17:18] offset:2080
.LBB3_979:
	s_or_b64 exec, exec, s[0:1]
	v_mov_b32_e32 v17, 0
	s_waitcnt lgkmcnt(0)
	s_barrier
	buffer_wbinvl1_vol
	s_and_saveexec_b64 s[0:1], s[8:9]
	s_cbranch_execz .LBB3_989
; %bb.980:
	v_lshlrev_b32_e32 v19, 2, v14
	v_lshlrev_b32_e32 v18, 8, v15
	ds_read_b32 v17, v19 offset:2048
	ds_read_b32 v20, v18 offset:2080
	v_cmp_gt_u32_e64 s[10:11], 56, v5
	s_waitcnt lgkmcnt(0)
	v_fma_f32 v17, v17, v20, 0
	s_and_saveexec_b64 s[12:13], s[10:11]
	s_cbranch_execnz .LBB3_1214
; %bb.981:
	s_or_b64 exec, exec, s[12:13]
	v_cmp_gt_u32_e64 s[10:11], 48, v5
	s_and_saveexec_b64 s[12:13], s[10:11]
	s_cbranch_execnz .LBB3_1215
.LBB3_982:
	s_or_b64 exec, exec, s[12:13]
	v_cmp_gt_u32_e64 s[10:11], 40, v5
	s_and_saveexec_b64 s[12:13], s[10:11]
	s_cbranch_execnz .LBB3_1216
.LBB3_983:
	s_or_b64 exec, exec, s[12:13]
	v_cmp_gt_u32_e64 s[10:11], 32, v5
	s_and_saveexec_b64 s[12:13], s[10:11]
	s_cbranch_execnz .LBB3_1217
.LBB3_984:
	s_or_b64 exec, exec, s[12:13]
	v_cmp_gt_u32_e64 s[10:11], 24, v5
	s_and_saveexec_b64 s[12:13], s[10:11]
	s_cbranch_execnz .LBB3_1218
.LBB3_985:
	s_or_b64 exec, exec, s[12:13]
	s_and_saveexec_b64 s[10:11], s[18:19]
	s_cbranch_execnz .LBB3_1219
.LBB3_986:
	s_or_b64 exec, exec, s[10:11]
	v_cmp_gt_u32_e64 s[10:11], 8, v5
	s_and_saveexec_b64 s[12:13], s[10:11]
	s_cbranch_execz .LBB3_988
.LBB3_987:
	v_lshlrev_b32_e32 v18, 2, v0
	v_mov_b32_e32 v19, 0
	ds_read_b32 v18, v18 offset:3840
	ds_read_b32 v19, v19 offset:3900
	s_waitcnt lgkmcnt(0)
	v_fmac_f32_e32 v17, v18, v19
.LBB3_988:
	s_or_b64 exec, exec, s[12:13]
.LBB3_989:
	s_or_b64 exec, exec, s[0:1]
	s_and_saveexec_b64 s[0:1], s[56:57]
; %bb.990:
	v_xor_b32_e32 v18, 0x80000000, v17
	ds_write_b32 v16, v18
; %bb.991:
	s_or_b64 exec, exec, s[0:1]
	s_waitcnt lgkmcnt(0)
	s_barrier
	s_and_saveexec_b64 s[0:1], s[58:59]
	v_readlane_b32 s56, v28, 1
	v_readlane_b32 s57, v28, 2
	s_cbranch_execz .LBB3_993
; %bb.992:
	v_lshlrev_b32_e32 v18, 2, v14
	ds_read_b32 v18, v18 offset:1792
	ds_read_b32 v19, v16
	s_waitcnt lgkmcnt(0)
	v_fma_f32 v17, -v18, v19, v17
.LBB3_993:
	s_or_b64 exec, exec, s[0:1]
	s_barrier
	s_and_saveexec_b64 s[0:1], s[60:61]
; %bb.994:
	v_xor_b32_e32 v18, 0x80000000, v17
	ds_write_b32 v16, v18
; %bb.995:
	s_or_b64 exec, exec, s[0:1]
	s_waitcnt lgkmcnt(0)
	s_barrier
	s_and_saveexec_b64 s[0:1], s[62:63]
	s_cbranch_execz .LBB3_997
; %bb.996:
	v_lshlrev_b32_e32 v18, 2, v14
	ds_read_b32 v18, v18 offset:1536
	ds_read_b32 v19, v16
	s_waitcnt lgkmcnt(0)
	v_fma_f32 v17, -v18, v19, v17
.LBB3_997:
	s_or_b64 exec, exec, s[0:1]
	s_barrier
	s_and_saveexec_b64 s[0:1], s[64:65]
; %bb.998:
	v_xor_b32_e32 v18, 0x80000000, v17
	ds_write_b32 v16, v18
; %bb.999:
	s_or_b64 exec, exec, s[0:1]
	s_waitcnt lgkmcnt(0)
	s_barrier
	s_and_saveexec_b64 s[0:1], s[68:69]
	;; [unrolled: 19-line block ×6, first 2 shown]
	s_cbranch_execz .LBB3_1017
; %bb.1016:
	v_mov_b32_e32 v18, 0
	ds_read_b32 v18, v18 offset:256
	ds_read_b32 v19, v16
	s_waitcnt lgkmcnt(0)
	v_fma_f32 v17, -v18, v19, v17
.LBB3_1017:
	s_or_b64 exec, exec, s[0:1]
	s_barrier
	s_and_saveexec_b64 s[0:1], s[66:67]
; %bb.1018:
	v_xor_b32_e32 v18, 0x80000000, v17
	ds_write_b32 v16, v18
; %bb.1019:
	s_or_b64 exec, exec, s[0:1]
	s_waitcnt lgkmcnt(0)
	s_barrier
	s_barrier
	s_and_saveexec_b64 s[0:1], s[8:9]
; %bb.1020:
	v_lshlrev_b32_e32 v14, 2, v14
	v_lshl_or_b32 v14, v15, 8, v14
	ds_write_b32 v14, v17 offset:2048
; %bb.1021:
	s_or_b64 exec, exec, s[0:1]
	s_waitcnt lgkmcnt(0)
	s_barrier
	s_barrier
	s_and_saveexec_b64 s[0:1], s[84:85]
	s_cbranch_execz .LBB3_1023
; %bb.1022:
	v_lshlrev_b32_e32 v14, 8, v0
	ds_read_b32 v15, v14 offset:2048
	s_movk_i32 s8, 0xff04
	v_mad_i32_i24 v16, v0, s8, v14
	s_waitcnt lgkmcnt(0)
	ds_write_b32 v16, v15 offset:32
	ds_read_b32 v15, v14 offset:2052
	s_waitcnt lgkmcnt(0)
	ds_write_b32 v16, v15 offset:288
	ds_read_b32 v15, v14 offset:2056
	;; [unrolled: 3-line block ×7, first 2 shown]
	s_waitcnt lgkmcnt(0)
	ds_write_b32 v16, v14 offset:1824
.LBB3_1023:
	s_or_b64 exec, exec, s[0:1]
	s_waitcnt lgkmcnt(0)
	s_barrier
	s_and_saveexec_b64 s[0:1], vcc
	s_cbranch_execz .LBB3_1025
; %bb.1024:
	v_mov_b32_e32 v16, 0
	ds_read_b32 v15, v16 offset:1816
	v_mov_b32_e32 v14, 1.0
	ds_write_b32 v16, v14 offset:1820
	s_waitcnt lgkmcnt(1)
	ds_write_b64 v16, v[14:15] offset:1560
.LBB3_1025:
	s_or_b64 exec, exec, s[0:1]
	v_mov_b32_e32 v14, 0
	s_waitcnt lgkmcnt(0)
	s_barrier
	buffer_wbinvl1_vol
	s_and_saveexec_b64 s[0:1], s[2:3]
	s_cbranch_execz .LBB3_1029
; %bb.1026:
	v_lshlrev_b32_e32 v14, 8, v3
	v_lshlrev_b32_e32 v15, 2, v2
	ds_read_b32 v16, v15 offset:1552
	ds_read_b32 v14, v14 offset:1560
	v_mov_b32_e32 v15, 0
	v_cmp_gt_u32_e64 s[8:9], 2, v5
	s_waitcnt lgkmcnt(0)
	v_fma_f32 v14, v16, v14, 0
	s_and_saveexec_b64 s[10:11], s[8:9]
	s_cbranch_execz .LBB3_1028
; %bb.1027:
	v_lshlrev_b32_e32 v16, 2, v0
	ds_read_b32 v16, v16 offset:1808
	ds_read_b32 v15, v15 offset:1820
	s_waitcnt lgkmcnt(0)
	v_fmac_f32_e32 v14, v16, v15
.LBB3_1028:
	s_or_b64 exec, exec, s[10:11]
.LBB3_1029:
	s_or_b64 exec, exec, s[0:1]
	s_and_saveexec_b64 s[0:1], s[28:29]
; %bb.1030:
	v_xor_b32_e32 v15, 0x80000000, v14
	ds_write_b32 v4, v15
; %bb.1031:
	s_or_b64 exec, exec, s[0:1]
	s_waitcnt lgkmcnt(0)
	s_barrier
	s_and_saveexec_b64 s[0:1], s[26:27]
	s_cbranch_execz .LBB3_1033
; %bb.1032:
	v_mov_b32_e32 v15, 0
	ds_read_b32 v15, v15 offset:1296
	ds_read_b32 v16, v4
	s_waitcnt lgkmcnt(0)
	v_fma_f32 v14, -v15, v16, v14
.LBB3_1033:
	s_or_b64 exec, exec, s[0:1]
	s_barrier
	s_and_saveexec_b64 s[0:1], s[26:27]
; %bb.1034:
	v_xor_b32_e32 v15, 0x80000000, v14
	ds_write_b32 v4, v15
; %bb.1035:
	s_or_b64 exec, exec, s[0:1]
	s_waitcnt lgkmcnt(0)
	s_barrier
	s_barrier
	s_and_saveexec_b64 s[0:1], s[2:3]
; %bb.1036:
	v_lshlrev_b32_e32 v15, 2, v2
	v_lshl_or_b32 v15, v3, 8, v15
	ds_write_b32 v15, v14 offset:1552
; %bb.1037:
	s_or_b64 exec, exec, s[0:1]
	s_waitcnt lgkmcnt(0)
	s_barrier
	s_barrier
	s_and_saveexec_b64 s[0:1], s[30:31]
	s_cbranch_execz .LBB3_1039
; %bb.1038:
	v_lshlrev_b32_e32 v14, 2, v0
	s_movk_i32 s8, 0xfc
	v_mad_u32_u24 v15, v0, s8, v14
	ds_read_b32 v16, v15 offset:1552
	s_waitcnt lgkmcnt(0)
	ds_write_b32 v14, v16 offset:1048
	ds_read_b32 v15, v15 offset:1556
	s_waitcnt lgkmcnt(0)
	ds_write_b32 v14, v15 offset:1304
.LBB3_1039:
	s_or_b64 exec, exec, s[0:1]
	s_waitcnt lgkmcnt(0)
	s_barrier
	s_and_saveexec_b64 s[0:1], vcc
	s_cbranch_execz .LBB3_1041
; %bb.1040:
	v_mov_b32_e32 v16, 0
	ds_read_b32 v15, v16 offset:1296
	v_mov_b32_e32 v14, 1.0
	ds_write_b32 v16, v14 offset:1300
	s_waitcnt lgkmcnt(1)
	ds_write_b64 v16, v[14:15] offset:1040
.LBB3_1041:
	s_or_b64 exec, exec, s[0:1]
	v_mov_b32_e32 v14, 0
	s_waitcnt lgkmcnt(0)
	s_barrier
	buffer_wbinvl1_vol
	s_and_saveexec_b64 s[0:1], s[18:19]
	s_cbranch_execz .LBB3_1047
; %bb.1042:
	v_lshlrev_b32_e32 v16, 2, v11
	v_lshlrev_b32_e32 v15, 8, v12
	ds_read_b32 v14, v16 offset:1024
	ds_read_b32 v17, v15 offset:1040
	v_cmp_gt_u32_e64 s[8:9], 12, v5
	s_waitcnt lgkmcnt(0)
	v_fma_f32 v14, v14, v17, 0
	s_and_saveexec_b64 s[10:11], s[8:9]
	s_cbranch_execnz .LBB3_1220
; %bb.1043:
	s_or_b64 exec, exec, s[10:11]
	v_cmp_gt_u32_e64 s[8:9], 8, v5
	s_and_saveexec_b64 s[10:11], s[8:9]
	s_cbranch_execnz .LBB3_1221
.LBB3_1044:
	s_or_b64 exec, exec, s[10:11]
	v_cmp_gt_u32_e64 s[8:9], 4, v5
	s_and_saveexec_b64 s[10:11], s[8:9]
	s_cbranch_execz .LBB3_1046
.LBB3_1045:
	v_lshlrev_b32_e32 v15, 2, v0
	v_mov_b32_e32 v16, 0
	ds_read_b32 v15, v15 offset:1792
	ds_read_b32 v16, v16 offset:1820
	s_waitcnt lgkmcnt(0)
	v_fmac_f32_e32 v14, v15, v16
.LBB3_1046:
	s_or_b64 exec, exec, s[10:11]
.LBB3_1047:
	s_or_b64 exec, exec, s[0:1]
	s_and_saveexec_b64 s[0:1], s[36:37]
; %bb.1048:
	v_xor_b32_e32 v15, 0x80000000, v14
	ds_write_b32 v13, v15
; %bb.1049:
	s_or_b64 exec, exec, s[0:1]
	s_waitcnt lgkmcnt(0)
	s_barrier
	s_and_saveexec_b64 s[0:1], s[38:39]
	s_load_dword s36, s[4:5], 0x6c
	v_readlane_b32 s37, v28, 0
	s_cbranch_execz .LBB3_1051
; %bb.1050:
	v_lshlrev_b32_e32 v15, 2, v11
	ds_read_b32 v15, v15 offset:768
	ds_read_b32 v16, v13
	s_waitcnt lgkmcnt(0)
	v_fma_f32 v14, -v15, v16, v14
.LBB3_1051:
	s_or_b64 exec, exec, s[0:1]
	s_waitcnt lgkmcnt(0)
	s_barrier
	s_and_saveexec_b64 s[0:1], s[42:43]
; %bb.1052:
	v_xor_b32_e32 v15, 0x80000000, v14
	ds_write_b32 v13, v15
; %bb.1053:
	s_or_b64 exec, exec, s[0:1]
	s_waitcnt lgkmcnt(0)
	s_barrier
	s_and_saveexec_b64 s[0:1], s[44:45]
	s_cbranch_execz .LBB3_1055
; %bb.1054:
	v_lshlrev_b32_e32 v15, 2, v11
	ds_read_b32 v15, v15 offset:512
	ds_read_b32 v16, v13
	s_waitcnt lgkmcnt(0)
	v_fma_f32 v14, -v15, v16, v14
.LBB3_1055:
	s_or_b64 exec, exec, s[0:1]
	s_barrier
	s_and_saveexec_b64 s[0:1], s[52:53]
; %bb.1056:
	v_xor_b32_e32 v15, 0x80000000, v14
	ds_write_b32 v13, v15
; %bb.1057:
	s_or_b64 exec, exec, s[0:1]
	s_waitcnt lgkmcnt(0)
	s_barrier
	s_and_saveexec_b64 s[0:1], s[34:35]
	s_cbranch_execz .LBB3_1059
; %bb.1058:
	v_mov_b32_e32 v15, 0
	ds_read_b32 v15, v15 offset:256
	ds_read_b32 v16, v13
	s_waitcnt lgkmcnt(0)
	v_fma_f32 v14, -v15, v16, v14
.LBB3_1059:
	s_or_b64 exec, exec, s[0:1]
	s_barrier
	s_and_saveexec_b64 s[0:1], s[34:35]
; %bb.1060:
	v_xor_b32_e32 v15, 0x80000000, v14
	ds_write_b32 v13, v15
; %bb.1061:
	s_or_b64 exec, exec, s[0:1]
	s_waitcnt lgkmcnt(0)
	s_barrier
	s_barrier
	s_and_saveexec_b64 s[0:1], s[18:19]
; %bb.1062:
	v_lshlrev_b32_e32 v11, 2, v11
	v_lshl_or_b32 v11, v12, 8, v11
	ds_write_b32 v11, v14 offset:1024
; %bb.1063:
	s_or_b64 exec, exec, s[0:1]
	s_waitcnt lgkmcnt(0)
	s_barrier
	s_barrier
	s_and_saveexec_b64 s[0:1], s[54:55]
	s_cbranch_execz .LBB3_1065
; %bb.1064:
	v_lshlrev_b32_e32 v11, 8, v0
	ds_read_b32 v12, v11 offset:1024
	s_movk_i32 s8, 0xff04
	v_mad_i32_i24 v13, v0, s8, v11
	s_waitcnt lgkmcnt(0)
	ds_write_b32 v13, v12 offset:16
	ds_read_b32 v12, v11 offset:1028
	s_waitcnt lgkmcnt(0)
	ds_write_b32 v13, v12 offset:272
	ds_read_b32 v12, v11 offset:1032
	;; [unrolled: 3-line block ×3, first 2 shown]
	s_waitcnt lgkmcnt(0)
	ds_write_b32 v13, v11 offset:784
.LBB3_1065:
	s_or_b64 exec, exec, s[0:1]
	s_waitcnt lgkmcnt(0)
	s_barrier
	s_and_saveexec_b64 s[0:1], vcc
	s_cbranch_execz .LBB3_1067
; %bb.1066:
	v_mov_b32_e32 v13, 0
	ds_read_b32 v12, v13 offset:776
	v_mov_b32_e32 v11, 1.0
	ds_write_b32 v13, v11 offset:780
	s_waitcnt lgkmcnt(1)
	ds_write_b64 v13, v[11:12] offset:520
.LBB3_1067:
	s_or_b64 exec, exec, s[0:1]
	v_mov_b32_e32 v11, 0
	s_waitcnt lgkmcnt(0)
	s_barrier
	buffer_wbinvl1_vol
	s_and_saveexec_b64 s[0:1], s[2:3]
	s_cbranch_execz .LBB3_1071
; %bb.1068:
	v_lshlrev_b32_e32 v11, 8, v3
	v_lshlrev_b32_e32 v12, 2, v2
	ds_read_b32 v13, v12 offset:512
	ds_read_b32 v11, v11 offset:520
	v_mov_b32_e32 v12, 0
	v_cmp_gt_u32_e64 s[8:9], 2, v5
	s_waitcnt lgkmcnt(0)
	v_fma_f32 v11, v13, v11, 0
	s_and_saveexec_b64 s[10:11], s[8:9]
	s_cbranch_execz .LBB3_1070
; %bb.1069:
	v_lshlrev_b32_e32 v5, 2, v0
	ds_read_b32 v5, v5 offset:768
	ds_read_b32 v12, v12 offset:780
	s_waitcnt lgkmcnt(0)
	v_fmac_f32_e32 v11, v5, v12
.LBB3_1070:
	s_or_b64 exec, exec, s[10:11]
.LBB3_1071:
	s_or_b64 exec, exec, s[0:1]
	s_and_saveexec_b64 s[0:1], s[28:29]
; %bb.1072:
	v_xor_b32_e32 v5, 0x80000000, v11
	ds_write_b32 v4, v5
; %bb.1073:
	s_or_b64 exec, exec, s[0:1]
	s_waitcnt lgkmcnt(0)
	s_barrier
	s_and_saveexec_b64 s[0:1], s[26:27]
	s_cbranch_execz .LBB3_1075
; %bb.1074:
	v_mov_b32_e32 v5, 0
	ds_read_b32 v5, v5 offset:256
	ds_read_b32 v12, v4
	s_waitcnt lgkmcnt(0)
	v_fma_f32 v11, -v5, v12, v11
.LBB3_1075:
	s_or_b64 exec, exec, s[0:1]
	s_barrier
	s_and_saveexec_b64 s[0:1], s[26:27]
; %bb.1076:
	v_xor_b32_e32 v5, 0x80000000, v11
	ds_write_b32 v4, v5
; %bb.1077:
	s_or_b64 exec, exec, s[0:1]
	s_waitcnt lgkmcnt(0)
	s_barrier
	s_barrier
	s_and_saveexec_b64 s[0:1], s[2:3]
; %bb.1078:
	v_lshlrev_b32_e32 v2, 2, v2
	v_lshl_or_b32 v2, v3, 8, v2
	ds_write_b32 v2, v11 offset:512
; %bb.1079:
	s_or_b64 exec, exec, s[0:1]
	s_waitcnt lgkmcnt(0)
	s_barrier
	s_barrier
	s_and_saveexec_b64 s[0:1], s[30:31]
	s_cbranch_execz .LBB3_1081
; %bb.1080:
	v_lshlrev_b32_e32 v2, 2, v0
	s_movk_i32 s2, 0xfc
	v_mad_u32_u24 v3, v0, s2, v2
	ds_read_b32 v4, v3 offset:512
	s_waitcnt lgkmcnt(0)
	ds_write_b32 v2, v4 offset:8
	ds_read_b32 v3, v3 offset:516
	s_waitcnt lgkmcnt(0)
	ds_write_b32 v2, v3 offset:264
.LBB3_1081:
	s_or_b64 exec, exec, s[0:1]
	s_waitcnt lgkmcnt(0)
	s_barrier
	s_and_saveexec_b64 s[0:1], vcc
	s_cbranch_execz .LBB3_1083
; %bb.1082:
	v_mov_b32_e32 v4, 0
	ds_read_b32 v3, v4 offset:256
	v_mov_b32_e32 v2, 1.0
	ds_write_b32 v4, v2 offset:260
	s_waitcnt lgkmcnt(1)
	ds_write_b64 v4, v[2:3]
.LBB3_1083:
	s_or_b64 exec, exec, s[0:1]
.LBB3_1084:
	s_load_dwordx4 s[12:15], s[4:5], 0x48
	v_cmp_le_i32_e32 vcc, s7, v0
	v_mov_b32_e32 v12, 0
	v_lshl_add_u32 v2, s6, 6, v0
	s_waitcnt lgkmcnt(0)
	s_mul_i32 s1, s13, s22
	s_mul_hi_u32 s2, s12, s22
	s_mul_i32 s0, s12, s22
	s_add_i32 s1, s2, s1
	s_lshl_b64 s[0:1], s[0:1], 2
	s_add_u32 s2, s46, s0
	s_addc_u32 s3, s47, s1
	s_lshl_b64 s[0:1], s[48:49], 2
	s_add_u32 s20, s2, s0
	s_addc_u32 s21, s3, s1
	s_and_b64 s[16:17], vcc, s[24:25]
	v_cmp_eq_u32_e64 s[2:3], 0, v1
	s_xor_b64 s[0:1], s[16:17], -1
	s_and_b64 s[4:5], s[2:3], s[0:1]
	s_barrier
	s_and_saveexec_b64 s[0:1], s[4:5]
	s_cbranch_execz .LBB3_1086
; %bb.1085:
	v_ashrrev_i32_e32 v5, 31, v2
	v_mul_lo_u32 v11, s51, v2
	v_mad_u64_u32 v[3:4], s[4:5], s50, v2, 0
	v_mul_lo_u32 v5, s50, v5
	v_add3_u32 v4, v4, v5, v11
	v_lshlrev_b64 v[3:4], 2, v[3:4]
	v_mov_b32_e32 v5, s21
	v_add_co_u32_e32 v3, vcc, s20, v3
	v_addc_co_u32_e32 v4, vcc, v5, v4, vcc
	global_load_dword v3, v[3:4], off
	s_waitcnt vmcnt(0)
	v_mul_f32_e64 v12, v3, -s37
.LBB3_1086:
	s_or_b64 exec, exec, s[0:1]
	s_and_b32 s0, 0xffff, s36
	v_mad_u32_u24 v11, v1, s0, v0
	s_cmp_lt_i32 s6, 1
	v_cmp_eq_u32_e64 s[4:5], 0, v11
	s_cbranch_scc1 .LBB3_1112
; %bb.1087:
	v_mad_u64_u32 v[3:4], s[0:1], s40, v2, 0
	v_cmp_gt_i32_e64 s[8:9], s33, v2
	s_mov_b32 s26, 0
	v_mad_u64_u32 v[4:5], s[0:1], s41, v2, v[4:5]
	s_lshl_b64 s[0:1], s[22:23], 2
	s_add_u32 s0, s14, s0
	v_lshlrev_b64 v[2:3], 2, v[3:4]
	v_mov_b32_e32 v5, 0x5000
	v_mov_b32_e32 v4, s87
	v_add_co_u32_e32 v15, vcc, s86, v2
	s_addc_u32 s1, s15, s1
	v_cmp_gt_u32_e64 s[12:13], 64, v11
	v_lshl_add_u32 v13, v11, 2, v5
	v_lshl_or_b32 v14, v1, 2, v5
	s_add_i32 s27, s6, -1
	v_addc_co_u32_e32 v16, vcc, v4, v3, vcc
	v_mov_b32_e32 v17, -1
	v_mov_b32_e32 v3, 0
	s_branch .LBB3_1090
.LBB3_1088:                             ;   in Loop: Header=BB3_1090 Depth=1
	ds_read_b32 v4, v14 offset:192
	s_waitcnt vmcnt(0) lgkmcnt(0)
	v_fmac_f32_e32 v12, v2, v4
.LBB3_1089:                             ;   in Loop: Header=BB3_1090 Depth=1
	s_or_b64 exec, exec, s[18:19]
	s_add_i32 s26, s26, 1
	s_cmp_eq_u32 s26, s6
	s_cbranch_scc1 .LBB3_1112
.LBB3_1090:                             ; =>This Loop Header: Depth=1
                                        ;     Child Loop BB3_1092 Depth 2
	v_cmp_gt_i32_e32 vcc, s26, v17
	s_and_b64 s[18:19], s[4:5], vcc
	s_and_saveexec_b64 s[10:11], s[18:19]
	s_cbranch_execz .LBB3_1093
; %bb.1091:                             ;   in Loop: Header=BB3_1090 Depth=1
	global_load_dword v17, v3, s[0:1]
	s_waitcnt vmcnt(0)
	v_cmp_le_i32_e32 vcc, s26, v17
	s_cbranch_vccnz .LBB3_1093
.LBB3_1092:                             ;   Parent Loop BB3_1090 Depth=1
                                        ; =>  This Inner Loop Header: Depth=2
	buffer_wbinvl1_vol
	global_load_dword v17, v3, s[0:1]
	s_waitcnt vmcnt(0)
	v_cmp_gt_i32_e32 vcc, s26, v17
	s_cbranch_vccnz .LBB3_1092
.LBB3_1093:                             ;   in Loop: Header=BB3_1090 Depth=1
	s_or_b64 exec, exec, s[10:11]
	s_lshl_b32 s28, s26, 6
	buffer_wbinvl1_vol
	s_barrier
	s_and_saveexec_b64 s[10:11], s[12:13]
	s_cbranch_execz .LBB3_1097
; %bb.1094:                             ;   in Loop: Header=BB3_1090 Depth=1
	v_or_b32_e32 v4, s28, v11
	v_cmp_gt_i32_e32 vcc, s33, v4
	v_mov_b32_e32 v2, 0
	s_and_saveexec_b64 s[18:19], vcc
	s_cbranch_execz .LBB3_1096
; %bb.1095:                             ;   in Loop: Header=BB3_1090 Depth=1
	v_mad_u64_u32 v[18:19], s[30:31], s50, v4, 0
	v_mov_b32_e32 v2, v19
	v_mad_u64_u32 v[4:5], s[30:31], s51, v4, v[2:3]
	v_mov_b32_e32 v2, s21
	v_mov_b32_e32 v19, v4
	v_lshlrev_b64 v[4:5], 2, v[18:19]
	v_add_co_u32_e32 v4, vcc, s20, v4
	v_addc_co_u32_e32 v5, vcc, v2, v5, vcc
	global_load_dword v2, v[4:5], off
.LBB3_1096:                             ;   in Loop: Header=BB3_1090 Depth=1
	s_or_b64 exec, exec, s[18:19]
	s_waitcnt vmcnt(0)
	ds_write_b32 v13, v2
.LBB3_1097:                             ;   in Loop: Header=BB3_1090 Depth=1
	s_or_b64 exec, exec, s[10:11]
	v_add_u32_e32 v2, s28, v1
	v_lshlrev_b64 v[4:5], 2, v[2:3]
	s_cmp_lg_u32 s26, s27
	v_add_co_u32_e32 v4, vcc, v15, v4
	s_cselect_b64 s[10:11], -1, 0
	v_addc_co_u32_e32 v5, vcc, v16, v5, vcc
	v_cmp_gt_i32_e32 vcc, s33, v2
	v_cndmask_b32_e64 v18, 0, 1, s[10:11]
	s_and_b64 s[28:29], vcc, s[8:9]
	v_cmp_ne_u32_e64 s[10:11], 1, v18
	s_waitcnt lgkmcnt(0)
	s_barrier
	s_and_saveexec_b64 s[18:19], s[28:29]
	s_cbranch_execz .LBB3_1101
; %bb.1098:                             ;   in Loop: Header=BB3_1090 Depth=1
	s_and_b64 vcc, exec, s[10:11]
	v_mov_b32_e32 v18, v8
	s_cbranch_vccnz .LBB3_1100
; %bb.1099:                             ;   in Loop: Header=BB3_1090 Depth=1
	global_load_dword v18, v[4:5], off
.LBB3_1100:                             ;   in Loop: Header=BB3_1090 Depth=1
	ds_read_b32 v19, v14
	s_waitcnt vmcnt(0) lgkmcnt(0)
	v_fmac_f32_e32 v12, v18, v19
.LBB3_1101:                             ;   in Loop: Header=BB3_1090 Depth=1
	s_or_b64 exec, exec, s[18:19]
	v_add_u32_e32 v18, 16, v2
	v_cmp_gt_i32_e32 vcc, s33, v18
	s_and_b64 s[28:29], vcc, s[8:9]
	s_and_saveexec_b64 s[18:19], s[28:29]
	s_cbranch_execz .LBB3_1105
; %bb.1102:                             ;   in Loop: Header=BB3_1090 Depth=1
	s_and_b64 vcc, exec, s[10:11]
	v_mov_b32_e32 v18, v7
	s_cbranch_vccnz .LBB3_1104
; %bb.1103:                             ;   in Loop: Header=BB3_1090 Depth=1
	global_load_dword v18, v[4:5], off offset:64
.LBB3_1104:                             ;   in Loop: Header=BB3_1090 Depth=1
	ds_read_b32 v19, v14 offset:64
	s_waitcnt vmcnt(0) lgkmcnt(0)
	v_fmac_f32_e32 v12, v18, v19
.LBB3_1105:                             ;   in Loop: Header=BB3_1090 Depth=1
	s_or_b64 exec, exec, s[18:19]
	v_add_u32_e32 v18, 32, v2
	v_cmp_gt_i32_e32 vcc, s33, v18
	s_and_b64 s[28:29], vcc, s[8:9]
	s_and_saveexec_b64 s[18:19], s[28:29]
	s_cbranch_execz .LBB3_1109
; %bb.1106:                             ;   in Loop: Header=BB3_1090 Depth=1
	s_and_b64 vcc, exec, s[10:11]
	v_mov_b32_e32 v18, v10
	s_cbranch_vccnz .LBB3_1108
; %bb.1107:                             ;   in Loop: Header=BB3_1090 Depth=1
	global_load_dword v18, v[4:5], off offset:128
.LBB3_1108:                             ;   in Loop: Header=BB3_1090 Depth=1
	ds_read_b32 v19, v14 offset:128
	s_waitcnt vmcnt(0) lgkmcnt(0)
	v_fmac_f32_e32 v12, v18, v19
.LBB3_1109:                             ;   in Loop: Header=BB3_1090 Depth=1
	s_or_b64 exec, exec, s[18:19]
	v_add_u32_e32 v2, 48, v2
	v_cmp_gt_i32_e32 vcc, s33, v2
	s_and_b64 s[28:29], vcc, s[8:9]
	s_and_saveexec_b64 s[18:19], s[28:29]
	s_cbranch_execz .LBB3_1089
; %bb.1110:                             ;   in Loop: Header=BB3_1090 Depth=1
	s_and_b64 vcc, exec, s[10:11]
	v_mov_b32_e32 v2, v9
	s_cbranch_vccnz .LBB3_1088
; %bb.1111:                             ;   in Loop: Header=BB3_1090 Depth=1
	global_load_dword v2, v[4:5], off offset:192
	s_branch .LBB3_1088
.LBB3_1112:
	v_lshl_add_u32 v2, v1, 6, v0
	s_xor_b64 s[0:1], s[24:25], -1
	v_lshlrev_b32_e32 v2, 2, v2
	ds_write_b32 v2, v12 offset:16384
	s_waitcnt lgkmcnt(0)
	s_barrier
	s_and_saveexec_b64 s[4:5], s[2:3]
	s_cbranch_execz .LBB3_1114
; %bb.1113:
	v_lshlrev_b32_e32 v5, 2, v0
	ds_read2st64_b32 v[3:4], v5 offset0:65 offset1:66
	ds_read2st64_b32 v[7:8], v5 offset0:67 offset1:68
	;; [unrolled: 1-line block ×5, first 2 shown]
	s_waitcnt lgkmcnt(4)
	v_add_f32_e32 v3, v12, v3
	v_add_f32_e32 v3, v3, v4
	s_waitcnt lgkmcnt(3)
	v_add_f32_e32 v3, v3, v7
	v_add_f32_e32 v3, v3, v8
	;; [unrolled: 3-line block ×4, first 2 shown]
	ds_read2st64_b32 v[3:4], v5 offset0:75 offset1:76
	ds_read2st64_b32 v[7:8], v5 offset0:77 offset1:78
	ds_read_b32 v5, v5 offset:20224
	s_waitcnt lgkmcnt(3)
	v_add_f32_e32 v9, v9, v15
	v_add_f32_e32 v9, v9, v16
	s_waitcnt lgkmcnt(2)
	v_add_f32_e32 v3, v9, v3
	v_add_f32_e32 v3, v3, v4
	;; [unrolled: 3-line block ×3, first 2 shown]
	s_waitcnt lgkmcnt(0)
	v_add_f32_e32 v3, v3, v5
	v_cndmask_b32_e64 v12, -v3, 0, s[16:17]
.LBB3_1114:
	s_or_b64 exec, exec, s[4:5]
	s_and_b64 vcc, exec, s[56:57]
	s_cbranch_vccnz .LBB3_1128
; %bb.1115:
	v_mov_b32_e32 v3, 0x5000
	v_lshl_or_b32 v4, v1, 2, v3
	s_and_saveexec_b64 s[4:5], s[2:3]
; %bb.1116:
	v_lshl_add_u32 v3, v0, 2, v4
	ds_write_b32 v3, v12
; %bb.1117:
	s_or_b64 exec, exec, s[4:5]
	v_cmp_le_u32_e32 vcc, v1, v0
	v_mov_b32_e32 v3, 0
	s_waitcnt lgkmcnt(0)
	s_barrier
	s_and_saveexec_b64 s[4:5], vcc
	s_cbranch_execz .LBB3_1119
; %bb.1118:
	ds_read_b32 v3, v2
	ds_read_b32 v5, v4
	s_waitcnt lgkmcnt(0)
	v_fma_f32 v3, v3, v5, 0
.LBB3_1119:
	s_or_b64 exec, exec, s[4:5]
	v_add_u32_e32 v5, 16, v1
	v_cmp_ge_u32_e32 vcc, v0, v5
	s_and_saveexec_b64 s[4:5], vcc
	s_cbranch_execz .LBB3_1121
; %bb.1120:
	ds_read_b32 v5, v2 offset:4096
	ds_read_b32 v7, v4 offset:64
	s_waitcnt lgkmcnt(0)
	v_fmac_f32_e32 v3, v5, v7
.LBB3_1121:
	s_or_b64 exec, exec, s[4:5]
	v_add_u32_e32 v5, 32, v1
	v_cmp_ge_u32_e32 vcc, v0, v5
	s_and_saveexec_b64 s[4:5], vcc
	s_cbranch_execz .LBB3_1123
; %bb.1122:
	ds_read_b32 v5, v2 offset:8192
	ds_read_b32 v7, v4 offset:128
	s_waitcnt lgkmcnt(0)
	v_fmac_f32_e32 v3, v5, v7
.LBB3_1123:
	s_or_b64 exec, exec, s[4:5]
	v_add_u32_e32 v1, 48, v1
	v_add_u32_e32 v5, 0x4000, v2
	v_cmp_ge_u32_e32 vcc, v0, v1
	s_and_saveexec_b64 s[4:5], vcc
	s_cbranch_execz .LBB3_1125
; %bb.1124:
	ds_read_b32 v1, v2 offset:12288
	ds_read_b32 v2, v4 offset:192
	s_waitcnt lgkmcnt(0)
	v_fmac_f32_e32 v3, v1, v2
.LBB3_1125:
	s_or_b64 exec, exec, s[4:5]
	s_mov_b64 s[8:9], 0
	s_mov_b64 s[4:5], 0
	ds_write_b32 v5, v3
	s_waitcnt lgkmcnt(0)
	s_barrier
                                        ; implicit-def: $vgpr4
                                        ; implicit-def: $vgpr1_vgpr2
	s_and_saveexec_b64 s[10:11], s[2:3]
	s_cbranch_execz .LBB3_1161
; %bb.1126:
	v_lshlrev_b32_e32 v13, 2, v0
	ds_read2st64_b32 v[1:2], v13 offset0:65 offset1:66
	ds_read2st64_b32 v[4:5], v13 offset0:67 offset1:68
	;; [unrolled: 1-line block ×4, first 2 shown]
	s_mov_b64 s[4:5], exec
	s_waitcnt lgkmcnt(3)
	v_add_f32_e32 v1, v3, v1
	v_add_f32_e32 v1, v2, v1
	s_waitcnt lgkmcnt(2)
	v_add_f32_e32 v1, v4, v1
	v_add_f32_e32 v1, v5, v1
	ds_read2st64_b32 v[2:3], v13 offset0:73 offset1:74
	s_waitcnt lgkmcnt(2)
	v_add_f32_e32 v1, v7, v1
	v_add_f32_e32 v1, v8, v1
	s_waitcnt lgkmcnt(1)
	v_add_f32_e32 v1, v9, v1
	v_add_f32_e32 v1, v10, v1
	ds_read2st64_b32 v[4:5], v13 offset0:75 offset1:76
	ds_read2st64_b32 v[7:8], v13 offset0:77 offset1:78
	ds_read_b32 v9, v13 offset:20224
	v_lshl_add_u32 v13, s6, 6, v11
	s_waitcnt lgkmcnt(3)
	v_add_f32_e32 v10, v2, v1
	v_mad_u64_u32 v[1:2], s[12:13], s50, v13, 0
	v_add_f32_e32 v3, v3, v10
	s_waitcnt lgkmcnt(2)
	v_add_f32_e32 v3, v4, v3
	v_add_f32_e32 v4, v5, v3
	v_mad_u64_u32 v[2:3], s[12:13], s51, v13, v[2:3]
	s_waitcnt lgkmcnt(1)
	v_add_f32_e32 v3, v7, v4
	v_add_f32_e32 v3, v8, v3
	s_waitcnt lgkmcnt(0)
	v_add_f32_e32 v4, v9, v3
	s_or_b64 exec, exec, s[10:11]
	s_and_b64 vcc, exec, s[8:9]
	s_cbranch_vccnz .LBB3_1129
	s_branch .LBB3_1162
.LBB3_1127:
	v_mad_u64_u32 v[12:13], s[2:3], s40, v5, 0
	s_or_b64 s[10:11], s[10:11], exec
	v_mov_b32_e32 v4, v13
	v_mad_u64_u32 v[4:5], s[2:3], s41, v5, v[4:5]
	v_mov_b32_e32 v13, v4
	v_lshlrev_b64 v[4:5], 2, v[12:13]
	v_add_co_u32_e32 v2, vcc, v2, v4
	v_addc_co_u32_e32 v3, vcc, v3, v5, vcc
	global_load_dword v2, v[2:3], off
	s_waitcnt vmcnt(0)
	v_xor_b32_e32 v4, 0x80000000, v2
	s_or_b64 exec, exec, s[8:9]
	s_xor_b64 s[0:1], s[0:1], -1
	s_and_saveexec_b64 s[2:3], s[10:11]
	s_cbranch_execnz .LBB3_45
	s_branch .LBB3_46
.LBB3_1128:
	s_mov_b64 s[4:5], 0
                                        ; implicit-def: $vgpr4
                                        ; implicit-def: $vgpr1_vgpr2
	s_cbranch_execz .LBB3_1162
.LBB3_1129:
	s_mov_b32 s10, 0
	v_mov_b32_e32 v1, 0
	v_mov_b32_e32 v2, v0
	s_branch .LBB3_1131
.LBB3_1130:                             ;   in Loop: Header=BB3_1131 Depth=1
	s_or_b64 exec, exec, s[8:9]
	s_add_i32 s10, s10, 4
	v_add_u32_e32 v6, 0x400, v6
	s_cmp_lg_u32 s10, 64
	v_add_u32_e32 v2, -4, v2
	s_barrier
	s_cbranch_scc0 .LBB3_1147
.LBB3_1131:                             ; =>This Inner Loop Header: Depth=1
	v_cmp_eq_u32_e32 vcc, 0, v2
	s_and_b64 s[12:13], s[2:3], vcc
	s_and_saveexec_b64 s[8:9], s[12:13]
; %bb.1132:                             ;   in Loop: Header=BB3_1131 Depth=1
	ds_write_b32 v1, v12 offset:20736
; %bb.1133:                             ;   in Loop: Header=BB3_1131 Depth=1
	s_or_b64 exec, exec, s[8:9]
	v_cmp_lt_u32_e32 vcc, s10, v0
	s_and_b64 s[12:13], s[2:3], vcc
	s_waitcnt lgkmcnt(0)
	s_barrier
	s_and_saveexec_b64 s[8:9], s[12:13]
	s_cbranch_execz .LBB3_1135
; %bb.1134:                             ;   in Loop: Header=BB3_1131 Depth=1
	ds_read_b32 v3, v6
	ds_read_b32 v4, v1 offset:20736
	s_waitcnt lgkmcnt(0)
	v_fmac_f32_e32 v12, v3, v4
.LBB3_1135:                             ;   in Loop: Header=BB3_1131 Depth=1
	s_or_b64 exec, exec, s[8:9]
	s_or_b32 s11, s10, 1
	v_cmp_eq_u32_e32 vcc, s11, v0
	s_and_b64 s[12:13], s[2:3], vcc
	s_barrier
	s_and_saveexec_b64 s[8:9], s[12:13]
; %bb.1136:                             ;   in Loop: Header=BB3_1131 Depth=1
	ds_write_b32 v1, v12 offset:20736
; %bb.1137:                             ;   in Loop: Header=BB3_1131 Depth=1
	s_or_b64 exec, exec, s[8:9]
	v_cmp_lt_u32_e32 vcc, s11, v0
	s_and_b64 s[12:13], s[2:3], vcc
	s_waitcnt lgkmcnt(0)
	s_barrier
	s_and_saveexec_b64 s[8:9], s[12:13]
	s_cbranch_execz .LBB3_1139
; %bb.1138:                             ;   in Loop: Header=BB3_1131 Depth=1
	ds_read_b32 v3, v6 offset:256
	ds_read_b32 v4, v1 offset:20736
	s_waitcnt lgkmcnt(0)
	v_fmac_f32_e32 v12, v3, v4
.LBB3_1139:                             ;   in Loop: Header=BB3_1131 Depth=1
	s_or_b64 exec, exec, s[8:9]
	s_or_b32 s11, s10, 2
	v_cmp_eq_u32_e32 vcc, s11, v0
	s_and_b64 s[12:13], s[2:3], vcc
	s_barrier
	s_and_saveexec_b64 s[8:9], s[12:13]
; %bb.1140:                             ;   in Loop: Header=BB3_1131 Depth=1
	ds_write_b32 v1, v12 offset:20736
; %bb.1141:                             ;   in Loop: Header=BB3_1131 Depth=1
	s_or_b64 exec, exec, s[8:9]
	v_cmp_lt_u32_e32 vcc, s11, v0
	s_and_b64 s[12:13], s[2:3], vcc
	s_waitcnt lgkmcnt(0)
	s_barrier
	s_and_saveexec_b64 s[8:9], s[12:13]
	s_cbranch_execz .LBB3_1143
; %bb.1142:                             ;   in Loop: Header=BB3_1131 Depth=1
	ds_read_b32 v3, v6 offset:512
	ds_read_b32 v4, v1 offset:20736
	s_waitcnt lgkmcnt(0)
	v_fmac_f32_e32 v12, v3, v4
.LBB3_1143:                             ;   in Loop: Header=BB3_1131 Depth=1
	s_or_b64 exec, exec, s[8:9]
	s_or_b32 s11, s10, 3
	v_cmp_eq_u32_e32 vcc, s11, v0
	s_and_b64 s[12:13], s[2:3], vcc
	s_barrier
	s_and_saveexec_b64 s[8:9], s[12:13]
; %bb.1144:                             ;   in Loop: Header=BB3_1131 Depth=1
	ds_write_b32 v1, v12 offset:20736
; %bb.1145:                             ;   in Loop: Header=BB3_1131 Depth=1
	s_or_b64 exec, exec, s[8:9]
	v_cmp_lt_u32_e32 vcc, s11, v0
	s_and_b64 s[12:13], s[2:3], vcc
	s_waitcnt lgkmcnt(0)
	s_barrier
	s_and_saveexec_b64 s[8:9], s[12:13]
	s_cbranch_execz .LBB3_1130
; %bb.1146:                             ;   in Loop: Header=BB3_1131 Depth=1
	ds_read_b32 v3, v6 offset:768
	ds_read_b32 v4, v1 offset:20736
	s_waitcnt lgkmcnt(0)
	v_fmac_f32_e32 v12, v3, v4
	s_branch .LBB3_1130
.LBB3_1147:
	s_and_b64 vcc, exec, s[0:1]
	s_cbranch_vccz .LBB3_1163
; %bb.1148:
	s_and_b64 s[0:1], s[2:3], exec
	s_cbranch_execz .LBB3_1164
	s_branch .LBB3_1165
.LBB3_1149:
	v_or_b32_e32 v11, v1, v0
	v_cmp_gt_u32_e32 vcc, 64, v11
	s_and_b64 s[10:11], vcc, exec
	s_andn2_saveexec_b64 s[8:9], s[8:9]
	s_cbranch_execz .LBB3_14
.LBB3_1150:
	v_mad_u64_u32 v[11:12], s[12:13], s40, v1, 0
	s_or_b64 s[10:11], s[10:11], exec
	v_mov_b32_e32 v5, v12
	v_mad_u64_u32 v[12:13], s[12:13], s41, v1, v[5:6]
	v_lshlrev_b64 v[11:12], 2, v[11:12]
	v_add_co_u32_e32 v11, vcc, v2, v11
	v_addc_co_u32_e32 v12, vcc, v3, v12, vcc
	global_load_dword v5, v[11:12], off
	s_waitcnt vmcnt(0)
	v_xor_b32_e32 v5, 0x80000000, v5
	s_or_b64 exec, exec, s[8:9]
	s_and_saveexec_b64 s[8:9], s[10:11]
	s_cbranch_execnz .LBB3_15
	s_branch .LBB3_16
.LBB3_1151:
	v_or_b32_e32 v11, v5, v0
	v_cmp_gt_u32_e32 vcc, 64, v11
	s_and_b64 s[2:3], vcc, exec
	s_or_saveexec_b64 s[8:9], s[8:9]
	v_mov_b32_e32 v11, 0
	s_xor_b64 exec, exec, s[8:9]
	s_cbranch_execz .LBB3_18
.LBB3_1152:
	v_mad_u64_u32 v[11:12], s[10:11], s40, v5, 0
	s_or_b64 s[2:3], s[2:3], exec
	v_mad_u64_u32 v[12:13], s[10:11], s41, v5, v[12:13]
	v_lshlrev_b64 v[11:12], 2, v[11:12]
	v_add_co_u32_e32 v11, vcc, v2, v11
	v_addc_co_u32_e32 v12, vcc, v3, v12, vcc
	global_load_dword v11, v[11:12], off
	s_waitcnt vmcnt(0)
	v_xor_b32_e32 v11, 0x80000000, v11
	s_or_b64 exec, exec, s[8:9]
	s_and_saveexec_b64 s[8:9], s[2:3]
	s_cbranch_execnz .LBB3_19
	s_branch .LBB3_20
.LBB3_1153:
	v_or_b32_e32 v11, v5, v0
	v_cmp_gt_u32_e32 vcc, 64, v11
	s_and_b64 s[2:3], vcc, exec
	s_or_saveexec_b64 s[8:9], s[8:9]
	v_mov_b32_e32 v11, 0
	s_xor_b64 exec, exec, s[8:9]
	s_cbranch_execz .LBB3_22
.LBB3_1154:
	v_mad_u64_u32 v[11:12], s[10:11], s40, v5, 0
	s_or_b64 s[2:3], s[2:3], exec
	v_mad_u64_u32 v[12:13], s[10:11], s41, v5, v[12:13]
	v_lshlrev_b64 v[11:12], 2, v[11:12]
	v_add_co_u32_e32 v11, vcc, v2, v11
	v_addc_co_u32_e32 v12, vcc, v3, v12, vcc
	global_load_dword v11, v[11:12], off
	s_waitcnt vmcnt(0)
	v_xor_b32_e32 v11, 0x80000000, v11
	s_or_b64 exec, exec, s[8:9]
	s_and_saveexec_b64 s[8:9], s[2:3]
	s_cbranch_execnz .LBB3_23
	s_branch .LBB3_24
.LBB3_1155:
	v_or_b32_e32 v11, v1, v0
	v_cmp_gt_u32_e64 s[2:3], 64, v11
	s_and_b64 s[8:9], s[2:3], exec
	s_andn2_saveexec_b64 s[12:13], s[12:13]
	s_cbranch_execz .LBB3_30
.LBB3_1156:
	v_mad_u64_u32 v[11:12], s[2:3], s40, v1, 0
	s_or_b64 s[8:9], s[8:9], exec
	v_mov_b32_e32 v5, v12
	v_mad_u64_u32 v[12:13], s[2:3], s41, v1, v[5:6]
	v_lshlrev_b64 v[11:12], 2, v[11:12]
	v_add_co_u32_e64 v11, s[2:3], v2, v11
	v_addc_co_u32_e64 v12, s[2:3], v3, v12, s[2:3]
	global_load_dword v5, v[11:12], off
	s_waitcnt vmcnt(0)
	v_xor_b32_e32 v5, 0x80000000, v5
	s_or_b64 exec, exec, s[12:13]
	s_and_saveexec_b64 s[2:3], s[8:9]
	s_cbranch_execnz .LBB3_31
	s_branch .LBB3_32
.LBB3_1157:
	v_or_b32_e32 v11, v5, v0
	v_cmp_gt_u32_e64 s[2:3], 64, v11
	s_and_b64 s[8:9], s[2:3], exec
	s_or_saveexec_b64 s[12:13], s[12:13]
	v_mov_b32_e32 v11, 0
	s_xor_b64 exec, exec, s[12:13]
	s_cbranch_execz .LBB3_34
.LBB3_1158:
	v_mad_u64_u32 v[11:12], s[2:3], s40, v5, 0
	s_or_b64 s[8:9], s[8:9], exec
	v_mad_u64_u32 v[12:13], s[2:3], s41, v5, v[12:13]
	v_lshlrev_b64 v[11:12], 2, v[11:12]
	v_add_co_u32_e64 v11, s[2:3], v2, v11
	v_addc_co_u32_e64 v12, s[2:3], v3, v12, s[2:3]
	global_load_dword v11, v[11:12], off
	s_waitcnt vmcnt(0)
	v_xor_b32_e32 v11, 0x80000000, v11
	s_or_b64 exec, exec, s[12:13]
	s_and_saveexec_b64 s[2:3], s[8:9]
	s_cbranch_execnz .LBB3_35
	s_branch .LBB3_36
.LBB3_1159:
	v_or_b32_e32 v11, v5, v0
	v_cmp_gt_u32_e64 s[2:3], 64, v11
	s_and_b64 s[8:9], s[2:3], exec
	s_or_saveexec_b64 s[12:13], s[12:13]
	v_mov_b32_e32 v11, 0
	s_xor_b64 exec, exec, s[12:13]
	s_cbranch_execz .LBB3_38
.LBB3_1160:
	v_mad_u64_u32 v[11:12], s[2:3], s40, v5, 0
	s_or_b64 s[8:9], s[8:9], exec
	v_mad_u64_u32 v[12:13], s[2:3], s41, v5, v[12:13]
	v_lshlrev_b64 v[11:12], 2, v[11:12]
	v_add_co_u32_e64 v11, s[2:3], v2, v11
	v_addc_co_u32_e64 v12, s[2:3], v3, v12, s[2:3]
	global_load_dword v11, v[11:12], off
	s_waitcnt vmcnt(0)
	v_xor_b32_e32 v11, 0x80000000, v11
	s_or_b64 exec, exec, s[12:13]
	s_and_saveexec_b64 s[2:3], s[8:9]
	s_cbranch_execnz .LBB3_39
	s_branch .LBB3_40
.LBB3_1161:
	s_or_b64 exec, exec, s[10:11]
	s_and_b64 vcc, exec, s[8:9]
	s_cbranch_vccnz .LBB3_1129
.LBB3_1162:
	v_mov_b32_e32 v12, v4
	s_and_saveexec_b64 s[0:1], s[4:5]
	s_cbranch_execnz .LBB3_1168
	s_branch .LBB3_1169
.LBB3_1163:
	s_mov_b64 s[0:1], 0
.LBB3_1164:
	v_cmp_gt_i32_e32 vcc, s7, v0
	s_and_b64 s[2:3], s[2:3], vcc
	s_andn2_b64 s[0:1], s[0:1], exec
	s_and_b64 s[2:3], s[2:3], exec
	s_or_b64 s[0:1], s[0:1], s[2:3]
.LBB3_1165:
                                        ; implicit-def: $vgpr1_vgpr2
	s_and_saveexec_b64 s[2:3], s[0:1]
	s_cbranch_execz .LBB3_1167
; %bb.1166:
	s_lshl_b32 s0, s6, 6
	s_ashr_i32 s1, s0, 31
	v_mov_b32_e32 v0, s1
	v_add_co_u32_e32 v1, vcc, s0, v11
	v_addc_co_u32_e32 v0, vcc, 0, v0, vcc
	v_mul_lo_u32 v0, v0, s50
	v_mul_lo_u32 v3, v1, s51
	v_mad_u64_u32 v[1:2], s[0:1], v1, s50, 0
	s_or_b64 s[4:5], s[4:5], exec
	v_add3_u32 v2, v2, v3, v0
.LBB3_1167:
	s_or_b64 exec, exec, s[2:3]
	s_and_saveexec_b64 s[0:1], s[4:5]
	s_cbranch_execz .LBB3_1169
.LBB3_1168:
	v_lshlrev_b64 v[0:1], 2, v[1:2]
	v_mov_b32_e32 v2, s21
	v_add_co_u32_e32 v0, vcc, s20, v0
	v_addc_co_u32_e32 v1, vcc, v2, v1, vcc
	global_store_dword v[0:1], v12, off
.LBB3_1169:
	s_or_b64 exec, exec, s[0:1]
	v_cmp_eq_u32_e32 vcc, 0, v11
	s_waitcnt vmcnt(0)
	buffer_wbinvl1_vol
	s_barrier
	s_and_saveexec_b64 s[0:1], vcc
	s_cbranch_execz .LBB3_1171
; %bb.1170:
	s_lshl_b64 s[2:3], s[22:23], 2
	s_add_u32 s2, s14, s2
	s_addc_u32 s3, s15, s3
	v_mov_b32_e32 v0, 0
	global_load_dword v1, v0, s[2:3]
	s_waitcnt vmcnt(0)
	v_add_u32_e32 v1, 1, v1
	global_store_dword v0, v1, s[2:3]
.LBB3_1171:
	s_or_b64 exec, exec, s[0:1]
	s_waitcnt vmcnt(0)
	buffer_wbinvl1_vol
	s_endpgm
.LBB3_1172:
	ds_read_b32 v17, v16 offset:15840
	ds_read_b32 v18, v15 offset:15604
	s_waitcnt lgkmcnt(0)
	v_fmac_f32_e32 v14, v17, v18
	s_or_b64 exec, exec, s[14:15]
	v_cmp_gt_u32_e64 s[10:11], 8, v5
	s_and_saveexec_b64 s[14:15], s[10:11]
	s_cbranch_execz .LBB3_68
.LBB3_1173:
	ds_read_b32 v16, v16 offset:16096
	ds_read_b32 v15, v15 offset:15608
	s_waitcnt lgkmcnt(0)
	v_fmac_f32_e32 v14, v16, v15
	s_or_b64 exec, exec, s[14:15]
	v_cmp_gt_u32_e64 s[10:11], 4, v5
	s_and_saveexec_b64 s[14:15], s[10:11]
	s_cbranch_execnz .LBB3_69
	s_branch .LBB3_70
.LBB3_1174:
	ds_read_b32 v20, v19 offset:14784
	ds_read_b32 v21, v18 offset:14564
	s_waitcnt lgkmcnt(0)
	v_fmac_f32_e32 v17, v20, v21
	s_or_b64 exec, exec, s[16:17]
	v_cmp_gt_u32_e64 s[14:15], 48, v5
	s_and_saveexec_b64 s[16:17], s[14:15]
	s_cbranch_execz .LBB3_110
.LBB3_1175:
	ds_read_b32 v20, v19 offset:15040
	ds_read_b32 v21, v18 offset:14568
	s_waitcnt lgkmcnt(0)
	v_fmac_f32_e32 v17, v20, v21
	s_or_b64 exec, exec, s[16:17]
	v_cmp_gt_u32_e64 s[14:15], 40, v5
	s_and_saveexec_b64 s[16:17], s[14:15]
	s_cbranch_execz .LBB3_111
.LBB3_1176:
	ds_read_b32 v20, v19 offset:15296
	ds_read_b32 v21, v18 offset:14572
	s_waitcnt lgkmcnt(0)
	v_fmac_f32_e32 v17, v20, v21
	s_or_b64 exec, exec, s[16:17]
	v_cmp_gt_u32_e64 s[14:15], 32, v5
	s_and_saveexec_b64 s[16:17], s[14:15]
	s_cbranch_execz .LBB3_112
.LBB3_1177:
	ds_read_b32 v20, v19 offset:15552
	ds_read_b32 v21, v18 offset:14576
	s_waitcnt lgkmcnt(0)
	v_fmac_f32_e32 v17, v20, v21
	s_or_b64 exec, exec, s[16:17]
	v_cmp_gt_u32_e64 s[14:15], 24, v5
	s_and_saveexec_b64 s[16:17], s[14:15]
	s_cbranch_execz .LBB3_113
.LBB3_1178:
	ds_read_b32 v20, v19 offset:15808
	ds_read_b32 v21, v18 offset:14580
	s_waitcnt lgkmcnt(0)
	v_fmac_f32_e32 v17, v20, v21
	s_or_b64 exec, exec, s[16:17]
	s_and_saveexec_b64 s[14:15], s[18:19]
	s_cbranch_execz .LBB3_114
.LBB3_1179:
	ds_read_b32 v19, v19 offset:16064
	ds_read_b32 v18, v18 offset:14584
	s_waitcnt lgkmcnt(0)
	v_fmac_f32_e32 v17, v19, v18
	s_or_b64 exec, exec, s[14:15]
	v_cmp_gt_u32_e64 s[14:15], 8, v5
	s_and_saveexec_b64 s[16:17], s[14:15]
	s_cbranch_execnz .LBB3_115
	s_branch .LBB3_116
.LBB3_1180:
	ds_read_b32 v20, v19 offset:13760
	ds_read_b32 v21, v18 offset:13524
	s_waitcnt lgkmcnt(0)
	v_fmac_f32_e32 v17, v20, v21
	s_or_b64 exec, exec, s[14:15]
	v_cmp_gt_u32_e64 s[10:11], 8, v5
	s_and_saveexec_b64 s[14:15], s[10:11]
	s_cbranch_execz .LBB3_172
.LBB3_1181:
	ds_read_b32 v19, v19 offset:14016
	ds_read_b32 v18, v18 offset:13528
	s_waitcnt lgkmcnt(0)
	v_fmac_f32_e32 v17, v19, v18
	s_or_b64 exec, exec, s[14:15]
	v_cmp_gt_u32_e64 s[10:11], 4, v5
	s_and_saveexec_b64 s[14:15], s[10:11]
	s_cbranch_execnz .LBB3_173
	s_branch .LBB3_174
.LBB3_1182:
	ds_read_b32 v23, v22 offset:15232
	ds_read_b32 v24, v21 offset:12524
	s_waitcnt lgkmcnt(0)
	v_fmac_f32_e32 v20, v23, v24
	s_or_b64 exec, exec, s[20:21]
	s_and_saveexec_b64 s[16:17], s[8:9]
	s_cbranch_execz .LBB3_234
.LBB3_1183:
	ds_read_b32 v23, v22 offset:15488
	ds_read_b32 v24, v21 offset:12528
	s_waitcnt lgkmcnt(0)
	v_fmac_f32_e32 v20, v23, v24
	s_or_b64 exec, exec, s[16:17]
	v_cmp_gt_u32_e64 s[16:17], 48, v5
	s_and_saveexec_b64 s[20:21], s[16:17]
	s_cbranch_execz .LBB3_235
.LBB3_1184:
	ds_read_b32 v23, v22 offset:15744
	ds_read_b32 v24, v21 offset:12532
	s_waitcnt lgkmcnt(0)
	v_fmac_f32_e32 v20, v23, v24
	s_or_b64 exec, exec, s[20:21]
	v_cmp_gt_u32_e64 s[16:17], 32, v5
	s_and_saveexec_b64 s[20:21], s[16:17]
	s_cbranch_execz .LBB3_236
.LBB3_1185:
	ds_read_b32 v22, v22 offset:16000
	ds_read_b32 v21, v21 offset:12536
	s_waitcnt lgkmcnt(0)
	v_fmac_f32_e32 v20, v22, v21
	s_or_b64 exec, exec, s[20:21]
	v_cmp_gt_u32_e64 s[16:17], 16, v5
	s_and_saveexec_b64 s[20:21], s[16:17]
	s_cbranch_execnz .LBB3_237
	s_branch .LBB3_238
.LBB3_1186:
	ds_read_b32 v23, v22 offset:11680
	ds_read_b32 v24, v21 offset:11444
	s_waitcnt lgkmcnt(0)
	v_fmac_f32_e32 v20, v23, v24
	s_or_b64 exec, exec, s[20:21]
	v_cmp_gt_u32_e64 s[14:15], 8, v5
	s_and_saveexec_b64 s[20:21], s[14:15]
	s_cbranch_execz .LBB3_326
.LBB3_1187:
	ds_read_b32 v22, v22 offset:11936
	ds_read_b32 v21, v21 offset:11448
	s_waitcnt lgkmcnt(0)
	v_fmac_f32_e32 v20, v22, v21
	s_or_b64 exec, exec, s[20:21]
	v_cmp_gt_u32_e64 s[14:15], 4, v5
	s_and_saveexec_b64 s[20:21], s[14:15]
	s_cbranch_execnz .LBB3_327
	s_branch .LBB3_328
.LBB3_1188:
	ds_read_b32 v23, v22 offset:10624
	ds_read_b32 v24, v21 offset:10404
	s_waitcnt lgkmcnt(0)
	v_fmac_f32_e32 v20, v23, v24
	s_or_b64 exec, exec, s[20:21]
	v_cmp_gt_u32_e64 s[14:15], 48, v5
	s_and_saveexec_b64 s[20:21], s[14:15]
	s_cbranch_execz .LBB3_368
.LBB3_1189:
	ds_read_b32 v23, v22 offset:10880
	ds_read_b32 v24, v21 offset:10408
	s_waitcnt lgkmcnt(0)
	v_fmac_f32_e32 v20, v23, v24
	s_or_b64 exec, exec, s[20:21]
	v_cmp_gt_u32_e64 s[14:15], 40, v5
	s_and_saveexec_b64 s[20:21], s[14:15]
	s_cbranch_execz .LBB3_369
.LBB3_1190:
	ds_read_b32 v23, v22 offset:11136
	ds_read_b32 v24, v21 offset:10412
	s_waitcnt lgkmcnt(0)
	v_fmac_f32_e32 v20, v23, v24
	s_or_b64 exec, exec, s[20:21]
	v_cmp_gt_u32_e64 s[14:15], 32, v5
	s_and_saveexec_b64 s[20:21], s[14:15]
	s_cbranch_execz .LBB3_370
.LBB3_1191:
	ds_read_b32 v23, v22 offset:11392
	ds_read_b32 v24, v21 offset:10416
	s_waitcnt lgkmcnt(0)
	v_fmac_f32_e32 v20, v23, v24
	s_or_b64 exec, exec, s[20:21]
	v_cmp_gt_u32_e64 s[14:15], 24, v5
	s_and_saveexec_b64 s[20:21], s[14:15]
	s_cbranch_execz .LBB3_371
.LBB3_1192:
	ds_read_b32 v23, v22 offset:11648
	ds_read_b32 v24, v21 offset:10420
	s_waitcnt lgkmcnt(0)
	v_fmac_f32_e32 v20, v23, v24
	s_or_b64 exec, exec, s[20:21]
	s_and_saveexec_b64 s[14:15], s[18:19]
	s_cbranch_execz .LBB3_372
.LBB3_1193:
	ds_read_b32 v22, v22 offset:11904
	ds_read_b32 v21, v21 offset:10424
	s_waitcnt lgkmcnt(0)
	v_fmac_f32_e32 v20, v22, v21
	s_or_b64 exec, exec, s[14:15]
	v_cmp_gt_u32_e64 s[14:15], 8, v5
	s_and_saveexec_b64 s[20:21], s[14:15]
	s_cbranch_execnz .LBB3_373
	s_branch .LBB3_374
.LBB3_1194:
	ds_read_b32 v23, v22 offset:9600
	ds_read_b32 v24, v21 offset:9364
	s_waitcnt lgkmcnt(0)
	v_fmac_f32_e32 v20, v23, v24
	s_or_b64 exec, exec, s[20:21]
	v_cmp_gt_u32_e64 s[14:15], 8, v5
	s_and_saveexec_b64 s[20:21], s[14:15]
	s_cbranch_execz .LBB3_430
.LBB3_1195:
	ds_read_b32 v22, v22 offset:9856
	ds_read_b32 v21, v21 offset:9368
	s_waitcnt lgkmcnt(0)
	v_fmac_f32_e32 v20, v22, v21
	s_or_b64 exec, exec, s[20:21]
	v_cmp_gt_u32_e64 s[14:15], 4, v5
	s_and_saveexec_b64 s[20:21], s[14:15]
	s_cbranch_execnz .LBB3_431
	s_branch .LBB3_432
.LBB3_1196:
	ds_read_b32 v26, v25 offset:15616
	ds_read_b32 v27, v24 offset:8436
	s_waitcnt lgkmcnt(0)
	v_fmac_f32_e32 v22, v26, v27
	s_or_b64 exec, exec, s[94:95]
	s_and_saveexec_b64 s[20:21], s[8:9]
	s_cbranch_execz .LBB3_528
.LBB3_1197:
	ds_read_b32 v25, v25 offset:15872
	ds_read_b32 v24, v24 offset:8440
	s_waitcnt lgkmcnt(0)
	v_fmac_f32_e32 v22, v25, v24
	s_or_b64 exec, exec, s[20:21]
	v_cmp_gt_u32_e64 s[20:21], 32, v5
	s_and_saveexec_b64 s[94:95], s[20:21]
	s_cbranch_execnz .LBB3_529
	s_branch .LBB3_530
.LBB3_1198:
	ds_read_b32 v23, v22 offset:7520
	ds_read_b32 v24, v21 offset:7284
	s_waitcnt lgkmcnt(0)
	v_fmac_f32_e32 v20, v23, v24
	s_or_b64 exec, exec, s[16:17]
	v_cmp_gt_u32_e64 s[12:13], 8, v5
	s_and_saveexec_b64 s[16:17], s[12:13]
	s_cbranch_execz .LBB3_682
.LBB3_1199:
	ds_read_b32 v22, v22 offset:7776
	ds_read_b32 v21, v21 offset:7288
	s_waitcnt lgkmcnt(0)
	v_fmac_f32_e32 v20, v22, v21
	s_or_b64 exec, exec, s[16:17]
	v_cmp_gt_u32_e64 s[12:13], 4, v5
	s_and_saveexec_b64 s[16:17], s[12:13]
	s_cbranch_execnz .LBB3_683
	s_branch .LBB3_684
.LBB3_1200:
	ds_read_b32 v23, v22 offset:6464
	ds_read_b32 v24, v21 offset:6244
	s_waitcnt lgkmcnt(0)
	v_fmac_f32_e32 v20, v23, v24
	s_or_b64 exec, exec, s[16:17]
	v_cmp_gt_u32_e64 s[12:13], 48, v5
	s_and_saveexec_b64 s[16:17], s[12:13]
	s_cbranch_execz .LBB3_724
.LBB3_1201:
	ds_read_b32 v23, v22 offset:6720
	ds_read_b32 v24, v21 offset:6248
	s_waitcnt lgkmcnt(0)
	v_fmac_f32_e32 v20, v23, v24
	s_or_b64 exec, exec, s[16:17]
	v_cmp_gt_u32_e64 s[12:13], 40, v5
	s_and_saveexec_b64 s[16:17], s[12:13]
	s_cbranch_execz .LBB3_725
.LBB3_1202:
	ds_read_b32 v23, v22 offset:6976
	ds_read_b32 v24, v21 offset:6252
	s_waitcnt lgkmcnt(0)
	v_fmac_f32_e32 v20, v23, v24
	s_or_b64 exec, exec, s[16:17]
	v_cmp_gt_u32_e64 s[12:13], 32, v5
	s_and_saveexec_b64 s[16:17], s[12:13]
	s_cbranch_execz .LBB3_726
.LBB3_1203:
	ds_read_b32 v23, v22 offset:7232
	ds_read_b32 v24, v21 offset:6256
	s_waitcnt lgkmcnt(0)
	v_fmac_f32_e32 v20, v23, v24
	s_or_b64 exec, exec, s[16:17]
	v_cmp_gt_u32_e64 s[12:13], 24, v5
	s_and_saveexec_b64 s[16:17], s[12:13]
	s_cbranch_execz .LBB3_727
.LBB3_1204:
	ds_read_b32 v23, v22 offset:7488
	ds_read_b32 v24, v21 offset:6260
	s_waitcnt lgkmcnt(0)
	v_fmac_f32_e32 v20, v23, v24
	s_or_b64 exec, exec, s[16:17]
	s_and_saveexec_b64 s[12:13], s[18:19]
	s_cbranch_execz .LBB3_728
.LBB3_1205:
	ds_read_b32 v22, v22 offset:7744
	ds_read_b32 v21, v21 offset:6264
	s_waitcnt lgkmcnt(0)
	v_fmac_f32_e32 v20, v22, v21
	s_or_b64 exec, exec, s[12:13]
	v_cmp_gt_u32_e64 s[12:13], 8, v5
	s_and_saveexec_b64 s[16:17], s[12:13]
	s_cbranch_execnz .LBB3_729
	s_branch .LBB3_730
.LBB3_1206:
	ds_read_b32 v23, v22 offset:5440
	ds_read_b32 v24, v21 offset:5204
	s_waitcnt lgkmcnt(0)
	v_fmac_f32_e32 v20, v23, v24
	s_or_b64 exec, exec, s[16:17]
	v_cmp_gt_u32_e64 s[12:13], 8, v5
	s_and_saveexec_b64 s[16:17], s[12:13]
	s_cbranch_execz .LBB3_786
.LBB3_1207:
	ds_read_b32 v22, v22 offset:5696
	ds_read_b32 v21, v21 offset:5208
	s_waitcnt lgkmcnt(0)
	v_fmac_f32_e32 v20, v22, v21
	s_or_b64 exec, exec, s[16:17]
	v_cmp_gt_u32_e64 s[12:13], 4, v5
	s_and_saveexec_b64 s[16:17], s[12:13]
	s_cbranch_execnz .LBB3_787
	s_branch .LBB3_788
.LBB3_1208:
	ds_read_b32 v23, v22 offset:6912
	ds_read_b32 v24, v21 offset:4204
	s_waitcnt lgkmcnt(0)
	v_fmac_f32_e32 v20, v23, v24
	s_or_b64 exec, exec, s[16:17]
	s_and_saveexec_b64 s[12:13], s[8:9]
	s_cbranch_execz .LBB3_848
.LBB3_1209:
	ds_read_b32 v23, v22 offset:7168
	ds_read_b32 v24, v21 offset:4208
	s_waitcnt lgkmcnt(0)
	v_fmac_f32_e32 v20, v23, v24
	s_or_b64 exec, exec, s[12:13]
	v_cmp_gt_u32_e64 s[12:13], 48, v5
	s_and_saveexec_b64 s[16:17], s[12:13]
	s_cbranch_execz .LBB3_849
.LBB3_1210:
	ds_read_b32 v23, v22 offset:7424
	ds_read_b32 v24, v21 offset:4212
	s_waitcnt lgkmcnt(0)
	v_fmac_f32_e32 v20, v23, v24
	s_or_b64 exec, exec, s[16:17]
	v_cmp_gt_u32_e64 s[12:13], 32, v5
	s_and_saveexec_b64 s[16:17], s[12:13]
	s_cbranch_execz .LBB3_850
.LBB3_1211:
	ds_read_b32 v22, v22 offset:7680
	ds_read_b32 v21, v21 offset:4216
	s_waitcnt lgkmcnt(0)
	v_fmac_f32_e32 v20, v22, v21
	s_or_b64 exec, exec, s[16:17]
	v_cmp_gt_u32_e64 s[12:13], 16, v5
	s_and_saveexec_b64 s[16:17], s[12:13]
	s_cbranch_execnz .LBB3_851
	s_branch .LBB3_852
.LBB3_1212:
	ds_read_b32 v20, v19 offset:3360
	ds_read_b32 v21, v18 offset:3124
	s_waitcnt lgkmcnt(0)
	v_fmac_f32_e32 v17, v20, v21
	s_or_b64 exec, exec, s[12:13]
	v_cmp_gt_u32_e64 s[10:11], 8, v5
	s_and_saveexec_b64 s[12:13], s[10:11]
	s_cbranch_execz .LBB3_940
.LBB3_1213:
	ds_read_b32 v19, v19 offset:3616
	ds_read_b32 v18, v18 offset:3128
	s_waitcnt lgkmcnt(0)
	v_fmac_f32_e32 v17, v19, v18
	s_or_b64 exec, exec, s[12:13]
	v_cmp_gt_u32_e64 s[10:11], 4, v5
	s_and_saveexec_b64 s[12:13], s[10:11]
	s_cbranch_execnz .LBB3_941
	s_branch .LBB3_942
.LBB3_1214:
	ds_read_b32 v20, v19 offset:2304
	ds_read_b32 v21, v18 offset:2084
	s_waitcnt lgkmcnt(0)
	v_fmac_f32_e32 v17, v20, v21
	s_or_b64 exec, exec, s[12:13]
	v_cmp_gt_u32_e64 s[10:11], 48, v5
	s_and_saveexec_b64 s[12:13], s[10:11]
	s_cbranch_execz .LBB3_982
.LBB3_1215:
	ds_read_b32 v20, v19 offset:2560
	ds_read_b32 v21, v18 offset:2088
	s_waitcnt lgkmcnt(0)
	v_fmac_f32_e32 v17, v20, v21
	s_or_b64 exec, exec, s[12:13]
	v_cmp_gt_u32_e64 s[10:11], 40, v5
	s_and_saveexec_b64 s[12:13], s[10:11]
	s_cbranch_execz .LBB3_983
.LBB3_1216:
	ds_read_b32 v20, v19 offset:2816
	ds_read_b32 v21, v18 offset:2092
	s_waitcnt lgkmcnt(0)
	v_fmac_f32_e32 v17, v20, v21
	s_or_b64 exec, exec, s[12:13]
	v_cmp_gt_u32_e64 s[10:11], 32, v5
	s_and_saveexec_b64 s[12:13], s[10:11]
	s_cbranch_execz .LBB3_984
.LBB3_1217:
	ds_read_b32 v20, v19 offset:3072
	ds_read_b32 v21, v18 offset:2096
	s_waitcnt lgkmcnt(0)
	v_fmac_f32_e32 v17, v20, v21
	s_or_b64 exec, exec, s[12:13]
	v_cmp_gt_u32_e64 s[10:11], 24, v5
	s_and_saveexec_b64 s[12:13], s[10:11]
	s_cbranch_execz .LBB3_985
.LBB3_1218:
	ds_read_b32 v20, v19 offset:3328
	ds_read_b32 v21, v18 offset:2100
	s_waitcnt lgkmcnt(0)
	v_fmac_f32_e32 v17, v20, v21
	s_or_b64 exec, exec, s[12:13]
	s_and_saveexec_b64 s[10:11], s[18:19]
	s_cbranch_execz .LBB3_986
.LBB3_1219:
	ds_read_b32 v19, v19 offset:3584
	ds_read_b32 v18, v18 offset:2104
	s_waitcnt lgkmcnt(0)
	v_fmac_f32_e32 v17, v19, v18
	s_or_b64 exec, exec, s[10:11]
	v_cmp_gt_u32_e64 s[10:11], 8, v5
	s_and_saveexec_b64 s[12:13], s[10:11]
	s_cbranch_execnz .LBB3_987
	s_branch .LBB3_988
.LBB3_1220:
	ds_read_b32 v17, v16 offset:1280
	ds_read_b32 v18, v15 offset:1044
	s_waitcnt lgkmcnt(0)
	v_fmac_f32_e32 v14, v17, v18
	s_or_b64 exec, exec, s[10:11]
	v_cmp_gt_u32_e64 s[8:9], 8, v5
	s_and_saveexec_b64 s[10:11], s[8:9]
	s_cbranch_execz .LBB3_1044
.LBB3_1221:
	ds_read_b32 v16, v16 offset:1536
	ds_read_b32 v15, v15 offset:1048
	s_waitcnt lgkmcnt(0)
	v_fmac_f32_e32 v14, v16, v15
	s_or_b64 exec, exec, s[10:11]
	v_cmp_gt_u32_e64 s[8:9], 4, v5
	s_and_saveexec_b64 s[10:11], s[8:9]
	s_cbranch_execnz .LBB3_1045
	s_branch .LBB3_1046
	.section	.rodata,"a",@progbits
	.p2align	6, 0x0
	.amdhsa_kernel _ZL19rocblas_trsv_deviceILi64ELi16ELb0ELb1ELb1ELb1EfPKfS1_PfEviT7_lllT6_T8_lllPii
		.amdhsa_group_segment_fixed_size 20740
		.amdhsa_private_segment_fixed_size 0
		.amdhsa_kernarg_size 352
		.amdhsa_user_sgpr_count 6
		.amdhsa_user_sgpr_private_segment_buffer 1
		.amdhsa_user_sgpr_dispatch_ptr 0
		.amdhsa_user_sgpr_queue_ptr 0
		.amdhsa_user_sgpr_kernarg_segment_ptr 1
		.amdhsa_user_sgpr_dispatch_id 0
		.amdhsa_user_sgpr_flat_scratch_init 0
		.amdhsa_user_sgpr_private_segment_size 0
		.amdhsa_uses_dynamic_stack 0
		.amdhsa_system_sgpr_private_segment_wavefront_offset 0
		.amdhsa_system_sgpr_workgroup_id_x 1
		.amdhsa_system_sgpr_workgroup_id_y 0
		.amdhsa_system_sgpr_workgroup_id_z 1
		.amdhsa_system_sgpr_workgroup_info 0
		.amdhsa_system_vgpr_workitem_id 1
		.amdhsa_next_free_vgpr 29
		.amdhsa_next_free_sgpr 96
		.amdhsa_reserve_vcc 1
		.amdhsa_reserve_flat_scratch 0
		.amdhsa_float_round_mode_32 0
		.amdhsa_float_round_mode_16_64 0
		.amdhsa_float_denorm_mode_32 3
		.amdhsa_float_denorm_mode_16_64 3
		.amdhsa_dx10_clamp 1
		.amdhsa_ieee_mode 1
		.amdhsa_fp16_overflow 0
		.amdhsa_exception_fp_ieee_invalid_op 0
		.amdhsa_exception_fp_denorm_src 0
		.amdhsa_exception_fp_ieee_div_zero 0
		.amdhsa_exception_fp_ieee_overflow 0
		.amdhsa_exception_fp_ieee_underflow 0
		.amdhsa_exception_fp_ieee_inexact 0
		.amdhsa_exception_int_div_zero 0
	.end_amdhsa_kernel
	.section	.text._ZL19rocblas_trsv_deviceILi64ELi16ELb0ELb1ELb1ELb1EfPKfS1_PfEviT7_lllT6_T8_lllPii,"axG",@progbits,_ZL19rocblas_trsv_deviceILi64ELi16ELb0ELb1ELb1ELb1EfPKfS1_PfEviT7_lllT6_T8_lllPii,comdat
.Lfunc_end3:
	.size	_ZL19rocblas_trsv_deviceILi64ELi16ELb0ELb1ELb1ELb1EfPKfS1_PfEviT7_lllT6_T8_lllPii, .Lfunc_end3-_ZL19rocblas_trsv_deviceILi64ELi16ELb0ELb1ELb1ELb1EfPKfS1_PfEviT7_lllT6_T8_lllPii
                                        ; -- End function
	.set _ZL19rocblas_trsv_deviceILi64ELi16ELb0ELb1ELb1ELb1EfPKfS1_PfEviT7_lllT6_T8_lllPii.num_vgpr, 29
	.set _ZL19rocblas_trsv_deviceILi64ELi16ELb0ELb1ELb1ELb1EfPKfS1_PfEviT7_lllT6_T8_lllPii.num_agpr, 0
	.set _ZL19rocblas_trsv_deviceILi64ELi16ELb0ELb1ELb1ELb1EfPKfS1_PfEviT7_lllT6_T8_lllPii.numbered_sgpr, 96
	.set _ZL19rocblas_trsv_deviceILi64ELi16ELb0ELb1ELb1ELb1EfPKfS1_PfEviT7_lllT6_T8_lllPii.num_named_barrier, 0
	.set _ZL19rocblas_trsv_deviceILi64ELi16ELb0ELb1ELb1ELb1EfPKfS1_PfEviT7_lllT6_T8_lllPii.private_seg_size, 0
	.set _ZL19rocblas_trsv_deviceILi64ELi16ELb0ELb1ELb1ELb1EfPKfS1_PfEviT7_lllT6_T8_lllPii.uses_vcc, 1
	.set _ZL19rocblas_trsv_deviceILi64ELi16ELb0ELb1ELb1ELb1EfPKfS1_PfEviT7_lllT6_T8_lllPii.uses_flat_scratch, 0
	.set _ZL19rocblas_trsv_deviceILi64ELi16ELb0ELb1ELb1ELb1EfPKfS1_PfEviT7_lllT6_T8_lllPii.has_dyn_sized_stack, 0
	.set _ZL19rocblas_trsv_deviceILi64ELi16ELb0ELb1ELb1ELb1EfPKfS1_PfEviT7_lllT6_T8_lllPii.has_recursion, 0
	.set _ZL19rocblas_trsv_deviceILi64ELi16ELb0ELb1ELb1ELb1EfPKfS1_PfEviT7_lllT6_T8_lllPii.has_indirect_call, 0
	.section	.AMDGPU.csdata,"",@progbits
; Kernel info:
; codeLenInByte = 35128
; TotalNumSgprs: 100
; NumVgprs: 29
; ScratchSize: 0
; MemoryBound: 0
; FloatMode: 240
; IeeeMode: 1
; LDSByteSize: 20740 bytes/workgroup (compile time only)
; SGPRBlocks: 12
; VGPRBlocks: 7
; NumSGPRsForWavesPerEU: 100
; NumVGPRsForWavesPerEU: 29
; Occupancy: 8
; WaveLimiterHint : 0
; COMPUTE_PGM_RSRC2:SCRATCH_EN: 0
; COMPUTE_PGM_RSRC2:USER_SGPR: 6
; COMPUTE_PGM_RSRC2:TRAP_HANDLER: 0
; COMPUTE_PGM_RSRC2:TGID_X_EN: 1
; COMPUTE_PGM_RSRC2:TGID_Y_EN: 0
; COMPUTE_PGM_RSRC2:TGID_Z_EN: 1
; COMPUTE_PGM_RSRC2:TIDIG_COMP_CNT: 1
	.section	.text._ZL19rocblas_trsv_deviceILi64ELi16ELb0ELb0ELb0ELb0EfPKfS1_PfEviT7_lllT6_T8_lllPii,"axG",@progbits,_ZL19rocblas_trsv_deviceILi64ELi16ELb0ELb0ELb0ELb0EfPKfS1_PfEviT7_lllT6_T8_lllPii,comdat
	.globl	_ZL19rocblas_trsv_deviceILi64ELi16ELb0ELb0ELb0ELb0EfPKfS1_PfEviT7_lllT6_T8_lllPii ; -- Begin function _ZL19rocblas_trsv_deviceILi64ELi16ELb0ELb0ELb0ELb0EfPKfS1_PfEviT7_lllT6_T8_lllPii
	.p2align	8
	.type	_ZL19rocblas_trsv_deviceILi64ELi16ELb0ELb0ELb0ELb0EfPKfS1_PfEviT7_lllT6_T8_lllPii,@function
_ZL19rocblas_trsv_deviceILi64ELi16ELb0ELb0ELb0ELb0EfPKfS1_PfEviT7_lllT6_T8_lllPii: ; @_ZL19rocblas_trsv_deviceILi64ELi16ELb0ELb0ELb0ELb0EfPKfS1_PfEviT7_lllT6_T8_lllPii
; %bb.0:
	s_load_dwordx16 s[16:31], s[4:5], 0x8
	s_load_dword s36, s[4:5], 0x0
	s_mov_b32 s34, s7
	v_mov_b32_e32 v2, v1
	s_mov_b32 s35, 0
	s_waitcnt lgkmcnt(0)
	s_mul_i32 s0, s23, s7
	s_mul_hi_u32 s1, s22, s7
	s_add_i32 s1, s1, s0
	s_mul_i32 s0, s22, s7
	s_load_dword s7, s[4:5], 0x60
	s_lshl_b64 s[0:1], s[0:1], 2
	s_add_u32 s2, s16, s0
	s_addc_u32 s3, s17, s1
	s_lshl_b64 s[0:1], s[18:19], 2
	s_load_dword s43, s[24:25], 0x0
	s_load_dword s42, s[4:5], 0x6c
	s_add_u32 s83, s2, s0
	s_addc_u32 s84, s3, s1
	s_waitcnt lgkmcnt(0)
	s_add_i32 s7, s7, -1
	s_sub_i32 s85, s7, s6
	s_cmp_lg_u32 s6, 0
	s_cbranch_scc0 .LBB4_1102
; %bb.1:
	s_lshl_b32 s33, s85, 6
	v_add3_u32 v1, v2, s33, 64
	v_ashrrev_i32_e32 v3, 31, v1
	v_mul_lo_u32 v7, s20, v3
	v_mul_lo_u32 v8, s21, v1
	v_mad_u64_u32 v[3:4], s[0:1], s20, v1, 0
	v_add_u32_e32 v5, s33, v0
	v_ashrrev_i32_e32 v6, 31, v5
	v_add3_u32 v4, v4, v7, v8
	v_lshlrev_b64 v[3:4], 2, v[3:4]
	v_mov_b32_e32 v7, s84
	v_add_co_u32_e64 v8, s[0:1], s83, v3
	v_addc_co_u32_e64 v7, s[0:1], v7, v4, s[0:1]
	v_lshlrev_b64 v[3:4], 2, v[5:6]
	v_cmp_gt_i32_e32 vcc, s36, v5
	v_add_co_u32_e64 v3, s[0:1], v8, v3
	v_addc_co_u32_e64 v4, s[0:1], v7, v4, s[0:1]
	v_cmp_gt_i32_e64 s[0:1], s36, v1
	s_and_b64 s[2:3], vcc, s[0:1]
	v_mov_b32_e32 v8, 0
	v_mov_b32_e32 v7, 0
	s_barrier
	s_and_saveexec_b64 s[0:1], s[2:3]
	s_cbranch_execz .LBB4_3
; %bb.2:
	global_load_dword v7, v[3:4], off
.LBB4_3:
	s_or_b64 exec, exec, s[0:1]
	v_add_u32_e32 v5, 16, v1
	v_cmp_gt_i32_e64 s[0:1], s36, v5
	s_and_b64 s[0:1], vcc, s[0:1]
	s_waitcnt vmcnt(0)
	s_barrier
	s_and_saveexec_b64 s[2:3], s[0:1]
	s_cbranch_execz .LBB4_5
; %bb.4:
	s_lshl_b64 s[0:1], s[20:21], 6
	v_mov_b32_e32 v6, s1
	v_add_co_u32_e64 v5, s[0:1], s0, v3
	v_addc_co_u32_e64 v6, s[0:1], v4, v6, s[0:1]
	global_load_dword v8, v[5:6], off
.LBB4_5:
	s_or_b64 exec, exec, s[2:3]
	v_add_u32_e32 v5, 32, v1
	v_cmp_gt_i32_e64 s[0:1], s36, v5
	s_and_b64 s[0:1], vcc, s[0:1]
	v_mov_b32_e32 v9, 0
	v_mov_b32_e32 v10, 0
	s_waitcnt vmcnt(0)
	s_barrier
	s_and_saveexec_b64 s[2:3], s[0:1]
	s_cbranch_execz .LBB4_7
; %bb.6:
	s_lshl_b64 s[0:1], s[20:21], 7
	v_mov_b32_e32 v6, s1
	v_add_co_u32_e64 v5, s[0:1], s0, v3
	v_addc_co_u32_e64 v6, s[0:1], v4, v6, s[0:1]
	global_load_dword v10, v[5:6], off
.LBB4_7:
	s_or_b64 exec, exec, s[2:3]
	v_add_u32_e32 v1, 48, v1
	v_cmp_gt_i32_e64 s[0:1], s36, v1
	s_and_b64 s[2:3], vcc, s[0:1]
	s_waitcnt vmcnt(0)
	s_barrier
	s_and_saveexec_b64 s[0:1], s[2:3]
	s_cbranch_execz .LBB4_9
; %bb.8:
	v_mov_b32_e32 v1, 0xc0
	v_mad_u64_u32 v[3:4], s[2:3], s20, v1, v[3:4]
	s_mul_i32 s2, s21, 0xc0
	v_add_u32_e32 v4, s2, v4
	global_load_dword v9, v[3:4], off
.LBB4_9:
	s_or_b64 exec, exec, s[0:1]
	s_branch .LBB4_11
.LBB4_10:
	s_lshl_b32 s33, s85, 6
                                        ; implicit-def: $vgpr7
                                        ; implicit-def: $vgpr8
                                        ; implicit-def: $vgpr10
                                        ; implicit-def: $vgpr9
.LBB4_11:
	s_ashr_i32 s37, s36, 31
	s_lshr_b32 s0, s37, 26
	s_add_i32 s0, s36, s0
	s_andn2_b32 s0, s0, 63
	s_sub_i32 s82, s36, s0
	s_add_i32 s0, s36, -1
	s_ashr_i32 s1, s0, 31
	s_lshr_b32 s1, s1, 26
	s_add_i32 s0, s0, s1
	s_ashr_i32 s0, s0, 6
	s_cmp_eq_u32 s0, s85
	s_cselect_b64 s[0:1], -1, 0
	s_cmp_lg_u32 s82, 0
	s_cselect_b64 s[2:3], -1, 0
	s_and_b64 s[18:19], s[2:3], s[0:1]
	s_ashr_i32 s52, s33, 31
	s_add_u32 s8, s20, 1
	v_mov_b32_e32 v1, 0
	v_mov_b32_e32 v3, s33
	v_mad_u64_u32 v[3:4], s[0:1], s8, v3, v[0:1]
	s_addc_u32 s9, s21, 0
	s_mul_i32 s0, s8, s52
	s_mul_i32 s9, s9, s33
	s_add_i32 s0, s0, s9
	s_mov_b64 s[2:3], -1
	v_add_u32_e32 v4, s0, v4
	s_and_b64 vcc, exec, s[18:19]
	v_cmp_le_u32_e64 s[0:1], v2, v0
	s_cbranch_vccnz .LBB4_33
; %bb.12:
	v_mad_u64_u32 v[5:6], s[2:3], s20, v2, v[3:4]
	v_mov_b32_e32 v1, v6
	v_mad_u64_u32 v[11:12], s[2:3], s21, v2, v[1:2]
	s_mov_b64 s[2:3], 0
                                        ; implicit-def: $vgpr1
	v_mov_b32_e32 v6, v11
	s_and_saveexec_b64 s[8:9], s[0:1]
	s_xor_b64 s[0:1], exec, s[8:9]
	s_cbranch_execnz .LBB4_1103
; %bb.13:
	s_andn2_saveexec_b64 s[0:1], s[0:1]
	s_cbranch_execnz .LBB4_1108
.LBB4_14:
	s_or_b64 exec, exec, s[0:1]
	s_and_saveexec_b64 s[0:1], s[2:3]
.LBB4_15:
	v_lshlrev_b32_e32 v5, 2, v0
	v_lshl_add_u32 v5, v2, 8, v5
	ds_write_b32 v5, v1
.LBB4_16:
	s_or_b64 exec, exec, s[0:1]
	v_add_u32_e32 v1, 16, v2
	v_mad_u64_u32 v[5:6], s[0:1], s20, v1, v[3:4]
	v_cmp_le_u32_e32 vcc, v1, v0
	s_mov_b64 s[2:3], 0
	v_mad_u64_u32 v[11:12], s[0:1], s21, v1, v[6:7]
	v_mov_b32_e32 v6, v11
                                        ; implicit-def: $vgpr11
	s_and_saveexec_b64 s[0:1], vcc
	s_xor_b64 s[0:1], exec, s[0:1]
	s_cbranch_execnz .LBB4_1109
; %bb.17:
	s_andn2_saveexec_b64 s[0:1], s[0:1]
	s_cbranch_execnz .LBB4_1114
.LBB4_18:
	s_or_b64 exec, exec, s[0:1]
	s_and_saveexec_b64 s[0:1], s[2:3]
.LBB4_19:
	v_lshlrev_b32_e32 v5, 2, v0
	v_lshl_add_u32 v1, v1, 8, v5
	ds_write_b32 v1, v11
.LBB4_20:
	s_or_b64 exec, exec, s[0:1]
	v_add_u32_e32 v1, 32, v2
	v_mad_u64_u32 v[5:6], s[0:1], s20, v1, v[3:4]
	v_cmp_le_u32_e32 vcc, v1, v0
	s_mov_b64 s[2:3], 0
	v_mad_u64_u32 v[11:12], s[0:1], s21, v1, v[6:7]
	v_mov_b32_e32 v6, v11
                                        ; implicit-def: $vgpr11
	s_and_saveexec_b64 s[0:1], vcc
	s_xor_b64 s[0:1], exec, s[0:1]
	s_cbranch_execnz .LBB4_1115
; %bb.21:
	s_andn2_saveexec_b64 s[0:1], s[0:1]
	s_cbranch_execnz .LBB4_1120
.LBB4_22:
	s_or_b64 exec, exec, s[0:1]
	s_and_saveexec_b64 s[0:1], s[2:3]
.LBB4_23:
	v_lshlrev_b32_e32 v5, 2, v0
	v_lshl_add_u32 v1, v1, 8, v5
	ds_write_b32 v1, v11
.LBB4_24:
	s_or_b64 exec, exec, s[0:1]
	v_add_u32_e32 v1, 48, v2
	v_mad_u64_u32 v[5:6], s[0:1], s20, v1, v[3:4]
	v_cmp_le_u32_e32 vcc, v1, v0
	s_mov_b64 s[8:9], 0
	v_mad_u64_u32 v[11:12], s[0:1], s21, v1, v[6:7]
	v_mov_b32_e32 v6, v11
                                        ; implicit-def: $vgpr11
	s_and_saveexec_b64 s[0:1], vcc
	s_xor_b64 s[0:1], exec, s[0:1]
	s_cbranch_execz .LBB4_30
; %bb.25:
	v_cmp_ne_u32_e32 vcc, v0, v1
	s_mov_b64 s[2:3], 0
	s_and_saveexec_b64 s[8:9], vcc
	s_xor_b64 s[8:9], exec, s[8:9]
; %bb.26:
	v_or_b32_e32 v5, v1, v0
	v_cmp_gt_u32_e32 vcc, 64, v5
	s_and_b64 s[2:3], vcc, exec
                                        ; implicit-def: $vgpr5_vgpr6
; %bb.27:
	s_or_saveexec_b64 s[8:9], s[8:9]
	v_mov_b32_e32 v11, 0
	s_xor_b64 exec, exec, s[8:9]
	s_cbranch_execz .LBB4_29
; %bb.28:
	v_lshlrev_b64 v[5:6], 2, v[5:6]
	v_mov_b32_e32 v1, s84
	v_add_co_u32_e32 v5, vcc, s83, v5
	v_addc_co_u32_e32 v6, vcc, v1, v6, vcc
	global_load_dword v1, v[5:6], off
	s_or_b64 s[2:3], s[2:3], exec
	s_waitcnt vmcnt(0)
	v_div_scale_f32 v5, s[10:11], v1, v1, 1.0
	v_div_scale_f32 v6, vcc, 1.0, v1, 1.0
	v_rcp_f32_e32 v11, v5
	v_fma_f32 v12, -v5, v11, 1.0
	v_fmac_f32_e32 v11, v12, v11
	v_mul_f32_e32 v12, v6, v11
	v_fma_f32 v13, -v5, v12, v6
	v_fmac_f32_e32 v12, v13, v11
	v_fma_f32 v5, -v5, v12, v6
	v_div_fmas_f32 v5, v5, v11, v12
	v_div_fixup_f32 v11, v5, v1, 1.0
	v_mov_b32_e32 v1, v0
.LBB4_29:
	s_or_b64 exec, exec, s[8:9]
	s_and_b64 s[8:9], s[2:3], exec
                                        ; implicit-def: $vgpr5_vgpr6
.LBB4_30:
	s_andn2_saveexec_b64 s[0:1], s[0:1]
	s_cbranch_execz .LBB4_32
; %bb.31:
	v_lshlrev_b64 v[5:6], 2, v[5:6]
	v_mov_b32_e32 v11, s84
	v_add_co_u32_e32 v5, vcc, s83, v5
	v_addc_co_u32_e32 v6, vcc, v11, v6, vcc
	global_load_dword v5, v[5:6], off
	s_or_b64 s[8:9], s[8:9], exec
	s_waitcnt vmcnt(0)
	v_xor_b32_e32 v11, 0x80000000, v5
.LBB4_32:
	s_or_b64 exec, exec, s[0:1]
	s_branch .LBB4_55
.LBB4_33:
	s_mov_b64 s[8:9], 0
                                        ; implicit-def: $vgpr11
                                        ; implicit-def: $vgpr1
	s_and_b64 vcc, exec, s[2:3]
	s_cbranch_vccz .LBB4_55
; %bb.34:
	v_mad_u64_u32 v[5:6], s[0:1], s20, v2, v[3:4]
	v_cmp_le_u32_e32 vcc, v2, v0
	v_cmp_gt_i32_e64 s[0:1], s82, v0
	v_mov_b32_e32 v1, v6
	v_mad_u64_u32 v[11:12], s[2:3], s21, v2, v[1:2]
	v_max_i32_e32 v1, v2, v0
	v_cmp_le_i32_e64 s[2:3], s82, v1
	v_mov_b32_e32 v6, v11
	s_or_b64 s[2:3], s[2:3], vcc
	s_mov_b64 s[10:11], 0
                                        ; implicit-def: $vgpr1
	s_and_saveexec_b64 s[12:13], s[2:3]
	s_xor_b64 s[2:3], exec, s[12:13]
	s_cbranch_execnz .LBB4_1121
; %bb.35:
	s_andn2_saveexec_b64 s[2:3], s[2:3]
	s_cbranch_execnz .LBB4_1126
.LBB4_36:
	s_or_b64 exec, exec, s[2:3]
	s_and_saveexec_b64 s[2:3], s[10:11]
.LBB4_37:
	v_lshlrev_b32_e32 v5, 2, v0
	v_lshl_add_u32 v5, v2, 8, v5
	ds_write_b32 v5, v1
.LBB4_38:
	s_or_b64 exec, exec, s[2:3]
	v_add_u32_e32 v1, 16, v2
	v_mad_u64_u32 v[5:6], s[2:3], s20, v1, v[3:4]
	v_cmp_gt_u32_e32 vcc, v1, v0
	s_mov_b64 s[10:11], 0
	v_mad_u64_u32 v[11:12], s[2:3], s21, v1, v[6:7]
	v_cmp_gt_i32_e64 s[2:3], s82, v1
	s_and_b64 s[2:3], vcc, s[2:3]
	s_and_b64 s[2:3], s[0:1], s[2:3]
	v_mov_b32_e32 v6, v11
	s_xor_b64 s[2:3], s[2:3], -1
                                        ; implicit-def: $vgpr11
	s_and_saveexec_b64 s[12:13], s[2:3]
	s_xor_b64 s[2:3], exec, s[12:13]
	s_cbranch_execnz .LBB4_1127
; %bb.39:
	s_andn2_saveexec_b64 s[2:3], s[2:3]
	s_cbranch_execnz .LBB4_1132
.LBB4_40:
	s_or_b64 exec, exec, s[2:3]
	s_and_saveexec_b64 s[2:3], s[10:11]
.LBB4_41:
	v_lshlrev_b32_e32 v5, 2, v0
	v_lshl_add_u32 v1, v1, 8, v5
	ds_write_b32 v1, v11
.LBB4_42:
	s_or_b64 exec, exec, s[2:3]
	v_add_u32_e32 v1, 32, v2
	v_mad_u64_u32 v[5:6], s[2:3], s20, v1, v[3:4]
	v_cmp_gt_u32_e32 vcc, v1, v0
	s_mov_b64 s[10:11], 0
	v_mad_u64_u32 v[11:12], s[2:3], s21, v1, v[6:7]
	v_cmp_gt_i32_e64 s[2:3], s82, v1
	s_and_b64 s[2:3], vcc, s[2:3]
	s_and_b64 s[2:3], s[0:1], s[2:3]
	v_mov_b32_e32 v6, v11
	s_xor_b64 s[2:3], s[2:3], -1
                                        ; implicit-def: $vgpr11
	s_and_saveexec_b64 s[12:13], s[2:3]
	s_xor_b64 s[2:3], exec, s[12:13]
	s_cbranch_execnz .LBB4_1133
; %bb.43:
	s_andn2_saveexec_b64 s[2:3], s[2:3]
	s_cbranch_execnz .LBB4_1138
.LBB4_44:
	s_or_b64 exec, exec, s[2:3]
	s_and_saveexec_b64 s[2:3], s[10:11]
.LBB4_45:
	v_lshlrev_b32_e32 v5, 2, v0
	v_lshl_add_u32 v1, v1, 8, v5
	ds_write_b32 v1, v11
.LBB4_46:
	s_or_b64 exec, exec, s[2:3]
	v_add_u32_e32 v1, 48, v2
	v_mad_u64_u32 v[3:4], s[2:3], s20, v1, v[3:4]
	v_cmp_gt_u32_e32 vcc, v1, v0
                                        ; implicit-def: $vgpr11
	v_mad_u64_u32 v[4:5], s[2:3], s21, v1, v[4:5]
	v_cmp_gt_i32_e64 s[2:3], s82, v1
	s_and_b64 s[2:3], vcc, s[2:3]
	s_and_b64 s[2:3], s[0:1], s[2:3]
	s_xor_b64 s[2:3], s[2:3], -1
	s_and_saveexec_b64 s[10:11], s[2:3]
	s_xor_b64 s[2:3], exec, s[10:11]
	s_cbranch_execz .LBB4_52
; %bb.47:
	v_cmp_ne_u32_e32 vcc, v0, v1
	s_xor_b64 s[0:1], s[0:1], -1
	s_or_b64 s[10:11], s[0:1], vcc
	s_mov_b64 s[0:1], s[8:9]
	s_and_saveexec_b64 s[12:13], s[10:11]
	s_xor_b64 s[10:11], exec, s[12:13]
; %bb.48:
	v_or_b32_e32 v3, v1, v0
	v_cmp_gt_u32_e32 vcc, 64, v3
	s_andn2_b64 s[0:1], s[8:9], exec
	s_and_b64 s[12:13], vcc, exec
	s_or_b64 s[0:1], s[0:1], s[12:13]
                                        ; implicit-def: $vgpr3_vgpr4
; %bb.49:
	s_or_saveexec_b64 s[10:11], s[10:11]
	v_mov_b32_e32 v11, 0
	s_xor_b64 exec, exec, s[10:11]
	s_cbranch_execz .LBB4_51
; %bb.50:
	v_lshlrev_b64 v[3:4], 2, v[3:4]
	v_mov_b32_e32 v1, s84
	v_add_co_u32_e32 v3, vcc, s83, v3
	v_addc_co_u32_e32 v4, vcc, v1, v4, vcc
	global_load_dword v1, v[3:4], off
	s_or_b64 s[0:1], s[0:1], exec
	s_waitcnt vmcnt(0)
	v_div_scale_f32 v3, s[12:13], v1, v1, 1.0
	v_div_scale_f32 v4, vcc, 1.0, v1, 1.0
	v_rcp_f32_e32 v5, v3
	v_fma_f32 v6, -v3, v5, 1.0
	v_fmac_f32_e32 v5, v6, v5
	v_mul_f32_e32 v6, v4, v5
	v_fma_f32 v11, -v3, v6, v4
	v_fmac_f32_e32 v6, v11, v5
	v_fma_f32 v3, -v3, v6, v4
	v_div_fmas_f32 v3, v3, v5, v6
	v_div_fixup_f32 v11, v3, v1, 1.0
	v_mov_b32_e32 v1, v0
.LBB4_51:
	s_or_b64 exec, exec, s[10:11]
	s_andn2_b64 s[8:9], s[8:9], exec
	s_and_b64 s[0:1], s[0:1], exec
	s_or_b64 s[8:9], s[8:9], s[0:1]
                                        ; implicit-def: $vgpr3_vgpr4
.LBB4_52:
	s_andn2_saveexec_b64 s[0:1], s[2:3]
	s_cbranch_execz .LBB4_54
; %bb.53:
	v_lshlrev_b64 v[3:4], 2, v[3:4]
	v_mov_b32_e32 v5, s84
	v_add_co_u32_e32 v3, vcc, s83, v3
	v_addc_co_u32_e32 v4, vcc, v5, v4, vcc
	global_load_dword v3, v[3:4], off
	s_or_b64 s[8:9], s[8:9], exec
	s_waitcnt vmcnt(0)
	v_xor_b32_e32 v11, 0x80000000, v3
.LBB4_54:
	s_or_b64 exec, exec, s[0:1]
.LBB4_55:
	s_and_saveexec_b64 s[0:1], s[8:9]
; %bb.56:
	v_lshlrev_b32_e32 v3, 2, v0
	v_lshl_add_u32 v1, v1, 8, v3
	ds_write_b32 v1, v11
; %bb.57:
	s_or_b64 exec, exec, s[0:1]
	s_cmp_lt_i32 s6, 5
	s_cselect_b64 s[0:1], -1, 0
	s_or_b64 s[22:23], s[0:1], s[18:19]
	s_and_b64 vcc, exec, s[22:23]
	s_waitcnt vmcnt(0) lgkmcnt(0)
	s_barrier
	s_cbranch_vccnz .LBB4_1033
; %bb.58:
	v_or_b32_e32 v1, v0, v2
	v_cmp_eq_u32_e32 vcc, 0, v1
	s_and_saveexec_b64 s[0:1], vcc
	s_cbranch_execz .LBB4_60
; %bb.59:
	v_mov_b32_e32 v1, 0
	ds_read_b64 v[3:4], v1 offset:16376
	ds_read_b32 v5, v1 offset:16120
	s_waitcnt lgkmcnt(0)
	v_mul_f32_e32 v4, v5, v4
	v_mul_f32_e32 v3, v3, v4
	ds_write_b32 v1, v3 offset:16376
.LBB4_60:
	s_or_b64 exec, exec, s[0:1]
	v_lshlrev_b32_e32 v3, 6, v2
	v_add_u32_e32 v5, v3, v0
	v_and_b32_e32 v4, v3, v0
	v_xor_b32_e32 v3, v3, v0
	v_lshrrev_b16_e32 v3, 1, v3
	v_add_u16_e32 v4, v4, v3
	v_and_b32_e32 v1, 1, v0
	v_sub_u32_e32 v3, 1, v4
	v_cmp_lt_u32_e64 s[2:3], 3, v5
	v_cmp_gt_u32_e64 s[0:1], 4, v5
	v_mov_b32_e32 v6, 0
	s_waitcnt lgkmcnt(0)
	s_barrier
	buffer_wbinvl1_vol
	s_and_saveexec_b64 s[10:11], s[0:1]
	s_cbranch_execz .LBB4_64
; %bb.61:
	v_lshlrev_b32_e32 v6, 8, v3
	v_lshlrev_b32_e32 v11, 2, v1
	ds_read_b32 v12, v11 offset:16112
	ds_read_b32 v6, v6 offset:16120
	v_mov_b32_e32 v11, 0
	v_cmp_gt_u32_e64 s[8:9], 2, v5
	s_waitcnt lgkmcnt(0)
	v_fma_f32 v6, v12, v6, 0
	s_and_saveexec_b64 s[12:13], s[8:9]
	s_cbranch_execz .LBB4_63
; %bb.62:
	v_lshlrev_b32_e32 v12, 2, v0
	ds_read_b32 v12, v12 offset:16368
	ds_read_b32 v11, v11 offset:16380
	s_waitcnt lgkmcnt(0)
	v_fmac_f32_e32 v6, v12, v11
.LBB4_63:
	s_or_b64 exec, exec, s[12:13]
.LBB4_64:
	s_or_b64 exec, exec, s[10:11]
	v_mov_b32_e32 v11, 0x4000
	v_cmp_ne_u32_e64 s[8:9], 0, v1
	s_xor_b64 s[10:11], s[2:3], -1
	v_lshl_add_u32 v4, v4, 2, v11
	s_and_b64 s[38:39], s[8:9], s[10:11]
	s_and_saveexec_b64 s[2:3], s[38:39]
	s_cbranch_execz .LBB4_66
; %bb.65:
	v_mov_b32_e32 v11, 0
	ds_read_b32 v11, v11 offset:15860
	s_waitcnt lgkmcnt(0)
	v_mul_f32_e32 v6, v6, v11
	v_xor_b32_e32 v11, 0x80000000, v6
	ds_write_b32 v4, v11
.LBB4_66:
	s_or_b64 exec, exec, s[2:3]
	v_cmp_eq_u32_e64 s[2:3], 0, v1
	s_and_b64 s[24:25], s[2:3], s[10:11]
	s_waitcnt lgkmcnt(0)
	s_barrier
	s_and_saveexec_b64 s[2:3], s[24:25]
	s_cbranch_execz .LBB4_68
; %bb.67:
	v_mov_b32_e32 v11, 0
	ds_read_b32 v11, v11 offset:15856
	ds_read_b32 v12, v4
	s_waitcnt lgkmcnt(0)
	v_fma_f32 v6, -v11, v12, v6
.LBB4_68:
	s_or_b64 exec, exec, s[2:3]
	s_barrier
	s_and_saveexec_b64 s[2:3], s[24:25]
	s_cbranch_execz .LBB4_70
; %bb.69:
	v_mov_b32_e32 v11, 0
	ds_read_b32 v11, v11 offset:15600
	s_waitcnt lgkmcnt(0)
	v_mul_f32_e32 v6, v6, v11
	v_xor_b32_e32 v11, 0x80000000, v6
	ds_write_b32 v4, v11
.LBB4_70:
	s_or_b64 exec, exec, s[2:3]
	s_waitcnt lgkmcnt(0)
	s_barrier
	s_barrier
	s_and_saveexec_b64 s[2:3], s[0:1]
; %bb.71:
	v_lshlrev_b32_e32 v11, 2, v1
	v_lshl_or_b32 v11, v3, 8, v11
	ds_write_b32 v11, v6 offset:16112
; %bb.72:
	s_or_b64 exec, exec, s[2:3]
	s_waitcnt lgkmcnt(0)
	s_barrier
	s_barrier
	s_and_saveexec_b64 s[2:3], vcc
	s_cbranch_execz .LBB4_74
; %bb.73:
	v_mov_b32_e32 v6, 0
	ds_read_b64 v[11:12], v6 offset:15856
	ds_read_b32 v13, v6 offset:15600
	s_waitcnt lgkmcnt(0)
	v_mul_f32_e32 v12, v13, v12
	v_mul_f32_e32 v11, v11, v12
	ds_write_b32 v6, v11 offset:15856
.LBB4_74:
	s_or_b64 exec, exec, s[2:3]
	v_lshrrev_b32_e32 v12, 2, v5
	v_and_b32_e32 v6, 3, v0
	v_sub_u32_e32 v11, 3, v12
	v_cmp_lt_u32_e64 s[8:9], 15, v5
	v_cmp_gt_u32_e64 s[2:3], 16, v5
	v_mov_b32_e32 v13, 0
	s_waitcnt lgkmcnt(0)
	s_barrier
	buffer_wbinvl1_vol
	s_and_saveexec_b64 s[12:13], s[2:3]
	s_cbranch_execz .LBB4_80
; %bb.75:
	v_lshlrev_b32_e32 v15, 2, v6
	v_lshlrev_b32_e32 v14, 8, v11
	ds_read_b32 v13, v15 offset:15584
	ds_read_b32 v16, v14 offset:15600
	v_cmp_gt_u32_e64 s[10:11], 12, v5
	s_waitcnt lgkmcnt(0)
	v_fma_f32 v13, v13, v16, 0
	s_and_saveexec_b64 s[14:15], s[10:11]
	s_cbranch_execnz .LBB4_1143
; %bb.76:
	s_or_b64 exec, exec, s[14:15]
	v_cmp_gt_u32_e64 s[10:11], 8, v5
	s_and_saveexec_b64 s[14:15], s[10:11]
	s_cbranch_execnz .LBB4_1144
.LBB4_77:
	s_or_b64 exec, exec, s[14:15]
	v_cmp_gt_u32_e64 s[10:11], 4, v5
	s_and_saveexec_b64 s[14:15], s[10:11]
	s_cbranch_execz .LBB4_79
.LBB4_78:
	v_lshlrev_b32_e32 v14, 2, v0
	v_mov_b32_e32 v15, 0
	ds_read_b32 v14, v14 offset:16352
	ds_read_b32 v15, v15 offset:16380
	s_waitcnt lgkmcnt(0)
	v_fmac_f32_e32 v13, v14, v15
.LBB4_79:
	s_or_b64 exec, exec, s[14:15]
.LBB4_80:
                                        ; implicit-def: $vgpr27 : SGPR spill to VGPR lane
	v_writelane_b32 v27, s43, 0
	s_or_b64 exec, exec, s[12:13]
	v_mov_b32_e32 v14, 0x4000
	v_cmp_eq_u32_e64 s[10:11], 3, v6
	s_xor_b64 s[12:13], s[8:9], -1
	v_lshl_add_u32 v12, v12, 2, v14
	s_and_b64 s[42:43], s[10:11], s[12:13]
	s_and_saveexec_b64 s[8:9], s[42:43]
	s_cbranch_execz .LBB4_82
; %bb.81:
	v_mov_b32_e32 v14, 0
	ds_read_b32 v14, v14 offset:15340
	s_waitcnt lgkmcnt(0)
	v_mul_f32_e32 v13, v13, v14
	v_xor_b32_e32 v14, 0x80000000, v13
	ds_write_b32 v12, v14
.LBB4_82:
	s_or_b64 exec, exec, s[8:9]
	v_cmp_ne_u32_e64 s[8:9], 3, v6
	s_and_b64 s[44:45], s[8:9], s[12:13]
	s_waitcnt lgkmcnt(0)
	s_barrier
	s_and_saveexec_b64 s[8:9], s[44:45]
	s_cbranch_execz .LBB4_84
; %bb.83:
	v_lshlrev_b32_e32 v14, 2, v6
	ds_read_b32 v14, v14 offset:15328
	ds_read_b32 v15, v12
	s_waitcnt lgkmcnt(0)
	v_fma_f32 v13, -v14, v15, v13
.LBB4_84:
	s_or_b64 exec, exec, s[8:9]
	v_cmp_eq_u32_e64 s[8:9], 2, v6
	s_and_b64 s[46:47], s[8:9], s[12:13]
	s_barrier
	s_and_saveexec_b64 s[8:9], s[46:47]
	s_cbranch_execz .LBB4_86
; %bb.85:
	v_mov_b32_e32 v14, 0
	ds_read_b32 v14, v14 offset:15080
	s_waitcnt lgkmcnt(0)
	v_mul_f32_e32 v13, v13, v14
	v_xor_b32_e32 v14, 0x80000000, v13
	ds_write_b32 v12, v14
.LBB4_86:
	s_or_b64 exec, exec, s[8:9]
	v_cmp_gt_u32_e64 s[8:9], 2, v6
	s_and_b64 s[48:49], s[8:9], s[12:13]
	s_waitcnt lgkmcnt(0)
	s_barrier
	s_and_saveexec_b64 s[8:9], s[48:49]
	s_cbranch_execz .LBB4_88
; %bb.87:
	v_lshlrev_b32_e32 v14, 2, v6
	ds_read_b32 v14, v14 offset:15072
	ds_read_b32 v15, v12
	s_waitcnt lgkmcnt(0)
	v_fma_f32 v13, -v14, v15, v13
.LBB4_88:
	s_or_b64 exec, exec, s[8:9]
	v_cmp_eq_u32_e64 s[8:9], 1, v6
	s_and_b64 s[50:51], s[8:9], s[12:13]
	s_barrier
	s_and_saveexec_b64 s[8:9], s[50:51]
	s_cbranch_execz .LBB4_90
; %bb.89:
	v_mov_b32_e32 v14, 0
	ds_read_b32 v14, v14 offset:14820
	s_waitcnt lgkmcnt(0)
	v_mul_f32_e32 v13, v13, v14
	v_xor_b32_e32 v14, 0x80000000, v13
	ds_write_b32 v12, v14
.LBB4_90:
	s_or_b64 exec, exec, s[8:9]
	v_cmp_eq_u32_e64 s[8:9], 0, v6
	s_and_b64 s[40:41], s[8:9], s[12:13]
	s_waitcnt lgkmcnt(0)
	s_barrier
	s_and_saveexec_b64 s[8:9], s[40:41]
	s_cbranch_execz .LBB4_92
; %bb.91:
	v_mov_b32_e32 v14, 0
	ds_read_b32 v14, v14 offset:14816
	ds_read_b32 v15, v12
	s_waitcnt lgkmcnt(0)
	v_fma_f32 v13, -v14, v15, v13
.LBB4_92:
	s_or_b64 exec, exec, s[8:9]
	s_barrier
	s_and_saveexec_b64 s[8:9], s[40:41]
	s_cbranch_execz .LBB4_94
; %bb.93:
	v_mov_b32_e32 v14, 0
	ds_read_b32 v14, v14 offset:14560
	s_waitcnt lgkmcnt(0)
	v_mul_f32_e32 v13, v13, v14
	v_xor_b32_e32 v14, 0x80000000, v13
	ds_write_b32 v12, v14
.LBB4_94:
	s_or_b64 exec, exec, s[8:9]
	s_waitcnt lgkmcnt(0)
	s_barrier
	s_barrier
	s_and_saveexec_b64 s[8:9], s[2:3]
; %bb.95:
	v_lshlrev_b32_e32 v14, 2, v6
	v_lshl_or_b32 v14, v11, 8, v14
	ds_write_b32 v14, v13 offset:15584
; %bb.96:
	s_or_b64 exec, exec, s[8:9]
	s_waitcnt lgkmcnt(0)
	s_barrier
	s_barrier
	s_and_saveexec_b64 s[8:9], vcc
	s_cbranch_execz .LBB4_98
; %bb.97:
	v_mov_b32_e32 v15, 0
	ds_read_b64 v[13:14], v15 offset:15336
	ds_read_b32 v16, v15 offset:15080
	s_waitcnt lgkmcnt(0)
	v_mul_f32_e32 v14, v16, v14
	v_mul_f32_e32 v13, v13, v14
	ds_write_b32 v15, v13 offset:15336
.LBB4_98:
	s_or_b64 exec, exec, s[8:9]
	v_mov_b32_e32 v13, 0
	s_waitcnt lgkmcnt(0)
	s_barrier
	buffer_wbinvl1_vol
	s_and_saveexec_b64 s[10:11], s[0:1]
	s_cbranch_execz .LBB4_102
; %bb.99:
	v_lshlrev_b32_e32 v13, 8, v3
	v_lshlrev_b32_e32 v14, 2, v1
	ds_read_b32 v15, v14 offset:15072
	ds_read_b32 v13, v13 offset:15080
	v_mov_b32_e32 v14, 0
	v_cmp_gt_u32_e64 s[8:9], 2, v5
	s_waitcnt lgkmcnt(0)
	v_fma_f32 v13, v15, v13, 0
	s_and_saveexec_b64 s[12:13], s[8:9]
	s_cbranch_execz .LBB4_101
; %bb.100:
	v_lshlrev_b32_e32 v15, 2, v0
	ds_read_b32 v15, v15 offset:15328
	ds_read_b32 v14, v14 offset:15340
	s_waitcnt lgkmcnt(0)
	v_fmac_f32_e32 v13, v15, v14
.LBB4_101:
	s_or_b64 exec, exec, s[12:13]
.LBB4_102:
	s_or_b64 exec, exec, s[10:11]
	s_and_saveexec_b64 s[8:9], s[38:39]
	s_cbranch_execz .LBB4_104
; %bb.103:
	v_mov_b32_e32 v14, 0
	ds_read_b32 v14, v14 offset:14820
	s_waitcnt lgkmcnt(0)
	v_mul_f32_e32 v13, v13, v14
	v_xor_b32_e32 v14, 0x80000000, v13
	ds_write_b32 v4, v14
.LBB4_104:
	s_or_b64 exec, exec, s[8:9]
	s_waitcnt lgkmcnt(0)
	s_barrier
	s_and_saveexec_b64 s[8:9], s[24:25]
	s_cbranch_execz .LBB4_106
; %bb.105:
	v_mov_b32_e32 v14, 0
	ds_read_b32 v14, v14 offset:14816
	ds_read_b32 v15, v4
	s_waitcnt lgkmcnt(0)
	v_fma_f32 v13, -v14, v15, v13
.LBB4_106:
	s_or_b64 exec, exec, s[8:9]
	s_barrier
	s_and_saveexec_b64 s[8:9], s[24:25]
	s_cbranch_execz .LBB4_108
; %bb.107:
	v_mov_b32_e32 v14, 0
	ds_read_b32 v14, v14 offset:14560
	s_waitcnt lgkmcnt(0)
	v_mul_f32_e32 v13, v13, v14
	v_xor_b32_e32 v14, 0x80000000, v13
	ds_write_b32 v4, v14
.LBB4_108:
	s_or_b64 exec, exec, s[8:9]
	s_waitcnt lgkmcnt(0)
	s_barrier
	s_barrier
	s_and_saveexec_b64 s[8:9], s[0:1]
; %bb.109:
	v_lshlrev_b32_e32 v14, 2, v1
	v_lshl_or_b32 v14, v3, 8, v14
	ds_write_b32 v14, v13 offset:15072
; %bb.110:
	s_or_b64 exec, exec, s[8:9]
	s_waitcnt lgkmcnt(0)
	s_barrier
	s_barrier
	s_and_saveexec_b64 s[8:9], vcc
	s_cbranch_execz .LBB4_112
; %bb.111:
	v_mov_b32_e32 v15, 0
	ds_read_b64 v[13:14], v15 offset:14816
	ds_read_b32 v16, v15 offset:14560
	s_waitcnt lgkmcnt(0)
	v_mul_f32_e32 v14, v16, v14
	v_mul_f32_e32 v13, v13, v14
	ds_write_b32 v15, v13 offset:14816
.LBB4_112:
	s_or_b64 exec, exec, s[8:9]
	v_lshrrev_b32_e32 v15, 3, v5
	v_and_b32_e32 v13, 7, v0
	v_sub_u32_e32 v14, 7, v15
	v_cmp_lt_u32_e64 s[8:9], 63, v5
	v_cmp_gt_u32_e64 s[14:15], 64, v5
	v_mov_b32_e32 v16, 0
	s_waitcnt lgkmcnt(0)
	s_barrier
	buffer_wbinvl1_vol
	s_and_saveexec_b64 s[12:13], s[14:15]
	s_cbranch_execz .LBB4_122
; %bb.113:
	v_lshlrev_b32_e32 v18, 2, v13
	v_lshlrev_b32_e32 v17, 8, v14
	ds_read_b32 v16, v18 offset:14528
	ds_read_b32 v19, v17 offset:14560
	v_cmp_gt_u32_e64 s[10:11], 56, v5
	s_waitcnt lgkmcnt(0)
	v_fma_f32 v16, v16, v19, 0
	s_and_saveexec_b64 s[16:17], s[10:11]
	s_cbranch_execnz .LBB4_1145
; %bb.114:
	s_or_b64 exec, exec, s[16:17]
	v_cmp_gt_u32_e64 s[10:11], 48, v5
	s_and_saveexec_b64 s[16:17], s[10:11]
	s_cbranch_execnz .LBB4_1146
.LBB4_115:
	s_or_b64 exec, exec, s[16:17]
	v_cmp_gt_u32_e64 s[10:11], 40, v5
	s_and_saveexec_b64 s[16:17], s[10:11]
	s_cbranch_execnz .LBB4_1147
.LBB4_116:
	s_or_b64 exec, exec, s[16:17]
	v_cmp_gt_u32_e64 s[10:11], 32, v5
	s_and_saveexec_b64 s[16:17], s[10:11]
	s_cbranch_execnz .LBB4_1148
.LBB4_117:
	s_or_b64 exec, exec, s[16:17]
	v_cmp_gt_u32_e64 s[10:11], 24, v5
	s_and_saveexec_b64 s[16:17], s[10:11]
	s_cbranch_execnz .LBB4_1149
.LBB4_118:
	s_or_b64 exec, exec, s[16:17]
	s_and_saveexec_b64 s[10:11], s[2:3]
	s_cbranch_execnz .LBB4_1150
.LBB4_119:
	s_or_b64 exec, exec, s[10:11]
	v_cmp_gt_u32_e64 s[10:11], 8, v5
	s_and_saveexec_b64 s[16:17], s[10:11]
	s_cbranch_execz .LBB4_121
.LBB4_120:
	v_lshlrev_b32_e32 v17, 2, v0
	v_mov_b32_e32 v18, 0
	ds_read_b32 v17, v17 offset:16320
	ds_read_b32 v18, v18 offset:16380
	s_waitcnt lgkmcnt(0)
	v_fmac_f32_e32 v16, v17, v18
.LBB4_121:
	s_or_b64 exec, exec, s[16:17]
.LBB4_122:
	v_writelane_b32 v27, s52, 1
	s_or_b64 exec, exec, s[12:13]
	v_mov_b32_e32 v17, 0x4000
	v_cmp_eq_u32_e64 s[10:11], 7, v13
	s_xor_b64 s[12:13], s[8:9], -1
	v_lshl_add_u32 v15, v15, 2, v17
	s_and_b64 s[52:53], s[10:11], s[12:13]
	s_and_saveexec_b64 s[8:9], s[52:53]
	s_cbranch_execz .LBB4_124
; %bb.123:
	v_mov_b32_e32 v17, 0
	ds_read_b32 v17, v17 offset:14300
	s_waitcnt lgkmcnt(0)
	v_mul_f32_e32 v16, v16, v17
	v_xor_b32_e32 v17, 0x80000000, v16
	ds_write_b32 v15, v17
.LBB4_124:
	s_or_b64 exec, exec, s[8:9]
	v_cmp_ne_u32_e64 s[8:9], 7, v13
	s_and_b64 s[54:55], s[8:9], s[12:13]
	s_waitcnt lgkmcnt(0)
	s_barrier
	s_and_saveexec_b64 s[8:9], s[54:55]
	s_cbranch_execz .LBB4_126
; %bb.125:
	v_lshlrev_b32_e32 v17, 2, v13
	ds_read_b32 v17, v17 offset:14272
	ds_read_b32 v18, v15
	s_waitcnt lgkmcnt(0)
	v_fma_f32 v16, -v17, v18, v16
.LBB4_126:
	s_or_b64 exec, exec, s[8:9]
	v_cmp_eq_u32_e64 s[8:9], 6, v13
	s_and_b64 s[56:57], s[8:9], s[12:13]
	s_barrier
	s_and_saveexec_b64 s[8:9], s[56:57]
	s_cbranch_execz .LBB4_128
; %bb.127:
	v_mov_b32_e32 v17, 0
	ds_read_b32 v17, v17 offset:14040
	s_waitcnt lgkmcnt(0)
	v_mul_f32_e32 v16, v16, v17
	v_xor_b32_e32 v17, 0x80000000, v16
	ds_write_b32 v15, v17
.LBB4_128:
	s_or_b64 exec, exec, s[8:9]
	v_cmp_gt_u32_e64 s[8:9], 6, v13
	s_and_b64 s[58:59], s[8:9], s[12:13]
	s_waitcnt lgkmcnt(0)
	s_barrier
	s_and_saveexec_b64 s[8:9], s[58:59]
	s_cbranch_execz .LBB4_130
; %bb.129:
	v_lshlrev_b32_e32 v17, 2, v13
	ds_read_b32 v17, v17 offset:14016
	ds_read_b32 v18, v15
	s_waitcnt lgkmcnt(0)
	v_fma_f32 v16, -v17, v18, v16
.LBB4_130:
	s_or_b64 exec, exec, s[8:9]
	v_cmp_eq_u32_e64 s[8:9], 5, v13
	s_and_b64 s[60:61], s[8:9], s[12:13]
	s_barrier
	s_and_saveexec_b64 s[8:9], s[60:61]
	s_cbranch_execz .LBB4_132
; %bb.131:
	v_mov_b32_e32 v17, 0
	ds_read_b32 v17, v17 offset:13780
	s_waitcnt lgkmcnt(0)
	v_mul_f32_e32 v16, v16, v17
	v_xor_b32_e32 v17, 0x80000000, v16
	ds_write_b32 v15, v17
.LBB4_132:
	s_or_b64 exec, exec, s[8:9]
	v_cmp_gt_u32_e64 s[8:9], 5, v13
	;; [unrolled: 28-line block ×5, first 2 shown]
	s_and_b64 s[76:77], s[8:9], s[12:13]
	s_waitcnt lgkmcnt(0)
	s_barrier
	s_and_saveexec_b64 s[8:9], s[76:77]
	s_cbranch_execz .LBB4_146
; %bb.145:
	v_lshlrev_b32_e32 v17, 2, v13
	ds_read_b32 v17, v17 offset:12992
	ds_read_b32 v18, v15
	s_waitcnt lgkmcnt(0)
	v_fma_f32 v16, -v17, v18, v16
.LBB4_146:
	s_or_b64 exec, exec, s[8:9]
	v_cmp_eq_u32_e64 s[8:9], 1, v13
	s_and_b64 s[78:79], s[8:9], s[12:13]
	s_barrier
	s_and_saveexec_b64 s[8:9], s[78:79]
	s_cbranch_execz .LBB4_148
; %bb.147:
	v_mov_b32_e32 v17, 0
	ds_read_b32 v17, v17 offset:12740
	s_waitcnt lgkmcnt(0)
	v_mul_f32_e32 v16, v16, v17
	v_xor_b32_e32 v17, 0x80000000, v16
	ds_write_b32 v15, v17
.LBB4_148:
	s_or_b64 exec, exec, s[8:9]
	v_cmp_eq_u32_e64 s[8:9], 0, v13
	s_and_b64 s[62:63], s[8:9], s[12:13]
	s_waitcnt lgkmcnt(0)
	s_barrier
	s_and_saveexec_b64 s[8:9], s[62:63]
	s_cbranch_execz .LBB4_150
; %bb.149:
	v_mov_b32_e32 v17, 0
	ds_read_b32 v17, v17 offset:12736
	ds_read_b32 v18, v15
	s_waitcnt lgkmcnt(0)
	v_fma_f32 v16, -v17, v18, v16
.LBB4_150:
	s_or_b64 exec, exec, s[8:9]
	s_barrier
	s_and_saveexec_b64 s[8:9], s[62:63]
	s_cbranch_execz .LBB4_152
; %bb.151:
	v_mov_b32_e32 v17, 0
	ds_read_b32 v17, v17 offset:12480
	s_waitcnt lgkmcnt(0)
	v_mul_f32_e32 v16, v16, v17
	v_xor_b32_e32 v17, 0x80000000, v16
	ds_write_b32 v15, v17
.LBB4_152:
	s_or_b64 exec, exec, s[8:9]
	s_waitcnt lgkmcnt(0)
	s_barrier
	s_barrier
	s_and_saveexec_b64 s[8:9], s[14:15]
; %bb.153:
	v_lshlrev_b32_e32 v17, 2, v13
	v_lshl_or_b32 v17, v14, 8, v17
	ds_write_b32 v17, v16 offset:14528
; %bb.154:
	s_or_b64 exec, exec, s[8:9]
	s_waitcnt lgkmcnt(0)
	s_barrier
	s_barrier
	s_and_saveexec_b64 s[8:9], vcc
	s_cbranch_execz .LBB4_156
; %bb.155:
	v_mov_b32_e32 v18, 0
	ds_read_b64 v[16:17], v18 offset:14296
	ds_read_b32 v19, v18 offset:14040
	s_waitcnt lgkmcnt(0)
	v_mul_f32_e32 v17, v19, v17
	v_mul_f32_e32 v16, v16, v17
	ds_write_b32 v18, v16 offset:14296
.LBB4_156:
	s_or_b64 exec, exec, s[8:9]
	v_mov_b32_e32 v16, 0
	s_waitcnt lgkmcnt(0)
	s_barrier
	buffer_wbinvl1_vol
	s_and_saveexec_b64 s[10:11], s[0:1]
	s_cbranch_execz .LBB4_160
; %bb.157:
	v_lshlrev_b32_e32 v16, 8, v3
	v_lshlrev_b32_e32 v17, 2, v1
	ds_read_b32 v18, v17 offset:14032
	ds_read_b32 v16, v16 offset:14040
	v_mov_b32_e32 v17, 0
	v_cmp_gt_u32_e64 s[8:9], 2, v5
	s_waitcnt lgkmcnt(0)
	v_fma_f32 v16, v18, v16, 0
	s_and_saveexec_b64 s[12:13], s[8:9]
	s_cbranch_execz .LBB4_159
; %bb.158:
	v_lshlrev_b32_e32 v18, 2, v0
	ds_read_b32 v18, v18 offset:14288
	ds_read_b32 v17, v17 offset:14300
	s_waitcnt lgkmcnt(0)
	v_fmac_f32_e32 v16, v18, v17
.LBB4_159:
	s_or_b64 exec, exec, s[12:13]
.LBB4_160:
	s_or_b64 exec, exec, s[10:11]
	s_and_saveexec_b64 s[8:9], s[38:39]
	s_cbranch_execz .LBB4_162
; %bb.161:
	v_mov_b32_e32 v17, 0
	ds_read_b32 v17, v17 offset:13780
	s_waitcnt lgkmcnt(0)
	v_mul_f32_e32 v16, v16, v17
	v_xor_b32_e32 v17, 0x80000000, v16
	ds_write_b32 v4, v17
.LBB4_162:
	s_or_b64 exec, exec, s[8:9]
	s_waitcnt lgkmcnt(0)
	s_barrier
	s_and_saveexec_b64 s[8:9], s[24:25]
	s_cbranch_execz .LBB4_164
; %bb.163:
	v_mov_b32_e32 v17, 0
	ds_read_b32 v17, v17 offset:13776
	ds_read_b32 v18, v4
	s_waitcnt lgkmcnt(0)
	v_fma_f32 v16, -v17, v18, v16
.LBB4_164:
	s_or_b64 exec, exec, s[8:9]
	s_barrier
	s_and_saveexec_b64 s[8:9], s[24:25]
	s_cbranch_execz .LBB4_166
; %bb.165:
	v_mov_b32_e32 v17, 0
	ds_read_b32 v17, v17 offset:13520
	s_waitcnt lgkmcnt(0)
	v_mul_f32_e32 v16, v16, v17
	v_xor_b32_e32 v17, 0x80000000, v16
	ds_write_b32 v4, v17
.LBB4_166:
	s_or_b64 exec, exec, s[8:9]
	s_waitcnt lgkmcnt(0)
	s_barrier
	s_barrier
	s_and_saveexec_b64 s[8:9], s[0:1]
; %bb.167:
	v_lshlrev_b32_e32 v17, 2, v1
	v_lshl_or_b32 v17, v3, 8, v17
	ds_write_b32 v17, v16 offset:14032
; %bb.168:
	s_or_b64 exec, exec, s[8:9]
	s_waitcnt lgkmcnt(0)
	s_barrier
	s_barrier
	s_and_saveexec_b64 s[8:9], vcc
	s_cbranch_execz .LBB4_170
; %bb.169:
	v_mov_b32_e32 v18, 0
	ds_read_b64 v[16:17], v18 offset:13776
	ds_read_b32 v19, v18 offset:13520
	s_waitcnt lgkmcnt(0)
	v_mul_f32_e32 v17, v19, v17
	v_mul_f32_e32 v16, v16, v17
	ds_write_b32 v18, v16 offset:13776
.LBB4_170:
	s_or_b64 exec, exec, s[8:9]
	v_mov_b32_e32 v16, 0
	s_waitcnt lgkmcnt(0)
	s_barrier
	buffer_wbinvl1_vol
	s_and_saveexec_b64 s[10:11], s[2:3]
	s_cbranch_execz .LBB4_176
; %bb.171:
	v_lshlrev_b32_e32 v18, 2, v6
	v_lshlrev_b32_e32 v17, 8, v11
	ds_read_b32 v16, v18 offset:13504
	ds_read_b32 v19, v17 offset:13520
	v_cmp_gt_u32_e64 s[8:9], 12, v5
	s_waitcnt lgkmcnt(0)
	v_fma_f32 v16, v16, v19, 0
	s_and_saveexec_b64 s[12:13], s[8:9]
	s_cbranch_execnz .LBB4_1151
; %bb.172:
	s_or_b64 exec, exec, s[12:13]
	v_cmp_gt_u32_e64 s[8:9], 8, v5
	s_and_saveexec_b64 s[12:13], s[8:9]
	s_cbranch_execnz .LBB4_1152
.LBB4_173:
	s_or_b64 exec, exec, s[12:13]
	v_cmp_gt_u32_e64 s[8:9], 4, v5
	s_and_saveexec_b64 s[12:13], s[8:9]
	s_cbranch_execz .LBB4_175
.LBB4_174:
	v_lshlrev_b32_e32 v17, 2, v0
	v_mov_b32_e32 v18, 0
	ds_read_b32 v17, v17 offset:14272
	ds_read_b32 v18, v18 offset:14300
	s_waitcnt lgkmcnt(0)
	v_fmac_f32_e32 v16, v17, v18
.LBB4_175:
	s_or_b64 exec, exec, s[12:13]
.LBB4_176:
	s_or_b64 exec, exec, s[10:11]
	s_and_saveexec_b64 s[8:9], s[42:43]
	s_cbranch_execz .LBB4_178
; %bb.177:
	v_mov_b32_e32 v17, 0
	ds_read_b32 v17, v17 offset:13260
	s_waitcnt lgkmcnt(0)
	v_mul_f32_e32 v16, v16, v17
	v_xor_b32_e32 v17, 0x80000000, v16
	ds_write_b32 v12, v17
.LBB4_178:
	s_or_b64 exec, exec, s[8:9]
	s_waitcnt lgkmcnt(0)
	s_barrier
	s_and_saveexec_b64 s[8:9], s[44:45]
	s_cbranch_execz .LBB4_180
; %bb.179:
	v_lshlrev_b32_e32 v17, 2, v6
	ds_read_b32 v17, v17 offset:13248
	ds_read_b32 v18, v12
	s_waitcnt lgkmcnt(0)
	v_fma_f32 v16, -v17, v18, v16
.LBB4_180:
	s_or_b64 exec, exec, s[8:9]
	s_barrier
	s_and_saveexec_b64 s[8:9], s[46:47]
	s_cbranch_execz .LBB4_182
; %bb.181:
	v_mov_b32_e32 v17, 0
	ds_read_b32 v17, v17 offset:13000
	s_waitcnt lgkmcnt(0)
	v_mul_f32_e32 v16, v16, v17
	v_xor_b32_e32 v17, 0x80000000, v16
	ds_write_b32 v12, v17
.LBB4_182:
	s_or_b64 exec, exec, s[8:9]
	s_waitcnt lgkmcnt(0)
	s_barrier
	s_and_saveexec_b64 s[8:9], s[48:49]
	s_cbranch_execz .LBB4_184
; %bb.183:
	v_lshlrev_b32_e32 v17, 2, v6
	ds_read_b32 v17, v17 offset:12992
	ds_read_b32 v18, v12
	s_waitcnt lgkmcnt(0)
	v_fma_f32 v16, -v17, v18, v16
.LBB4_184:
	s_or_b64 exec, exec, s[8:9]
	s_barrier
	s_and_saveexec_b64 s[8:9], s[50:51]
	s_cbranch_execz .LBB4_186
; %bb.185:
	v_mov_b32_e32 v17, 0
	ds_read_b32 v17, v17 offset:12740
	s_waitcnt lgkmcnt(0)
	v_mul_f32_e32 v16, v16, v17
	v_xor_b32_e32 v17, 0x80000000, v16
	ds_write_b32 v12, v17
.LBB4_186:
	s_or_b64 exec, exec, s[8:9]
	s_waitcnt lgkmcnt(0)
	s_barrier
	s_and_saveexec_b64 s[8:9], s[40:41]
	s_cbranch_execz .LBB4_188
; %bb.187:
	v_mov_b32_e32 v17, 0
	ds_read_b32 v17, v17 offset:12736
	ds_read_b32 v18, v12
	s_waitcnt lgkmcnt(0)
	v_fma_f32 v16, -v17, v18, v16
.LBB4_188:
	s_or_b64 exec, exec, s[8:9]
	s_barrier
	s_and_saveexec_b64 s[8:9], s[40:41]
	s_cbranch_execz .LBB4_190
; %bb.189:
	v_mov_b32_e32 v17, 0
	ds_read_b32 v17, v17 offset:12480
	s_waitcnt lgkmcnt(0)
	v_mul_f32_e32 v16, v16, v17
	v_xor_b32_e32 v17, 0x80000000, v16
	ds_write_b32 v12, v17
.LBB4_190:
	s_or_b64 exec, exec, s[8:9]
	s_waitcnt lgkmcnt(0)
	s_barrier
	s_barrier
	s_and_saveexec_b64 s[8:9], s[2:3]
; %bb.191:
	v_lshlrev_b32_e32 v17, 2, v6
	v_lshl_or_b32 v17, v11, 8, v17
	ds_write_b32 v17, v16 offset:13504
; %bb.192:
	s_or_b64 exec, exec, s[8:9]
	s_waitcnt lgkmcnt(0)
	s_barrier
	s_barrier
	s_and_saveexec_b64 s[8:9], vcc
	s_cbranch_execz .LBB4_194
; %bb.193:
	v_mov_b32_e32 v18, 0
	ds_read_b64 v[16:17], v18 offset:13256
	ds_read_b32 v19, v18 offset:13000
	s_waitcnt lgkmcnt(0)
	v_mul_f32_e32 v17, v19, v17
	v_mul_f32_e32 v16, v16, v17
	ds_write_b32 v18, v16 offset:13256
.LBB4_194:
	s_or_b64 exec, exec, s[8:9]
	v_mov_b32_e32 v16, 0
	s_waitcnt lgkmcnt(0)
	s_barrier
	buffer_wbinvl1_vol
	s_and_saveexec_b64 s[10:11], s[0:1]
	s_cbranch_execz .LBB4_198
; %bb.195:
	v_lshlrev_b32_e32 v16, 8, v3
	v_lshlrev_b32_e32 v17, 2, v1
	ds_read_b32 v18, v17 offset:12992
	ds_read_b32 v16, v16 offset:13000
	v_mov_b32_e32 v17, 0
	v_cmp_gt_u32_e64 s[8:9], 2, v5
	s_waitcnt lgkmcnt(0)
	v_fma_f32 v16, v18, v16, 0
	s_and_saveexec_b64 s[12:13], s[8:9]
	s_cbranch_execz .LBB4_197
; %bb.196:
	v_lshlrev_b32_e32 v18, 2, v0
	ds_read_b32 v18, v18 offset:13248
	ds_read_b32 v17, v17 offset:13260
	s_waitcnt lgkmcnt(0)
	v_fmac_f32_e32 v16, v18, v17
.LBB4_197:
	s_or_b64 exec, exec, s[12:13]
.LBB4_198:
	s_or_b64 exec, exec, s[10:11]
	s_and_saveexec_b64 s[8:9], s[38:39]
	s_cbranch_execz .LBB4_200
; %bb.199:
	v_mov_b32_e32 v17, 0
	ds_read_b32 v17, v17 offset:12740
	s_waitcnt lgkmcnt(0)
	v_mul_f32_e32 v16, v16, v17
	v_xor_b32_e32 v17, 0x80000000, v16
	ds_write_b32 v4, v17
.LBB4_200:
	s_or_b64 exec, exec, s[8:9]
	s_waitcnt lgkmcnt(0)
	s_barrier
	s_and_saveexec_b64 s[8:9], s[24:25]
	s_cbranch_execz .LBB4_202
; %bb.201:
	v_mov_b32_e32 v17, 0
	ds_read_b32 v17, v17 offset:12736
	ds_read_b32 v18, v4
	s_waitcnt lgkmcnt(0)
	v_fma_f32 v16, -v17, v18, v16
.LBB4_202:
	s_or_b64 exec, exec, s[8:9]
	s_barrier
	s_and_saveexec_b64 s[8:9], s[24:25]
	s_cbranch_execz .LBB4_204
; %bb.203:
	v_mov_b32_e32 v17, 0
	ds_read_b32 v17, v17 offset:12480
	s_waitcnt lgkmcnt(0)
	v_mul_f32_e32 v16, v16, v17
	v_xor_b32_e32 v17, 0x80000000, v16
	ds_write_b32 v4, v17
.LBB4_204:
	s_or_b64 exec, exec, s[8:9]
	s_waitcnt lgkmcnt(0)
	s_barrier
	s_barrier
	s_and_saveexec_b64 s[8:9], s[0:1]
; %bb.205:
	v_lshlrev_b32_e32 v17, 2, v1
	v_lshl_or_b32 v17, v3, 8, v17
	ds_write_b32 v17, v16 offset:12992
; %bb.206:
	s_or_b64 exec, exec, s[8:9]
	s_waitcnt lgkmcnt(0)
	s_barrier
	s_barrier
	s_and_saveexec_b64 s[8:9], vcc
	s_cbranch_execz .LBB4_208
; %bb.207:
	v_mov_b32_e32 v18, 0
	ds_read_b64 v[16:17], v18 offset:12736
	ds_read_b32 v19, v18 offset:12480
	s_waitcnt lgkmcnt(0)
	v_mul_f32_e32 v17, v19, v17
	v_mul_f32_e32 v16, v16, v17
	ds_write_b32 v18, v16 offset:12736
.LBB4_208:
	s_or_b64 exec, exec, s[8:9]
	s_movk_i32 s8, 0xff
	v_lshrrev_b32_e32 v18, 4, v5
	v_cmp_lt_u32_e64 s[10:11], s8, v5
	s_movk_i32 s8, 0x100
	v_and_b32_e32 v16, 15, v0
	v_sub_u32_e32 v17, 15, v18
	v_cmp_gt_u32_e64 s[8:9], s8, v5
	v_mov_b32_e32 v19, 0
	s_waitcnt lgkmcnt(0)
	s_barrier
	buffer_wbinvl1_vol
	s_and_saveexec_b64 s[16:17], s[8:9]
	s_cbranch_execz .LBB4_236
; %bb.209:
	v_lshlrev_b32_e32 v21, 2, v16
	v_lshlrev_b32_e32 v20, 8, v17
	ds_read_b32 v19, v21 offset:12416
	ds_read_b32 v22, v20 offset:12480
	s_movk_i32 s12, 0xf0
	v_cmp_gt_u32_e64 s[12:13], s12, v5
	s_waitcnt lgkmcnt(0)
	v_fma_f32 v19, v19, v22, 0
	s_and_saveexec_b64 s[80:81], s[12:13]
	s_cbranch_execz .LBB4_211
; %bb.210:
	ds_read_b32 v22, v21 offset:12672
	ds_read_b32 v23, v20 offset:12484
	s_waitcnt lgkmcnt(0)
	v_fmac_f32_e32 v19, v22, v23
.LBB4_211:
	s_or_b64 exec, exec, s[80:81]
	s_movk_i32 s12, 0xe0
	v_cmp_gt_u32_e64 s[12:13], s12, v5
	s_and_saveexec_b64 s[80:81], s[12:13]
	s_cbranch_execz .LBB4_213
; %bb.212:
	ds_read_b32 v22, v21 offset:12928
	ds_read_b32 v23, v20 offset:12488
	s_waitcnt lgkmcnt(0)
	v_fmac_f32_e32 v19, v22, v23
.LBB4_213:
	s_or_b64 exec, exec, s[80:81]
	s_movk_i32 s12, 0xd0
	v_cmp_gt_u32_e64 s[12:13], s12, v5
	;; [unrolled: 11-line block ×10, first 2 shown]
	s_and_saveexec_b64 s[80:81], s[12:13]
	s_cbranch_execnz .LBB4_1153
; %bb.230:
	s_or_b64 exec, exec, s[80:81]
	s_and_saveexec_b64 s[12:13], s[14:15]
	s_cbranch_execnz .LBB4_1154
.LBB4_231:
	s_or_b64 exec, exec, s[12:13]
	v_cmp_gt_u32_e64 s[12:13], 48, v5
	s_and_saveexec_b64 s[80:81], s[12:13]
	s_cbranch_execnz .LBB4_1155
.LBB4_232:
	s_or_b64 exec, exec, s[80:81]
	v_cmp_gt_u32_e64 s[12:13], 32, v5
	s_and_saveexec_b64 s[80:81], s[12:13]
	s_cbranch_execnz .LBB4_1156
.LBB4_233:
	s_or_b64 exec, exec, s[80:81]
	v_cmp_gt_u32_e64 s[12:13], 16, v5
	s_and_saveexec_b64 s[80:81], s[12:13]
	s_cbranch_execz .LBB4_235
.LBB4_234:
	v_lshlrev_b32_e32 v20, 2, v0
	v_mov_b32_e32 v21, 0
	ds_read_b32 v20, v20 offset:16256
	ds_read_b32 v21, v21 offset:16380
	s_waitcnt lgkmcnt(0)
	v_fmac_f32_e32 v19, v20, v21
.LBB4_235:
	s_or_b64 exec, exec, s[80:81]
.LBB4_236:
	s_or_b64 exec, exec, s[16:17]
	v_mov_b32_e32 v20, 0x4000
	v_lshl_add_u32 v18, v18, 2, v20
	v_cmp_eq_u32_e64 s[12:13], 15, v16
	s_xor_b64 s[16:17], s[10:11], -1
	s_and_b64 s[12:13], s[12:13], s[16:17]
	s_mov_b64 s[10:11], exec
	v_writelane_b32 v27, s12, 2
	v_writelane_b32 v27, s13, 3
	s_and_b64 s[12:13], s[10:11], s[12:13]
	s_mov_b64 exec, s[12:13]
	s_cbranch_execz .LBB4_238
; %bb.237:
	v_mov_b32_e32 v20, 0
	ds_read_b32 v20, v20 offset:12220
	s_waitcnt lgkmcnt(0)
	v_mul_f32_e32 v19, v19, v20
	v_xor_b32_e32 v20, 0x80000000, v19
	ds_write_b32 v18, v20
.LBB4_238:
	s_or_b64 exec, exec, s[10:11]
	v_cmp_ne_u32_e64 s[10:11], 15, v16
	s_waitcnt lgkmcnt(0)
	s_barrier
	s_and_b64 s[12:13], s[10:11], s[16:17]
	s_mov_b64 s[10:11], exec
	v_writelane_b32 v27, s12, 4
	v_writelane_b32 v27, s13, 5
	s_and_b64 s[12:13], s[10:11], s[12:13]
	s_mov_b64 exec, s[12:13]
	s_cbranch_execz .LBB4_240
; %bb.239:
	v_lshlrev_b32_e32 v20, 2, v16
	ds_read_b32 v20, v20 offset:12160
	ds_read_b32 v21, v18
	s_waitcnt lgkmcnt(0)
	v_fma_f32 v19, -v20, v21, v19
.LBB4_240:
	s_or_b64 exec, exec, s[10:11]
	v_cmp_eq_u32_e64 s[10:11], 14, v16
	s_barrier
	s_and_b64 s[12:13], s[10:11], s[16:17]
	s_mov_b64 s[10:11], exec
	v_writelane_b32 v27, s12, 6
	v_writelane_b32 v27, s13, 7
	s_and_b64 s[12:13], s[10:11], s[12:13]
	s_mov_b64 exec, s[12:13]
	s_cbranch_execz .LBB4_242
; %bb.241:
	v_mov_b32_e32 v20, 0
	ds_read_b32 v20, v20 offset:11960
	s_waitcnt lgkmcnt(0)
	v_mul_f32_e32 v19, v19, v20
	v_xor_b32_e32 v20, 0x80000000, v19
	ds_write_b32 v18, v20
.LBB4_242:
	s_or_b64 exec, exec, s[10:11]
	v_cmp_gt_u32_e64 s[10:11], 14, v16
	s_waitcnt lgkmcnt(0)
	s_barrier
	s_and_b64 s[12:13], s[10:11], s[16:17]
	s_mov_b64 s[10:11], exec
	v_writelane_b32 v27, s12, 8
	v_writelane_b32 v27, s13, 9
	s_and_b64 s[12:13], s[10:11], s[12:13]
	s_mov_b64 exec, s[12:13]
	s_cbranch_execz .LBB4_244
; %bb.243:
	v_lshlrev_b32_e32 v20, 2, v16
	ds_read_b32 v20, v20 offset:11904
	ds_read_b32 v21, v18
	s_waitcnt lgkmcnt(0)
	v_fma_f32 v19, -v20, v21, v19
.LBB4_244:
	s_or_b64 exec, exec, s[10:11]
	v_cmp_eq_u32_e64 s[10:11], 13, v16
	s_barrier
	s_and_b64 s[12:13], s[10:11], s[16:17]
	s_mov_b64 s[10:11], exec
	v_writelane_b32 v27, s12, 10
	v_writelane_b32 v27, s13, 11
	s_and_b64 s[12:13], s[10:11], s[12:13]
	s_mov_b64 exec, s[12:13]
	s_cbranch_execz .LBB4_246
; %bb.245:
	v_mov_b32_e32 v20, 0
	ds_read_b32 v20, v20 offset:11700
	s_waitcnt lgkmcnt(0)
	v_mul_f32_e32 v19, v19, v20
	v_xor_b32_e32 v20, 0x80000000, v19
	ds_write_b32 v18, v20
.LBB4_246:
	s_or_b64 exec, exec, s[10:11]
	v_cmp_gt_u32_e64 s[10:11], 13, v16
	;; [unrolled: 36-line block ×12, first 2 shown]
	s_waitcnt lgkmcnt(0)
	s_barrier
	s_and_b64 s[12:13], s[10:11], s[16:17]
	s_mov_b64 s[10:11], exec
	v_writelane_b32 v27, s12, 52
	v_writelane_b32 v27, s13, 53
	s_and_b64 s[12:13], s[10:11], s[12:13]
	s_mov_b64 exec, s[12:13]
	s_cbranch_execz .LBB4_288
; %bb.287:
	v_lshlrev_b32_e32 v20, 2, v16
	ds_read_b32 v20, v20 offset:9088
	ds_read_b32 v21, v18
	s_waitcnt lgkmcnt(0)
	v_fma_f32 v19, -v20, v21, v19
.LBB4_288:
	s_or_b64 exec, exec, s[10:11]
	v_cmp_eq_u32_e64 s[10:11], 2, v16
	s_and_b64 s[86:87], s[10:11], s[16:17]
	s_barrier
	s_and_saveexec_b64 s[10:11], s[86:87]
	s_cbranch_execz .LBB4_290
; %bb.289:
	v_mov_b32_e32 v20, 0
	ds_read_b32 v20, v20 offset:8840
	s_waitcnt lgkmcnt(0)
	v_mul_f32_e32 v19, v19, v20
	v_xor_b32_e32 v20, 0x80000000, v19
	ds_write_b32 v18, v20
.LBB4_290:
	s_or_b64 exec, exec, s[10:11]
	v_cmp_gt_u32_e64 s[10:11], 2, v16
	s_and_b64 s[88:89], s[10:11], s[16:17]
	s_waitcnt lgkmcnt(0)
	s_barrier
	s_and_saveexec_b64 s[10:11], s[88:89]
	s_cbranch_execz .LBB4_292
; %bb.291:
	v_lshlrev_b32_e32 v20, 2, v16
	ds_read_b32 v20, v20 offset:8832
	ds_read_b32 v21, v18
	s_waitcnt lgkmcnt(0)
	v_fma_f32 v19, -v20, v21, v19
.LBB4_292:
	s_or_b64 exec, exec, s[10:11]
	v_cmp_eq_u32_e64 s[10:11], 1, v16
	s_and_b64 s[92:93], s[10:11], s[16:17]
	s_barrier
	s_and_saveexec_b64 s[10:11], s[92:93]
	s_cbranch_execz .LBB4_294
; %bb.293:
	v_mov_b32_e32 v20, 0
	ds_read_b32 v20, v20 offset:8580
	s_waitcnt lgkmcnt(0)
	v_mul_f32_e32 v19, v19, v20
	v_xor_b32_e32 v20, 0x80000000, v19
	ds_write_b32 v18, v20
.LBB4_294:
	s_or_b64 exec, exec, s[10:11]
	v_cmp_eq_u32_e64 s[10:11], 0, v16
	s_and_b64 s[90:91], s[10:11], s[16:17]
	s_waitcnt lgkmcnt(0)
	s_barrier
	s_and_saveexec_b64 s[10:11], s[90:91]
	s_cbranch_execz .LBB4_296
; %bb.295:
	v_mov_b32_e32 v20, 0
	ds_read_b32 v20, v20 offset:8576
	ds_read_b32 v21, v18
	s_waitcnt lgkmcnt(0)
	v_fma_f32 v19, -v20, v21, v19
.LBB4_296:
	s_or_b64 exec, exec, s[10:11]
	s_barrier
	s_and_saveexec_b64 s[10:11], s[90:91]
	s_cbranch_execz .LBB4_298
; %bb.297:
	v_mov_b32_e32 v20, 0
	ds_read_b32 v20, v20 offset:8320
	s_waitcnt lgkmcnt(0)
	v_mul_f32_e32 v19, v19, v20
	v_xor_b32_e32 v20, 0x80000000, v19
	ds_write_b32 v18, v20
.LBB4_298:
	s_or_b64 exec, exec, s[10:11]
	s_waitcnt lgkmcnt(0)
	s_barrier
	s_barrier
	s_and_saveexec_b64 s[10:11], s[8:9]
; %bb.299:
	v_lshlrev_b32_e32 v20, 2, v16
	v_lshl_or_b32 v20, v17, 8, v20
	ds_write_b32 v20, v19 offset:12416
; %bb.300:
	s_or_b64 exec, exec, s[10:11]
	s_waitcnt lgkmcnt(0)
	s_barrier
	s_barrier
	s_and_saveexec_b64 s[10:11], vcc
	s_cbranch_execz .LBB4_302
; %bb.301:
	v_mov_b32_e32 v21, 0
	ds_read_b64 v[19:20], v21 offset:12216
	ds_read_b32 v22, v21 offset:11960
	s_waitcnt lgkmcnt(0)
	v_mul_f32_e32 v20, v22, v20
	v_mul_f32_e32 v19, v19, v20
	ds_write_b32 v21, v19 offset:12216
.LBB4_302:
	s_or_b64 exec, exec, s[10:11]
	v_mov_b32_e32 v19, 0
	s_waitcnt lgkmcnt(0)
	s_barrier
	buffer_wbinvl1_vol
	s_and_saveexec_b64 s[12:13], s[0:1]
	s_cbranch_execz .LBB4_306
; %bb.303:
	v_lshlrev_b32_e32 v19, 8, v3
	v_lshlrev_b32_e32 v20, 2, v1
	ds_read_b32 v21, v20 offset:11952
	ds_read_b32 v19, v19 offset:11960
	v_mov_b32_e32 v20, 0
	v_cmp_gt_u32_e64 s[10:11], 2, v5
	s_waitcnt lgkmcnt(0)
	v_fma_f32 v19, v21, v19, 0
	s_and_saveexec_b64 s[16:17], s[10:11]
	s_cbranch_execz .LBB4_305
; %bb.304:
	v_lshlrev_b32_e32 v21, 2, v0
	ds_read_b32 v21, v21 offset:12208
	ds_read_b32 v20, v20 offset:12220
	s_waitcnt lgkmcnt(0)
	v_fmac_f32_e32 v19, v21, v20
.LBB4_305:
	s_or_b64 exec, exec, s[16:17]
.LBB4_306:
	s_or_b64 exec, exec, s[12:13]
	s_and_saveexec_b64 s[10:11], s[38:39]
	s_cbranch_execz .LBB4_308
; %bb.307:
	v_mov_b32_e32 v20, 0
	ds_read_b32 v20, v20 offset:11700
	s_waitcnt lgkmcnt(0)
	v_mul_f32_e32 v19, v19, v20
	v_xor_b32_e32 v20, 0x80000000, v19
	ds_write_b32 v4, v20
.LBB4_308:
	s_or_b64 exec, exec, s[10:11]
	s_waitcnt lgkmcnt(0)
	s_barrier
	s_and_saveexec_b64 s[10:11], s[24:25]
	s_cbranch_execz .LBB4_310
; %bb.309:
	v_mov_b32_e32 v20, 0
	ds_read_b32 v20, v20 offset:11696
	ds_read_b32 v21, v4
	s_waitcnt lgkmcnt(0)
	v_fma_f32 v19, -v20, v21, v19
.LBB4_310:
	s_or_b64 exec, exec, s[10:11]
	s_barrier
	s_and_saveexec_b64 s[10:11], s[24:25]
	s_cbranch_execz .LBB4_312
; %bb.311:
	v_mov_b32_e32 v20, 0
	ds_read_b32 v20, v20 offset:11440
	s_waitcnt lgkmcnt(0)
	v_mul_f32_e32 v19, v19, v20
	v_xor_b32_e32 v20, 0x80000000, v19
	ds_write_b32 v4, v20
.LBB4_312:
	s_or_b64 exec, exec, s[10:11]
	s_waitcnt lgkmcnt(0)
	s_barrier
	s_barrier
	s_and_saveexec_b64 s[10:11], s[0:1]
; %bb.313:
	v_lshlrev_b32_e32 v20, 2, v1
	v_lshl_or_b32 v20, v3, 8, v20
	ds_write_b32 v20, v19 offset:11952
; %bb.314:
	s_or_b64 exec, exec, s[10:11]
	s_waitcnt lgkmcnt(0)
	s_barrier
	s_barrier
	s_and_saveexec_b64 s[10:11], vcc
	s_cbranch_execz .LBB4_316
; %bb.315:
	v_mov_b32_e32 v21, 0
	ds_read_b64 v[19:20], v21 offset:11696
	ds_read_b32 v22, v21 offset:11440
	s_waitcnt lgkmcnt(0)
	v_mul_f32_e32 v20, v22, v20
	v_mul_f32_e32 v19, v19, v20
	ds_write_b32 v21, v19 offset:11696
.LBB4_316:
	s_or_b64 exec, exec, s[10:11]
	v_mov_b32_e32 v19, 0
	s_waitcnt lgkmcnt(0)
	s_barrier
	buffer_wbinvl1_vol
	s_and_saveexec_b64 s[12:13], s[2:3]
	s_cbranch_execz .LBB4_322
; %bb.317:
	v_lshlrev_b32_e32 v21, 2, v6
	v_lshlrev_b32_e32 v20, 8, v11
	ds_read_b32 v19, v21 offset:11424
	ds_read_b32 v22, v20 offset:11440
	v_cmp_gt_u32_e64 s[10:11], 12, v5
	s_waitcnt lgkmcnt(0)
	v_fma_f32 v19, v19, v22, 0
	s_and_saveexec_b64 s[16:17], s[10:11]
	s_cbranch_execnz .LBB4_1157
; %bb.318:
	s_or_b64 exec, exec, s[16:17]
	v_cmp_gt_u32_e64 s[10:11], 8, v5
	s_and_saveexec_b64 s[16:17], s[10:11]
	s_cbranch_execnz .LBB4_1158
.LBB4_319:
	s_or_b64 exec, exec, s[16:17]
	v_cmp_gt_u32_e64 s[10:11], 4, v5
	s_and_saveexec_b64 s[16:17], s[10:11]
	s_cbranch_execz .LBB4_321
.LBB4_320:
	v_lshlrev_b32_e32 v20, 2, v0
	v_mov_b32_e32 v21, 0
	ds_read_b32 v20, v20 offset:12192
	ds_read_b32 v21, v21 offset:12220
	s_waitcnt lgkmcnt(0)
	v_fmac_f32_e32 v19, v20, v21
.LBB4_321:
	s_or_b64 exec, exec, s[16:17]
.LBB4_322:
	s_or_b64 exec, exec, s[12:13]
	s_and_saveexec_b64 s[10:11], s[42:43]
	s_cbranch_execz .LBB4_324
; %bb.323:
	v_mov_b32_e32 v20, 0
	ds_read_b32 v20, v20 offset:11180
	s_waitcnt lgkmcnt(0)
	v_mul_f32_e32 v19, v19, v20
	v_xor_b32_e32 v20, 0x80000000, v19
	ds_write_b32 v12, v20
.LBB4_324:
	s_or_b64 exec, exec, s[10:11]
	s_waitcnt lgkmcnt(0)
	s_barrier
	s_and_saveexec_b64 s[10:11], s[44:45]
	s_cbranch_execz .LBB4_326
; %bb.325:
	v_lshlrev_b32_e32 v20, 2, v6
	ds_read_b32 v20, v20 offset:11168
	ds_read_b32 v21, v12
	s_waitcnt lgkmcnt(0)
	v_fma_f32 v19, -v20, v21, v19
.LBB4_326:
	s_or_b64 exec, exec, s[10:11]
	s_barrier
	s_and_saveexec_b64 s[10:11], s[46:47]
	s_cbranch_execz .LBB4_328
; %bb.327:
	v_mov_b32_e32 v20, 0
	ds_read_b32 v20, v20 offset:10920
	s_waitcnt lgkmcnt(0)
	v_mul_f32_e32 v19, v19, v20
	v_xor_b32_e32 v20, 0x80000000, v19
	ds_write_b32 v12, v20
.LBB4_328:
	s_or_b64 exec, exec, s[10:11]
	s_waitcnt lgkmcnt(0)
	s_barrier
	s_and_saveexec_b64 s[10:11], s[48:49]
	s_cbranch_execz .LBB4_330
; %bb.329:
	v_lshlrev_b32_e32 v20, 2, v6
	ds_read_b32 v20, v20 offset:10912
	ds_read_b32 v21, v12
	s_waitcnt lgkmcnt(0)
	v_fma_f32 v19, -v20, v21, v19
.LBB4_330:
	s_or_b64 exec, exec, s[10:11]
	s_barrier
	s_and_saveexec_b64 s[10:11], s[50:51]
	s_cbranch_execz .LBB4_332
; %bb.331:
	v_mov_b32_e32 v20, 0
	ds_read_b32 v20, v20 offset:10660
	s_waitcnt lgkmcnt(0)
	v_mul_f32_e32 v19, v19, v20
	v_xor_b32_e32 v20, 0x80000000, v19
	ds_write_b32 v12, v20
.LBB4_332:
	s_or_b64 exec, exec, s[10:11]
	s_waitcnt lgkmcnt(0)
	s_barrier
	s_and_saveexec_b64 s[10:11], s[40:41]
	s_cbranch_execz .LBB4_334
; %bb.333:
	v_mov_b32_e32 v20, 0
	ds_read_b32 v20, v20 offset:10656
	ds_read_b32 v21, v12
	s_waitcnt lgkmcnt(0)
	v_fma_f32 v19, -v20, v21, v19
.LBB4_334:
	s_or_b64 exec, exec, s[10:11]
	s_barrier
	s_and_saveexec_b64 s[10:11], s[40:41]
	s_cbranch_execz .LBB4_336
; %bb.335:
	v_mov_b32_e32 v20, 0
	ds_read_b32 v20, v20 offset:10400
	s_waitcnt lgkmcnt(0)
	v_mul_f32_e32 v19, v19, v20
	v_xor_b32_e32 v20, 0x80000000, v19
	ds_write_b32 v12, v20
.LBB4_336:
	s_or_b64 exec, exec, s[10:11]
	s_waitcnt lgkmcnt(0)
	s_barrier
	s_barrier
	s_and_saveexec_b64 s[10:11], s[2:3]
; %bb.337:
	v_lshlrev_b32_e32 v20, 2, v6
	v_lshl_or_b32 v20, v11, 8, v20
	ds_write_b32 v20, v19 offset:11424
; %bb.338:
	s_or_b64 exec, exec, s[10:11]
	s_waitcnt lgkmcnt(0)
	s_barrier
	s_barrier
	s_and_saveexec_b64 s[10:11], vcc
	s_cbranch_execz .LBB4_340
; %bb.339:
	v_mov_b32_e32 v21, 0
	ds_read_b64 v[19:20], v21 offset:11176
	ds_read_b32 v22, v21 offset:10920
	s_waitcnt lgkmcnt(0)
	v_mul_f32_e32 v20, v22, v20
	v_mul_f32_e32 v19, v19, v20
	ds_write_b32 v21, v19 offset:11176
.LBB4_340:
	s_or_b64 exec, exec, s[10:11]
	v_mov_b32_e32 v19, 0
	s_waitcnt lgkmcnt(0)
	s_barrier
	buffer_wbinvl1_vol
	s_and_saveexec_b64 s[12:13], s[0:1]
	s_cbranch_execz .LBB4_344
; %bb.341:
	v_lshlrev_b32_e32 v19, 8, v3
	v_lshlrev_b32_e32 v20, 2, v1
	ds_read_b32 v21, v20 offset:10912
	ds_read_b32 v19, v19 offset:10920
	v_mov_b32_e32 v20, 0
	v_cmp_gt_u32_e64 s[10:11], 2, v5
	s_waitcnt lgkmcnt(0)
	v_fma_f32 v19, v21, v19, 0
	s_and_saveexec_b64 s[16:17], s[10:11]
	s_cbranch_execz .LBB4_343
; %bb.342:
	v_lshlrev_b32_e32 v21, 2, v0
	ds_read_b32 v21, v21 offset:11168
	ds_read_b32 v20, v20 offset:11180
	s_waitcnt lgkmcnt(0)
	v_fmac_f32_e32 v19, v21, v20
.LBB4_343:
	s_or_b64 exec, exec, s[16:17]
.LBB4_344:
	s_or_b64 exec, exec, s[12:13]
	s_and_saveexec_b64 s[10:11], s[38:39]
	s_cbranch_execz .LBB4_346
; %bb.345:
	v_mov_b32_e32 v20, 0
	ds_read_b32 v20, v20 offset:10660
	s_waitcnt lgkmcnt(0)
	v_mul_f32_e32 v19, v19, v20
	v_xor_b32_e32 v20, 0x80000000, v19
	ds_write_b32 v4, v20
.LBB4_346:
	s_or_b64 exec, exec, s[10:11]
	s_waitcnt lgkmcnt(0)
	s_barrier
	s_and_saveexec_b64 s[10:11], s[24:25]
	s_cbranch_execz .LBB4_348
; %bb.347:
	v_mov_b32_e32 v20, 0
	ds_read_b32 v20, v20 offset:10656
	ds_read_b32 v21, v4
	s_waitcnt lgkmcnt(0)
	v_fma_f32 v19, -v20, v21, v19
.LBB4_348:
	s_or_b64 exec, exec, s[10:11]
	s_barrier
	s_and_saveexec_b64 s[10:11], s[24:25]
	s_cbranch_execz .LBB4_350
; %bb.349:
	v_mov_b32_e32 v20, 0
	ds_read_b32 v20, v20 offset:10400
	s_waitcnt lgkmcnt(0)
	v_mul_f32_e32 v19, v19, v20
	v_xor_b32_e32 v20, 0x80000000, v19
	ds_write_b32 v4, v20
.LBB4_350:
	s_or_b64 exec, exec, s[10:11]
	s_waitcnt lgkmcnt(0)
	s_barrier
	s_barrier
	s_and_saveexec_b64 s[10:11], s[0:1]
; %bb.351:
	v_lshlrev_b32_e32 v20, 2, v1
	v_lshl_or_b32 v20, v3, 8, v20
	ds_write_b32 v20, v19 offset:10912
; %bb.352:
	s_or_b64 exec, exec, s[10:11]
	s_waitcnt lgkmcnt(0)
	s_barrier
	s_barrier
	s_and_saveexec_b64 s[10:11], vcc
	s_cbranch_execz .LBB4_354
; %bb.353:
	v_mov_b32_e32 v21, 0
	ds_read_b64 v[19:20], v21 offset:10656
	ds_read_b32 v22, v21 offset:10400
	s_waitcnt lgkmcnt(0)
	v_mul_f32_e32 v20, v22, v20
	v_mul_f32_e32 v19, v19, v20
	ds_write_b32 v21, v19 offset:10656
.LBB4_354:
	s_or_b64 exec, exec, s[10:11]
	v_mov_b32_e32 v19, 0
	s_waitcnt lgkmcnt(0)
	s_barrier
	buffer_wbinvl1_vol
	s_and_saveexec_b64 s[12:13], s[14:15]
	s_cbranch_execz .LBB4_364
; %bb.355:
	v_lshlrev_b32_e32 v21, 2, v13
	v_lshlrev_b32_e32 v20, 8, v14
	ds_read_b32 v19, v21 offset:10368
	ds_read_b32 v22, v20 offset:10400
	v_cmp_gt_u32_e64 s[10:11], 56, v5
	s_waitcnt lgkmcnt(0)
	v_fma_f32 v19, v19, v22, 0
	s_and_saveexec_b64 s[16:17], s[10:11]
	s_cbranch_execnz .LBB4_1159
; %bb.356:
	s_or_b64 exec, exec, s[16:17]
	v_cmp_gt_u32_e64 s[10:11], 48, v5
	s_and_saveexec_b64 s[16:17], s[10:11]
	s_cbranch_execnz .LBB4_1160
.LBB4_357:
	s_or_b64 exec, exec, s[16:17]
	v_cmp_gt_u32_e64 s[10:11], 40, v5
	s_and_saveexec_b64 s[16:17], s[10:11]
	s_cbranch_execnz .LBB4_1161
.LBB4_358:
	s_or_b64 exec, exec, s[16:17]
	v_cmp_gt_u32_e64 s[10:11], 32, v5
	s_and_saveexec_b64 s[16:17], s[10:11]
	s_cbranch_execnz .LBB4_1162
.LBB4_359:
	s_or_b64 exec, exec, s[16:17]
	v_cmp_gt_u32_e64 s[10:11], 24, v5
	s_and_saveexec_b64 s[16:17], s[10:11]
	s_cbranch_execnz .LBB4_1163
.LBB4_360:
	s_or_b64 exec, exec, s[16:17]
	s_and_saveexec_b64 s[10:11], s[2:3]
	s_cbranch_execnz .LBB4_1164
.LBB4_361:
	s_or_b64 exec, exec, s[10:11]
	v_cmp_gt_u32_e64 s[10:11], 8, v5
	s_and_saveexec_b64 s[16:17], s[10:11]
	s_cbranch_execz .LBB4_363
.LBB4_362:
	v_lshlrev_b32_e32 v20, 2, v0
	v_mov_b32_e32 v21, 0
	ds_read_b32 v20, v20 offset:12160
	ds_read_b32 v21, v21 offset:12220
	s_waitcnt lgkmcnt(0)
	v_fmac_f32_e32 v19, v20, v21
.LBB4_363:
	s_or_b64 exec, exec, s[16:17]
.LBB4_364:
	s_or_b64 exec, exec, s[12:13]
	s_and_saveexec_b64 s[10:11], s[52:53]
	s_cbranch_execz .LBB4_366
; %bb.365:
	v_mov_b32_e32 v20, 0
	ds_read_b32 v20, v20 offset:10140
	s_waitcnt lgkmcnt(0)
	v_mul_f32_e32 v19, v19, v20
	v_xor_b32_e32 v20, 0x80000000, v19
	ds_write_b32 v15, v20
.LBB4_366:
	s_or_b64 exec, exec, s[10:11]
	s_waitcnt lgkmcnt(0)
	s_barrier
	s_and_saveexec_b64 s[10:11], s[54:55]
	s_cbranch_execz .LBB4_368
; %bb.367:
	v_lshlrev_b32_e32 v20, 2, v13
	ds_read_b32 v20, v20 offset:10112
	ds_read_b32 v21, v15
	s_waitcnt lgkmcnt(0)
	v_fma_f32 v19, -v20, v21, v19
.LBB4_368:
	s_or_b64 exec, exec, s[10:11]
	s_barrier
	s_and_saveexec_b64 s[10:11], s[56:57]
	s_cbranch_execz .LBB4_370
; %bb.369:
	v_mov_b32_e32 v20, 0
	ds_read_b32 v20, v20 offset:9880
	s_waitcnt lgkmcnt(0)
	v_mul_f32_e32 v19, v19, v20
	v_xor_b32_e32 v20, 0x80000000, v19
	ds_write_b32 v15, v20
.LBB4_370:
	s_or_b64 exec, exec, s[10:11]
	s_waitcnt lgkmcnt(0)
	s_barrier
	s_and_saveexec_b64 s[10:11], s[58:59]
	s_cbranch_execz .LBB4_372
; %bb.371:
	v_lshlrev_b32_e32 v20, 2, v13
	ds_read_b32 v20, v20 offset:9856
	ds_read_b32 v21, v15
	s_waitcnt lgkmcnt(0)
	v_fma_f32 v19, -v20, v21, v19
.LBB4_372:
	s_or_b64 exec, exec, s[10:11]
	s_barrier
	;; [unrolled: 24-line block ×6, first 2 shown]
	s_and_saveexec_b64 s[10:11], s[78:79]
	s_cbranch_execz .LBB4_390
; %bb.389:
	v_mov_b32_e32 v20, 0
	ds_read_b32 v20, v20 offset:8580
	s_waitcnt lgkmcnt(0)
	v_mul_f32_e32 v19, v19, v20
	v_xor_b32_e32 v20, 0x80000000, v19
	ds_write_b32 v15, v20
.LBB4_390:
	s_or_b64 exec, exec, s[10:11]
	s_waitcnt lgkmcnt(0)
	s_barrier
	s_and_saveexec_b64 s[10:11], s[62:63]
	s_cbranch_execz .LBB4_392
; %bb.391:
	v_mov_b32_e32 v20, 0
	ds_read_b32 v20, v20 offset:8576
	ds_read_b32 v21, v15
	s_waitcnt lgkmcnt(0)
	v_fma_f32 v19, -v20, v21, v19
.LBB4_392:
	s_or_b64 exec, exec, s[10:11]
	s_barrier
	s_and_saveexec_b64 s[10:11], s[62:63]
	s_cbranch_execz .LBB4_394
; %bb.393:
	v_mov_b32_e32 v20, 0
	ds_read_b32 v20, v20 offset:8320
	s_waitcnt lgkmcnt(0)
	v_mul_f32_e32 v19, v19, v20
	v_xor_b32_e32 v20, 0x80000000, v19
	ds_write_b32 v15, v20
.LBB4_394:
	s_or_b64 exec, exec, s[10:11]
	s_waitcnt lgkmcnt(0)
	s_barrier
	s_barrier
	s_and_saveexec_b64 s[10:11], s[14:15]
; %bb.395:
	v_lshlrev_b32_e32 v20, 2, v13
	v_lshl_or_b32 v20, v14, 8, v20
	ds_write_b32 v20, v19 offset:10368
; %bb.396:
	s_or_b64 exec, exec, s[10:11]
	s_waitcnt lgkmcnt(0)
	s_barrier
	s_barrier
	s_and_saveexec_b64 s[10:11], vcc
	s_cbranch_execz .LBB4_398
; %bb.397:
	v_mov_b32_e32 v21, 0
	ds_read_b64 v[19:20], v21 offset:10136
	ds_read_b32 v22, v21 offset:9880
	s_waitcnt lgkmcnt(0)
	v_mul_f32_e32 v20, v22, v20
	v_mul_f32_e32 v19, v19, v20
	ds_write_b32 v21, v19 offset:10136
.LBB4_398:
	s_or_b64 exec, exec, s[10:11]
	v_mov_b32_e32 v19, 0
	s_waitcnt lgkmcnt(0)
	s_barrier
	buffer_wbinvl1_vol
	s_and_saveexec_b64 s[12:13], s[0:1]
	s_cbranch_execz .LBB4_402
; %bb.399:
	v_lshlrev_b32_e32 v19, 8, v3
	v_lshlrev_b32_e32 v20, 2, v1
	ds_read_b32 v21, v20 offset:9872
	ds_read_b32 v19, v19 offset:9880
	v_mov_b32_e32 v20, 0
	v_cmp_gt_u32_e64 s[10:11], 2, v5
	s_waitcnt lgkmcnt(0)
	v_fma_f32 v19, v21, v19, 0
	s_and_saveexec_b64 s[16:17], s[10:11]
	s_cbranch_execz .LBB4_401
; %bb.400:
	v_lshlrev_b32_e32 v21, 2, v0
	ds_read_b32 v21, v21 offset:10128
	ds_read_b32 v20, v20 offset:10140
	s_waitcnt lgkmcnt(0)
	v_fmac_f32_e32 v19, v21, v20
.LBB4_401:
	s_or_b64 exec, exec, s[16:17]
.LBB4_402:
	s_or_b64 exec, exec, s[12:13]
	s_and_saveexec_b64 s[10:11], s[38:39]
	s_cbranch_execz .LBB4_404
; %bb.403:
	v_mov_b32_e32 v20, 0
	ds_read_b32 v20, v20 offset:9620
	s_waitcnt lgkmcnt(0)
	v_mul_f32_e32 v19, v19, v20
	v_xor_b32_e32 v20, 0x80000000, v19
	ds_write_b32 v4, v20
.LBB4_404:
	s_or_b64 exec, exec, s[10:11]
	s_waitcnt lgkmcnt(0)
	s_barrier
	s_and_saveexec_b64 s[10:11], s[24:25]
	s_cbranch_execz .LBB4_406
; %bb.405:
	v_mov_b32_e32 v20, 0
	ds_read_b32 v20, v20 offset:9616
	ds_read_b32 v21, v4
	s_waitcnt lgkmcnt(0)
	v_fma_f32 v19, -v20, v21, v19
.LBB4_406:
	s_or_b64 exec, exec, s[10:11]
	s_barrier
	s_and_saveexec_b64 s[10:11], s[24:25]
	s_cbranch_execz .LBB4_408
; %bb.407:
	v_mov_b32_e32 v20, 0
	ds_read_b32 v20, v20 offset:9360
	s_waitcnt lgkmcnt(0)
	v_mul_f32_e32 v19, v19, v20
	v_xor_b32_e32 v20, 0x80000000, v19
	ds_write_b32 v4, v20
.LBB4_408:
	s_or_b64 exec, exec, s[10:11]
	s_waitcnt lgkmcnt(0)
	s_barrier
	s_barrier
	s_and_saveexec_b64 s[10:11], s[0:1]
; %bb.409:
	v_lshlrev_b32_e32 v20, 2, v1
	v_lshl_or_b32 v20, v3, 8, v20
	ds_write_b32 v20, v19 offset:9872
; %bb.410:
	s_or_b64 exec, exec, s[10:11]
	s_waitcnt lgkmcnt(0)
	s_barrier
	s_barrier
	s_and_saveexec_b64 s[10:11], vcc
	s_cbranch_execz .LBB4_412
; %bb.411:
	v_mov_b32_e32 v21, 0
	ds_read_b64 v[19:20], v21 offset:9616
	ds_read_b32 v22, v21 offset:9360
	s_waitcnt lgkmcnt(0)
	v_mul_f32_e32 v20, v22, v20
	v_mul_f32_e32 v19, v19, v20
	ds_write_b32 v21, v19 offset:9616
.LBB4_412:
	s_or_b64 exec, exec, s[10:11]
	v_mov_b32_e32 v19, 0
	s_waitcnt lgkmcnt(0)
	s_barrier
	buffer_wbinvl1_vol
	s_and_saveexec_b64 s[12:13], s[2:3]
	s_cbranch_execz .LBB4_418
; %bb.413:
	v_lshlrev_b32_e32 v21, 2, v6
	v_lshlrev_b32_e32 v20, 8, v11
	ds_read_b32 v19, v21 offset:9344
	ds_read_b32 v22, v20 offset:9360
	v_cmp_gt_u32_e64 s[10:11], 12, v5
	s_waitcnt lgkmcnt(0)
	v_fma_f32 v19, v19, v22, 0
	s_and_saveexec_b64 s[16:17], s[10:11]
	s_cbranch_execnz .LBB4_1165
; %bb.414:
	s_or_b64 exec, exec, s[16:17]
	v_cmp_gt_u32_e64 s[10:11], 8, v5
	s_and_saveexec_b64 s[16:17], s[10:11]
	s_cbranch_execnz .LBB4_1166
.LBB4_415:
	s_or_b64 exec, exec, s[16:17]
	v_cmp_gt_u32_e64 s[10:11], 4, v5
	s_and_saveexec_b64 s[16:17], s[10:11]
	s_cbranch_execz .LBB4_417
.LBB4_416:
	v_lshlrev_b32_e32 v20, 2, v0
	v_mov_b32_e32 v21, 0
	ds_read_b32 v20, v20 offset:10112
	ds_read_b32 v21, v21 offset:10140
	s_waitcnt lgkmcnt(0)
	v_fmac_f32_e32 v19, v20, v21
.LBB4_417:
	s_or_b64 exec, exec, s[16:17]
.LBB4_418:
	s_or_b64 exec, exec, s[12:13]
	s_and_saveexec_b64 s[10:11], s[42:43]
	s_cbranch_execz .LBB4_420
; %bb.419:
	v_mov_b32_e32 v20, 0
	ds_read_b32 v20, v20 offset:9100
	s_waitcnt lgkmcnt(0)
	v_mul_f32_e32 v19, v19, v20
	v_xor_b32_e32 v20, 0x80000000, v19
	ds_write_b32 v12, v20
.LBB4_420:
	s_or_b64 exec, exec, s[10:11]
	s_waitcnt lgkmcnt(0)
	s_barrier
	s_and_saveexec_b64 s[10:11], s[44:45]
	s_cbranch_execz .LBB4_422
; %bb.421:
	v_lshlrev_b32_e32 v20, 2, v6
	ds_read_b32 v20, v20 offset:9088
	ds_read_b32 v21, v12
	s_waitcnt lgkmcnt(0)
	v_fma_f32 v19, -v20, v21, v19
.LBB4_422:
	s_or_b64 exec, exec, s[10:11]
	s_barrier
	s_and_saveexec_b64 s[10:11], s[46:47]
	s_cbranch_execz .LBB4_424
; %bb.423:
	v_mov_b32_e32 v20, 0
	ds_read_b32 v20, v20 offset:8840
	s_waitcnt lgkmcnt(0)
	v_mul_f32_e32 v19, v19, v20
	v_xor_b32_e32 v20, 0x80000000, v19
	ds_write_b32 v12, v20
.LBB4_424:
	s_or_b64 exec, exec, s[10:11]
	s_waitcnt lgkmcnt(0)
	s_barrier
	s_and_saveexec_b64 s[10:11], s[48:49]
	s_cbranch_execz .LBB4_426
; %bb.425:
	v_lshlrev_b32_e32 v20, 2, v6
	ds_read_b32 v20, v20 offset:8832
	ds_read_b32 v21, v12
	s_waitcnt lgkmcnt(0)
	v_fma_f32 v19, -v20, v21, v19
.LBB4_426:
	s_or_b64 exec, exec, s[10:11]
	s_barrier
	s_and_saveexec_b64 s[10:11], s[50:51]
	s_cbranch_execz .LBB4_428
; %bb.427:
	v_mov_b32_e32 v20, 0
	ds_read_b32 v20, v20 offset:8580
	s_waitcnt lgkmcnt(0)
	v_mul_f32_e32 v19, v19, v20
	v_xor_b32_e32 v20, 0x80000000, v19
	ds_write_b32 v12, v20
.LBB4_428:
	s_or_b64 exec, exec, s[10:11]
	s_waitcnt lgkmcnt(0)
	s_barrier
	s_and_saveexec_b64 s[10:11], s[40:41]
	s_cbranch_execz .LBB4_430
; %bb.429:
	v_mov_b32_e32 v20, 0
	ds_read_b32 v20, v20 offset:8576
	ds_read_b32 v21, v12
	s_waitcnt lgkmcnt(0)
	v_fma_f32 v19, -v20, v21, v19
.LBB4_430:
	s_or_b64 exec, exec, s[10:11]
	s_barrier
	s_and_saveexec_b64 s[10:11], s[40:41]
	s_cbranch_execz .LBB4_432
; %bb.431:
	v_mov_b32_e32 v20, 0
	ds_read_b32 v20, v20 offset:8320
	s_waitcnt lgkmcnt(0)
	v_mul_f32_e32 v19, v19, v20
	v_xor_b32_e32 v20, 0x80000000, v19
	ds_write_b32 v12, v20
.LBB4_432:
	s_or_b64 exec, exec, s[10:11]
	s_waitcnt lgkmcnt(0)
	s_barrier
	s_barrier
	s_and_saveexec_b64 s[10:11], s[2:3]
; %bb.433:
	v_lshlrev_b32_e32 v20, 2, v6
	v_lshl_or_b32 v20, v11, 8, v20
	ds_write_b32 v20, v19 offset:9344
; %bb.434:
	s_or_b64 exec, exec, s[10:11]
	s_waitcnt lgkmcnt(0)
	s_barrier
	s_barrier
	s_and_saveexec_b64 s[10:11], vcc
	s_cbranch_execz .LBB4_436
; %bb.435:
	v_mov_b32_e32 v21, 0
	ds_read_b64 v[19:20], v21 offset:9096
	ds_read_b32 v22, v21 offset:8840
	s_waitcnt lgkmcnt(0)
	v_mul_f32_e32 v20, v22, v20
	v_mul_f32_e32 v19, v19, v20
	ds_write_b32 v21, v19 offset:9096
.LBB4_436:
	s_or_b64 exec, exec, s[10:11]
	v_mov_b32_e32 v19, 0
	s_waitcnt lgkmcnt(0)
	s_barrier
	buffer_wbinvl1_vol
	s_and_saveexec_b64 s[12:13], s[0:1]
	s_cbranch_execz .LBB4_440
; %bb.437:
	v_lshlrev_b32_e32 v19, 8, v3
	v_lshlrev_b32_e32 v20, 2, v1
	ds_read_b32 v21, v20 offset:8832
	ds_read_b32 v19, v19 offset:8840
	v_mov_b32_e32 v20, 0
	v_cmp_gt_u32_e64 s[10:11], 2, v5
	s_waitcnt lgkmcnt(0)
	v_fma_f32 v19, v21, v19, 0
	s_and_saveexec_b64 s[16:17], s[10:11]
	s_cbranch_execz .LBB4_439
; %bb.438:
	v_lshlrev_b32_e32 v21, 2, v0
	ds_read_b32 v21, v21 offset:9088
	ds_read_b32 v20, v20 offset:9100
	s_waitcnt lgkmcnt(0)
	v_fmac_f32_e32 v19, v21, v20
.LBB4_439:
	s_or_b64 exec, exec, s[16:17]
.LBB4_440:
	s_or_b64 exec, exec, s[12:13]
	s_and_saveexec_b64 s[10:11], s[38:39]
	s_cbranch_execz .LBB4_442
; %bb.441:
	v_mov_b32_e32 v20, 0
	ds_read_b32 v20, v20 offset:8580
	s_waitcnt lgkmcnt(0)
	v_mul_f32_e32 v19, v19, v20
	v_xor_b32_e32 v20, 0x80000000, v19
	ds_write_b32 v4, v20
.LBB4_442:
	s_or_b64 exec, exec, s[10:11]
	s_waitcnt lgkmcnt(0)
	s_barrier
	s_and_saveexec_b64 s[10:11], s[24:25]
	s_cbranch_execz .LBB4_444
; %bb.443:
	v_mov_b32_e32 v20, 0
	ds_read_b32 v20, v20 offset:8576
	ds_read_b32 v21, v4
	s_waitcnt lgkmcnt(0)
	v_fma_f32 v19, -v20, v21, v19
.LBB4_444:
	s_or_b64 exec, exec, s[10:11]
	s_barrier
	s_and_saveexec_b64 s[10:11], s[24:25]
	s_cbranch_execz .LBB4_446
; %bb.445:
	v_mov_b32_e32 v20, 0
	ds_read_b32 v20, v20 offset:8320
	s_waitcnt lgkmcnt(0)
	v_mul_f32_e32 v19, v19, v20
	v_xor_b32_e32 v20, 0x80000000, v19
	ds_write_b32 v4, v20
.LBB4_446:
	s_or_b64 exec, exec, s[10:11]
	s_waitcnt lgkmcnt(0)
	s_barrier
	s_barrier
	s_and_saveexec_b64 s[10:11], s[0:1]
; %bb.447:
	v_lshlrev_b32_e32 v20, 2, v1
	v_lshl_or_b32 v20, v3, 8, v20
	ds_write_b32 v20, v19 offset:8832
; %bb.448:
	s_or_b64 exec, exec, s[10:11]
	s_waitcnt lgkmcnt(0)
	s_barrier
	s_barrier
	s_and_saveexec_b64 s[10:11], vcc
	s_cbranch_execz .LBB4_450
; %bb.449:
	v_mov_b32_e32 v21, 0
	ds_read_b64 v[19:20], v21 offset:8576
	ds_read_b32 v22, v21 offset:8320
	s_waitcnt lgkmcnt(0)
	v_mul_f32_e32 v20, v22, v20
	v_mul_f32_e32 v19, v19, v20
	ds_write_b32 v21, v19 offset:8576
.LBB4_450:
	s_or_b64 exec, exec, s[10:11]
	s_movk_i32 s10, 0x3ff
	v_lshrrev_b32_e32 v22, 5, v5
	v_cmp_lt_u32_e64 s[12:13], s10, v5
	s_movk_i32 s10, 0x400
	v_and_b32_e32 v19, 31, v0
	v_sub_u32_e32 v20, 31, v22
	v_cmp_gt_u32_e64 s[10:11], s10, v5
	v_mov_b32_e32 v21, 0
	s_waitcnt lgkmcnt(0)
	s_barrier
	buffer_wbinvl1_vol
	s_and_saveexec_b64 s[94:95], s[10:11]
	s_cbranch_execz .LBB4_512
; %bb.451:
	v_lshlrev_b32_e32 v24, 2, v19
	v_lshlrev_b32_e32 v23, 8, v20
	ds_read_b32 v21, v24 offset:8192
	ds_read_b32 v25, v23 offset:8320
	s_movk_i32 s16, 0x3e0
	v_cmp_gt_u32_e64 s[16:17], s16, v5
	s_waitcnt lgkmcnt(0)
	v_fma_f32 v21, v21, v25, 0
	s_and_saveexec_b64 s[80:81], s[16:17]
	s_cbranch_execz .LBB4_453
; %bb.452:
	ds_read_b32 v25, v24 offset:8448
	ds_read_b32 v26, v23 offset:8324
	s_waitcnt lgkmcnt(0)
	v_fmac_f32_e32 v21, v25, v26
.LBB4_453:
	s_or_b64 exec, exec, s[80:81]
	s_movk_i32 s16, 0x3c0
	v_cmp_gt_u32_e64 s[16:17], s16, v5
	s_and_saveexec_b64 s[80:81], s[16:17]
	s_cbranch_execz .LBB4_455
; %bb.454:
	ds_read_b32 v25, v24 offset:8704
	ds_read_b32 v26, v23 offset:8328
	s_waitcnt lgkmcnt(0)
	v_fmac_f32_e32 v21, v25, v26
.LBB4_455:
	s_or_b64 exec, exec, s[80:81]
	s_movk_i32 s16, 0x3a0
	v_cmp_gt_u32_e64 s[16:17], s16, v5
	;; [unrolled: 11-line block ×22, first 2 shown]
	s_and_saveexec_b64 s[80:81], s[16:17]
	s_cbranch_execz .LBB4_497
; %bb.496:
	ds_read_b32 v25, v24 offset:14080
	ds_read_b32 v26, v23 offset:8412
	s_waitcnt lgkmcnt(0)
	v_fmac_f32_e32 v21, v25, v26
.LBB4_497:
	s_or_b64 exec, exec, s[80:81]
	s_and_saveexec_b64 s[16:17], s[8:9]
	s_cbranch_execz .LBB4_499
; %bb.498:
	ds_read_b32 v25, v24 offset:14336
	ds_read_b32 v26, v23 offset:8416
	s_waitcnt lgkmcnt(0)
	v_fmac_f32_e32 v21, v25, v26
.LBB4_499:
	s_or_b64 exec, exec, s[16:17]
	s_movk_i32 s16, 0xe0
	v_cmp_gt_u32_e64 s[16:17], s16, v5
	s_and_saveexec_b64 s[80:81], s[16:17]
	s_cbranch_execz .LBB4_501
; %bb.500:
	ds_read_b32 v25, v24 offset:14592
	ds_read_b32 v26, v23 offset:8420
	s_waitcnt lgkmcnt(0)
	v_fmac_f32_e32 v21, v25, v26
.LBB4_501:
	s_or_b64 exec, exec, s[80:81]
	s_movk_i32 s16, 0xc0
	v_cmp_gt_u32_e64 s[16:17], s16, v5
	;; [unrolled: 11-line block ×5, first 2 shown]
	s_and_saveexec_b64 s[80:81], s[16:17]
	s_cbranch_execnz .LBB4_1167
; %bb.508:
	s_or_b64 exec, exec, s[80:81]
	s_and_saveexec_b64 s[16:17], s[14:15]
	s_cbranch_execnz .LBB4_1168
.LBB4_509:
	s_or_b64 exec, exec, s[16:17]
	v_cmp_gt_u32_e64 s[16:17], 32, v5
	s_and_saveexec_b64 s[80:81], s[16:17]
	s_cbranch_execz .LBB4_511
.LBB4_510:
	v_lshlrev_b32_e32 v23, 2, v0
	v_mov_b32_e32 v24, 0
	ds_read_b32 v23, v23 offset:16128
	ds_read_b32 v24, v24 offset:16380
	s_waitcnt lgkmcnt(0)
	v_fmac_f32_e32 v21, v23, v24
.LBB4_511:
	s_or_b64 exec, exec, s[80:81]
.LBB4_512:
	s_or_b64 exec, exec, s[94:95]
	v_mov_b32_e32 v23, 0x4000
	v_cmp_eq_u32_e64 s[16:17], 31, v19
	s_xor_b64 s[94:95], s[12:13], -1
	v_lshl_add_u32 v22, v22, 2, v23
	s_and_b64 s[16:17], s[16:17], s[94:95]
	s_and_saveexec_b64 s[12:13], s[16:17]
	s_cbranch_execz .LBB4_514
; %bb.513:
	v_mov_b32_e32 v23, 0
	ds_read_b32 v23, v23 offset:8060
	s_waitcnt lgkmcnt(0)
	v_mul_f32_e32 v21, v21, v23
	v_xor_b32_e32 v23, 0x80000000, v21
	ds_write_b32 v22, v23
.LBB4_514:
	s_or_b64 exec, exec, s[12:13]
	v_cmp_ne_u32_e64 s[12:13], 31, v19
	s_and_b64 s[16:17], s[12:13], s[94:95]
	s_waitcnt lgkmcnt(0)
	s_barrier
	s_and_saveexec_b64 s[12:13], s[16:17]
	s_cbranch_execz .LBB4_516
; %bb.515:
	v_lshlrev_b32_e32 v23, 2, v19
	ds_read_b32 v23, v23 offset:7936
	ds_read_b32 v24, v22
	s_waitcnt lgkmcnt(0)
	v_fma_f32 v21, -v23, v24, v21
.LBB4_516:
	s_or_b64 exec, exec, s[12:13]
	v_cmp_eq_u32_e64 s[12:13], 30, v19
	s_and_b64 s[16:17], s[12:13], s[94:95]
	s_barrier
	s_and_saveexec_b64 s[12:13], s[16:17]
	s_cbranch_execz .LBB4_518
; %bb.517:
	v_mov_b32_e32 v23, 0
	ds_read_b32 v23, v23 offset:7800
	s_waitcnt lgkmcnt(0)
	v_mul_f32_e32 v21, v21, v23
	v_xor_b32_e32 v23, 0x80000000, v21
	ds_write_b32 v22, v23
.LBB4_518:
	s_or_b64 exec, exec, s[12:13]
	v_cmp_gt_u32_e64 s[12:13], 30, v19
	s_and_b64 s[16:17], s[12:13], s[94:95]
	s_waitcnt lgkmcnt(0)
	s_barrier
	s_and_saveexec_b64 s[12:13], s[16:17]
	s_cbranch_execz .LBB4_520
; %bb.519:
	v_lshlrev_b32_e32 v23, 2, v19
	ds_read_b32 v23, v23 offset:7680
	ds_read_b32 v24, v22
	s_waitcnt lgkmcnt(0)
	v_fma_f32 v21, -v23, v24, v21
.LBB4_520:
	s_or_b64 exec, exec, s[12:13]
	v_cmp_eq_u32_e64 s[12:13], 29, v19
	s_and_b64 s[16:17], s[12:13], s[94:95]
	s_barrier
	s_and_saveexec_b64 s[12:13], s[16:17]
	s_cbranch_execz .LBB4_522
; %bb.521:
	v_mov_b32_e32 v23, 0
	ds_read_b32 v23, v23 offset:7540
	s_waitcnt lgkmcnt(0)
	v_mul_f32_e32 v21, v21, v23
	v_xor_b32_e32 v23, 0x80000000, v21
	ds_write_b32 v22, v23
.LBB4_522:
	s_or_b64 exec, exec, s[12:13]
	v_cmp_gt_u32_e64 s[12:13], 29, v19
	;; [unrolled: 28-line block ×29, first 2 shown]
	s_and_b64 s[16:17], s[12:13], s[94:95]
	s_waitcnt lgkmcnt(0)
	s_barrier
	s_and_saveexec_b64 s[12:13], s[16:17]
	s_cbranch_execz .LBB4_632
; %bb.631:
	v_lshlrev_b32_e32 v23, 2, v19
	ds_read_b32 v23, v23 offset:512
	ds_read_b32 v24, v22
	s_waitcnt lgkmcnt(0)
	v_fma_f32 v21, -v23, v24, v21
.LBB4_632:
	s_or_b64 exec, exec, s[12:13]
	v_cmp_eq_u32_e64 s[12:13], 1, v19
	s_and_b64 s[16:17], s[12:13], s[94:95]
	s_barrier
	s_and_saveexec_b64 s[12:13], s[16:17]
	s_cbranch_execz .LBB4_634
; %bb.633:
	v_mov_b32_e32 v23, 0
	ds_read_b32 v23, v23 offset:260
	s_waitcnt lgkmcnt(0)
	v_mul_f32_e32 v21, v21, v23
	v_xor_b32_e32 v23, 0x80000000, v21
	ds_write_b32 v22, v23
.LBB4_634:
	s_or_b64 exec, exec, s[12:13]
	v_cmp_eq_u32_e64 s[12:13], 0, v19
	s_and_b64 s[12:13], s[12:13], s[94:95]
	s_waitcnt lgkmcnt(0)
	s_barrier
	s_and_saveexec_b64 s[16:17], s[12:13]
	s_cbranch_execz .LBB4_636
; %bb.635:
	v_mov_b32_e32 v23, 0
	ds_read_b32 v23, v23 offset:256
	ds_read_b32 v24, v22
	s_waitcnt lgkmcnt(0)
	v_fma_f32 v21, -v23, v24, v21
.LBB4_636:
	s_or_b64 exec, exec, s[16:17]
	s_barrier
	s_and_saveexec_b64 s[16:17], s[12:13]
	s_cbranch_execz .LBB4_638
; %bb.637:
	v_mov_b32_e32 v23, 0
	ds_read_b32 v23, v23
	s_waitcnt lgkmcnt(0)
	v_mul_f32_e32 v21, v21, v23
	v_xor_b32_e32 v23, 0x80000000, v21
	ds_write_b32 v22, v23
.LBB4_638:
	s_or_b64 exec, exec, s[16:17]
	s_waitcnt lgkmcnt(0)
	s_barrier
	s_barrier
	s_and_saveexec_b64 s[12:13], s[10:11]
; %bb.639:
	v_lshlrev_b32_e32 v19, 2, v19
	v_lshl_or_b32 v19, v20, 8, v19
	ds_write_b32 v19, v21 offset:8192
; %bb.640:
	s_or_b64 exec, exec, s[12:13]
	s_waitcnt lgkmcnt(0)
	s_barrier
	s_barrier
	s_and_saveexec_b64 s[10:11], vcc
	s_cbranch_execz .LBB4_642
; %bb.641:
	v_mov_b32_e32 v21, 0
	ds_read_b64 v[19:20], v21 offset:8056
	ds_read_b32 v22, v21 offset:7800
	s_waitcnt lgkmcnt(0)
	v_mul_f32_e32 v20, v22, v20
	v_mul_f32_e32 v19, v19, v20
	ds_write_b32 v21, v19 offset:8056
.LBB4_642:
	s_or_b64 exec, exec, s[10:11]
	v_mov_b32_e32 v19, 0
	s_waitcnt lgkmcnt(0)
	s_barrier
	buffer_wbinvl1_vol
	s_and_saveexec_b64 s[12:13], s[0:1]
	s_cbranch_execz .LBB4_646
; %bb.643:
	v_lshlrev_b32_e32 v19, 8, v3
	v_lshlrev_b32_e32 v20, 2, v1
	ds_read_b32 v21, v20 offset:7792
	ds_read_b32 v19, v19 offset:7800
	v_mov_b32_e32 v20, 0
	v_cmp_gt_u32_e64 s[10:11], 2, v5
	s_waitcnt lgkmcnt(0)
	v_fma_f32 v19, v21, v19, 0
	s_and_saveexec_b64 s[16:17], s[10:11]
	s_cbranch_execz .LBB4_645
; %bb.644:
	v_lshlrev_b32_e32 v21, 2, v0
	ds_read_b32 v21, v21 offset:8048
	ds_read_b32 v20, v20 offset:8060
	s_waitcnt lgkmcnt(0)
	v_fmac_f32_e32 v19, v21, v20
.LBB4_645:
	s_or_b64 exec, exec, s[16:17]
.LBB4_646:
	s_or_b64 exec, exec, s[12:13]
	s_and_saveexec_b64 s[10:11], s[38:39]
	s_cbranch_execz .LBB4_648
; %bb.647:
	v_mov_b32_e32 v20, 0
	ds_read_b32 v20, v20 offset:7540
	s_waitcnt lgkmcnt(0)
	v_mul_f32_e32 v19, v19, v20
	v_xor_b32_e32 v20, 0x80000000, v19
	ds_write_b32 v4, v20
.LBB4_648:
	s_or_b64 exec, exec, s[10:11]
	s_waitcnt lgkmcnt(0)
	s_barrier
	s_and_saveexec_b64 s[10:11], s[24:25]
	s_cbranch_execz .LBB4_650
; %bb.649:
	v_mov_b32_e32 v20, 0
	ds_read_b32 v20, v20 offset:7536
	ds_read_b32 v21, v4
	s_waitcnt lgkmcnt(0)
	v_fma_f32 v19, -v20, v21, v19
.LBB4_650:
	s_or_b64 exec, exec, s[10:11]
	s_barrier
	s_and_saveexec_b64 s[10:11], s[24:25]
	s_cbranch_execz .LBB4_652
; %bb.651:
	v_mov_b32_e32 v20, 0
	ds_read_b32 v20, v20 offset:7280
	s_waitcnt lgkmcnt(0)
	v_mul_f32_e32 v19, v19, v20
	v_xor_b32_e32 v20, 0x80000000, v19
	ds_write_b32 v4, v20
.LBB4_652:
	s_or_b64 exec, exec, s[10:11]
	s_waitcnt lgkmcnt(0)
	s_barrier
	s_barrier
	s_and_saveexec_b64 s[10:11], s[0:1]
; %bb.653:
	v_lshlrev_b32_e32 v20, 2, v1
	v_lshl_or_b32 v20, v3, 8, v20
	ds_write_b32 v20, v19 offset:7792
; %bb.654:
	s_or_b64 exec, exec, s[10:11]
	s_waitcnt lgkmcnt(0)
	s_barrier
	s_barrier
	s_and_saveexec_b64 s[10:11], vcc
	s_cbranch_execz .LBB4_656
; %bb.655:
	v_mov_b32_e32 v21, 0
	ds_read_b64 v[19:20], v21 offset:7536
	ds_read_b32 v22, v21 offset:7280
	s_waitcnt lgkmcnt(0)
	v_mul_f32_e32 v20, v22, v20
	v_mul_f32_e32 v19, v19, v20
	ds_write_b32 v21, v19 offset:7536
.LBB4_656:
	s_or_b64 exec, exec, s[10:11]
	v_mov_b32_e32 v19, 0
	s_waitcnt lgkmcnt(0)
	s_barrier
	buffer_wbinvl1_vol
	s_and_saveexec_b64 s[12:13], s[2:3]
	s_cbranch_execz .LBB4_662
; %bb.657:
	v_lshlrev_b32_e32 v21, 2, v6
	v_lshlrev_b32_e32 v20, 8, v11
	ds_read_b32 v19, v21 offset:7264
	ds_read_b32 v22, v20 offset:7280
	v_cmp_gt_u32_e64 s[10:11], 12, v5
	s_waitcnt lgkmcnt(0)
	v_fma_f32 v19, v19, v22, 0
	s_and_saveexec_b64 s[16:17], s[10:11]
	s_cbranch_execnz .LBB4_1169
; %bb.658:
	s_or_b64 exec, exec, s[16:17]
	v_cmp_gt_u32_e64 s[10:11], 8, v5
	s_and_saveexec_b64 s[16:17], s[10:11]
	s_cbranch_execnz .LBB4_1170
.LBB4_659:
	s_or_b64 exec, exec, s[16:17]
	v_cmp_gt_u32_e64 s[10:11], 4, v5
	s_and_saveexec_b64 s[16:17], s[10:11]
	s_cbranch_execz .LBB4_661
.LBB4_660:
	v_lshlrev_b32_e32 v20, 2, v0
	v_mov_b32_e32 v21, 0
	ds_read_b32 v20, v20 offset:8032
	ds_read_b32 v21, v21 offset:8060
	s_waitcnt lgkmcnt(0)
	v_fmac_f32_e32 v19, v20, v21
.LBB4_661:
	s_or_b64 exec, exec, s[16:17]
.LBB4_662:
	s_or_b64 exec, exec, s[12:13]
	s_and_saveexec_b64 s[10:11], s[42:43]
	s_cbranch_execz .LBB4_664
; %bb.663:
	v_mov_b32_e32 v20, 0
	ds_read_b32 v20, v20 offset:7020
	s_waitcnt lgkmcnt(0)
	v_mul_f32_e32 v19, v19, v20
	v_xor_b32_e32 v20, 0x80000000, v19
	ds_write_b32 v12, v20
.LBB4_664:
	s_or_b64 exec, exec, s[10:11]
	s_waitcnt lgkmcnt(0)
	s_barrier
	s_and_saveexec_b64 s[10:11], s[44:45]
	s_cbranch_execz .LBB4_666
; %bb.665:
	v_lshlrev_b32_e32 v20, 2, v6
	ds_read_b32 v20, v20 offset:7008
	ds_read_b32 v21, v12
	s_waitcnt lgkmcnt(0)
	v_fma_f32 v19, -v20, v21, v19
.LBB4_666:
	s_or_b64 exec, exec, s[10:11]
	s_barrier
	s_and_saveexec_b64 s[10:11], s[46:47]
	s_cbranch_execz .LBB4_668
; %bb.667:
	v_mov_b32_e32 v20, 0
	ds_read_b32 v20, v20 offset:6760
	s_waitcnt lgkmcnt(0)
	v_mul_f32_e32 v19, v19, v20
	v_xor_b32_e32 v20, 0x80000000, v19
	ds_write_b32 v12, v20
.LBB4_668:
	s_or_b64 exec, exec, s[10:11]
	s_waitcnt lgkmcnt(0)
	s_barrier
	s_and_saveexec_b64 s[10:11], s[48:49]
	s_cbranch_execz .LBB4_670
; %bb.669:
	v_lshlrev_b32_e32 v20, 2, v6
	ds_read_b32 v20, v20 offset:6752
	ds_read_b32 v21, v12
	s_waitcnt lgkmcnt(0)
	v_fma_f32 v19, -v20, v21, v19
.LBB4_670:
	s_or_b64 exec, exec, s[10:11]
	s_barrier
	s_and_saveexec_b64 s[10:11], s[50:51]
	s_cbranch_execz .LBB4_672
; %bb.671:
	v_mov_b32_e32 v20, 0
	ds_read_b32 v20, v20 offset:6500
	s_waitcnt lgkmcnt(0)
	v_mul_f32_e32 v19, v19, v20
	v_xor_b32_e32 v20, 0x80000000, v19
	ds_write_b32 v12, v20
.LBB4_672:
	s_or_b64 exec, exec, s[10:11]
	s_waitcnt lgkmcnt(0)
	s_barrier
	s_and_saveexec_b64 s[10:11], s[40:41]
	s_cbranch_execz .LBB4_674
; %bb.673:
	v_mov_b32_e32 v20, 0
	ds_read_b32 v20, v20 offset:6496
	ds_read_b32 v21, v12
	s_waitcnt lgkmcnt(0)
	v_fma_f32 v19, -v20, v21, v19
.LBB4_674:
	s_or_b64 exec, exec, s[10:11]
	s_barrier
	s_and_saveexec_b64 s[10:11], s[40:41]
	s_cbranch_execz .LBB4_676
; %bb.675:
	v_mov_b32_e32 v20, 0
	ds_read_b32 v20, v20 offset:6240
	s_waitcnt lgkmcnt(0)
	v_mul_f32_e32 v19, v19, v20
	v_xor_b32_e32 v20, 0x80000000, v19
	ds_write_b32 v12, v20
.LBB4_676:
	s_or_b64 exec, exec, s[10:11]
	s_waitcnt lgkmcnt(0)
	s_barrier
	s_barrier
	s_and_saveexec_b64 s[10:11], s[2:3]
; %bb.677:
	v_lshlrev_b32_e32 v20, 2, v6
	v_lshl_or_b32 v20, v11, 8, v20
	ds_write_b32 v20, v19 offset:7264
; %bb.678:
	s_or_b64 exec, exec, s[10:11]
	s_waitcnt lgkmcnt(0)
	s_barrier
	s_barrier
	s_and_saveexec_b64 s[10:11], vcc
	s_cbranch_execz .LBB4_680
; %bb.679:
	v_mov_b32_e32 v21, 0
	ds_read_b64 v[19:20], v21 offset:7016
	ds_read_b32 v22, v21 offset:6760
	s_waitcnt lgkmcnt(0)
	v_mul_f32_e32 v20, v22, v20
	v_mul_f32_e32 v19, v19, v20
	ds_write_b32 v21, v19 offset:7016
.LBB4_680:
	s_or_b64 exec, exec, s[10:11]
	v_mov_b32_e32 v19, 0
	s_waitcnt lgkmcnt(0)
	s_barrier
	buffer_wbinvl1_vol
	s_and_saveexec_b64 s[12:13], s[0:1]
	s_cbranch_execz .LBB4_684
; %bb.681:
	v_lshlrev_b32_e32 v19, 8, v3
	v_lshlrev_b32_e32 v20, 2, v1
	ds_read_b32 v21, v20 offset:6752
	ds_read_b32 v19, v19 offset:6760
	v_mov_b32_e32 v20, 0
	v_cmp_gt_u32_e64 s[10:11], 2, v5
	s_waitcnt lgkmcnt(0)
	v_fma_f32 v19, v21, v19, 0
	s_and_saveexec_b64 s[16:17], s[10:11]
	s_cbranch_execz .LBB4_683
; %bb.682:
	v_lshlrev_b32_e32 v21, 2, v0
	ds_read_b32 v21, v21 offset:7008
	ds_read_b32 v20, v20 offset:7020
	s_waitcnt lgkmcnt(0)
	v_fmac_f32_e32 v19, v21, v20
.LBB4_683:
	s_or_b64 exec, exec, s[16:17]
.LBB4_684:
	s_or_b64 exec, exec, s[12:13]
	s_and_saveexec_b64 s[10:11], s[38:39]
	s_cbranch_execz .LBB4_686
; %bb.685:
	v_mov_b32_e32 v20, 0
	ds_read_b32 v20, v20 offset:6500
	s_waitcnt lgkmcnt(0)
	v_mul_f32_e32 v19, v19, v20
	v_xor_b32_e32 v20, 0x80000000, v19
	ds_write_b32 v4, v20
.LBB4_686:
	s_or_b64 exec, exec, s[10:11]
	s_waitcnt lgkmcnt(0)
	s_barrier
	s_and_saveexec_b64 s[10:11], s[24:25]
	s_cbranch_execz .LBB4_688
; %bb.687:
	v_mov_b32_e32 v20, 0
	ds_read_b32 v20, v20 offset:6496
	ds_read_b32 v21, v4
	s_waitcnt lgkmcnt(0)
	v_fma_f32 v19, -v20, v21, v19
.LBB4_688:
	s_or_b64 exec, exec, s[10:11]
	s_barrier
	s_and_saveexec_b64 s[10:11], s[24:25]
	s_cbranch_execz .LBB4_690
; %bb.689:
	v_mov_b32_e32 v20, 0
	ds_read_b32 v20, v20 offset:6240
	s_waitcnt lgkmcnt(0)
	v_mul_f32_e32 v19, v19, v20
	v_xor_b32_e32 v20, 0x80000000, v19
	ds_write_b32 v4, v20
.LBB4_690:
	s_or_b64 exec, exec, s[10:11]
	s_waitcnt lgkmcnt(0)
	s_barrier
	s_barrier
	s_and_saveexec_b64 s[10:11], s[0:1]
; %bb.691:
	v_lshlrev_b32_e32 v20, 2, v1
	v_lshl_or_b32 v20, v3, 8, v20
	ds_write_b32 v20, v19 offset:6752
; %bb.692:
	s_or_b64 exec, exec, s[10:11]
	s_waitcnt lgkmcnt(0)
	s_barrier
	s_barrier
	s_and_saveexec_b64 s[10:11], vcc
	s_cbranch_execz .LBB4_694
; %bb.693:
	v_mov_b32_e32 v21, 0
	ds_read_b64 v[19:20], v21 offset:6496
	ds_read_b32 v22, v21 offset:6240
	s_waitcnt lgkmcnt(0)
	v_mul_f32_e32 v20, v22, v20
	v_mul_f32_e32 v19, v19, v20
	ds_write_b32 v21, v19 offset:6496
.LBB4_694:
	s_or_b64 exec, exec, s[10:11]
	v_mov_b32_e32 v19, 0
	s_waitcnt lgkmcnt(0)
	s_barrier
	buffer_wbinvl1_vol
	s_and_saveexec_b64 s[12:13], s[14:15]
	s_cbranch_execz .LBB4_704
; %bb.695:
	v_lshlrev_b32_e32 v21, 2, v13
	v_lshlrev_b32_e32 v20, 8, v14
	ds_read_b32 v19, v21 offset:6208
	ds_read_b32 v22, v20 offset:6240
	v_cmp_gt_u32_e64 s[10:11], 56, v5
	s_waitcnt lgkmcnt(0)
	v_fma_f32 v19, v19, v22, 0
	s_and_saveexec_b64 s[16:17], s[10:11]
	s_cbranch_execnz .LBB4_1171
; %bb.696:
	s_or_b64 exec, exec, s[16:17]
	v_cmp_gt_u32_e64 s[10:11], 48, v5
	s_and_saveexec_b64 s[16:17], s[10:11]
	s_cbranch_execnz .LBB4_1172
.LBB4_697:
	s_or_b64 exec, exec, s[16:17]
	v_cmp_gt_u32_e64 s[10:11], 40, v5
	s_and_saveexec_b64 s[16:17], s[10:11]
	s_cbranch_execnz .LBB4_1173
.LBB4_698:
	s_or_b64 exec, exec, s[16:17]
	v_cmp_gt_u32_e64 s[10:11], 32, v5
	s_and_saveexec_b64 s[16:17], s[10:11]
	s_cbranch_execnz .LBB4_1174
.LBB4_699:
	s_or_b64 exec, exec, s[16:17]
	v_cmp_gt_u32_e64 s[10:11], 24, v5
	s_and_saveexec_b64 s[16:17], s[10:11]
	s_cbranch_execnz .LBB4_1175
.LBB4_700:
	s_or_b64 exec, exec, s[16:17]
	s_and_saveexec_b64 s[10:11], s[2:3]
	s_cbranch_execnz .LBB4_1176
.LBB4_701:
	s_or_b64 exec, exec, s[10:11]
	v_cmp_gt_u32_e64 s[10:11], 8, v5
	s_and_saveexec_b64 s[16:17], s[10:11]
	s_cbranch_execz .LBB4_703
.LBB4_702:
	v_lshlrev_b32_e32 v20, 2, v0
	v_mov_b32_e32 v21, 0
	ds_read_b32 v20, v20 offset:8000
	ds_read_b32 v21, v21 offset:8060
	s_waitcnt lgkmcnt(0)
	v_fmac_f32_e32 v19, v20, v21
.LBB4_703:
	s_or_b64 exec, exec, s[16:17]
.LBB4_704:
	s_or_b64 exec, exec, s[12:13]
	s_and_saveexec_b64 s[10:11], s[52:53]
	s_cbranch_execz .LBB4_706
; %bb.705:
	v_mov_b32_e32 v20, 0
	ds_read_b32 v20, v20 offset:5980
	s_waitcnt lgkmcnt(0)
	v_mul_f32_e32 v19, v19, v20
	v_xor_b32_e32 v20, 0x80000000, v19
	ds_write_b32 v15, v20
.LBB4_706:
	s_or_b64 exec, exec, s[10:11]
	s_waitcnt lgkmcnt(0)
	s_barrier
	s_and_saveexec_b64 s[10:11], s[54:55]
	s_cbranch_execz .LBB4_708
; %bb.707:
	v_lshlrev_b32_e32 v20, 2, v13
	ds_read_b32 v20, v20 offset:5952
	ds_read_b32 v21, v15
	s_waitcnt lgkmcnt(0)
	v_fma_f32 v19, -v20, v21, v19
.LBB4_708:
	s_or_b64 exec, exec, s[10:11]
	s_barrier
	s_and_saveexec_b64 s[10:11], s[56:57]
	s_cbranch_execz .LBB4_710
; %bb.709:
	v_mov_b32_e32 v20, 0
	ds_read_b32 v20, v20 offset:5720
	s_waitcnt lgkmcnt(0)
	v_mul_f32_e32 v19, v19, v20
	v_xor_b32_e32 v20, 0x80000000, v19
	ds_write_b32 v15, v20
.LBB4_710:
	s_or_b64 exec, exec, s[10:11]
	s_waitcnt lgkmcnt(0)
	s_barrier
	s_and_saveexec_b64 s[10:11], s[58:59]
	s_cbranch_execz .LBB4_712
; %bb.711:
	v_lshlrev_b32_e32 v20, 2, v13
	ds_read_b32 v20, v20 offset:5696
	ds_read_b32 v21, v15
	s_waitcnt lgkmcnt(0)
	v_fma_f32 v19, -v20, v21, v19
.LBB4_712:
	s_or_b64 exec, exec, s[10:11]
	s_barrier
	;; [unrolled: 24-line block ×6, first 2 shown]
	s_and_saveexec_b64 s[10:11], s[78:79]
	s_cbranch_execz .LBB4_730
; %bb.729:
	v_mov_b32_e32 v20, 0
	ds_read_b32 v20, v20 offset:4420
	s_waitcnt lgkmcnt(0)
	v_mul_f32_e32 v19, v19, v20
	v_xor_b32_e32 v20, 0x80000000, v19
	ds_write_b32 v15, v20
.LBB4_730:
	s_or_b64 exec, exec, s[10:11]
	s_waitcnt lgkmcnt(0)
	s_barrier
	s_and_saveexec_b64 s[10:11], s[62:63]
	s_cbranch_execz .LBB4_732
; %bb.731:
	v_mov_b32_e32 v20, 0
	ds_read_b32 v20, v20 offset:4416
	ds_read_b32 v21, v15
	s_waitcnt lgkmcnt(0)
	v_fma_f32 v19, -v20, v21, v19
.LBB4_732:
	s_or_b64 exec, exec, s[10:11]
	s_barrier
	s_and_saveexec_b64 s[10:11], s[62:63]
	s_cbranch_execz .LBB4_734
; %bb.733:
	v_mov_b32_e32 v20, 0
	ds_read_b32 v20, v20 offset:4160
	s_waitcnt lgkmcnt(0)
	v_mul_f32_e32 v19, v19, v20
	v_xor_b32_e32 v20, 0x80000000, v19
	ds_write_b32 v15, v20
.LBB4_734:
	s_or_b64 exec, exec, s[10:11]
	s_waitcnt lgkmcnt(0)
	s_barrier
	s_barrier
	s_and_saveexec_b64 s[10:11], s[14:15]
; %bb.735:
	v_lshlrev_b32_e32 v20, 2, v13
	v_lshl_or_b32 v20, v14, 8, v20
	ds_write_b32 v20, v19 offset:6208
; %bb.736:
	s_or_b64 exec, exec, s[10:11]
	s_waitcnt lgkmcnt(0)
	s_barrier
	s_barrier
	s_and_saveexec_b64 s[10:11], vcc
	s_cbranch_execz .LBB4_738
; %bb.737:
	v_mov_b32_e32 v21, 0
	ds_read_b64 v[19:20], v21 offset:5976
	ds_read_b32 v22, v21 offset:5720
	s_waitcnt lgkmcnt(0)
	v_mul_f32_e32 v20, v22, v20
	v_mul_f32_e32 v19, v19, v20
	ds_write_b32 v21, v19 offset:5976
.LBB4_738:
	s_or_b64 exec, exec, s[10:11]
	v_mov_b32_e32 v19, 0
	s_waitcnt lgkmcnt(0)
	s_barrier
	buffer_wbinvl1_vol
	s_and_saveexec_b64 s[12:13], s[0:1]
	s_cbranch_execz .LBB4_742
; %bb.739:
	v_lshlrev_b32_e32 v19, 8, v3
	v_lshlrev_b32_e32 v20, 2, v1
	ds_read_b32 v21, v20 offset:5712
	ds_read_b32 v19, v19 offset:5720
	v_mov_b32_e32 v20, 0
	v_cmp_gt_u32_e64 s[10:11], 2, v5
	s_waitcnt lgkmcnt(0)
	v_fma_f32 v19, v21, v19, 0
	s_and_saveexec_b64 s[16:17], s[10:11]
	s_cbranch_execz .LBB4_741
; %bb.740:
	v_lshlrev_b32_e32 v21, 2, v0
	ds_read_b32 v21, v21 offset:5968
	ds_read_b32 v20, v20 offset:5980
	s_waitcnt lgkmcnt(0)
	v_fmac_f32_e32 v19, v21, v20
.LBB4_741:
	s_or_b64 exec, exec, s[16:17]
.LBB4_742:
	s_or_b64 exec, exec, s[12:13]
	s_and_saveexec_b64 s[10:11], s[38:39]
	s_cbranch_execz .LBB4_744
; %bb.743:
	v_mov_b32_e32 v20, 0
	ds_read_b32 v20, v20 offset:5460
	s_waitcnt lgkmcnt(0)
	v_mul_f32_e32 v19, v19, v20
	v_xor_b32_e32 v20, 0x80000000, v19
	ds_write_b32 v4, v20
.LBB4_744:
	s_or_b64 exec, exec, s[10:11]
	s_waitcnt lgkmcnt(0)
	s_barrier
	s_and_saveexec_b64 s[10:11], s[24:25]
	s_cbranch_execz .LBB4_746
; %bb.745:
	v_mov_b32_e32 v20, 0
	ds_read_b32 v20, v20 offset:5456
	ds_read_b32 v21, v4
	s_waitcnt lgkmcnt(0)
	v_fma_f32 v19, -v20, v21, v19
.LBB4_746:
	s_or_b64 exec, exec, s[10:11]
	s_barrier
	s_and_saveexec_b64 s[10:11], s[24:25]
	s_cbranch_execz .LBB4_748
; %bb.747:
	v_mov_b32_e32 v20, 0
	ds_read_b32 v20, v20 offset:5200
	s_waitcnt lgkmcnt(0)
	v_mul_f32_e32 v19, v19, v20
	v_xor_b32_e32 v20, 0x80000000, v19
	ds_write_b32 v4, v20
.LBB4_748:
	s_or_b64 exec, exec, s[10:11]
	s_waitcnt lgkmcnt(0)
	s_barrier
	s_barrier
	s_and_saveexec_b64 s[10:11], s[0:1]
; %bb.749:
	v_lshlrev_b32_e32 v20, 2, v1
	v_lshl_or_b32 v20, v3, 8, v20
	ds_write_b32 v20, v19 offset:5712
; %bb.750:
	s_or_b64 exec, exec, s[10:11]
	s_waitcnt lgkmcnt(0)
	s_barrier
	s_barrier
	s_and_saveexec_b64 s[10:11], vcc
	s_cbranch_execz .LBB4_752
; %bb.751:
	v_mov_b32_e32 v21, 0
	ds_read_b64 v[19:20], v21 offset:5456
	ds_read_b32 v22, v21 offset:5200
	s_waitcnt lgkmcnt(0)
	v_mul_f32_e32 v20, v22, v20
	v_mul_f32_e32 v19, v19, v20
	ds_write_b32 v21, v19 offset:5456
.LBB4_752:
	s_or_b64 exec, exec, s[10:11]
	v_mov_b32_e32 v19, 0
	s_waitcnt lgkmcnt(0)
	s_barrier
	buffer_wbinvl1_vol
	s_and_saveexec_b64 s[12:13], s[2:3]
	s_cbranch_execz .LBB4_758
; %bb.753:
	v_lshlrev_b32_e32 v21, 2, v6
	v_lshlrev_b32_e32 v20, 8, v11
	ds_read_b32 v19, v21 offset:5184
	ds_read_b32 v22, v20 offset:5200
	v_cmp_gt_u32_e64 s[10:11], 12, v5
	s_waitcnt lgkmcnt(0)
	v_fma_f32 v19, v19, v22, 0
	s_and_saveexec_b64 s[16:17], s[10:11]
	s_cbranch_execnz .LBB4_1177
; %bb.754:
	s_or_b64 exec, exec, s[16:17]
	v_cmp_gt_u32_e64 s[10:11], 8, v5
	s_and_saveexec_b64 s[16:17], s[10:11]
	s_cbranch_execnz .LBB4_1178
.LBB4_755:
	s_or_b64 exec, exec, s[16:17]
	v_cmp_gt_u32_e64 s[10:11], 4, v5
	s_and_saveexec_b64 s[16:17], s[10:11]
	s_cbranch_execz .LBB4_757
.LBB4_756:
	v_lshlrev_b32_e32 v20, 2, v0
	v_mov_b32_e32 v21, 0
	ds_read_b32 v20, v20 offset:5952
	ds_read_b32 v21, v21 offset:5980
	s_waitcnt lgkmcnt(0)
	v_fmac_f32_e32 v19, v20, v21
.LBB4_757:
	s_or_b64 exec, exec, s[16:17]
.LBB4_758:
	s_or_b64 exec, exec, s[12:13]
	s_and_saveexec_b64 s[10:11], s[42:43]
	s_cbranch_execz .LBB4_760
; %bb.759:
	v_mov_b32_e32 v20, 0
	ds_read_b32 v20, v20 offset:4940
	s_waitcnt lgkmcnt(0)
	v_mul_f32_e32 v19, v19, v20
	v_xor_b32_e32 v20, 0x80000000, v19
	ds_write_b32 v12, v20
.LBB4_760:
	s_or_b64 exec, exec, s[10:11]
	s_waitcnt lgkmcnt(0)
	s_barrier
	s_and_saveexec_b64 s[10:11], s[44:45]
	s_cbranch_execz .LBB4_762
; %bb.761:
	v_lshlrev_b32_e32 v20, 2, v6
	ds_read_b32 v20, v20 offset:4928
	ds_read_b32 v21, v12
	s_waitcnt lgkmcnt(0)
	v_fma_f32 v19, -v20, v21, v19
.LBB4_762:
	s_or_b64 exec, exec, s[10:11]
	s_barrier
	s_and_saveexec_b64 s[10:11], s[46:47]
	s_cbranch_execz .LBB4_764
; %bb.763:
	v_mov_b32_e32 v20, 0
	ds_read_b32 v20, v20 offset:4680
	s_waitcnt lgkmcnt(0)
	v_mul_f32_e32 v19, v19, v20
	v_xor_b32_e32 v20, 0x80000000, v19
	ds_write_b32 v12, v20
.LBB4_764:
	s_or_b64 exec, exec, s[10:11]
	s_waitcnt lgkmcnt(0)
	s_barrier
	s_and_saveexec_b64 s[10:11], s[48:49]
	s_cbranch_execz .LBB4_766
; %bb.765:
	v_lshlrev_b32_e32 v20, 2, v6
	ds_read_b32 v20, v20 offset:4672
	ds_read_b32 v21, v12
	s_waitcnt lgkmcnt(0)
	v_fma_f32 v19, -v20, v21, v19
.LBB4_766:
	s_or_b64 exec, exec, s[10:11]
	s_barrier
	s_and_saveexec_b64 s[10:11], s[50:51]
	s_cbranch_execz .LBB4_768
; %bb.767:
	v_mov_b32_e32 v20, 0
	ds_read_b32 v20, v20 offset:4420
	s_waitcnt lgkmcnt(0)
	v_mul_f32_e32 v19, v19, v20
	v_xor_b32_e32 v20, 0x80000000, v19
	ds_write_b32 v12, v20
.LBB4_768:
	s_or_b64 exec, exec, s[10:11]
	s_waitcnt lgkmcnt(0)
	s_barrier
	s_and_saveexec_b64 s[10:11], s[40:41]
	s_cbranch_execz .LBB4_770
; %bb.769:
	v_mov_b32_e32 v20, 0
	ds_read_b32 v20, v20 offset:4416
	ds_read_b32 v21, v12
	s_waitcnt lgkmcnt(0)
	v_fma_f32 v19, -v20, v21, v19
.LBB4_770:
	s_or_b64 exec, exec, s[10:11]
	s_barrier
	s_and_saveexec_b64 s[10:11], s[40:41]
	s_cbranch_execz .LBB4_772
; %bb.771:
	v_mov_b32_e32 v20, 0
	ds_read_b32 v20, v20 offset:4160
	s_waitcnt lgkmcnt(0)
	v_mul_f32_e32 v19, v19, v20
	v_xor_b32_e32 v20, 0x80000000, v19
	ds_write_b32 v12, v20
.LBB4_772:
	s_or_b64 exec, exec, s[10:11]
	s_waitcnt lgkmcnt(0)
	s_barrier
	s_barrier
	s_and_saveexec_b64 s[10:11], s[2:3]
; %bb.773:
	v_lshlrev_b32_e32 v20, 2, v6
	v_lshl_or_b32 v20, v11, 8, v20
	ds_write_b32 v20, v19 offset:5184
; %bb.774:
	s_or_b64 exec, exec, s[10:11]
	s_waitcnt lgkmcnt(0)
	s_barrier
	s_barrier
	s_and_saveexec_b64 s[10:11], vcc
	s_cbranch_execz .LBB4_776
; %bb.775:
	v_mov_b32_e32 v21, 0
	ds_read_b64 v[19:20], v21 offset:4936
	ds_read_b32 v22, v21 offset:4680
	s_waitcnt lgkmcnt(0)
	v_mul_f32_e32 v20, v22, v20
	v_mul_f32_e32 v19, v19, v20
	ds_write_b32 v21, v19 offset:4936
.LBB4_776:
	s_or_b64 exec, exec, s[10:11]
	v_mov_b32_e32 v19, 0
	s_waitcnt lgkmcnt(0)
	s_barrier
	buffer_wbinvl1_vol
	s_and_saveexec_b64 s[12:13], s[0:1]
	s_cbranch_execz .LBB4_780
; %bb.777:
	v_lshlrev_b32_e32 v19, 8, v3
	v_lshlrev_b32_e32 v20, 2, v1
	ds_read_b32 v21, v20 offset:4672
	ds_read_b32 v19, v19 offset:4680
	v_mov_b32_e32 v20, 0
	v_cmp_gt_u32_e64 s[10:11], 2, v5
	s_waitcnt lgkmcnt(0)
	v_fma_f32 v19, v21, v19, 0
	s_and_saveexec_b64 s[16:17], s[10:11]
	s_cbranch_execz .LBB4_779
; %bb.778:
	v_lshlrev_b32_e32 v21, 2, v0
	ds_read_b32 v21, v21 offset:4928
	ds_read_b32 v20, v20 offset:4940
	s_waitcnt lgkmcnt(0)
	v_fmac_f32_e32 v19, v21, v20
.LBB4_779:
	s_or_b64 exec, exec, s[16:17]
.LBB4_780:
	s_or_b64 exec, exec, s[12:13]
	s_and_saveexec_b64 s[10:11], s[38:39]
	s_cbranch_execz .LBB4_782
; %bb.781:
	v_mov_b32_e32 v20, 0
	ds_read_b32 v20, v20 offset:4420
	s_waitcnt lgkmcnt(0)
	v_mul_f32_e32 v19, v19, v20
	v_xor_b32_e32 v20, 0x80000000, v19
	ds_write_b32 v4, v20
.LBB4_782:
	s_or_b64 exec, exec, s[10:11]
	s_waitcnt lgkmcnt(0)
	s_barrier
	s_and_saveexec_b64 s[10:11], s[24:25]
	s_cbranch_execz .LBB4_784
; %bb.783:
	v_mov_b32_e32 v20, 0
	ds_read_b32 v20, v20 offset:4416
	ds_read_b32 v21, v4
	s_waitcnt lgkmcnt(0)
	v_fma_f32 v19, -v20, v21, v19
.LBB4_784:
	s_or_b64 exec, exec, s[10:11]
	s_barrier
	s_and_saveexec_b64 s[10:11], s[24:25]
	s_cbranch_execz .LBB4_786
; %bb.785:
	v_mov_b32_e32 v20, 0
	ds_read_b32 v20, v20 offset:4160
	s_waitcnt lgkmcnt(0)
	v_mul_f32_e32 v19, v19, v20
	v_xor_b32_e32 v20, 0x80000000, v19
	ds_write_b32 v4, v20
.LBB4_786:
	s_or_b64 exec, exec, s[10:11]
	s_waitcnt lgkmcnt(0)
	s_barrier
	s_barrier
	s_and_saveexec_b64 s[10:11], s[0:1]
; %bb.787:
	v_lshlrev_b32_e32 v20, 2, v1
	v_lshl_or_b32 v20, v3, 8, v20
	ds_write_b32 v20, v19 offset:4672
; %bb.788:
	s_or_b64 exec, exec, s[10:11]
	s_waitcnt lgkmcnt(0)
	s_barrier
	s_barrier
	s_and_saveexec_b64 s[10:11], vcc
	s_cbranch_execz .LBB4_790
; %bb.789:
	v_mov_b32_e32 v21, 0
	ds_read_b64 v[19:20], v21 offset:4416
	ds_read_b32 v22, v21 offset:4160
	s_waitcnt lgkmcnt(0)
	v_mul_f32_e32 v20, v22, v20
	v_mul_f32_e32 v19, v19, v20
	ds_write_b32 v21, v19 offset:4416
.LBB4_790:
	s_or_b64 exec, exec, s[10:11]
	v_mov_b32_e32 v19, 0
	s_waitcnt lgkmcnt(0)
	s_barrier
	buffer_wbinvl1_vol
	s_and_saveexec_b64 s[12:13], s[8:9]
	s_cbranch_execz .LBB4_818
; %bb.791:
	v_lshlrev_b32_e32 v21, 2, v16
	v_lshlrev_b32_e32 v20, 8, v17
	ds_read_b32 v19, v21 offset:4096
	ds_read_b32 v22, v20 offset:4160
	s_movk_i32 s10, 0xf0
	v_cmp_gt_u32_e64 s[10:11], s10, v5
	s_waitcnt lgkmcnt(0)
	v_fma_f32 v19, v19, v22, 0
	s_and_saveexec_b64 s[16:17], s[10:11]
	s_cbranch_execz .LBB4_793
; %bb.792:
	ds_read_b32 v22, v21 offset:4352
	ds_read_b32 v23, v20 offset:4164
	s_waitcnt lgkmcnt(0)
	v_fmac_f32_e32 v19, v22, v23
.LBB4_793:
	s_or_b64 exec, exec, s[16:17]
	s_movk_i32 s10, 0xe0
	v_cmp_gt_u32_e64 s[10:11], s10, v5
	s_and_saveexec_b64 s[16:17], s[10:11]
	s_cbranch_execz .LBB4_795
; %bb.794:
	ds_read_b32 v22, v21 offset:4608
	ds_read_b32 v23, v20 offset:4168
	s_waitcnt lgkmcnt(0)
	v_fmac_f32_e32 v19, v22, v23
.LBB4_795:
	s_or_b64 exec, exec, s[16:17]
	s_movk_i32 s10, 0xd0
	v_cmp_gt_u32_e64 s[10:11], s10, v5
	;; [unrolled: 11-line block ×10, first 2 shown]
	s_and_saveexec_b64 s[16:17], s[10:11]
	s_cbranch_execnz .LBB4_1179
; %bb.812:
	s_or_b64 exec, exec, s[16:17]
	s_and_saveexec_b64 s[10:11], s[14:15]
	s_cbranch_execnz .LBB4_1180
.LBB4_813:
	s_or_b64 exec, exec, s[10:11]
	v_cmp_gt_u32_e64 s[10:11], 48, v5
	s_and_saveexec_b64 s[16:17], s[10:11]
	s_cbranch_execnz .LBB4_1181
.LBB4_814:
	s_or_b64 exec, exec, s[16:17]
	v_cmp_gt_u32_e64 s[10:11], 32, v5
	s_and_saveexec_b64 s[16:17], s[10:11]
	s_cbranch_execnz .LBB4_1182
.LBB4_815:
	s_or_b64 exec, exec, s[16:17]
	v_cmp_gt_u32_e64 s[10:11], 16, v5
	s_and_saveexec_b64 s[16:17], s[10:11]
	s_cbranch_execz .LBB4_817
.LBB4_816:
	v_lshlrev_b32_e32 v20, 2, v0
	v_mov_b32_e32 v21, 0
	ds_read_b32 v20, v20 offset:7936
	ds_read_b32 v21, v21 offset:8060
	s_waitcnt lgkmcnt(0)
	v_fmac_f32_e32 v19, v20, v21
.LBB4_817:
	s_or_b64 exec, exec, s[16:17]
.LBB4_818:
	s_or_b64 exec, exec, s[12:13]
	s_mov_b64 s[10:11], exec
	v_readlane_b32 s12, v27, 2
	v_readlane_b32 s13, v27, 3
	s_and_b64 s[12:13], s[10:11], s[12:13]
	s_mov_b64 exec, s[12:13]
	s_cbranch_execz .LBB4_820
; %bb.819:
	v_mov_b32_e32 v20, 0
	ds_read_b32 v20, v20 offset:3900
	s_waitcnt lgkmcnt(0)
	v_mul_f32_e32 v19, v19, v20
	v_xor_b32_e32 v20, 0x80000000, v19
	ds_write_b32 v18, v20
.LBB4_820:
	s_or_b64 exec, exec, s[10:11]
	s_waitcnt lgkmcnt(0)
	s_barrier
	s_mov_b64 s[10:11], exec
	v_readlane_b32 s12, v27, 4
	v_readlane_b32 s13, v27, 5
	s_and_b64 s[12:13], s[10:11], s[12:13]
	s_mov_b64 exec, s[12:13]
	s_cbranch_execz .LBB4_822
; %bb.821:
	v_lshlrev_b32_e32 v20, 2, v16
	ds_read_b32 v20, v20 offset:3840
	ds_read_b32 v21, v18
	s_waitcnt lgkmcnt(0)
	v_fma_f32 v19, -v20, v21, v19
.LBB4_822:
	s_or_b64 exec, exec, s[10:11]
	s_barrier
	s_mov_b64 s[10:11], exec
	v_readlane_b32 s12, v27, 6
	v_readlane_b32 s13, v27, 7
	s_and_b64 s[12:13], s[10:11], s[12:13]
	s_mov_b64 exec, s[12:13]
	s_cbranch_execz .LBB4_824
; %bb.823:
	v_mov_b32_e32 v20, 0
	ds_read_b32 v20, v20 offset:3640
	s_waitcnt lgkmcnt(0)
	v_mul_f32_e32 v19, v19, v20
	v_xor_b32_e32 v20, 0x80000000, v19
	ds_write_b32 v18, v20
.LBB4_824:
	s_or_b64 exec, exec, s[10:11]
	s_waitcnt lgkmcnt(0)
	s_barrier
	s_mov_b64 s[10:11], exec
	v_readlane_b32 s12, v27, 8
	v_readlane_b32 s13, v27, 9
	s_and_b64 s[12:13], s[10:11], s[12:13]
	s_mov_b64 exec, s[12:13]
	s_cbranch_execz .LBB4_826
; %bb.825:
	v_lshlrev_b32_e32 v20, 2, v16
	ds_read_b32 v20, v20 offset:3584
	ds_read_b32 v21, v18
	s_waitcnt lgkmcnt(0)
	v_fma_f32 v19, -v20, v21, v19
.LBB4_826:
	s_or_b64 exec, exec, s[10:11]
	s_barrier
	;; [unrolled: 32-line block ×13, first 2 shown]
	s_and_saveexec_b64 s[10:11], s[86:87]
	s_cbranch_execz .LBB4_872
; %bb.871:
	v_mov_b32_e32 v20, 0
	ds_read_b32 v20, v20 offset:520
	s_waitcnt lgkmcnt(0)
	v_mul_f32_e32 v19, v19, v20
	v_xor_b32_e32 v20, 0x80000000, v19
	ds_write_b32 v18, v20
.LBB4_872:
	s_or_b64 exec, exec, s[10:11]
	s_waitcnt lgkmcnt(0)
	s_barrier
	s_and_saveexec_b64 s[10:11], s[88:89]
	s_cbranch_execz .LBB4_874
; %bb.873:
	v_lshlrev_b32_e32 v20, 2, v16
	ds_read_b32 v20, v20 offset:512
	ds_read_b32 v21, v18
	s_waitcnt lgkmcnt(0)
	v_fma_f32 v19, -v20, v21, v19
.LBB4_874:
	s_or_b64 exec, exec, s[10:11]
	s_barrier
	s_and_saveexec_b64 s[10:11], s[92:93]
	s_cbranch_execz .LBB4_876
; %bb.875:
	v_mov_b32_e32 v20, 0
	ds_read_b32 v20, v20 offset:260
	s_waitcnt lgkmcnt(0)
	v_mul_f32_e32 v19, v19, v20
	v_xor_b32_e32 v20, 0x80000000, v19
	ds_write_b32 v18, v20
.LBB4_876:
	s_or_b64 exec, exec, s[10:11]
	s_waitcnt lgkmcnt(0)
	s_barrier
	s_and_saveexec_b64 s[10:11], s[90:91]
	s_cbranch_execz .LBB4_878
; %bb.877:
	v_mov_b32_e32 v20, 0
	ds_read_b32 v20, v20 offset:256
	ds_read_b32 v21, v18
	s_waitcnt lgkmcnt(0)
	v_fma_f32 v19, -v20, v21, v19
.LBB4_878:
	s_or_b64 exec, exec, s[10:11]
	s_barrier
	s_and_saveexec_b64 s[10:11], s[90:91]
	s_cbranch_execz .LBB4_880
; %bb.879:
	v_mov_b32_e32 v20, 0
	ds_read_b32 v20, v20
	s_waitcnt lgkmcnt(0)
	v_mul_f32_e32 v19, v19, v20
	v_xor_b32_e32 v20, 0x80000000, v19
	ds_write_b32 v18, v20
.LBB4_880:
	s_or_b64 exec, exec, s[10:11]
	s_waitcnt lgkmcnt(0)
	s_barrier
	s_barrier
	s_and_saveexec_b64 s[10:11], s[8:9]
; %bb.881:
	v_lshlrev_b32_e32 v16, 2, v16
	v_lshl_or_b32 v16, v17, 8, v16
	ds_write_b32 v16, v19 offset:4096
; %bb.882:
	s_or_b64 exec, exec, s[10:11]
	s_waitcnt lgkmcnt(0)
	s_barrier
	s_barrier
	s_and_saveexec_b64 s[8:9], vcc
	s_cbranch_execz .LBB4_884
; %bb.883:
	v_mov_b32_e32 v18, 0
	ds_read_b64 v[16:17], v18 offset:3896
	ds_read_b32 v19, v18 offset:3640
	s_waitcnt lgkmcnt(0)
	v_mul_f32_e32 v17, v19, v17
	v_mul_f32_e32 v16, v16, v17
	ds_write_b32 v18, v16 offset:3896
.LBB4_884:
	s_or_b64 exec, exec, s[8:9]
	v_mov_b32_e32 v16, 0
	s_waitcnt lgkmcnt(0)
	s_barrier
	buffer_wbinvl1_vol
	s_and_saveexec_b64 s[10:11], s[0:1]
	s_cbranch_execz .LBB4_888
; %bb.885:
	v_lshlrev_b32_e32 v16, 8, v3
	v_lshlrev_b32_e32 v17, 2, v1
	ds_read_b32 v18, v17 offset:3632
	ds_read_b32 v16, v16 offset:3640
	v_mov_b32_e32 v17, 0
	v_cmp_gt_u32_e64 s[8:9], 2, v5
	s_waitcnt lgkmcnt(0)
	v_fma_f32 v16, v18, v16, 0
	s_and_saveexec_b64 s[12:13], s[8:9]
	s_cbranch_execz .LBB4_887
; %bb.886:
	v_lshlrev_b32_e32 v18, 2, v0
	ds_read_b32 v18, v18 offset:3888
	ds_read_b32 v17, v17 offset:3900
	s_waitcnt lgkmcnt(0)
	v_fmac_f32_e32 v16, v18, v17
.LBB4_887:
	s_or_b64 exec, exec, s[12:13]
.LBB4_888:
	s_or_b64 exec, exec, s[10:11]
	s_and_saveexec_b64 s[8:9], s[38:39]
	s_cbranch_execz .LBB4_890
; %bb.889:
	v_mov_b32_e32 v17, 0
	ds_read_b32 v17, v17 offset:3380
	s_waitcnt lgkmcnt(0)
	v_mul_f32_e32 v16, v16, v17
	v_xor_b32_e32 v17, 0x80000000, v16
	ds_write_b32 v4, v17
.LBB4_890:
	s_or_b64 exec, exec, s[8:9]
	s_waitcnt lgkmcnt(0)
	s_barrier
	s_and_saveexec_b64 s[8:9], s[24:25]
	s_cbranch_execz .LBB4_892
; %bb.891:
	v_mov_b32_e32 v17, 0
	ds_read_b32 v17, v17 offset:3376
	ds_read_b32 v18, v4
	s_waitcnt lgkmcnt(0)
	v_fma_f32 v16, -v17, v18, v16
.LBB4_892:
	s_or_b64 exec, exec, s[8:9]
	s_barrier
	s_and_saveexec_b64 s[8:9], s[24:25]
	s_cbranch_execz .LBB4_894
; %bb.893:
	v_mov_b32_e32 v17, 0
	ds_read_b32 v17, v17 offset:3120
	s_waitcnt lgkmcnt(0)
	v_mul_f32_e32 v16, v16, v17
	v_xor_b32_e32 v17, 0x80000000, v16
	ds_write_b32 v4, v17
.LBB4_894:
	s_or_b64 exec, exec, s[8:9]
	s_waitcnt lgkmcnt(0)
	s_barrier
	s_barrier
	s_and_saveexec_b64 s[8:9], s[0:1]
; %bb.895:
	v_lshlrev_b32_e32 v17, 2, v1
	v_lshl_or_b32 v17, v3, 8, v17
	ds_write_b32 v17, v16 offset:3632
; %bb.896:
	s_or_b64 exec, exec, s[8:9]
	s_waitcnt lgkmcnt(0)
	s_barrier
	s_barrier
	s_and_saveexec_b64 s[8:9], vcc
	s_cbranch_execz .LBB4_898
; %bb.897:
	v_mov_b32_e32 v18, 0
	ds_read_b64 v[16:17], v18 offset:3376
	ds_read_b32 v19, v18 offset:3120
	s_waitcnt lgkmcnt(0)
	v_mul_f32_e32 v17, v19, v17
	v_mul_f32_e32 v16, v16, v17
	ds_write_b32 v18, v16 offset:3376
.LBB4_898:
	s_or_b64 exec, exec, s[8:9]
	v_mov_b32_e32 v16, 0
	s_waitcnt lgkmcnt(0)
	s_barrier
	buffer_wbinvl1_vol
	s_and_saveexec_b64 s[10:11], s[2:3]
	s_cbranch_execz .LBB4_904
; %bb.899:
	v_lshlrev_b32_e32 v18, 2, v6
	v_lshlrev_b32_e32 v17, 8, v11
	ds_read_b32 v16, v18 offset:3104
	ds_read_b32 v19, v17 offset:3120
	v_cmp_gt_u32_e64 s[8:9], 12, v5
	s_waitcnt lgkmcnt(0)
	v_fma_f32 v16, v16, v19, 0
	s_and_saveexec_b64 s[12:13], s[8:9]
	s_cbranch_execnz .LBB4_1183
; %bb.900:
	s_or_b64 exec, exec, s[12:13]
	v_cmp_gt_u32_e64 s[8:9], 8, v5
	s_and_saveexec_b64 s[12:13], s[8:9]
	s_cbranch_execnz .LBB4_1184
.LBB4_901:
	s_or_b64 exec, exec, s[12:13]
	v_cmp_gt_u32_e64 s[8:9], 4, v5
	s_and_saveexec_b64 s[12:13], s[8:9]
	s_cbranch_execz .LBB4_903
.LBB4_902:
	v_lshlrev_b32_e32 v17, 2, v0
	v_mov_b32_e32 v18, 0
	ds_read_b32 v17, v17 offset:3872
	ds_read_b32 v18, v18 offset:3900
	s_waitcnt lgkmcnt(0)
	v_fmac_f32_e32 v16, v17, v18
.LBB4_903:
	s_or_b64 exec, exec, s[12:13]
.LBB4_904:
	s_or_b64 exec, exec, s[10:11]
	s_and_saveexec_b64 s[8:9], s[42:43]
	s_cbranch_execz .LBB4_906
; %bb.905:
	v_mov_b32_e32 v17, 0
	ds_read_b32 v17, v17 offset:2860
	s_waitcnt lgkmcnt(0)
	v_mul_f32_e32 v16, v16, v17
	v_xor_b32_e32 v17, 0x80000000, v16
	ds_write_b32 v12, v17
.LBB4_906:
	s_or_b64 exec, exec, s[8:9]
	s_waitcnt lgkmcnt(0)
	s_barrier
	s_and_saveexec_b64 s[8:9], s[44:45]
	s_cbranch_execz .LBB4_908
; %bb.907:
	v_lshlrev_b32_e32 v17, 2, v6
	ds_read_b32 v17, v17 offset:2848
	ds_read_b32 v18, v12
	s_waitcnt lgkmcnt(0)
	v_fma_f32 v16, -v17, v18, v16
.LBB4_908:
	s_or_b64 exec, exec, s[8:9]
	s_barrier
	s_and_saveexec_b64 s[8:9], s[46:47]
	s_cbranch_execz .LBB4_910
; %bb.909:
	v_mov_b32_e32 v17, 0
	ds_read_b32 v17, v17 offset:2600
	s_waitcnt lgkmcnt(0)
	v_mul_f32_e32 v16, v16, v17
	v_xor_b32_e32 v17, 0x80000000, v16
	ds_write_b32 v12, v17
.LBB4_910:
	s_or_b64 exec, exec, s[8:9]
	s_waitcnt lgkmcnt(0)
	s_barrier
	s_and_saveexec_b64 s[8:9], s[48:49]
	s_cbranch_execz .LBB4_912
; %bb.911:
	v_lshlrev_b32_e32 v17, 2, v6
	ds_read_b32 v17, v17 offset:2592
	ds_read_b32 v18, v12
	s_waitcnt lgkmcnt(0)
	v_fma_f32 v16, -v17, v18, v16
.LBB4_912:
	s_or_b64 exec, exec, s[8:9]
	s_barrier
	s_and_saveexec_b64 s[8:9], s[50:51]
	s_cbranch_execz .LBB4_914
; %bb.913:
	v_mov_b32_e32 v17, 0
	ds_read_b32 v17, v17 offset:2340
	s_waitcnt lgkmcnt(0)
	v_mul_f32_e32 v16, v16, v17
	v_xor_b32_e32 v17, 0x80000000, v16
	ds_write_b32 v12, v17
.LBB4_914:
	s_or_b64 exec, exec, s[8:9]
	s_waitcnt lgkmcnt(0)
	s_barrier
	s_and_saveexec_b64 s[8:9], s[40:41]
	s_cbranch_execz .LBB4_916
; %bb.915:
	v_mov_b32_e32 v17, 0
	ds_read_b32 v17, v17 offset:2336
	ds_read_b32 v18, v12
	s_waitcnt lgkmcnt(0)
	v_fma_f32 v16, -v17, v18, v16
.LBB4_916:
	s_or_b64 exec, exec, s[8:9]
	s_barrier
	s_and_saveexec_b64 s[8:9], s[40:41]
	s_cbranch_execz .LBB4_918
; %bb.917:
	v_mov_b32_e32 v17, 0
	ds_read_b32 v17, v17 offset:2080
	s_waitcnt lgkmcnt(0)
	v_mul_f32_e32 v16, v16, v17
	v_xor_b32_e32 v17, 0x80000000, v16
	ds_write_b32 v12, v17
.LBB4_918:
	s_or_b64 exec, exec, s[8:9]
	s_waitcnt lgkmcnt(0)
	s_barrier
	s_barrier
	s_and_saveexec_b64 s[8:9], s[2:3]
; %bb.919:
	v_lshlrev_b32_e32 v17, 2, v6
	v_lshl_or_b32 v17, v11, 8, v17
	ds_write_b32 v17, v16 offset:3104
; %bb.920:
	s_or_b64 exec, exec, s[8:9]
	s_waitcnt lgkmcnt(0)
	s_barrier
	s_barrier
	s_and_saveexec_b64 s[8:9], vcc
	s_cbranch_execz .LBB4_922
; %bb.921:
	v_mov_b32_e32 v18, 0
	ds_read_b64 v[16:17], v18 offset:2856
	ds_read_b32 v19, v18 offset:2600
	s_waitcnt lgkmcnt(0)
	v_mul_f32_e32 v17, v19, v17
	v_mul_f32_e32 v16, v16, v17
	ds_write_b32 v18, v16 offset:2856
.LBB4_922:
	s_or_b64 exec, exec, s[8:9]
	v_mov_b32_e32 v16, 0
	s_waitcnt lgkmcnt(0)
	s_barrier
	buffer_wbinvl1_vol
	s_and_saveexec_b64 s[10:11], s[0:1]
	s_cbranch_execz .LBB4_926
; %bb.923:
	v_lshlrev_b32_e32 v16, 8, v3
	v_lshlrev_b32_e32 v17, 2, v1
	ds_read_b32 v18, v17 offset:2592
	ds_read_b32 v16, v16 offset:2600
	v_mov_b32_e32 v17, 0
	v_cmp_gt_u32_e64 s[8:9], 2, v5
	s_waitcnt lgkmcnt(0)
	v_fma_f32 v16, v18, v16, 0
	s_and_saveexec_b64 s[12:13], s[8:9]
	s_cbranch_execz .LBB4_925
; %bb.924:
	v_lshlrev_b32_e32 v18, 2, v0
	ds_read_b32 v18, v18 offset:2848
	ds_read_b32 v17, v17 offset:2860
	s_waitcnt lgkmcnt(0)
	v_fmac_f32_e32 v16, v18, v17
.LBB4_925:
	s_or_b64 exec, exec, s[12:13]
.LBB4_926:
	s_or_b64 exec, exec, s[10:11]
	s_and_saveexec_b64 s[8:9], s[38:39]
	s_cbranch_execz .LBB4_928
; %bb.927:
	v_mov_b32_e32 v17, 0
	ds_read_b32 v17, v17 offset:2340
	s_waitcnt lgkmcnt(0)
	v_mul_f32_e32 v16, v16, v17
	v_xor_b32_e32 v17, 0x80000000, v16
	ds_write_b32 v4, v17
.LBB4_928:
	s_or_b64 exec, exec, s[8:9]
	s_waitcnt lgkmcnt(0)
	s_barrier
	s_and_saveexec_b64 s[8:9], s[24:25]
	s_cbranch_execz .LBB4_930
; %bb.929:
	v_mov_b32_e32 v17, 0
	ds_read_b32 v17, v17 offset:2336
	ds_read_b32 v18, v4
	s_waitcnt lgkmcnt(0)
	v_fma_f32 v16, -v17, v18, v16
.LBB4_930:
	s_or_b64 exec, exec, s[8:9]
	s_barrier
	s_and_saveexec_b64 s[8:9], s[24:25]
	s_cbranch_execz .LBB4_932
; %bb.931:
	v_mov_b32_e32 v17, 0
	ds_read_b32 v17, v17 offset:2080
	s_waitcnt lgkmcnt(0)
	v_mul_f32_e32 v16, v16, v17
	v_xor_b32_e32 v17, 0x80000000, v16
	ds_write_b32 v4, v17
.LBB4_932:
	s_or_b64 exec, exec, s[8:9]
	s_waitcnt lgkmcnt(0)
	s_barrier
	s_barrier
	s_and_saveexec_b64 s[8:9], s[0:1]
; %bb.933:
	v_lshlrev_b32_e32 v17, 2, v1
	v_lshl_or_b32 v17, v3, 8, v17
	ds_write_b32 v17, v16 offset:2592
; %bb.934:
	s_or_b64 exec, exec, s[8:9]
	s_waitcnt lgkmcnt(0)
	s_barrier
	s_barrier
	s_and_saveexec_b64 s[8:9], vcc
	s_cbranch_execz .LBB4_936
; %bb.935:
	v_mov_b32_e32 v18, 0
	ds_read_b64 v[16:17], v18 offset:2336
	ds_read_b32 v19, v18 offset:2080
	s_waitcnt lgkmcnt(0)
	v_mul_f32_e32 v17, v19, v17
	v_mul_f32_e32 v16, v16, v17
	ds_write_b32 v18, v16 offset:2336
.LBB4_936:
	s_or_b64 exec, exec, s[8:9]
	v_mov_b32_e32 v16, 0
	s_waitcnt lgkmcnt(0)
	s_barrier
	buffer_wbinvl1_vol
	s_and_saveexec_b64 s[10:11], s[14:15]
	s_cbranch_execz .LBB4_946
; %bb.937:
	v_lshlrev_b32_e32 v18, 2, v13
	v_lshlrev_b32_e32 v17, 8, v14
	ds_read_b32 v16, v18 offset:2048
	ds_read_b32 v19, v17 offset:2080
	v_cmp_gt_u32_e64 s[8:9], 56, v5
	s_waitcnt lgkmcnt(0)
	v_fma_f32 v16, v16, v19, 0
	s_and_saveexec_b64 s[12:13], s[8:9]
	s_cbranch_execnz .LBB4_1185
; %bb.938:
	s_or_b64 exec, exec, s[12:13]
	v_cmp_gt_u32_e64 s[8:9], 48, v5
	s_and_saveexec_b64 s[12:13], s[8:9]
	s_cbranch_execnz .LBB4_1186
.LBB4_939:
	s_or_b64 exec, exec, s[12:13]
	v_cmp_gt_u32_e64 s[8:9], 40, v5
	s_and_saveexec_b64 s[12:13], s[8:9]
	s_cbranch_execnz .LBB4_1187
.LBB4_940:
	s_or_b64 exec, exec, s[12:13]
	v_cmp_gt_u32_e64 s[8:9], 32, v5
	s_and_saveexec_b64 s[12:13], s[8:9]
	s_cbranch_execnz .LBB4_1188
.LBB4_941:
	s_or_b64 exec, exec, s[12:13]
	v_cmp_gt_u32_e64 s[8:9], 24, v5
	s_and_saveexec_b64 s[12:13], s[8:9]
	s_cbranch_execnz .LBB4_1189
.LBB4_942:
	s_or_b64 exec, exec, s[12:13]
	s_and_saveexec_b64 s[8:9], s[2:3]
	s_cbranch_execnz .LBB4_1190
.LBB4_943:
	s_or_b64 exec, exec, s[8:9]
	v_cmp_gt_u32_e64 s[8:9], 8, v5
	s_and_saveexec_b64 s[12:13], s[8:9]
	s_cbranch_execz .LBB4_945
.LBB4_944:
	v_lshlrev_b32_e32 v17, 2, v0
	v_mov_b32_e32 v18, 0
	ds_read_b32 v17, v17 offset:3840
	ds_read_b32 v18, v18 offset:3900
	s_waitcnt lgkmcnt(0)
	v_fmac_f32_e32 v16, v17, v18
.LBB4_945:
	s_or_b64 exec, exec, s[12:13]
.LBB4_946:
	s_or_b64 exec, exec, s[10:11]
	s_and_saveexec_b64 s[8:9], s[52:53]
	s_cbranch_execz .LBB4_948
; %bb.947:
	v_mov_b32_e32 v17, 0
	ds_read_b32 v17, v17 offset:1820
	s_waitcnt lgkmcnt(0)
	v_mul_f32_e32 v16, v16, v17
	v_xor_b32_e32 v17, 0x80000000, v16
	ds_write_b32 v15, v17
.LBB4_948:
	s_or_b64 exec, exec, s[8:9]
	s_waitcnt lgkmcnt(0)
	s_barrier
	s_and_saveexec_b64 s[8:9], s[54:55]
	v_readlane_b32 s52, v27, 1
	s_cbranch_execz .LBB4_950
; %bb.949:
	v_lshlrev_b32_e32 v17, 2, v13
	ds_read_b32 v17, v17 offset:1792
	ds_read_b32 v18, v15
	s_waitcnt lgkmcnt(0)
	v_fma_f32 v16, -v17, v18, v16
.LBB4_950:
	s_or_b64 exec, exec, s[8:9]
	s_barrier
	s_and_saveexec_b64 s[8:9], s[56:57]
	s_cbranch_execz .LBB4_952
; %bb.951:
	v_mov_b32_e32 v17, 0
	ds_read_b32 v17, v17 offset:1560
	s_waitcnt lgkmcnt(0)
	v_mul_f32_e32 v16, v16, v17
	v_xor_b32_e32 v17, 0x80000000, v16
	ds_write_b32 v15, v17
.LBB4_952:
	s_or_b64 exec, exec, s[8:9]
	s_waitcnt lgkmcnt(0)
	s_barrier
	s_and_saveexec_b64 s[8:9], s[58:59]
	s_cbranch_execz .LBB4_954
; %bb.953:
	v_lshlrev_b32_e32 v17, 2, v13
	ds_read_b32 v17, v17 offset:1536
	ds_read_b32 v18, v15
	s_waitcnt lgkmcnt(0)
	v_fma_f32 v16, -v17, v18, v16
.LBB4_954:
	s_or_b64 exec, exec, s[8:9]
	s_barrier
	s_and_saveexec_b64 s[8:9], s[60:61]
	s_cbranch_execz .LBB4_956
; %bb.955:
	v_mov_b32_e32 v17, 0
	ds_read_b32 v17, v17 offset:1300
	s_waitcnt lgkmcnt(0)
	v_mul_f32_e32 v16, v16, v17
	v_xor_b32_e32 v17, 0x80000000, v16
	ds_write_b32 v15, v17
.LBB4_956:
	s_or_b64 exec, exec, s[8:9]
	s_waitcnt lgkmcnt(0)
	s_barrier
	s_and_saveexec_b64 s[8:9], s[64:65]
	s_cbranch_execz .LBB4_958
; %bb.957:
	v_lshlrev_b32_e32 v17, 2, v13
	ds_read_b32 v17, v17 offset:1280
	ds_read_b32 v18, v15
	s_waitcnt lgkmcnt(0)
	v_fma_f32 v16, -v17, v18, v16
.LBB4_958:
	s_or_b64 exec, exec, s[8:9]
	s_barrier
	s_and_saveexec_b64 s[8:9], s[66:67]
	s_cbranch_execz .LBB4_960
; %bb.959:
	v_mov_b32_e32 v17, 0
	ds_read_b32 v17, v17 offset:1040
	s_waitcnt lgkmcnt(0)
	v_mul_f32_e32 v16, v16, v17
	v_xor_b32_e32 v17, 0x80000000, v16
	ds_write_b32 v15, v17
.LBB4_960:
	s_or_b64 exec, exec, s[8:9]
	s_waitcnt lgkmcnt(0)
	s_barrier
	s_and_saveexec_b64 s[8:9], s[68:69]
	s_cbranch_execz .LBB4_962
; %bb.961:
	v_lshlrev_b32_e32 v17, 2, v13
	ds_read_b32 v17, v17 offset:1024
	ds_read_b32 v18, v15
	s_waitcnt lgkmcnt(0)
	v_fma_f32 v16, -v17, v18, v16
.LBB4_962:
	s_or_b64 exec, exec, s[8:9]
	s_barrier
	s_and_saveexec_b64 s[8:9], s[70:71]
	s_cbranch_execz .LBB4_964
; %bb.963:
	v_mov_b32_e32 v17, 0
	ds_read_b32 v17, v17 offset:780
	s_waitcnt lgkmcnt(0)
	v_mul_f32_e32 v16, v16, v17
	v_xor_b32_e32 v17, 0x80000000, v16
	ds_write_b32 v15, v17
.LBB4_964:
	s_or_b64 exec, exec, s[8:9]
	s_waitcnt lgkmcnt(0)
	s_barrier
	s_and_saveexec_b64 s[8:9], s[72:73]
	s_cbranch_execz .LBB4_966
; %bb.965:
	v_lshlrev_b32_e32 v17, 2, v13
	ds_read_b32 v17, v17 offset:768
	ds_read_b32 v18, v15
	s_waitcnt lgkmcnt(0)
	v_fma_f32 v16, -v17, v18, v16
.LBB4_966:
	s_or_b64 exec, exec, s[8:9]
	s_barrier
	s_and_saveexec_b64 s[8:9], s[74:75]
	s_cbranch_execz .LBB4_968
; %bb.967:
	v_mov_b32_e32 v17, 0
	ds_read_b32 v17, v17 offset:520
	s_waitcnt lgkmcnt(0)
	v_mul_f32_e32 v16, v16, v17
	v_xor_b32_e32 v17, 0x80000000, v16
	ds_write_b32 v15, v17
.LBB4_968:
	s_or_b64 exec, exec, s[8:9]
	s_waitcnt lgkmcnt(0)
	s_barrier
	s_and_saveexec_b64 s[8:9], s[76:77]
	s_cbranch_execz .LBB4_970
; %bb.969:
	v_lshlrev_b32_e32 v17, 2, v13
	ds_read_b32 v17, v17 offset:512
	ds_read_b32 v18, v15
	s_waitcnt lgkmcnt(0)
	v_fma_f32 v16, -v17, v18, v16
.LBB4_970:
	s_or_b64 exec, exec, s[8:9]
	s_barrier
	s_and_saveexec_b64 s[8:9], s[78:79]
	s_cbranch_execz .LBB4_972
; %bb.971:
	v_mov_b32_e32 v17, 0
	ds_read_b32 v17, v17 offset:260
	s_waitcnt lgkmcnt(0)
	v_mul_f32_e32 v16, v16, v17
	v_xor_b32_e32 v17, 0x80000000, v16
	ds_write_b32 v15, v17
.LBB4_972:
	s_or_b64 exec, exec, s[8:9]
	s_waitcnt lgkmcnt(0)
	s_barrier
	s_and_saveexec_b64 s[8:9], s[62:63]
	s_cbranch_execz .LBB4_974
; %bb.973:
	v_mov_b32_e32 v17, 0
	ds_read_b32 v17, v17 offset:256
	ds_read_b32 v18, v15
	s_waitcnt lgkmcnt(0)
	v_fma_f32 v16, -v17, v18, v16
.LBB4_974:
	s_or_b64 exec, exec, s[8:9]
	s_barrier
	s_and_saveexec_b64 s[8:9], s[62:63]
	s_cbranch_execz .LBB4_976
; %bb.975:
	v_mov_b32_e32 v17, 0
	ds_read_b32 v17, v17
	s_waitcnt lgkmcnt(0)
	v_mul_f32_e32 v16, v16, v17
	v_xor_b32_e32 v17, 0x80000000, v16
	ds_write_b32 v15, v17
.LBB4_976:
	s_or_b64 exec, exec, s[8:9]
	s_waitcnt lgkmcnt(0)
	s_barrier
	s_barrier
	s_and_saveexec_b64 s[8:9], s[14:15]
; %bb.977:
	v_lshlrev_b32_e32 v13, 2, v13
	v_lshl_or_b32 v13, v14, 8, v13
	ds_write_b32 v13, v16 offset:2048
; %bb.978:
	s_or_b64 exec, exec, s[8:9]
	s_waitcnt lgkmcnt(0)
	s_barrier
	s_barrier
	s_and_saveexec_b64 s[8:9], vcc
	s_cbranch_execz .LBB4_980
; %bb.979:
	v_mov_b32_e32 v15, 0
	ds_read_b64 v[13:14], v15 offset:1816
	ds_read_b32 v16, v15 offset:1560
	s_waitcnt lgkmcnt(0)
	v_mul_f32_e32 v14, v16, v14
	v_mul_f32_e32 v13, v13, v14
	ds_write_b32 v15, v13 offset:1816
.LBB4_980:
	s_or_b64 exec, exec, s[8:9]
	v_mov_b32_e32 v13, 0
	s_waitcnt lgkmcnt(0)
	s_barrier
	buffer_wbinvl1_vol
	s_and_saveexec_b64 s[10:11], s[0:1]
	s_cbranch_execz .LBB4_984
; %bb.981:
	v_lshlrev_b32_e32 v13, 8, v3
	v_lshlrev_b32_e32 v14, 2, v1
	ds_read_b32 v15, v14 offset:1552
	ds_read_b32 v13, v13 offset:1560
	v_mov_b32_e32 v14, 0
	v_cmp_gt_u32_e64 s[8:9], 2, v5
	s_waitcnt lgkmcnt(0)
	v_fma_f32 v13, v15, v13, 0
	s_and_saveexec_b64 s[12:13], s[8:9]
	s_cbranch_execz .LBB4_983
; %bb.982:
	v_lshlrev_b32_e32 v15, 2, v0
	ds_read_b32 v15, v15 offset:1808
	ds_read_b32 v14, v14 offset:1820
	s_waitcnt lgkmcnt(0)
	v_fmac_f32_e32 v13, v15, v14
.LBB4_983:
	s_or_b64 exec, exec, s[12:13]
.LBB4_984:
	s_or_b64 exec, exec, s[10:11]
	s_and_saveexec_b64 s[8:9], s[38:39]
	s_cbranch_execz .LBB4_986
; %bb.985:
	v_mov_b32_e32 v14, 0
	ds_read_b32 v14, v14 offset:1300
	s_waitcnt lgkmcnt(0)
	v_mul_f32_e32 v13, v13, v14
	v_xor_b32_e32 v14, 0x80000000, v13
	ds_write_b32 v4, v14
.LBB4_986:
	s_or_b64 exec, exec, s[8:9]
	s_waitcnt lgkmcnt(0)
	s_barrier
	s_and_saveexec_b64 s[8:9], s[24:25]
	s_cbranch_execz .LBB4_988
; %bb.987:
	v_mov_b32_e32 v14, 0
	ds_read_b32 v14, v14 offset:1296
	ds_read_b32 v15, v4
	s_waitcnt lgkmcnt(0)
	v_fma_f32 v13, -v14, v15, v13
.LBB4_988:
	s_or_b64 exec, exec, s[8:9]
	s_barrier
	s_and_saveexec_b64 s[8:9], s[24:25]
	s_cbranch_execz .LBB4_990
; %bb.989:
	v_mov_b32_e32 v14, 0
	ds_read_b32 v14, v14 offset:1040
	s_waitcnt lgkmcnt(0)
	v_mul_f32_e32 v13, v13, v14
	v_xor_b32_e32 v14, 0x80000000, v13
	ds_write_b32 v4, v14
.LBB4_990:
	s_or_b64 exec, exec, s[8:9]
	s_waitcnt lgkmcnt(0)
	s_barrier
	s_barrier
	s_and_saveexec_b64 s[8:9], s[0:1]
; %bb.991:
	v_lshlrev_b32_e32 v14, 2, v1
	v_lshl_or_b32 v14, v3, 8, v14
	ds_write_b32 v14, v13 offset:1552
; %bb.992:
	s_or_b64 exec, exec, s[8:9]
	s_waitcnt lgkmcnt(0)
	s_barrier
	s_barrier
	s_and_saveexec_b64 s[8:9], vcc
	s_cbranch_execz .LBB4_994
; %bb.993:
	v_mov_b32_e32 v15, 0
	ds_read_b64 v[13:14], v15 offset:1296
	ds_read_b32 v16, v15 offset:1040
	s_waitcnt lgkmcnt(0)
	v_mul_f32_e32 v14, v16, v14
	v_mul_f32_e32 v13, v13, v14
	ds_write_b32 v15, v13 offset:1296
.LBB4_994:
	s_or_b64 exec, exec, s[8:9]
	v_mov_b32_e32 v13, 0
	s_waitcnt lgkmcnt(0)
	s_barrier
	buffer_wbinvl1_vol
	s_and_saveexec_b64 s[10:11], s[2:3]
	s_cbranch_execz .LBB4_1000
; %bb.995:
	v_lshlrev_b32_e32 v15, 2, v6
	v_lshlrev_b32_e32 v14, 8, v11
	ds_read_b32 v13, v15 offset:1024
	ds_read_b32 v16, v14 offset:1040
	v_cmp_gt_u32_e64 s[8:9], 12, v5
	s_waitcnt lgkmcnt(0)
	v_fma_f32 v13, v13, v16, 0
	s_and_saveexec_b64 s[12:13], s[8:9]
	s_cbranch_execnz .LBB4_1191
; %bb.996:
	s_or_b64 exec, exec, s[12:13]
	v_cmp_gt_u32_e64 s[8:9], 8, v5
	s_and_saveexec_b64 s[12:13], s[8:9]
	s_cbranch_execnz .LBB4_1192
.LBB4_997:
	s_or_b64 exec, exec, s[12:13]
	v_cmp_gt_u32_e64 s[8:9], 4, v5
	s_and_saveexec_b64 s[12:13], s[8:9]
	s_cbranch_execz .LBB4_999
.LBB4_998:
	v_lshlrev_b32_e32 v14, 2, v0
	v_mov_b32_e32 v15, 0
	ds_read_b32 v14, v14 offset:1792
	ds_read_b32 v15, v15 offset:1820
	s_waitcnt lgkmcnt(0)
	v_fmac_f32_e32 v13, v14, v15
.LBB4_999:
	s_or_b64 exec, exec, s[12:13]
.LBB4_1000:
	s_or_b64 exec, exec, s[10:11]
	s_and_saveexec_b64 s[8:9], s[42:43]
	s_cbranch_execz .LBB4_1002
; %bb.1001:
	v_mov_b32_e32 v14, 0
	ds_read_b32 v14, v14 offset:780
	s_waitcnt lgkmcnt(0)
	v_mul_f32_e32 v13, v13, v14
	v_xor_b32_e32 v14, 0x80000000, v13
	ds_write_b32 v12, v14
.LBB4_1002:
	s_or_b64 exec, exec, s[8:9]
	s_waitcnt lgkmcnt(0)
	s_barrier
	s_and_saveexec_b64 s[8:9], s[44:45]
	s_load_dword s42, s[4:5], 0x6c
	v_readlane_b32 s43, v27, 0
	s_cbranch_execz .LBB4_1004
; %bb.1003:
	v_lshlrev_b32_e32 v14, 2, v6
	ds_read_b32 v14, v14 offset:768
	ds_read_b32 v15, v12
	s_waitcnt lgkmcnt(0)
	v_fma_f32 v13, -v14, v15, v13
.LBB4_1004:
	s_or_b64 exec, exec, s[8:9]
	s_waitcnt lgkmcnt(0)
	s_barrier
	s_and_saveexec_b64 s[8:9], s[46:47]
	s_cbranch_execz .LBB4_1006
; %bb.1005:
	v_mov_b32_e32 v14, 0
	ds_read_b32 v14, v14 offset:520
	s_waitcnt lgkmcnt(0)
	v_mul_f32_e32 v13, v13, v14
	v_xor_b32_e32 v14, 0x80000000, v13
	ds_write_b32 v12, v14
.LBB4_1006:
	s_or_b64 exec, exec, s[8:9]
	s_waitcnt lgkmcnt(0)
	s_barrier
	s_and_saveexec_b64 s[8:9], s[48:49]
	s_cbranch_execz .LBB4_1008
; %bb.1007:
	v_lshlrev_b32_e32 v14, 2, v6
	ds_read_b32 v14, v14 offset:512
	ds_read_b32 v15, v12
	s_waitcnt lgkmcnt(0)
	v_fma_f32 v13, -v14, v15, v13
.LBB4_1008:
	s_or_b64 exec, exec, s[8:9]
	s_barrier
	s_and_saveexec_b64 s[8:9], s[50:51]
	s_cbranch_execz .LBB4_1010
; %bb.1009:
	v_mov_b32_e32 v14, 0
	ds_read_b32 v14, v14 offset:260
	s_waitcnt lgkmcnt(0)
	v_mul_f32_e32 v13, v13, v14
	v_xor_b32_e32 v14, 0x80000000, v13
	ds_write_b32 v12, v14
.LBB4_1010:
	s_or_b64 exec, exec, s[8:9]
	s_waitcnt lgkmcnt(0)
	s_barrier
	s_and_saveexec_b64 s[8:9], s[40:41]
	s_cbranch_execz .LBB4_1012
; %bb.1011:
	v_mov_b32_e32 v14, 0
	ds_read_b32 v14, v14 offset:256
	ds_read_b32 v15, v12
	s_waitcnt lgkmcnt(0)
	v_fma_f32 v13, -v14, v15, v13
.LBB4_1012:
	s_or_b64 exec, exec, s[8:9]
	s_barrier
	s_and_saveexec_b64 s[8:9], s[40:41]
	s_cbranch_execz .LBB4_1014
; %bb.1013:
	v_mov_b32_e32 v14, 0
	ds_read_b32 v14, v14
	s_waitcnt lgkmcnt(0)
	v_mul_f32_e32 v13, v13, v14
	v_xor_b32_e32 v14, 0x80000000, v13
	ds_write_b32 v12, v14
.LBB4_1014:
	s_or_b64 exec, exec, s[8:9]
	s_waitcnt lgkmcnt(0)
	s_barrier
	s_barrier
	s_and_saveexec_b64 s[8:9], s[2:3]
; %bb.1015:
	v_lshlrev_b32_e32 v6, 2, v6
	v_lshl_or_b32 v6, v11, 8, v6
	ds_write_b32 v6, v13 offset:1024
; %bb.1016:
	s_or_b64 exec, exec, s[8:9]
	s_waitcnt lgkmcnt(0)
	s_barrier
	s_barrier
	s_and_saveexec_b64 s[2:3], vcc
	s_cbranch_execz .LBB4_1018
; %bb.1017:
	v_mov_b32_e32 v6, 0
	ds_read_b64 v[11:12], v6 offset:776
	ds_read_b32 v13, v6 offset:520
	s_waitcnt lgkmcnt(0)
	v_mul_f32_e32 v12, v13, v12
	v_mul_f32_e32 v11, v11, v12
	ds_write_b32 v6, v11 offset:776
.LBB4_1018:
	s_or_b64 exec, exec, s[2:3]
	v_mov_b32_e32 v6, 0
	s_waitcnt lgkmcnt(0)
	s_barrier
	buffer_wbinvl1_vol
	s_and_saveexec_b64 s[8:9], s[0:1]
	s_cbranch_execz .LBB4_1022
; %bb.1019:
	v_lshlrev_b32_e32 v6, 8, v3
	v_lshlrev_b32_e32 v11, 2, v1
	ds_read_b32 v12, v11 offset:512
	ds_read_b32 v6, v6 offset:520
	v_mov_b32_e32 v11, 0
	v_cmp_gt_u32_e64 s[2:3], 2, v5
	s_waitcnt lgkmcnt(0)
	v_fma_f32 v6, v12, v6, 0
	s_and_saveexec_b64 s[10:11], s[2:3]
	s_cbranch_execz .LBB4_1021
; %bb.1020:
	v_lshlrev_b32_e32 v5, 2, v0
	ds_read_b32 v5, v5 offset:768
	ds_read_b32 v11, v11 offset:780
	s_waitcnt lgkmcnt(0)
	v_fmac_f32_e32 v6, v5, v11
.LBB4_1021:
	s_or_b64 exec, exec, s[10:11]
.LBB4_1022:
	s_or_b64 exec, exec, s[8:9]
	s_and_saveexec_b64 s[2:3], s[38:39]
	s_cbranch_execz .LBB4_1024
; %bb.1023:
	v_mov_b32_e32 v5, 0
	ds_read_b32 v5, v5 offset:260
	s_waitcnt lgkmcnt(0)
	v_mul_f32_e32 v6, v6, v5
	v_xor_b32_e32 v5, 0x80000000, v6
	ds_write_b32 v4, v5
.LBB4_1024:
	s_or_b64 exec, exec, s[2:3]
	s_waitcnt lgkmcnt(0)
	s_barrier
	s_and_saveexec_b64 s[2:3], s[24:25]
	s_cbranch_execz .LBB4_1026
; %bb.1025:
	v_mov_b32_e32 v5, 0
	ds_read_b32 v5, v5 offset:256
	ds_read_b32 v11, v4
	s_waitcnt lgkmcnt(0)
	v_fma_f32 v6, -v5, v11, v6
.LBB4_1026:
	s_or_b64 exec, exec, s[2:3]
	s_barrier
	s_and_saveexec_b64 s[2:3], s[24:25]
	s_cbranch_execz .LBB4_1028
; %bb.1027:
	v_mov_b32_e32 v5, 0
	ds_read_b32 v5, v5
	s_waitcnt lgkmcnt(0)
	v_mul_f32_e32 v6, v6, v5
	v_xor_b32_e32 v5, 0x80000000, v6
	ds_write_b32 v4, v5
.LBB4_1028:
	s_or_b64 exec, exec, s[2:3]
	s_waitcnt lgkmcnt(0)
	s_barrier
	s_barrier
	s_and_saveexec_b64 s[2:3], s[0:1]
; %bb.1029:
	v_lshlrev_b32_e32 v1, 2, v1
	v_lshl_or_b32 v1, v3, 8, v1
	ds_write_b32 v1, v6 offset:512
; %bb.1030:
	s_or_b64 exec, exec, s[2:3]
	s_waitcnt lgkmcnt(0)
	s_barrier
	s_barrier
	s_and_saveexec_b64 s[0:1], vcc
	s_cbranch_execz .LBB4_1032
; %bb.1031:
	v_mov_b32_e32 v1, 0
	ds_read_b64 v[3:4], v1 offset:256
	ds_read_b32 v5, v1
	s_waitcnt lgkmcnt(0)
	v_mul_f32_e32 v4, v5, v4
	v_mul_f32_e32 v3, v3, v4
	ds_write_b32 v1, v3 offset:256
.LBB4_1032:
	s_or_b64 exec, exec, s[0:1]
.LBB4_1033:
	s_load_dwordx4 s[12:15], s[4:5], 0x48
	v_cmp_le_i32_e32 vcc, s82, v0
	v_mov_b32_e32 v5, 0
	v_add_u32_e32 v3, s33, v0
	s_waitcnt lgkmcnt(0)
	s_mul_i32 s1, s13, s34
	s_mul_hi_u32 s2, s12, s34
	s_mul_i32 s0, s12, s34
	s_add_i32 s1, s2, s1
	s_lshl_b64 s[0:1], s[0:1], 2
	s_add_u32 s2, s26, s0
	s_addc_u32 s3, s27, s1
	s_lshl_b64 s[0:1], s[28:29], 2
	s_add_u32 s38, s2, s0
	s_addc_u32 s39, s3, s1
	s_and_b64 s[12:13], vcc, s[18:19]
	v_cmp_eq_u32_e64 s[0:1], 0, v2
	s_xor_b64 s[2:3], s[12:13], -1
	s_and_b64 s[4:5], s[0:1], s[2:3]
	s_barrier
	s_and_saveexec_b64 s[2:3], s[4:5]
	s_cbranch_execz .LBB4_1035
; %bb.1034:
	v_ashrrev_i32_e32 v1, 31, v3
	v_mul_lo_u32 v6, s31, v3
	v_mad_u64_u32 v[4:5], s[4:5], s30, v3, 0
	v_mul_lo_u32 v1, s30, v1
	v_add3_u32 v5, v5, v1, v6
	v_lshlrev_b64 v[4:5], 2, v[4:5]
	v_mov_b32_e32 v1, s39
	v_add_co_u32_e32 v4, vcc, s38, v4
	v_addc_co_u32_e32 v5, vcc, v1, v5, vcc
	global_load_dword v1, v[4:5], off
	s_waitcnt vmcnt(0)
	v_mul_f32_e64 v5, v1, -s43
.LBB4_1035:
	s_or_b64 exec, exec, s[2:3]
	s_and_b32 s2, 0xffff, s42
	v_mad_u32_u24 v1, v2, s2, v0
	s_cmp_lt_i32 s6, 1
	v_cmp_eq_u32_e64 s[2:3], 0, v1
	s_cbranch_scc1 .LBB4_1061
; %bb.1036:
	v_ashrrev_i32_e32 v4, 31, v3
	v_cmp_gt_i32_e64 s[10:11], s36, v3
	v_lshlrev_b64 v[3:4], 2, v[3:4]
	s_lshl_b64 s[4:5], s[34:35], 2
	s_add_u32 s16, s14, s4
	v_mov_b32_e32 v11, 0x5000
	v_mov_b32_e32 v13, s84
	v_add_co_u32_e32 v12, vcc, s83, v3
	s_mul_i32 s8, s21, 0xc0
	s_mul_hi_u32 s9, s20, 0xc0
	s_mov_b32 s40, 0
	s_addc_u32 s17, s15, s5
	v_cmp_gt_u32_e64 s[4:5], 64, v1
	v_lshl_add_u32 v6, v1, 2, v11
	v_lshl_or_b32 v11, v2, 2, v11
	s_add_i32 s85, s85, 1
	v_addc_co_u32_e32 v13, vcc, v13, v4, vcc
	s_lshl_b64 s[24:25], s[20:21], 6
	s_lshl_b64 s[26:27], s[20:21], 7
	s_add_i32 s41, s9, s8
	s_mul_i32 s42, s20, 0xc0
	v_mov_b32_e32 v15, -1
	v_mov_b32_e32 v14, 0
	s_branch .LBB4_1039
.LBB4_1037:                             ;   in Loop: Header=BB4_1039 Depth=1
	ds_read_b32 v3, v11 offset:192
	s_waitcnt vmcnt(0) lgkmcnt(0)
	v_fmac_f32_e32 v5, v16, v3
.LBB4_1038:                             ;   in Loop: Header=BB4_1039 Depth=1
	s_or_b64 exec, exec, s[28:29]
	s_add_i32 s40, s40, 1
	s_cmp_eq_u32 s40, s6
	s_cbranch_scc1 .LBB4_1061
.LBB4_1039:                             ; =>This Loop Header: Depth=1
                                        ;     Child Loop BB4_1041 Depth 2
	v_cmp_gt_i32_e32 vcc, s40, v15
	s_and_b64 s[28:29], s[2:3], vcc
	s_and_saveexec_b64 s[8:9], s[28:29]
	s_cbranch_execz .LBB4_1042
; %bb.1040:                             ;   in Loop: Header=BB4_1039 Depth=1
	global_load_dword v15, v14, s[16:17]
	s_waitcnt vmcnt(0)
	v_cmp_le_i32_e32 vcc, s40, v15
	s_cbranch_vccnz .LBB4_1042
.LBB4_1041:                             ;   Parent Loop BB4_1039 Depth=1
                                        ; =>  This Inner Loop Header: Depth=2
	buffer_wbinvl1_vol
	global_load_dword v15, v14, s[16:17]
	s_waitcnt vmcnt(0)
	v_cmp_gt_i32_e32 vcc, s40, v15
	s_cbranch_vccnz .LBB4_1041
.LBB4_1042:                             ;   in Loop: Header=BB4_1039 Depth=1
	s_or_b64 exec, exec, s[8:9]
	s_sub_i32 s43, s7, s40
	s_lshl_b32 s44, s43, 6
	buffer_wbinvl1_vol
	s_barrier
	s_and_saveexec_b64 s[8:9], s[4:5]
	s_cbranch_execz .LBB4_1046
; %bb.1043:                             ;   in Loop: Header=BB4_1039 Depth=1
	s_ashr_i32 s28, s44, 31
	v_mov_b32_e32 v4, s28
	v_or_b32_e32 v3, s44, v1
	v_cmp_gt_i64_e32 vcc, s[36:37], v[3:4]
	v_mov_b32_e32 v16, 0
	s_and_saveexec_b64 s[28:29], vcc
	s_cbranch_execz .LBB4_1045
; %bb.1044:                             ;   in Loop: Header=BB4_1039 Depth=1
	v_mul_lo_u32 v16, v4, s30
	v_mul_lo_u32 v17, v3, s31
	v_mad_u64_u32 v[3:4], s[46:47], v3, s30, 0
	v_add3_u32 v4, v4, v17, v16
	v_lshlrev_b64 v[3:4], 2, v[3:4]
	v_mov_b32_e32 v16, s39
	v_add_co_u32_e32 v3, vcc, s38, v3
	v_addc_co_u32_e32 v4, vcc, v16, v4, vcc
	global_load_dword v16, v[3:4], off
.LBB4_1045:                             ;   in Loop: Header=BB4_1039 Depth=1
	s_or_b64 exec, exec, s[28:29]
	s_waitcnt vmcnt(0)
	ds_write_b32 v6, v16
.LBB4_1046:                             ;   in Loop: Header=BB4_1039 Depth=1
	s_or_b64 exec, exec, s[8:9]
	v_add_u32_e32 v16, s44, v2
	v_ashrrev_i32_e32 v17, 31, v16
	v_mul_lo_u32 v18, s21, v16
	v_mad_u64_u32 v[3:4], s[8:9], s20, v16, 0
	v_mul_lo_u32 v17, s20, v17
	s_cmp_lg_u32 s43, s85
	s_cselect_b64 s[8:9], -1, 0
	s_waitcnt lgkmcnt(0)
	v_add3_u32 v4, v4, v17, v18
	v_lshlrev_b64 v[3:4], 2, v[3:4]
	v_cndmask_b32_e64 v17, 0, 1, s[8:9]
	v_add_co_u32_e32 v3, vcc, v12, v3
	v_addc_co_u32_e32 v4, vcc, v13, v4, vcc
	v_cmp_gt_i32_e32 vcc, s36, v16
	s_and_b64 s[44:45], s[10:11], vcc
	v_cmp_ne_u32_e64 s[8:9], 1, v17
	s_barrier
	s_and_saveexec_b64 s[28:29], s[44:45]
	s_cbranch_execz .LBB4_1050
; %bb.1047:                             ;   in Loop: Header=BB4_1039 Depth=1
	s_and_b64 vcc, exec, s[8:9]
	v_mov_b32_e32 v17, v7
	s_cbranch_vccnz .LBB4_1049
; %bb.1048:                             ;   in Loop: Header=BB4_1039 Depth=1
	global_load_dword v17, v[3:4], off
.LBB4_1049:                             ;   in Loop: Header=BB4_1039 Depth=1
	ds_read_b32 v18, v11
	s_waitcnt vmcnt(0) lgkmcnt(0)
	v_fmac_f32_e32 v5, v17, v18
.LBB4_1050:                             ;   in Loop: Header=BB4_1039 Depth=1
	s_or_b64 exec, exec, s[28:29]
	v_add_u32_e32 v17, 16, v16
	v_cmp_gt_i32_e32 vcc, s36, v17
	s_and_b64 s[44:45], s[10:11], vcc
	s_and_saveexec_b64 s[28:29], s[44:45]
	s_cbranch_execz .LBB4_1054
; %bb.1051:                             ;   in Loop: Header=BB4_1039 Depth=1
	s_and_b64 vcc, exec, s[8:9]
	v_mov_b32_e32 v17, v8
	s_cbranch_vccnz .LBB4_1053
; %bb.1052:                             ;   in Loop: Header=BB4_1039 Depth=1
	v_mov_b32_e32 v18, s25
	v_add_co_u32_e32 v17, vcc, s24, v3
	v_addc_co_u32_e32 v18, vcc, v4, v18, vcc
	global_load_dword v17, v[17:18], off
.LBB4_1053:                             ;   in Loop: Header=BB4_1039 Depth=1
	ds_read_b32 v18, v11 offset:64
	s_waitcnt vmcnt(0) lgkmcnt(0)
	v_fmac_f32_e32 v5, v17, v18
.LBB4_1054:                             ;   in Loop: Header=BB4_1039 Depth=1
	s_or_b64 exec, exec, s[28:29]
	v_add_u32_e32 v17, 32, v16
	v_cmp_gt_i32_e32 vcc, s36, v17
	s_and_b64 s[44:45], s[10:11], vcc
	s_and_saveexec_b64 s[28:29], s[44:45]
	s_cbranch_execz .LBB4_1058
; %bb.1055:                             ;   in Loop: Header=BB4_1039 Depth=1
	s_and_b64 vcc, exec, s[8:9]
	v_mov_b32_e32 v17, v10
	s_cbranch_vccnz .LBB4_1057
; %bb.1056:                             ;   in Loop: Header=BB4_1039 Depth=1
	v_mov_b32_e32 v18, s27
	v_add_co_u32_e32 v17, vcc, s26, v3
	v_addc_co_u32_e32 v18, vcc, v4, v18, vcc
	global_load_dword v17, v[17:18], off
.LBB4_1057:                             ;   in Loop: Header=BB4_1039 Depth=1
	ds_read_b32 v18, v11 offset:128
	s_waitcnt vmcnt(0) lgkmcnt(0)
	v_fmac_f32_e32 v5, v17, v18
.LBB4_1058:                             ;   in Loop: Header=BB4_1039 Depth=1
	s_or_b64 exec, exec, s[28:29]
	v_add_u32_e32 v16, 48, v16
	v_cmp_gt_i32_e32 vcc, s36, v16
	s_and_b64 s[44:45], s[10:11], vcc
	s_and_saveexec_b64 s[28:29], s[44:45]
	s_cbranch_execz .LBB4_1038
; %bb.1059:                             ;   in Loop: Header=BB4_1039 Depth=1
	s_and_b64 vcc, exec, s[8:9]
	v_mov_b32_e32 v16, v9
	s_cbranch_vccnz .LBB4_1037
; %bb.1060:                             ;   in Loop: Header=BB4_1039 Depth=1
	v_mov_b32_e32 v16, s41
	v_add_co_u32_e32 v3, vcc, s42, v3
	v_addc_co_u32_e32 v4, vcc, v4, v16, vcc
	global_load_dword v16, v[3:4], off
	s_branch .LBB4_1037
.LBB4_1061:
	v_lshl_add_u32 v3, v2, 6, v0
	s_xor_b64 s[2:3], s[18:19], -1
	s_xor_b64 s[4:5], s[22:23], -1
	v_lshlrev_b32_e32 v3, 2, v3
	ds_write_b32 v3, v5 offset:16384
	s_waitcnt lgkmcnt(0)
	s_barrier
	s_and_saveexec_b64 s[6:7], s[0:1]
	s_cbranch_execz .LBB4_1063
; %bb.1062:
	v_lshlrev_b32_e32 v16, 2, v0
	ds_read2st64_b32 v[6:7], v16 offset0:65 offset1:66
	ds_read2st64_b32 v[8:9], v16 offset0:67 offset1:68
	ds_read2st64_b32 v[10:11], v16 offset0:69 offset1:70
	ds_read2st64_b32 v[12:13], v16 offset0:71 offset1:72
	ds_read2st64_b32 v[14:15], v16 offset0:73 offset1:74
	s_waitcnt lgkmcnt(4)
	v_add_f32_e32 v4, v5, v6
	v_add_f32_e32 v4, v4, v7
	s_waitcnt lgkmcnt(3)
	v_add_f32_e32 v4, v4, v8
	v_add_f32_e32 v4, v4, v9
	;; [unrolled: 3-line block ×4, first 2 shown]
	ds_read2st64_b32 v[4:5], v16 offset0:75 offset1:76
	ds_read2st64_b32 v[6:7], v16 offset0:77 offset1:78
	ds_read_b32 v9, v16 offset:20224
	s_waitcnt lgkmcnt(3)
	v_add_f32_e32 v8, v8, v14
	v_add_f32_e32 v8, v8, v15
	s_waitcnt lgkmcnt(2)
	v_add_f32_e32 v4, v8, v4
	v_add_f32_e32 v4, v4, v5
	;; [unrolled: 3-line block ×3, first 2 shown]
	s_waitcnt lgkmcnt(0)
	v_add_f32_e32 v4, v4, v9
	v_cndmask_b32_e64 v5, -v4, 0, s[12:13]
.LBB4_1063:
	s_or_b64 exec, exec, s[6:7]
	s_andn2_b64 vcc, exec, s[4:5]
	s_cbranch_vccnz .LBB4_1076
; %bb.1064:
	v_mov_b32_e32 v4, 0x5000
	v_lshl_or_b32 v6, v2, 2, v4
	s_and_saveexec_b64 s[4:5], s[0:1]
; %bb.1065:
	v_lshl_add_u32 v4, v0, 2, v6
	ds_write_b32 v4, v5
; %bb.1066:
	s_or_b64 exec, exec, s[4:5]
	v_cmp_le_u32_e32 vcc, v0, v2
	v_mov_b32_e32 v4, 0
	s_waitcnt lgkmcnt(0)
	s_barrier
	s_and_saveexec_b64 s[4:5], vcc
	s_cbranch_execz .LBB4_1068
; %bb.1067:
	ds_read_b32 v4, v3
	ds_read_b32 v7, v6
	s_waitcnt lgkmcnt(0)
	v_fma_f32 v4, v4, v7, 0
.LBB4_1068:
	s_or_b64 exec, exec, s[4:5]
	v_add_u32_e32 v7, 16, v2
	v_cmp_le_u32_e32 vcc, v0, v7
	s_and_saveexec_b64 s[4:5], vcc
	s_cbranch_execz .LBB4_1070
; %bb.1069:
	ds_read_b32 v7, v3 offset:4096
	ds_read_b32 v8, v6 offset:64
	s_waitcnt lgkmcnt(0)
	v_fmac_f32_e32 v4, v7, v8
.LBB4_1070:
	s_or_b64 exec, exec, s[4:5]
	v_add_u32_e32 v7, 32, v2
	v_cmp_le_u32_e32 vcc, v0, v7
	s_and_saveexec_b64 s[4:5], vcc
	s_cbranch_execz .LBB4_1072
; %bb.1071:
	ds_read_b32 v7, v3 offset:8192
	ds_read_b32 v8, v6 offset:128
	s_waitcnt lgkmcnt(0)
	v_fmac_f32_e32 v4, v7, v8
.LBB4_1072:
	s_or_b64 exec, exec, s[4:5]
	v_add_u32_e32 v2, 48, v2
	v_add_u32_e32 v7, 0x4000, v3
	v_cmp_le_u32_e32 vcc, v0, v2
	s_and_saveexec_b64 s[4:5], vcc
	s_cbranch_execz .LBB4_1074
; %bb.1073:
	ds_read_b32 v2, v3 offset:12288
	ds_read_b32 v3, v6 offset:192
	s_waitcnt lgkmcnt(0)
	v_fmac_f32_e32 v4, v2, v3
.LBB4_1074:
	s_or_b64 exec, exec, s[4:5]
	s_mov_b64 s[6:7], 0
	s_mov_b64 s[4:5], 0
	ds_write_b32 v7, v4
	s_waitcnt lgkmcnt(0)
	s_barrier
                                        ; implicit-def: $vgpr2
	s_and_saveexec_b64 s[8:9], s[0:1]
	s_cbranch_execz .LBB4_1139
; %bb.1075:
	v_lshlrev_b32_e32 v12, 2, v0
	ds_read2st64_b32 v[2:3], v12 offset0:65 offset1:66
	ds_read2st64_b32 v[6:7], v12 offset0:67 offset1:68
	;; [unrolled: 1-line block ×4, first 2 shown]
	s_mov_b64 s[4:5], exec
	s_waitcnt lgkmcnt(3)
	v_add_f32_e32 v2, v4, v2
	v_add_f32_e32 v2, v3, v2
	s_waitcnt lgkmcnt(2)
	v_add_f32_e32 v2, v6, v2
	v_add_f32_e32 v2, v7, v2
	;; [unrolled: 3-line block ×3, first 2 shown]
	s_waitcnt lgkmcnt(0)
	v_add_f32_e32 v4, v10, v2
	ds_read2st64_b32 v[2:3], v12 offset0:73 offset1:74
	v_add_f32_e32 v4, v11, v4
	ds_read2st64_b32 v[6:7], v12 offset0:75 offset1:76
	ds_read2st64_b32 v[8:9], v12 offset0:77 offset1:78
	ds_read_b32 v10, v12 offset:20224
	s_waitcnt lgkmcnt(3)
	v_add_f32_e32 v2, v2, v4
	v_add_f32_e32 v2, v3, v2
	s_waitcnt lgkmcnt(2)
	v_add_f32_e32 v2, v6, v2
	v_add_f32_e32 v2, v7, v2
	;; [unrolled: 3-line block ×3, first 2 shown]
	s_waitcnt lgkmcnt(0)
	v_add_f32_e32 v2, v10, v2
	s_or_b64 exec, exec, s[8:9]
	s_and_b64 vcc, exec, s[6:7]
	s_cbranch_vccnz .LBB4_1077
	s_branch .LBB4_1140
.LBB4_1076:
	s_mov_b64 s[4:5], 0
                                        ; implicit-def: $vgpr2
	s_cbranch_execz .LBB4_1140
.LBB4_1077:
	s_movk_i32 s6, 0x104
	v_lshlrev_b32_e32 v3, 8, v0
	v_mov_b32_e32 v4, 0x3c00
	v_mul_u32_u24_e32 v2, 0x104, v0
	v_sub_u32_e32 v3, 0, v3
	v_mad_u32_u24 v4, v0, s6, v4
	s_mov_b32 s8, 63
	s_movk_i32 s9, 0xc100
	v_mov_b32_e32 v6, 0
	s_branch .LBB4_1079
.LBB4_1078:                             ;   in Loop: Header=BB4_1079 Depth=1
	s_or_b64 exec, exec, s[6:7]
	s_add_i32 s8, s8, -4
	s_cmp_lg_u32 s10, 0
	v_add_u32_e32 v3, 0xfffffc00, v3
	s_barrier
	s_cbranch_scc0 .LBB4_1095
.LBB4_1079:                             ; =>This Inner Loop Header: Depth=1
	v_cmp_eq_u32_e32 vcc, s9, v3
	s_and_b64 s[10:11], s[0:1], vcc
	s_and_saveexec_b64 s[6:7], s[10:11]
	s_cbranch_execz .LBB4_1081
; %bb.1080:                             ;   in Loop: Header=BB4_1079 Depth=1
	ds_read_b32 v7, v2
	s_waitcnt lgkmcnt(0)
	v_mul_f32_e32 v5, v5, v7
	ds_write_b32 v6, v5 offset:20736
.LBB4_1081:                             ;   in Loop: Header=BB4_1079 Depth=1
	s_or_b64 exec, exec, s[6:7]
	v_cmp_gt_u32_e32 vcc, s8, v0
	s_and_b64 s[10:11], s[0:1], vcc
	v_add_u32_e32 v7, v4, v3
	s_waitcnt lgkmcnt(0)
	s_barrier
	s_and_saveexec_b64 s[6:7], s[10:11]
	s_cbranch_execz .LBB4_1083
; %bb.1082:                             ;   in Loop: Header=BB4_1079 Depth=1
	ds_read_b32 v8, v7 offset:768
	ds_read_b32 v9, v6 offset:20736
	s_waitcnt lgkmcnt(0)
	v_fmac_f32_e32 v5, v8, v9
.LBB4_1083:                             ;   in Loop: Header=BB4_1079 Depth=1
	s_or_b64 exec, exec, s[6:7]
	s_add_i32 s10, s8, -1
	v_cmp_eq_u32_e32 vcc, s10, v0
	s_and_b64 s[12:13], s[0:1], vcc
	s_barrier
	s_and_saveexec_b64 s[6:7], s[12:13]
	s_cbranch_execz .LBB4_1085
; %bb.1084:                             ;   in Loop: Header=BB4_1079 Depth=1
	ds_read_b32 v8, v2
	s_waitcnt lgkmcnt(0)
	v_mul_f32_e32 v5, v5, v8
	ds_write_b32 v6, v5 offset:20736
.LBB4_1085:                             ;   in Loop: Header=BB4_1079 Depth=1
	s_or_b64 exec, exec, s[6:7]
	v_cmp_gt_u32_e32 vcc, s10, v0
	s_and_b64 s[10:11], s[0:1], vcc
	s_waitcnt lgkmcnt(0)
	s_barrier
	s_and_saveexec_b64 s[6:7], s[10:11]
	s_cbranch_execz .LBB4_1087
; %bb.1086:                             ;   in Loop: Header=BB4_1079 Depth=1
	ds_read_b32 v8, v7 offset:512
	ds_read_b32 v9, v6 offset:20736
	s_waitcnt lgkmcnt(0)
	v_fmac_f32_e32 v5, v8, v9
.LBB4_1087:                             ;   in Loop: Header=BB4_1079 Depth=1
	s_or_b64 exec, exec, s[6:7]
	s_add_i32 s10, s8, -2
	v_cmp_eq_u32_e32 vcc, s10, v0
	s_and_b64 s[12:13], s[0:1], vcc
	s_barrier
	s_and_saveexec_b64 s[6:7], s[12:13]
	s_cbranch_execz .LBB4_1089
; %bb.1088:                             ;   in Loop: Header=BB4_1079 Depth=1
	ds_read_b32 v8, v2
	s_waitcnt lgkmcnt(0)
	v_mul_f32_e32 v5, v5, v8
	ds_write_b32 v6, v5 offset:20736
.LBB4_1089:                             ;   in Loop: Header=BB4_1079 Depth=1
	s_or_b64 exec, exec, s[6:7]
	v_cmp_gt_u32_e32 vcc, s10, v0
	s_and_b64 s[10:11], s[0:1], vcc
	;; [unrolled: 26-line block ×3, first 2 shown]
	s_waitcnt lgkmcnt(0)
	s_barrier
	s_and_saveexec_b64 s[6:7], s[12:13]
	s_cbranch_execz .LBB4_1078
; %bb.1094:                             ;   in Loop: Header=BB4_1079 Depth=1
	ds_read_b32 v7, v7
	ds_read_b32 v8, v6 offset:20736
	s_waitcnt lgkmcnt(0)
	v_fmac_f32_e32 v5, v7, v8
	s_branch .LBB4_1078
.LBB4_1095:
	s_mov_b64 s[6:7], -1
	s_and_b64 vcc, exec, s[2:3]
	s_cbranch_vccnz .LBB4_1141
; %bb.1096:
	s_andn2_b64 vcc, exec, s[6:7]
	s_cbranch_vccz .LBB4_1142
.LBB4_1097:
	s_and_saveexec_b64 s[0:1], s[4:5]
	s_cbranch_execz .LBB4_1099
.LBB4_1098:
	v_mov_b32_e32 v0, s52
	v_add_co_u32_e32 v2, vcc, s33, v1
	v_addc_co_u32_e32 v0, vcc, 0, v0, vcc
	v_mul_lo_u32 v0, v0, s30
	v_mul_lo_u32 v4, v2, s31
	v_mad_u64_u32 v[2:3], s[2:3], v2, s30, 0
	v_add3_u32 v3, v3, v4, v0
	v_lshlrev_b64 v[2:3], 2, v[2:3]
	v_mov_b32_e32 v0, s39
	v_add_co_u32_e32 v2, vcc, s38, v2
	v_addc_co_u32_e32 v3, vcc, v0, v3, vcc
	global_store_dword v[2:3], v5, off
.LBB4_1099:
	s_or_b64 exec, exec, s[0:1]
	v_cmp_eq_u32_e32 vcc, 0, v1
	s_waitcnt vmcnt(0)
	buffer_wbinvl1_vol
	s_barrier
	s_and_saveexec_b64 s[0:1], vcc
	s_cbranch_execz .LBB4_1101
; %bb.1100:
	s_lshl_b64 s[2:3], s[34:35], 2
	s_add_u32 s2, s14, s2
	s_addc_u32 s3, s15, s3
	v_mov_b32_e32 v0, 0
	global_load_dword v1, v0, s[2:3]
	s_waitcnt vmcnt(0)
	v_add_u32_e32 v1, 1, v1
	global_store_dword v0, v1, s[2:3]
.LBB4_1101:
	s_or_b64 exec, exec, s[0:1]
	s_waitcnt vmcnt(0)
	buffer_wbinvl1_vol
	s_endpgm
.LBB4_1102:
                                        ; implicit-def: $vgpr9
                                        ; implicit-def: $vgpr10
                                        ; implicit-def: $vgpr8
                                        ; implicit-def: $vgpr7
                                        ; implicit-def: $sgpr33
	s_cbranch_execnz .LBB4_10
	s_branch .LBB4_11
.LBB4_1103:
	v_cmp_ne_u32_e32 vcc, v0, v2
	s_and_saveexec_b64 s[8:9], vcc
	s_xor_b64 s[8:9], exec, s[8:9]
; %bb.1104:
	v_or_b32_e32 v1, v2, v0
	v_cmp_gt_u32_e32 vcc, 64, v1
	s_and_b64 s[2:3], vcc, exec
                                        ; implicit-def: $vgpr5_vgpr6
; %bb.1105:
	s_or_saveexec_b64 s[8:9], s[8:9]
	v_mov_b32_e32 v1, 0
	s_xor_b64 exec, exec, s[8:9]
	s_cbranch_execz .LBB4_1107
; %bb.1106:
	v_lshlrev_b64 v[5:6], 2, v[5:6]
	v_mov_b32_e32 v1, s84
	v_add_co_u32_e32 v5, vcc, s83, v5
	v_addc_co_u32_e32 v6, vcc, v1, v6, vcc
	global_load_dword v1, v[5:6], off
	s_or_b64 s[2:3], s[2:3], exec
	s_waitcnt vmcnt(0)
	v_div_scale_f32 v5, s[10:11], v1, v1, 1.0
	v_div_scale_f32 v6, vcc, 1.0, v1, 1.0
	v_rcp_f32_e32 v11, v5
	v_fma_f32 v12, -v5, v11, 1.0
	v_fmac_f32_e32 v11, v12, v11
	v_mul_f32_e32 v12, v6, v11
	v_fma_f32 v13, -v5, v12, v6
	v_fmac_f32_e32 v12, v13, v11
	v_fma_f32 v5, -v5, v12, v6
	v_div_fmas_f32 v5, v5, v11, v12
	v_div_fixup_f32 v1, v5, v1, 1.0
.LBB4_1107:
	s_or_b64 exec, exec, s[8:9]
	s_and_b64 s[2:3], s[2:3], exec
                                        ; implicit-def: $vgpr5_vgpr6
	s_andn2_saveexec_b64 s[0:1], s[0:1]
	s_cbranch_execz .LBB4_14
.LBB4_1108:
	v_lshlrev_b64 v[5:6], 2, v[5:6]
	v_mov_b32_e32 v1, s84
	v_add_co_u32_e32 v5, vcc, s83, v5
	v_addc_co_u32_e32 v6, vcc, v1, v6, vcc
	global_load_dword v1, v[5:6], off
	s_or_b64 s[2:3], s[2:3], exec
	s_waitcnt vmcnt(0)
	v_xor_b32_e32 v1, 0x80000000, v1
	s_or_b64 exec, exec, s[0:1]
	s_and_saveexec_b64 s[0:1], s[2:3]
	s_cbranch_execnz .LBB4_15
	s_branch .LBB4_16
.LBB4_1109:
	v_cmp_ne_u32_e32 vcc, v0, v1
	s_and_saveexec_b64 s[8:9], vcc
	s_xor_b64 s[8:9], exec, s[8:9]
; %bb.1110:
	v_or_b32_e32 v5, v1, v0
	v_cmp_gt_u32_e32 vcc, 64, v5
	s_and_b64 s[2:3], vcc, exec
                                        ; implicit-def: $vgpr5_vgpr6
; %bb.1111:
	s_or_saveexec_b64 s[8:9], s[8:9]
	v_mov_b32_e32 v11, 0
	s_xor_b64 exec, exec, s[8:9]
	s_cbranch_execz .LBB4_1113
; %bb.1112:
	v_lshlrev_b64 v[5:6], 2, v[5:6]
	v_mov_b32_e32 v11, s84
	v_add_co_u32_e32 v5, vcc, s83, v5
	v_addc_co_u32_e32 v6, vcc, v11, v6, vcc
	global_load_dword v5, v[5:6], off
	s_or_b64 s[2:3], s[2:3], exec
	s_waitcnt vmcnt(0)
	v_div_scale_f32 v6, s[10:11], v5, v5, 1.0
	v_div_scale_f32 v11, vcc, 1.0, v5, 1.0
	v_rcp_f32_e32 v12, v6
	v_fma_f32 v13, -v6, v12, 1.0
	v_fmac_f32_e32 v12, v13, v12
	v_mul_f32_e32 v13, v11, v12
	v_fma_f32 v14, -v6, v13, v11
	v_fmac_f32_e32 v13, v14, v12
	v_fma_f32 v6, -v6, v13, v11
	v_div_fmas_f32 v6, v6, v12, v13
	v_div_fixup_f32 v11, v6, v5, 1.0
.LBB4_1113:
	s_or_b64 exec, exec, s[8:9]
	s_and_b64 s[2:3], s[2:3], exec
                                        ; implicit-def: $vgpr5_vgpr6
	s_andn2_saveexec_b64 s[0:1], s[0:1]
	s_cbranch_execz .LBB4_18
.LBB4_1114:
	v_lshlrev_b64 v[5:6], 2, v[5:6]
	v_mov_b32_e32 v11, s84
	v_add_co_u32_e32 v5, vcc, s83, v5
	v_addc_co_u32_e32 v6, vcc, v11, v6, vcc
	global_load_dword v5, v[5:6], off
	s_or_b64 s[2:3], s[2:3], exec
	s_waitcnt vmcnt(0)
	v_xor_b32_e32 v11, 0x80000000, v5
	s_or_b64 exec, exec, s[0:1]
	s_and_saveexec_b64 s[0:1], s[2:3]
	s_cbranch_execnz .LBB4_19
	s_branch .LBB4_20
.LBB4_1115:
	v_cmp_ne_u32_e32 vcc, v0, v1
	s_and_saveexec_b64 s[8:9], vcc
	s_xor_b64 s[8:9], exec, s[8:9]
; %bb.1116:
	v_or_b32_e32 v5, v1, v0
	v_cmp_gt_u32_e32 vcc, 64, v5
	s_and_b64 s[2:3], vcc, exec
                                        ; implicit-def: $vgpr5_vgpr6
; %bb.1117:
	s_or_saveexec_b64 s[8:9], s[8:9]
	v_mov_b32_e32 v11, 0
	s_xor_b64 exec, exec, s[8:9]
	s_cbranch_execz .LBB4_1119
; %bb.1118:
	v_lshlrev_b64 v[5:6], 2, v[5:6]
	v_mov_b32_e32 v11, s84
	v_add_co_u32_e32 v5, vcc, s83, v5
	v_addc_co_u32_e32 v6, vcc, v11, v6, vcc
	global_load_dword v5, v[5:6], off
	s_or_b64 s[2:3], s[2:3], exec
	s_waitcnt vmcnt(0)
	v_div_scale_f32 v6, s[10:11], v5, v5, 1.0
	v_div_scale_f32 v11, vcc, 1.0, v5, 1.0
	v_rcp_f32_e32 v12, v6
	v_fma_f32 v13, -v6, v12, 1.0
	v_fmac_f32_e32 v12, v13, v12
	v_mul_f32_e32 v13, v11, v12
	v_fma_f32 v14, -v6, v13, v11
	v_fmac_f32_e32 v13, v14, v12
	v_fma_f32 v6, -v6, v13, v11
	v_div_fmas_f32 v6, v6, v12, v13
	v_div_fixup_f32 v11, v6, v5, 1.0
.LBB4_1119:
	s_or_b64 exec, exec, s[8:9]
	s_and_b64 s[2:3], s[2:3], exec
                                        ; implicit-def: $vgpr5_vgpr6
	s_andn2_saveexec_b64 s[0:1], s[0:1]
	s_cbranch_execz .LBB4_22
.LBB4_1120:
	v_lshlrev_b64 v[5:6], 2, v[5:6]
	v_mov_b32_e32 v11, s84
	v_add_co_u32_e32 v5, vcc, s83, v5
	v_addc_co_u32_e32 v6, vcc, v11, v6, vcc
	global_load_dword v5, v[5:6], off
	s_or_b64 s[2:3], s[2:3], exec
	s_waitcnt vmcnt(0)
	v_xor_b32_e32 v11, 0x80000000, v5
	s_or_b64 exec, exec, s[0:1]
	s_and_saveexec_b64 s[0:1], s[2:3]
	s_cbranch_execnz .LBB4_23
	s_branch .LBB4_24
.LBB4_1121:
	v_cmp_ne_u32_e32 vcc, v0, v2
	s_xor_b64 s[10:11], s[0:1], -1
	s_or_b64 s[12:13], s[10:11], vcc
	s_mov_b64 s[10:11], 0
	s_and_saveexec_b64 s[14:15], s[12:13]
	s_xor_b64 s[12:13], exec, s[14:15]
; %bb.1122:
	v_or_b32_e32 v1, v2, v0
	v_cmp_gt_u32_e32 vcc, 64, v1
	s_and_b64 s[10:11], vcc, exec
                                        ; implicit-def: $vgpr5_vgpr6
; %bb.1123:
	s_or_saveexec_b64 s[12:13], s[12:13]
	v_mov_b32_e32 v1, 0
	s_xor_b64 exec, exec, s[12:13]
	s_cbranch_execz .LBB4_1125
; %bb.1124:
	v_lshlrev_b64 v[5:6], 2, v[5:6]
	v_mov_b32_e32 v1, s84
	v_add_co_u32_e32 v5, vcc, s83, v5
	v_addc_co_u32_e32 v6, vcc, v1, v6, vcc
	global_load_dword v1, v[5:6], off
	s_or_b64 s[10:11], s[10:11], exec
	s_waitcnt vmcnt(0)
	v_div_scale_f32 v5, s[14:15], v1, v1, 1.0
	v_div_scale_f32 v6, vcc, 1.0, v1, 1.0
	v_rcp_f32_e32 v11, v5
	v_fma_f32 v12, -v5, v11, 1.0
	v_fmac_f32_e32 v11, v12, v11
	v_mul_f32_e32 v12, v6, v11
	v_fma_f32 v13, -v5, v12, v6
	v_fmac_f32_e32 v12, v13, v11
	v_fma_f32 v5, -v5, v12, v6
	v_div_fmas_f32 v5, v5, v11, v12
	v_div_fixup_f32 v1, v5, v1, 1.0
.LBB4_1125:
	s_or_b64 exec, exec, s[12:13]
	s_and_b64 s[10:11], s[10:11], exec
                                        ; implicit-def: $vgpr5_vgpr6
	s_andn2_saveexec_b64 s[2:3], s[2:3]
	s_cbranch_execz .LBB4_36
.LBB4_1126:
	v_lshlrev_b64 v[5:6], 2, v[5:6]
	v_mov_b32_e32 v1, s84
	v_add_co_u32_e32 v5, vcc, s83, v5
	v_addc_co_u32_e32 v6, vcc, v1, v6, vcc
	global_load_dword v1, v[5:6], off
	s_or_b64 s[10:11], s[10:11], exec
	s_waitcnt vmcnt(0)
	v_xor_b32_e32 v1, 0x80000000, v1
	s_or_b64 exec, exec, s[2:3]
	s_and_saveexec_b64 s[2:3], s[10:11]
	s_cbranch_execnz .LBB4_37
	s_branch .LBB4_38
.LBB4_1127:
	v_cmp_ne_u32_e32 vcc, v0, v1
	s_xor_b64 s[10:11], s[0:1], -1
	s_or_b64 s[12:13], s[10:11], vcc
	s_mov_b64 s[10:11], 0
	s_and_saveexec_b64 s[14:15], s[12:13]
	s_xor_b64 s[12:13], exec, s[14:15]
; %bb.1128:
	v_or_b32_e32 v5, v1, v0
	v_cmp_gt_u32_e32 vcc, 64, v5
	s_and_b64 s[10:11], vcc, exec
                                        ; implicit-def: $vgpr5_vgpr6
; %bb.1129:
	s_or_saveexec_b64 s[12:13], s[12:13]
	v_mov_b32_e32 v11, 0
	s_xor_b64 exec, exec, s[12:13]
	s_cbranch_execz .LBB4_1131
; %bb.1130:
	v_lshlrev_b64 v[5:6], 2, v[5:6]
	v_mov_b32_e32 v11, s84
	v_add_co_u32_e32 v5, vcc, s83, v5
	v_addc_co_u32_e32 v6, vcc, v11, v6, vcc
	global_load_dword v5, v[5:6], off
	s_or_b64 s[10:11], s[10:11], exec
	s_waitcnt vmcnt(0)
	v_div_scale_f32 v6, s[14:15], v5, v5, 1.0
	v_div_scale_f32 v11, vcc, 1.0, v5, 1.0
	v_rcp_f32_e32 v12, v6
	v_fma_f32 v13, -v6, v12, 1.0
	v_fmac_f32_e32 v12, v13, v12
	v_mul_f32_e32 v13, v11, v12
	v_fma_f32 v14, -v6, v13, v11
	v_fmac_f32_e32 v13, v14, v12
	v_fma_f32 v6, -v6, v13, v11
	v_div_fmas_f32 v6, v6, v12, v13
	v_div_fixup_f32 v11, v6, v5, 1.0
.LBB4_1131:
	s_or_b64 exec, exec, s[12:13]
	s_and_b64 s[10:11], s[10:11], exec
                                        ; implicit-def: $vgpr5_vgpr6
	s_andn2_saveexec_b64 s[2:3], s[2:3]
	s_cbranch_execz .LBB4_40
.LBB4_1132:
	v_lshlrev_b64 v[5:6], 2, v[5:6]
	v_mov_b32_e32 v11, s84
	v_add_co_u32_e32 v5, vcc, s83, v5
	v_addc_co_u32_e32 v6, vcc, v11, v6, vcc
	global_load_dword v5, v[5:6], off
	s_or_b64 s[10:11], s[10:11], exec
	s_waitcnt vmcnt(0)
	v_xor_b32_e32 v11, 0x80000000, v5
	s_or_b64 exec, exec, s[2:3]
	s_and_saveexec_b64 s[2:3], s[10:11]
	s_cbranch_execnz .LBB4_41
	s_branch .LBB4_42
.LBB4_1133:
	v_cmp_ne_u32_e32 vcc, v0, v1
	s_xor_b64 s[10:11], s[0:1], -1
	s_or_b64 s[12:13], s[10:11], vcc
	s_mov_b64 s[10:11], 0
	s_and_saveexec_b64 s[14:15], s[12:13]
	s_xor_b64 s[12:13], exec, s[14:15]
; %bb.1134:
	v_or_b32_e32 v5, v1, v0
	v_cmp_gt_u32_e32 vcc, 64, v5
	s_and_b64 s[10:11], vcc, exec
                                        ; implicit-def: $vgpr5_vgpr6
; %bb.1135:
	s_or_saveexec_b64 s[12:13], s[12:13]
	v_mov_b32_e32 v11, 0
	s_xor_b64 exec, exec, s[12:13]
	s_cbranch_execz .LBB4_1137
; %bb.1136:
	v_lshlrev_b64 v[5:6], 2, v[5:6]
	v_mov_b32_e32 v11, s84
	v_add_co_u32_e32 v5, vcc, s83, v5
	v_addc_co_u32_e32 v6, vcc, v11, v6, vcc
	global_load_dword v5, v[5:6], off
	s_or_b64 s[10:11], s[10:11], exec
	s_waitcnt vmcnt(0)
	v_div_scale_f32 v6, s[14:15], v5, v5, 1.0
	v_div_scale_f32 v11, vcc, 1.0, v5, 1.0
	v_rcp_f32_e32 v12, v6
	v_fma_f32 v13, -v6, v12, 1.0
	v_fmac_f32_e32 v12, v13, v12
	v_mul_f32_e32 v13, v11, v12
	v_fma_f32 v14, -v6, v13, v11
	v_fmac_f32_e32 v13, v14, v12
	v_fma_f32 v6, -v6, v13, v11
	v_div_fmas_f32 v6, v6, v12, v13
	v_div_fixup_f32 v11, v6, v5, 1.0
.LBB4_1137:
	s_or_b64 exec, exec, s[12:13]
	s_and_b64 s[10:11], s[10:11], exec
                                        ; implicit-def: $vgpr5_vgpr6
	s_andn2_saveexec_b64 s[2:3], s[2:3]
	s_cbranch_execz .LBB4_44
.LBB4_1138:
	v_lshlrev_b64 v[5:6], 2, v[5:6]
	v_mov_b32_e32 v11, s84
	v_add_co_u32_e32 v5, vcc, s83, v5
	v_addc_co_u32_e32 v6, vcc, v11, v6, vcc
	global_load_dword v5, v[5:6], off
	s_or_b64 s[10:11], s[10:11], exec
	s_waitcnt vmcnt(0)
	v_xor_b32_e32 v11, 0x80000000, v5
	s_or_b64 exec, exec, s[2:3]
	s_and_saveexec_b64 s[2:3], s[10:11]
	s_cbranch_execnz .LBB4_45
	s_branch .LBB4_46
.LBB4_1139:
	s_or_b64 exec, exec, s[8:9]
	s_and_b64 vcc, exec, s[6:7]
	s_cbranch_vccnz .LBB4_1077
.LBB4_1140:
	v_mov_b32_e32 v5, v2
	s_and_saveexec_b64 s[0:1], s[4:5]
	s_cbranch_execnz .LBB4_1098
	s_branch .LBB4_1099
.LBB4_1141:
	s_andn2_b64 s[2:3], s[4:5], exec
	s_and_b64 s[4:5], s[0:1], exec
	s_or_b64 s[4:5], s[2:3], s[4:5]
	s_cbranch_execnz .LBB4_1097
.LBB4_1142:
	v_cmp_gt_i32_e32 vcc, s82, v0
	s_and_b64 s[0:1], s[0:1], vcc
	s_andn2_b64 s[2:3], s[4:5], exec
	s_and_b64 s[0:1], s[0:1], exec
	s_or_b64 s[4:5], s[2:3], s[0:1]
	s_and_saveexec_b64 s[0:1], s[4:5]
	s_cbranch_execnz .LBB4_1098
	s_branch .LBB4_1099
.LBB4_1143:
	ds_read_b32 v16, v15 offset:15840
	ds_read_b32 v17, v14 offset:15604
	s_waitcnt lgkmcnt(0)
	v_fmac_f32_e32 v13, v16, v17
	s_or_b64 exec, exec, s[14:15]
	v_cmp_gt_u32_e64 s[10:11], 8, v5
	s_and_saveexec_b64 s[14:15], s[10:11]
	s_cbranch_execz .LBB4_77
.LBB4_1144:
	ds_read_b32 v15, v15 offset:16096
	ds_read_b32 v14, v14 offset:15608
	s_waitcnt lgkmcnt(0)
	v_fmac_f32_e32 v13, v15, v14
	s_or_b64 exec, exec, s[14:15]
	v_cmp_gt_u32_e64 s[10:11], 4, v5
	s_and_saveexec_b64 s[14:15], s[10:11]
	s_cbranch_execnz .LBB4_78
	s_branch .LBB4_79
.LBB4_1145:
	ds_read_b32 v19, v18 offset:14784
	ds_read_b32 v20, v17 offset:14564
	s_waitcnt lgkmcnt(0)
	v_fmac_f32_e32 v16, v19, v20
	s_or_b64 exec, exec, s[16:17]
	v_cmp_gt_u32_e64 s[10:11], 48, v5
	s_and_saveexec_b64 s[16:17], s[10:11]
	s_cbranch_execz .LBB4_115
.LBB4_1146:
	ds_read_b32 v19, v18 offset:15040
	ds_read_b32 v20, v17 offset:14568
	s_waitcnt lgkmcnt(0)
	v_fmac_f32_e32 v16, v19, v20
	s_or_b64 exec, exec, s[16:17]
	v_cmp_gt_u32_e64 s[10:11], 40, v5
	s_and_saveexec_b64 s[16:17], s[10:11]
	s_cbranch_execz .LBB4_116
.LBB4_1147:
	ds_read_b32 v19, v18 offset:15296
	ds_read_b32 v20, v17 offset:14572
	s_waitcnt lgkmcnt(0)
	v_fmac_f32_e32 v16, v19, v20
	s_or_b64 exec, exec, s[16:17]
	v_cmp_gt_u32_e64 s[10:11], 32, v5
	s_and_saveexec_b64 s[16:17], s[10:11]
	s_cbranch_execz .LBB4_117
.LBB4_1148:
	ds_read_b32 v19, v18 offset:15552
	ds_read_b32 v20, v17 offset:14576
	s_waitcnt lgkmcnt(0)
	v_fmac_f32_e32 v16, v19, v20
	s_or_b64 exec, exec, s[16:17]
	v_cmp_gt_u32_e64 s[10:11], 24, v5
	s_and_saveexec_b64 s[16:17], s[10:11]
	s_cbranch_execz .LBB4_118
.LBB4_1149:
	ds_read_b32 v19, v18 offset:15808
	ds_read_b32 v20, v17 offset:14580
	s_waitcnt lgkmcnt(0)
	v_fmac_f32_e32 v16, v19, v20
	s_or_b64 exec, exec, s[16:17]
	s_and_saveexec_b64 s[10:11], s[2:3]
	s_cbranch_execz .LBB4_119
.LBB4_1150:
	ds_read_b32 v18, v18 offset:16064
	ds_read_b32 v17, v17 offset:14584
	s_waitcnt lgkmcnt(0)
	v_fmac_f32_e32 v16, v18, v17
	s_or_b64 exec, exec, s[10:11]
	v_cmp_gt_u32_e64 s[10:11], 8, v5
	s_and_saveexec_b64 s[16:17], s[10:11]
	s_cbranch_execnz .LBB4_120
	s_branch .LBB4_121
.LBB4_1151:
	ds_read_b32 v19, v18 offset:13760
	ds_read_b32 v20, v17 offset:13524
	s_waitcnt lgkmcnt(0)
	v_fmac_f32_e32 v16, v19, v20
	s_or_b64 exec, exec, s[12:13]
	v_cmp_gt_u32_e64 s[8:9], 8, v5
	s_and_saveexec_b64 s[12:13], s[8:9]
	s_cbranch_execz .LBB4_173
.LBB4_1152:
	ds_read_b32 v18, v18 offset:14016
	ds_read_b32 v17, v17 offset:13528
	s_waitcnt lgkmcnt(0)
	v_fmac_f32_e32 v16, v18, v17
	s_or_b64 exec, exec, s[12:13]
	v_cmp_gt_u32_e64 s[8:9], 4, v5
	s_and_saveexec_b64 s[12:13], s[8:9]
	s_cbranch_execnz .LBB4_174
	s_branch .LBB4_175
.LBB4_1153:
	ds_read_b32 v22, v21 offset:15232
	ds_read_b32 v23, v20 offset:12524
	s_waitcnt lgkmcnt(0)
	v_fmac_f32_e32 v19, v22, v23
	s_or_b64 exec, exec, s[80:81]
	s_and_saveexec_b64 s[12:13], s[14:15]
	s_cbranch_execz .LBB4_231
.LBB4_1154:
	ds_read_b32 v22, v21 offset:15488
	ds_read_b32 v23, v20 offset:12528
	s_waitcnt lgkmcnt(0)
	v_fmac_f32_e32 v19, v22, v23
	s_or_b64 exec, exec, s[12:13]
	v_cmp_gt_u32_e64 s[12:13], 48, v5
	s_and_saveexec_b64 s[80:81], s[12:13]
	s_cbranch_execz .LBB4_232
.LBB4_1155:
	ds_read_b32 v22, v21 offset:15744
	ds_read_b32 v23, v20 offset:12532
	s_waitcnt lgkmcnt(0)
	v_fmac_f32_e32 v19, v22, v23
	s_or_b64 exec, exec, s[80:81]
	v_cmp_gt_u32_e64 s[12:13], 32, v5
	s_and_saveexec_b64 s[80:81], s[12:13]
	s_cbranch_execz .LBB4_233
.LBB4_1156:
	ds_read_b32 v21, v21 offset:16000
	ds_read_b32 v20, v20 offset:12536
	s_waitcnt lgkmcnt(0)
	v_fmac_f32_e32 v19, v21, v20
	s_or_b64 exec, exec, s[80:81]
	v_cmp_gt_u32_e64 s[12:13], 16, v5
	s_and_saveexec_b64 s[80:81], s[12:13]
	s_cbranch_execnz .LBB4_234
	s_branch .LBB4_235
.LBB4_1157:
	ds_read_b32 v22, v21 offset:11680
	ds_read_b32 v23, v20 offset:11444
	s_waitcnt lgkmcnt(0)
	v_fmac_f32_e32 v19, v22, v23
	s_or_b64 exec, exec, s[16:17]
	v_cmp_gt_u32_e64 s[10:11], 8, v5
	s_and_saveexec_b64 s[16:17], s[10:11]
	s_cbranch_execz .LBB4_319
.LBB4_1158:
	ds_read_b32 v21, v21 offset:11936
	ds_read_b32 v20, v20 offset:11448
	s_waitcnt lgkmcnt(0)
	v_fmac_f32_e32 v19, v21, v20
	s_or_b64 exec, exec, s[16:17]
	v_cmp_gt_u32_e64 s[10:11], 4, v5
	s_and_saveexec_b64 s[16:17], s[10:11]
	s_cbranch_execnz .LBB4_320
	s_branch .LBB4_321
.LBB4_1159:
	ds_read_b32 v22, v21 offset:10624
	ds_read_b32 v23, v20 offset:10404
	s_waitcnt lgkmcnt(0)
	v_fmac_f32_e32 v19, v22, v23
	s_or_b64 exec, exec, s[16:17]
	v_cmp_gt_u32_e64 s[10:11], 48, v5
	s_and_saveexec_b64 s[16:17], s[10:11]
	s_cbranch_execz .LBB4_357
.LBB4_1160:
	ds_read_b32 v22, v21 offset:10880
	ds_read_b32 v23, v20 offset:10408
	s_waitcnt lgkmcnt(0)
	v_fmac_f32_e32 v19, v22, v23
	s_or_b64 exec, exec, s[16:17]
	v_cmp_gt_u32_e64 s[10:11], 40, v5
	s_and_saveexec_b64 s[16:17], s[10:11]
	s_cbranch_execz .LBB4_358
.LBB4_1161:
	ds_read_b32 v22, v21 offset:11136
	ds_read_b32 v23, v20 offset:10412
	s_waitcnt lgkmcnt(0)
	v_fmac_f32_e32 v19, v22, v23
	s_or_b64 exec, exec, s[16:17]
	v_cmp_gt_u32_e64 s[10:11], 32, v5
	s_and_saveexec_b64 s[16:17], s[10:11]
	s_cbranch_execz .LBB4_359
.LBB4_1162:
	ds_read_b32 v22, v21 offset:11392
	ds_read_b32 v23, v20 offset:10416
	s_waitcnt lgkmcnt(0)
	v_fmac_f32_e32 v19, v22, v23
	s_or_b64 exec, exec, s[16:17]
	v_cmp_gt_u32_e64 s[10:11], 24, v5
	s_and_saveexec_b64 s[16:17], s[10:11]
	s_cbranch_execz .LBB4_360
.LBB4_1163:
	ds_read_b32 v22, v21 offset:11648
	ds_read_b32 v23, v20 offset:10420
	s_waitcnt lgkmcnt(0)
	v_fmac_f32_e32 v19, v22, v23
	s_or_b64 exec, exec, s[16:17]
	s_and_saveexec_b64 s[10:11], s[2:3]
	s_cbranch_execz .LBB4_361
.LBB4_1164:
	ds_read_b32 v21, v21 offset:11904
	ds_read_b32 v20, v20 offset:10424
	s_waitcnt lgkmcnt(0)
	v_fmac_f32_e32 v19, v21, v20
	s_or_b64 exec, exec, s[10:11]
	v_cmp_gt_u32_e64 s[10:11], 8, v5
	s_and_saveexec_b64 s[16:17], s[10:11]
	s_cbranch_execnz .LBB4_362
	s_branch .LBB4_363
.LBB4_1165:
	ds_read_b32 v22, v21 offset:9600
	ds_read_b32 v23, v20 offset:9364
	s_waitcnt lgkmcnt(0)
	v_fmac_f32_e32 v19, v22, v23
	s_or_b64 exec, exec, s[16:17]
	v_cmp_gt_u32_e64 s[10:11], 8, v5
	s_and_saveexec_b64 s[16:17], s[10:11]
	s_cbranch_execz .LBB4_415
.LBB4_1166:
	ds_read_b32 v21, v21 offset:9856
	ds_read_b32 v20, v20 offset:9368
	s_waitcnt lgkmcnt(0)
	v_fmac_f32_e32 v19, v21, v20
	s_or_b64 exec, exec, s[16:17]
	v_cmp_gt_u32_e64 s[10:11], 4, v5
	s_and_saveexec_b64 s[16:17], s[10:11]
	s_cbranch_execnz .LBB4_416
	s_branch .LBB4_417
.LBB4_1167:
	ds_read_b32 v25, v24 offset:15616
	ds_read_b32 v26, v23 offset:8436
	s_waitcnt lgkmcnt(0)
	v_fmac_f32_e32 v21, v25, v26
	s_or_b64 exec, exec, s[80:81]
	s_and_saveexec_b64 s[16:17], s[14:15]
	s_cbranch_execz .LBB4_509
.LBB4_1168:
	ds_read_b32 v24, v24 offset:15872
	ds_read_b32 v23, v23 offset:8440
	s_waitcnt lgkmcnt(0)
	v_fmac_f32_e32 v21, v24, v23
	s_or_b64 exec, exec, s[16:17]
	v_cmp_gt_u32_e64 s[16:17], 32, v5
	s_and_saveexec_b64 s[80:81], s[16:17]
	s_cbranch_execnz .LBB4_510
	s_branch .LBB4_511
.LBB4_1169:
	ds_read_b32 v22, v21 offset:7520
	ds_read_b32 v23, v20 offset:7284
	s_waitcnt lgkmcnt(0)
	v_fmac_f32_e32 v19, v22, v23
	s_or_b64 exec, exec, s[16:17]
	v_cmp_gt_u32_e64 s[10:11], 8, v5
	s_and_saveexec_b64 s[16:17], s[10:11]
	s_cbranch_execz .LBB4_659
.LBB4_1170:
	ds_read_b32 v21, v21 offset:7776
	ds_read_b32 v20, v20 offset:7288
	s_waitcnt lgkmcnt(0)
	v_fmac_f32_e32 v19, v21, v20
	s_or_b64 exec, exec, s[16:17]
	v_cmp_gt_u32_e64 s[10:11], 4, v5
	s_and_saveexec_b64 s[16:17], s[10:11]
	s_cbranch_execnz .LBB4_660
	s_branch .LBB4_661
.LBB4_1171:
	ds_read_b32 v22, v21 offset:6464
	ds_read_b32 v23, v20 offset:6244
	s_waitcnt lgkmcnt(0)
	v_fmac_f32_e32 v19, v22, v23
	s_or_b64 exec, exec, s[16:17]
	v_cmp_gt_u32_e64 s[10:11], 48, v5
	s_and_saveexec_b64 s[16:17], s[10:11]
	s_cbranch_execz .LBB4_697
.LBB4_1172:
	ds_read_b32 v22, v21 offset:6720
	ds_read_b32 v23, v20 offset:6248
	s_waitcnt lgkmcnt(0)
	v_fmac_f32_e32 v19, v22, v23
	s_or_b64 exec, exec, s[16:17]
	v_cmp_gt_u32_e64 s[10:11], 40, v5
	s_and_saveexec_b64 s[16:17], s[10:11]
	s_cbranch_execz .LBB4_698
.LBB4_1173:
	ds_read_b32 v22, v21 offset:6976
	ds_read_b32 v23, v20 offset:6252
	s_waitcnt lgkmcnt(0)
	v_fmac_f32_e32 v19, v22, v23
	s_or_b64 exec, exec, s[16:17]
	v_cmp_gt_u32_e64 s[10:11], 32, v5
	s_and_saveexec_b64 s[16:17], s[10:11]
	s_cbranch_execz .LBB4_699
.LBB4_1174:
	ds_read_b32 v22, v21 offset:7232
	ds_read_b32 v23, v20 offset:6256
	s_waitcnt lgkmcnt(0)
	v_fmac_f32_e32 v19, v22, v23
	s_or_b64 exec, exec, s[16:17]
	v_cmp_gt_u32_e64 s[10:11], 24, v5
	s_and_saveexec_b64 s[16:17], s[10:11]
	s_cbranch_execz .LBB4_700
.LBB4_1175:
	ds_read_b32 v22, v21 offset:7488
	ds_read_b32 v23, v20 offset:6260
	s_waitcnt lgkmcnt(0)
	v_fmac_f32_e32 v19, v22, v23
	s_or_b64 exec, exec, s[16:17]
	s_and_saveexec_b64 s[10:11], s[2:3]
	s_cbranch_execz .LBB4_701
.LBB4_1176:
	ds_read_b32 v21, v21 offset:7744
	ds_read_b32 v20, v20 offset:6264
	s_waitcnt lgkmcnt(0)
	v_fmac_f32_e32 v19, v21, v20
	s_or_b64 exec, exec, s[10:11]
	v_cmp_gt_u32_e64 s[10:11], 8, v5
	s_and_saveexec_b64 s[16:17], s[10:11]
	s_cbranch_execnz .LBB4_702
	s_branch .LBB4_703
.LBB4_1177:
	ds_read_b32 v22, v21 offset:5440
	ds_read_b32 v23, v20 offset:5204
	s_waitcnt lgkmcnt(0)
	v_fmac_f32_e32 v19, v22, v23
	s_or_b64 exec, exec, s[16:17]
	v_cmp_gt_u32_e64 s[10:11], 8, v5
	s_and_saveexec_b64 s[16:17], s[10:11]
	s_cbranch_execz .LBB4_755
.LBB4_1178:
	ds_read_b32 v21, v21 offset:5696
	ds_read_b32 v20, v20 offset:5208
	s_waitcnt lgkmcnt(0)
	v_fmac_f32_e32 v19, v21, v20
	s_or_b64 exec, exec, s[16:17]
	v_cmp_gt_u32_e64 s[10:11], 4, v5
	s_and_saveexec_b64 s[16:17], s[10:11]
	s_cbranch_execnz .LBB4_756
	s_branch .LBB4_757
.LBB4_1179:
	ds_read_b32 v22, v21 offset:6912
	ds_read_b32 v23, v20 offset:4204
	s_waitcnt lgkmcnt(0)
	v_fmac_f32_e32 v19, v22, v23
	s_or_b64 exec, exec, s[16:17]
	s_and_saveexec_b64 s[10:11], s[14:15]
	s_cbranch_execz .LBB4_813
.LBB4_1180:
	ds_read_b32 v22, v21 offset:7168
	ds_read_b32 v23, v20 offset:4208
	s_waitcnt lgkmcnt(0)
	v_fmac_f32_e32 v19, v22, v23
	s_or_b64 exec, exec, s[10:11]
	v_cmp_gt_u32_e64 s[10:11], 48, v5
	s_and_saveexec_b64 s[16:17], s[10:11]
	s_cbranch_execz .LBB4_814
.LBB4_1181:
	ds_read_b32 v22, v21 offset:7424
	ds_read_b32 v23, v20 offset:4212
	s_waitcnt lgkmcnt(0)
	v_fmac_f32_e32 v19, v22, v23
	s_or_b64 exec, exec, s[16:17]
	v_cmp_gt_u32_e64 s[10:11], 32, v5
	s_and_saveexec_b64 s[16:17], s[10:11]
	s_cbranch_execz .LBB4_815
.LBB4_1182:
	ds_read_b32 v21, v21 offset:7680
	ds_read_b32 v20, v20 offset:4216
	s_waitcnt lgkmcnt(0)
	v_fmac_f32_e32 v19, v21, v20
	s_or_b64 exec, exec, s[16:17]
	v_cmp_gt_u32_e64 s[10:11], 16, v5
	s_and_saveexec_b64 s[16:17], s[10:11]
	s_cbranch_execnz .LBB4_816
	s_branch .LBB4_817
.LBB4_1183:
	ds_read_b32 v19, v18 offset:3360
	ds_read_b32 v20, v17 offset:3124
	s_waitcnt lgkmcnt(0)
	v_fmac_f32_e32 v16, v19, v20
	s_or_b64 exec, exec, s[12:13]
	v_cmp_gt_u32_e64 s[8:9], 8, v5
	s_and_saveexec_b64 s[12:13], s[8:9]
	s_cbranch_execz .LBB4_901
.LBB4_1184:
	ds_read_b32 v18, v18 offset:3616
	ds_read_b32 v17, v17 offset:3128
	s_waitcnt lgkmcnt(0)
	v_fmac_f32_e32 v16, v18, v17
	s_or_b64 exec, exec, s[12:13]
	v_cmp_gt_u32_e64 s[8:9], 4, v5
	s_and_saveexec_b64 s[12:13], s[8:9]
	s_cbranch_execnz .LBB4_902
	s_branch .LBB4_903
.LBB4_1185:
	ds_read_b32 v19, v18 offset:2304
	ds_read_b32 v20, v17 offset:2084
	s_waitcnt lgkmcnt(0)
	v_fmac_f32_e32 v16, v19, v20
	s_or_b64 exec, exec, s[12:13]
	v_cmp_gt_u32_e64 s[8:9], 48, v5
	s_and_saveexec_b64 s[12:13], s[8:9]
	s_cbranch_execz .LBB4_939
.LBB4_1186:
	ds_read_b32 v19, v18 offset:2560
	ds_read_b32 v20, v17 offset:2088
	s_waitcnt lgkmcnt(0)
	v_fmac_f32_e32 v16, v19, v20
	s_or_b64 exec, exec, s[12:13]
	v_cmp_gt_u32_e64 s[8:9], 40, v5
	s_and_saveexec_b64 s[12:13], s[8:9]
	s_cbranch_execz .LBB4_940
.LBB4_1187:
	ds_read_b32 v19, v18 offset:2816
	ds_read_b32 v20, v17 offset:2092
	s_waitcnt lgkmcnt(0)
	v_fmac_f32_e32 v16, v19, v20
	s_or_b64 exec, exec, s[12:13]
	v_cmp_gt_u32_e64 s[8:9], 32, v5
	s_and_saveexec_b64 s[12:13], s[8:9]
	s_cbranch_execz .LBB4_941
.LBB4_1188:
	ds_read_b32 v19, v18 offset:3072
	ds_read_b32 v20, v17 offset:2096
	s_waitcnt lgkmcnt(0)
	v_fmac_f32_e32 v16, v19, v20
	s_or_b64 exec, exec, s[12:13]
	v_cmp_gt_u32_e64 s[8:9], 24, v5
	s_and_saveexec_b64 s[12:13], s[8:9]
	s_cbranch_execz .LBB4_942
.LBB4_1189:
	ds_read_b32 v19, v18 offset:3328
	ds_read_b32 v20, v17 offset:2100
	s_waitcnt lgkmcnt(0)
	v_fmac_f32_e32 v16, v19, v20
	s_or_b64 exec, exec, s[12:13]
	s_and_saveexec_b64 s[8:9], s[2:3]
	s_cbranch_execz .LBB4_943
.LBB4_1190:
	ds_read_b32 v18, v18 offset:3584
	ds_read_b32 v17, v17 offset:2104
	s_waitcnt lgkmcnt(0)
	v_fmac_f32_e32 v16, v18, v17
	s_or_b64 exec, exec, s[8:9]
	v_cmp_gt_u32_e64 s[8:9], 8, v5
	s_and_saveexec_b64 s[12:13], s[8:9]
	s_cbranch_execnz .LBB4_944
	s_branch .LBB4_945
.LBB4_1191:
	ds_read_b32 v16, v15 offset:1280
	ds_read_b32 v17, v14 offset:1044
	s_waitcnt lgkmcnt(0)
	v_fmac_f32_e32 v13, v16, v17
	s_or_b64 exec, exec, s[12:13]
	v_cmp_gt_u32_e64 s[8:9], 8, v5
	s_and_saveexec_b64 s[12:13], s[8:9]
	s_cbranch_execz .LBB4_997
.LBB4_1192:
	ds_read_b32 v15, v15 offset:1536
	ds_read_b32 v14, v14 offset:1048
	s_waitcnt lgkmcnt(0)
	v_fmac_f32_e32 v13, v15, v14
	s_or_b64 exec, exec, s[12:13]
	v_cmp_gt_u32_e64 s[8:9], 4, v5
	s_and_saveexec_b64 s[12:13], s[8:9]
	s_cbranch_execnz .LBB4_998
	s_branch .LBB4_999
	.section	.rodata,"a",@progbits
	.p2align	6, 0x0
	.amdhsa_kernel _ZL19rocblas_trsv_deviceILi64ELi16ELb0ELb0ELb0ELb0EfPKfS1_PfEviT7_lllT6_T8_lllPii
		.amdhsa_group_segment_fixed_size 20740
		.amdhsa_private_segment_fixed_size 0
		.amdhsa_kernarg_size 352
		.amdhsa_user_sgpr_count 6
		.amdhsa_user_sgpr_private_segment_buffer 1
		.amdhsa_user_sgpr_dispatch_ptr 0
		.amdhsa_user_sgpr_queue_ptr 0
		.amdhsa_user_sgpr_kernarg_segment_ptr 1
		.amdhsa_user_sgpr_dispatch_id 0
		.amdhsa_user_sgpr_flat_scratch_init 0
		.amdhsa_user_sgpr_private_segment_size 0
		.amdhsa_uses_dynamic_stack 0
		.amdhsa_system_sgpr_private_segment_wavefront_offset 0
		.amdhsa_system_sgpr_workgroup_id_x 1
		.amdhsa_system_sgpr_workgroup_id_y 0
		.amdhsa_system_sgpr_workgroup_id_z 1
		.amdhsa_system_sgpr_workgroup_info 0
		.amdhsa_system_vgpr_workitem_id 1
		.amdhsa_next_free_vgpr 29
		.amdhsa_next_free_sgpr 96
		.amdhsa_reserve_vcc 1
		.amdhsa_reserve_flat_scratch 0
		.amdhsa_float_round_mode_32 0
		.amdhsa_float_round_mode_16_64 0
		.amdhsa_float_denorm_mode_32 3
		.amdhsa_float_denorm_mode_16_64 3
		.amdhsa_dx10_clamp 1
		.amdhsa_ieee_mode 1
		.amdhsa_fp16_overflow 0
		.amdhsa_exception_fp_ieee_invalid_op 0
		.amdhsa_exception_fp_denorm_src 0
		.amdhsa_exception_fp_ieee_div_zero 0
		.amdhsa_exception_fp_ieee_overflow 0
		.amdhsa_exception_fp_ieee_underflow 0
		.amdhsa_exception_fp_ieee_inexact 0
		.amdhsa_exception_int_div_zero 0
	.end_amdhsa_kernel
	.section	.text._ZL19rocblas_trsv_deviceILi64ELi16ELb0ELb0ELb0ELb0EfPKfS1_PfEviT7_lllT6_T8_lllPii,"axG",@progbits,_ZL19rocblas_trsv_deviceILi64ELi16ELb0ELb0ELb0ELb0EfPKfS1_PfEviT7_lllT6_T8_lllPii,comdat
.Lfunc_end4:
	.size	_ZL19rocblas_trsv_deviceILi64ELi16ELb0ELb0ELb0ELb0EfPKfS1_PfEviT7_lllT6_T8_lllPii, .Lfunc_end4-_ZL19rocblas_trsv_deviceILi64ELi16ELb0ELb0ELb0ELb0EfPKfS1_PfEviT7_lllT6_T8_lllPii
                                        ; -- End function
	.set _ZL19rocblas_trsv_deviceILi64ELi16ELb0ELb0ELb0ELb0EfPKfS1_PfEviT7_lllT6_T8_lllPii.num_vgpr, 28
	.set _ZL19rocblas_trsv_deviceILi64ELi16ELb0ELb0ELb0ELb0EfPKfS1_PfEviT7_lllT6_T8_lllPii.num_agpr, 0
	.set _ZL19rocblas_trsv_deviceILi64ELi16ELb0ELb0ELb0ELb0EfPKfS1_PfEviT7_lllT6_T8_lllPii.numbered_sgpr, 96
	.set _ZL19rocblas_trsv_deviceILi64ELi16ELb0ELb0ELb0ELb0EfPKfS1_PfEviT7_lllT6_T8_lllPii.num_named_barrier, 0
	.set _ZL19rocblas_trsv_deviceILi64ELi16ELb0ELb0ELb0ELb0EfPKfS1_PfEviT7_lllT6_T8_lllPii.private_seg_size, 0
	.set _ZL19rocblas_trsv_deviceILi64ELi16ELb0ELb0ELb0ELb0EfPKfS1_PfEviT7_lllT6_T8_lllPii.uses_vcc, 1
	.set _ZL19rocblas_trsv_deviceILi64ELi16ELb0ELb0ELb0ELb0EfPKfS1_PfEviT7_lllT6_T8_lllPii.uses_flat_scratch, 0
	.set _ZL19rocblas_trsv_deviceILi64ELi16ELb0ELb0ELb0ELb0EfPKfS1_PfEviT7_lllT6_T8_lllPii.has_dyn_sized_stack, 0
	.set _ZL19rocblas_trsv_deviceILi64ELi16ELb0ELb0ELb0ELb0EfPKfS1_PfEviT7_lllT6_T8_lllPii.has_recursion, 0
	.set _ZL19rocblas_trsv_deviceILi64ELi16ELb0ELb0ELb0ELb0EfPKfS1_PfEviT7_lllT6_T8_lllPii.has_indirect_call, 0
	.section	.AMDGPU.csdata,"",@progbits
; Kernel info:
; codeLenInByte = 35864
; TotalNumSgprs: 100
; NumVgprs: 28
; ScratchSize: 0
; MemoryBound: 0
; FloatMode: 240
; IeeeMode: 1
; LDSByteSize: 20740 bytes/workgroup (compile time only)
; SGPRBlocks: 12
; VGPRBlocks: 7
; NumSGPRsForWavesPerEU: 100
; NumVGPRsForWavesPerEU: 29
; Occupancy: 8
; WaveLimiterHint : 0
; COMPUTE_PGM_RSRC2:SCRATCH_EN: 0
; COMPUTE_PGM_RSRC2:USER_SGPR: 6
; COMPUTE_PGM_RSRC2:TRAP_HANDLER: 0
; COMPUTE_PGM_RSRC2:TGID_X_EN: 1
; COMPUTE_PGM_RSRC2:TGID_Y_EN: 0
; COMPUTE_PGM_RSRC2:TGID_Z_EN: 1
; COMPUTE_PGM_RSRC2:TIDIG_COMP_CNT: 1
	.section	.text._ZL19rocblas_trsv_deviceILi64ELi16ELb0ELb1ELb0ELb0EfPKfS1_PfEviT7_lllT6_T8_lllPii,"axG",@progbits,_ZL19rocblas_trsv_deviceILi64ELi16ELb0ELb1ELb0ELb0EfPKfS1_PfEviT7_lllT6_T8_lllPii,comdat
	.globl	_ZL19rocblas_trsv_deviceILi64ELi16ELb0ELb1ELb0ELb0EfPKfS1_PfEviT7_lllT6_T8_lllPii ; -- Begin function _ZL19rocblas_trsv_deviceILi64ELi16ELb0ELb1ELb0ELb0EfPKfS1_PfEviT7_lllT6_T8_lllPii
	.p2align	8
	.type	_ZL19rocblas_trsv_deviceILi64ELi16ELb0ELb1ELb0ELb0EfPKfS1_PfEviT7_lllT6_T8_lllPii,@function
_ZL19rocblas_trsv_deviceILi64ELi16ELb0ELb1ELb0ELb0EfPKfS1_PfEviT7_lllT6_T8_lllPii: ; @_ZL19rocblas_trsv_deviceILi64ELi16ELb0ELb1ELb0ELb0EfPKfS1_PfEviT7_lllT6_T8_lllPii
; %bb.0:
	s_mov_b32 s22, s7
	s_load_dwordx16 s[36:51], s[4:5], 0x8
	s_load_dword s7, s[4:5], 0x0
	v_mov_b32_e32 v2, v1
	s_mov_b32 s23, 0
	s_waitcnt lgkmcnt(0)
	s_mul_i32 s0, s43, s22
	s_mul_hi_u32 s1, s42, s22
	s_add_i32 s1, s1, s0
	s_mul_i32 s0, s42, s22
	s_lshl_b64 s[0:1], s[0:1], 2
	s_add_u32 s2, s36, s0
	s_addc_u32 s3, s37, s1
	s_load_dword s37, s[44:45], 0x0
	s_load_dword s89, s[4:5], 0x6c
	s_lshl_b64 s[0:1], s[38:39], 2
	s_add_u32 s87, s2, s0
	s_addc_u32 s88, s3, s1
	s_cmp_eq_u32 s6, 0
	s_cbranch_scc1 .LBB5_10
; %bb.1:
	s_lshl_b32 s33, s6, 6
	v_add_u32_e32 v1, s33, v0
	v_ashrrev_i32_e32 v3, 31, v1
	v_mul_lo_u32 v7, s40, v3
	v_mul_lo_u32 v8, s41, v1
	v_mad_u64_u32 v[5:6], s[0:1], s40, v1, 0
	v_add_u32_e32 v3, s33, v2
	v_subrev_u32_e32 v3, 64, v3
	v_add3_u32 v6, v6, v7, v8
	v_lshlrev_b64 v[5:6], 2, v[5:6]
	v_ashrrev_i32_e32 v4, 31, v3
	v_cmp_gt_i32_e32 vcc, s7, v1
	v_mov_b32_e32 v1, s88
	v_add_co_u32_e64 v7, s[0:1], s87, v5
	v_lshlrev_b64 v[4:5], 2, v[3:4]
	v_addc_co_u32_e64 v1, s[0:1], v1, v6, s[0:1]
	v_add_co_u32_e64 v4, s[0:1], v7, v4
	v_addc_co_u32_e64 v5, s[0:1], v1, v5, s[0:1]
	v_cmp_gt_i32_e64 s[0:1], s7, v3
	s_and_b64 s[2:3], s[0:1], vcc
	v_mov_b32_e32 v7, 0
	v_mov_b32_e32 v8, 0
	s_waitcnt lgkmcnt(0)
	s_barrier
	s_and_saveexec_b64 s[0:1], s[2:3]
	s_cbranch_execz .LBB5_3
; %bb.2:
	global_load_dword v8, v[4:5], off
.LBB5_3:
	s_or_b64 exec, exec, s[0:1]
	v_add_u32_e32 v1, 16, v3
	v_cmp_gt_i32_e64 s[0:1], s7, v1
	s_and_b64 s[2:3], s[0:1], vcc
	s_waitcnt vmcnt(0)
	s_barrier
	s_and_saveexec_b64 s[0:1], s[2:3]
	s_cbranch_execz .LBB5_5
; %bb.4:
	global_load_dword v7, v[4:5], off offset:64
.LBB5_5:
	s_or_b64 exec, exec, s[0:1]
	v_add_u32_e32 v1, 32, v3
	v_cmp_gt_i32_e64 s[0:1], s7, v1
	s_and_b64 s[2:3], s[0:1], vcc
	v_mov_b32_e32 v9, 0
	v_mov_b32_e32 v10, 0
	s_waitcnt vmcnt(0)
	s_barrier
	s_and_saveexec_b64 s[0:1], s[2:3]
	s_cbranch_execz .LBB5_7
; %bb.6:
	global_load_dword v10, v[4:5], off offset:128
.LBB5_7:
	s_or_b64 exec, exec, s[0:1]
	v_add_u32_e32 v1, 48, v3
	v_cmp_gt_i32_e64 s[0:1], s7, v1
	s_and_b64 s[2:3], s[0:1], vcc
	s_waitcnt vmcnt(0)
	s_barrier
	s_and_saveexec_b64 s[0:1], s[2:3]
	s_cbranch_execz .LBB5_9
; %bb.8:
	global_load_dword v9, v[4:5], off offset:192
.LBB5_9:
	s_or_b64 exec, exec, s[0:1]
	s_branch .LBB5_11
.LBB5_10:
                                        ; implicit-def: $vgpr9
                                        ; implicit-def: $vgpr10
                                        ; implicit-def: $vgpr7
                                        ; implicit-def: $vgpr8
	s_mov_b32 s33, s23
.LBB5_11:
	s_ashr_i32 s0, s7, 31
	s_lshr_b32 s0, s0, 26
	s_add_i32 s0, s7, s0
	s_andn2_b32 s0, s0, 63
	s_sub_i32 s86, s7, s0
	s_add_i32 s0, s7, -1
	s_ashr_i32 s1, s0, 31
	s_lshr_b32 s1, s1, 26
	s_add_i32 s0, s0, s1
	s_ashr_i32 s0, s0, 6
	s_cmp_eq_u32 s0, s6
	s_cselect_b64 s[0:1], -1, 0
	s_cmp_lg_u32 s86, 0
	s_cselect_b64 s[2:3], -1, 0
	s_and_b64 s[24:25], s[2:3], s[0:1]
	s_cmp_lt_i32 s6, 5
	s_cselect_b64 s[2:3], -1, 0
	s_or_b64 s[0:1], s[2:3], s[24:25]
	s_ashr_i32 s36, s33, 31
	s_add_u32 s10, s40, 1
	v_mov_b32_e32 v1, 0
	v_mov_b32_e32 v3, s33
	v_mad_u64_u32 v[3:4], s[8:9], s10, v3, v[0:1]
	s_addc_u32 s11, s41, 0
	s_mul_i32 s8, s10, s36
	s_mul_i32 s11, s11, s33
	s_add_i32 s8, s8, s11
	s_mov_b64 s[12:13], -1
	v_lshlrev_b32_e32 v11, 6, v0
	v_add_u32_e32 v4, s8, v4
	s_and_b64 vcc, exec, s[24:25]
	v_cmp_le_u32_e64 s[8:9], v2, v0
	s_cbranch_vccnz .LBB5_33
; %bb.12:
	v_mad_u64_u32 v[5:6], s[10:11], s40, v2, v[3:4]
	v_mov_b32_e32 v1, v6
	v_mad_u64_u32 v[12:13], s[10:11], s41, v2, v[1:2]
	s_mov_b64 s[10:11], 0
                                        ; implicit-def: $vgpr1
	v_mov_b32_e32 v6, v12
	s_and_saveexec_b64 s[12:13], s[8:9]
	s_xor_b64 s[8:9], exec, s[12:13]
	s_cbranch_execnz .LBB5_1159
; %bb.13:
	s_andn2_saveexec_b64 s[8:9], s[8:9]
	s_cbranch_execnz .LBB5_1164
.LBB5_14:
	s_or_b64 exec, exec, s[8:9]
	s_and_saveexec_b64 s[8:9], s[10:11]
.LBB5_15:
	v_add_u32_e32 v5, v2, v11
	v_lshl_add_u32 v6, v2, 6, v0
	v_cndmask_b32_e64 v5, v6, v5, s[2:3]
	v_lshlrev_b32_e32 v5, 2, v5
	ds_write_b32 v5, v1
.LBB5_16:
	s_or_b64 exec, exec, s[8:9]
	v_add_u32_e32 v1, 16, v2
	v_mad_u64_u32 v[5:6], s[2:3], s40, v1, v[3:4]
	v_cmp_le_u32_e32 vcc, v1, v0
	s_mov_b64 s[8:9], 0
	v_mad_u64_u32 v[12:13], s[2:3], s41, v1, v[6:7]
	v_mov_b32_e32 v6, v12
                                        ; implicit-def: $vgpr12
	s_and_saveexec_b64 s[2:3], vcc
	s_xor_b64 s[2:3], exec, s[2:3]
	s_cbranch_execnz .LBB5_1165
; %bb.17:
	s_andn2_saveexec_b64 s[2:3], s[2:3]
	s_cbranch_execnz .LBB5_1170
.LBB5_18:
	s_or_b64 exec, exec, s[2:3]
	s_and_saveexec_b64 s[2:3], s[8:9]
.LBB5_19:
	v_add_u32_e32 v5, v1, v11
	v_lshl_add_u32 v1, v1, 6, v0
	v_cndmask_b32_e64 v1, v1, v5, s[0:1]
	v_lshlrev_b32_e32 v1, 2, v1
	ds_write_b32 v1, v12
.LBB5_20:
	s_or_b64 exec, exec, s[2:3]
	v_add_u32_e32 v1, 32, v2
	v_mad_u64_u32 v[5:6], s[2:3], s40, v1, v[3:4]
	v_cmp_le_u32_e32 vcc, v1, v0
	s_mov_b64 s[8:9], 0
	v_mad_u64_u32 v[12:13], s[2:3], s41, v1, v[6:7]
	v_mov_b32_e32 v6, v12
                                        ; implicit-def: $vgpr12
	s_and_saveexec_b64 s[2:3], vcc
	s_xor_b64 s[2:3], exec, s[2:3]
	s_cbranch_execnz .LBB5_1171
; %bb.21:
	s_andn2_saveexec_b64 s[2:3], s[2:3]
	s_cbranch_execnz .LBB5_1176
.LBB5_22:
	s_or_b64 exec, exec, s[2:3]
	s_and_saveexec_b64 s[2:3], s[8:9]
.LBB5_23:
	v_add_u32_e32 v5, v1, v11
	v_lshl_add_u32 v1, v1, 6, v0
	v_cndmask_b32_e64 v1, v1, v5, s[0:1]
	v_lshlrev_b32_e32 v1, 2, v1
	ds_write_b32 v1, v12
.LBB5_24:
	s_or_b64 exec, exec, s[2:3]
	v_add_u32_e32 v12, 48, v2
	v_mad_u64_u32 v[5:6], s[2:3], s40, v12, v[3:4]
	v_cmp_le_u32_e32 vcc, v12, v0
	s_mov_b64 s[10:11], 0
	v_mov_b32_e32 v1, v6
	v_mad_u64_u32 v[13:14], s[2:3], s41, v12, v[1:2]
                                        ; implicit-def: $vgpr1
	v_mov_b32_e32 v6, v13
	s_and_saveexec_b64 s[2:3], vcc
	s_xor_b64 s[2:3], exec, s[2:3]
	s_cbranch_execz .LBB5_30
; %bb.25:
	v_cmp_ne_u32_e32 vcc, v0, v12
	s_mov_b64 s[8:9], 0
	s_and_saveexec_b64 s[10:11], vcc
	s_xor_b64 s[10:11], exec, s[10:11]
; %bb.26:
	v_or_b32_e32 v1, v12, v0
	v_cmp_gt_u32_e32 vcc, 64, v1
	s_and_b64 s[8:9], vcc, exec
                                        ; implicit-def: $vgpr5_vgpr6
; %bb.27:
	s_or_saveexec_b64 s[10:11], s[10:11]
	v_mov_b32_e32 v1, 0
	s_xor_b64 exec, exec, s[10:11]
	s_cbranch_execz .LBB5_29
; %bb.28:
	v_lshlrev_b64 v[5:6], 2, v[5:6]
	v_mov_b32_e32 v1, s88
	v_add_co_u32_e32 v5, vcc, s87, v5
	v_addc_co_u32_e32 v6, vcc, v1, v6, vcc
	global_load_dword v1, v[5:6], off
	s_or_b64 s[8:9], s[8:9], exec
	s_waitcnt vmcnt(0)
	v_div_scale_f32 v5, s[12:13], v1, v1, 1.0
	v_div_scale_f32 v6, vcc, 1.0, v1, 1.0
	v_rcp_f32_e32 v13, v5
	v_fma_f32 v14, -v5, v13, 1.0
	v_fmac_f32_e32 v13, v14, v13
	v_mul_f32_e32 v14, v6, v13
	v_fma_f32 v15, -v5, v14, v6
	v_fmac_f32_e32 v14, v15, v13
	v_fma_f32 v5, -v5, v14, v6
	v_div_fmas_f32 v5, v5, v13, v14
	v_div_fixup_f32 v1, v5, v1, 1.0
.LBB5_29:
	s_or_b64 exec, exec, s[10:11]
	s_and_b64 s[10:11], s[8:9], exec
                                        ; implicit-def: $vgpr5_vgpr6
.LBB5_30:
	s_or_saveexec_b64 s[2:3], s[2:3]
	v_add_u32_e32 v13, v12, v11
	v_lshl_add_u32 v12, v12, 6, v0
	s_xor_b64 exec, exec, s[2:3]
	s_cbranch_execz .LBB5_32
; %bb.31:
	v_lshlrev_b64 v[5:6], 2, v[5:6]
	v_mov_b32_e32 v1, s88
	v_add_co_u32_e32 v5, vcc, s87, v5
	v_addc_co_u32_e32 v6, vcc, v1, v6, vcc
	global_load_dword v1, v[5:6], off
	s_or_b64 s[10:11], s[10:11], exec
	s_waitcnt vmcnt(0)
	v_xor_b32_e32 v1, 0x80000000, v1
.LBB5_32:
	s_or_b64 exec, exec, s[2:3]
	v_cndmask_b32_e64 v5, v12, v13, s[0:1]
	s_branch .LBB5_55
.LBB5_33:
	s_mov_b64 s[10:11], 0
                                        ; implicit-def: $vgpr1
                                        ; implicit-def: $vgpr5
	s_and_b64 vcc, exec, s[12:13]
	s_cbranch_vccz .LBB5_55
; %bb.34:
	v_mad_u64_u32 v[5:6], s[2:3], s40, v2, v[3:4]
	v_cmp_le_u32_e32 vcc, v2, v0
	v_cmp_gt_i32_e64 s[2:3], s86, v0
	v_mov_b32_e32 v1, v6
	v_mad_u64_u32 v[12:13], s[8:9], s41, v2, v[1:2]
	v_max_i32_e32 v1, v2, v0
	v_cmp_le_i32_e64 s[8:9], s86, v1
	v_mov_b32_e32 v6, v12
	s_or_b64 s[8:9], s[8:9], vcc
	s_mov_b64 s[12:13], 0
                                        ; implicit-def: $vgpr1
	s_and_saveexec_b64 s[14:15], s[8:9]
	s_xor_b64 s[8:9], exec, s[14:15]
	s_cbranch_execnz .LBB5_1177
; %bb.35:
	s_andn2_saveexec_b64 s[8:9], s[8:9]
	s_cbranch_execnz .LBB5_1182
.LBB5_36:
	s_or_b64 exec, exec, s[8:9]
	s_and_saveexec_b64 s[8:9], s[12:13]
.LBB5_37:
	v_lshlrev_b32_e32 v5, 2, v11
	v_lshl_add_u32 v5, v2, 2, v5
	ds_write_b32 v5, v1
.LBB5_38:
	s_or_b64 exec, exec, s[8:9]
	v_add_u32_e32 v1, 16, v2
	v_mad_u64_u32 v[5:6], s[8:9], s40, v1, v[3:4]
	v_cmp_gt_u32_e32 vcc, v1, v0
	s_mov_b64 s[12:13], 0
	v_mad_u64_u32 v[12:13], s[8:9], s41, v1, v[6:7]
	v_cmp_gt_i32_e64 s[8:9], s86, v1
	s_and_b64 s[8:9], vcc, s[8:9]
	s_and_b64 s[8:9], s[2:3], s[8:9]
	v_mov_b32_e32 v6, v12
	s_xor_b64 s[8:9], s[8:9], -1
                                        ; implicit-def: $vgpr12
	s_and_saveexec_b64 s[14:15], s[8:9]
	s_xor_b64 s[8:9], exec, s[14:15]
	s_cbranch_execnz .LBB5_1183
; %bb.39:
	s_andn2_saveexec_b64 s[8:9], s[8:9]
	s_cbranch_execnz .LBB5_1188
.LBB5_40:
	s_or_b64 exec, exec, s[8:9]
	s_and_saveexec_b64 s[8:9], s[12:13]
.LBB5_41:
	v_add_u32_e32 v5, v1, v11
	v_lshl_add_u32 v1, v1, 6, v0
	v_cndmask_b32_e64 v1, v1, v5, s[0:1]
	v_lshlrev_b32_e32 v1, 2, v1
	ds_write_b32 v1, v12
.LBB5_42:
	s_or_b64 exec, exec, s[8:9]
	v_add_u32_e32 v1, 32, v2
	v_mad_u64_u32 v[5:6], s[8:9], s40, v1, v[3:4]
	v_cmp_gt_u32_e32 vcc, v1, v0
	s_mov_b64 s[12:13], 0
	v_mad_u64_u32 v[12:13], s[8:9], s41, v1, v[6:7]
	v_cmp_gt_i32_e64 s[8:9], s86, v1
	s_and_b64 s[8:9], vcc, s[8:9]
	s_and_b64 s[8:9], s[2:3], s[8:9]
	v_mov_b32_e32 v6, v12
	s_xor_b64 s[8:9], s[8:9], -1
                                        ; implicit-def: $vgpr12
	s_and_saveexec_b64 s[14:15], s[8:9]
	s_xor_b64 s[8:9], exec, s[14:15]
	s_cbranch_execnz .LBB5_1189
; %bb.43:
	s_andn2_saveexec_b64 s[8:9], s[8:9]
	s_cbranch_execnz .LBB5_1194
.LBB5_44:
	s_or_b64 exec, exec, s[8:9]
	s_and_saveexec_b64 s[8:9], s[12:13]
.LBB5_45:
	v_add_u32_e32 v5, v1, v11
	v_lshl_add_u32 v1, v1, 6, v0
	v_cndmask_b32_e64 v1, v1, v5, s[0:1]
	v_lshlrev_b32_e32 v1, 2, v1
	ds_write_b32 v1, v12
.LBB5_46:
	s_or_b64 exec, exec, s[8:9]
	v_add_u32_e32 v5, 48, v2
	v_mad_u64_u32 v[3:4], s[8:9], s40, v5, v[3:4]
	v_cmp_gt_u32_e32 vcc, v5, v0
	v_mov_b32_e32 v1, v4
	v_mad_u64_u32 v[12:13], s[8:9], s41, v5, v[1:2]
	v_cmp_gt_i32_e64 s[8:9], s86, v5
	s_and_b64 s[8:9], vcc, s[8:9]
	s_and_b64 s[8:9], s[2:3], s[8:9]
	v_mov_b32_e32 v4, v12
	s_xor_b64 s[8:9], s[8:9], -1
                                        ; implicit-def: $vgpr1
	s_and_saveexec_b64 s[12:13], s[8:9]
	s_xor_b64 s[8:9], exec, s[12:13]
	s_cbranch_execz .LBB5_52
; %bb.47:
	v_cmp_ne_u32_e32 vcc, v0, v5
	s_xor_b64 s[2:3], s[2:3], -1
	s_or_b64 s[12:13], s[2:3], vcc
	s_mov_b64 s[2:3], s[10:11]
	s_and_saveexec_b64 s[14:15], s[12:13]
	s_xor_b64 s[12:13], exec, s[14:15]
; %bb.48:
	v_or_b32_e32 v1, v5, v0
	v_cmp_gt_u32_e32 vcc, 64, v1
	s_andn2_b64 s[2:3], s[10:11], exec
	s_and_b64 s[14:15], vcc, exec
	s_or_b64 s[2:3], s[2:3], s[14:15]
                                        ; implicit-def: $vgpr3_vgpr4
; %bb.49:
	s_or_saveexec_b64 s[12:13], s[12:13]
	v_mov_b32_e32 v1, 0
	s_xor_b64 exec, exec, s[12:13]
	s_cbranch_execz .LBB5_51
; %bb.50:
	v_lshlrev_b64 v[3:4], 2, v[3:4]
	v_mov_b32_e32 v1, s88
	v_add_co_u32_e32 v3, vcc, s87, v3
	v_addc_co_u32_e32 v4, vcc, v1, v4, vcc
	global_load_dword v1, v[3:4], off
	s_or_b64 s[2:3], s[2:3], exec
	s_waitcnt vmcnt(0)
	v_div_scale_f32 v3, s[14:15], v1, v1, 1.0
	v_div_scale_f32 v4, vcc, 1.0, v1, 1.0
	v_rcp_f32_e32 v6, v3
	v_fma_f32 v12, -v3, v6, 1.0
	v_fmac_f32_e32 v6, v12, v6
	v_mul_f32_e32 v12, v4, v6
	v_fma_f32 v13, -v3, v12, v4
	v_fmac_f32_e32 v12, v13, v6
	v_fma_f32 v3, -v3, v12, v4
	v_div_fmas_f32 v3, v3, v6, v12
	v_div_fixup_f32 v1, v3, v1, 1.0
.LBB5_51:
	s_or_b64 exec, exec, s[12:13]
	s_andn2_b64 s[10:11], s[10:11], exec
	s_and_b64 s[2:3], s[2:3], exec
	s_or_b64 s[10:11], s[10:11], s[2:3]
                                        ; implicit-def: $vgpr3_vgpr4
.LBB5_52:
	s_or_saveexec_b64 s[2:3], s[8:9]
	v_add_u32_e32 v6, v5, v11
	v_lshl_add_u32 v5, v5, 6, v0
	s_xor_b64 exec, exec, s[2:3]
	s_cbranch_execz .LBB5_54
; %bb.53:
	v_lshlrev_b64 v[3:4], 2, v[3:4]
	v_mov_b32_e32 v1, s88
	v_add_co_u32_e32 v3, vcc, s87, v3
	v_addc_co_u32_e32 v4, vcc, v1, v4, vcc
	global_load_dword v1, v[3:4], off
	s_or_b64 s[10:11], s[10:11], exec
	s_waitcnt vmcnt(0)
	v_xor_b32_e32 v1, 0x80000000, v1
.LBB5_54:
	s_or_b64 exec, exec, s[2:3]
	v_cndmask_b32_e64 v5, v5, v6, s[0:1]
.LBB5_55:
	s_xor_b64 s[0:1], s[0:1], -1
	s_and_saveexec_b64 s[2:3], s[10:11]
; %bb.56:
	v_lshlrev_b32_e32 v3, 2, v5
	ds_write_b32 v3, v1
; %bb.57:
	s_or_b64 exec, exec, s[2:3]
	v_cndmask_b32_e64 v1, 0, 1, s[0:1]
	v_cmp_ne_u32_e64 s[56:57], 1, v1
	s_andn2_b64 vcc, exec, s[0:1]
	s_waitcnt vmcnt(0) lgkmcnt(0)
	s_barrier
	s_cbranch_vccnz .LBB5_1095
; %bb.58:
	v_or_b32_e32 v1, v0, v2
	v_cmp_eq_u32_e32 vcc, 0, v1
	s_and_saveexec_b64 s[0:1], vcc
	s_cbranch_execz .LBB5_60
; %bb.59:
	v_mov_b32_e32 v1, 0
	ds_read_b64 v[3:4], v1 offset:16376
	ds_read_b32 v1, v1 offset:16120
	s_movk_i32 s2, 0x3c00
	s_waitcnt lgkmcnt(0)
	v_mul_f32_e32 v1, v1, v4
	v_mul_f32_e32 v1, v3, v1
	v_add_u32_e64 v3, s2, 0
	ds_write2_b32 v3, v1, v1 offset0:191 offset1:254
.LBB5_60:
	s_or_b64 exec, exec, s[0:1]
	v_lshlrev_b32_e32 v3, 6, v2
	v_add_u32_e32 v5, v3, v0
	v_and_b32_e32 v4, v3, v0
	v_xor_b32_e32 v3, v3, v0
	v_lshrrev_b16_e32 v3, 1, v3
	v_add_u16_e32 v4, v4, v3
	v_and_b32_e32 v1, 1, v0
	v_sub_u32_e32 v3, 1, v4
	v_cmp_lt_u32_e64 s[8:9], 3, v5
	v_cmp_gt_u32_e64 s[2:3], 4, v5
	v_mov_b32_e32 v6, 0
	s_waitcnt lgkmcnt(0)
	s_barrier
	buffer_wbinvl1_vol
	s_and_saveexec_b64 s[0:1], s[2:3]
	s_cbranch_execz .LBB5_64
; %bb.61:
	v_lshlrev_b32_e32 v6, 8, v3
	v_lshlrev_b32_e32 v11, 2, v1
	ds_read_b32 v12, v11 offset:16112
	ds_read_b32 v6, v6 offset:16120
	v_mov_b32_e32 v11, 0
	v_cmp_gt_u32_e64 s[10:11], 2, v5
	s_waitcnt lgkmcnt(0)
	v_fma_f32 v6, v12, v6, 0
	s_and_saveexec_b64 s[12:13], s[10:11]
	s_cbranch_execz .LBB5_63
; %bb.62:
	v_lshlrev_b32_e32 v12, 2, v0
	ds_read_b32 v12, v12 offset:16368
	ds_read_b32 v11, v11 offset:16380
	s_waitcnt lgkmcnt(0)
	v_fmac_f32_e32 v6, v12, v11
.LBB5_63:
	s_or_b64 exec, exec, s[12:13]
.LBB5_64:
	s_or_b64 exec, exec, s[0:1]
	v_mov_b32_e32 v11, 0x4000
	v_cmp_ne_u32_e64 s[10:11], 0, v1
	s_xor_b64 s[0:1], s[8:9], -1
	v_lshl_add_u32 v4, v4, 2, v11
	s_and_b64 s[28:29], s[10:11], s[0:1]
	s_and_saveexec_b64 s[8:9], s[28:29]
	s_cbranch_execz .LBB5_66
; %bb.65:
	v_mov_b32_e32 v11, 0
	ds_read_b32 v11, v11 offset:15860
	s_waitcnt lgkmcnt(0)
	v_mul_f32_e32 v6, v6, v11
	v_xor_b32_e32 v11, 0x80000000, v6
	ds_write_b32 v4, v11
.LBB5_66:
	s_or_b64 exec, exec, s[8:9]
	v_cmp_eq_u32_e64 s[8:9], 0, v1
	s_and_b64 s[26:27], s[8:9], s[0:1]
	s_waitcnt lgkmcnt(0)
	s_barrier
	s_and_saveexec_b64 s[0:1], s[26:27]
	s_cbranch_execz .LBB5_68
; %bb.67:
	v_mov_b32_e32 v11, 0
	ds_read_b32 v11, v11 offset:15856
	ds_read_b32 v12, v4
	s_waitcnt lgkmcnt(0)
	v_fma_f32 v6, -v11, v12, v6
.LBB5_68:
	s_or_b64 exec, exec, s[0:1]
	s_barrier
	s_and_saveexec_b64 s[0:1], s[26:27]
	s_cbranch_execz .LBB5_70
; %bb.69:
	v_mov_b32_e32 v11, 0
	ds_read_b32 v11, v11 offset:15600
	s_waitcnt lgkmcnt(0)
	v_mul_f32_e32 v6, v6, v11
	v_xor_b32_e32 v11, 0x80000000, v6
	ds_write_b32 v4, v11
.LBB5_70:
	s_or_b64 exec, exec, s[0:1]
	s_waitcnt lgkmcnt(0)
	s_barrier
	s_barrier
	s_and_saveexec_b64 s[0:1], s[2:3]
; %bb.71:
	v_lshlrev_b32_e32 v11, 2, v1
	v_lshl_or_b32 v11, v3, 8, v11
	ds_write_b32 v11, v6 offset:16112
; %bb.72:
	s_or_b64 exec, exec, s[0:1]
	v_cmp_eq_u32_e64 s[12:13], 0, v2
	v_cmp_gt_u32_e64 s[8:9], 2, v0
	s_and_b64 s[30:31], s[12:13], s[8:9]
	s_waitcnt lgkmcnt(0)
	s_barrier
	s_barrier
	s_and_saveexec_b64 s[0:1], s[30:31]
	s_cbranch_execz .LBB5_74
; %bb.73:
	v_lshlrev_b32_e32 v6, 2, v0
	s_movk_i32 s8, 0xfc
	v_mad_u32_u24 v11, v0, s8, v6
	ds_read_b32 v12, v11 offset:16112
	s_waitcnt lgkmcnt(0)
	ds_write_b32 v6, v12 offset:15608
	ds_read_b32 v11, v11 offset:16116
	s_waitcnt lgkmcnt(0)
	ds_write_b32 v6, v11 offset:15864
.LBB5_74:
	s_or_b64 exec, exec, s[0:1]
	s_waitcnt lgkmcnt(0)
	s_barrier
	s_and_saveexec_b64 s[0:1], vcc
	s_cbranch_execz .LBB5_76
; %bb.75:
	v_mov_b32_e32 v6, 0
	ds_read_b64 v[11:12], v6 offset:15856
	ds_read_b32 v6, v6 offset:15600
	s_movk_i32 s8, 0x3c00
	s_waitcnt lgkmcnt(0)
	v_mul_f32_e32 v6, v6, v12
	v_mul_f32_e32 v6, v11, v6
	v_add_u32_e64 v11, s8, 0
	ds_write2_b32 v11, v6, v6 offset0:61 offset1:124
.LBB5_76:
	s_or_b64 exec, exec, s[0:1]
	v_lshrrev_b32_e32 v12, 2, v5
	v_and_b32_e32 v6, 3, v0
	v_sub_u32_e32 v11, 3, v12
	v_cmp_lt_u32_e64 s[8:9], 15, v5
	v_cmp_gt_u32_e64 s[18:19], 16, v5
	v_mov_b32_e32 v13, 0
	s_waitcnt lgkmcnt(0)
	s_barrier
	buffer_wbinvl1_vol
	s_and_saveexec_b64 s[0:1], s[18:19]
	s_cbranch_execz .LBB5_82
; %bb.77:
	v_lshlrev_b32_e32 v15, 2, v6
	v_lshlrev_b32_e32 v14, 8, v11
	ds_read_b32 v13, v15 offset:15584
	ds_read_b32 v16, v14 offset:15600
	v_cmp_gt_u32_e64 s[10:11], 12, v5
	s_waitcnt lgkmcnt(0)
	v_fma_f32 v13, v13, v16, 0
	s_and_saveexec_b64 s[14:15], s[10:11]
	s_cbranch_execnz .LBB5_1206
; %bb.78:
	s_or_b64 exec, exec, s[14:15]
	v_cmp_gt_u32_e64 s[10:11], 8, v5
	s_and_saveexec_b64 s[14:15], s[10:11]
	s_cbranch_execnz .LBB5_1207
.LBB5_79:
	s_or_b64 exec, exec, s[14:15]
	v_cmp_gt_u32_e64 s[10:11], 4, v5
	s_and_saveexec_b64 s[14:15], s[10:11]
	s_cbranch_execz .LBB5_81
.LBB5_80:
	v_lshlrev_b32_e32 v14, 2, v0
	v_mov_b32_e32 v15, 0
	ds_read_b32 v14, v14 offset:16352
	ds_read_b32 v15, v15 offset:16380
	s_waitcnt lgkmcnt(0)
	v_fmac_f32_e32 v13, v14, v15
.LBB5_81:
	s_or_b64 exec, exec, s[14:15]
.LBB5_82:
                                        ; implicit-def: $vgpr27 : SGPR spill to VGPR lane
	v_writelane_b32 v27, s37, 0
	v_writelane_b32 v27, s36, 1
	s_or_b64 exec, exec, s[0:1]
	v_mov_b32_e32 v14, 0x4000
	v_cmp_eq_u32_e64 s[10:11], 3, v6
	s_xor_b64 s[0:1], s[8:9], -1
	v_lshl_add_u32 v12, v12, 2, v14
	s_and_b64 s[36:37], s[10:11], s[0:1]
	s_and_saveexec_b64 s[8:9], s[36:37]
	s_cbranch_execz .LBB5_84
; %bb.83:
	v_mov_b32_e32 v14, 0
	ds_read_b32 v14, v14 offset:15340
	s_waitcnt lgkmcnt(0)
	v_mul_f32_e32 v13, v13, v14
	v_xor_b32_e32 v14, 0x80000000, v13
	ds_write_b32 v12, v14
.LBB5_84:
	s_or_b64 exec, exec, s[8:9]
	v_cmp_ne_u32_e64 s[8:9], 3, v6
	s_and_b64 s[38:39], s[8:9], s[0:1]
	s_waitcnt lgkmcnt(0)
	s_barrier
	s_and_saveexec_b64 s[8:9], s[38:39]
	s_cbranch_execz .LBB5_86
; %bb.85:
	v_lshlrev_b32_e32 v14, 2, v6
	ds_read_b32 v14, v14 offset:15328
	ds_read_b32 v15, v12
	s_waitcnt lgkmcnt(0)
	v_fma_f32 v13, -v14, v15, v13
.LBB5_86:
	s_or_b64 exec, exec, s[8:9]
	v_cmp_eq_u32_e64 s[8:9], 2, v6
	s_and_b64 s[42:43], s[8:9], s[0:1]
	s_barrier
	s_and_saveexec_b64 s[8:9], s[42:43]
	s_cbranch_execz .LBB5_88
; %bb.87:
	v_mov_b32_e32 v14, 0
	ds_read_b32 v14, v14 offset:15080
	s_waitcnt lgkmcnt(0)
	v_mul_f32_e32 v13, v13, v14
	v_xor_b32_e32 v14, 0x80000000, v13
	ds_write_b32 v12, v14
.LBB5_88:
	s_or_b64 exec, exec, s[8:9]
	v_cmp_gt_u32_e64 s[8:9], 2, v6
	s_and_b64 s[44:45], s[8:9], s[0:1]
	s_waitcnt lgkmcnt(0)
	s_barrier
	s_and_saveexec_b64 s[8:9], s[44:45]
	s_cbranch_execz .LBB5_90
; %bb.89:
	v_lshlrev_b32_e32 v14, 2, v6
	ds_read_b32 v14, v14 offset:15072
	ds_read_b32 v15, v12
	s_waitcnt lgkmcnt(0)
	v_fma_f32 v13, -v14, v15, v13
.LBB5_90:
	s_or_b64 exec, exec, s[8:9]
	v_cmp_eq_u32_e64 s[8:9], 1, v6
	s_and_b64 s[52:53], s[8:9], s[0:1]
	s_barrier
	s_and_saveexec_b64 s[8:9], s[52:53]
	s_cbranch_execz .LBB5_92
; %bb.91:
	v_mov_b32_e32 v14, 0
	ds_read_b32 v14, v14 offset:14820
	s_waitcnt lgkmcnt(0)
	v_mul_f32_e32 v13, v13, v14
	v_xor_b32_e32 v14, 0x80000000, v13
	ds_write_b32 v12, v14
.LBB5_92:
	s_or_b64 exec, exec, s[8:9]
	v_cmp_eq_u32_e64 s[8:9], 0, v6
	s_and_b64 s[34:35], s[8:9], s[0:1]
	s_waitcnt lgkmcnt(0)
	s_barrier
	s_and_saveexec_b64 s[0:1], s[34:35]
	s_cbranch_execz .LBB5_94
; %bb.93:
	v_mov_b32_e32 v14, 0
	ds_read_b32 v14, v14 offset:14816
	ds_read_b32 v15, v12
	s_waitcnt lgkmcnt(0)
	v_fma_f32 v13, -v14, v15, v13
.LBB5_94:
	s_or_b64 exec, exec, s[0:1]
	s_barrier
	s_and_saveexec_b64 s[0:1], s[34:35]
	s_cbranch_execz .LBB5_96
; %bb.95:
	v_mov_b32_e32 v14, 0
	ds_read_b32 v14, v14 offset:14560
	s_waitcnt lgkmcnt(0)
	v_mul_f32_e32 v13, v13, v14
	v_xor_b32_e32 v14, 0x80000000, v13
	ds_write_b32 v12, v14
.LBB5_96:
	s_or_b64 exec, exec, s[0:1]
	s_waitcnt lgkmcnt(0)
	s_barrier
	s_barrier
	s_and_saveexec_b64 s[0:1], s[18:19]
; %bb.97:
	v_lshlrev_b32_e32 v14, 2, v6
	v_lshl_or_b32 v14, v11, 8, v14
	ds_write_b32 v14, v13 offset:15584
; %bb.98:
	s_or_b64 exec, exec, s[0:1]
	v_cmp_gt_u32_e64 s[8:9], 4, v0
	s_and_b64 s[54:55], s[12:13], s[8:9]
	s_waitcnt lgkmcnt(0)
	s_barrier
	s_barrier
	s_and_saveexec_b64 s[0:1], s[54:55]
	s_cbranch_execz .LBB5_100
; %bb.99:
	v_lshlrev_b32_e32 v13, 8, v0
	ds_read_b32 v14, v13 offset:15584
	s_movk_i32 s8, 0xff04
	v_mad_i32_i24 v15, v0, s8, v13
	s_waitcnt lgkmcnt(0)
	ds_write_b32 v15, v14 offset:14576
	ds_read_b32 v14, v13 offset:15588
	s_waitcnt lgkmcnt(0)
	ds_write_b32 v15, v14 offset:14832
	ds_read_b32 v14, v13 offset:15592
	;; [unrolled: 3-line block ×3, first 2 shown]
	s_waitcnt lgkmcnt(0)
	ds_write_b32 v15, v13 offset:15344
.LBB5_100:
	s_or_b64 exec, exec, s[0:1]
	s_waitcnt lgkmcnt(0)
	s_barrier
	s_and_saveexec_b64 s[0:1], vcc
	s_cbranch_execz .LBB5_102
; %bb.101:
	v_mov_b32_e32 v15, 0
	ds_read_b64 v[13:14], v15 offset:15336
	ds_read_b32 v15, v15 offset:15080
	s_movk_i32 s8, 0x3800
	s_waitcnt lgkmcnt(0)
	v_mul_f32_e32 v14, v15, v14
	v_mul_f32_e32 v13, v13, v14
	v_add_u32_e64 v14, s8, 0
	ds_write2_b32 v14, v13, v13 offset0:187 offset1:250
.LBB5_102:
	s_or_b64 exec, exec, s[0:1]
	v_mov_b32_e32 v13, 0
	s_waitcnt lgkmcnt(0)
	s_barrier
	buffer_wbinvl1_vol
	s_and_saveexec_b64 s[0:1], s[2:3]
	s_cbranch_execz .LBB5_106
; %bb.103:
	v_lshlrev_b32_e32 v13, 8, v3
	v_lshlrev_b32_e32 v14, 2, v1
	ds_read_b32 v15, v14 offset:15072
	ds_read_b32 v13, v13 offset:15080
	v_mov_b32_e32 v14, 0
	v_cmp_gt_u32_e64 s[8:9], 2, v5
	s_waitcnt lgkmcnt(0)
	v_fma_f32 v13, v15, v13, 0
	s_and_saveexec_b64 s[10:11], s[8:9]
	s_cbranch_execz .LBB5_105
; %bb.104:
	v_lshlrev_b32_e32 v15, 2, v0
	ds_read_b32 v15, v15 offset:15328
	ds_read_b32 v14, v14 offset:15340
	s_waitcnt lgkmcnt(0)
	v_fmac_f32_e32 v13, v15, v14
.LBB5_105:
	s_or_b64 exec, exec, s[10:11]
.LBB5_106:
	s_or_b64 exec, exec, s[0:1]
	s_and_saveexec_b64 s[0:1], s[28:29]
	s_cbranch_execz .LBB5_108
; %bb.107:
	v_mov_b32_e32 v14, 0
	ds_read_b32 v14, v14 offset:14820
	s_waitcnt lgkmcnt(0)
	v_mul_f32_e32 v13, v13, v14
	v_xor_b32_e32 v14, 0x80000000, v13
	ds_write_b32 v4, v14
.LBB5_108:
	s_or_b64 exec, exec, s[0:1]
	s_waitcnt lgkmcnt(0)
	s_barrier
	s_and_saveexec_b64 s[0:1], s[26:27]
	s_cbranch_execz .LBB5_110
; %bb.109:
	v_mov_b32_e32 v14, 0
	ds_read_b32 v14, v14 offset:14816
	ds_read_b32 v15, v4
	s_waitcnt lgkmcnt(0)
	v_fma_f32 v13, -v14, v15, v13
.LBB5_110:
	s_or_b64 exec, exec, s[0:1]
	s_barrier
	s_and_saveexec_b64 s[0:1], s[26:27]
	s_cbranch_execz .LBB5_112
; %bb.111:
	v_mov_b32_e32 v14, 0
	ds_read_b32 v14, v14 offset:14560
	s_waitcnt lgkmcnt(0)
	v_mul_f32_e32 v13, v13, v14
	v_xor_b32_e32 v14, 0x80000000, v13
	ds_write_b32 v4, v14
.LBB5_112:
	s_or_b64 exec, exec, s[0:1]
	s_waitcnt lgkmcnt(0)
	s_barrier
	s_barrier
	s_and_saveexec_b64 s[0:1], s[2:3]
; %bb.113:
	v_lshlrev_b32_e32 v14, 2, v1
	v_lshl_or_b32 v14, v3, 8, v14
	ds_write_b32 v14, v13 offset:15072
; %bb.114:
	s_or_b64 exec, exec, s[0:1]
	s_waitcnt lgkmcnt(0)
	s_barrier
	s_barrier
	s_and_saveexec_b64 s[0:1], s[30:31]
	s_cbranch_execz .LBB5_116
; %bb.115:
	v_lshlrev_b32_e32 v13, 2, v0
	s_movk_i32 s8, 0xfc
	v_mad_u32_u24 v14, v0, s8, v13
	ds_read_b32 v15, v14 offset:15072
	s_waitcnt lgkmcnt(0)
	ds_write_b32 v13, v15 offset:14568
	ds_read_b32 v14, v14 offset:15076
	s_waitcnt lgkmcnt(0)
	ds_write_b32 v13, v14 offset:14824
.LBB5_116:
	s_or_b64 exec, exec, s[0:1]
	s_waitcnt lgkmcnt(0)
	s_barrier
	s_and_saveexec_b64 s[0:1], vcc
	s_cbranch_execz .LBB5_118
; %bb.117:
	v_mov_b32_e32 v15, 0
	ds_read_b64 v[13:14], v15 offset:14816
	ds_read_b32 v15, v15 offset:14560
	s_movk_i32 s8, 0x3800
	s_waitcnt lgkmcnt(0)
	v_mul_f32_e32 v14, v15, v14
	v_mul_f32_e32 v13, v13, v14
	v_add_u32_e64 v14, s8, 0
	ds_write2_b32 v14, v13, v13 offset0:57 offset1:120
.LBB5_118:
	s_or_b64 exec, exec, s[0:1]
	v_lshrrev_b32_e32 v15, 3, v5
	v_and_b32_e32 v13, 7, v0
	v_sub_u32_e32 v14, 7, v15
	v_cmp_lt_u32_e64 s[10:11], 63, v5
	v_cmp_gt_u32_e64 s[8:9], 64, v5
	v_mov_b32_e32 v16, 0
	s_waitcnt lgkmcnt(0)
	s_barrier
	buffer_wbinvl1_vol
	s_and_saveexec_b64 s[0:1], s[8:9]
	s_cbranch_execz .LBB5_128
; %bb.119:
	v_lshlrev_b32_e32 v18, 2, v13
	v_lshlrev_b32_e32 v17, 8, v14
	ds_read_b32 v16, v18 offset:14528
	ds_read_b32 v19, v17 offset:14560
	v_cmp_gt_u32_e64 s[14:15], 56, v5
	s_waitcnt lgkmcnt(0)
	v_fma_f32 v16, v16, v19, 0
	s_and_saveexec_b64 s[16:17], s[14:15]
	s_cbranch_execnz .LBB5_1208
; %bb.120:
	s_or_b64 exec, exec, s[16:17]
	v_cmp_gt_u32_e64 s[14:15], 48, v5
	s_and_saveexec_b64 s[16:17], s[14:15]
	s_cbranch_execnz .LBB5_1209
.LBB5_121:
	s_or_b64 exec, exec, s[16:17]
	v_cmp_gt_u32_e64 s[14:15], 40, v5
	s_and_saveexec_b64 s[16:17], s[14:15]
	s_cbranch_execnz .LBB5_1210
.LBB5_122:
	s_or_b64 exec, exec, s[16:17]
	v_cmp_gt_u32_e64 s[14:15], 32, v5
	s_and_saveexec_b64 s[16:17], s[14:15]
	s_cbranch_execnz .LBB5_1211
.LBB5_123:
	s_or_b64 exec, exec, s[16:17]
	v_cmp_gt_u32_e64 s[14:15], 24, v5
	s_and_saveexec_b64 s[16:17], s[14:15]
	s_cbranch_execnz .LBB5_1212
.LBB5_124:
	s_or_b64 exec, exec, s[16:17]
	s_and_saveexec_b64 s[14:15], s[18:19]
	s_cbranch_execnz .LBB5_1213
.LBB5_125:
	s_or_b64 exec, exec, s[14:15]
	v_cmp_gt_u32_e64 s[14:15], 8, v5
	s_and_saveexec_b64 s[16:17], s[14:15]
	s_cbranch_execz .LBB5_127
.LBB5_126:
	v_lshlrev_b32_e32 v17, 2, v0
	v_mov_b32_e32 v18, 0
	ds_read_b32 v17, v17 offset:16320
	ds_read_b32 v18, v18 offset:16380
	s_waitcnt lgkmcnt(0)
	v_fmac_f32_e32 v16, v17, v18
.LBB5_127:
	s_or_b64 exec, exec, s[16:17]
.LBB5_128:
	v_writelane_b32 v27, s56, 2
	v_writelane_b32 v27, s57, 3
	s_or_b64 exec, exec, s[0:1]
	v_mov_b32_e32 v17, 0x4000
	v_cmp_eq_u32_e64 s[14:15], 7, v13
	s_xor_b64 s[0:1], s[10:11], -1
	v_lshl_add_u32 v15, v15, 2, v17
	s_and_b64 s[56:57], s[14:15], s[0:1]
	s_and_saveexec_b64 s[10:11], s[56:57]
	s_cbranch_execz .LBB5_130
; %bb.129:
	v_mov_b32_e32 v17, 0
	ds_read_b32 v17, v17 offset:14300
	s_waitcnt lgkmcnt(0)
	v_mul_f32_e32 v16, v16, v17
	v_xor_b32_e32 v17, 0x80000000, v16
	ds_write_b32 v15, v17
.LBB5_130:
	s_or_b64 exec, exec, s[10:11]
	v_cmp_ne_u32_e64 s[10:11], 7, v13
	s_and_b64 s[58:59], s[10:11], s[0:1]
	s_waitcnt lgkmcnt(0)
	s_barrier
	s_and_saveexec_b64 s[10:11], s[58:59]
	s_cbranch_execz .LBB5_132
; %bb.131:
	v_lshlrev_b32_e32 v17, 2, v13
	ds_read_b32 v17, v17 offset:14272
	ds_read_b32 v18, v15
	s_waitcnt lgkmcnt(0)
	v_fma_f32 v16, -v17, v18, v16
.LBB5_132:
	s_or_b64 exec, exec, s[10:11]
	v_cmp_eq_u32_e64 s[10:11], 6, v13
	s_and_b64 s[60:61], s[10:11], s[0:1]
	s_barrier
	s_and_saveexec_b64 s[10:11], s[60:61]
	s_cbranch_execz .LBB5_134
; %bb.133:
	v_mov_b32_e32 v17, 0
	ds_read_b32 v17, v17 offset:14040
	s_waitcnt lgkmcnt(0)
	v_mul_f32_e32 v16, v16, v17
	v_xor_b32_e32 v17, 0x80000000, v16
	ds_write_b32 v15, v17
.LBB5_134:
	s_or_b64 exec, exec, s[10:11]
	v_cmp_gt_u32_e64 s[10:11], 6, v13
	s_and_b64 s[62:63], s[10:11], s[0:1]
	s_waitcnt lgkmcnt(0)
	s_barrier
	s_and_saveexec_b64 s[10:11], s[62:63]
	s_cbranch_execz .LBB5_136
; %bb.135:
	v_lshlrev_b32_e32 v17, 2, v13
	ds_read_b32 v17, v17 offset:14016
	ds_read_b32 v18, v15
	s_waitcnt lgkmcnt(0)
	v_fma_f32 v16, -v17, v18, v16
.LBB5_136:
	s_or_b64 exec, exec, s[10:11]
	v_cmp_eq_u32_e64 s[10:11], 5, v13
	s_and_b64 s[64:65], s[10:11], s[0:1]
	s_barrier
	s_and_saveexec_b64 s[10:11], s[64:65]
	s_cbranch_execz .LBB5_138
; %bb.137:
	v_mov_b32_e32 v17, 0
	ds_read_b32 v17, v17 offset:13780
	s_waitcnt lgkmcnt(0)
	v_mul_f32_e32 v16, v16, v17
	v_xor_b32_e32 v17, 0x80000000, v16
	ds_write_b32 v15, v17
.LBB5_138:
	s_or_b64 exec, exec, s[10:11]
	v_cmp_gt_u32_e64 s[10:11], 5, v13
	;; [unrolled: 28-line block ×5, first 2 shown]
	s_and_b64 s[80:81], s[10:11], s[0:1]
	s_waitcnt lgkmcnt(0)
	s_barrier
	s_and_saveexec_b64 s[10:11], s[80:81]
	s_cbranch_execz .LBB5_152
; %bb.151:
	v_lshlrev_b32_e32 v17, 2, v13
	ds_read_b32 v17, v17 offset:12992
	ds_read_b32 v18, v15
	s_waitcnt lgkmcnt(0)
	v_fma_f32 v16, -v17, v18, v16
.LBB5_152:
	s_or_b64 exec, exec, s[10:11]
	v_cmp_eq_u32_e64 s[10:11], 1, v13
	s_and_b64 s[82:83], s[10:11], s[0:1]
	s_barrier
	s_and_saveexec_b64 s[10:11], s[82:83]
	s_cbranch_execz .LBB5_154
; %bb.153:
	v_mov_b32_e32 v17, 0
	ds_read_b32 v17, v17 offset:12740
	s_waitcnt lgkmcnt(0)
	v_mul_f32_e32 v16, v16, v17
	v_xor_b32_e32 v17, 0x80000000, v16
	ds_write_b32 v15, v17
.LBB5_154:
	s_or_b64 exec, exec, s[10:11]
	v_cmp_eq_u32_e64 s[10:11], 0, v13
	s_and_b64 s[66:67], s[10:11], s[0:1]
	s_waitcnt lgkmcnt(0)
	s_barrier
	s_and_saveexec_b64 s[0:1], s[66:67]
	s_cbranch_execz .LBB5_156
; %bb.155:
	v_mov_b32_e32 v17, 0
	ds_read_b32 v17, v17 offset:12736
	ds_read_b32 v18, v15
	s_waitcnt lgkmcnt(0)
	v_fma_f32 v16, -v17, v18, v16
.LBB5_156:
	s_or_b64 exec, exec, s[0:1]
	s_barrier
	s_and_saveexec_b64 s[0:1], s[66:67]
	s_cbranch_execz .LBB5_158
; %bb.157:
	v_mov_b32_e32 v17, 0
	ds_read_b32 v17, v17 offset:12480
	s_waitcnt lgkmcnt(0)
	v_mul_f32_e32 v16, v16, v17
	v_xor_b32_e32 v17, 0x80000000, v16
	ds_write_b32 v15, v17
.LBB5_158:
	s_or_b64 exec, exec, s[0:1]
	s_waitcnt lgkmcnt(0)
	s_barrier
	s_barrier
	s_and_saveexec_b64 s[0:1], s[8:9]
; %bb.159:
	v_lshlrev_b32_e32 v17, 2, v13
	v_lshl_or_b32 v17, v14, 8, v17
	ds_write_b32 v17, v16 offset:14528
; %bb.160:
	s_or_b64 exec, exec, s[0:1]
	v_cmp_gt_u32_e64 s[10:11], 8, v0
	s_and_b64 s[84:85], s[12:13], s[10:11]
	s_waitcnt lgkmcnt(0)
	s_barrier
	s_barrier
	s_and_saveexec_b64 s[0:1], s[84:85]
	s_cbranch_execz .LBB5_162
; %bb.161:
	v_lshlrev_b32_e32 v16, 8, v0
	ds_read_b32 v17, v16 offset:14528
	s_movk_i32 s10, 0xff04
	v_mad_i32_i24 v18, v0, s10, v16
	s_waitcnt lgkmcnt(0)
	ds_write_b32 v18, v17 offset:12512
	ds_read_b32 v17, v16 offset:14532
	s_waitcnt lgkmcnt(0)
	ds_write_b32 v18, v17 offset:12768
	ds_read_b32 v17, v16 offset:14536
	;; [unrolled: 3-line block ×7, first 2 shown]
	s_waitcnt lgkmcnt(0)
	ds_write_b32 v18, v16 offset:14304
.LBB5_162:
	s_or_b64 exec, exec, s[0:1]
	s_waitcnt lgkmcnt(0)
	s_barrier
	s_and_saveexec_b64 s[0:1], vcc
	s_cbranch_execz .LBB5_164
; %bb.163:
	v_mov_b32_e32 v18, 0
	ds_read_b64 v[16:17], v18 offset:14296
	ds_read_b32 v18, v18 offset:14040
	s_movk_i32 s10, 0x3400
	s_waitcnt lgkmcnt(0)
	v_mul_f32_e32 v17, v18, v17
	v_mul_f32_e32 v16, v16, v17
	v_add_u32_e64 v17, s10, 0
	ds_write2_b32 v17, v16, v16 offset0:183 offset1:246
.LBB5_164:
	s_or_b64 exec, exec, s[0:1]
	v_mov_b32_e32 v16, 0
	s_waitcnt lgkmcnt(0)
	s_barrier
	buffer_wbinvl1_vol
	s_and_saveexec_b64 s[0:1], s[2:3]
	s_cbranch_execz .LBB5_168
; %bb.165:
	v_lshlrev_b32_e32 v16, 8, v3
	v_lshlrev_b32_e32 v17, 2, v1
	ds_read_b32 v18, v17 offset:14032
	ds_read_b32 v16, v16 offset:14040
	v_mov_b32_e32 v17, 0
	v_cmp_gt_u32_e64 s[10:11], 2, v5
	s_waitcnt lgkmcnt(0)
	v_fma_f32 v16, v18, v16, 0
	s_and_saveexec_b64 s[14:15], s[10:11]
	s_cbranch_execz .LBB5_167
; %bb.166:
	v_lshlrev_b32_e32 v18, 2, v0
	ds_read_b32 v18, v18 offset:14288
	ds_read_b32 v17, v17 offset:14300
	s_waitcnt lgkmcnt(0)
	v_fmac_f32_e32 v16, v18, v17
.LBB5_167:
	s_or_b64 exec, exec, s[14:15]
.LBB5_168:
	s_or_b64 exec, exec, s[0:1]
	s_and_saveexec_b64 s[0:1], s[28:29]
	s_cbranch_execz .LBB5_170
; %bb.169:
	v_mov_b32_e32 v17, 0
	ds_read_b32 v17, v17 offset:13780
	s_waitcnt lgkmcnt(0)
	v_mul_f32_e32 v16, v16, v17
	v_xor_b32_e32 v17, 0x80000000, v16
	ds_write_b32 v4, v17
.LBB5_170:
	s_or_b64 exec, exec, s[0:1]
	s_waitcnt lgkmcnt(0)
	s_barrier
	s_and_saveexec_b64 s[0:1], s[26:27]
	s_cbranch_execz .LBB5_172
; %bb.171:
	v_mov_b32_e32 v17, 0
	ds_read_b32 v17, v17 offset:13776
	ds_read_b32 v18, v4
	s_waitcnt lgkmcnt(0)
	v_fma_f32 v16, -v17, v18, v16
.LBB5_172:
	s_or_b64 exec, exec, s[0:1]
	s_barrier
	s_and_saveexec_b64 s[0:1], s[26:27]
	s_cbranch_execz .LBB5_174
; %bb.173:
	v_mov_b32_e32 v17, 0
	ds_read_b32 v17, v17 offset:13520
	s_waitcnt lgkmcnt(0)
	v_mul_f32_e32 v16, v16, v17
	v_xor_b32_e32 v17, 0x80000000, v16
	ds_write_b32 v4, v17
.LBB5_174:
	s_or_b64 exec, exec, s[0:1]
	s_waitcnt lgkmcnt(0)
	s_barrier
	s_barrier
	s_and_saveexec_b64 s[0:1], s[2:3]
; %bb.175:
	v_lshlrev_b32_e32 v17, 2, v1
	v_lshl_or_b32 v17, v3, 8, v17
	ds_write_b32 v17, v16 offset:14032
; %bb.176:
	s_or_b64 exec, exec, s[0:1]
	s_waitcnt lgkmcnt(0)
	s_barrier
	s_barrier
	s_and_saveexec_b64 s[0:1], s[30:31]
	s_cbranch_execz .LBB5_178
; %bb.177:
	v_lshlrev_b32_e32 v16, 2, v0
	s_movk_i32 s10, 0xfc
	v_mad_u32_u24 v17, v0, s10, v16
	ds_read_b32 v18, v17 offset:14032
	s_waitcnt lgkmcnt(0)
	ds_write_b32 v16, v18 offset:13528
	ds_read_b32 v17, v17 offset:14036
	s_waitcnt lgkmcnt(0)
	ds_write_b32 v16, v17 offset:13784
.LBB5_178:
	s_or_b64 exec, exec, s[0:1]
	s_waitcnt lgkmcnt(0)
	s_barrier
	s_and_saveexec_b64 s[0:1], vcc
	s_cbranch_execz .LBB5_180
; %bb.179:
	v_mov_b32_e32 v18, 0
	ds_read_b64 v[16:17], v18 offset:13776
	ds_read_b32 v18, v18 offset:13520
	s_movk_i32 s10, 0x3400
	s_waitcnt lgkmcnt(0)
	v_mul_f32_e32 v17, v18, v17
	v_mul_f32_e32 v16, v16, v17
	v_add_u32_e64 v17, s10, 0
	ds_write2_b32 v17, v16, v16 offset0:53 offset1:116
.LBB5_180:
	s_or_b64 exec, exec, s[0:1]
	v_mov_b32_e32 v16, 0
	s_waitcnt lgkmcnt(0)
	s_barrier
	buffer_wbinvl1_vol
	s_and_saveexec_b64 s[0:1], s[18:19]
	s_cbranch_execz .LBB5_186
; %bb.181:
	v_lshlrev_b32_e32 v18, 2, v6
	v_lshlrev_b32_e32 v17, 8, v11
	ds_read_b32 v16, v18 offset:13504
	ds_read_b32 v19, v17 offset:13520
	v_cmp_gt_u32_e64 s[10:11], 12, v5
	s_waitcnt lgkmcnt(0)
	v_fma_f32 v16, v16, v19, 0
	s_and_saveexec_b64 s[14:15], s[10:11]
	s_cbranch_execnz .LBB5_1214
; %bb.182:
	s_or_b64 exec, exec, s[14:15]
	v_cmp_gt_u32_e64 s[10:11], 8, v5
	s_and_saveexec_b64 s[14:15], s[10:11]
	s_cbranch_execnz .LBB5_1215
.LBB5_183:
	s_or_b64 exec, exec, s[14:15]
	v_cmp_gt_u32_e64 s[10:11], 4, v5
	s_and_saveexec_b64 s[14:15], s[10:11]
	s_cbranch_execz .LBB5_185
.LBB5_184:
	v_lshlrev_b32_e32 v17, 2, v0
	v_mov_b32_e32 v18, 0
	ds_read_b32 v17, v17 offset:14272
	ds_read_b32 v18, v18 offset:14300
	s_waitcnt lgkmcnt(0)
	v_fmac_f32_e32 v16, v17, v18
.LBB5_185:
	s_or_b64 exec, exec, s[14:15]
.LBB5_186:
	s_or_b64 exec, exec, s[0:1]
	s_and_saveexec_b64 s[0:1], s[36:37]
	s_cbranch_execz .LBB5_188
; %bb.187:
	v_mov_b32_e32 v17, 0
	ds_read_b32 v17, v17 offset:13260
	s_waitcnt lgkmcnt(0)
	v_mul_f32_e32 v16, v16, v17
	v_xor_b32_e32 v17, 0x80000000, v16
	ds_write_b32 v12, v17
.LBB5_188:
	s_or_b64 exec, exec, s[0:1]
	s_waitcnt lgkmcnt(0)
	s_barrier
	s_and_saveexec_b64 s[0:1], s[38:39]
	s_cbranch_execz .LBB5_190
; %bb.189:
	v_lshlrev_b32_e32 v17, 2, v6
	ds_read_b32 v17, v17 offset:13248
	ds_read_b32 v18, v12
	s_waitcnt lgkmcnt(0)
	v_fma_f32 v16, -v17, v18, v16
.LBB5_190:
	s_or_b64 exec, exec, s[0:1]
	s_barrier
	s_and_saveexec_b64 s[0:1], s[42:43]
	s_cbranch_execz .LBB5_192
; %bb.191:
	v_mov_b32_e32 v17, 0
	ds_read_b32 v17, v17 offset:13000
	s_waitcnt lgkmcnt(0)
	v_mul_f32_e32 v16, v16, v17
	v_xor_b32_e32 v17, 0x80000000, v16
	ds_write_b32 v12, v17
.LBB5_192:
	s_or_b64 exec, exec, s[0:1]
	s_waitcnt lgkmcnt(0)
	s_barrier
	s_and_saveexec_b64 s[0:1], s[44:45]
	s_cbranch_execz .LBB5_194
; %bb.193:
	v_lshlrev_b32_e32 v17, 2, v6
	ds_read_b32 v17, v17 offset:12992
	ds_read_b32 v18, v12
	s_waitcnt lgkmcnt(0)
	v_fma_f32 v16, -v17, v18, v16
.LBB5_194:
	s_or_b64 exec, exec, s[0:1]
	s_barrier
	s_and_saveexec_b64 s[0:1], s[52:53]
	s_cbranch_execz .LBB5_196
; %bb.195:
	v_mov_b32_e32 v17, 0
	ds_read_b32 v17, v17 offset:12740
	s_waitcnt lgkmcnt(0)
	v_mul_f32_e32 v16, v16, v17
	v_xor_b32_e32 v17, 0x80000000, v16
	ds_write_b32 v12, v17
.LBB5_196:
	s_or_b64 exec, exec, s[0:1]
	s_waitcnt lgkmcnt(0)
	s_barrier
	s_and_saveexec_b64 s[0:1], s[34:35]
	s_cbranch_execz .LBB5_198
; %bb.197:
	v_mov_b32_e32 v17, 0
	ds_read_b32 v17, v17 offset:12736
	ds_read_b32 v18, v12
	s_waitcnt lgkmcnt(0)
	v_fma_f32 v16, -v17, v18, v16
.LBB5_198:
	s_or_b64 exec, exec, s[0:1]
	s_barrier
	s_and_saveexec_b64 s[0:1], s[34:35]
	s_cbranch_execz .LBB5_200
; %bb.199:
	v_mov_b32_e32 v17, 0
	ds_read_b32 v17, v17 offset:12480
	s_waitcnt lgkmcnt(0)
	v_mul_f32_e32 v16, v16, v17
	v_xor_b32_e32 v17, 0x80000000, v16
	ds_write_b32 v12, v17
.LBB5_200:
	s_or_b64 exec, exec, s[0:1]
	s_waitcnt lgkmcnt(0)
	s_barrier
	s_barrier
	s_and_saveexec_b64 s[0:1], s[18:19]
; %bb.201:
	v_lshlrev_b32_e32 v17, 2, v6
	v_lshl_or_b32 v17, v11, 8, v17
	ds_write_b32 v17, v16 offset:13504
; %bb.202:
	s_or_b64 exec, exec, s[0:1]
	s_waitcnt lgkmcnt(0)
	s_barrier
	s_barrier
	s_and_saveexec_b64 s[0:1], s[54:55]
	s_cbranch_execz .LBB5_204
; %bb.203:
	v_lshlrev_b32_e32 v16, 8, v0
	ds_read_b32 v17, v16 offset:13504
	s_movk_i32 s10, 0xff04
	v_mad_i32_i24 v18, v0, s10, v16
	s_waitcnt lgkmcnt(0)
	ds_write_b32 v18, v17 offset:12496
	ds_read_b32 v17, v16 offset:13508
	s_waitcnt lgkmcnt(0)
	ds_write_b32 v18, v17 offset:12752
	ds_read_b32 v17, v16 offset:13512
	;; [unrolled: 3-line block ×3, first 2 shown]
	s_waitcnt lgkmcnt(0)
	ds_write_b32 v18, v16 offset:13264
.LBB5_204:
	s_or_b64 exec, exec, s[0:1]
	s_waitcnt lgkmcnt(0)
	s_barrier
	s_and_saveexec_b64 s[0:1], vcc
	s_cbranch_execz .LBB5_206
; %bb.205:
	v_mov_b32_e32 v18, 0
	ds_read_b64 v[16:17], v18 offset:13256
	ds_read_b32 v18, v18 offset:13000
	s_movk_i32 s10, 0x3000
	s_waitcnt lgkmcnt(0)
	v_mul_f32_e32 v17, v18, v17
	v_mul_f32_e32 v16, v16, v17
	v_add_u32_e64 v17, s10, 0
	ds_write2_b32 v17, v16, v16 offset0:179 offset1:242
.LBB5_206:
	s_or_b64 exec, exec, s[0:1]
	v_mov_b32_e32 v16, 0
	s_waitcnt lgkmcnt(0)
	s_barrier
	buffer_wbinvl1_vol
	s_and_saveexec_b64 s[0:1], s[2:3]
	s_cbranch_execz .LBB5_210
; %bb.207:
	v_lshlrev_b32_e32 v16, 8, v3
	v_lshlrev_b32_e32 v17, 2, v1
	ds_read_b32 v18, v17 offset:12992
	ds_read_b32 v16, v16 offset:13000
	v_mov_b32_e32 v17, 0
	v_cmp_gt_u32_e64 s[10:11], 2, v5
	s_waitcnt lgkmcnt(0)
	v_fma_f32 v16, v18, v16, 0
	s_and_saveexec_b64 s[14:15], s[10:11]
	s_cbranch_execz .LBB5_209
; %bb.208:
	v_lshlrev_b32_e32 v18, 2, v0
	ds_read_b32 v18, v18 offset:13248
	ds_read_b32 v17, v17 offset:13260
	s_waitcnt lgkmcnt(0)
	v_fmac_f32_e32 v16, v18, v17
.LBB5_209:
	s_or_b64 exec, exec, s[14:15]
.LBB5_210:
	s_or_b64 exec, exec, s[0:1]
	s_and_saveexec_b64 s[0:1], s[28:29]
	s_cbranch_execz .LBB5_212
; %bb.211:
	v_mov_b32_e32 v17, 0
	ds_read_b32 v17, v17 offset:12740
	s_waitcnt lgkmcnt(0)
	v_mul_f32_e32 v16, v16, v17
	v_xor_b32_e32 v17, 0x80000000, v16
	ds_write_b32 v4, v17
.LBB5_212:
	s_or_b64 exec, exec, s[0:1]
	s_waitcnt lgkmcnt(0)
	s_barrier
	s_and_saveexec_b64 s[0:1], s[26:27]
	s_cbranch_execz .LBB5_214
; %bb.213:
	v_mov_b32_e32 v17, 0
	ds_read_b32 v17, v17 offset:12736
	ds_read_b32 v18, v4
	s_waitcnt lgkmcnt(0)
	v_fma_f32 v16, -v17, v18, v16
.LBB5_214:
	s_or_b64 exec, exec, s[0:1]
	s_barrier
	s_and_saveexec_b64 s[0:1], s[26:27]
	s_cbranch_execz .LBB5_216
; %bb.215:
	v_mov_b32_e32 v17, 0
	ds_read_b32 v17, v17 offset:12480
	s_waitcnt lgkmcnt(0)
	v_mul_f32_e32 v16, v16, v17
	v_xor_b32_e32 v17, 0x80000000, v16
	ds_write_b32 v4, v17
.LBB5_216:
	s_or_b64 exec, exec, s[0:1]
	s_waitcnt lgkmcnt(0)
	s_barrier
	s_barrier
	s_and_saveexec_b64 s[0:1], s[2:3]
; %bb.217:
	v_lshlrev_b32_e32 v17, 2, v1
	v_lshl_or_b32 v17, v3, 8, v17
	ds_write_b32 v17, v16 offset:12992
; %bb.218:
	s_or_b64 exec, exec, s[0:1]
	s_waitcnt lgkmcnt(0)
	s_barrier
	s_barrier
	s_and_saveexec_b64 s[0:1], s[30:31]
	s_cbranch_execz .LBB5_220
; %bb.219:
	v_lshlrev_b32_e32 v16, 2, v0
	s_movk_i32 s10, 0xfc
	v_mad_u32_u24 v17, v0, s10, v16
	ds_read_b32 v18, v17 offset:12992
	s_waitcnt lgkmcnt(0)
	ds_write_b32 v16, v18 offset:12488
	ds_read_b32 v17, v17 offset:12996
	s_waitcnt lgkmcnt(0)
	ds_write_b32 v16, v17 offset:12744
.LBB5_220:
	s_or_b64 exec, exec, s[0:1]
	s_waitcnt lgkmcnt(0)
	s_barrier
	s_and_saveexec_b64 s[0:1], vcc
	s_cbranch_execz .LBB5_222
; %bb.221:
	v_mov_b32_e32 v18, 0
	ds_read_b64 v[16:17], v18 offset:12736
	ds_read_b32 v18, v18 offset:12480
	s_movk_i32 s10, 0x3000
	s_waitcnt lgkmcnt(0)
	v_mul_f32_e32 v17, v18, v17
	v_mul_f32_e32 v16, v16, v17
	v_add_u32_e64 v17, s10, 0
	ds_write2_b32 v17, v16, v16 offset0:49 offset1:112
.LBB5_222:
	s_or_b64 exec, exec, s[0:1]
	s_movk_i32 s0, 0xff
	v_lshrrev_b32_e32 v18, 4, v5
	v_cmp_lt_u32_e64 s[14:15], s0, v5
	s_movk_i32 s0, 0x100
	v_and_b32_e32 v16, 15, v0
	v_sub_u32_e32 v17, 15, v18
	v_cmp_gt_u32_e64 s[10:11], s0, v5
	v_mov_b32_e32 v19, 0
	s_waitcnt lgkmcnt(0)
	s_barrier
	buffer_wbinvl1_vol
	s_and_saveexec_b64 s[0:1], s[10:11]
	s_cbranch_execz .LBB5_250
; %bb.223:
	v_lshlrev_b32_e32 v21, 2, v16
	v_lshlrev_b32_e32 v20, 8, v17
	ds_read_b32 v19, v21 offset:12416
	ds_read_b32 v22, v20 offset:12480
	s_movk_i32 s16, 0xf0
	v_cmp_gt_u32_e64 s[16:17], s16, v5
	s_waitcnt lgkmcnt(0)
	v_fma_f32 v19, v19, v22, 0
	s_and_saveexec_b64 s[20:21], s[16:17]
	s_cbranch_execz .LBB5_225
; %bb.224:
	ds_read_b32 v22, v21 offset:12672
	ds_read_b32 v23, v20 offset:12484
	s_waitcnt lgkmcnt(0)
	v_fmac_f32_e32 v19, v22, v23
.LBB5_225:
	s_or_b64 exec, exec, s[20:21]
	s_movk_i32 s16, 0xe0
	v_cmp_gt_u32_e64 s[16:17], s16, v5
	s_and_saveexec_b64 s[20:21], s[16:17]
	s_cbranch_execz .LBB5_227
; %bb.226:
	ds_read_b32 v22, v21 offset:12928
	ds_read_b32 v23, v20 offset:12488
	s_waitcnt lgkmcnt(0)
	v_fmac_f32_e32 v19, v22, v23
.LBB5_227:
	s_or_b64 exec, exec, s[20:21]
	s_movk_i32 s16, 0xd0
	v_cmp_gt_u32_e64 s[16:17], s16, v5
	;; [unrolled: 11-line block ×10, first 2 shown]
	s_and_saveexec_b64 s[20:21], s[16:17]
	s_cbranch_execnz .LBB5_1216
; %bb.244:
	s_or_b64 exec, exec, s[20:21]
	s_and_saveexec_b64 s[16:17], s[8:9]
	s_cbranch_execnz .LBB5_1217
.LBB5_245:
	s_or_b64 exec, exec, s[16:17]
	v_cmp_gt_u32_e64 s[16:17], 48, v5
	s_and_saveexec_b64 s[20:21], s[16:17]
	s_cbranch_execnz .LBB5_1218
.LBB5_246:
	s_or_b64 exec, exec, s[20:21]
	v_cmp_gt_u32_e64 s[16:17], 32, v5
	s_and_saveexec_b64 s[20:21], s[16:17]
	s_cbranch_execnz .LBB5_1219
.LBB5_247:
	s_or_b64 exec, exec, s[20:21]
	v_cmp_gt_u32_e64 s[16:17], 16, v5
	s_and_saveexec_b64 s[20:21], s[16:17]
	s_cbranch_execz .LBB5_249
.LBB5_248:
	v_lshlrev_b32_e32 v20, 2, v0
	v_mov_b32_e32 v21, 0
	ds_read_b32 v20, v20 offset:16256
	ds_read_b32 v21, v21 offset:16380
	s_waitcnt lgkmcnt(0)
	v_fmac_f32_e32 v19, v20, v21
.LBB5_249:
	s_or_b64 exec, exec, s[20:21]
.LBB5_250:
	s_or_b64 exec, exec, s[0:1]
	v_mov_b32_e32 v20, 0x4000
	v_lshl_add_u32 v18, v18, 2, v20
	v_cmp_eq_u32_e64 s[16:17], 15, v16
	s_xor_b64 s[20:21], s[14:15], -1
	s_and_b64 s[14:15], s[16:17], s[20:21]
	s_mov_b64 s[0:1], exec
	v_writelane_b32 v27, s14, 4
	v_writelane_b32 v27, s15, 5
	s_and_b64 s[14:15], s[0:1], s[14:15]
	s_mov_b64 exec, s[14:15]
	s_cbranch_execz .LBB5_252
; %bb.251:
	v_mov_b32_e32 v20, 0
	ds_read_b32 v20, v20 offset:12220
	s_waitcnt lgkmcnt(0)
	v_mul_f32_e32 v19, v19, v20
	v_xor_b32_e32 v20, 0x80000000, v19
	ds_write_b32 v18, v20
.LBB5_252:
	s_or_b64 exec, exec, s[0:1]
	v_cmp_ne_u32_e64 s[14:15], 15, v16
	s_waitcnt lgkmcnt(0)
	s_barrier
	s_and_b64 s[14:15], s[14:15], s[20:21]
	s_mov_b64 s[0:1], exec
	v_writelane_b32 v27, s14, 6
	v_writelane_b32 v27, s15, 7
	s_and_b64 s[14:15], s[0:1], s[14:15]
	s_mov_b64 exec, s[14:15]
	s_cbranch_execz .LBB5_254
; %bb.253:
	v_lshlrev_b32_e32 v20, 2, v16
	ds_read_b32 v20, v20 offset:12160
	ds_read_b32 v21, v18
	s_waitcnt lgkmcnt(0)
	v_fma_f32 v19, -v20, v21, v19
.LBB5_254:
	s_or_b64 exec, exec, s[0:1]
	v_cmp_eq_u32_e64 s[14:15], 14, v16
	s_barrier
	s_and_b64 s[14:15], s[14:15], s[20:21]
	s_mov_b64 s[0:1], exec
	v_writelane_b32 v27, s14, 8
	v_writelane_b32 v27, s15, 9
	s_and_b64 s[14:15], s[0:1], s[14:15]
	s_mov_b64 exec, s[14:15]
	s_cbranch_execz .LBB5_256
; %bb.255:
	v_mov_b32_e32 v20, 0
	ds_read_b32 v20, v20 offset:11960
	s_waitcnt lgkmcnt(0)
	v_mul_f32_e32 v19, v19, v20
	v_xor_b32_e32 v20, 0x80000000, v19
	ds_write_b32 v18, v20
.LBB5_256:
	s_or_b64 exec, exec, s[0:1]
	v_cmp_gt_u32_e64 s[14:15], 14, v16
	s_waitcnt lgkmcnt(0)
	s_barrier
	s_and_b64 s[14:15], s[14:15], s[20:21]
	s_mov_b64 s[0:1], exec
	v_writelane_b32 v27, s14, 10
	v_writelane_b32 v27, s15, 11
	s_and_b64 s[14:15], s[0:1], s[14:15]
	s_mov_b64 exec, s[14:15]
	s_cbranch_execz .LBB5_258
; %bb.257:
	v_lshlrev_b32_e32 v20, 2, v16
	ds_read_b32 v20, v20 offset:11904
	ds_read_b32 v21, v18
	s_waitcnt lgkmcnt(0)
	v_fma_f32 v19, -v20, v21, v19
.LBB5_258:
	s_or_b64 exec, exec, s[0:1]
	v_cmp_eq_u32_e64 s[14:15], 13, v16
	s_barrier
	s_and_b64 s[14:15], s[14:15], s[20:21]
	s_mov_b64 s[0:1], exec
	v_writelane_b32 v27, s14, 12
	v_writelane_b32 v27, s15, 13
	s_and_b64 s[14:15], s[0:1], s[14:15]
	s_mov_b64 exec, s[14:15]
	s_cbranch_execz .LBB5_260
; %bb.259:
	v_mov_b32_e32 v20, 0
	ds_read_b32 v20, v20 offset:11700
	s_waitcnt lgkmcnt(0)
	v_mul_f32_e32 v19, v19, v20
	v_xor_b32_e32 v20, 0x80000000, v19
	ds_write_b32 v18, v20
.LBB5_260:
	s_or_b64 exec, exec, s[0:1]
	v_cmp_gt_u32_e64 s[14:15], 13, v16
	;; [unrolled: 36-line block ×13, first 2 shown]
	s_and_b64 s[0:1], s[14:15], s[20:21]
	s_waitcnt lgkmcnt(0)
	s_barrier
	s_and_saveexec_b64 s[14:15], s[0:1]
	s_cbranch_execz .LBB5_306
; %bb.305:
	v_lshlrev_b32_e32 v20, 2, v16
	ds_read_b32 v20, v20 offset:8832
	ds_read_b32 v21, v18
	s_waitcnt lgkmcnt(0)
	v_fma_f32 v19, -v20, v21, v19
.LBB5_306:
	s_or_b64 exec, exec, s[14:15]
	v_cmp_eq_u32_e64 s[14:15], 1, v16
	s_barrier
	s_and_b64 s[16:17], s[14:15], s[20:21]
	s_mov_b64 s[14:15], exec
	v_writelane_b32 v27, s16, 58
	v_writelane_b32 v27, s17, 59
	s_and_b64 s[16:17], s[14:15], s[16:17]
	s_mov_b64 exec, s[16:17]
	s_cbranch_execz .LBB5_308
; %bb.307:
	v_mov_b32_e32 v20, 0
	ds_read_b32 v20, v20 offset:8580
	s_waitcnt lgkmcnt(0)
	v_mul_f32_e32 v19, v19, v20
	v_xor_b32_e32 v20, 0x80000000, v19
	ds_write_b32 v18, v20
.LBB5_308:
	s_or_b64 exec, exec, s[14:15]
	v_cmp_eq_u32_e64 s[14:15], 0, v16
	s_and_b64 s[92:93], s[14:15], s[20:21]
	s_waitcnt lgkmcnt(0)
	s_barrier
	s_and_saveexec_b64 s[14:15], s[92:93]
	s_cbranch_execz .LBB5_310
; %bb.309:
	v_mov_b32_e32 v20, 0
	ds_read_b32 v20, v20 offset:8576
	ds_read_b32 v21, v18
	s_waitcnt lgkmcnt(0)
	v_fma_f32 v19, -v20, v21, v19
.LBB5_310:
	s_or_b64 exec, exec, s[14:15]
	s_barrier
	s_and_saveexec_b64 s[14:15], s[92:93]
	s_cbranch_execz .LBB5_312
; %bb.311:
	v_mov_b32_e32 v20, 0
	ds_read_b32 v20, v20 offset:8320
	s_waitcnt lgkmcnt(0)
	v_mul_f32_e32 v19, v19, v20
	v_xor_b32_e32 v20, 0x80000000, v19
	ds_write_b32 v18, v20
.LBB5_312:
	s_or_b64 exec, exec, s[14:15]
	s_waitcnt lgkmcnt(0)
	s_barrier
	s_barrier
	s_and_saveexec_b64 s[14:15], s[10:11]
; %bb.313:
	v_lshlrev_b32_e32 v20, 2, v16
	v_lshl_or_b32 v20, v17, 8, v20
	ds_write_b32 v20, v19 offset:12416
; %bb.314:
	s_or_b64 exec, exec, s[14:15]
	v_cmp_gt_u32_e64 s[14:15], 16, v0
	s_waitcnt lgkmcnt(0)
	s_barrier
	s_barrier
	s_and_b64 s[16:17], s[12:13], s[14:15]
	s_mov_b64 s[14:15], exec
	v_writelane_b32 v27, s16, 60
	v_writelane_b32 v27, s17, 61
	s_and_b64 s[16:17], s[14:15], s[16:17]
	s_mov_b64 exec, s[16:17]
	s_cbranch_execz .LBB5_316
; %bb.315:
	v_lshlrev_b32_e32 v19, 8, v0
	ds_read_b32 v20, v19 offset:12416
	s_movk_i32 s16, 0xff04
	v_mad_i32_i24 v21, v0, s16, v19
	s_waitcnt lgkmcnt(0)
	ds_write_b32 v21, v20 offset:8384
	ds_read_b32 v20, v19 offset:12420
	s_waitcnt lgkmcnt(0)
	ds_write_b32 v21, v20 offset:8640
	ds_read_b32 v20, v19 offset:12424
	;; [unrolled: 3-line block ×15, first 2 shown]
	s_waitcnt lgkmcnt(0)
	ds_write_b32 v21, v19 offset:12224
.LBB5_316:
	s_or_b64 exec, exec, s[14:15]
	s_waitcnt lgkmcnt(0)
	s_barrier
	s_and_saveexec_b64 s[14:15], vcc
	s_cbranch_execz .LBB5_318
; %bb.317:
	v_mov_b32_e32 v21, 0
	ds_read_b64 v[19:20], v21 offset:12216
	ds_read_b32 v21, v21 offset:11960
	s_movk_i32 s16, 0x2c00
	s_waitcnt lgkmcnt(0)
	v_mul_f32_e32 v20, v21, v20
	v_mul_f32_e32 v19, v19, v20
	v_add_u32_e64 v20, s16, 0
	ds_write2_b32 v20, v19, v19 offset0:175 offset1:238
.LBB5_318:
	s_or_b64 exec, exec, s[14:15]
	v_mov_b32_e32 v19, 0
	s_waitcnt lgkmcnt(0)
	s_barrier
	buffer_wbinvl1_vol
	s_and_saveexec_b64 s[16:17], s[2:3]
	s_cbranch_execz .LBB5_322
; %bb.319:
	v_lshlrev_b32_e32 v19, 8, v3
	v_lshlrev_b32_e32 v20, 2, v1
	ds_read_b32 v21, v20 offset:11952
	ds_read_b32 v19, v19 offset:11960
	v_mov_b32_e32 v20, 0
	v_cmp_gt_u32_e64 s[14:15], 2, v5
	s_waitcnt lgkmcnt(0)
	v_fma_f32 v19, v21, v19, 0
	s_and_saveexec_b64 s[20:21], s[14:15]
	s_cbranch_execz .LBB5_321
; %bb.320:
	v_lshlrev_b32_e32 v21, 2, v0
	ds_read_b32 v21, v21 offset:12208
	ds_read_b32 v20, v20 offset:12220
	s_waitcnt lgkmcnt(0)
	v_fmac_f32_e32 v19, v21, v20
.LBB5_321:
	s_or_b64 exec, exec, s[20:21]
.LBB5_322:
	s_or_b64 exec, exec, s[16:17]
	s_and_saveexec_b64 s[14:15], s[28:29]
	s_cbranch_execz .LBB5_324
; %bb.323:
	v_mov_b32_e32 v20, 0
	ds_read_b32 v20, v20 offset:11700
	s_waitcnt lgkmcnt(0)
	v_mul_f32_e32 v19, v19, v20
	v_xor_b32_e32 v20, 0x80000000, v19
	ds_write_b32 v4, v20
.LBB5_324:
	s_or_b64 exec, exec, s[14:15]
	s_waitcnt lgkmcnt(0)
	s_barrier
	s_and_saveexec_b64 s[14:15], s[26:27]
	s_cbranch_execz .LBB5_326
; %bb.325:
	v_mov_b32_e32 v20, 0
	ds_read_b32 v20, v20 offset:11696
	ds_read_b32 v21, v4
	s_waitcnt lgkmcnt(0)
	v_fma_f32 v19, -v20, v21, v19
.LBB5_326:
	s_or_b64 exec, exec, s[14:15]
	s_barrier
	s_and_saveexec_b64 s[14:15], s[26:27]
	s_cbranch_execz .LBB5_328
; %bb.327:
	v_mov_b32_e32 v20, 0
	ds_read_b32 v20, v20 offset:11440
	s_waitcnt lgkmcnt(0)
	v_mul_f32_e32 v19, v19, v20
	v_xor_b32_e32 v20, 0x80000000, v19
	ds_write_b32 v4, v20
.LBB5_328:
	s_or_b64 exec, exec, s[14:15]
	s_waitcnt lgkmcnt(0)
	s_barrier
	s_barrier
	s_and_saveexec_b64 s[14:15], s[2:3]
; %bb.329:
	v_lshlrev_b32_e32 v20, 2, v1
	v_lshl_or_b32 v20, v3, 8, v20
	ds_write_b32 v20, v19 offset:11952
; %bb.330:
	s_or_b64 exec, exec, s[14:15]
	s_waitcnt lgkmcnt(0)
	s_barrier
	s_barrier
	s_and_saveexec_b64 s[14:15], s[30:31]
	s_cbranch_execz .LBB5_332
; %bb.331:
	v_lshlrev_b32_e32 v19, 2, v0
	s_movk_i32 s16, 0xfc
	v_mad_u32_u24 v20, v0, s16, v19
	ds_read_b32 v21, v20 offset:11952
	s_waitcnt lgkmcnt(0)
	ds_write_b32 v19, v21 offset:11448
	ds_read_b32 v20, v20 offset:11956
	s_waitcnt lgkmcnt(0)
	ds_write_b32 v19, v20 offset:11704
.LBB5_332:
	s_or_b64 exec, exec, s[14:15]
	s_waitcnt lgkmcnt(0)
	s_barrier
	s_and_saveexec_b64 s[14:15], vcc
	s_cbranch_execz .LBB5_334
; %bb.333:
	v_mov_b32_e32 v21, 0
	ds_read_b64 v[19:20], v21 offset:11696
	ds_read_b32 v21, v21 offset:11440
	s_movk_i32 s16, 0x2c00
	s_waitcnt lgkmcnt(0)
	v_mul_f32_e32 v20, v21, v20
	v_mul_f32_e32 v19, v19, v20
	v_add_u32_e64 v20, s16, 0
	ds_write2_b32 v20, v19, v19 offset0:45 offset1:108
.LBB5_334:
	s_or_b64 exec, exec, s[14:15]
	v_mov_b32_e32 v19, 0
	s_waitcnt lgkmcnt(0)
	s_barrier
	buffer_wbinvl1_vol
	s_and_saveexec_b64 s[16:17], s[18:19]
	s_cbranch_execz .LBB5_340
; %bb.335:
	v_lshlrev_b32_e32 v21, 2, v6
	v_lshlrev_b32_e32 v20, 8, v11
	ds_read_b32 v19, v21 offset:11424
	ds_read_b32 v22, v20 offset:11440
	v_cmp_gt_u32_e64 s[14:15], 12, v5
	s_waitcnt lgkmcnt(0)
	v_fma_f32 v19, v19, v22, 0
	s_and_saveexec_b64 s[20:21], s[14:15]
	s_cbranch_execnz .LBB5_1220
; %bb.336:
	s_or_b64 exec, exec, s[20:21]
	v_cmp_gt_u32_e64 s[14:15], 8, v5
	s_and_saveexec_b64 s[20:21], s[14:15]
	s_cbranch_execnz .LBB5_1221
.LBB5_337:
	s_or_b64 exec, exec, s[20:21]
	v_cmp_gt_u32_e64 s[14:15], 4, v5
	s_and_saveexec_b64 s[20:21], s[14:15]
	s_cbranch_execz .LBB5_339
.LBB5_338:
	v_lshlrev_b32_e32 v20, 2, v0
	v_mov_b32_e32 v21, 0
	ds_read_b32 v20, v20 offset:12192
	ds_read_b32 v21, v21 offset:12220
	s_waitcnt lgkmcnt(0)
	v_fmac_f32_e32 v19, v20, v21
.LBB5_339:
	s_or_b64 exec, exec, s[20:21]
.LBB5_340:
	s_or_b64 exec, exec, s[16:17]
	s_and_saveexec_b64 s[14:15], s[36:37]
	s_cbranch_execz .LBB5_342
; %bb.341:
	v_mov_b32_e32 v20, 0
	ds_read_b32 v20, v20 offset:11180
	s_waitcnt lgkmcnt(0)
	v_mul_f32_e32 v19, v19, v20
	v_xor_b32_e32 v20, 0x80000000, v19
	ds_write_b32 v12, v20
.LBB5_342:
	s_or_b64 exec, exec, s[14:15]
	s_waitcnt lgkmcnt(0)
	s_barrier
	s_and_saveexec_b64 s[14:15], s[38:39]
	s_cbranch_execz .LBB5_344
; %bb.343:
	v_lshlrev_b32_e32 v20, 2, v6
	ds_read_b32 v20, v20 offset:11168
	ds_read_b32 v21, v12
	s_waitcnt lgkmcnt(0)
	v_fma_f32 v19, -v20, v21, v19
.LBB5_344:
	s_or_b64 exec, exec, s[14:15]
	s_barrier
	s_and_saveexec_b64 s[14:15], s[42:43]
	s_cbranch_execz .LBB5_346
; %bb.345:
	v_mov_b32_e32 v20, 0
	ds_read_b32 v20, v20 offset:10920
	s_waitcnt lgkmcnt(0)
	v_mul_f32_e32 v19, v19, v20
	v_xor_b32_e32 v20, 0x80000000, v19
	ds_write_b32 v12, v20
.LBB5_346:
	s_or_b64 exec, exec, s[14:15]
	s_waitcnt lgkmcnt(0)
	s_barrier
	s_and_saveexec_b64 s[14:15], s[44:45]
	s_cbranch_execz .LBB5_348
; %bb.347:
	v_lshlrev_b32_e32 v20, 2, v6
	ds_read_b32 v20, v20 offset:10912
	ds_read_b32 v21, v12
	s_waitcnt lgkmcnt(0)
	v_fma_f32 v19, -v20, v21, v19
.LBB5_348:
	s_or_b64 exec, exec, s[14:15]
	s_barrier
	s_and_saveexec_b64 s[14:15], s[52:53]
	s_cbranch_execz .LBB5_350
; %bb.349:
	v_mov_b32_e32 v20, 0
	ds_read_b32 v20, v20 offset:10660
	s_waitcnt lgkmcnt(0)
	v_mul_f32_e32 v19, v19, v20
	v_xor_b32_e32 v20, 0x80000000, v19
	ds_write_b32 v12, v20
.LBB5_350:
	s_or_b64 exec, exec, s[14:15]
	s_waitcnt lgkmcnt(0)
	s_barrier
	s_and_saveexec_b64 s[14:15], s[34:35]
	s_cbranch_execz .LBB5_352
; %bb.351:
	v_mov_b32_e32 v20, 0
	ds_read_b32 v20, v20 offset:10656
	ds_read_b32 v21, v12
	s_waitcnt lgkmcnt(0)
	v_fma_f32 v19, -v20, v21, v19
.LBB5_352:
	s_or_b64 exec, exec, s[14:15]
	s_barrier
	s_and_saveexec_b64 s[14:15], s[34:35]
	s_cbranch_execz .LBB5_354
; %bb.353:
	v_mov_b32_e32 v20, 0
	ds_read_b32 v20, v20 offset:10400
	s_waitcnt lgkmcnt(0)
	v_mul_f32_e32 v19, v19, v20
	v_xor_b32_e32 v20, 0x80000000, v19
	ds_write_b32 v12, v20
.LBB5_354:
	s_or_b64 exec, exec, s[14:15]
	s_waitcnt lgkmcnt(0)
	s_barrier
	s_barrier
	s_and_saveexec_b64 s[14:15], s[18:19]
; %bb.355:
	v_lshlrev_b32_e32 v20, 2, v6
	v_lshl_or_b32 v20, v11, 8, v20
	ds_write_b32 v20, v19 offset:11424
; %bb.356:
	s_or_b64 exec, exec, s[14:15]
	s_waitcnt lgkmcnt(0)
	s_barrier
	s_barrier
	s_and_saveexec_b64 s[14:15], s[54:55]
	s_cbranch_execz .LBB5_358
; %bb.357:
	v_lshlrev_b32_e32 v19, 8, v0
	ds_read_b32 v20, v19 offset:11424
	s_movk_i32 s16, 0xff04
	v_mad_i32_i24 v21, v0, s16, v19
	s_waitcnt lgkmcnt(0)
	ds_write_b32 v21, v20 offset:10416
	ds_read_b32 v20, v19 offset:11428
	s_waitcnt lgkmcnt(0)
	ds_write_b32 v21, v20 offset:10672
	ds_read_b32 v20, v19 offset:11432
	;; [unrolled: 3-line block ×3, first 2 shown]
	s_waitcnt lgkmcnt(0)
	ds_write_b32 v21, v19 offset:11184
.LBB5_358:
	s_or_b64 exec, exec, s[14:15]
	s_waitcnt lgkmcnt(0)
	s_barrier
	s_and_saveexec_b64 s[14:15], vcc
	s_cbranch_execz .LBB5_360
; %bb.359:
	v_mov_b32_e32 v21, 0
	ds_read_b64 v[19:20], v21 offset:11176
	ds_read_b32 v21, v21 offset:10920
	s_movk_i32 s16, 0x2800
	s_waitcnt lgkmcnt(0)
	v_mul_f32_e32 v20, v21, v20
	v_mul_f32_e32 v19, v19, v20
	v_add_u32_e64 v20, s16, 0
	ds_write2_b32 v20, v19, v19 offset0:171 offset1:234
.LBB5_360:
	s_or_b64 exec, exec, s[14:15]
	v_mov_b32_e32 v19, 0
	s_waitcnt lgkmcnt(0)
	s_barrier
	buffer_wbinvl1_vol
	s_and_saveexec_b64 s[16:17], s[2:3]
	s_cbranch_execz .LBB5_364
; %bb.361:
	v_lshlrev_b32_e32 v19, 8, v3
	v_lshlrev_b32_e32 v20, 2, v1
	ds_read_b32 v21, v20 offset:10912
	ds_read_b32 v19, v19 offset:10920
	v_mov_b32_e32 v20, 0
	v_cmp_gt_u32_e64 s[14:15], 2, v5
	s_waitcnt lgkmcnt(0)
	v_fma_f32 v19, v21, v19, 0
	s_and_saveexec_b64 s[20:21], s[14:15]
	s_cbranch_execz .LBB5_363
; %bb.362:
	v_lshlrev_b32_e32 v21, 2, v0
	ds_read_b32 v21, v21 offset:11168
	ds_read_b32 v20, v20 offset:11180
	s_waitcnt lgkmcnt(0)
	v_fmac_f32_e32 v19, v21, v20
.LBB5_363:
	s_or_b64 exec, exec, s[20:21]
.LBB5_364:
	s_or_b64 exec, exec, s[16:17]
	s_and_saveexec_b64 s[14:15], s[28:29]
	s_cbranch_execz .LBB5_366
; %bb.365:
	v_mov_b32_e32 v20, 0
	ds_read_b32 v20, v20 offset:10660
	s_waitcnt lgkmcnt(0)
	v_mul_f32_e32 v19, v19, v20
	v_xor_b32_e32 v20, 0x80000000, v19
	ds_write_b32 v4, v20
.LBB5_366:
	s_or_b64 exec, exec, s[14:15]
	s_waitcnt lgkmcnt(0)
	s_barrier
	s_and_saveexec_b64 s[14:15], s[26:27]
	s_cbranch_execz .LBB5_368
; %bb.367:
	v_mov_b32_e32 v20, 0
	ds_read_b32 v20, v20 offset:10656
	ds_read_b32 v21, v4
	s_waitcnt lgkmcnt(0)
	v_fma_f32 v19, -v20, v21, v19
.LBB5_368:
	s_or_b64 exec, exec, s[14:15]
	s_barrier
	s_and_saveexec_b64 s[14:15], s[26:27]
	s_cbranch_execz .LBB5_370
; %bb.369:
	v_mov_b32_e32 v20, 0
	ds_read_b32 v20, v20 offset:10400
	s_waitcnt lgkmcnt(0)
	v_mul_f32_e32 v19, v19, v20
	v_xor_b32_e32 v20, 0x80000000, v19
	ds_write_b32 v4, v20
.LBB5_370:
	s_or_b64 exec, exec, s[14:15]
	s_waitcnt lgkmcnt(0)
	s_barrier
	s_barrier
	s_and_saveexec_b64 s[14:15], s[2:3]
; %bb.371:
	v_lshlrev_b32_e32 v20, 2, v1
	v_lshl_or_b32 v20, v3, 8, v20
	ds_write_b32 v20, v19 offset:10912
; %bb.372:
	s_or_b64 exec, exec, s[14:15]
	s_waitcnt lgkmcnt(0)
	s_barrier
	s_barrier
	s_and_saveexec_b64 s[14:15], s[30:31]
	s_cbranch_execz .LBB5_374
; %bb.373:
	v_lshlrev_b32_e32 v19, 2, v0
	s_movk_i32 s16, 0xfc
	v_mad_u32_u24 v20, v0, s16, v19
	ds_read_b32 v21, v20 offset:10912
	s_waitcnt lgkmcnt(0)
	ds_write_b32 v19, v21 offset:10408
	ds_read_b32 v20, v20 offset:10916
	s_waitcnt lgkmcnt(0)
	ds_write_b32 v19, v20 offset:10664
.LBB5_374:
	s_or_b64 exec, exec, s[14:15]
	s_waitcnt lgkmcnt(0)
	s_barrier
	s_and_saveexec_b64 s[14:15], vcc
	s_cbranch_execz .LBB5_376
; %bb.375:
	v_mov_b32_e32 v21, 0
	ds_read_b64 v[19:20], v21 offset:10656
	ds_read_b32 v21, v21 offset:10400
	s_movk_i32 s16, 0x2800
	s_waitcnt lgkmcnt(0)
	v_mul_f32_e32 v20, v21, v20
	v_mul_f32_e32 v19, v19, v20
	v_add_u32_e64 v20, s16, 0
	ds_write2_b32 v20, v19, v19 offset0:41 offset1:104
.LBB5_376:
	s_or_b64 exec, exec, s[14:15]
	v_mov_b32_e32 v19, 0
	s_waitcnt lgkmcnt(0)
	s_barrier
	buffer_wbinvl1_vol
	s_and_saveexec_b64 s[16:17], s[8:9]
	s_cbranch_execz .LBB5_386
; %bb.377:
	v_lshlrev_b32_e32 v21, 2, v13
	v_lshlrev_b32_e32 v20, 8, v14
	ds_read_b32 v19, v21 offset:10368
	ds_read_b32 v22, v20 offset:10400
	v_cmp_gt_u32_e64 s[14:15], 56, v5
	s_waitcnt lgkmcnt(0)
	v_fma_f32 v19, v19, v22, 0
	s_and_saveexec_b64 s[20:21], s[14:15]
	s_cbranch_execnz .LBB5_1222
; %bb.378:
	s_or_b64 exec, exec, s[20:21]
	v_cmp_gt_u32_e64 s[14:15], 48, v5
	s_and_saveexec_b64 s[20:21], s[14:15]
	s_cbranch_execnz .LBB5_1223
.LBB5_379:
	s_or_b64 exec, exec, s[20:21]
	v_cmp_gt_u32_e64 s[14:15], 40, v5
	s_and_saveexec_b64 s[20:21], s[14:15]
	s_cbranch_execnz .LBB5_1224
.LBB5_380:
	s_or_b64 exec, exec, s[20:21]
	v_cmp_gt_u32_e64 s[14:15], 32, v5
	s_and_saveexec_b64 s[20:21], s[14:15]
	s_cbranch_execnz .LBB5_1225
.LBB5_381:
	s_or_b64 exec, exec, s[20:21]
	v_cmp_gt_u32_e64 s[14:15], 24, v5
	s_and_saveexec_b64 s[20:21], s[14:15]
	s_cbranch_execnz .LBB5_1226
.LBB5_382:
	s_or_b64 exec, exec, s[20:21]
	s_and_saveexec_b64 s[14:15], s[18:19]
	s_cbranch_execnz .LBB5_1227
.LBB5_383:
	s_or_b64 exec, exec, s[14:15]
	v_cmp_gt_u32_e64 s[14:15], 8, v5
	s_and_saveexec_b64 s[20:21], s[14:15]
	s_cbranch_execz .LBB5_385
.LBB5_384:
	v_lshlrev_b32_e32 v20, 2, v0
	v_mov_b32_e32 v21, 0
	ds_read_b32 v20, v20 offset:12160
	ds_read_b32 v21, v21 offset:12220
	s_waitcnt lgkmcnt(0)
	v_fmac_f32_e32 v19, v20, v21
.LBB5_385:
	s_or_b64 exec, exec, s[20:21]
.LBB5_386:
	s_or_b64 exec, exec, s[16:17]
	s_and_saveexec_b64 s[14:15], s[56:57]
	s_cbranch_execz .LBB5_388
; %bb.387:
	v_mov_b32_e32 v20, 0
	ds_read_b32 v20, v20 offset:10140
	s_waitcnt lgkmcnt(0)
	v_mul_f32_e32 v19, v19, v20
	v_xor_b32_e32 v20, 0x80000000, v19
	ds_write_b32 v15, v20
.LBB5_388:
	s_or_b64 exec, exec, s[14:15]
	s_waitcnt lgkmcnt(0)
	s_barrier
	s_and_saveexec_b64 s[14:15], s[58:59]
	s_cbranch_execz .LBB5_390
; %bb.389:
	v_lshlrev_b32_e32 v20, 2, v13
	ds_read_b32 v20, v20 offset:10112
	ds_read_b32 v21, v15
	s_waitcnt lgkmcnt(0)
	v_fma_f32 v19, -v20, v21, v19
.LBB5_390:
	s_or_b64 exec, exec, s[14:15]
	s_barrier
	s_and_saveexec_b64 s[14:15], s[60:61]
	s_cbranch_execz .LBB5_392
; %bb.391:
	v_mov_b32_e32 v20, 0
	ds_read_b32 v20, v20 offset:9880
	s_waitcnt lgkmcnt(0)
	v_mul_f32_e32 v19, v19, v20
	v_xor_b32_e32 v20, 0x80000000, v19
	ds_write_b32 v15, v20
.LBB5_392:
	s_or_b64 exec, exec, s[14:15]
	s_waitcnt lgkmcnt(0)
	s_barrier
	s_and_saveexec_b64 s[14:15], s[62:63]
	s_cbranch_execz .LBB5_394
; %bb.393:
	v_lshlrev_b32_e32 v20, 2, v13
	ds_read_b32 v20, v20 offset:9856
	ds_read_b32 v21, v15
	s_waitcnt lgkmcnt(0)
	v_fma_f32 v19, -v20, v21, v19
.LBB5_394:
	s_or_b64 exec, exec, s[14:15]
	s_barrier
	;; [unrolled: 24-line block ×6, first 2 shown]
	s_and_saveexec_b64 s[14:15], s[82:83]
	s_cbranch_execz .LBB5_412
; %bb.411:
	v_mov_b32_e32 v20, 0
	ds_read_b32 v20, v20 offset:8580
	s_waitcnt lgkmcnt(0)
	v_mul_f32_e32 v19, v19, v20
	v_xor_b32_e32 v20, 0x80000000, v19
	ds_write_b32 v15, v20
.LBB5_412:
	s_or_b64 exec, exec, s[14:15]
	s_waitcnt lgkmcnt(0)
	s_barrier
	s_and_saveexec_b64 s[14:15], s[66:67]
	s_cbranch_execz .LBB5_414
; %bb.413:
	v_mov_b32_e32 v20, 0
	ds_read_b32 v20, v20 offset:8576
	ds_read_b32 v21, v15
	s_waitcnt lgkmcnt(0)
	v_fma_f32 v19, -v20, v21, v19
.LBB5_414:
	s_or_b64 exec, exec, s[14:15]
	s_barrier
	s_and_saveexec_b64 s[14:15], s[66:67]
	s_cbranch_execz .LBB5_416
; %bb.415:
	v_mov_b32_e32 v20, 0
	ds_read_b32 v20, v20 offset:8320
	s_waitcnt lgkmcnt(0)
	v_mul_f32_e32 v19, v19, v20
	v_xor_b32_e32 v20, 0x80000000, v19
	ds_write_b32 v15, v20
.LBB5_416:
	s_or_b64 exec, exec, s[14:15]
	s_waitcnt lgkmcnt(0)
	s_barrier
	s_barrier
	s_and_saveexec_b64 s[14:15], s[8:9]
; %bb.417:
	v_lshlrev_b32_e32 v20, 2, v13
	v_lshl_or_b32 v20, v14, 8, v20
	ds_write_b32 v20, v19 offset:10368
; %bb.418:
	s_or_b64 exec, exec, s[14:15]
	s_waitcnt lgkmcnt(0)
	s_barrier
	s_barrier
	s_and_saveexec_b64 s[14:15], s[84:85]
	s_cbranch_execz .LBB5_420
; %bb.419:
	v_lshlrev_b32_e32 v19, 8, v0
	ds_read_b32 v20, v19 offset:10368
	s_movk_i32 s16, 0xff04
	v_mad_i32_i24 v21, v0, s16, v19
	s_waitcnt lgkmcnt(0)
	ds_write_b32 v21, v20 offset:8352
	ds_read_b32 v20, v19 offset:10372
	s_waitcnt lgkmcnt(0)
	ds_write_b32 v21, v20 offset:8608
	ds_read_b32 v20, v19 offset:10376
	;; [unrolled: 3-line block ×7, first 2 shown]
	s_waitcnt lgkmcnt(0)
	ds_write_b32 v21, v19 offset:10144
.LBB5_420:
	s_or_b64 exec, exec, s[14:15]
	s_waitcnt lgkmcnt(0)
	s_barrier
	s_and_saveexec_b64 s[14:15], vcc
	s_cbranch_execz .LBB5_422
; %bb.421:
	v_mov_b32_e32 v21, 0
	ds_read_b64 v[19:20], v21 offset:10136
	ds_read_b32 v21, v21 offset:9880
	s_movk_i32 s16, 0x2400
	s_waitcnt lgkmcnt(0)
	v_mul_f32_e32 v20, v21, v20
	v_mul_f32_e32 v19, v19, v20
	v_add_u32_e64 v20, s16, 0
	ds_write2_b32 v20, v19, v19 offset0:167 offset1:230
.LBB5_422:
	s_or_b64 exec, exec, s[14:15]
	v_mov_b32_e32 v19, 0
	s_waitcnt lgkmcnt(0)
	s_barrier
	buffer_wbinvl1_vol
	s_and_saveexec_b64 s[16:17], s[2:3]
	s_cbranch_execz .LBB5_426
; %bb.423:
	v_lshlrev_b32_e32 v19, 8, v3
	v_lshlrev_b32_e32 v20, 2, v1
	ds_read_b32 v21, v20 offset:9872
	ds_read_b32 v19, v19 offset:9880
	v_mov_b32_e32 v20, 0
	v_cmp_gt_u32_e64 s[14:15], 2, v5
	s_waitcnt lgkmcnt(0)
	v_fma_f32 v19, v21, v19, 0
	s_and_saveexec_b64 s[20:21], s[14:15]
	s_cbranch_execz .LBB5_425
; %bb.424:
	v_lshlrev_b32_e32 v21, 2, v0
	ds_read_b32 v21, v21 offset:10128
	ds_read_b32 v20, v20 offset:10140
	s_waitcnt lgkmcnt(0)
	v_fmac_f32_e32 v19, v21, v20
.LBB5_425:
	s_or_b64 exec, exec, s[20:21]
.LBB5_426:
	s_or_b64 exec, exec, s[16:17]
	s_and_saveexec_b64 s[14:15], s[28:29]
	s_cbranch_execz .LBB5_428
; %bb.427:
	v_mov_b32_e32 v20, 0
	ds_read_b32 v20, v20 offset:9620
	s_waitcnt lgkmcnt(0)
	v_mul_f32_e32 v19, v19, v20
	v_xor_b32_e32 v20, 0x80000000, v19
	ds_write_b32 v4, v20
.LBB5_428:
	s_or_b64 exec, exec, s[14:15]
	s_waitcnt lgkmcnt(0)
	s_barrier
	s_and_saveexec_b64 s[14:15], s[26:27]
	s_cbranch_execz .LBB5_430
; %bb.429:
	v_mov_b32_e32 v20, 0
	ds_read_b32 v20, v20 offset:9616
	ds_read_b32 v21, v4
	s_waitcnt lgkmcnt(0)
	v_fma_f32 v19, -v20, v21, v19
.LBB5_430:
	s_or_b64 exec, exec, s[14:15]
	s_barrier
	s_and_saveexec_b64 s[14:15], s[26:27]
	s_cbranch_execz .LBB5_432
; %bb.431:
	v_mov_b32_e32 v20, 0
	ds_read_b32 v20, v20 offset:9360
	s_waitcnt lgkmcnt(0)
	v_mul_f32_e32 v19, v19, v20
	v_xor_b32_e32 v20, 0x80000000, v19
	ds_write_b32 v4, v20
.LBB5_432:
	s_or_b64 exec, exec, s[14:15]
	s_waitcnt lgkmcnt(0)
	s_barrier
	s_barrier
	s_and_saveexec_b64 s[14:15], s[2:3]
; %bb.433:
	v_lshlrev_b32_e32 v20, 2, v1
	v_lshl_or_b32 v20, v3, 8, v20
	ds_write_b32 v20, v19 offset:9872
; %bb.434:
	s_or_b64 exec, exec, s[14:15]
	s_waitcnt lgkmcnt(0)
	s_barrier
	s_barrier
	s_and_saveexec_b64 s[14:15], s[30:31]
	s_cbranch_execz .LBB5_436
; %bb.435:
	v_lshlrev_b32_e32 v19, 2, v0
	s_movk_i32 s16, 0xfc
	v_mad_u32_u24 v20, v0, s16, v19
	ds_read_b32 v21, v20 offset:9872
	s_waitcnt lgkmcnt(0)
	ds_write_b32 v19, v21 offset:9368
	ds_read_b32 v20, v20 offset:9876
	s_waitcnt lgkmcnt(0)
	ds_write_b32 v19, v20 offset:9624
.LBB5_436:
	s_or_b64 exec, exec, s[14:15]
	s_waitcnt lgkmcnt(0)
	s_barrier
	s_and_saveexec_b64 s[14:15], vcc
	s_cbranch_execz .LBB5_438
; %bb.437:
	v_mov_b32_e32 v21, 0
	ds_read_b64 v[19:20], v21 offset:9616
	ds_read_b32 v21, v21 offset:9360
	s_movk_i32 s16, 0x2400
	s_waitcnt lgkmcnt(0)
	v_mul_f32_e32 v20, v21, v20
	v_mul_f32_e32 v19, v19, v20
	v_add_u32_e64 v20, s16, 0
	ds_write2_b32 v20, v19, v19 offset0:37 offset1:100
.LBB5_438:
	s_or_b64 exec, exec, s[14:15]
	v_mov_b32_e32 v19, 0
	s_waitcnt lgkmcnt(0)
	s_barrier
	buffer_wbinvl1_vol
	s_and_saveexec_b64 s[16:17], s[18:19]
	s_cbranch_execz .LBB5_444
; %bb.439:
	v_lshlrev_b32_e32 v21, 2, v6
	v_lshlrev_b32_e32 v20, 8, v11
	ds_read_b32 v19, v21 offset:9344
	ds_read_b32 v22, v20 offset:9360
	v_cmp_gt_u32_e64 s[14:15], 12, v5
	s_waitcnt lgkmcnt(0)
	v_fma_f32 v19, v19, v22, 0
	s_and_saveexec_b64 s[20:21], s[14:15]
	s_cbranch_execnz .LBB5_1228
; %bb.440:
	s_or_b64 exec, exec, s[20:21]
	v_cmp_gt_u32_e64 s[14:15], 8, v5
	s_and_saveexec_b64 s[20:21], s[14:15]
	s_cbranch_execnz .LBB5_1229
.LBB5_441:
	s_or_b64 exec, exec, s[20:21]
	v_cmp_gt_u32_e64 s[14:15], 4, v5
	s_and_saveexec_b64 s[20:21], s[14:15]
	s_cbranch_execz .LBB5_443
.LBB5_442:
	v_lshlrev_b32_e32 v20, 2, v0
	v_mov_b32_e32 v21, 0
	ds_read_b32 v20, v20 offset:10112
	ds_read_b32 v21, v21 offset:10140
	s_waitcnt lgkmcnt(0)
	v_fmac_f32_e32 v19, v20, v21
.LBB5_443:
	s_or_b64 exec, exec, s[20:21]
.LBB5_444:
	s_or_b64 exec, exec, s[16:17]
	s_and_saveexec_b64 s[14:15], s[36:37]
	s_cbranch_execz .LBB5_446
; %bb.445:
	v_mov_b32_e32 v20, 0
	ds_read_b32 v20, v20 offset:9100
	s_waitcnt lgkmcnt(0)
	v_mul_f32_e32 v19, v19, v20
	v_xor_b32_e32 v20, 0x80000000, v19
	ds_write_b32 v12, v20
.LBB5_446:
	s_or_b64 exec, exec, s[14:15]
	s_waitcnt lgkmcnt(0)
	s_barrier
	s_and_saveexec_b64 s[14:15], s[38:39]
	s_cbranch_execz .LBB5_448
; %bb.447:
	v_lshlrev_b32_e32 v20, 2, v6
	ds_read_b32 v20, v20 offset:9088
	ds_read_b32 v21, v12
	s_waitcnt lgkmcnt(0)
	v_fma_f32 v19, -v20, v21, v19
.LBB5_448:
	s_or_b64 exec, exec, s[14:15]
	s_barrier
	s_and_saveexec_b64 s[14:15], s[42:43]
	s_cbranch_execz .LBB5_450
; %bb.449:
	v_mov_b32_e32 v20, 0
	ds_read_b32 v20, v20 offset:8840
	s_waitcnt lgkmcnt(0)
	v_mul_f32_e32 v19, v19, v20
	v_xor_b32_e32 v20, 0x80000000, v19
	ds_write_b32 v12, v20
.LBB5_450:
	s_or_b64 exec, exec, s[14:15]
	s_waitcnt lgkmcnt(0)
	s_barrier
	s_and_saveexec_b64 s[14:15], s[44:45]
	s_cbranch_execz .LBB5_452
; %bb.451:
	v_lshlrev_b32_e32 v20, 2, v6
	ds_read_b32 v20, v20 offset:8832
	ds_read_b32 v21, v12
	s_waitcnt lgkmcnt(0)
	v_fma_f32 v19, -v20, v21, v19
.LBB5_452:
	s_or_b64 exec, exec, s[14:15]
	s_barrier
	s_and_saveexec_b64 s[14:15], s[52:53]
	s_cbranch_execz .LBB5_454
; %bb.453:
	v_mov_b32_e32 v20, 0
	ds_read_b32 v20, v20 offset:8580
	s_waitcnt lgkmcnt(0)
	v_mul_f32_e32 v19, v19, v20
	v_xor_b32_e32 v20, 0x80000000, v19
	ds_write_b32 v12, v20
.LBB5_454:
	s_or_b64 exec, exec, s[14:15]
	s_waitcnt lgkmcnt(0)
	s_barrier
	s_and_saveexec_b64 s[14:15], s[34:35]
	s_cbranch_execz .LBB5_456
; %bb.455:
	v_mov_b32_e32 v20, 0
	ds_read_b32 v20, v20 offset:8576
	ds_read_b32 v21, v12
	s_waitcnt lgkmcnt(0)
	v_fma_f32 v19, -v20, v21, v19
.LBB5_456:
	s_or_b64 exec, exec, s[14:15]
	s_barrier
	s_and_saveexec_b64 s[14:15], s[34:35]
	s_cbranch_execz .LBB5_458
; %bb.457:
	v_mov_b32_e32 v20, 0
	ds_read_b32 v20, v20 offset:8320
	s_waitcnt lgkmcnt(0)
	v_mul_f32_e32 v19, v19, v20
	v_xor_b32_e32 v20, 0x80000000, v19
	ds_write_b32 v12, v20
.LBB5_458:
	s_or_b64 exec, exec, s[14:15]
	s_waitcnt lgkmcnt(0)
	s_barrier
	s_barrier
	s_and_saveexec_b64 s[14:15], s[18:19]
; %bb.459:
	v_lshlrev_b32_e32 v20, 2, v6
	v_lshl_or_b32 v20, v11, 8, v20
	ds_write_b32 v20, v19 offset:9344
; %bb.460:
	s_or_b64 exec, exec, s[14:15]
	s_waitcnt lgkmcnt(0)
	s_barrier
	s_barrier
	s_and_saveexec_b64 s[14:15], s[54:55]
	s_cbranch_execz .LBB5_462
; %bb.461:
	v_lshlrev_b32_e32 v19, 8, v0
	ds_read_b32 v20, v19 offset:9344
	s_movk_i32 s16, 0xff04
	v_mad_i32_i24 v21, v0, s16, v19
	s_waitcnt lgkmcnt(0)
	ds_write_b32 v21, v20 offset:8336
	ds_read_b32 v20, v19 offset:9348
	s_waitcnt lgkmcnt(0)
	ds_write_b32 v21, v20 offset:8592
	ds_read_b32 v20, v19 offset:9352
	;; [unrolled: 3-line block ×3, first 2 shown]
	s_waitcnt lgkmcnt(0)
	ds_write_b32 v21, v19 offset:9104
.LBB5_462:
	s_or_b64 exec, exec, s[14:15]
	s_waitcnt lgkmcnt(0)
	s_barrier
	s_and_saveexec_b64 s[14:15], vcc
	s_cbranch_execz .LBB5_464
; %bb.463:
	v_mov_b32_e32 v21, 0
	ds_read_b64 v[19:20], v21 offset:9096
	ds_read_b32 v21, v21 offset:8840
	s_movk_i32 s16, 0x2000
	s_waitcnt lgkmcnt(0)
	v_mul_f32_e32 v20, v21, v20
	v_mul_f32_e32 v19, v19, v20
	v_add_u32_e64 v20, s16, 0
	ds_write2_b32 v20, v19, v19 offset0:163 offset1:226
.LBB5_464:
	s_or_b64 exec, exec, s[14:15]
	v_mov_b32_e32 v19, 0
	s_waitcnt lgkmcnt(0)
	s_barrier
	buffer_wbinvl1_vol
	s_and_saveexec_b64 s[16:17], s[2:3]
	s_cbranch_execz .LBB5_468
; %bb.465:
	v_lshlrev_b32_e32 v19, 8, v3
	v_lshlrev_b32_e32 v20, 2, v1
	ds_read_b32 v21, v20 offset:8832
	ds_read_b32 v19, v19 offset:8840
	v_mov_b32_e32 v20, 0
	v_cmp_gt_u32_e64 s[14:15], 2, v5
	s_waitcnt lgkmcnt(0)
	v_fma_f32 v19, v21, v19, 0
	s_and_saveexec_b64 s[20:21], s[14:15]
	s_cbranch_execz .LBB5_467
; %bb.466:
	v_lshlrev_b32_e32 v21, 2, v0
	ds_read_b32 v21, v21 offset:9088
	ds_read_b32 v20, v20 offset:9100
	s_waitcnt lgkmcnt(0)
	v_fmac_f32_e32 v19, v21, v20
.LBB5_467:
	s_or_b64 exec, exec, s[20:21]
.LBB5_468:
	s_or_b64 exec, exec, s[16:17]
	s_and_saveexec_b64 s[14:15], s[28:29]
	s_cbranch_execz .LBB5_470
; %bb.469:
	v_mov_b32_e32 v20, 0
	ds_read_b32 v20, v20 offset:8580
	s_waitcnt lgkmcnt(0)
	v_mul_f32_e32 v19, v19, v20
	v_xor_b32_e32 v20, 0x80000000, v19
	ds_write_b32 v4, v20
.LBB5_470:
	s_or_b64 exec, exec, s[14:15]
	s_waitcnt lgkmcnt(0)
	s_barrier
	s_and_saveexec_b64 s[14:15], s[26:27]
	s_cbranch_execz .LBB5_472
; %bb.471:
	v_mov_b32_e32 v20, 0
	ds_read_b32 v20, v20 offset:8576
	ds_read_b32 v21, v4
	s_waitcnt lgkmcnt(0)
	v_fma_f32 v19, -v20, v21, v19
.LBB5_472:
	s_or_b64 exec, exec, s[14:15]
	s_barrier
	s_and_saveexec_b64 s[14:15], s[26:27]
	s_cbranch_execz .LBB5_474
; %bb.473:
	v_mov_b32_e32 v20, 0
	ds_read_b32 v20, v20 offset:8320
	s_waitcnt lgkmcnt(0)
	v_mul_f32_e32 v19, v19, v20
	v_xor_b32_e32 v20, 0x80000000, v19
	ds_write_b32 v4, v20
.LBB5_474:
	s_or_b64 exec, exec, s[14:15]
	s_waitcnt lgkmcnt(0)
	s_barrier
	s_barrier
	s_and_saveexec_b64 s[14:15], s[2:3]
; %bb.475:
	v_lshlrev_b32_e32 v20, 2, v1
	v_lshl_or_b32 v20, v3, 8, v20
	ds_write_b32 v20, v19 offset:8832
; %bb.476:
	s_or_b64 exec, exec, s[14:15]
	s_waitcnt lgkmcnt(0)
	s_barrier
	s_barrier
	s_and_saveexec_b64 s[14:15], s[30:31]
	s_cbranch_execz .LBB5_478
; %bb.477:
	v_lshlrev_b32_e32 v19, 2, v0
	s_movk_i32 s16, 0xfc
	v_mad_u32_u24 v20, v0, s16, v19
	ds_read_b32 v21, v20 offset:8832
	s_waitcnt lgkmcnt(0)
	ds_write_b32 v19, v21 offset:8328
	ds_read_b32 v20, v20 offset:8836
	s_waitcnt lgkmcnt(0)
	ds_write_b32 v19, v20 offset:8584
.LBB5_478:
	s_or_b64 exec, exec, s[14:15]
	s_waitcnt lgkmcnt(0)
	s_barrier
	s_and_saveexec_b64 s[14:15], vcc
	s_cbranch_execz .LBB5_480
; %bb.479:
	v_mov_b32_e32 v21, 0
	ds_read_b64 v[19:20], v21 offset:8576
	ds_read_b32 v21, v21 offset:8320
	s_movk_i32 s16, 0x2000
	s_waitcnt lgkmcnt(0)
	v_mul_f32_e32 v20, v21, v20
	v_mul_f32_e32 v19, v19, v20
	v_add_u32_e64 v20, s16, 0
	ds_write2_b32 v20, v19, v19 offset0:33 offset1:96
.LBB5_480:
	s_or_b64 exec, exec, s[14:15]
	s_movk_i32 s14, 0x3ff
	v_lshrrev_b32_e32 v22, 5, v5
	v_cmp_lt_u32_e64 s[16:17], s14, v5
	s_movk_i32 s14, 0x400
	v_and_b32_e32 v19, 31, v0
	v_sub_u32_e32 v20, 31, v22
	v_cmp_gt_u32_e64 s[14:15], s14, v5
	v_mov_b32_e32 v21, 0
	s_waitcnt lgkmcnt(0)
	s_barrier
	buffer_wbinvl1_vol
	s_and_saveexec_b64 s[90:91], s[14:15]
	s_cbranch_execz .LBB5_542
; %bb.481:
	v_lshlrev_b32_e32 v24, 2, v19
	v_lshlrev_b32_e32 v23, 8, v20
	ds_read_b32 v21, v24 offset:8192
	ds_read_b32 v25, v23 offset:8320
	s_movk_i32 s20, 0x3e0
	v_cmp_gt_u32_e64 s[20:21], s20, v5
	s_waitcnt lgkmcnt(0)
	v_fma_f32 v21, v21, v25, 0
	s_and_saveexec_b64 s[94:95], s[20:21]
	s_cbranch_execz .LBB5_483
; %bb.482:
	ds_read_b32 v25, v24 offset:8448
	ds_read_b32 v26, v23 offset:8324
	s_waitcnt lgkmcnt(0)
	v_fmac_f32_e32 v21, v25, v26
.LBB5_483:
	s_or_b64 exec, exec, s[94:95]
	s_movk_i32 s20, 0x3c0
	v_cmp_gt_u32_e64 s[20:21], s20, v5
	s_and_saveexec_b64 s[94:95], s[20:21]
	s_cbranch_execz .LBB5_485
; %bb.484:
	ds_read_b32 v25, v24 offset:8704
	ds_read_b32 v26, v23 offset:8328
	s_waitcnt lgkmcnt(0)
	v_fmac_f32_e32 v21, v25, v26
.LBB5_485:
	s_or_b64 exec, exec, s[94:95]
	s_movk_i32 s20, 0x3a0
	v_cmp_gt_u32_e64 s[20:21], s20, v5
	s_and_saveexec_b64 s[94:95], s[20:21]
	s_cbranch_execz .LBB5_487
; %bb.486:
	ds_read_b32 v25, v24 offset:8960
	ds_read_b32 v26, v23 offset:8332
	s_waitcnt lgkmcnt(0)
	v_fmac_f32_e32 v21, v25, v26
.LBB5_487:
	s_or_b64 exec, exec, s[94:95]
	s_movk_i32 s20, 0x380
	v_cmp_gt_u32_e64 s[20:21], s20, v5
	s_and_saveexec_b64 s[94:95], s[20:21]
	s_cbranch_execz .LBB5_489
; %bb.488:
	ds_read_b32 v25, v24 offset:9216
	ds_read_b32 v26, v23 offset:8336
	s_waitcnt lgkmcnt(0)
	v_fmac_f32_e32 v21, v25, v26
.LBB5_489:
	s_or_b64 exec, exec, s[94:95]
	s_movk_i32 s20, 0x360
	v_cmp_gt_u32_e64 s[20:21], s20, v5
	s_and_saveexec_b64 s[94:95], s[20:21]
	s_cbranch_execz .LBB5_491
; %bb.490:
	ds_read_b32 v25, v24 offset:9472
	ds_read_b32 v26, v23 offset:8340
	s_waitcnt lgkmcnt(0)
	v_fmac_f32_e32 v21, v25, v26
.LBB5_491:
	s_or_b64 exec, exec, s[94:95]
	s_movk_i32 s20, 0x340
	v_cmp_gt_u32_e64 s[20:21], s20, v5
	s_and_saveexec_b64 s[94:95], s[20:21]
	s_cbranch_execz .LBB5_493
; %bb.492:
	ds_read_b32 v25, v24 offset:9728
	ds_read_b32 v26, v23 offset:8344
	s_waitcnt lgkmcnt(0)
	v_fmac_f32_e32 v21, v25, v26
.LBB5_493:
	s_or_b64 exec, exec, s[94:95]
	s_movk_i32 s20, 0x320
	v_cmp_gt_u32_e64 s[20:21], s20, v5
	s_and_saveexec_b64 s[94:95], s[20:21]
	s_cbranch_execz .LBB5_495
; %bb.494:
	ds_read_b32 v25, v24 offset:9984
	ds_read_b32 v26, v23 offset:8348
	s_waitcnt lgkmcnt(0)
	v_fmac_f32_e32 v21, v25, v26
.LBB5_495:
	s_or_b64 exec, exec, s[94:95]
	s_movk_i32 s20, 0x300
	v_cmp_gt_u32_e64 s[20:21], s20, v5
	s_and_saveexec_b64 s[94:95], s[20:21]
	s_cbranch_execz .LBB5_497
; %bb.496:
	ds_read_b32 v25, v24 offset:10240
	ds_read_b32 v26, v23 offset:8352
	s_waitcnt lgkmcnt(0)
	v_fmac_f32_e32 v21, v25, v26
.LBB5_497:
	s_or_b64 exec, exec, s[94:95]
	s_movk_i32 s20, 0x2e0
	v_cmp_gt_u32_e64 s[20:21], s20, v5
	s_and_saveexec_b64 s[94:95], s[20:21]
	s_cbranch_execz .LBB5_499
; %bb.498:
	ds_read_b32 v25, v24 offset:10496
	ds_read_b32 v26, v23 offset:8356
	s_waitcnt lgkmcnt(0)
	v_fmac_f32_e32 v21, v25, v26
.LBB5_499:
	s_or_b64 exec, exec, s[94:95]
	s_movk_i32 s20, 0x2c0
	v_cmp_gt_u32_e64 s[20:21], s20, v5
	s_and_saveexec_b64 s[94:95], s[20:21]
	s_cbranch_execz .LBB5_501
; %bb.500:
	ds_read_b32 v25, v24 offset:10752
	ds_read_b32 v26, v23 offset:8360
	s_waitcnt lgkmcnt(0)
	v_fmac_f32_e32 v21, v25, v26
.LBB5_501:
	s_or_b64 exec, exec, s[94:95]
	s_movk_i32 s20, 0x2a0
	v_cmp_gt_u32_e64 s[20:21], s20, v5
	s_and_saveexec_b64 s[94:95], s[20:21]
	s_cbranch_execz .LBB5_503
; %bb.502:
	ds_read_b32 v25, v24 offset:11008
	ds_read_b32 v26, v23 offset:8364
	s_waitcnt lgkmcnt(0)
	v_fmac_f32_e32 v21, v25, v26
.LBB5_503:
	s_or_b64 exec, exec, s[94:95]
	s_movk_i32 s20, 0x280
	v_cmp_gt_u32_e64 s[20:21], s20, v5
	s_and_saveexec_b64 s[94:95], s[20:21]
	s_cbranch_execz .LBB5_505
; %bb.504:
	ds_read_b32 v25, v24 offset:11264
	ds_read_b32 v26, v23 offset:8368
	s_waitcnt lgkmcnt(0)
	v_fmac_f32_e32 v21, v25, v26
.LBB5_505:
	s_or_b64 exec, exec, s[94:95]
	s_movk_i32 s20, 0x260
	v_cmp_gt_u32_e64 s[20:21], s20, v5
	s_and_saveexec_b64 s[94:95], s[20:21]
	s_cbranch_execz .LBB5_507
; %bb.506:
	ds_read_b32 v25, v24 offset:11520
	ds_read_b32 v26, v23 offset:8372
	s_waitcnt lgkmcnt(0)
	v_fmac_f32_e32 v21, v25, v26
.LBB5_507:
	s_or_b64 exec, exec, s[94:95]
	s_movk_i32 s20, 0x240
	v_cmp_gt_u32_e64 s[20:21], s20, v5
	s_and_saveexec_b64 s[94:95], s[20:21]
	s_cbranch_execz .LBB5_509
; %bb.508:
	ds_read_b32 v25, v24 offset:11776
	ds_read_b32 v26, v23 offset:8376
	s_waitcnt lgkmcnt(0)
	v_fmac_f32_e32 v21, v25, v26
.LBB5_509:
	s_or_b64 exec, exec, s[94:95]
	s_movk_i32 s20, 0x220
	v_cmp_gt_u32_e64 s[20:21], s20, v5
	s_and_saveexec_b64 s[94:95], s[20:21]
	s_cbranch_execz .LBB5_511
; %bb.510:
	ds_read_b32 v25, v24 offset:12032
	ds_read_b32 v26, v23 offset:8380
	s_waitcnt lgkmcnt(0)
	v_fmac_f32_e32 v21, v25, v26
.LBB5_511:
	s_or_b64 exec, exec, s[94:95]
	s_movk_i32 s20, 0x200
	v_cmp_gt_u32_e64 s[20:21], s20, v5
	s_and_saveexec_b64 s[94:95], s[20:21]
	s_cbranch_execz .LBB5_513
; %bb.512:
	ds_read_b32 v25, v24 offset:12288
	ds_read_b32 v26, v23 offset:8384
	s_waitcnt lgkmcnt(0)
	v_fmac_f32_e32 v21, v25, v26
.LBB5_513:
	s_or_b64 exec, exec, s[94:95]
	s_movk_i32 s20, 0x1e0
	v_cmp_gt_u32_e64 s[20:21], s20, v5
	s_and_saveexec_b64 s[94:95], s[20:21]
	s_cbranch_execz .LBB5_515
; %bb.514:
	ds_read_b32 v25, v24 offset:12544
	ds_read_b32 v26, v23 offset:8388
	s_waitcnt lgkmcnt(0)
	v_fmac_f32_e32 v21, v25, v26
.LBB5_515:
	s_or_b64 exec, exec, s[94:95]
	s_movk_i32 s20, 0x1c0
	v_cmp_gt_u32_e64 s[20:21], s20, v5
	s_and_saveexec_b64 s[94:95], s[20:21]
	s_cbranch_execz .LBB5_517
; %bb.516:
	ds_read_b32 v25, v24 offset:12800
	ds_read_b32 v26, v23 offset:8392
	s_waitcnt lgkmcnt(0)
	v_fmac_f32_e32 v21, v25, v26
.LBB5_517:
	s_or_b64 exec, exec, s[94:95]
	s_movk_i32 s20, 0x1a0
	v_cmp_gt_u32_e64 s[20:21], s20, v5
	s_and_saveexec_b64 s[94:95], s[20:21]
	s_cbranch_execz .LBB5_519
; %bb.518:
	ds_read_b32 v25, v24 offset:13056
	ds_read_b32 v26, v23 offset:8396
	s_waitcnt lgkmcnt(0)
	v_fmac_f32_e32 v21, v25, v26
.LBB5_519:
	s_or_b64 exec, exec, s[94:95]
	s_movk_i32 s20, 0x180
	v_cmp_gt_u32_e64 s[20:21], s20, v5
	s_and_saveexec_b64 s[94:95], s[20:21]
	s_cbranch_execz .LBB5_521
; %bb.520:
	ds_read_b32 v25, v24 offset:13312
	ds_read_b32 v26, v23 offset:8400
	s_waitcnt lgkmcnt(0)
	v_fmac_f32_e32 v21, v25, v26
.LBB5_521:
	s_or_b64 exec, exec, s[94:95]
	s_movk_i32 s20, 0x160
	v_cmp_gt_u32_e64 s[20:21], s20, v5
	s_and_saveexec_b64 s[94:95], s[20:21]
	s_cbranch_execz .LBB5_523
; %bb.522:
	ds_read_b32 v25, v24 offset:13568
	ds_read_b32 v26, v23 offset:8404
	s_waitcnt lgkmcnt(0)
	v_fmac_f32_e32 v21, v25, v26
.LBB5_523:
	s_or_b64 exec, exec, s[94:95]
	s_movk_i32 s20, 0x140
	v_cmp_gt_u32_e64 s[20:21], s20, v5
	s_and_saveexec_b64 s[94:95], s[20:21]
	s_cbranch_execz .LBB5_525
; %bb.524:
	ds_read_b32 v25, v24 offset:13824
	ds_read_b32 v26, v23 offset:8408
	s_waitcnt lgkmcnt(0)
	v_fmac_f32_e32 v21, v25, v26
.LBB5_525:
	s_or_b64 exec, exec, s[94:95]
	s_movk_i32 s20, 0x120
	v_cmp_gt_u32_e64 s[20:21], s20, v5
	s_and_saveexec_b64 s[94:95], s[20:21]
	s_cbranch_execz .LBB5_527
; %bb.526:
	ds_read_b32 v25, v24 offset:14080
	ds_read_b32 v26, v23 offset:8412
	s_waitcnt lgkmcnt(0)
	v_fmac_f32_e32 v21, v25, v26
.LBB5_527:
	s_or_b64 exec, exec, s[94:95]
	s_and_saveexec_b64 s[20:21], s[10:11]
	s_cbranch_execz .LBB5_529
; %bb.528:
	ds_read_b32 v25, v24 offset:14336
	ds_read_b32 v26, v23 offset:8416
	s_waitcnt lgkmcnt(0)
	v_fmac_f32_e32 v21, v25, v26
.LBB5_529:
	s_or_b64 exec, exec, s[20:21]
	s_movk_i32 s20, 0xe0
	v_cmp_gt_u32_e64 s[20:21], s20, v5
	s_and_saveexec_b64 s[94:95], s[20:21]
	s_cbranch_execz .LBB5_531
; %bb.530:
	ds_read_b32 v25, v24 offset:14592
	ds_read_b32 v26, v23 offset:8420
	s_waitcnt lgkmcnt(0)
	v_fmac_f32_e32 v21, v25, v26
.LBB5_531:
	s_or_b64 exec, exec, s[94:95]
	s_movk_i32 s20, 0xc0
	v_cmp_gt_u32_e64 s[20:21], s20, v5
	s_and_saveexec_b64 s[94:95], s[20:21]
	s_cbranch_execz .LBB5_533
; %bb.532:
	ds_read_b32 v25, v24 offset:14848
	ds_read_b32 v26, v23 offset:8424
	s_waitcnt lgkmcnt(0)
	v_fmac_f32_e32 v21, v25, v26
.LBB5_533:
	s_or_b64 exec, exec, s[94:95]
	s_movk_i32 s20, 0xa0
	v_cmp_gt_u32_e64 s[20:21], s20, v5
	s_and_saveexec_b64 s[94:95], s[20:21]
	s_cbranch_execz .LBB5_535
; %bb.534:
	ds_read_b32 v25, v24 offset:15104
	ds_read_b32 v26, v23 offset:8428
	s_waitcnt lgkmcnt(0)
	v_fmac_f32_e32 v21, v25, v26
.LBB5_535:
	s_or_b64 exec, exec, s[94:95]
	s_movk_i32 s20, 0x80
	v_cmp_gt_u32_e64 s[20:21], s20, v5
	s_and_saveexec_b64 s[94:95], s[20:21]
	s_cbranch_execz .LBB5_537
; %bb.536:
	ds_read_b32 v25, v24 offset:15360
	ds_read_b32 v26, v23 offset:8432
	s_waitcnt lgkmcnt(0)
	v_fmac_f32_e32 v21, v25, v26
.LBB5_537:
	s_or_b64 exec, exec, s[94:95]
	s_movk_i32 s20, 0x60
	v_cmp_gt_u32_e64 s[20:21], s20, v5
	s_and_saveexec_b64 s[94:95], s[20:21]
	s_cbranch_execnz .LBB5_1230
; %bb.538:
	s_or_b64 exec, exec, s[94:95]
	s_and_saveexec_b64 s[20:21], s[8:9]
	s_cbranch_execnz .LBB5_1231
.LBB5_539:
	s_or_b64 exec, exec, s[20:21]
	v_cmp_gt_u32_e64 s[20:21], 32, v5
	s_and_saveexec_b64 s[94:95], s[20:21]
	s_cbranch_execz .LBB5_541
.LBB5_540:
	v_lshlrev_b32_e32 v23, 2, v0
	v_mov_b32_e32 v24, 0
	ds_read_b32 v23, v23 offset:16128
	ds_read_b32 v24, v24 offset:16380
	s_waitcnt lgkmcnt(0)
	v_fmac_f32_e32 v21, v23, v24
.LBB5_541:
	s_or_b64 exec, exec, s[94:95]
.LBB5_542:
	s_or_b64 exec, exec, s[90:91]
	v_mov_b32_e32 v23, 0x4000
	v_cmp_eq_u32_e64 s[20:21], 31, v19
	s_xor_b64 s[90:91], s[16:17], -1
	v_lshl_add_u32 v22, v22, 2, v23
	s_and_b64 s[20:21], s[20:21], s[90:91]
	s_and_saveexec_b64 s[16:17], s[20:21]
	s_cbranch_execz .LBB5_544
; %bb.543:
	v_mov_b32_e32 v23, 0
	ds_read_b32 v23, v23 offset:8060
	s_waitcnt lgkmcnt(0)
	v_mul_f32_e32 v21, v21, v23
	v_xor_b32_e32 v23, 0x80000000, v21
	ds_write_b32 v22, v23
.LBB5_544:
	s_or_b64 exec, exec, s[16:17]
	v_cmp_ne_u32_e64 s[16:17], 31, v19
	s_and_b64 s[20:21], s[16:17], s[90:91]
	s_waitcnt lgkmcnt(0)
	s_barrier
	s_and_saveexec_b64 s[16:17], s[20:21]
	s_cbranch_execz .LBB5_546
; %bb.545:
	v_lshlrev_b32_e32 v23, 2, v19
	ds_read_b32 v23, v23 offset:7936
	ds_read_b32 v24, v22
	s_waitcnt lgkmcnt(0)
	v_fma_f32 v21, -v23, v24, v21
.LBB5_546:
	s_or_b64 exec, exec, s[16:17]
	v_cmp_eq_u32_e64 s[16:17], 30, v19
	s_and_b64 s[20:21], s[16:17], s[90:91]
	s_barrier
	s_and_saveexec_b64 s[16:17], s[20:21]
	s_cbranch_execz .LBB5_548
; %bb.547:
	v_mov_b32_e32 v23, 0
	ds_read_b32 v23, v23 offset:7800
	s_waitcnt lgkmcnt(0)
	v_mul_f32_e32 v21, v21, v23
	v_xor_b32_e32 v23, 0x80000000, v21
	ds_write_b32 v22, v23
.LBB5_548:
	s_or_b64 exec, exec, s[16:17]
	v_cmp_gt_u32_e64 s[16:17], 30, v19
	s_and_b64 s[20:21], s[16:17], s[90:91]
	s_waitcnt lgkmcnt(0)
	s_barrier
	s_and_saveexec_b64 s[16:17], s[20:21]
	s_cbranch_execz .LBB5_550
; %bb.549:
	v_lshlrev_b32_e32 v23, 2, v19
	ds_read_b32 v23, v23 offset:7680
	ds_read_b32 v24, v22
	s_waitcnt lgkmcnt(0)
	v_fma_f32 v21, -v23, v24, v21
.LBB5_550:
	s_or_b64 exec, exec, s[16:17]
	v_cmp_eq_u32_e64 s[16:17], 29, v19
	s_and_b64 s[20:21], s[16:17], s[90:91]
	s_barrier
	s_and_saveexec_b64 s[16:17], s[20:21]
	s_cbranch_execz .LBB5_552
; %bb.551:
	v_mov_b32_e32 v23, 0
	ds_read_b32 v23, v23 offset:7540
	s_waitcnt lgkmcnt(0)
	v_mul_f32_e32 v21, v21, v23
	v_xor_b32_e32 v23, 0x80000000, v21
	ds_write_b32 v22, v23
.LBB5_552:
	s_or_b64 exec, exec, s[16:17]
	v_cmp_gt_u32_e64 s[16:17], 29, v19
	;; [unrolled: 28-line block ×29, first 2 shown]
	s_and_b64 s[20:21], s[16:17], s[90:91]
	s_waitcnt lgkmcnt(0)
	s_barrier
	s_and_saveexec_b64 s[16:17], s[20:21]
	s_cbranch_execz .LBB5_662
; %bb.661:
	v_lshlrev_b32_e32 v23, 2, v19
	ds_read_b32 v23, v23 offset:512
	ds_read_b32 v24, v22
	s_waitcnt lgkmcnt(0)
	v_fma_f32 v21, -v23, v24, v21
.LBB5_662:
	s_or_b64 exec, exec, s[16:17]
	v_cmp_eq_u32_e64 s[16:17], 1, v19
	s_and_b64 s[20:21], s[16:17], s[90:91]
	s_barrier
	s_and_saveexec_b64 s[16:17], s[20:21]
	s_cbranch_execz .LBB5_664
; %bb.663:
	v_mov_b32_e32 v23, 0
	ds_read_b32 v23, v23 offset:260
	s_waitcnt lgkmcnt(0)
	v_mul_f32_e32 v21, v21, v23
	v_xor_b32_e32 v23, 0x80000000, v21
	ds_write_b32 v22, v23
.LBB5_664:
	s_or_b64 exec, exec, s[16:17]
	v_cmp_eq_u32_e64 s[16:17], 0, v19
	s_and_b64 s[16:17], s[16:17], s[90:91]
	s_waitcnt lgkmcnt(0)
	s_barrier
	s_and_saveexec_b64 s[20:21], s[16:17]
	s_cbranch_execz .LBB5_666
; %bb.665:
	v_mov_b32_e32 v23, 0
	ds_read_b32 v23, v23 offset:256
	ds_read_b32 v24, v22
	s_waitcnt lgkmcnt(0)
	v_fma_f32 v21, -v23, v24, v21
.LBB5_666:
	s_or_b64 exec, exec, s[20:21]
	s_barrier
	s_and_saveexec_b64 s[20:21], s[16:17]
	s_cbranch_execz .LBB5_668
; %bb.667:
	v_mov_b32_e32 v23, 0
	ds_read_b32 v23, v23
	s_waitcnt lgkmcnt(0)
	v_mul_f32_e32 v21, v21, v23
	v_xor_b32_e32 v23, 0x80000000, v21
	ds_write_b32 v22, v23
.LBB5_668:
	s_or_b64 exec, exec, s[20:21]
	s_waitcnt lgkmcnt(0)
	s_barrier
	s_barrier
	s_and_saveexec_b64 s[16:17], s[14:15]
; %bb.669:
	v_lshlrev_b32_e32 v19, 2, v19
	v_lshl_or_b32 v19, v20, 8, v19
	ds_write_b32 v19, v21 offset:8192
; %bb.670:
	s_or_b64 exec, exec, s[16:17]
	v_cmp_gt_u32_e64 s[14:15], 32, v0
	s_and_b64 s[14:15], s[12:13], s[14:15]
	s_waitcnt lgkmcnt(0)
	s_barrier
	s_barrier
	s_and_saveexec_b64 s[12:13], s[14:15]
	s_cbranch_execz .LBB5_672
; %bb.671:
	v_lshlrev_b32_e32 v19, 8, v0
	ds_read_b32 v20, v19 offset:8192
	s_movk_i32 s14, 0xff04
	v_mad_i32_i24 v21, v0, s14, v19
	s_waitcnt lgkmcnt(0)
	ds_write_b32 v21, v20 offset:128
	ds_read_b32 v20, v19 offset:8196
	s_waitcnt lgkmcnt(0)
	ds_write_b32 v21, v20 offset:384
	ds_read_b32 v20, v19 offset:8200
	;; [unrolled: 3-line block ×31, first 2 shown]
	s_waitcnt lgkmcnt(0)
	ds_write_b32 v21, v19 offset:8064
.LBB5_672:
	s_or_b64 exec, exec, s[12:13]
	s_waitcnt lgkmcnt(0)
	s_barrier
	s_and_saveexec_b64 s[12:13], vcc
	s_cbranch_execz .LBB5_674
; %bb.673:
	v_mov_b32_e32 v21, 0
	ds_read_b64 v[19:20], v21 offset:8056
	ds_read_b32 v21, v21 offset:7800
	s_movk_i32 s14, 0x1c00
	s_waitcnt lgkmcnt(0)
	v_mul_f32_e32 v20, v21, v20
	v_mul_f32_e32 v19, v19, v20
	v_add_u32_e64 v20, s14, 0
	ds_write2_b32 v20, v19, v19 offset0:159 offset1:222
.LBB5_674:
	s_or_b64 exec, exec, s[12:13]
	v_mov_b32_e32 v19, 0
	s_waitcnt lgkmcnt(0)
	s_barrier
	buffer_wbinvl1_vol
	s_and_saveexec_b64 s[14:15], s[2:3]
	s_cbranch_execz .LBB5_678
; %bb.675:
	v_lshlrev_b32_e32 v19, 8, v3
	v_lshlrev_b32_e32 v20, 2, v1
	ds_read_b32 v21, v20 offset:7792
	ds_read_b32 v19, v19 offset:7800
	v_mov_b32_e32 v20, 0
	v_cmp_gt_u32_e64 s[12:13], 2, v5
	s_waitcnt lgkmcnt(0)
	v_fma_f32 v19, v21, v19, 0
	s_and_saveexec_b64 s[16:17], s[12:13]
	s_cbranch_execz .LBB5_677
; %bb.676:
	v_lshlrev_b32_e32 v21, 2, v0
	ds_read_b32 v21, v21 offset:8048
	ds_read_b32 v20, v20 offset:8060
	s_waitcnt lgkmcnt(0)
	v_fmac_f32_e32 v19, v21, v20
.LBB5_677:
	s_or_b64 exec, exec, s[16:17]
.LBB5_678:
	s_or_b64 exec, exec, s[14:15]
	s_and_saveexec_b64 s[12:13], s[28:29]
	s_cbranch_execz .LBB5_680
; %bb.679:
	v_mov_b32_e32 v20, 0
	ds_read_b32 v20, v20 offset:7540
	s_waitcnt lgkmcnt(0)
	v_mul_f32_e32 v19, v19, v20
	v_xor_b32_e32 v20, 0x80000000, v19
	ds_write_b32 v4, v20
.LBB5_680:
	s_or_b64 exec, exec, s[12:13]
	s_waitcnt lgkmcnt(0)
	s_barrier
	s_and_saveexec_b64 s[12:13], s[26:27]
	s_cbranch_execz .LBB5_682
; %bb.681:
	v_mov_b32_e32 v20, 0
	ds_read_b32 v20, v20 offset:7536
	ds_read_b32 v21, v4
	s_waitcnt lgkmcnt(0)
	v_fma_f32 v19, -v20, v21, v19
.LBB5_682:
	s_or_b64 exec, exec, s[12:13]
	s_barrier
	s_and_saveexec_b64 s[12:13], s[26:27]
	s_cbranch_execz .LBB5_684
; %bb.683:
	v_mov_b32_e32 v20, 0
	ds_read_b32 v20, v20 offset:7280
	s_waitcnt lgkmcnt(0)
	v_mul_f32_e32 v19, v19, v20
	v_xor_b32_e32 v20, 0x80000000, v19
	ds_write_b32 v4, v20
.LBB5_684:
	s_or_b64 exec, exec, s[12:13]
	s_waitcnt lgkmcnt(0)
	s_barrier
	s_barrier
	s_and_saveexec_b64 s[12:13], s[2:3]
; %bb.685:
	v_lshlrev_b32_e32 v20, 2, v1
	v_lshl_or_b32 v20, v3, 8, v20
	ds_write_b32 v20, v19 offset:7792
; %bb.686:
	s_or_b64 exec, exec, s[12:13]
	s_waitcnt lgkmcnt(0)
	s_barrier
	s_barrier
	s_and_saveexec_b64 s[12:13], s[30:31]
	s_cbranch_execz .LBB5_688
; %bb.687:
	v_lshlrev_b32_e32 v19, 2, v0
	s_movk_i32 s14, 0xfc
	v_mad_u32_u24 v20, v0, s14, v19
	ds_read_b32 v21, v20 offset:7792
	s_waitcnt lgkmcnt(0)
	ds_write_b32 v19, v21 offset:7288
	ds_read_b32 v20, v20 offset:7796
	s_waitcnt lgkmcnt(0)
	ds_write_b32 v19, v20 offset:7544
.LBB5_688:
	s_or_b64 exec, exec, s[12:13]
	s_waitcnt lgkmcnt(0)
	s_barrier
	s_and_saveexec_b64 s[12:13], vcc
	s_cbranch_execz .LBB5_690
; %bb.689:
	v_mov_b32_e32 v21, 0
	ds_read_b64 v[19:20], v21 offset:7536
	ds_read_b32 v21, v21 offset:7280
	s_movk_i32 s14, 0x1c00
	s_waitcnt lgkmcnt(0)
	v_mul_f32_e32 v20, v21, v20
	v_mul_f32_e32 v19, v19, v20
	v_add_u32_e64 v20, s14, 0
	ds_write2_b32 v20, v19, v19 offset0:29 offset1:92
.LBB5_690:
	s_or_b64 exec, exec, s[12:13]
	v_mov_b32_e32 v19, 0
	s_waitcnt lgkmcnt(0)
	s_barrier
	buffer_wbinvl1_vol
	s_and_saveexec_b64 s[14:15], s[18:19]
	s_cbranch_execz .LBB5_696
; %bb.691:
	v_lshlrev_b32_e32 v21, 2, v6
	v_lshlrev_b32_e32 v20, 8, v11
	ds_read_b32 v19, v21 offset:7264
	ds_read_b32 v22, v20 offset:7280
	v_cmp_gt_u32_e64 s[12:13], 12, v5
	s_waitcnt lgkmcnt(0)
	v_fma_f32 v19, v19, v22, 0
	s_and_saveexec_b64 s[16:17], s[12:13]
	s_cbranch_execnz .LBB5_1232
; %bb.692:
	s_or_b64 exec, exec, s[16:17]
	v_cmp_gt_u32_e64 s[12:13], 8, v5
	s_and_saveexec_b64 s[16:17], s[12:13]
	s_cbranch_execnz .LBB5_1233
.LBB5_693:
	s_or_b64 exec, exec, s[16:17]
	v_cmp_gt_u32_e64 s[12:13], 4, v5
	s_and_saveexec_b64 s[16:17], s[12:13]
	s_cbranch_execz .LBB5_695
.LBB5_694:
	v_lshlrev_b32_e32 v20, 2, v0
	v_mov_b32_e32 v21, 0
	ds_read_b32 v20, v20 offset:8032
	ds_read_b32 v21, v21 offset:8060
	s_waitcnt lgkmcnt(0)
	v_fmac_f32_e32 v19, v20, v21
.LBB5_695:
	s_or_b64 exec, exec, s[16:17]
.LBB5_696:
	s_or_b64 exec, exec, s[14:15]
	s_and_saveexec_b64 s[12:13], s[36:37]
	s_cbranch_execz .LBB5_698
; %bb.697:
	v_mov_b32_e32 v20, 0
	ds_read_b32 v20, v20 offset:7020
	s_waitcnt lgkmcnt(0)
	v_mul_f32_e32 v19, v19, v20
	v_xor_b32_e32 v20, 0x80000000, v19
	ds_write_b32 v12, v20
.LBB5_698:
	s_or_b64 exec, exec, s[12:13]
	s_waitcnt lgkmcnt(0)
	s_barrier
	s_and_saveexec_b64 s[12:13], s[38:39]
	s_cbranch_execz .LBB5_700
; %bb.699:
	v_lshlrev_b32_e32 v20, 2, v6
	ds_read_b32 v20, v20 offset:7008
	ds_read_b32 v21, v12
	s_waitcnt lgkmcnt(0)
	v_fma_f32 v19, -v20, v21, v19
.LBB5_700:
	s_or_b64 exec, exec, s[12:13]
	s_barrier
	s_and_saveexec_b64 s[12:13], s[42:43]
	s_cbranch_execz .LBB5_702
; %bb.701:
	v_mov_b32_e32 v20, 0
	ds_read_b32 v20, v20 offset:6760
	s_waitcnt lgkmcnt(0)
	v_mul_f32_e32 v19, v19, v20
	v_xor_b32_e32 v20, 0x80000000, v19
	ds_write_b32 v12, v20
.LBB5_702:
	s_or_b64 exec, exec, s[12:13]
	s_waitcnt lgkmcnt(0)
	s_barrier
	s_and_saveexec_b64 s[12:13], s[44:45]
	s_cbranch_execz .LBB5_704
; %bb.703:
	v_lshlrev_b32_e32 v20, 2, v6
	ds_read_b32 v20, v20 offset:6752
	ds_read_b32 v21, v12
	s_waitcnt lgkmcnt(0)
	v_fma_f32 v19, -v20, v21, v19
.LBB5_704:
	s_or_b64 exec, exec, s[12:13]
	s_barrier
	s_and_saveexec_b64 s[12:13], s[52:53]
	s_cbranch_execz .LBB5_706
; %bb.705:
	v_mov_b32_e32 v20, 0
	ds_read_b32 v20, v20 offset:6500
	s_waitcnt lgkmcnt(0)
	v_mul_f32_e32 v19, v19, v20
	v_xor_b32_e32 v20, 0x80000000, v19
	ds_write_b32 v12, v20
.LBB5_706:
	s_or_b64 exec, exec, s[12:13]
	s_waitcnt lgkmcnt(0)
	s_barrier
	s_and_saveexec_b64 s[12:13], s[34:35]
	s_cbranch_execz .LBB5_708
; %bb.707:
	v_mov_b32_e32 v20, 0
	ds_read_b32 v20, v20 offset:6496
	ds_read_b32 v21, v12
	s_waitcnt lgkmcnt(0)
	v_fma_f32 v19, -v20, v21, v19
.LBB5_708:
	s_or_b64 exec, exec, s[12:13]
	s_barrier
	s_and_saveexec_b64 s[12:13], s[34:35]
	s_cbranch_execz .LBB5_710
; %bb.709:
	v_mov_b32_e32 v20, 0
	ds_read_b32 v20, v20 offset:6240
	s_waitcnt lgkmcnt(0)
	v_mul_f32_e32 v19, v19, v20
	v_xor_b32_e32 v20, 0x80000000, v19
	ds_write_b32 v12, v20
.LBB5_710:
	s_or_b64 exec, exec, s[12:13]
	s_waitcnt lgkmcnt(0)
	s_barrier
	s_barrier
	s_and_saveexec_b64 s[12:13], s[18:19]
; %bb.711:
	v_lshlrev_b32_e32 v20, 2, v6
	v_lshl_or_b32 v20, v11, 8, v20
	ds_write_b32 v20, v19 offset:7264
; %bb.712:
	s_or_b64 exec, exec, s[12:13]
	s_waitcnt lgkmcnt(0)
	s_barrier
	s_barrier
	s_and_saveexec_b64 s[12:13], s[54:55]
	s_cbranch_execz .LBB5_714
; %bb.713:
	v_lshlrev_b32_e32 v19, 8, v0
	ds_read_b32 v20, v19 offset:7264
	s_movk_i32 s14, 0xff04
	v_mad_i32_i24 v21, v0, s14, v19
	s_waitcnt lgkmcnt(0)
	ds_write_b32 v21, v20 offset:6256
	ds_read_b32 v20, v19 offset:7268
	s_waitcnt lgkmcnt(0)
	ds_write_b32 v21, v20 offset:6512
	ds_read_b32 v20, v19 offset:7272
	;; [unrolled: 3-line block ×3, first 2 shown]
	s_waitcnt lgkmcnt(0)
	ds_write_b32 v21, v19 offset:7024
.LBB5_714:
	s_or_b64 exec, exec, s[12:13]
	s_waitcnt lgkmcnt(0)
	s_barrier
	s_and_saveexec_b64 s[12:13], vcc
	s_cbranch_execz .LBB5_716
; %bb.715:
	v_mov_b32_e32 v21, 0
	ds_read_b64 v[19:20], v21 offset:7016
	ds_read_b32 v21, v21 offset:6760
	s_movk_i32 s14, 0x1800
	s_waitcnt lgkmcnt(0)
	v_mul_f32_e32 v20, v21, v20
	v_mul_f32_e32 v19, v19, v20
	v_add_u32_e64 v20, s14, 0
	ds_write2_b32 v20, v19, v19 offset0:155 offset1:218
.LBB5_716:
	s_or_b64 exec, exec, s[12:13]
	v_mov_b32_e32 v19, 0
	s_waitcnt lgkmcnt(0)
	s_barrier
	buffer_wbinvl1_vol
	s_and_saveexec_b64 s[14:15], s[2:3]
	s_cbranch_execz .LBB5_720
; %bb.717:
	v_lshlrev_b32_e32 v19, 8, v3
	v_lshlrev_b32_e32 v20, 2, v1
	ds_read_b32 v21, v20 offset:6752
	ds_read_b32 v19, v19 offset:6760
	v_mov_b32_e32 v20, 0
	v_cmp_gt_u32_e64 s[12:13], 2, v5
	s_waitcnt lgkmcnt(0)
	v_fma_f32 v19, v21, v19, 0
	s_and_saveexec_b64 s[16:17], s[12:13]
	s_cbranch_execz .LBB5_719
; %bb.718:
	v_lshlrev_b32_e32 v21, 2, v0
	ds_read_b32 v21, v21 offset:7008
	ds_read_b32 v20, v20 offset:7020
	s_waitcnt lgkmcnt(0)
	v_fmac_f32_e32 v19, v21, v20
.LBB5_719:
	s_or_b64 exec, exec, s[16:17]
.LBB5_720:
	s_or_b64 exec, exec, s[14:15]
	s_and_saveexec_b64 s[12:13], s[28:29]
	s_cbranch_execz .LBB5_722
; %bb.721:
	v_mov_b32_e32 v20, 0
	ds_read_b32 v20, v20 offset:6500
	s_waitcnt lgkmcnt(0)
	v_mul_f32_e32 v19, v19, v20
	v_xor_b32_e32 v20, 0x80000000, v19
	ds_write_b32 v4, v20
.LBB5_722:
	s_or_b64 exec, exec, s[12:13]
	s_waitcnt lgkmcnt(0)
	s_barrier
	s_and_saveexec_b64 s[12:13], s[26:27]
	s_cbranch_execz .LBB5_724
; %bb.723:
	v_mov_b32_e32 v20, 0
	ds_read_b32 v20, v20 offset:6496
	ds_read_b32 v21, v4
	s_waitcnt lgkmcnt(0)
	v_fma_f32 v19, -v20, v21, v19
.LBB5_724:
	s_or_b64 exec, exec, s[12:13]
	s_barrier
	s_and_saveexec_b64 s[12:13], s[26:27]
	s_cbranch_execz .LBB5_726
; %bb.725:
	v_mov_b32_e32 v20, 0
	ds_read_b32 v20, v20 offset:6240
	s_waitcnt lgkmcnt(0)
	v_mul_f32_e32 v19, v19, v20
	v_xor_b32_e32 v20, 0x80000000, v19
	ds_write_b32 v4, v20
.LBB5_726:
	s_or_b64 exec, exec, s[12:13]
	s_waitcnt lgkmcnt(0)
	s_barrier
	s_barrier
	s_and_saveexec_b64 s[12:13], s[2:3]
; %bb.727:
	v_lshlrev_b32_e32 v20, 2, v1
	v_lshl_or_b32 v20, v3, 8, v20
	ds_write_b32 v20, v19 offset:6752
; %bb.728:
	s_or_b64 exec, exec, s[12:13]
	s_waitcnt lgkmcnt(0)
	s_barrier
	s_barrier
	s_and_saveexec_b64 s[12:13], s[30:31]
	s_cbranch_execz .LBB5_730
; %bb.729:
	v_lshlrev_b32_e32 v19, 2, v0
	s_movk_i32 s14, 0xfc
	v_mad_u32_u24 v20, v0, s14, v19
	ds_read_b32 v21, v20 offset:6752
	s_waitcnt lgkmcnt(0)
	ds_write_b32 v19, v21 offset:6248
	ds_read_b32 v20, v20 offset:6756
	s_waitcnt lgkmcnt(0)
	ds_write_b32 v19, v20 offset:6504
.LBB5_730:
	s_or_b64 exec, exec, s[12:13]
	s_waitcnt lgkmcnt(0)
	s_barrier
	s_and_saveexec_b64 s[12:13], vcc
	s_cbranch_execz .LBB5_732
; %bb.731:
	v_mov_b32_e32 v21, 0
	ds_read_b64 v[19:20], v21 offset:6496
	ds_read_b32 v21, v21 offset:6240
	s_movk_i32 s14, 0x1800
	s_waitcnt lgkmcnt(0)
	v_mul_f32_e32 v20, v21, v20
	v_mul_f32_e32 v19, v19, v20
	v_add_u32_e64 v20, s14, 0
	ds_write2_b32 v20, v19, v19 offset0:25 offset1:88
.LBB5_732:
	s_or_b64 exec, exec, s[12:13]
	v_mov_b32_e32 v19, 0
	s_waitcnt lgkmcnt(0)
	s_barrier
	buffer_wbinvl1_vol
	s_and_saveexec_b64 s[14:15], s[8:9]
	s_cbranch_execz .LBB5_742
; %bb.733:
	v_lshlrev_b32_e32 v21, 2, v13
	v_lshlrev_b32_e32 v20, 8, v14
	ds_read_b32 v19, v21 offset:6208
	ds_read_b32 v22, v20 offset:6240
	v_cmp_gt_u32_e64 s[12:13], 56, v5
	s_waitcnt lgkmcnt(0)
	v_fma_f32 v19, v19, v22, 0
	s_and_saveexec_b64 s[16:17], s[12:13]
	s_cbranch_execnz .LBB5_1234
; %bb.734:
	s_or_b64 exec, exec, s[16:17]
	v_cmp_gt_u32_e64 s[12:13], 48, v5
	s_and_saveexec_b64 s[16:17], s[12:13]
	s_cbranch_execnz .LBB5_1235
.LBB5_735:
	s_or_b64 exec, exec, s[16:17]
	v_cmp_gt_u32_e64 s[12:13], 40, v5
	s_and_saveexec_b64 s[16:17], s[12:13]
	s_cbranch_execnz .LBB5_1236
.LBB5_736:
	s_or_b64 exec, exec, s[16:17]
	v_cmp_gt_u32_e64 s[12:13], 32, v5
	s_and_saveexec_b64 s[16:17], s[12:13]
	s_cbranch_execnz .LBB5_1237
.LBB5_737:
	s_or_b64 exec, exec, s[16:17]
	v_cmp_gt_u32_e64 s[12:13], 24, v5
	s_and_saveexec_b64 s[16:17], s[12:13]
	s_cbranch_execnz .LBB5_1238
.LBB5_738:
	s_or_b64 exec, exec, s[16:17]
	s_and_saveexec_b64 s[12:13], s[18:19]
	s_cbranch_execnz .LBB5_1239
.LBB5_739:
	s_or_b64 exec, exec, s[12:13]
	v_cmp_gt_u32_e64 s[12:13], 8, v5
	s_and_saveexec_b64 s[16:17], s[12:13]
	s_cbranch_execz .LBB5_741
.LBB5_740:
	v_lshlrev_b32_e32 v20, 2, v0
	v_mov_b32_e32 v21, 0
	ds_read_b32 v20, v20 offset:8000
	ds_read_b32 v21, v21 offset:8060
	s_waitcnt lgkmcnt(0)
	v_fmac_f32_e32 v19, v20, v21
.LBB5_741:
	s_or_b64 exec, exec, s[16:17]
.LBB5_742:
	s_or_b64 exec, exec, s[14:15]
	s_and_saveexec_b64 s[12:13], s[56:57]
	s_cbranch_execz .LBB5_744
; %bb.743:
	v_mov_b32_e32 v20, 0
	ds_read_b32 v20, v20 offset:5980
	s_waitcnt lgkmcnt(0)
	v_mul_f32_e32 v19, v19, v20
	v_xor_b32_e32 v20, 0x80000000, v19
	ds_write_b32 v15, v20
.LBB5_744:
	s_or_b64 exec, exec, s[12:13]
	s_waitcnt lgkmcnt(0)
	s_barrier
	s_and_saveexec_b64 s[12:13], s[58:59]
	s_cbranch_execz .LBB5_746
; %bb.745:
	v_lshlrev_b32_e32 v20, 2, v13
	ds_read_b32 v20, v20 offset:5952
	ds_read_b32 v21, v15
	s_waitcnt lgkmcnt(0)
	v_fma_f32 v19, -v20, v21, v19
.LBB5_746:
	s_or_b64 exec, exec, s[12:13]
	s_barrier
	s_and_saveexec_b64 s[12:13], s[60:61]
	s_cbranch_execz .LBB5_748
; %bb.747:
	v_mov_b32_e32 v20, 0
	ds_read_b32 v20, v20 offset:5720
	s_waitcnt lgkmcnt(0)
	v_mul_f32_e32 v19, v19, v20
	v_xor_b32_e32 v20, 0x80000000, v19
	ds_write_b32 v15, v20
.LBB5_748:
	s_or_b64 exec, exec, s[12:13]
	s_waitcnt lgkmcnt(0)
	s_barrier
	s_and_saveexec_b64 s[12:13], s[62:63]
	s_cbranch_execz .LBB5_750
; %bb.749:
	v_lshlrev_b32_e32 v20, 2, v13
	ds_read_b32 v20, v20 offset:5696
	ds_read_b32 v21, v15
	s_waitcnt lgkmcnt(0)
	v_fma_f32 v19, -v20, v21, v19
.LBB5_750:
	s_or_b64 exec, exec, s[12:13]
	s_barrier
	;; [unrolled: 24-line block ×6, first 2 shown]
	s_and_saveexec_b64 s[12:13], s[82:83]
	s_cbranch_execz .LBB5_768
; %bb.767:
	v_mov_b32_e32 v20, 0
	ds_read_b32 v20, v20 offset:4420
	s_waitcnt lgkmcnt(0)
	v_mul_f32_e32 v19, v19, v20
	v_xor_b32_e32 v20, 0x80000000, v19
	ds_write_b32 v15, v20
.LBB5_768:
	s_or_b64 exec, exec, s[12:13]
	s_waitcnt lgkmcnt(0)
	s_barrier
	s_and_saveexec_b64 s[12:13], s[66:67]
	s_cbranch_execz .LBB5_770
; %bb.769:
	v_mov_b32_e32 v20, 0
	ds_read_b32 v20, v20 offset:4416
	ds_read_b32 v21, v15
	s_waitcnt lgkmcnt(0)
	v_fma_f32 v19, -v20, v21, v19
.LBB5_770:
	s_or_b64 exec, exec, s[12:13]
	s_barrier
	s_and_saveexec_b64 s[12:13], s[66:67]
	s_cbranch_execz .LBB5_772
; %bb.771:
	v_mov_b32_e32 v20, 0
	ds_read_b32 v20, v20 offset:4160
	s_waitcnt lgkmcnt(0)
	v_mul_f32_e32 v19, v19, v20
	v_xor_b32_e32 v20, 0x80000000, v19
	ds_write_b32 v15, v20
.LBB5_772:
	s_or_b64 exec, exec, s[12:13]
	s_waitcnt lgkmcnt(0)
	s_barrier
	s_barrier
	s_and_saveexec_b64 s[12:13], s[8:9]
; %bb.773:
	v_lshlrev_b32_e32 v20, 2, v13
	v_lshl_or_b32 v20, v14, 8, v20
	ds_write_b32 v20, v19 offset:6208
; %bb.774:
	s_or_b64 exec, exec, s[12:13]
	s_waitcnt lgkmcnt(0)
	s_barrier
	s_barrier
	s_and_saveexec_b64 s[12:13], s[84:85]
	s_cbranch_execz .LBB5_776
; %bb.775:
	v_lshlrev_b32_e32 v19, 8, v0
	ds_read_b32 v20, v19 offset:6208
	s_movk_i32 s14, 0xff04
	v_mad_i32_i24 v21, v0, s14, v19
	s_waitcnt lgkmcnt(0)
	ds_write_b32 v21, v20 offset:4192
	ds_read_b32 v20, v19 offset:6212
	s_waitcnt lgkmcnt(0)
	ds_write_b32 v21, v20 offset:4448
	ds_read_b32 v20, v19 offset:6216
	;; [unrolled: 3-line block ×7, first 2 shown]
	s_waitcnt lgkmcnt(0)
	ds_write_b32 v21, v19 offset:5984
.LBB5_776:
	s_or_b64 exec, exec, s[12:13]
	s_waitcnt lgkmcnt(0)
	s_barrier
	s_and_saveexec_b64 s[12:13], vcc
	s_cbranch_execz .LBB5_778
; %bb.777:
	v_mov_b32_e32 v21, 0
	ds_read_b64 v[19:20], v21 offset:5976
	ds_read_b32 v21, v21 offset:5720
	s_movk_i32 s14, 0x1400
	s_waitcnt lgkmcnt(0)
	v_mul_f32_e32 v20, v21, v20
	v_mul_f32_e32 v19, v19, v20
	v_add_u32_e64 v20, s14, 0
	ds_write2_b32 v20, v19, v19 offset0:151 offset1:214
.LBB5_778:
	s_or_b64 exec, exec, s[12:13]
	v_mov_b32_e32 v19, 0
	s_waitcnt lgkmcnt(0)
	s_barrier
	buffer_wbinvl1_vol
	s_and_saveexec_b64 s[14:15], s[2:3]
	s_cbranch_execz .LBB5_782
; %bb.779:
	v_lshlrev_b32_e32 v19, 8, v3
	v_lshlrev_b32_e32 v20, 2, v1
	ds_read_b32 v21, v20 offset:5712
	ds_read_b32 v19, v19 offset:5720
	v_mov_b32_e32 v20, 0
	v_cmp_gt_u32_e64 s[12:13], 2, v5
	s_waitcnt lgkmcnt(0)
	v_fma_f32 v19, v21, v19, 0
	s_and_saveexec_b64 s[16:17], s[12:13]
	s_cbranch_execz .LBB5_781
; %bb.780:
	v_lshlrev_b32_e32 v21, 2, v0
	ds_read_b32 v21, v21 offset:5968
	ds_read_b32 v20, v20 offset:5980
	s_waitcnt lgkmcnt(0)
	v_fmac_f32_e32 v19, v21, v20
.LBB5_781:
	s_or_b64 exec, exec, s[16:17]
.LBB5_782:
	s_or_b64 exec, exec, s[14:15]
	s_and_saveexec_b64 s[12:13], s[28:29]
	s_cbranch_execz .LBB5_784
; %bb.783:
	v_mov_b32_e32 v20, 0
	ds_read_b32 v20, v20 offset:5460
	s_waitcnt lgkmcnt(0)
	v_mul_f32_e32 v19, v19, v20
	v_xor_b32_e32 v20, 0x80000000, v19
	ds_write_b32 v4, v20
.LBB5_784:
	s_or_b64 exec, exec, s[12:13]
	s_waitcnt lgkmcnt(0)
	s_barrier
	s_and_saveexec_b64 s[12:13], s[26:27]
	s_cbranch_execz .LBB5_786
; %bb.785:
	v_mov_b32_e32 v20, 0
	ds_read_b32 v20, v20 offset:5456
	ds_read_b32 v21, v4
	s_waitcnt lgkmcnt(0)
	v_fma_f32 v19, -v20, v21, v19
.LBB5_786:
	s_or_b64 exec, exec, s[12:13]
	s_barrier
	s_and_saveexec_b64 s[12:13], s[26:27]
	s_cbranch_execz .LBB5_788
; %bb.787:
	v_mov_b32_e32 v20, 0
	ds_read_b32 v20, v20 offset:5200
	s_waitcnt lgkmcnt(0)
	v_mul_f32_e32 v19, v19, v20
	v_xor_b32_e32 v20, 0x80000000, v19
	ds_write_b32 v4, v20
.LBB5_788:
	s_or_b64 exec, exec, s[12:13]
	s_waitcnt lgkmcnt(0)
	s_barrier
	s_barrier
	s_and_saveexec_b64 s[12:13], s[2:3]
; %bb.789:
	v_lshlrev_b32_e32 v20, 2, v1
	v_lshl_or_b32 v20, v3, 8, v20
	ds_write_b32 v20, v19 offset:5712
; %bb.790:
	s_or_b64 exec, exec, s[12:13]
	s_waitcnt lgkmcnt(0)
	s_barrier
	s_barrier
	s_and_saveexec_b64 s[12:13], s[30:31]
	s_cbranch_execz .LBB5_792
; %bb.791:
	v_lshlrev_b32_e32 v19, 2, v0
	s_movk_i32 s14, 0xfc
	v_mad_u32_u24 v20, v0, s14, v19
	ds_read_b32 v21, v20 offset:5712
	s_waitcnt lgkmcnt(0)
	ds_write_b32 v19, v21 offset:5208
	ds_read_b32 v20, v20 offset:5716
	s_waitcnt lgkmcnt(0)
	ds_write_b32 v19, v20 offset:5464
.LBB5_792:
	s_or_b64 exec, exec, s[12:13]
	s_waitcnt lgkmcnt(0)
	s_barrier
	s_and_saveexec_b64 s[12:13], vcc
	s_cbranch_execz .LBB5_794
; %bb.793:
	v_mov_b32_e32 v21, 0
	ds_read_b64 v[19:20], v21 offset:5456
	ds_read_b32 v21, v21 offset:5200
	s_movk_i32 s14, 0x1400
	s_waitcnt lgkmcnt(0)
	v_mul_f32_e32 v20, v21, v20
	v_mul_f32_e32 v19, v19, v20
	v_add_u32_e64 v20, s14, 0
	ds_write2_b32 v20, v19, v19 offset0:21 offset1:84
.LBB5_794:
	s_or_b64 exec, exec, s[12:13]
	v_mov_b32_e32 v19, 0
	s_waitcnt lgkmcnt(0)
	s_barrier
	buffer_wbinvl1_vol
	s_and_saveexec_b64 s[14:15], s[18:19]
	s_cbranch_execz .LBB5_800
; %bb.795:
	v_lshlrev_b32_e32 v21, 2, v6
	v_lshlrev_b32_e32 v20, 8, v11
	ds_read_b32 v19, v21 offset:5184
	ds_read_b32 v22, v20 offset:5200
	v_cmp_gt_u32_e64 s[12:13], 12, v5
	s_waitcnt lgkmcnt(0)
	v_fma_f32 v19, v19, v22, 0
	s_and_saveexec_b64 s[16:17], s[12:13]
	s_cbranch_execnz .LBB5_1240
; %bb.796:
	s_or_b64 exec, exec, s[16:17]
	v_cmp_gt_u32_e64 s[12:13], 8, v5
	s_and_saveexec_b64 s[16:17], s[12:13]
	s_cbranch_execnz .LBB5_1241
.LBB5_797:
	s_or_b64 exec, exec, s[16:17]
	v_cmp_gt_u32_e64 s[12:13], 4, v5
	s_and_saveexec_b64 s[16:17], s[12:13]
	s_cbranch_execz .LBB5_799
.LBB5_798:
	v_lshlrev_b32_e32 v20, 2, v0
	v_mov_b32_e32 v21, 0
	ds_read_b32 v20, v20 offset:5952
	ds_read_b32 v21, v21 offset:5980
	s_waitcnt lgkmcnt(0)
	v_fmac_f32_e32 v19, v20, v21
.LBB5_799:
	s_or_b64 exec, exec, s[16:17]
.LBB5_800:
	s_or_b64 exec, exec, s[14:15]
	s_and_saveexec_b64 s[12:13], s[36:37]
	s_cbranch_execz .LBB5_802
; %bb.801:
	v_mov_b32_e32 v20, 0
	ds_read_b32 v20, v20 offset:4940
	s_waitcnt lgkmcnt(0)
	v_mul_f32_e32 v19, v19, v20
	v_xor_b32_e32 v20, 0x80000000, v19
	ds_write_b32 v12, v20
.LBB5_802:
	s_or_b64 exec, exec, s[12:13]
	s_waitcnt lgkmcnt(0)
	s_barrier
	s_and_saveexec_b64 s[12:13], s[38:39]
	s_cbranch_execz .LBB5_804
; %bb.803:
	v_lshlrev_b32_e32 v20, 2, v6
	ds_read_b32 v20, v20 offset:4928
	ds_read_b32 v21, v12
	s_waitcnt lgkmcnt(0)
	v_fma_f32 v19, -v20, v21, v19
.LBB5_804:
	s_or_b64 exec, exec, s[12:13]
	s_barrier
	s_and_saveexec_b64 s[12:13], s[42:43]
	s_cbranch_execz .LBB5_806
; %bb.805:
	v_mov_b32_e32 v20, 0
	ds_read_b32 v20, v20 offset:4680
	s_waitcnt lgkmcnt(0)
	v_mul_f32_e32 v19, v19, v20
	v_xor_b32_e32 v20, 0x80000000, v19
	ds_write_b32 v12, v20
.LBB5_806:
	s_or_b64 exec, exec, s[12:13]
	s_waitcnt lgkmcnt(0)
	s_barrier
	s_and_saveexec_b64 s[12:13], s[44:45]
	s_cbranch_execz .LBB5_808
; %bb.807:
	v_lshlrev_b32_e32 v20, 2, v6
	ds_read_b32 v20, v20 offset:4672
	ds_read_b32 v21, v12
	s_waitcnt lgkmcnt(0)
	v_fma_f32 v19, -v20, v21, v19
.LBB5_808:
	s_or_b64 exec, exec, s[12:13]
	s_barrier
	s_and_saveexec_b64 s[12:13], s[52:53]
	s_cbranch_execz .LBB5_810
; %bb.809:
	v_mov_b32_e32 v20, 0
	ds_read_b32 v20, v20 offset:4420
	s_waitcnt lgkmcnt(0)
	v_mul_f32_e32 v19, v19, v20
	v_xor_b32_e32 v20, 0x80000000, v19
	ds_write_b32 v12, v20
.LBB5_810:
	s_or_b64 exec, exec, s[12:13]
	s_waitcnt lgkmcnt(0)
	s_barrier
	s_and_saveexec_b64 s[12:13], s[34:35]
	s_cbranch_execz .LBB5_812
; %bb.811:
	v_mov_b32_e32 v20, 0
	ds_read_b32 v20, v20 offset:4416
	ds_read_b32 v21, v12
	s_waitcnt lgkmcnt(0)
	v_fma_f32 v19, -v20, v21, v19
.LBB5_812:
	s_or_b64 exec, exec, s[12:13]
	s_barrier
	s_and_saveexec_b64 s[12:13], s[34:35]
	s_cbranch_execz .LBB5_814
; %bb.813:
	v_mov_b32_e32 v20, 0
	ds_read_b32 v20, v20 offset:4160
	s_waitcnt lgkmcnt(0)
	v_mul_f32_e32 v19, v19, v20
	v_xor_b32_e32 v20, 0x80000000, v19
	ds_write_b32 v12, v20
.LBB5_814:
	s_or_b64 exec, exec, s[12:13]
	s_waitcnt lgkmcnt(0)
	s_barrier
	s_barrier
	s_and_saveexec_b64 s[12:13], s[18:19]
; %bb.815:
	v_lshlrev_b32_e32 v20, 2, v6
	v_lshl_or_b32 v20, v11, 8, v20
	ds_write_b32 v20, v19 offset:5184
; %bb.816:
	s_or_b64 exec, exec, s[12:13]
	s_waitcnt lgkmcnt(0)
	s_barrier
	s_barrier
	s_and_saveexec_b64 s[12:13], s[54:55]
	s_cbranch_execz .LBB5_818
; %bb.817:
	v_lshlrev_b32_e32 v19, 8, v0
	ds_read_b32 v20, v19 offset:5184
	s_movk_i32 s14, 0xff04
	v_mad_i32_i24 v21, v0, s14, v19
	s_waitcnt lgkmcnt(0)
	ds_write_b32 v21, v20 offset:4176
	ds_read_b32 v20, v19 offset:5188
	s_waitcnt lgkmcnt(0)
	ds_write_b32 v21, v20 offset:4432
	ds_read_b32 v20, v19 offset:5192
	;; [unrolled: 3-line block ×3, first 2 shown]
	s_waitcnt lgkmcnt(0)
	ds_write_b32 v21, v19 offset:4944
.LBB5_818:
	s_or_b64 exec, exec, s[12:13]
	s_waitcnt lgkmcnt(0)
	s_barrier
	s_and_saveexec_b64 s[12:13], vcc
	s_cbranch_execz .LBB5_820
; %bb.819:
	v_mov_b32_e32 v21, 0
	ds_read_b64 v[19:20], v21 offset:4936
	ds_read_b32 v21, v21 offset:4680
	s_movk_i32 s14, 0x1000
	s_waitcnt lgkmcnt(0)
	v_mul_f32_e32 v20, v21, v20
	v_mul_f32_e32 v19, v19, v20
	v_add_u32_e64 v20, s14, 0
	ds_write2_b32 v20, v19, v19 offset0:147 offset1:210
.LBB5_820:
	s_or_b64 exec, exec, s[12:13]
	v_mov_b32_e32 v19, 0
	s_waitcnt lgkmcnt(0)
	s_barrier
	buffer_wbinvl1_vol
	s_and_saveexec_b64 s[14:15], s[2:3]
	s_cbranch_execz .LBB5_824
; %bb.821:
	v_lshlrev_b32_e32 v19, 8, v3
	v_lshlrev_b32_e32 v20, 2, v1
	ds_read_b32 v21, v20 offset:4672
	ds_read_b32 v19, v19 offset:4680
	v_mov_b32_e32 v20, 0
	v_cmp_gt_u32_e64 s[12:13], 2, v5
	s_waitcnt lgkmcnt(0)
	v_fma_f32 v19, v21, v19, 0
	s_and_saveexec_b64 s[16:17], s[12:13]
	s_cbranch_execz .LBB5_823
; %bb.822:
	v_lshlrev_b32_e32 v21, 2, v0
	ds_read_b32 v21, v21 offset:4928
	ds_read_b32 v20, v20 offset:4940
	s_waitcnt lgkmcnt(0)
	v_fmac_f32_e32 v19, v21, v20
.LBB5_823:
	s_or_b64 exec, exec, s[16:17]
.LBB5_824:
	s_or_b64 exec, exec, s[14:15]
	s_and_saveexec_b64 s[12:13], s[28:29]
	s_cbranch_execz .LBB5_826
; %bb.825:
	v_mov_b32_e32 v20, 0
	ds_read_b32 v20, v20 offset:4420
	s_waitcnt lgkmcnt(0)
	v_mul_f32_e32 v19, v19, v20
	v_xor_b32_e32 v20, 0x80000000, v19
	ds_write_b32 v4, v20
.LBB5_826:
	s_or_b64 exec, exec, s[12:13]
	s_waitcnt lgkmcnt(0)
	s_barrier
	s_and_saveexec_b64 s[12:13], s[26:27]
	s_cbranch_execz .LBB5_828
; %bb.827:
	v_mov_b32_e32 v20, 0
	ds_read_b32 v20, v20 offset:4416
	ds_read_b32 v21, v4
	s_waitcnt lgkmcnt(0)
	v_fma_f32 v19, -v20, v21, v19
.LBB5_828:
	s_or_b64 exec, exec, s[12:13]
	s_barrier
	s_and_saveexec_b64 s[12:13], s[26:27]
	s_cbranch_execz .LBB5_830
; %bb.829:
	v_mov_b32_e32 v20, 0
	ds_read_b32 v20, v20 offset:4160
	s_waitcnt lgkmcnt(0)
	v_mul_f32_e32 v19, v19, v20
	v_xor_b32_e32 v20, 0x80000000, v19
	ds_write_b32 v4, v20
.LBB5_830:
	s_or_b64 exec, exec, s[12:13]
	s_waitcnt lgkmcnt(0)
	s_barrier
	s_barrier
	s_and_saveexec_b64 s[12:13], s[2:3]
; %bb.831:
	v_lshlrev_b32_e32 v20, 2, v1
	v_lshl_or_b32 v20, v3, 8, v20
	ds_write_b32 v20, v19 offset:4672
; %bb.832:
	s_or_b64 exec, exec, s[12:13]
	s_waitcnt lgkmcnt(0)
	s_barrier
	s_barrier
	s_and_saveexec_b64 s[12:13], s[30:31]
	s_cbranch_execz .LBB5_834
; %bb.833:
	v_lshlrev_b32_e32 v19, 2, v0
	s_movk_i32 s14, 0xfc
	v_mad_u32_u24 v20, v0, s14, v19
	ds_read_b32 v21, v20 offset:4672
	s_waitcnt lgkmcnt(0)
	ds_write_b32 v19, v21 offset:4168
	ds_read_b32 v20, v20 offset:4676
	s_waitcnt lgkmcnt(0)
	ds_write_b32 v19, v20 offset:4424
.LBB5_834:
	s_or_b64 exec, exec, s[12:13]
	s_waitcnt lgkmcnt(0)
	s_barrier
	s_and_saveexec_b64 s[12:13], vcc
	s_cbranch_execz .LBB5_836
; %bb.835:
	v_mov_b32_e32 v21, 0
	ds_read_b64 v[19:20], v21 offset:4416
	ds_read_b32 v21, v21 offset:4160
	s_movk_i32 s14, 0x1000
	s_waitcnt lgkmcnt(0)
	v_mul_f32_e32 v20, v21, v20
	v_mul_f32_e32 v19, v19, v20
	v_add_u32_e64 v20, s14, 0
	ds_write2_b32 v20, v19, v19 offset0:17 offset1:80
.LBB5_836:
	s_or_b64 exec, exec, s[12:13]
	v_mov_b32_e32 v19, 0
	s_waitcnt lgkmcnt(0)
	s_barrier
	buffer_wbinvl1_vol
	s_and_saveexec_b64 s[14:15], s[10:11]
	s_cbranch_execz .LBB5_864
; %bb.837:
	v_lshlrev_b32_e32 v21, 2, v16
	v_lshlrev_b32_e32 v20, 8, v17
	ds_read_b32 v19, v21 offset:4096
	ds_read_b32 v22, v20 offset:4160
	s_movk_i32 s12, 0xf0
	v_cmp_gt_u32_e64 s[12:13], s12, v5
	s_waitcnt lgkmcnt(0)
	v_fma_f32 v19, v19, v22, 0
	s_and_saveexec_b64 s[16:17], s[12:13]
	s_cbranch_execz .LBB5_839
; %bb.838:
	ds_read_b32 v22, v21 offset:4352
	ds_read_b32 v23, v20 offset:4164
	s_waitcnt lgkmcnt(0)
	v_fmac_f32_e32 v19, v22, v23
.LBB5_839:
	s_or_b64 exec, exec, s[16:17]
	s_movk_i32 s12, 0xe0
	v_cmp_gt_u32_e64 s[12:13], s12, v5
	s_and_saveexec_b64 s[16:17], s[12:13]
	s_cbranch_execz .LBB5_841
; %bb.840:
	ds_read_b32 v22, v21 offset:4608
	ds_read_b32 v23, v20 offset:4168
	s_waitcnt lgkmcnt(0)
	v_fmac_f32_e32 v19, v22, v23
.LBB5_841:
	s_or_b64 exec, exec, s[16:17]
	s_movk_i32 s12, 0xd0
	v_cmp_gt_u32_e64 s[12:13], s12, v5
	s_and_saveexec_b64 s[16:17], s[12:13]
	s_cbranch_execz .LBB5_843
; %bb.842:
	ds_read_b32 v22, v21 offset:4864
	ds_read_b32 v23, v20 offset:4172
	s_waitcnt lgkmcnt(0)
	v_fmac_f32_e32 v19, v22, v23
.LBB5_843:
	s_or_b64 exec, exec, s[16:17]
	s_movk_i32 s12, 0xc0
	v_cmp_gt_u32_e64 s[12:13], s12, v5
	s_and_saveexec_b64 s[16:17], s[12:13]
	s_cbranch_execz .LBB5_845
; %bb.844:
	ds_read_b32 v22, v21 offset:5120
	ds_read_b32 v23, v20 offset:4176
	s_waitcnt lgkmcnt(0)
	v_fmac_f32_e32 v19, v22, v23
.LBB5_845:
	s_or_b64 exec, exec, s[16:17]
	s_movk_i32 s12, 0xb0
	v_cmp_gt_u32_e64 s[12:13], s12, v5
	s_and_saveexec_b64 s[16:17], s[12:13]
	s_cbranch_execz .LBB5_847
; %bb.846:
	ds_read_b32 v22, v21 offset:5376
	ds_read_b32 v23, v20 offset:4180
	s_waitcnt lgkmcnt(0)
	v_fmac_f32_e32 v19, v22, v23
.LBB5_847:
	s_or_b64 exec, exec, s[16:17]
	s_movk_i32 s12, 0xa0
	v_cmp_gt_u32_e64 s[12:13], s12, v5
	s_and_saveexec_b64 s[16:17], s[12:13]
	s_cbranch_execz .LBB5_849
; %bb.848:
	ds_read_b32 v22, v21 offset:5632
	ds_read_b32 v23, v20 offset:4184
	s_waitcnt lgkmcnt(0)
	v_fmac_f32_e32 v19, v22, v23
.LBB5_849:
	s_or_b64 exec, exec, s[16:17]
	s_movk_i32 s12, 0x90
	v_cmp_gt_u32_e64 s[12:13], s12, v5
	s_and_saveexec_b64 s[16:17], s[12:13]
	s_cbranch_execz .LBB5_851
; %bb.850:
	ds_read_b32 v22, v21 offset:5888
	ds_read_b32 v23, v20 offset:4188
	s_waitcnt lgkmcnt(0)
	v_fmac_f32_e32 v19, v22, v23
.LBB5_851:
	s_or_b64 exec, exec, s[16:17]
	s_movk_i32 s12, 0x80
	v_cmp_gt_u32_e64 s[12:13], s12, v5
	s_and_saveexec_b64 s[16:17], s[12:13]
	s_cbranch_execz .LBB5_853
; %bb.852:
	ds_read_b32 v22, v21 offset:6144
	ds_read_b32 v23, v20 offset:4192
	s_waitcnt lgkmcnt(0)
	v_fmac_f32_e32 v19, v22, v23
.LBB5_853:
	s_or_b64 exec, exec, s[16:17]
	s_movk_i32 s12, 0x70
	v_cmp_gt_u32_e64 s[12:13], s12, v5
	s_and_saveexec_b64 s[16:17], s[12:13]
	s_cbranch_execz .LBB5_855
; %bb.854:
	ds_read_b32 v22, v21 offset:6400
	ds_read_b32 v23, v20 offset:4196
	s_waitcnt lgkmcnt(0)
	v_fmac_f32_e32 v19, v22, v23
.LBB5_855:
	s_or_b64 exec, exec, s[16:17]
	s_movk_i32 s12, 0x60
	v_cmp_gt_u32_e64 s[12:13], s12, v5
	s_and_saveexec_b64 s[16:17], s[12:13]
	s_cbranch_execz .LBB5_857
; %bb.856:
	ds_read_b32 v22, v21 offset:6656
	ds_read_b32 v23, v20 offset:4200
	s_waitcnt lgkmcnt(0)
	v_fmac_f32_e32 v19, v22, v23
.LBB5_857:
	s_or_b64 exec, exec, s[16:17]
	s_movk_i32 s12, 0x50
	v_cmp_gt_u32_e64 s[12:13], s12, v5
	s_and_saveexec_b64 s[16:17], s[12:13]
	s_cbranch_execnz .LBB5_1242
; %bb.858:
	s_or_b64 exec, exec, s[16:17]
	s_and_saveexec_b64 s[12:13], s[8:9]
	s_cbranch_execnz .LBB5_1243
.LBB5_859:
	s_or_b64 exec, exec, s[12:13]
	v_cmp_gt_u32_e64 s[12:13], 48, v5
	s_and_saveexec_b64 s[16:17], s[12:13]
	s_cbranch_execnz .LBB5_1244
.LBB5_860:
	s_or_b64 exec, exec, s[16:17]
	v_cmp_gt_u32_e64 s[12:13], 32, v5
	s_and_saveexec_b64 s[16:17], s[12:13]
	s_cbranch_execnz .LBB5_1245
.LBB5_861:
	s_or_b64 exec, exec, s[16:17]
	v_cmp_gt_u32_e64 s[12:13], 16, v5
	s_and_saveexec_b64 s[16:17], s[12:13]
	s_cbranch_execz .LBB5_863
.LBB5_862:
	v_lshlrev_b32_e32 v20, 2, v0
	v_mov_b32_e32 v21, 0
	ds_read_b32 v20, v20 offset:7936
	ds_read_b32 v21, v21 offset:8060
	s_waitcnt lgkmcnt(0)
	v_fmac_f32_e32 v19, v20, v21
.LBB5_863:
	s_or_b64 exec, exec, s[16:17]
.LBB5_864:
	s_or_b64 exec, exec, s[14:15]
	s_mov_b64 s[12:13], exec
	v_readlane_b32 s14, v27, 4
	v_readlane_b32 s15, v27, 5
	s_and_b64 s[14:15], s[12:13], s[14:15]
	s_mov_b64 exec, s[14:15]
	s_cbranch_execz .LBB5_866
; %bb.865:
	v_mov_b32_e32 v20, 0
	ds_read_b32 v20, v20 offset:3900
	s_waitcnt lgkmcnt(0)
	v_mul_f32_e32 v19, v19, v20
	v_xor_b32_e32 v20, 0x80000000, v19
	ds_write_b32 v18, v20
.LBB5_866:
	s_or_b64 exec, exec, s[12:13]
	s_waitcnt lgkmcnt(0)
	s_barrier
	s_mov_b64 s[12:13], exec
	v_readlane_b32 s14, v27, 6
	v_readlane_b32 s15, v27, 7
	s_and_b64 s[14:15], s[12:13], s[14:15]
	s_mov_b64 exec, s[14:15]
	s_cbranch_execz .LBB5_868
; %bb.867:
	v_lshlrev_b32_e32 v20, 2, v16
	ds_read_b32 v20, v20 offset:3840
	ds_read_b32 v21, v18
	s_waitcnt lgkmcnt(0)
	v_fma_f32 v19, -v20, v21, v19
.LBB5_868:
	s_or_b64 exec, exec, s[12:13]
	s_barrier
	s_mov_b64 s[12:13], exec
	v_readlane_b32 s14, v27, 8
	v_readlane_b32 s15, v27, 9
	s_and_b64 s[14:15], s[12:13], s[14:15]
	s_mov_b64 exec, s[14:15]
	s_cbranch_execz .LBB5_870
; %bb.869:
	v_mov_b32_e32 v20, 0
	ds_read_b32 v20, v20 offset:3640
	s_waitcnt lgkmcnt(0)
	v_mul_f32_e32 v19, v19, v20
	v_xor_b32_e32 v20, 0x80000000, v19
	ds_write_b32 v18, v20
.LBB5_870:
	s_or_b64 exec, exec, s[12:13]
	s_waitcnt lgkmcnt(0)
	s_barrier
	s_mov_b64 s[12:13], exec
	v_readlane_b32 s14, v27, 10
	v_readlane_b32 s15, v27, 11
	s_and_b64 s[14:15], s[12:13], s[14:15]
	s_mov_b64 exec, s[14:15]
	s_cbranch_execz .LBB5_872
; %bb.871:
	v_lshlrev_b32_e32 v20, 2, v16
	ds_read_b32 v20, v20 offset:3584
	ds_read_b32 v21, v18
	s_waitcnt lgkmcnt(0)
	v_fma_f32 v19, -v20, v21, v19
.LBB5_872:
	s_or_b64 exec, exec, s[12:13]
	s_barrier
	;; [unrolled: 32-line block ×13, first 2 shown]
	s_mov_b64 s[12:13], exec
	v_readlane_b32 s14, v27, 56
	v_readlane_b32 s15, v27, 57
	s_and_b64 s[14:15], s[12:13], s[14:15]
	s_mov_b64 exec, s[14:15]
	s_cbranch_execz .LBB5_918
; %bb.917:
	v_mov_b32_e32 v20, 0
	ds_read_b32 v20, v20 offset:520
	s_waitcnt lgkmcnt(0)
	v_mul_f32_e32 v19, v19, v20
	v_xor_b32_e32 v20, 0x80000000, v19
	ds_write_b32 v18, v20
.LBB5_918:
	s_or_b64 exec, exec, s[12:13]
	s_waitcnt lgkmcnt(0)
	s_barrier
	s_and_saveexec_b64 s[12:13], s[0:1]
	s_cbranch_execz .LBB5_920
; %bb.919:
	v_lshlrev_b32_e32 v20, 2, v16
	ds_read_b32 v20, v20 offset:512
	ds_read_b32 v21, v18
	s_waitcnt lgkmcnt(0)
	v_fma_f32 v19, -v20, v21, v19
.LBB5_920:
	s_or_b64 exec, exec, s[12:13]
	s_barrier
	s_mov_b64 s[0:1], exec
	v_readlane_b32 s12, v27, 58
	v_readlane_b32 s13, v27, 59
	s_and_b64 s[12:13], s[0:1], s[12:13]
	s_mov_b64 exec, s[12:13]
	s_cbranch_execz .LBB5_922
; %bb.921:
	v_mov_b32_e32 v20, 0
	ds_read_b32 v20, v20 offset:260
	s_waitcnt lgkmcnt(0)
	v_mul_f32_e32 v19, v19, v20
	v_xor_b32_e32 v20, 0x80000000, v19
	ds_write_b32 v18, v20
.LBB5_922:
	s_or_b64 exec, exec, s[0:1]
	s_waitcnt lgkmcnt(0)
	s_barrier
	s_and_saveexec_b64 s[0:1], s[92:93]
	s_cbranch_execz .LBB5_924
; %bb.923:
	v_mov_b32_e32 v20, 0
	ds_read_b32 v20, v20 offset:256
	ds_read_b32 v21, v18
	s_waitcnt lgkmcnt(0)
	v_fma_f32 v19, -v20, v21, v19
.LBB5_924:
	s_or_b64 exec, exec, s[0:1]
	s_barrier
	s_and_saveexec_b64 s[0:1], s[92:93]
	s_cbranch_execz .LBB5_926
; %bb.925:
	v_mov_b32_e32 v20, 0
	ds_read_b32 v20, v20
	s_waitcnt lgkmcnt(0)
	v_mul_f32_e32 v19, v19, v20
	v_xor_b32_e32 v20, 0x80000000, v19
	ds_write_b32 v18, v20
.LBB5_926:
	s_or_b64 exec, exec, s[0:1]
	s_waitcnt lgkmcnt(0)
	s_barrier
	s_barrier
	s_and_saveexec_b64 s[0:1], s[10:11]
; %bb.927:
	v_lshlrev_b32_e32 v16, 2, v16
	v_lshl_or_b32 v16, v17, 8, v16
	ds_write_b32 v16, v19 offset:4096
; %bb.928:
	s_or_b64 exec, exec, s[0:1]
	s_waitcnt lgkmcnt(0)
	s_barrier
	s_barrier
	s_mov_b64 s[0:1], exec
	v_readlane_b32 s10, v27, 60
	v_readlane_b32 s11, v27, 61
	s_and_b64 s[10:11], s[0:1], s[10:11]
	s_mov_b64 exec, s[10:11]
	s_cbranch_execz .LBB5_930
; %bb.929:
	v_lshlrev_b32_e32 v16, 8, v0
	ds_read_b32 v17, v16 offset:4096
	s_movk_i32 s10, 0xff04
	v_mad_i32_i24 v18, v0, s10, v16
	s_waitcnt lgkmcnt(0)
	ds_write_b32 v18, v17 offset:64
	ds_read_b32 v17, v16 offset:4100
	s_waitcnt lgkmcnt(0)
	ds_write_b32 v18, v17 offset:320
	ds_read_b32 v17, v16 offset:4104
	;; [unrolled: 3-line block ×15, first 2 shown]
	s_waitcnt lgkmcnt(0)
	ds_write_b32 v18, v16 offset:3904
.LBB5_930:
	s_or_b64 exec, exec, s[0:1]
	s_waitcnt lgkmcnt(0)
	s_barrier
	s_and_saveexec_b64 s[0:1], vcc
	s_cbranch_execz .LBB5_932
; %bb.931:
	v_mov_b32_e32 v18, 0
	ds_read_b64 v[16:17], v18 offset:3896
	ds_read_b32 v18, v18 offset:3640
	s_movk_i32 s10, 0xc00
	s_waitcnt lgkmcnt(0)
	v_mul_f32_e32 v17, v18, v17
	v_mul_f32_e32 v16, v16, v17
	v_add_u32_e64 v17, s10, 0
	ds_write2_b32 v17, v16, v16 offset0:143 offset1:206
.LBB5_932:
	s_or_b64 exec, exec, s[0:1]
	v_mov_b32_e32 v16, 0
	s_waitcnt lgkmcnt(0)
	s_barrier
	buffer_wbinvl1_vol
	s_and_saveexec_b64 s[0:1], s[2:3]
	s_cbranch_execz .LBB5_936
; %bb.933:
	v_lshlrev_b32_e32 v16, 8, v3
	v_lshlrev_b32_e32 v17, 2, v1
	ds_read_b32 v18, v17 offset:3632
	ds_read_b32 v16, v16 offset:3640
	v_mov_b32_e32 v17, 0
	v_cmp_gt_u32_e64 s[10:11], 2, v5
	s_waitcnt lgkmcnt(0)
	v_fma_f32 v16, v18, v16, 0
	s_and_saveexec_b64 s[12:13], s[10:11]
	s_cbranch_execz .LBB5_935
; %bb.934:
	v_lshlrev_b32_e32 v18, 2, v0
	ds_read_b32 v18, v18 offset:3888
	ds_read_b32 v17, v17 offset:3900
	s_waitcnt lgkmcnt(0)
	v_fmac_f32_e32 v16, v18, v17
.LBB5_935:
	s_or_b64 exec, exec, s[12:13]
.LBB5_936:
	s_or_b64 exec, exec, s[0:1]
	s_and_saveexec_b64 s[0:1], s[28:29]
	s_cbranch_execz .LBB5_938
; %bb.937:
	v_mov_b32_e32 v17, 0
	ds_read_b32 v17, v17 offset:3380
	s_waitcnt lgkmcnt(0)
	v_mul_f32_e32 v16, v16, v17
	v_xor_b32_e32 v17, 0x80000000, v16
	ds_write_b32 v4, v17
.LBB5_938:
	s_or_b64 exec, exec, s[0:1]
	s_waitcnt lgkmcnt(0)
	s_barrier
	s_and_saveexec_b64 s[0:1], s[26:27]
	s_cbranch_execz .LBB5_940
; %bb.939:
	v_mov_b32_e32 v17, 0
	ds_read_b32 v17, v17 offset:3376
	ds_read_b32 v18, v4
	s_waitcnt lgkmcnt(0)
	v_fma_f32 v16, -v17, v18, v16
.LBB5_940:
	s_or_b64 exec, exec, s[0:1]
	s_barrier
	s_and_saveexec_b64 s[0:1], s[26:27]
	s_cbranch_execz .LBB5_942
; %bb.941:
	v_mov_b32_e32 v17, 0
	ds_read_b32 v17, v17 offset:3120
	s_waitcnt lgkmcnt(0)
	v_mul_f32_e32 v16, v16, v17
	v_xor_b32_e32 v17, 0x80000000, v16
	ds_write_b32 v4, v17
.LBB5_942:
	s_or_b64 exec, exec, s[0:1]
	s_waitcnt lgkmcnt(0)
	s_barrier
	s_barrier
	s_and_saveexec_b64 s[0:1], s[2:3]
; %bb.943:
	v_lshlrev_b32_e32 v17, 2, v1
	v_lshl_or_b32 v17, v3, 8, v17
	ds_write_b32 v17, v16 offset:3632
; %bb.944:
	s_or_b64 exec, exec, s[0:1]
	s_waitcnt lgkmcnt(0)
	s_barrier
	s_barrier
	s_and_saveexec_b64 s[0:1], s[30:31]
	s_cbranch_execz .LBB5_946
; %bb.945:
	v_lshlrev_b32_e32 v16, 2, v0
	s_movk_i32 s10, 0xfc
	v_mad_u32_u24 v17, v0, s10, v16
	ds_read_b32 v18, v17 offset:3632
	s_waitcnt lgkmcnt(0)
	ds_write_b32 v16, v18 offset:3128
	ds_read_b32 v17, v17 offset:3636
	s_waitcnt lgkmcnt(0)
	ds_write_b32 v16, v17 offset:3384
.LBB5_946:
	s_or_b64 exec, exec, s[0:1]
	s_waitcnt lgkmcnt(0)
	s_barrier
	s_and_saveexec_b64 s[0:1], vcc
	s_cbranch_execz .LBB5_948
; %bb.947:
	v_mov_b32_e32 v18, 0
	ds_read_b64 v[16:17], v18 offset:3376
	ds_read_b32 v18, v18 offset:3120
	s_movk_i32 s10, 0xc00
	s_waitcnt lgkmcnt(0)
	v_mul_f32_e32 v17, v18, v17
	v_mul_f32_e32 v16, v16, v17
	v_add_u32_e64 v17, s10, 0
	ds_write2_b32 v17, v16, v16 offset0:13 offset1:76
.LBB5_948:
	s_or_b64 exec, exec, s[0:1]
	v_mov_b32_e32 v16, 0
	s_waitcnt lgkmcnt(0)
	s_barrier
	buffer_wbinvl1_vol
	s_and_saveexec_b64 s[0:1], s[18:19]
	s_cbranch_execz .LBB5_954
; %bb.949:
	v_lshlrev_b32_e32 v18, 2, v6
	v_lshlrev_b32_e32 v17, 8, v11
	ds_read_b32 v16, v18 offset:3104
	ds_read_b32 v19, v17 offset:3120
	v_cmp_gt_u32_e64 s[10:11], 12, v5
	s_waitcnt lgkmcnt(0)
	v_fma_f32 v16, v16, v19, 0
	s_and_saveexec_b64 s[12:13], s[10:11]
	s_cbranch_execnz .LBB5_1246
; %bb.950:
	s_or_b64 exec, exec, s[12:13]
	v_cmp_gt_u32_e64 s[10:11], 8, v5
	s_and_saveexec_b64 s[12:13], s[10:11]
	s_cbranch_execnz .LBB5_1247
.LBB5_951:
	s_or_b64 exec, exec, s[12:13]
	v_cmp_gt_u32_e64 s[10:11], 4, v5
	s_and_saveexec_b64 s[12:13], s[10:11]
	s_cbranch_execz .LBB5_953
.LBB5_952:
	v_lshlrev_b32_e32 v17, 2, v0
	v_mov_b32_e32 v18, 0
	ds_read_b32 v17, v17 offset:3872
	ds_read_b32 v18, v18 offset:3900
	s_waitcnt lgkmcnt(0)
	v_fmac_f32_e32 v16, v17, v18
.LBB5_953:
	s_or_b64 exec, exec, s[12:13]
.LBB5_954:
	s_or_b64 exec, exec, s[0:1]
	s_and_saveexec_b64 s[0:1], s[36:37]
	s_cbranch_execz .LBB5_956
; %bb.955:
	v_mov_b32_e32 v17, 0
	ds_read_b32 v17, v17 offset:2860
	s_waitcnt lgkmcnt(0)
	v_mul_f32_e32 v16, v16, v17
	v_xor_b32_e32 v17, 0x80000000, v16
	ds_write_b32 v12, v17
.LBB5_956:
	s_or_b64 exec, exec, s[0:1]
	s_waitcnt lgkmcnt(0)
	s_barrier
	s_and_saveexec_b64 s[0:1], s[38:39]
	s_cbranch_execz .LBB5_958
; %bb.957:
	v_lshlrev_b32_e32 v17, 2, v6
	ds_read_b32 v17, v17 offset:2848
	ds_read_b32 v18, v12
	s_waitcnt lgkmcnt(0)
	v_fma_f32 v16, -v17, v18, v16
.LBB5_958:
	s_or_b64 exec, exec, s[0:1]
	s_barrier
	s_and_saveexec_b64 s[0:1], s[42:43]
	s_cbranch_execz .LBB5_960
; %bb.959:
	v_mov_b32_e32 v17, 0
	ds_read_b32 v17, v17 offset:2600
	s_waitcnt lgkmcnt(0)
	v_mul_f32_e32 v16, v16, v17
	v_xor_b32_e32 v17, 0x80000000, v16
	ds_write_b32 v12, v17
.LBB5_960:
	s_or_b64 exec, exec, s[0:1]
	s_waitcnt lgkmcnt(0)
	s_barrier
	s_and_saveexec_b64 s[0:1], s[44:45]
	s_cbranch_execz .LBB5_962
; %bb.961:
	v_lshlrev_b32_e32 v17, 2, v6
	ds_read_b32 v17, v17 offset:2592
	ds_read_b32 v18, v12
	s_waitcnt lgkmcnt(0)
	v_fma_f32 v16, -v17, v18, v16
.LBB5_962:
	s_or_b64 exec, exec, s[0:1]
	s_barrier
	s_and_saveexec_b64 s[0:1], s[52:53]
	s_cbranch_execz .LBB5_964
; %bb.963:
	v_mov_b32_e32 v17, 0
	ds_read_b32 v17, v17 offset:2340
	s_waitcnt lgkmcnt(0)
	v_mul_f32_e32 v16, v16, v17
	v_xor_b32_e32 v17, 0x80000000, v16
	ds_write_b32 v12, v17
.LBB5_964:
	s_or_b64 exec, exec, s[0:1]
	s_waitcnt lgkmcnt(0)
	s_barrier
	s_and_saveexec_b64 s[0:1], s[34:35]
	s_cbranch_execz .LBB5_966
; %bb.965:
	v_mov_b32_e32 v17, 0
	ds_read_b32 v17, v17 offset:2336
	ds_read_b32 v18, v12
	s_waitcnt lgkmcnt(0)
	v_fma_f32 v16, -v17, v18, v16
.LBB5_966:
	s_or_b64 exec, exec, s[0:1]
	s_barrier
	s_and_saveexec_b64 s[0:1], s[34:35]
	s_cbranch_execz .LBB5_968
; %bb.967:
	v_mov_b32_e32 v17, 0
	ds_read_b32 v17, v17 offset:2080
	s_waitcnt lgkmcnt(0)
	v_mul_f32_e32 v16, v16, v17
	v_xor_b32_e32 v17, 0x80000000, v16
	ds_write_b32 v12, v17
.LBB5_968:
	s_or_b64 exec, exec, s[0:1]
	s_waitcnt lgkmcnt(0)
	s_barrier
	s_barrier
	s_and_saveexec_b64 s[0:1], s[18:19]
; %bb.969:
	v_lshlrev_b32_e32 v17, 2, v6
	v_lshl_or_b32 v17, v11, 8, v17
	ds_write_b32 v17, v16 offset:3104
; %bb.970:
	s_or_b64 exec, exec, s[0:1]
	s_waitcnt lgkmcnt(0)
	s_barrier
	s_barrier
	s_and_saveexec_b64 s[0:1], s[54:55]
	s_cbranch_execz .LBB5_972
; %bb.971:
	v_lshlrev_b32_e32 v16, 8, v0
	ds_read_b32 v17, v16 offset:3104
	s_movk_i32 s10, 0xff04
	v_mad_i32_i24 v18, v0, s10, v16
	s_waitcnt lgkmcnt(0)
	ds_write_b32 v18, v17 offset:2096
	ds_read_b32 v17, v16 offset:3108
	s_waitcnt lgkmcnt(0)
	ds_write_b32 v18, v17 offset:2352
	ds_read_b32 v17, v16 offset:3112
	;; [unrolled: 3-line block ×3, first 2 shown]
	s_waitcnt lgkmcnt(0)
	ds_write_b32 v18, v16 offset:2864
.LBB5_972:
	s_or_b64 exec, exec, s[0:1]
	s_waitcnt lgkmcnt(0)
	s_barrier
	s_and_saveexec_b64 s[0:1], vcc
	s_cbranch_execz .LBB5_974
; %bb.973:
	v_mov_b32_e32 v18, 0
	ds_read_b64 v[16:17], v18 offset:2856
	ds_read_b32 v18, v18 offset:2600
	s_movk_i32 s10, 0x800
	s_waitcnt lgkmcnt(0)
	v_mul_f32_e32 v17, v18, v17
	v_mul_f32_e32 v16, v16, v17
	v_add_u32_e64 v17, s10, 0
	ds_write2_b32 v17, v16, v16 offset0:139 offset1:202
.LBB5_974:
	s_or_b64 exec, exec, s[0:1]
	v_mov_b32_e32 v16, 0
	s_waitcnt lgkmcnt(0)
	s_barrier
	buffer_wbinvl1_vol
	s_and_saveexec_b64 s[0:1], s[2:3]
	s_cbranch_execz .LBB5_978
; %bb.975:
	v_lshlrev_b32_e32 v16, 8, v3
	v_lshlrev_b32_e32 v17, 2, v1
	ds_read_b32 v18, v17 offset:2592
	ds_read_b32 v16, v16 offset:2600
	v_mov_b32_e32 v17, 0
	v_cmp_gt_u32_e64 s[10:11], 2, v5
	s_waitcnt lgkmcnt(0)
	v_fma_f32 v16, v18, v16, 0
	s_and_saveexec_b64 s[12:13], s[10:11]
	s_cbranch_execz .LBB5_977
; %bb.976:
	v_lshlrev_b32_e32 v18, 2, v0
	ds_read_b32 v18, v18 offset:2848
	ds_read_b32 v17, v17 offset:2860
	s_waitcnt lgkmcnt(0)
	v_fmac_f32_e32 v16, v18, v17
.LBB5_977:
	s_or_b64 exec, exec, s[12:13]
.LBB5_978:
	s_or_b64 exec, exec, s[0:1]
	s_and_saveexec_b64 s[0:1], s[28:29]
	s_cbranch_execz .LBB5_980
; %bb.979:
	v_mov_b32_e32 v17, 0
	ds_read_b32 v17, v17 offset:2340
	s_waitcnt lgkmcnt(0)
	v_mul_f32_e32 v16, v16, v17
	v_xor_b32_e32 v17, 0x80000000, v16
	ds_write_b32 v4, v17
.LBB5_980:
	s_or_b64 exec, exec, s[0:1]
	s_waitcnt lgkmcnt(0)
	s_barrier
	s_and_saveexec_b64 s[0:1], s[26:27]
	s_cbranch_execz .LBB5_982
; %bb.981:
	v_mov_b32_e32 v17, 0
	ds_read_b32 v17, v17 offset:2336
	ds_read_b32 v18, v4
	s_waitcnt lgkmcnt(0)
	v_fma_f32 v16, -v17, v18, v16
.LBB5_982:
	s_or_b64 exec, exec, s[0:1]
	s_barrier
	s_and_saveexec_b64 s[0:1], s[26:27]
	s_cbranch_execz .LBB5_984
; %bb.983:
	v_mov_b32_e32 v17, 0
	ds_read_b32 v17, v17 offset:2080
	s_waitcnt lgkmcnt(0)
	v_mul_f32_e32 v16, v16, v17
	v_xor_b32_e32 v17, 0x80000000, v16
	ds_write_b32 v4, v17
.LBB5_984:
	s_or_b64 exec, exec, s[0:1]
	s_waitcnt lgkmcnt(0)
	s_barrier
	s_barrier
	s_and_saveexec_b64 s[0:1], s[2:3]
; %bb.985:
	v_lshlrev_b32_e32 v17, 2, v1
	v_lshl_or_b32 v17, v3, 8, v17
	ds_write_b32 v17, v16 offset:2592
; %bb.986:
	s_or_b64 exec, exec, s[0:1]
	s_waitcnt lgkmcnt(0)
	s_barrier
	s_barrier
	s_and_saveexec_b64 s[0:1], s[30:31]
	s_cbranch_execz .LBB5_988
; %bb.987:
	v_lshlrev_b32_e32 v16, 2, v0
	s_movk_i32 s10, 0xfc
	v_mad_u32_u24 v17, v0, s10, v16
	ds_read_b32 v18, v17 offset:2592
	s_waitcnt lgkmcnt(0)
	ds_write_b32 v16, v18 offset:2088
	ds_read_b32 v17, v17 offset:2596
	s_waitcnt lgkmcnt(0)
	ds_write_b32 v16, v17 offset:2344
.LBB5_988:
	s_or_b64 exec, exec, s[0:1]
	s_waitcnt lgkmcnt(0)
	s_barrier
	s_and_saveexec_b64 s[0:1], vcc
	s_cbranch_execz .LBB5_990
; %bb.989:
	v_mov_b32_e32 v18, 0
	ds_read_b64 v[16:17], v18 offset:2336
	ds_read_b32 v18, v18 offset:2080
	s_movk_i32 s10, 0x800
	s_waitcnt lgkmcnt(0)
	v_mul_f32_e32 v17, v18, v17
	v_mul_f32_e32 v16, v16, v17
	v_add_u32_e64 v17, s10, 0
	ds_write2_b32 v17, v16, v16 offset0:9 offset1:72
.LBB5_990:
	s_or_b64 exec, exec, s[0:1]
	v_mov_b32_e32 v16, 0
	s_waitcnt lgkmcnt(0)
	s_barrier
	buffer_wbinvl1_vol
	s_and_saveexec_b64 s[0:1], s[8:9]
	s_cbranch_execz .LBB5_1000
; %bb.991:
	v_lshlrev_b32_e32 v18, 2, v13
	v_lshlrev_b32_e32 v17, 8, v14
	ds_read_b32 v16, v18 offset:2048
	ds_read_b32 v19, v17 offset:2080
	v_cmp_gt_u32_e64 s[10:11], 56, v5
	s_waitcnt lgkmcnt(0)
	v_fma_f32 v16, v16, v19, 0
	s_and_saveexec_b64 s[12:13], s[10:11]
	s_cbranch_execnz .LBB5_1248
; %bb.992:
	s_or_b64 exec, exec, s[12:13]
	v_cmp_gt_u32_e64 s[10:11], 48, v5
	s_and_saveexec_b64 s[12:13], s[10:11]
	s_cbranch_execnz .LBB5_1249
.LBB5_993:
	s_or_b64 exec, exec, s[12:13]
	v_cmp_gt_u32_e64 s[10:11], 40, v5
	s_and_saveexec_b64 s[12:13], s[10:11]
	s_cbranch_execnz .LBB5_1250
.LBB5_994:
	s_or_b64 exec, exec, s[12:13]
	v_cmp_gt_u32_e64 s[10:11], 32, v5
	s_and_saveexec_b64 s[12:13], s[10:11]
	s_cbranch_execnz .LBB5_1251
.LBB5_995:
	s_or_b64 exec, exec, s[12:13]
	v_cmp_gt_u32_e64 s[10:11], 24, v5
	s_and_saveexec_b64 s[12:13], s[10:11]
	s_cbranch_execnz .LBB5_1252
.LBB5_996:
	s_or_b64 exec, exec, s[12:13]
	s_and_saveexec_b64 s[10:11], s[18:19]
	s_cbranch_execnz .LBB5_1253
.LBB5_997:
	s_or_b64 exec, exec, s[10:11]
	v_cmp_gt_u32_e64 s[10:11], 8, v5
	s_and_saveexec_b64 s[12:13], s[10:11]
	s_cbranch_execz .LBB5_999
.LBB5_998:
	v_lshlrev_b32_e32 v17, 2, v0
	v_mov_b32_e32 v18, 0
	ds_read_b32 v17, v17 offset:3840
	ds_read_b32 v18, v18 offset:3900
	s_waitcnt lgkmcnt(0)
	v_fmac_f32_e32 v16, v17, v18
.LBB5_999:
	s_or_b64 exec, exec, s[12:13]
.LBB5_1000:
	s_or_b64 exec, exec, s[0:1]
	s_and_saveexec_b64 s[0:1], s[56:57]
	s_cbranch_execz .LBB5_1002
; %bb.1001:
	v_mov_b32_e32 v17, 0
	ds_read_b32 v17, v17 offset:1820
	s_waitcnt lgkmcnt(0)
	v_mul_f32_e32 v16, v16, v17
	v_xor_b32_e32 v17, 0x80000000, v16
	ds_write_b32 v15, v17
.LBB5_1002:
	s_or_b64 exec, exec, s[0:1]
	s_waitcnt lgkmcnt(0)
	s_barrier
	s_and_saveexec_b64 s[0:1], s[58:59]
	v_readlane_b32 s56, v27, 2
	v_readlane_b32 s57, v27, 3
	s_cbranch_execz .LBB5_1004
; %bb.1003:
	v_lshlrev_b32_e32 v17, 2, v13
	ds_read_b32 v17, v17 offset:1792
	ds_read_b32 v18, v15
	s_waitcnt lgkmcnt(0)
	v_fma_f32 v16, -v17, v18, v16
.LBB5_1004:
	s_or_b64 exec, exec, s[0:1]
	s_barrier
	s_and_saveexec_b64 s[0:1], s[60:61]
	s_cbranch_execz .LBB5_1006
; %bb.1005:
	v_mov_b32_e32 v17, 0
	ds_read_b32 v17, v17 offset:1560
	s_waitcnt lgkmcnt(0)
	v_mul_f32_e32 v16, v16, v17
	v_xor_b32_e32 v17, 0x80000000, v16
	ds_write_b32 v15, v17
.LBB5_1006:
	s_or_b64 exec, exec, s[0:1]
	s_waitcnt lgkmcnt(0)
	s_barrier
	s_and_saveexec_b64 s[0:1], s[62:63]
	s_cbranch_execz .LBB5_1008
; %bb.1007:
	v_lshlrev_b32_e32 v17, 2, v13
	ds_read_b32 v17, v17 offset:1536
	ds_read_b32 v18, v15
	s_waitcnt lgkmcnt(0)
	v_fma_f32 v16, -v17, v18, v16
.LBB5_1008:
	s_or_b64 exec, exec, s[0:1]
	s_barrier
	s_and_saveexec_b64 s[0:1], s[64:65]
	s_cbranch_execz .LBB5_1010
; %bb.1009:
	v_mov_b32_e32 v17, 0
	ds_read_b32 v17, v17 offset:1300
	s_waitcnt lgkmcnt(0)
	v_mul_f32_e32 v16, v16, v17
	v_xor_b32_e32 v17, 0x80000000, v16
	ds_write_b32 v15, v17
.LBB5_1010:
	s_or_b64 exec, exec, s[0:1]
	s_waitcnt lgkmcnt(0)
	s_barrier
	s_and_saveexec_b64 s[0:1], s[68:69]
	s_cbranch_execz .LBB5_1012
; %bb.1011:
	v_lshlrev_b32_e32 v17, 2, v13
	ds_read_b32 v17, v17 offset:1280
	ds_read_b32 v18, v15
	s_waitcnt lgkmcnt(0)
	v_fma_f32 v16, -v17, v18, v16
.LBB5_1012:
	s_or_b64 exec, exec, s[0:1]
	s_barrier
	s_and_saveexec_b64 s[0:1], s[70:71]
	s_cbranch_execz .LBB5_1014
; %bb.1013:
	v_mov_b32_e32 v17, 0
	ds_read_b32 v17, v17 offset:1040
	s_waitcnt lgkmcnt(0)
	v_mul_f32_e32 v16, v16, v17
	v_xor_b32_e32 v17, 0x80000000, v16
	ds_write_b32 v15, v17
.LBB5_1014:
	s_or_b64 exec, exec, s[0:1]
	s_waitcnt lgkmcnt(0)
	s_barrier
	s_and_saveexec_b64 s[0:1], s[72:73]
	s_cbranch_execz .LBB5_1016
; %bb.1015:
	v_lshlrev_b32_e32 v17, 2, v13
	ds_read_b32 v17, v17 offset:1024
	ds_read_b32 v18, v15
	s_waitcnt lgkmcnt(0)
	v_fma_f32 v16, -v17, v18, v16
.LBB5_1016:
	s_or_b64 exec, exec, s[0:1]
	s_barrier
	s_and_saveexec_b64 s[0:1], s[74:75]
	s_cbranch_execz .LBB5_1018
; %bb.1017:
	v_mov_b32_e32 v17, 0
	ds_read_b32 v17, v17 offset:780
	s_waitcnt lgkmcnt(0)
	v_mul_f32_e32 v16, v16, v17
	v_xor_b32_e32 v17, 0x80000000, v16
	ds_write_b32 v15, v17
.LBB5_1018:
	s_or_b64 exec, exec, s[0:1]
	s_waitcnt lgkmcnt(0)
	s_barrier
	s_and_saveexec_b64 s[0:1], s[76:77]
	s_cbranch_execz .LBB5_1020
; %bb.1019:
	v_lshlrev_b32_e32 v17, 2, v13
	ds_read_b32 v17, v17 offset:768
	ds_read_b32 v18, v15
	s_waitcnt lgkmcnt(0)
	v_fma_f32 v16, -v17, v18, v16
.LBB5_1020:
	s_or_b64 exec, exec, s[0:1]
	s_barrier
	s_and_saveexec_b64 s[0:1], s[78:79]
	s_cbranch_execz .LBB5_1022
; %bb.1021:
	v_mov_b32_e32 v17, 0
	ds_read_b32 v17, v17 offset:520
	s_waitcnt lgkmcnt(0)
	v_mul_f32_e32 v16, v16, v17
	v_xor_b32_e32 v17, 0x80000000, v16
	ds_write_b32 v15, v17
.LBB5_1022:
	s_or_b64 exec, exec, s[0:1]
	s_waitcnt lgkmcnt(0)
	s_barrier
	s_and_saveexec_b64 s[0:1], s[80:81]
	s_cbranch_execz .LBB5_1024
; %bb.1023:
	v_lshlrev_b32_e32 v17, 2, v13
	ds_read_b32 v17, v17 offset:512
	ds_read_b32 v18, v15
	s_waitcnt lgkmcnt(0)
	v_fma_f32 v16, -v17, v18, v16
.LBB5_1024:
	s_or_b64 exec, exec, s[0:1]
	s_barrier
	s_and_saveexec_b64 s[0:1], s[82:83]
	s_cbranch_execz .LBB5_1026
; %bb.1025:
	v_mov_b32_e32 v17, 0
	ds_read_b32 v17, v17 offset:260
	s_waitcnt lgkmcnt(0)
	v_mul_f32_e32 v16, v16, v17
	v_xor_b32_e32 v17, 0x80000000, v16
	ds_write_b32 v15, v17
.LBB5_1026:
	s_or_b64 exec, exec, s[0:1]
	s_waitcnt lgkmcnt(0)
	s_barrier
	s_and_saveexec_b64 s[0:1], s[66:67]
	s_cbranch_execz .LBB5_1028
; %bb.1027:
	v_mov_b32_e32 v17, 0
	ds_read_b32 v17, v17 offset:256
	ds_read_b32 v18, v15
	s_waitcnt lgkmcnt(0)
	v_fma_f32 v16, -v17, v18, v16
.LBB5_1028:
	s_or_b64 exec, exec, s[0:1]
	s_barrier
	s_and_saveexec_b64 s[0:1], s[66:67]
	s_cbranch_execz .LBB5_1030
; %bb.1029:
	v_mov_b32_e32 v17, 0
	ds_read_b32 v17, v17
	s_waitcnt lgkmcnt(0)
	v_mul_f32_e32 v16, v16, v17
	v_xor_b32_e32 v17, 0x80000000, v16
	ds_write_b32 v15, v17
.LBB5_1030:
	s_or_b64 exec, exec, s[0:1]
	s_waitcnt lgkmcnt(0)
	s_barrier
	s_barrier
	s_and_saveexec_b64 s[0:1], s[8:9]
; %bb.1031:
	v_lshlrev_b32_e32 v13, 2, v13
	v_lshl_or_b32 v13, v14, 8, v13
	ds_write_b32 v13, v16 offset:2048
; %bb.1032:
	s_or_b64 exec, exec, s[0:1]
	s_waitcnt lgkmcnt(0)
	s_barrier
	s_barrier
	s_and_saveexec_b64 s[0:1], s[84:85]
	s_cbranch_execz .LBB5_1034
; %bb.1033:
	v_lshlrev_b32_e32 v13, 8, v0
	ds_read_b32 v14, v13 offset:2048
	s_movk_i32 s8, 0xff04
	v_mad_i32_i24 v15, v0, s8, v13
	s_waitcnt lgkmcnt(0)
	ds_write_b32 v15, v14 offset:32
	ds_read_b32 v14, v13 offset:2052
	s_waitcnt lgkmcnt(0)
	ds_write_b32 v15, v14 offset:288
	ds_read_b32 v14, v13 offset:2056
	;; [unrolled: 3-line block ×7, first 2 shown]
	s_waitcnt lgkmcnt(0)
	ds_write_b32 v15, v13 offset:1824
.LBB5_1034:
	s_or_b64 exec, exec, s[0:1]
	s_waitcnt lgkmcnt(0)
	s_barrier
	s_and_saveexec_b64 s[0:1], vcc
	s_cbranch_execz .LBB5_1036
; %bb.1035:
	v_mov_b32_e32 v15, 0
	ds_read_b64 v[13:14], v15 offset:1816
	ds_read_b32 v15, v15 offset:1560
	s_movk_i32 s8, 0x400
	s_waitcnt lgkmcnt(0)
	v_mul_f32_e32 v14, v15, v14
	v_mul_f32_e32 v13, v13, v14
	v_add_u32_e64 v14, s8, 0
	ds_write2_b32 v14, v13, v13 offset0:135 offset1:198
.LBB5_1036:
	s_or_b64 exec, exec, s[0:1]
	v_mov_b32_e32 v13, 0
	s_waitcnt lgkmcnt(0)
	s_barrier
	buffer_wbinvl1_vol
	s_and_saveexec_b64 s[0:1], s[2:3]
	s_cbranch_execz .LBB5_1040
; %bb.1037:
	v_lshlrev_b32_e32 v13, 8, v3
	v_lshlrev_b32_e32 v14, 2, v1
	ds_read_b32 v15, v14 offset:1552
	ds_read_b32 v13, v13 offset:1560
	v_mov_b32_e32 v14, 0
	v_cmp_gt_u32_e64 s[8:9], 2, v5
	s_waitcnt lgkmcnt(0)
	v_fma_f32 v13, v15, v13, 0
	s_and_saveexec_b64 s[10:11], s[8:9]
	s_cbranch_execz .LBB5_1039
; %bb.1038:
	v_lshlrev_b32_e32 v15, 2, v0
	ds_read_b32 v15, v15 offset:1808
	ds_read_b32 v14, v14 offset:1820
	s_waitcnt lgkmcnt(0)
	v_fmac_f32_e32 v13, v15, v14
.LBB5_1039:
	s_or_b64 exec, exec, s[10:11]
.LBB5_1040:
	s_or_b64 exec, exec, s[0:1]
	s_and_saveexec_b64 s[0:1], s[28:29]
	s_cbranch_execz .LBB5_1042
; %bb.1041:
	v_mov_b32_e32 v14, 0
	ds_read_b32 v14, v14 offset:1300
	s_waitcnt lgkmcnt(0)
	v_mul_f32_e32 v13, v13, v14
	v_xor_b32_e32 v14, 0x80000000, v13
	ds_write_b32 v4, v14
.LBB5_1042:
	s_or_b64 exec, exec, s[0:1]
	s_waitcnt lgkmcnt(0)
	s_barrier
	s_and_saveexec_b64 s[0:1], s[26:27]
	s_cbranch_execz .LBB5_1044
; %bb.1043:
	v_mov_b32_e32 v14, 0
	ds_read_b32 v14, v14 offset:1296
	ds_read_b32 v15, v4
	s_waitcnt lgkmcnt(0)
	v_fma_f32 v13, -v14, v15, v13
.LBB5_1044:
	s_or_b64 exec, exec, s[0:1]
	s_barrier
	s_and_saveexec_b64 s[0:1], s[26:27]
	s_cbranch_execz .LBB5_1046
; %bb.1045:
	v_mov_b32_e32 v14, 0
	ds_read_b32 v14, v14 offset:1040
	s_waitcnt lgkmcnt(0)
	v_mul_f32_e32 v13, v13, v14
	v_xor_b32_e32 v14, 0x80000000, v13
	ds_write_b32 v4, v14
.LBB5_1046:
	s_or_b64 exec, exec, s[0:1]
	s_waitcnt lgkmcnt(0)
	s_barrier
	s_barrier
	s_and_saveexec_b64 s[0:1], s[2:3]
; %bb.1047:
	v_lshlrev_b32_e32 v14, 2, v1
	v_lshl_or_b32 v14, v3, 8, v14
	ds_write_b32 v14, v13 offset:1552
; %bb.1048:
	s_or_b64 exec, exec, s[0:1]
	s_waitcnt lgkmcnt(0)
	s_barrier
	s_barrier
	s_and_saveexec_b64 s[0:1], s[30:31]
	s_cbranch_execz .LBB5_1050
; %bb.1049:
	v_lshlrev_b32_e32 v13, 2, v0
	s_movk_i32 s8, 0xfc
	v_mad_u32_u24 v14, v0, s8, v13
	ds_read_b32 v15, v14 offset:1552
	s_waitcnt lgkmcnt(0)
	ds_write_b32 v13, v15 offset:1048
	ds_read_b32 v14, v14 offset:1556
	s_waitcnt lgkmcnt(0)
	ds_write_b32 v13, v14 offset:1304
.LBB5_1050:
	s_or_b64 exec, exec, s[0:1]
	s_waitcnt lgkmcnt(0)
	s_barrier
	s_and_saveexec_b64 s[0:1], vcc
	s_cbranch_execz .LBB5_1052
; %bb.1051:
	v_mov_b32_e32 v15, 0
	ds_read_b64 v[13:14], v15 offset:1296
	ds_read_b32 v15, v15 offset:1040
	s_movk_i32 s8, 0x400
	s_waitcnt lgkmcnt(0)
	v_mul_f32_e32 v14, v15, v14
	v_mul_f32_e32 v13, v13, v14
	v_add_u32_e64 v14, s8, 0
	ds_write2_b32 v14, v13, v13 offset0:5 offset1:68
.LBB5_1052:
	s_or_b64 exec, exec, s[0:1]
	v_mov_b32_e32 v13, 0
	s_waitcnt lgkmcnt(0)
	s_barrier
	buffer_wbinvl1_vol
	s_and_saveexec_b64 s[0:1], s[18:19]
	s_cbranch_execz .LBB5_1058
; %bb.1053:
	v_lshlrev_b32_e32 v15, 2, v6
	v_lshlrev_b32_e32 v14, 8, v11
	ds_read_b32 v13, v15 offset:1024
	ds_read_b32 v16, v14 offset:1040
	v_cmp_gt_u32_e64 s[8:9], 12, v5
	s_waitcnt lgkmcnt(0)
	v_fma_f32 v13, v13, v16, 0
	s_and_saveexec_b64 s[10:11], s[8:9]
	s_cbranch_execnz .LBB5_1254
; %bb.1054:
	s_or_b64 exec, exec, s[10:11]
	v_cmp_gt_u32_e64 s[8:9], 8, v5
	s_and_saveexec_b64 s[10:11], s[8:9]
	s_cbranch_execnz .LBB5_1255
.LBB5_1055:
	s_or_b64 exec, exec, s[10:11]
	v_cmp_gt_u32_e64 s[8:9], 4, v5
	s_and_saveexec_b64 s[10:11], s[8:9]
	s_cbranch_execz .LBB5_1057
.LBB5_1056:
	v_lshlrev_b32_e32 v14, 2, v0
	v_mov_b32_e32 v15, 0
	ds_read_b32 v14, v14 offset:1792
	ds_read_b32 v15, v15 offset:1820
	s_waitcnt lgkmcnt(0)
	v_fmac_f32_e32 v13, v14, v15
.LBB5_1057:
	s_or_b64 exec, exec, s[10:11]
.LBB5_1058:
	s_or_b64 exec, exec, s[0:1]
	s_and_saveexec_b64 s[0:1], s[36:37]
	s_cbranch_execz .LBB5_1060
; %bb.1059:
	v_mov_b32_e32 v14, 0
	ds_read_b32 v14, v14 offset:780
	s_waitcnt lgkmcnt(0)
	v_mul_f32_e32 v13, v13, v14
	v_xor_b32_e32 v14, 0x80000000, v13
	ds_write_b32 v12, v14
.LBB5_1060:
	s_or_b64 exec, exec, s[0:1]
	s_waitcnt lgkmcnt(0)
	s_barrier
	s_and_saveexec_b64 s[0:1], s[38:39]
	v_readlane_b32 s36, v27, 1
	v_readlane_b32 s37, v27, 0
	s_cbranch_execz .LBB5_1062
; %bb.1061:
	v_lshlrev_b32_e32 v14, 2, v6
	ds_read_b32 v14, v14 offset:768
	ds_read_b32 v15, v12
	s_waitcnt lgkmcnt(0)
	v_fma_f32 v13, -v14, v15, v13
.LBB5_1062:
	s_or_b64 exec, exec, s[0:1]
	s_barrier
	s_and_saveexec_b64 s[0:1], s[42:43]
	s_cbranch_execz .LBB5_1064
; %bb.1063:
	v_mov_b32_e32 v14, 0
	ds_read_b32 v14, v14 offset:520
	s_waitcnt lgkmcnt(0)
	v_mul_f32_e32 v13, v13, v14
	v_xor_b32_e32 v14, 0x80000000, v13
	ds_write_b32 v12, v14
.LBB5_1064:
	s_or_b64 exec, exec, s[0:1]
	s_waitcnt lgkmcnt(0)
	s_barrier
	s_and_saveexec_b64 s[0:1], s[44:45]
	s_cbranch_execz .LBB5_1066
; %bb.1065:
	v_lshlrev_b32_e32 v14, 2, v6
	ds_read_b32 v14, v14 offset:512
	ds_read_b32 v15, v12
	s_waitcnt lgkmcnt(0)
	v_fma_f32 v13, -v14, v15, v13
.LBB5_1066:
	s_or_b64 exec, exec, s[0:1]
	s_barrier
	s_and_saveexec_b64 s[0:1], s[52:53]
	s_cbranch_execz .LBB5_1068
; %bb.1067:
	v_mov_b32_e32 v14, 0
	ds_read_b32 v14, v14 offset:260
	s_waitcnt lgkmcnt(0)
	v_mul_f32_e32 v13, v13, v14
	v_xor_b32_e32 v14, 0x80000000, v13
	ds_write_b32 v12, v14
.LBB5_1068:
	s_or_b64 exec, exec, s[0:1]
	s_waitcnt lgkmcnt(0)
	s_barrier
	s_and_saveexec_b64 s[0:1], s[34:35]
	s_cbranch_execz .LBB5_1070
; %bb.1069:
	v_mov_b32_e32 v14, 0
	ds_read_b32 v14, v14 offset:256
	ds_read_b32 v15, v12
	s_waitcnt lgkmcnt(0)
	v_fma_f32 v13, -v14, v15, v13
.LBB5_1070:
	s_or_b64 exec, exec, s[0:1]
	s_barrier
	s_and_saveexec_b64 s[0:1], s[34:35]
	s_cbranch_execz .LBB5_1072
; %bb.1071:
	v_mov_b32_e32 v14, 0
	ds_read_b32 v14, v14
	s_waitcnt lgkmcnt(0)
	v_mul_f32_e32 v13, v13, v14
	v_xor_b32_e32 v14, 0x80000000, v13
	ds_write_b32 v12, v14
.LBB5_1072:
	s_or_b64 exec, exec, s[0:1]
	s_waitcnt lgkmcnt(0)
	s_barrier
	s_barrier
	s_and_saveexec_b64 s[0:1], s[18:19]
; %bb.1073:
	v_lshlrev_b32_e32 v6, 2, v6
	v_lshl_or_b32 v6, v11, 8, v6
	ds_write_b32 v6, v13 offset:1024
; %bb.1074:
	s_or_b64 exec, exec, s[0:1]
	s_waitcnt lgkmcnt(0)
	s_barrier
	s_barrier
	s_and_saveexec_b64 s[0:1], s[54:55]
	s_cbranch_execz .LBB5_1076
; %bb.1075:
	v_lshlrev_b32_e32 v6, 8, v0
	ds_read_b32 v11, v6 offset:1024
	s_movk_i32 s8, 0xff04
	v_mad_i32_i24 v12, v0, s8, v6
	s_waitcnt lgkmcnt(0)
	ds_write_b32 v12, v11 offset:16
	ds_read_b32 v11, v6 offset:1028
	s_waitcnt lgkmcnt(0)
	ds_write_b32 v12, v11 offset:272
	ds_read_b32 v11, v6 offset:1032
	;; [unrolled: 3-line block ×3, first 2 shown]
	s_waitcnt lgkmcnt(0)
	ds_write_b32 v12, v6 offset:784
.LBB5_1076:
	s_or_b64 exec, exec, s[0:1]
	s_waitcnt lgkmcnt(0)
	s_barrier
	s_and_saveexec_b64 s[0:1], vcc
	s_cbranch_execz .LBB5_1078
; %bb.1077:
	v_mov_b32_e32 v6, 0
	ds_read_b64 v[11:12], v6 offset:776
	ds_read_b32 v13, v6 offset:520
	s_waitcnt lgkmcnt(0)
	v_mul_f32_e32 v12, v13, v12
	v_mul_f32_e32 v11, v11, v12
	ds_write2_b32 v6, v11, v11 offset0:131 offset1:194
.LBB5_1078:
	s_or_b64 exec, exec, s[0:1]
	v_mov_b32_e32 v6, 0
	s_waitcnt lgkmcnt(0)
	s_barrier
	buffer_wbinvl1_vol
	s_and_saveexec_b64 s[0:1], s[2:3]
	s_cbranch_execz .LBB5_1082
; %bb.1079:
	v_lshlrev_b32_e32 v6, 8, v3
	v_lshlrev_b32_e32 v11, 2, v1
	ds_read_b32 v12, v11 offset:512
	ds_read_b32 v6, v6 offset:520
	v_mov_b32_e32 v11, 0
	v_cmp_gt_u32_e64 s[8:9], 2, v5
	s_waitcnt lgkmcnt(0)
	v_fma_f32 v6, v12, v6, 0
	s_and_saveexec_b64 s[10:11], s[8:9]
	s_cbranch_execz .LBB5_1081
; %bb.1080:
	v_lshlrev_b32_e32 v5, 2, v0
	ds_read_b32 v5, v5 offset:768
	ds_read_b32 v11, v11 offset:780
	s_waitcnt lgkmcnt(0)
	v_fmac_f32_e32 v6, v5, v11
.LBB5_1081:
	s_or_b64 exec, exec, s[10:11]
.LBB5_1082:
	s_or_b64 exec, exec, s[0:1]
	s_and_saveexec_b64 s[0:1], s[28:29]
	s_cbranch_execz .LBB5_1084
; %bb.1083:
	v_mov_b32_e32 v5, 0
	ds_read_b32 v5, v5 offset:260
	s_waitcnt lgkmcnt(0)
	v_mul_f32_e32 v6, v6, v5
	v_xor_b32_e32 v5, 0x80000000, v6
	ds_write_b32 v4, v5
.LBB5_1084:
	s_or_b64 exec, exec, s[0:1]
	s_waitcnt lgkmcnt(0)
	s_barrier
	s_and_saveexec_b64 s[0:1], s[26:27]
	s_cbranch_execz .LBB5_1086
; %bb.1085:
	v_mov_b32_e32 v5, 0
	ds_read_b32 v5, v5 offset:256
	ds_read_b32 v11, v4
	s_waitcnt lgkmcnt(0)
	v_fma_f32 v6, -v5, v11, v6
.LBB5_1086:
	s_or_b64 exec, exec, s[0:1]
	s_barrier
	s_and_saveexec_b64 s[0:1], s[26:27]
	s_cbranch_execz .LBB5_1088
; %bb.1087:
	v_mov_b32_e32 v5, 0
	ds_read_b32 v5, v5
	s_waitcnt lgkmcnt(0)
	v_mul_f32_e32 v6, v6, v5
	v_xor_b32_e32 v5, 0x80000000, v6
	ds_write_b32 v4, v5
.LBB5_1088:
	s_or_b64 exec, exec, s[0:1]
	s_waitcnt lgkmcnt(0)
	s_barrier
	s_barrier
	s_and_saveexec_b64 s[0:1], s[2:3]
; %bb.1089:
	v_lshlrev_b32_e32 v1, 2, v1
	v_lshl_or_b32 v1, v3, 8, v1
	ds_write_b32 v1, v6 offset:512
; %bb.1090:
	s_or_b64 exec, exec, s[0:1]
	s_waitcnt lgkmcnt(0)
	s_barrier
	s_barrier
	s_and_saveexec_b64 s[0:1], s[30:31]
	s_cbranch_execz .LBB5_1092
; %bb.1091:
	v_lshlrev_b32_e32 v1, 2, v0
	s_movk_i32 s2, 0xfc
	v_mad_u32_u24 v3, v0, s2, v1
	ds_read_b32 v4, v3 offset:512
	s_waitcnt lgkmcnt(0)
	ds_write_b32 v1, v4 offset:8
	ds_read_b32 v3, v3 offset:516
	s_waitcnt lgkmcnt(0)
	ds_write_b32 v1, v3 offset:264
.LBB5_1092:
	s_or_b64 exec, exec, s[0:1]
	s_waitcnt lgkmcnt(0)
	s_barrier
	s_and_saveexec_b64 s[0:1], vcc
	s_cbranch_execz .LBB5_1094
; %bb.1093:
	v_mov_b32_e32 v1, 0
	ds_read_b64 v[3:4], v1 offset:256
	ds_read_b32 v5, v1
	s_waitcnt lgkmcnt(0)
	v_mul_f32_e32 v4, v5, v4
	v_mul_f32_e32 v3, v3, v4
	ds_write2_b32 v1, v3, v3 offset0:1 offset1:64
.LBB5_1094:
	s_or_b64 exec, exec, s[0:1]
.LBB5_1095:
	s_load_dwordx4 s[12:15], s[4:5], 0x48
	v_cmp_le_i32_e32 vcc, s86, v0
	v_mov_b32_e32 v12, 0
	v_add_u32_e32 v3, s33, v0
	s_waitcnt lgkmcnt(0)
	s_mul_i32 s1, s13, s22
	s_mul_hi_u32 s2, s12, s22
	s_mul_i32 s0, s12, s22
	s_add_i32 s1, s2, s1
	s_lshl_b64 s[0:1], s[0:1], 2
	s_add_u32 s2, s46, s0
	s_addc_u32 s3, s47, s1
	s_lshl_b64 s[0:1], s[48:49], 2
	s_add_u32 s20, s2, s0
	s_addc_u32 s21, s3, s1
	s_and_b64 s[16:17], vcc, s[24:25]
	v_cmp_eq_u32_e64 s[2:3], 0, v2
	s_xor_b64 s[0:1], s[16:17], -1
	s_and_b64 s[4:5], s[2:3], s[0:1]
	s_barrier
	s_and_saveexec_b64 s[0:1], s[4:5]
	s_cbranch_execz .LBB5_1097
; %bb.1096:
	v_ashrrev_i32_e32 v1, 31, v3
	v_mul_lo_u32 v6, s51, v3
	v_mad_u64_u32 v[4:5], s[4:5], s50, v3, 0
	v_mul_lo_u32 v1, s50, v1
	v_add3_u32 v5, v5, v1, v6
	v_lshlrev_b64 v[4:5], 2, v[4:5]
	v_mov_b32_e32 v1, s21
	v_add_co_u32_e32 v4, vcc, s20, v4
	v_addc_co_u32_e32 v5, vcc, v1, v5, vcc
	global_load_dword v1, v[4:5], off
	s_waitcnt vmcnt(0)
	v_mul_f32_e64 v12, v1, -s37
.LBB5_1097:
	s_or_b64 exec, exec, s[0:1]
	s_and_b32 s0, 0xffff, s89
	v_mad_u32_u24 v11, v2, s0, v0
	s_cmp_lt_i32 s6, 1
	v_cmp_eq_u32_e64 s[4:5], 0, v11
	s_cbranch_scc1 .LBB5_1123
; %bb.1098:
	v_mad_u64_u32 v[4:5], s[0:1], s40, v3, 0
	v_cmp_gt_i32_e64 s[8:9], s7, v3
	s_mov_b32 s26, 0
	v_mov_b32_e32 v1, v5
	v_mad_u64_u32 v[5:6], s[0:1], s41, v3, v[1:2]
	s_lshl_b64 s[0:1], s[22:23], 2
	s_add_u32 s0, s14, s0
	v_lshlrev_b64 v[3:4], 2, v[4:5]
	v_mov_b32_e32 v6, 0x5000
	v_mov_b32_e32 v5, s88
	v_add_co_u32_e32 v14, vcc, s87, v3
	s_addc_u32 s1, s15, s1
	v_cmp_gt_u32_e64 s[12:13], 64, v11
	v_lshl_add_u32 v1, v11, 2, v6
	v_lshl_or_b32 v13, v2, 2, v6
	s_add_i32 s27, s6, -1
	v_addc_co_u32_e32 v15, vcc, v5, v4, vcc
	v_mov_b32_e32 v16, -1
	v_mov_b32_e32 v4, 0
	s_branch .LBB5_1101
.LBB5_1099:                             ;   in Loop: Header=BB5_1101 Depth=1
	ds_read_b32 v5, v13 offset:192
	s_waitcnt vmcnt(0) lgkmcnt(0)
	v_fmac_f32_e32 v12, v3, v5
.LBB5_1100:                             ;   in Loop: Header=BB5_1101 Depth=1
	s_or_b64 exec, exec, s[18:19]
	s_add_i32 s26, s26, 1
	s_cmp_eq_u32 s26, s6
	s_cbranch_scc1 .LBB5_1123
.LBB5_1101:                             ; =>This Loop Header: Depth=1
                                        ;     Child Loop BB5_1103 Depth 2
	v_cmp_gt_i32_e32 vcc, s26, v16
	s_and_b64 s[18:19], s[4:5], vcc
	s_and_saveexec_b64 s[10:11], s[18:19]
	s_cbranch_execz .LBB5_1104
; %bb.1102:                             ;   in Loop: Header=BB5_1101 Depth=1
	global_load_dword v16, v4, s[0:1]
	s_waitcnt vmcnt(0)
	v_cmp_le_i32_e32 vcc, s26, v16
	s_cbranch_vccnz .LBB5_1104
.LBB5_1103:                             ;   Parent Loop BB5_1101 Depth=1
                                        ; =>  This Inner Loop Header: Depth=2
	buffer_wbinvl1_vol
	global_load_dword v16, v4, s[0:1]
	s_waitcnt vmcnt(0)
	v_cmp_gt_i32_e32 vcc, s26, v16
	s_cbranch_vccnz .LBB5_1103
.LBB5_1104:                             ;   in Loop: Header=BB5_1101 Depth=1
	s_or_b64 exec, exec, s[10:11]
	s_lshl_b32 s28, s26, 6
	buffer_wbinvl1_vol
	s_barrier
	s_and_saveexec_b64 s[10:11], s[12:13]
	s_cbranch_execz .LBB5_1108
; %bb.1105:                             ;   in Loop: Header=BB5_1101 Depth=1
	v_or_b32_e32 v5, s28, v11
	v_cmp_gt_i32_e32 vcc, s7, v5
	v_mov_b32_e32 v3, 0
	s_and_saveexec_b64 s[18:19], vcc
	s_cbranch_execz .LBB5_1107
; %bb.1106:                             ;   in Loop: Header=BB5_1101 Depth=1
	v_mad_u64_u32 v[17:18], s[30:31], s50, v5, 0
	v_mov_b32_e32 v3, v18
	v_mad_u64_u32 v[5:6], s[30:31], s51, v5, v[3:4]
	v_mov_b32_e32 v3, s21
	v_mov_b32_e32 v18, v5
	v_lshlrev_b64 v[5:6], 2, v[17:18]
	v_add_co_u32_e32 v5, vcc, s20, v5
	v_addc_co_u32_e32 v6, vcc, v3, v6, vcc
	global_load_dword v3, v[5:6], off
.LBB5_1107:                             ;   in Loop: Header=BB5_1101 Depth=1
	s_or_b64 exec, exec, s[18:19]
	s_waitcnt vmcnt(0)
	ds_write_b32 v1, v3
.LBB5_1108:                             ;   in Loop: Header=BB5_1101 Depth=1
	s_or_b64 exec, exec, s[10:11]
	v_add_u32_e32 v3, s28, v2
	v_lshlrev_b64 v[5:6], 2, v[3:4]
	s_cmp_lg_u32 s26, s27
	v_add_co_u32_e32 v5, vcc, v14, v5
	s_cselect_b64 s[10:11], -1, 0
	v_addc_co_u32_e32 v6, vcc, v15, v6, vcc
	v_cmp_gt_i32_e32 vcc, s7, v3
	v_cndmask_b32_e64 v17, 0, 1, s[10:11]
	s_and_b64 s[28:29], vcc, s[8:9]
	v_cmp_ne_u32_e64 s[10:11], 1, v17
	s_waitcnt lgkmcnt(0)
	s_barrier
	s_and_saveexec_b64 s[18:19], s[28:29]
	s_cbranch_execz .LBB5_1112
; %bb.1109:                             ;   in Loop: Header=BB5_1101 Depth=1
	s_and_b64 vcc, exec, s[10:11]
	v_mov_b32_e32 v17, v8
	s_cbranch_vccnz .LBB5_1111
; %bb.1110:                             ;   in Loop: Header=BB5_1101 Depth=1
	global_load_dword v17, v[5:6], off
.LBB5_1111:                             ;   in Loop: Header=BB5_1101 Depth=1
	ds_read_b32 v18, v13
	s_waitcnt vmcnt(0) lgkmcnt(0)
	v_fmac_f32_e32 v12, v17, v18
.LBB5_1112:                             ;   in Loop: Header=BB5_1101 Depth=1
	s_or_b64 exec, exec, s[18:19]
	v_add_u32_e32 v17, 16, v3
	v_cmp_gt_i32_e32 vcc, s7, v17
	s_and_b64 s[28:29], vcc, s[8:9]
	s_and_saveexec_b64 s[18:19], s[28:29]
	s_cbranch_execz .LBB5_1116
; %bb.1113:                             ;   in Loop: Header=BB5_1101 Depth=1
	s_and_b64 vcc, exec, s[10:11]
	v_mov_b32_e32 v17, v7
	s_cbranch_vccnz .LBB5_1115
; %bb.1114:                             ;   in Loop: Header=BB5_1101 Depth=1
	global_load_dword v17, v[5:6], off offset:64
.LBB5_1115:                             ;   in Loop: Header=BB5_1101 Depth=1
	ds_read_b32 v18, v13 offset:64
	s_waitcnt vmcnt(0) lgkmcnt(0)
	v_fmac_f32_e32 v12, v17, v18
.LBB5_1116:                             ;   in Loop: Header=BB5_1101 Depth=1
	s_or_b64 exec, exec, s[18:19]
	v_add_u32_e32 v17, 32, v3
	v_cmp_gt_i32_e32 vcc, s7, v17
	s_and_b64 s[28:29], vcc, s[8:9]
	s_and_saveexec_b64 s[18:19], s[28:29]
	s_cbranch_execz .LBB5_1120
; %bb.1117:                             ;   in Loop: Header=BB5_1101 Depth=1
	s_and_b64 vcc, exec, s[10:11]
	v_mov_b32_e32 v17, v10
	s_cbranch_vccnz .LBB5_1119
; %bb.1118:                             ;   in Loop: Header=BB5_1101 Depth=1
	global_load_dword v17, v[5:6], off offset:128
.LBB5_1119:                             ;   in Loop: Header=BB5_1101 Depth=1
	ds_read_b32 v18, v13 offset:128
	s_waitcnt vmcnt(0) lgkmcnt(0)
	v_fmac_f32_e32 v12, v17, v18
.LBB5_1120:                             ;   in Loop: Header=BB5_1101 Depth=1
	s_or_b64 exec, exec, s[18:19]
	v_add_u32_e32 v3, 48, v3
	v_cmp_gt_i32_e32 vcc, s7, v3
	s_and_b64 s[28:29], vcc, s[8:9]
	s_and_saveexec_b64 s[18:19], s[28:29]
	s_cbranch_execz .LBB5_1100
; %bb.1121:                             ;   in Loop: Header=BB5_1101 Depth=1
	s_and_b64 vcc, exec, s[10:11]
	v_mov_b32_e32 v3, v9
	s_cbranch_vccnz .LBB5_1099
; %bb.1122:                             ;   in Loop: Header=BB5_1101 Depth=1
	global_load_dword v3, v[5:6], off offset:192
	s_branch .LBB5_1099
.LBB5_1123:
	v_lshl_add_u32 v1, v2, 6, v0
	s_xor_b64 s[0:1], s[24:25], -1
	v_lshlrev_b32_e32 v1, 2, v1
	ds_write_b32 v1, v12 offset:16384
	s_waitcnt lgkmcnt(0)
	s_barrier
	s_and_saveexec_b64 s[4:5], s[2:3]
	s_cbranch_execz .LBB5_1125
; %bb.1124:
	v_lshlrev_b32_e32 v15, 2, v0
	ds_read2st64_b32 v[3:4], v15 offset0:65 offset1:66
	ds_read2st64_b32 v[5:6], v15 offset0:67 offset1:68
	;; [unrolled: 1-line block ×5, first 2 shown]
	s_waitcnt lgkmcnt(4)
	v_add_f32_e32 v3, v12, v3
	v_add_f32_e32 v3, v3, v4
	s_waitcnt lgkmcnt(3)
	v_add_f32_e32 v3, v3, v5
	v_add_f32_e32 v3, v3, v6
	;; [unrolled: 3-line block ×4, first 2 shown]
	ds_read2st64_b32 v[3:4], v15 offset0:75 offset1:76
	ds_read2st64_b32 v[5:6], v15 offset0:77 offset1:78
	ds_read_b32 v8, v15 offset:20224
	s_waitcnt lgkmcnt(3)
	v_add_f32_e32 v7, v7, v13
	v_add_f32_e32 v7, v7, v14
	s_waitcnt lgkmcnt(2)
	v_add_f32_e32 v3, v7, v3
	v_add_f32_e32 v3, v3, v4
	;; [unrolled: 3-line block ×3, first 2 shown]
	s_waitcnt lgkmcnt(0)
	v_add_f32_e32 v3, v3, v8
	v_cndmask_b32_e64 v12, -v3, 0, s[16:17]
.LBB5_1125:
	s_or_b64 exec, exec, s[4:5]
	s_and_b64 vcc, exec, s[56:57]
	s_cbranch_vccnz .LBB5_1138
; %bb.1126:
	v_mov_b32_e32 v3, 0x5000
	v_lshl_or_b32 v4, v2, 2, v3
	s_and_saveexec_b64 s[4:5], s[2:3]
; %bb.1127:
	v_lshl_add_u32 v3, v0, 2, v4
	ds_write_b32 v3, v12
; %bb.1128:
	s_or_b64 exec, exec, s[4:5]
	v_cmp_le_u32_e32 vcc, v2, v0
	v_mov_b32_e32 v3, 0
	s_waitcnt lgkmcnt(0)
	s_barrier
	s_and_saveexec_b64 s[4:5], vcc
	s_cbranch_execz .LBB5_1130
; %bb.1129:
	ds_read_b32 v3, v1
	ds_read_b32 v5, v4
	s_waitcnt lgkmcnt(0)
	v_fma_f32 v3, v3, v5, 0
.LBB5_1130:
	s_or_b64 exec, exec, s[4:5]
	v_add_u32_e32 v5, 16, v2
	v_cmp_ge_u32_e32 vcc, v0, v5
	s_and_saveexec_b64 s[4:5], vcc
	s_cbranch_execz .LBB5_1132
; %bb.1131:
	ds_read_b32 v5, v1 offset:4096
	ds_read_b32 v6, v4 offset:64
	s_waitcnt lgkmcnt(0)
	v_fmac_f32_e32 v3, v5, v6
.LBB5_1132:
	s_or_b64 exec, exec, s[4:5]
	v_add_u32_e32 v5, 32, v2
	v_cmp_ge_u32_e32 vcc, v0, v5
	s_and_saveexec_b64 s[4:5], vcc
	s_cbranch_execz .LBB5_1134
; %bb.1133:
	ds_read_b32 v5, v1 offset:8192
	ds_read_b32 v6, v4 offset:128
	s_waitcnt lgkmcnt(0)
	v_fmac_f32_e32 v3, v5, v6
.LBB5_1134:
	s_or_b64 exec, exec, s[4:5]
	v_add_u32_e32 v2, 48, v2
	v_add_u32_e32 v5, 0x4000, v1
	v_cmp_ge_u32_e32 vcc, v0, v2
	s_and_saveexec_b64 s[4:5], vcc
	s_cbranch_execz .LBB5_1136
; %bb.1135:
	ds_read_b32 v1, v1 offset:12288
	ds_read_b32 v2, v4 offset:192
	s_waitcnt lgkmcnt(0)
	v_fmac_f32_e32 v3, v1, v2
.LBB5_1136:
	s_or_b64 exec, exec, s[4:5]
	s_mov_b64 s[6:7], 0
	s_mov_b64 s[4:5], 0
	ds_write_b32 v5, v3
	s_waitcnt lgkmcnt(0)
	s_barrier
                                        ; implicit-def: $vgpr4
                                        ; implicit-def: $vgpr1_vgpr2
	s_and_saveexec_b64 s[8:9], s[2:3]
	s_cbranch_execz .LBB5_1195
; %bb.1137:
	v_lshlrev_b32_e32 v10, 2, v0
	ds_read2st64_b32 v[1:2], v10 offset0:65 offset1:66
	ds_read2st64_b32 v[4:5], v10 offset0:67 offset1:68
	;; [unrolled: 1-line block ×4, first 2 shown]
	s_mov_b64 s[4:5], exec
	s_waitcnt lgkmcnt(3)
	v_add_f32_e32 v1, v3, v1
	v_add_f32_e32 v1, v2, v1
	s_waitcnt lgkmcnt(2)
	v_add_f32_e32 v1, v4, v1
	v_add_f32_e32 v1, v5, v1
	ds_read2st64_b32 v[2:3], v10 offset0:73 offset1:74
	s_waitcnt lgkmcnt(2)
	v_add_f32_e32 v1, v6, v1
	v_add_f32_e32 v1, v7, v1
	s_waitcnt lgkmcnt(1)
	v_add_f32_e32 v1, v8, v1
	v_add_f32_e32 v1, v9, v1
	ds_read2st64_b32 v[4:5], v10 offset0:75 offset1:76
	ds_read2st64_b32 v[6:7], v10 offset0:77 offset1:78
	ds_read_b32 v8, v10 offset:20224
	v_add_u32_e32 v10, s33, v11
	s_waitcnt lgkmcnt(3)
	v_add_f32_e32 v9, v2, v1
	v_mad_u64_u32 v[1:2], s[10:11], s50, v10, 0
	v_add_f32_e32 v3, v3, v9
	s_waitcnt lgkmcnt(2)
	v_add_f32_e32 v3, v4, v3
	v_add_f32_e32 v4, v5, v3
	v_mad_u64_u32 v[2:3], s[10:11], s51, v10, v[2:3]
	s_waitcnt lgkmcnt(1)
	v_add_f32_e32 v3, v6, v4
	v_add_f32_e32 v3, v7, v3
	s_waitcnt lgkmcnt(0)
	v_add_f32_e32 v4, v8, v3
	s_or_b64 exec, exec, s[8:9]
	s_and_b64 vcc, exec, s[6:7]
	s_cbranch_vccnz .LBB5_1139
	s_branch .LBB5_1196
.LBB5_1138:
	s_mov_b64 s[4:5], 0
                                        ; implicit-def: $vgpr4
                                        ; implicit-def: $vgpr1_vgpr2
	s_cbranch_execz .LBB5_1196
.LBB5_1139:
	v_mul_u32_u24_e32 v1, 0x104, v0
	v_lshlrev_b32_e32 v2, 8, v0
	v_sub_u32_e32 v2, v1, v2
	s_mov_b32 s8, 0
	v_mov_b32_e32 v3, 0
	v_mov_b32_e32 v4, v0
	s_branch .LBB5_1141
.LBB5_1140:                             ;   in Loop: Header=BB5_1141 Depth=1
	s_or_b64 exec, exec, s[6:7]
	s_add_i32 s8, s8, 4
	v_add_u32_e32 v2, 0x400, v2
	s_cmp_lg_u32 s8, 64
	v_add_u32_e32 v4, -4, v4
	s_barrier
	s_cbranch_scc0 .LBB5_1157
.LBB5_1141:                             ; =>This Inner Loop Header: Depth=1
	v_cmp_eq_u32_e32 vcc, 0, v4
	s_and_b64 s[10:11], s[2:3], vcc
	s_and_saveexec_b64 s[6:7], s[10:11]
	s_cbranch_execz .LBB5_1143
; %bb.1142:                             ;   in Loop: Header=BB5_1141 Depth=1
	ds_read_b32 v5, v1
	s_waitcnt lgkmcnt(0)
	v_mul_f32_e32 v12, v12, v5
	ds_write_b32 v3, v12 offset:20736
.LBB5_1143:                             ;   in Loop: Header=BB5_1141 Depth=1
	s_or_b64 exec, exec, s[6:7]
	v_cmp_lt_u32_e32 vcc, s8, v0
	s_and_b64 s[10:11], s[2:3], vcc
	s_waitcnt lgkmcnt(0)
	s_barrier
	s_and_saveexec_b64 s[6:7], s[10:11]
	s_cbranch_execz .LBB5_1145
; %bb.1144:                             ;   in Loop: Header=BB5_1141 Depth=1
	ds_read_b32 v5, v2
	ds_read_b32 v6, v3 offset:20736
	s_waitcnt lgkmcnt(0)
	v_fmac_f32_e32 v12, v5, v6
.LBB5_1145:                             ;   in Loop: Header=BB5_1141 Depth=1
	s_or_b64 exec, exec, s[6:7]
	s_or_b32 s9, s8, 1
	v_cmp_eq_u32_e32 vcc, s9, v0
	s_and_b64 s[10:11], s[2:3], vcc
	s_barrier
	s_and_saveexec_b64 s[6:7], s[10:11]
	s_cbranch_execz .LBB5_1147
; %bb.1146:                             ;   in Loop: Header=BB5_1141 Depth=1
	ds_read_b32 v5, v1
	s_waitcnt lgkmcnt(0)
	v_mul_f32_e32 v12, v12, v5
	ds_write_b32 v3, v12 offset:20736
.LBB5_1147:                             ;   in Loop: Header=BB5_1141 Depth=1
	s_or_b64 exec, exec, s[6:7]
	v_cmp_lt_u32_e32 vcc, s9, v0
	s_and_b64 s[10:11], s[2:3], vcc
	s_waitcnt lgkmcnt(0)
	s_barrier
	s_and_saveexec_b64 s[6:7], s[10:11]
	s_cbranch_execz .LBB5_1149
; %bb.1148:                             ;   in Loop: Header=BB5_1141 Depth=1
	ds_read_b32 v5, v2 offset:256
	ds_read_b32 v6, v3 offset:20736
	s_waitcnt lgkmcnt(0)
	v_fmac_f32_e32 v12, v5, v6
.LBB5_1149:                             ;   in Loop: Header=BB5_1141 Depth=1
	s_or_b64 exec, exec, s[6:7]
	s_or_b32 s9, s8, 2
	v_cmp_eq_u32_e32 vcc, s9, v0
	s_and_b64 s[10:11], s[2:3], vcc
	s_barrier
	s_and_saveexec_b64 s[6:7], s[10:11]
	s_cbranch_execz .LBB5_1151
; %bb.1150:                             ;   in Loop: Header=BB5_1141 Depth=1
	ds_read_b32 v5, v1
	s_waitcnt lgkmcnt(0)
	v_mul_f32_e32 v12, v12, v5
	ds_write_b32 v3, v12 offset:20736
.LBB5_1151:                             ;   in Loop: Header=BB5_1141 Depth=1
	s_or_b64 exec, exec, s[6:7]
	v_cmp_lt_u32_e32 vcc, s9, v0
	s_and_b64 s[10:11], s[2:3], vcc
	s_waitcnt lgkmcnt(0)
	s_barrier
	s_and_saveexec_b64 s[6:7], s[10:11]
	s_cbranch_execz .LBB5_1153
; %bb.1152:                             ;   in Loop: Header=BB5_1141 Depth=1
	ds_read_b32 v5, v2 offset:512
	ds_read_b32 v6, v3 offset:20736
	s_waitcnt lgkmcnt(0)
	v_fmac_f32_e32 v12, v5, v6
.LBB5_1153:                             ;   in Loop: Header=BB5_1141 Depth=1
	s_or_b64 exec, exec, s[6:7]
	s_or_b32 s9, s8, 3
	v_cmp_eq_u32_e32 vcc, s9, v0
	s_and_b64 s[10:11], s[2:3], vcc
	s_barrier
	s_and_saveexec_b64 s[6:7], s[10:11]
	s_cbranch_execz .LBB5_1155
; %bb.1154:                             ;   in Loop: Header=BB5_1141 Depth=1
	ds_read_b32 v5, v1
	s_waitcnt lgkmcnt(0)
	v_mul_f32_e32 v12, v12, v5
	ds_write_b32 v3, v12 offset:20736
.LBB5_1155:                             ;   in Loop: Header=BB5_1141 Depth=1
	s_or_b64 exec, exec, s[6:7]
	v_cmp_lt_u32_e32 vcc, s9, v0
	s_and_b64 s[10:11], s[2:3], vcc
	s_waitcnt lgkmcnt(0)
	s_barrier
	s_and_saveexec_b64 s[6:7], s[10:11]
	s_cbranch_execz .LBB5_1140
; %bb.1156:                             ;   in Loop: Header=BB5_1141 Depth=1
	ds_read_b32 v5, v2 offset:768
	ds_read_b32 v6, v3 offset:20736
	s_waitcnt lgkmcnt(0)
	v_fmac_f32_e32 v12, v5, v6
	s_branch .LBB5_1140
.LBB5_1157:
	s_and_b64 vcc, exec, s[0:1]
	s_cbranch_vccz .LBB5_1197
; %bb.1158:
	s_and_b64 s[0:1], s[2:3], exec
	s_cbranch_execz .LBB5_1198
	s_branch .LBB5_1199
.LBB5_1159:
	v_cmp_ne_u32_e32 vcc, v0, v2
	s_and_saveexec_b64 s[12:13], vcc
	s_xor_b64 s[12:13], exec, s[12:13]
; %bb.1160:
	v_or_b32_e32 v1, v2, v0
	v_cmp_gt_u32_e32 vcc, 64, v1
	s_and_b64 s[10:11], vcc, exec
                                        ; implicit-def: $vgpr5_vgpr6
; %bb.1161:
	s_or_saveexec_b64 s[12:13], s[12:13]
	v_mov_b32_e32 v1, 0
	s_xor_b64 exec, exec, s[12:13]
	s_cbranch_execz .LBB5_1163
; %bb.1162:
	v_lshlrev_b64 v[5:6], 2, v[5:6]
	v_mov_b32_e32 v1, s88
	v_add_co_u32_e32 v5, vcc, s87, v5
	v_addc_co_u32_e32 v6, vcc, v1, v6, vcc
	global_load_dword v1, v[5:6], off
	s_or_b64 s[10:11], s[10:11], exec
	s_waitcnt vmcnt(0)
	v_div_scale_f32 v5, s[14:15], v1, v1, 1.0
	v_div_scale_f32 v6, vcc, 1.0, v1, 1.0
	v_rcp_f32_e32 v12, v5
	v_fma_f32 v13, -v5, v12, 1.0
	v_fmac_f32_e32 v12, v13, v12
	v_mul_f32_e32 v13, v6, v12
	v_fma_f32 v14, -v5, v13, v6
	v_fmac_f32_e32 v13, v14, v12
	v_fma_f32 v5, -v5, v13, v6
	v_div_fmas_f32 v5, v5, v12, v13
	v_div_fixup_f32 v1, v5, v1, 1.0
.LBB5_1163:
	s_or_b64 exec, exec, s[12:13]
	s_and_b64 s[10:11], s[10:11], exec
                                        ; implicit-def: $vgpr5_vgpr6
	s_andn2_saveexec_b64 s[8:9], s[8:9]
	s_cbranch_execz .LBB5_14
.LBB5_1164:
	v_lshlrev_b64 v[5:6], 2, v[5:6]
	v_mov_b32_e32 v1, s88
	v_add_co_u32_e32 v5, vcc, s87, v5
	v_addc_co_u32_e32 v6, vcc, v1, v6, vcc
	global_load_dword v1, v[5:6], off
	s_or_b64 s[10:11], s[10:11], exec
	s_waitcnt vmcnt(0)
	v_xor_b32_e32 v1, 0x80000000, v1
	s_or_b64 exec, exec, s[8:9]
	s_and_saveexec_b64 s[8:9], s[10:11]
	s_cbranch_execnz .LBB5_15
	s_branch .LBB5_16
.LBB5_1165:
	v_cmp_ne_u32_e32 vcc, v0, v1
	s_and_saveexec_b64 s[10:11], vcc
	s_xor_b64 s[10:11], exec, s[10:11]
; %bb.1166:
	v_or_b32_e32 v5, v1, v0
	v_cmp_gt_u32_e32 vcc, 64, v5
	s_and_b64 s[8:9], vcc, exec
                                        ; implicit-def: $vgpr5_vgpr6
; %bb.1167:
	s_or_saveexec_b64 s[10:11], s[10:11]
	v_mov_b32_e32 v12, 0
	s_xor_b64 exec, exec, s[10:11]
	s_cbranch_execz .LBB5_1169
; %bb.1168:
	v_lshlrev_b64 v[5:6], 2, v[5:6]
	v_mov_b32_e32 v12, s88
	v_add_co_u32_e32 v5, vcc, s87, v5
	v_addc_co_u32_e32 v6, vcc, v12, v6, vcc
	global_load_dword v5, v[5:6], off
	s_or_b64 s[8:9], s[8:9], exec
	s_waitcnt vmcnt(0)
	v_div_scale_f32 v6, s[12:13], v5, v5, 1.0
	v_div_scale_f32 v12, vcc, 1.0, v5, 1.0
	v_rcp_f32_e32 v13, v6
	v_fma_f32 v14, -v6, v13, 1.0
	v_fmac_f32_e32 v13, v14, v13
	v_mul_f32_e32 v14, v12, v13
	v_fma_f32 v15, -v6, v14, v12
	v_fmac_f32_e32 v14, v15, v13
	v_fma_f32 v6, -v6, v14, v12
	v_div_fmas_f32 v6, v6, v13, v14
	v_div_fixup_f32 v12, v6, v5, 1.0
.LBB5_1169:
	s_or_b64 exec, exec, s[10:11]
	s_and_b64 s[8:9], s[8:9], exec
                                        ; implicit-def: $vgpr5_vgpr6
	s_andn2_saveexec_b64 s[2:3], s[2:3]
	s_cbranch_execz .LBB5_18
.LBB5_1170:
	v_lshlrev_b64 v[5:6], 2, v[5:6]
	v_mov_b32_e32 v12, s88
	v_add_co_u32_e32 v5, vcc, s87, v5
	v_addc_co_u32_e32 v6, vcc, v12, v6, vcc
	global_load_dword v5, v[5:6], off
	s_or_b64 s[8:9], s[8:9], exec
	s_waitcnt vmcnt(0)
	v_xor_b32_e32 v12, 0x80000000, v5
	s_or_b64 exec, exec, s[2:3]
	s_and_saveexec_b64 s[2:3], s[8:9]
	s_cbranch_execnz .LBB5_19
	s_branch .LBB5_20
.LBB5_1171:
	v_cmp_ne_u32_e32 vcc, v0, v1
	s_and_saveexec_b64 s[10:11], vcc
	s_xor_b64 s[10:11], exec, s[10:11]
; %bb.1172:
	v_or_b32_e32 v5, v1, v0
	v_cmp_gt_u32_e32 vcc, 64, v5
	s_and_b64 s[8:9], vcc, exec
                                        ; implicit-def: $vgpr5_vgpr6
; %bb.1173:
	s_or_saveexec_b64 s[10:11], s[10:11]
	v_mov_b32_e32 v12, 0
	s_xor_b64 exec, exec, s[10:11]
	s_cbranch_execz .LBB5_1175
; %bb.1174:
	v_lshlrev_b64 v[5:6], 2, v[5:6]
	v_mov_b32_e32 v12, s88
	v_add_co_u32_e32 v5, vcc, s87, v5
	v_addc_co_u32_e32 v6, vcc, v12, v6, vcc
	global_load_dword v5, v[5:6], off
	s_or_b64 s[8:9], s[8:9], exec
	s_waitcnt vmcnt(0)
	v_div_scale_f32 v6, s[12:13], v5, v5, 1.0
	v_div_scale_f32 v12, vcc, 1.0, v5, 1.0
	v_rcp_f32_e32 v13, v6
	v_fma_f32 v14, -v6, v13, 1.0
	v_fmac_f32_e32 v13, v14, v13
	v_mul_f32_e32 v14, v12, v13
	v_fma_f32 v15, -v6, v14, v12
	v_fmac_f32_e32 v14, v15, v13
	v_fma_f32 v6, -v6, v14, v12
	v_div_fmas_f32 v6, v6, v13, v14
	v_div_fixup_f32 v12, v6, v5, 1.0
.LBB5_1175:
	s_or_b64 exec, exec, s[10:11]
	s_and_b64 s[8:9], s[8:9], exec
                                        ; implicit-def: $vgpr5_vgpr6
	s_andn2_saveexec_b64 s[2:3], s[2:3]
	s_cbranch_execz .LBB5_22
.LBB5_1176:
	v_lshlrev_b64 v[5:6], 2, v[5:6]
	v_mov_b32_e32 v12, s88
	v_add_co_u32_e32 v5, vcc, s87, v5
	v_addc_co_u32_e32 v6, vcc, v12, v6, vcc
	global_load_dword v5, v[5:6], off
	s_or_b64 s[8:9], s[8:9], exec
	s_waitcnt vmcnt(0)
	v_xor_b32_e32 v12, 0x80000000, v5
	s_or_b64 exec, exec, s[2:3]
	s_and_saveexec_b64 s[2:3], s[8:9]
	s_cbranch_execnz .LBB5_23
	s_branch .LBB5_24
.LBB5_1177:
	v_cmp_ne_u32_e32 vcc, v0, v2
	s_xor_b64 s[12:13], s[2:3], -1
	s_or_b64 s[14:15], s[12:13], vcc
	s_mov_b64 s[12:13], 0
	s_and_saveexec_b64 s[16:17], s[14:15]
	s_xor_b64 s[14:15], exec, s[16:17]
; %bb.1178:
	v_or_b32_e32 v1, v2, v0
	v_cmp_gt_u32_e32 vcc, 64, v1
	s_and_b64 s[12:13], vcc, exec
                                        ; implicit-def: $vgpr5_vgpr6
; %bb.1179:
	s_or_saveexec_b64 s[14:15], s[14:15]
	v_mov_b32_e32 v1, 0
	s_xor_b64 exec, exec, s[14:15]
	s_cbranch_execz .LBB5_1181
; %bb.1180:
	v_lshlrev_b64 v[5:6], 2, v[5:6]
	v_mov_b32_e32 v1, s88
	v_add_co_u32_e32 v5, vcc, s87, v5
	v_addc_co_u32_e32 v6, vcc, v1, v6, vcc
	global_load_dword v1, v[5:6], off
	s_or_b64 s[12:13], s[12:13], exec
	s_waitcnt vmcnt(0)
	v_div_scale_f32 v5, s[16:17], v1, v1, 1.0
	v_div_scale_f32 v6, vcc, 1.0, v1, 1.0
	v_rcp_f32_e32 v12, v5
	v_fma_f32 v13, -v5, v12, 1.0
	v_fmac_f32_e32 v12, v13, v12
	v_mul_f32_e32 v13, v6, v12
	v_fma_f32 v14, -v5, v13, v6
	v_fmac_f32_e32 v13, v14, v12
	v_fma_f32 v5, -v5, v13, v6
	v_div_fmas_f32 v5, v5, v12, v13
	v_div_fixup_f32 v1, v5, v1, 1.0
.LBB5_1181:
	s_or_b64 exec, exec, s[14:15]
	s_and_b64 s[12:13], s[12:13], exec
                                        ; implicit-def: $vgpr5_vgpr6
	s_andn2_saveexec_b64 s[8:9], s[8:9]
	s_cbranch_execz .LBB5_36
.LBB5_1182:
	v_lshlrev_b64 v[5:6], 2, v[5:6]
	v_mov_b32_e32 v1, s88
	v_add_co_u32_e32 v5, vcc, s87, v5
	v_addc_co_u32_e32 v6, vcc, v1, v6, vcc
	global_load_dword v1, v[5:6], off
	s_or_b64 s[12:13], s[12:13], exec
	s_waitcnt vmcnt(0)
	v_xor_b32_e32 v1, 0x80000000, v1
	s_or_b64 exec, exec, s[8:9]
	s_and_saveexec_b64 s[8:9], s[12:13]
	s_cbranch_execnz .LBB5_37
	s_branch .LBB5_38
.LBB5_1183:
	v_cmp_ne_u32_e32 vcc, v0, v1
	s_xor_b64 s[12:13], s[2:3], -1
	s_or_b64 s[14:15], s[12:13], vcc
	s_mov_b64 s[12:13], 0
	s_and_saveexec_b64 s[16:17], s[14:15]
	s_xor_b64 s[14:15], exec, s[16:17]
; %bb.1184:
	v_or_b32_e32 v5, v1, v0
	v_cmp_gt_u32_e32 vcc, 64, v5
	s_and_b64 s[12:13], vcc, exec
                                        ; implicit-def: $vgpr5_vgpr6
; %bb.1185:
	s_or_saveexec_b64 s[14:15], s[14:15]
	v_mov_b32_e32 v12, 0
	s_xor_b64 exec, exec, s[14:15]
	s_cbranch_execz .LBB5_1187
; %bb.1186:
	v_lshlrev_b64 v[5:6], 2, v[5:6]
	v_mov_b32_e32 v12, s88
	v_add_co_u32_e32 v5, vcc, s87, v5
	v_addc_co_u32_e32 v6, vcc, v12, v6, vcc
	global_load_dword v5, v[5:6], off
	s_or_b64 s[12:13], s[12:13], exec
	s_waitcnt vmcnt(0)
	v_div_scale_f32 v6, s[16:17], v5, v5, 1.0
	v_div_scale_f32 v12, vcc, 1.0, v5, 1.0
	v_rcp_f32_e32 v13, v6
	v_fma_f32 v14, -v6, v13, 1.0
	v_fmac_f32_e32 v13, v14, v13
	v_mul_f32_e32 v14, v12, v13
	v_fma_f32 v15, -v6, v14, v12
	v_fmac_f32_e32 v14, v15, v13
	v_fma_f32 v6, -v6, v14, v12
	v_div_fmas_f32 v6, v6, v13, v14
	v_div_fixup_f32 v12, v6, v5, 1.0
.LBB5_1187:
	s_or_b64 exec, exec, s[14:15]
	s_and_b64 s[12:13], s[12:13], exec
                                        ; implicit-def: $vgpr5_vgpr6
	s_andn2_saveexec_b64 s[8:9], s[8:9]
	s_cbranch_execz .LBB5_40
.LBB5_1188:
	v_lshlrev_b64 v[5:6], 2, v[5:6]
	v_mov_b32_e32 v12, s88
	v_add_co_u32_e32 v5, vcc, s87, v5
	v_addc_co_u32_e32 v6, vcc, v12, v6, vcc
	global_load_dword v5, v[5:6], off
	s_or_b64 s[12:13], s[12:13], exec
	s_waitcnt vmcnt(0)
	v_xor_b32_e32 v12, 0x80000000, v5
	s_or_b64 exec, exec, s[8:9]
	s_and_saveexec_b64 s[8:9], s[12:13]
	s_cbranch_execnz .LBB5_41
	s_branch .LBB5_42
.LBB5_1189:
	v_cmp_ne_u32_e32 vcc, v0, v1
	s_xor_b64 s[12:13], s[2:3], -1
	s_or_b64 s[14:15], s[12:13], vcc
	s_mov_b64 s[12:13], 0
	s_and_saveexec_b64 s[16:17], s[14:15]
	s_xor_b64 s[14:15], exec, s[16:17]
; %bb.1190:
	v_or_b32_e32 v5, v1, v0
	v_cmp_gt_u32_e32 vcc, 64, v5
	s_and_b64 s[12:13], vcc, exec
                                        ; implicit-def: $vgpr5_vgpr6
; %bb.1191:
	s_or_saveexec_b64 s[14:15], s[14:15]
	v_mov_b32_e32 v12, 0
	s_xor_b64 exec, exec, s[14:15]
	s_cbranch_execz .LBB5_1193
; %bb.1192:
	v_lshlrev_b64 v[5:6], 2, v[5:6]
	v_mov_b32_e32 v12, s88
	v_add_co_u32_e32 v5, vcc, s87, v5
	v_addc_co_u32_e32 v6, vcc, v12, v6, vcc
	global_load_dword v5, v[5:6], off
	s_or_b64 s[12:13], s[12:13], exec
	s_waitcnt vmcnt(0)
	v_div_scale_f32 v6, s[16:17], v5, v5, 1.0
	v_div_scale_f32 v12, vcc, 1.0, v5, 1.0
	v_rcp_f32_e32 v13, v6
	v_fma_f32 v14, -v6, v13, 1.0
	v_fmac_f32_e32 v13, v14, v13
	v_mul_f32_e32 v14, v12, v13
	v_fma_f32 v15, -v6, v14, v12
	v_fmac_f32_e32 v14, v15, v13
	v_fma_f32 v6, -v6, v14, v12
	v_div_fmas_f32 v6, v6, v13, v14
	v_div_fixup_f32 v12, v6, v5, 1.0
.LBB5_1193:
	s_or_b64 exec, exec, s[14:15]
	s_and_b64 s[12:13], s[12:13], exec
                                        ; implicit-def: $vgpr5_vgpr6
	s_andn2_saveexec_b64 s[8:9], s[8:9]
	s_cbranch_execz .LBB5_44
.LBB5_1194:
	v_lshlrev_b64 v[5:6], 2, v[5:6]
	v_mov_b32_e32 v12, s88
	v_add_co_u32_e32 v5, vcc, s87, v5
	v_addc_co_u32_e32 v6, vcc, v12, v6, vcc
	global_load_dword v5, v[5:6], off
	s_or_b64 s[12:13], s[12:13], exec
	s_waitcnt vmcnt(0)
	v_xor_b32_e32 v12, 0x80000000, v5
	s_or_b64 exec, exec, s[8:9]
	s_and_saveexec_b64 s[8:9], s[12:13]
	s_cbranch_execnz .LBB5_45
	s_branch .LBB5_46
.LBB5_1195:
	s_or_b64 exec, exec, s[8:9]
	s_and_b64 vcc, exec, s[6:7]
	s_cbranch_vccnz .LBB5_1139
.LBB5_1196:
	v_mov_b32_e32 v12, v4
	s_and_saveexec_b64 s[0:1], s[4:5]
	s_cbranch_execnz .LBB5_1202
	s_branch .LBB5_1203
.LBB5_1197:
	s_mov_b64 s[0:1], 0
.LBB5_1198:
	v_cmp_gt_i32_e32 vcc, s86, v0
	s_and_b64 s[2:3], s[2:3], vcc
	s_andn2_b64 s[0:1], s[0:1], exec
	s_and_b64 s[2:3], s[2:3], exec
	s_or_b64 s[0:1], s[0:1], s[2:3]
.LBB5_1199:
                                        ; implicit-def: $vgpr1_vgpr2
	s_and_saveexec_b64 s[2:3], s[0:1]
	s_cbranch_execz .LBB5_1201
; %bb.1200:
	v_mov_b32_e32 v0, s36
	v_add_co_u32_e32 v1, vcc, s33, v11
	v_addc_co_u32_e32 v0, vcc, 0, v0, vcc
	v_mul_lo_u32 v0, v0, s50
	v_mul_lo_u32 v3, v1, s51
	v_mad_u64_u32 v[1:2], s[0:1], v1, s50, 0
	s_or_b64 s[4:5], s[4:5], exec
	v_add3_u32 v2, v2, v3, v0
.LBB5_1201:
	s_or_b64 exec, exec, s[2:3]
	s_and_saveexec_b64 s[0:1], s[4:5]
	s_cbranch_execz .LBB5_1203
.LBB5_1202:
	v_lshlrev_b64 v[0:1], 2, v[1:2]
	v_mov_b32_e32 v2, s21
	v_add_co_u32_e32 v0, vcc, s20, v0
	v_addc_co_u32_e32 v1, vcc, v2, v1, vcc
	global_store_dword v[0:1], v12, off
.LBB5_1203:
	s_or_b64 exec, exec, s[0:1]
	v_cmp_eq_u32_e32 vcc, 0, v11
	s_waitcnt vmcnt(0)
	buffer_wbinvl1_vol
	s_barrier
	s_and_saveexec_b64 s[0:1], vcc
	s_cbranch_execz .LBB5_1205
; %bb.1204:
	s_lshl_b64 s[2:3], s[22:23], 2
	s_add_u32 s2, s14, s2
	s_addc_u32 s3, s15, s3
	v_mov_b32_e32 v0, 0
	global_load_dword v1, v0, s[2:3]
	s_waitcnt vmcnt(0)
	v_add_u32_e32 v1, 1, v1
	global_store_dword v0, v1, s[2:3]
.LBB5_1205:
	s_or_b64 exec, exec, s[0:1]
	s_waitcnt vmcnt(0)
	buffer_wbinvl1_vol
	s_endpgm
.LBB5_1206:
	ds_read_b32 v16, v15 offset:15840
	ds_read_b32 v17, v14 offset:15604
	s_waitcnt lgkmcnt(0)
	v_fmac_f32_e32 v13, v16, v17
	s_or_b64 exec, exec, s[14:15]
	v_cmp_gt_u32_e64 s[10:11], 8, v5
	s_and_saveexec_b64 s[14:15], s[10:11]
	s_cbranch_execz .LBB5_79
.LBB5_1207:
	ds_read_b32 v15, v15 offset:16096
	ds_read_b32 v14, v14 offset:15608
	s_waitcnt lgkmcnt(0)
	v_fmac_f32_e32 v13, v15, v14
	s_or_b64 exec, exec, s[14:15]
	v_cmp_gt_u32_e64 s[10:11], 4, v5
	s_and_saveexec_b64 s[14:15], s[10:11]
	s_cbranch_execnz .LBB5_80
	s_branch .LBB5_81
.LBB5_1208:
	ds_read_b32 v19, v18 offset:14784
	ds_read_b32 v20, v17 offset:14564
	s_waitcnt lgkmcnt(0)
	v_fmac_f32_e32 v16, v19, v20
	s_or_b64 exec, exec, s[16:17]
	v_cmp_gt_u32_e64 s[14:15], 48, v5
	s_and_saveexec_b64 s[16:17], s[14:15]
	s_cbranch_execz .LBB5_121
.LBB5_1209:
	ds_read_b32 v19, v18 offset:15040
	ds_read_b32 v20, v17 offset:14568
	s_waitcnt lgkmcnt(0)
	v_fmac_f32_e32 v16, v19, v20
	s_or_b64 exec, exec, s[16:17]
	v_cmp_gt_u32_e64 s[14:15], 40, v5
	s_and_saveexec_b64 s[16:17], s[14:15]
	s_cbranch_execz .LBB5_122
.LBB5_1210:
	ds_read_b32 v19, v18 offset:15296
	ds_read_b32 v20, v17 offset:14572
	s_waitcnt lgkmcnt(0)
	v_fmac_f32_e32 v16, v19, v20
	s_or_b64 exec, exec, s[16:17]
	v_cmp_gt_u32_e64 s[14:15], 32, v5
	s_and_saveexec_b64 s[16:17], s[14:15]
	s_cbranch_execz .LBB5_123
.LBB5_1211:
	ds_read_b32 v19, v18 offset:15552
	ds_read_b32 v20, v17 offset:14576
	s_waitcnt lgkmcnt(0)
	v_fmac_f32_e32 v16, v19, v20
	s_or_b64 exec, exec, s[16:17]
	v_cmp_gt_u32_e64 s[14:15], 24, v5
	s_and_saveexec_b64 s[16:17], s[14:15]
	s_cbranch_execz .LBB5_124
.LBB5_1212:
	ds_read_b32 v19, v18 offset:15808
	ds_read_b32 v20, v17 offset:14580
	s_waitcnt lgkmcnt(0)
	v_fmac_f32_e32 v16, v19, v20
	s_or_b64 exec, exec, s[16:17]
	s_and_saveexec_b64 s[14:15], s[18:19]
	s_cbranch_execz .LBB5_125
.LBB5_1213:
	ds_read_b32 v18, v18 offset:16064
	ds_read_b32 v17, v17 offset:14584
	s_waitcnt lgkmcnt(0)
	v_fmac_f32_e32 v16, v18, v17
	s_or_b64 exec, exec, s[14:15]
	v_cmp_gt_u32_e64 s[14:15], 8, v5
	s_and_saveexec_b64 s[16:17], s[14:15]
	s_cbranch_execnz .LBB5_126
	s_branch .LBB5_127
.LBB5_1214:
	ds_read_b32 v19, v18 offset:13760
	ds_read_b32 v20, v17 offset:13524
	s_waitcnt lgkmcnt(0)
	v_fmac_f32_e32 v16, v19, v20
	s_or_b64 exec, exec, s[14:15]
	v_cmp_gt_u32_e64 s[10:11], 8, v5
	s_and_saveexec_b64 s[14:15], s[10:11]
	s_cbranch_execz .LBB5_183
.LBB5_1215:
	ds_read_b32 v18, v18 offset:14016
	ds_read_b32 v17, v17 offset:13528
	s_waitcnt lgkmcnt(0)
	v_fmac_f32_e32 v16, v18, v17
	s_or_b64 exec, exec, s[14:15]
	v_cmp_gt_u32_e64 s[10:11], 4, v5
	s_and_saveexec_b64 s[14:15], s[10:11]
	s_cbranch_execnz .LBB5_184
	s_branch .LBB5_185
.LBB5_1216:
	ds_read_b32 v22, v21 offset:15232
	ds_read_b32 v23, v20 offset:12524
	s_waitcnt lgkmcnt(0)
	v_fmac_f32_e32 v19, v22, v23
	s_or_b64 exec, exec, s[20:21]
	s_and_saveexec_b64 s[16:17], s[8:9]
	s_cbranch_execz .LBB5_245
.LBB5_1217:
	ds_read_b32 v22, v21 offset:15488
	ds_read_b32 v23, v20 offset:12528
	s_waitcnt lgkmcnt(0)
	v_fmac_f32_e32 v19, v22, v23
	s_or_b64 exec, exec, s[16:17]
	v_cmp_gt_u32_e64 s[16:17], 48, v5
	s_and_saveexec_b64 s[20:21], s[16:17]
	s_cbranch_execz .LBB5_246
.LBB5_1218:
	ds_read_b32 v22, v21 offset:15744
	ds_read_b32 v23, v20 offset:12532
	s_waitcnt lgkmcnt(0)
	v_fmac_f32_e32 v19, v22, v23
	s_or_b64 exec, exec, s[20:21]
	v_cmp_gt_u32_e64 s[16:17], 32, v5
	s_and_saveexec_b64 s[20:21], s[16:17]
	s_cbranch_execz .LBB5_247
.LBB5_1219:
	ds_read_b32 v21, v21 offset:16000
	ds_read_b32 v20, v20 offset:12536
	s_waitcnt lgkmcnt(0)
	v_fmac_f32_e32 v19, v21, v20
	s_or_b64 exec, exec, s[20:21]
	v_cmp_gt_u32_e64 s[16:17], 16, v5
	s_and_saveexec_b64 s[20:21], s[16:17]
	s_cbranch_execnz .LBB5_248
	s_branch .LBB5_249
.LBB5_1220:
	ds_read_b32 v22, v21 offset:11680
	ds_read_b32 v23, v20 offset:11444
	s_waitcnt lgkmcnt(0)
	v_fmac_f32_e32 v19, v22, v23
	s_or_b64 exec, exec, s[20:21]
	v_cmp_gt_u32_e64 s[14:15], 8, v5
	s_and_saveexec_b64 s[20:21], s[14:15]
	s_cbranch_execz .LBB5_337
.LBB5_1221:
	ds_read_b32 v21, v21 offset:11936
	ds_read_b32 v20, v20 offset:11448
	s_waitcnt lgkmcnt(0)
	v_fmac_f32_e32 v19, v21, v20
	s_or_b64 exec, exec, s[20:21]
	v_cmp_gt_u32_e64 s[14:15], 4, v5
	s_and_saveexec_b64 s[20:21], s[14:15]
	s_cbranch_execnz .LBB5_338
	s_branch .LBB5_339
.LBB5_1222:
	ds_read_b32 v22, v21 offset:10624
	ds_read_b32 v23, v20 offset:10404
	s_waitcnt lgkmcnt(0)
	v_fmac_f32_e32 v19, v22, v23
	s_or_b64 exec, exec, s[20:21]
	v_cmp_gt_u32_e64 s[14:15], 48, v5
	s_and_saveexec_b64 s[20:21], s[14:15]
	s_cbranch_execz .LBB5_379
.LBB5_1223:
	ds_read_b32 v22, v21 offset:10880
	ds_read_b32 v23, v20 offset:10408
	s_waitcnt lgkmcnt(0)
	v_fmac_f32_e32 v19, v22, v23
	s_or_b64 exec, exec, s[20:21]
	v_cmp_gt_u32_e64 s[14:15], 40, v5
	s_and_saveexec_b64 s[20:21], s[14:15]
	s_cbranch_execz .LBB5_380
.LBB5_1224:
	ds_read_b32 v22, v21 offset:11136
	ds_read_b32 v23, v20 offset:10412
	s_waitcnt lgkmcnt(0)
	v_fmac_f32_e32 v19, v22, v23
	s_or_b64 exec, exec, s[20:21]
	v_cmp_gt_u32_e64 s[14:15], 32, v5
	s_and_saveexec_b64 s[20:21], s[14:15]
	s_cbranch_execz .LBB5_381
.LBB5_1225:
	ds_read_b32 v22, v21 offset:11392
	ds_read_b32 v23, v20 offset:10416
	s_waitcnt lgkmcnt(0)
	v_fmac_f32_e32 v19, v22, v23
	s_or_b64 exec, exec, s[20:21]
	v_cmp_gt_u32_e64 s[14:15], 24, v5
	s_and_saveexec_b64 s[20:21], s[14:15]
	s_cbranch_execz .LBB5_382
.LBB5_1226:
	ds_read_b32 v22, v21 offset:11648
	ds_read_b32 v23, v20 offset:10420
	s_waitcnt lgkmcnt(0)
	v_fmac_f32_e32 v19, v22, v23
	s_or_b64 exec, exec, s[20:21]
	s_and_saveexec_b64 s[14:15], s[18:19]
	s_cbranch_execz .LBB5_383
.LBB5_1227:
	ds_read_b32 v21, v21 offset:11904
	ds_read_b32 v20, v20 offset:10424
	s_waitcnt lgkmcnt(0)
	v_fmac_f32_e32 v19, v21, v20
	s_or_b64 exec, exec, s[14:15]
	v_cmp_gt_u32_e64 s[14:15], 8, v5
	s_and_saveexec_b64 s[20:21], s[14:15]
	s_cbranch_execnz .LBB5_384
	s_branch .LBB5_385
.LBB5_1228:
	ds_read_b32 v22, v21 offset:9600
	ds_read_b32 v23, v20 offset:9364
	s_waitcnt lgkmcnt(0)
	v_fmac_f32_e32 v19, v22, v23
	s_or_b64 exec, exec, s[20:21]
	v_cmp_gt_u32_e64 s[14:15], 8, v5
	s_and_saveexec_b64 s[20:21], s[14:15]
	s_cbranch_execz .LBB5_441
.LBB5_1229:
	ds_read_b32 v21, v21 offset:9856
	ds_read_b32 v20, v20 offset:9368
	s_waitcnt lgkmcnt(0)
	v_fmac_f32_e32 v19, v21, v20
	s_or_b64 exec, exec, s[20:21]
	v_cmp_gt_u32_e64 s[14:15], 4, v5
	s_and_saveexec_b64 s[20:21], s[14:15]
	s_cbranch_execnz .LBB5_442
	s_branch .LBB5_443
.LBB5_1230:
	ds_read_b32 v25, v24 offset:15616
	ds_read_b32 v26, v23 offset:8436
	s_waitcnt lgkmcnt(0)
	v_fmac_f32_e32 v21, v25, v26
	s_or_b64 exec, exec, s[94:95]
	s_and_saveexec_b64 s[20:21], s[8:9]
	s_cbranch_execz .LBB5_539
.LBB5_1231:
	ds_read_b32 v24, v24 offset:15872
	ds_read_b32 v23, v23 offset:8440
	s_waitcnt lgkmcnt(0)
	v_fmac_f32_e32 v21, v24, v23
	s_or_b64 exec, exec, s[20:21]
	v_cmp_gt_u32_e64 s[20:21], 32, v5
	s_and_saveexec_b64 s[94:95], s[20:21]
	s_cbranch_execnz .LBB5_540
	s_branch .LBB5_541
.LBB5_1232:
	ds_read_b32 v22, v21 offset:7520
	ds_read_b32 v23, v20 offset:7284
	s_waitcnt lgkmcnt(0)
	v_fmac_f32_e32 v19, v22, v23
	s_or_b64 exec, exec, s[16:17]
	v_cmp_gt_u32_e64 s[12:13], 8, v5
	s_and_saveexec_b64 s[16:17], s[12:13]
	s_cbranch_execz .LBB5_693
.LBB5_1233:
	ds_read_b32 v21, v21 offset:7776
	ds_read_b32 v20, v20 offset:7288
	s_waitcnt lgkmcnt(0)
	v_fmac_f32_e32 v19, v21, v20
	s_or_b64 exec, exec, s[16:17]
	v_cmp_gt_u32_e64 s[12:13], 4, v5
	s_and_saveexec_b64 s[16:17], s[12:13]
	s_cbranch_execnz .LBB5_694
	s_branch .LBB5_695
.LBB5_1234:
	ds_read_b32 v22, v21 offset:6464
	ds_read_b32 v23, v20 offset:6244
	s_waitcnt lgkmcnt(0)
	v_fmac_f32_e32 v19, v22, v23
	s_or_b64 exec, exec, s[16:17]
	v_cmp_gt_u32_e64 s[12:13], 48, v5
	s_and_saveexec_b64 s[16:17], s[12:13]
	s_cbranch_execz .LBB5_735
.LBB5_1235:
	ds_read_b32 v22, v21 offset:6720
	ds_read_b32 v23, v20 offset:6248
	s_waitcnt lgkmcnt(0)
	v_fmac_f32_e32 v19, v22, v23
	s_or_b64 exec, exec, s[16:17]
	v_cmp_gt_u32_e64 s[12:13], 40, v5
	s_and_saveexec_b64 s[16:17], s[12:13]
	s_cbranch_execz .LBB5_736
.LBB5_1236:
	ds_read_b32 v22, v21 offset:6976
	ds_read_b32 v23, v20 offset:6252
	s_waitcnt lgkmcnt(0)
	v_fmac_f32_e32 v19, v22, v23
	s_or_b64 exec, exec, s[16:17]
	v_cmp_gt_u32_e64 s[12:13], 32, v5
	s_and_saveexec_b64 s[16:17], s[12:13]
	s_cbranch_execz .LBB5_737
.LBB5_1237:
	ds_read_b32 v22, v21 offset:7232
	ds_read_b32 v23, v20 offset:6256
	s_waitcnt lgkmcnt(0)
	v_fmac_f32_e32 v19, v22, v23
	s_or_b64 exec, exec, s[16:17]
	v_cmp_gt_u32_e64 s[12:13], 24, v5
	s_and_saveexec_b64 s[16:17], s[12:13]
	s_cbranch_execz .LBB5_738
.LBB5_1238:
	ds_read_b32 v22, v21 offset:7488
	ds_read_b32 v23, v20 offset:6260
	s_waitcnt lgkmcnt(0)
	v_fmac_f32_e32 v19, v22, v23
	s_or_b64 exec, exec, s[16:17]
	s_and_saveexec_b64 s[12:13], s[18:19]
	s_cbranch_execz .LBB5_739
.LBB5_1239:
	ds_read_b32 v21, v21 offset:7744
	ds_read_b32 v20, v20 offset:6264
	s_waitcnt lgkmcnt(0)
	v_fmac_f32_e32 v19, v21, v20
	s_or_b64 exec, exec, s[12:13]
	v_cmp_gt_u32_e64 s[12:13], 8, v5
	s_and_saveexec_b64 s[16:17], s[12:13]
	s_cbranch_execnz .LBB5_740
	s_branch .LBB5_741
.LBB5_1240:
	ds_read_b32 v22, v21 offset:5440
	ds_read_b32 v23, v20 offset:5204
	s_waitcnt lgkmcnt(0)
	v_fmac_f32_e32 v19, v22, v23
	s_or_b64 exec, exec, s[16:17]
	v_cmp_gt_u32_e64 s[12:13], 8, v5
	s_and_saveexec_b64 s[16:17], s[12:13]
	s_cbranch_execz .LBB5_797
.LBB5_1241:
	ds_read_b32 v21, v21 offset:5696
	ds_read_b32 v20, v20 offset:5208
	s_waitcnt lgkmcnt(0)
	v_fmac_f32_e32 v19, v21, v20
	s_or_b64 exec, exec, s[16:17]
	v_cmp_gt_u32_e64 s[12:13], 4, v5
	s_and_saveexec_b64 s[16:17], s[12:13]
	s_cbranch_execnz .LBB5_798
	s_branch .LBB5_799
.LBB5_1242:
	ds_read_b32 v22, v21 offset:6912
	ds_read_b32 v23, v20 offset:4204
	s_waitcnt lgkmcnt(0)
	v_fmac_f32_e32 v19, v22, v23
	s_or_b64 exec, exec, s[16:17]
	s_and_saveexec_b64 s[12:13], s[8:9]
	s_cbranch_execz .LBB5_859
.LBB5_1243:
	ds_read_b32 v22, v21 offset:7168
	ds_read_b32 v23, v20 offset:4208
	s_waitcnt lgkmcnt(0)
	v_fmac_f32_e32 v19, v22, v23
	s_or_b64 exec, exec, s[12:13]
	v_cmp_gt_u32_e64 s[12:13], 48, v5
	s_and_saveexec_b64 s[16:17], s[12:13]
	s_cbranch_execz .LBB5_860
.LBB5_1244:
	ds_read_b32 v22, v21 offset:7424
	ds_read_b32 v23, v20 offset:4212
	s_waitcnt lgkmcnt(0)
	v_fmac_f32_e32 v19, v22, v23
	s_or_b64 exec, exec, s[16:17]
	v_cmp_gt_u32_e64 s[12:13], 32, v5
	s_and_saveexec_b64 s[16:17], s[12:13]
	s_cbranch_execz .LBB5_861
.LBB5_1245:
	ds_read_b32 v21, v21 offset:7680
	ds_read_b32 v20, v20 offset:4216
	s_waitcnt lgkmcnt(0)
	v_fmac_f32_e32 v19, v21, v20
	s_or_b64 exec, exec, s[16:17]
	v_cmp_gt_u32_e64 s[12:13], 16, v5
	s_and_saveexec_b64 s[16:17], s[12:13]
	s_cbranch_execnz .LBB5_862
	s_branch .LBB5_863
.LBB5_1246:
	ds_read_b32 v19, v18 offset:3360
	ds_read_b32 v20, v17 offset:3124
	s_waitcnt lgkmcnt(0)
	v_fmac_f32_e32 v16, v19, v20
	s_or_b64 exec, exec, s[12:13]
	v_cmp_gt_u32_e64 s[10:11], 8, v5
	s_and_saveexec_b64 s[12:13], s[10:11]
	s_cbranch_execz .LBB5_951
.LBB5_1247:
	ds_read_b32 v18, v18 offset:3616
	ds_read_b32 v17, v17 offset:3128
	s_waitcnt lgkmcnt(0)
	v_fmac_f32_e32 v16, v18, v17
	s_or_b64 exec, exec, s[12:13]
	v_cmp_gt_u32_e64 s[10:11], 4, v5
	s_and_saveexec_b64 s[12:13], s[10:11]
	s_cbranch_execnz .LBB5_952
	s_branch .LBB5_953
.LBB5_1248:
	ds_read_b32 v19, v18 offset:2304
	ds_read_b32 v20, v17 offset:2084
	s_waitcnt lgkmcnt(0)
	v_fmac_f32_e32 v16, v19, v20
	s_or_b64 exec, exec, s[12:13]
	v_cmp_gt_u32_e64 s[10:11], 48, v5
	s_and_saveexec_b64 s[12:13], s[10:11]
	s_cbranch_execz .LBB5_993
.LBB5_1249:
	ds_read_b32 v19, v18 offset:2560
	ds_read_b32 v20, v17 offset:2088
	s_waitcnt lgkmcnt(0)
	v_fmac_f32_e32 v16, v19, v20
	s_or_b64 exec, exec, s[12:13]
	v_cmp_gt_u32_e64 s[10:11], 40, v5
	s_and_saveexec_b64 s[12:13], s[10:11]
	s_cbranch_execz .LBB5_994
.LBB5_1250:
	ds_read_b32 v19, v18 offset:2816
	ds_read_b32 v20, v17 offset:2092
	s_waitcnt lgkmcnt(0)
	v_fmac_f32_e32 v16, v19, v20
	s_or_b64 exec, exec, s[12:13]
	v_cmp_gt_u32_e64 s[10:11], 32, v5
	s_and_saveexec_b64 s[12:13], s[10:11]
	s_cbranch_execz .LBB5_995
.LBB5_1251:
	ds_read_b32 v19, v18 offset:3072
	ds_read_b32 v20, v17 offset:2096
	s_waitcnt lgkmcnt(0)
	v_fmac_f32_e32 v16, v19, v20
	s_or_b64 exec, exec, s[12:13]
	v_cmp_gt_u32_e64 s[10:11], 24, v5
	s_and_saveexec_b64 s[12:13], s[10:11]
	s_cbranch_execz .LBB5_996
.LBB5_1252:
	ds_read_b32 v19, v18 offset:3328
	ds_read_b32 v20, v17 offset:2100
	s_waitcnt lgkmcnt(0)
	v_fmac_f32_e32 v16, v19, v20
	s_or_b64 exec, exec, s[12:13]
	s_and_saveexec_b64 s[10:11], s[18:19]
	s_cbranch_execz .LBB5_997
.LBB5_1253:
	ds_read_b32 v18, v18 offset:3584
	ds_read_b32 v17, v17 offset:2104
	s_waitcnt lgkmcnt(0)
	v_fmac_f32_e32 v16, v18, v17
	s_or_b64 exec, exec, s[10:11]
	v_cmp_gt_u32_e64 s[10:11], 8, v5
	s_and_saveexec_b64 s[12:13], s[10:11]
	s_cbranch_execnz .LBB5_998
	s_branch .LBB5_999
.LBB5_1254:
	ds_read_b32 v16, v15 offset:1280
	ds_read_b32 v17, v14 offset:1044
	s_waitcnt lgkmcnt(0)
	v_fmac_f32_e32 v13, v16, v17
	s_or_b64 exec, exec, s[10:11]
	v_cmp_gt_u32_e64 s[8:9], 8, v5
	s_and_saveexec_b64 s[10:11], s[8:9]
	s_cbranch_execz .LBB5_1055
.LBB5_1255:
	ds_read_b32 v15, v15 offset:1536
	ds_read_b32 v14, v14 offset:1048
	s_waitcnt lgkmcnt(0)
	v_fmac_f32_e32 v13, v15, v14
	s_or_b64 exec, exec, s[10:11]
	v_cmp_gt_u32_e64 s[8:9], 4, v5
	s_and_saveexec_b64 s[10:11], s[8:9]
	s_cbranch_execnz .LBB5_1056
	s_branch .LBB5_1057
	.section	.rodata,"a",@progbits
	.p2align	6, 0x0
	.amdhsa_kernel _ZL19rocblas_trsv_deviceILi64ELi16ELb0ELb1ELb0ELb0EfPKfS1_PfEviT7_lllT6_T8_lllPii
		.amdhsa_group_segment_fixed_size 20740
		.amdhsa_private_segment_fixed_size 0
		.amdhsa_kernarg_size 352
		.amdhsa_user_sgpr_count 6
		.amdhsa_user_sgpr_private_segment_buffer 1
		.amdhsa_user_sgpr_dispatch_ptr 0
		.amdhsa_user_sgpr_queue_ptr 0
		.amdhsa_user_sgpr_kernarg_segment_ptr 1
		.amdhsa_user_sgpr_dispatch_id 0
		.amdhsa_user_sgpr_flat_scratch_init 0
		.amdhsa_user_sgpr_private_segment_size 0
		.amdhsa_uses_dynamic_stack 0
		.amdhsa_system_sgpr_private_segment_wavefront_offset 0
		.amdhsa_system_sgpr_workgroup_id_x 1
		.amdhsa_system_sgpr_workgroup_id_y 0
		.amdhsa_system_sgpr_workgroup_id_z 1
		.amdhsa_system_sgpr_workgroup_info 0
		.amdhsa_system_vgpr_workitem_id 1
		.amdhsa_next_free_vgpr 29
		.amdhsa_next_free_sgpr 96
		.amdhsa_reserve_vcc 1
		.amdhsa_reserve_flat_scratch 0
		.amdhsa_float_round_mode_32 0
		.amdhsa_float_round_mode_16_64 0
		.amdhsa_float_denorm_mode_32 3
		.amdhsa_float_denorm_mode_16_64 3
		.amdhsa_dx10_clamp 1
		.amdhsa_ieee_mode 1
		.amdhsa_fp16_overflow 0
		.amdhsa_exception_fp_ieee_invalid_op 0
		.amdhsa_exception_fp_denorm_src 0
		.amdhsa_exception_fp_ieee_div_zero 0
		.amdhsa_exception_fp_ieee_overflow 0
		.amdhsa_exception_fp_ieee_underflow 0
		.amdhsa_exception_fp_ieee_inexact 0
		.amdhsa_exception_int_div_zero 0
	.end_amdhsa_kernel
	.section	.text._ZL19rocblas_trsv_deviceILi64ELi16ELb0ELb1ELb0ELb0EfPKfS1_PfEviT7_lllT6_T8_lllPii,"axG",@progbits,_ZL19rocblas_trsv_deviceILi64ELi16ELb0ELb1ELb0ELb0EfPKfS1_PfEviT7_lllT6_T8_lllPii,comdat
.Lfunc_end5:
	.size	_ZL19rocblas_trsv_deviceILi64ELi16ELb0ELb1ELb0ELb0EfPKfS1_PfEviT7_lllT6_T8_lllPii, .Lfunc_end5-_ZL19rocblas_trsv_deviceILi64ELi16ELb0ELb1ELb0ELb0EfPKfS1_PfEviT7_lllT6_T8_lllPii
                                        ; -- End function
	.set _ZL19rocblas_trsv_deviceILi64ELi16ELb0ELb1ELb0ELb0EfPKfS1_PfEviT7_lllT6_T8_lllPii.num_vgpr, 28
	.set _ZL19rocblas_trsv_deviceILi64ELi16ELb0ELb1ELb0ELb0EfPKfS1_PfEviT7_lllT6_T8_lllPii.num_agpr, 0
	.set _ZL19rocblas_trsv_deviceILi64ELi16ELb0ELb1ELb0ELb0EfPKfS1_PfEviT7_lllT6_T8_lllPii.numbered_sgpr, 96
	.set _ZL19rocblas_trsv_deviceILi64ELi16ELb0ELb1ELb0ELb0EfPKfS1_PfEviT7_lllT6_T8_lllPii.num_named_barrier, 0
	.set _ZL19rocblas_trsv_deviceILi64ELi16ELb0ELb1ELb0ELb0EfPKfS1_PfEviT7_lllT6_T8_lllPii.private_seg_size, 0
	.set _ZL19rocblas_trsv_deviceILi64ELi16ELb0ELb1ELb0ELb0EfPKfS1_PfEviT7_lllT6_T8_lllPii.uses_vcc, 1
	.set _ZL19rocblas_trsv_deviceILi64ELi16ELb0ELb1ELb0ELb0EfPKfS1_PfEviT7_lllT6_T8_lllPii.uses_flat_scratch, 0
	.set _ZL19rocblas_trsv_deviceILi64ELi16ELb0ELb1ELb0ELb0EfPKfS1_PfEviT7_lllT6_T8_lllPii.has_dyn_sized_stack, 0
	.set _ZL19rocblas_trsv_deviceILi64ELi16ELb0ELb1ELb0ELb0EfPKfS1_PfEviT7_lllT6_T8_lllPii.has_recursion, 0
	.set _ZL19rocblas_trsv_deviceILi64ELi16ELb0ELb1ELb0ELb0EfPKfS1_PfEviT7_lllT6_T8_lllPii.has_indirect_call, 0
	.section	.AMDGPU.csdata,"",@progbits
; Kernel info:
; codeLenInByte = 40676
; TotalNumSgprs: 100
; NumVgprs: 28
; ScratchSize: 0
; MemoryBound: 0
; FloatMode: 240
; IeeeMode: 1
; LDSByteSize: 20740 bytes/workgroup (compile time only)
; SGPRBlocks: 12
; VGPRBlocks: 7
; NumSGPRsForWavesPerEU: 100
; NumVGPRsForWavesPerEU: 29
; Occupancy: 8
; WaveLimiterHint : 0
; COMPUTE_PGM_RSRC2:SCRATCH_EN: 0
; COMPUTE_PGM_RSRC2:USER_SGPR: 6
; COMPUTE_PGM_RSRC2:TRAP_HANDLER: 0
; COMPUTE_PGM_RSRC2:TGID_X_EN: 1
; COMPUTE_PGM_RSRC2:TGID_Y_EN: 0
; COMPUTE_PGM_RSRC2:TGID_Z_EN: 1
; COMPUTE_PGM_RSRC2:TIDIG_COMP_CNT: 1
	.section	.text._ZL19rocblas_trsv_deviceILi64ELi16ELb0ELb1ELb1ELb0EfPKfS1_PfEviT7_lllT6_T8_lllPii,"axG",@progbits,_ZL19rocblas_trsv_deviceILi64ELi16ELb0ELb1ELb1ELb0EfPKfS1_PfEviT7_lllT6_T8_lllPii,comdat
	.globl	_ZL19rocblas_trsv_deviceILi64ELi16ELb0ELb1ELb1ELb0EfPKfS1_PfEviT7_lllT6_T8_lllPii ; -- Begin function _ZL19rocblas_trsv_deviceILi64ELi16ELb0ELb1ELb1ELb0EfPKfS1_PfEviT7_lllT6_T8_lllPii
	.p2align	8
	.type	_ZL19rocblas_trsv_deviceILi64ELi16ELb0ELb1ELb1ELb0EfPKfS1_PfEviT7_lllT6_T8_lllPii,@function
_ZL19rocblas_trsv_deviceILi64ELi16ELb0ELb1ELb1ELb0EfPKfS1_PfEviT7_lllT6_T8_lllPii: ; @_ZL19rocblas_trsv_deviceILi64ELi16ELb0ELb1ELb1ELb0EfPKfS1_PfEviT7_lllT6_T8_lllPii
; %bb.0:
	s_mov_b32 s22, s7
	s_load_dwordx16 s[36:51], s[4:5], 0x8
	s_load_dword s7, s[4:5], 0x0
	v_mov_b32_e32 v2, v1
	s_mov_b32 s23, 0
	s_waitcnt lgkmcnt(0)
	s_mul_i32 s0, s43, s22
	s_mul_hi_u32 s1, s42, s22
	s_add_i32 s1, s1, s0
	s_mul_i32 s0, s42, s22
	s_lshl_b64 s[0:1], s[0:1], 2
	s_add_u32 s2, s36, s0
	s_addc_u32 s3, s37, s1
	s_load_dword s37, s[44:45], 0x0
	s_load_dword s89, s[4:5], 0x6c
	s_lshl_b64 s[0:1], s[38:39], 2
	s_add_u32 s87, s2, s0
	s_addc_u32 s88, s3, s1
	s_cmp_eq_u32 s6, 0
	s_cbranch_scc1 .LBB6_10
; %bb.1:
	s_lshl_b32 s33, s6, 6
	v_add_u32_e32 v1, s33, v0
	v_ashrrev_i32_e32 v3, 31, v1
	v_mul_lo_u32 v7, s40, v3
	v_mul_lo_u32 v8, s41, v1
	v_mad_u64_u32 v[5:6], s[0:1], s40, v1, 0
	v_add_u32_e32 v3, s33, v2
	v_subrev_u32_e32 v3, 64, v3
	v_add3_u32 v6, v6, v7, v8
	v_lshlrev_b64 v[5:6], 2, v[5:6]
	v_ashrrev_i32_e32 v4, 31, v3
	v_cmp_gt_i32_e32 vcc, s7, v1
	v_mov_b32_e32 v1, s88
	v_add_co_u32_e64 v7, s[0:1], s87, v5
	v_lshlrev_b64 v[4:5], 2, v[3:4]
	v_addc_co_u32_e64 v1, s[0:1], v1, v6, s[0:1]
	v_add_co_u32_e64 v4, s[0:1], v7, v4
	v_addc_co_u32_e64 v5, s[0:1], v1, v5, s[0:1]
	v_cmp_gt_i32_e64 s[0:1], s7, v3
	s_and_b64 s[2:3], s[0:1], vcc
	v_mov_b32_e32 v7, 0
	v_mov_b32_e32 v8, 0
	s_waitcnt lgkmcnt(0)
	s_barrier
	s_and_saveexec_b64 s[0:1], s[2:3]
	s_cbranch_execz .LBB6_3
; %bb.2:
	global_load_dword v8, v[4:5], off
.LBB6_3:
	s_or_b64 exec, exec, s[0:1]
	v_add_u32_e32 v1, 16, v3
	v_cmp_gt_i32_e64 s[0:1], s7, v1
	s_and_b64 s[2:3], s[0:1], vcc
	s_waitcnt vmcnt(0)
	s_barrier
	s_and_saveexec_b64 s[0:1], s[2:3]
	s_cbranch_execz .LBB6_5
; %bb.4:
	global_load_dword v7, v[4:5], off offset:64
.LBB6_5:
	s_or_b64 exec, exec, s[0:1]
	v_add_u32_e32 v1, 32, v3
	v_cmp_gt_i32_e64 s[0:1], s7, v1
	s_and_b64 s[2:3], s[0:1], vcc
	v_mov_b32_e32 v9, 0
	v_mov_b32_e32 v10, 0
	s_waitcnt vmcnt(0)
	s_barrier
	s_and_saveexec_b64 s[0:1], s[2:3]
	s_cbranch_execz .LBB6_7
; %bb.6:
	global_load_dword v10, v[4:5], off offset:128
.LBB6_7:
	s_or_b64 exec, exec, s[0:1]
	v_add_u32_e32 v1, 48, v3
	v_cmp_gt_i32_e64 s[0:1], s7, v1
	s_and_b64 s[2:3], s[0:1], vcc
	s_waitcnt vmcnt(0)
	s_barrier
	s_and_saveexec_b64 s[0:1], s[2:3]
	s_cbranch_execz .LBB6_9
; %bb.8:
	global_load_dword v9, v[4:5], off offset:192
.LBB6_9:
	s_or_b64 exec, exec, s[0:1]
	s_branch .LBB6_11
.LBB6_10:
                                        ; implicit-def: $vgpr9
                                        ; implicit-def: $vgpr10
                                        ; implicit-def: $vgpr7
                                        ; implicit-def: $vgpr8
	s_mov_b32 s33, s23
.LBB6_11:
	s_ashr_i32 s0, s7, 31
	s_lshr_b32 s0, s0, 26
	s_add_i32 s0, s7, s0
	s_andn2_b32 s0, s0, 63
	s_sub_i32 s86, s7, s0
	s_add_i32 s0, s7, -1
	s_ashr_i32 s1, s0, 31
	s_lshr_b32 s1, s1, 26
	s_add_i32 s0, s0, s1
	s_ashr_i32 s0, s0, 6
	s_cmp_eq_u32 s0, s6
	s_cselect_b64 s[0:1], -1, 0
	s_cmp_lg_u32 s86, 0
	s_cselect_b64 s[2:3], -1, 0
	s_and_b64 s[24:25], s[2:3], s[0:1]
	s_cmp_lt_i32 s6, 5
	s_cselect_b64 s[2:3], -1, 0
	s_or_b64 s[0:1], s[2:3], s[24:25]
	s_ashr_i32 s36, s33, 31
	s_add_u32 s10, s40, 1
	v_mov_b32_e32 v1, 0
	v_mov_b32_e32 v3, s33
	v_mad_u64_u32 v[3:4], s[8:9], s10, v3, v[0:1]
	s_addc_u32 s11, s41, 0
	s_mul_i32 s8, s10, s36
	s_mul_i32 s11, s11, s33
	s_add_i32 s8, s8, s11
	s_mov_b64 s[12:13], -1
	v_lshlrev_b32_e32 v11, 6, v0
	v_add_u32_e32 v4, s8, v4
	s_and_b64 vcc, exec, s[24:25]
	v_cmp_le_u32_e64 s[8:9], v2, v0
	s_cbranch_vccnz .LBB6_33
; %bb.12:
	v_mad_u64_u32 v[5:6], s[10:11], s40, v2, v[3:4]
	v_mov_b32_e32 v1, v6
	v_mad_u64_u32 v[12:13], s[10:11], s41, v2, v[1:2]
	s_mov_b64 s[10:11], 0
                                        ; implicit-def: $vgpr1
	v_mov_b32_e32 v6, v12
	s_and_saveexec_b64 s[12:13], s[8:9]
	s_xor_b64 s[8:9], exec, s[12:13]
	s_cbranch_execnz .LBB6_1159
; %bb.13:
	s_andn2_saveexec_b64 s[8:9], s[8:9]
	s_cbranch_execnz .LBB6_1164
.LBB6_14:
	s_or_b64 exec, exec, s[8:9]
	s_and_saveexec_b64 s[8:9], s[10:11]
.LBB6_15:
	v_add_u32_e32 v5, v2, v11
	v_lshl_add_u32 v6, v2, 6, v0
	v_cndmask_b32_e64 v5, v6, v5, s[2:3]
	v_lshlrev_b32_e32 v5, 2, v5
	ds_write_b32 v5, v1
.LBB6_16:
	s_or_b64 exec, exec, s[8:9]
	v_add_u32_e32 v1, 16, v2
	v_mad_u64_u32 v[5:6], s[2:3], s40, v1, v[3:4]
	v_cmp_le_u32_e32 vcc, v1, v0
	s_mov_b64 s[8:9], 0
	v_mad_u64_u32 v[12:13], s[2:3], s41, v1, v[6:7]
	v_mov_b32_e32 v6, v12
                                        ; implicit-def: $vgpr12
	s_and_saveexec_b64 s[2:3], vcc
	s_xor_b64 s[2:3], exec, s[2:3]
	s_cbranch_execnz .LBB6_1165
; %bb.17:
	s_andn2_saveexec_b64 s[2:3], s[2:3]
	s_cbranch_execnz .LBB6_1170
.LBB6_18:
	s_or_b64 exec, exec, s[2:3]
	s_and_saveexec_b64 s[2:3], s[8:9]
.LBB6_19:
	v_add_u32_e32 v5, v1, v11
	v_lshl_add_u32 v1, v1, 6, v0
	v_cndmask_b32_e64 v1, v1, v5, s[0:1]
	v_lshlrev_b32_e32 v1, 2, v1
	ds_write_b32 v1, v12
.LBB6_20:
	s_or_b64 exec, exec, s[2:3]
	v_add_u32_e32 v1, 32, v2
	v_mad_u64_u32 v[5:6], s[2:3], s40, v1, v[3:4]
	v_cmp_le_u32_e32 vcc, v1, v0
	s_mov_b64 s[8:9], 0
	v_mad_u64_u32 v[12:13], s[2:3], s41, v1, v[6:7]
	v_mov_b32_e32 v6, v12
                                        ; implicit-def: $vgpr12
	s_and_saveexec_b64 s[2:3], vcc
	s_xor_b64 s[2:3], exec, s[2:3]
	s_cbranch_execnz .LBB6_1171
; %bb.21:
	s_andn2_saveexec_b64 s[2:3], s[2:3]
	s_cbranch_execnz .LBB6_1176
.LBB6_22:
	s_or_b64 exec, exec, s[2:3]
	s_and_saveexec_b64 s[2:3], s[8:9]
.LBB6_23:
	v_add_u32_e32 v5, v1, v11
	v_lshl_add_u32 v1, v1, 6, v0
	v_cndmask_b32_e64 v1, v1, v5, s[0:1]
	v_lshlrev_b32_e32 v1, 2, v1
	ds_write_b32 v1, v12
.LBB6_24:
	s_or_b64 exec, exec, s[2:3]
	v_add_u32_e32 v12, 48, v2
	v_mad_u64_u32 v[5:6], s[2:3], s40, v12, v[3:4]
	v_cmp_le_u32_e32 vcc, v12, v0
	s_mov_b64 s[10:11], 0
	v_mov_b32_e32 v1, v6
	v_mad_u64_u32 v[13:14], s[2:3], s41, v12, v[1:2]
                                        ; implicit-def: $vgpr1
	v_mov_b32_e32 v6, v13
	s_and_saveexec_b64 s[2:3], vcc
	s_xor_b64 s[2:3], exec, s[2:3]
	s_cbranch_execz .LBB6_30
; %bb.25:
	v_cmp_ne_u32_e32 vcc, v0, v12
	s_mov_b64 s[8:9], 0
	s_and_saveexec_b64 s[10:11], vcc
	s_xor_b64 s[10:11], exec, s[10:11]
; %bb.26:
	v_or_b32_e32 v1, v12, v0
	v_cmp_gt_u32_e32 vcc, 64, v1
	s_and_b64 s[8:9], vcc, exec
                                        ; implicit-def: $vgpr5_vgpr6
; %bb.27:
	s_or_saveexec_b64 s[10:11], s[10:11]
	v_mov_b32_e32 v1, 0
	s_xor_b64 exec, exec, s[10:11]
	s_cbranch_execz .LBB6_29
; %bb.28:
	v_lshlrev_b64 v[5:6], 2, v[5:6]
	v_mov_b32_e32 v1, s88
	v_add_co_u32_e32 v5, vcc, s87, v5
	v_addc_co_u32_e32 v6, vcc, v1, v6, vcc
	global_load_dword v1, v[5:6], off
	s_or_b64 s[8:9], s[8:9], exec
	s_waitcnt vmcnt(0)
	v_div_scale_f32 v5, s[12:13], v1, v1, 1.0
	v_div_scale_f32 v6, vcc, 1.0, v1, 1.0
	v_rcp_f32_e32 v13, v5
	v_fma_f32 v14, -v5, v13, 1.0
	v_fmac_f32_e32 v13, v14, v13
	v_mul_f32_e32 v14, v6, v13
	v_fma_f32 v15, -v5, v14, v6
	v_fmac_f32_e32 v14, v15, v13
	v_fma_f32 v5, -v5, v14, v6
	v_div_fmas_f32 v5, v5, v13, v14
	v_div_fixup_f32 v1, v5, v1, 1.0
.LBB6_29:
	s_or_b64 exec, exec, s[10:11]
	s_and_b64 s[10:11], s[8:9], exec
                                        ; implicit-def: $vgpr5_vgpr6
.LBB6_30:
	s_or_saveexec_b64 s[2:3], s[2:3]
	v_add_u32_e32 v13, v12, v11
	v_lshl_add_u32 v12, v12, 6, v0
	s_xor_b64 exec, exec, s[2:3]
	s_cbranch_execz .LBB6_32
; %bb.31:
	v_lshlrev_b64 v[5:6], 2, v[5:6]
	v_mov_b32_e32 v1, s88
	v_add_co_u32_e32 v5, vcc, s87, v5
	v_addc_co_u32_e32 v6, vcc, v1, v6, vcc
	global_load_dword v1, v[5:6], off
	s_or_b64 s[10:11], s[10:11], exec
	s_waitcnt vmcnt(0)
	v_xor_b32_e32 v1, 0x80000000, v1
.LBB6_32:
	s_or_b64 exec, exec, s[2:3]
	v_cndmask_b32_e64 v5, v12, v13, s[0:1]
	s_branch .LBB6_55
.LBB6_33:
	s_mov_b64 s[10:11], 0
                                        ; implicit-def: $vgpr1
                                        ; implicit-def: $vgpr5
	s_and_b64 vcc, exec, s[12:13]
	s_cbranch_vccz .LBB6_55
; %bb.34:
	v_mad_u64_u32 v[5:6], s[2:3], s40, v2, v[3:4]
	v_cmp_le_u32_e32 vcc, v2, v0
	v_cmp_gt_i32_e64 s[2:3], s86, v0
	v_mov_b32_e32 v1, v6
	v_mad_u64_u32 v[12:13], s[8:9], s41, v2, v[1:2]
	v_max_i32_e32 v1, v2, v0
	v_cmp_le_i32_e64 s[8:9], s86, v1
	v_mov_b32_e32 v6, v12
	s_or_b64 s[8:9], s[8:9], vcc
	s_mov_b64 s[12:13], 0
                                        ; implicit-def: $vgpr1
	s_and_saveexec_b64 s[14:15], s[8:9]
	s_xor_b64 s[8:9], exec, s[14:15]
	s_cbranch_execnz .LBB6_1177
; %bb.35:
	s_andn2_saveexec_b64 s[8:9], s[8:9]
	s_cbranch_execnz .LBB6_1182
.LBB6_36:
	s_or_b64 exec, exec, s[8:9]
	s_and_saveexec_b64 s[8:9], s[12:13]
.LBB6_37:
	v_lshlrev_b32_e32 v5, 2, v11
	v_lshl_add_u32 v5, v2, 2, v5
	ds_write_b32 v5, v1
.LBB6_38:
	s_or_b64 exec, exec, s[8:9]
	v_add_u32_e32 v1, 16, v2
	v_mad_u64_u32 v[5:6], s[8:9], s40, v1, v[3:4]
	v_cmp_gt_u32_e32 vcc, v1, v0
	s_mov_b64 s[12:13], 0
	v_mad_u64_u32 v[12:13], s[8:9], s41, v1, v[6:7]
	v_cmp_gt_i32_e64 s[8:9], s86, v1
	s_and_b64 s[8:9], vcc, s[8:9]
	s_and_b64 s[8:9], s[2:3], s[8:9]
	v_mov_b32_e32 v6, v12
	s_xor_b64 s[8:9], s[8:9], -1
                                        ; implicit-def: $vgpr12
	s_and_saveexec_b64 s[14:15], s[8:9]
	s_xor_b64 s[8:9], exec, s[14:15]
	s_cbranch_execnz .LBB6_1183
; %bb.39:
	s_andn2_saveexec_b64 s[8:9], s[8:9]
	s_cbranch_execnz .LBB6_1188
.LBB6_40:
	s_or_b64 exec, exec, s[8:9]
	s_and_saveexec_b64 s[8:9], s[12:13]
.LBB6_41:
	v_add_u32_e32 v5, v1, v11
	v_lshl_add_u32 v1, v1, 6, v0
	v_cndmask_b32_e64 v1, v1, v5, s[0:1]
	v_lshlrev_b32_e32 v1, 2, v1
	ds_write_b32 v1, v12
.LBB6_42:
	s_or_b64 exec, exec, s[8:9]
	v_add_u32_e32 v1, 32, v2
	v_mad_u64_u32 v[5:6], s[8:9], s40, v1, v[3:4]
	v_cmp_gt_u32_e32 vcc, v1, v0
	s_mov_b64 s[12:13], 0
	v_mad_u64_u32 v[12:13], s[8:9], s41, v1, v[6:7]
	v_cmp_gt_i32_e64 s[8:9], s86, v1
	s_and_b64 s[8:9], vcc, s[8:9]
	s_and_b64 s[8:9], s[2:3], s[8:9]
	v_mov_b32_e32 v6, v12
	s_xor_b64 s[8:9], s[8:9], -1
                                        ; implicit-def: $vgpr12
	s_and_saveexec_b64 s[14:15], s[8:9]
	s_xor_b64 s[8:9], exec, s[14:15]
	s_cbranch_execnz .LBB6_1189
; %bb.43:
	s_andn2_saveexec_b64 s[8:9], s[8:9]
	s_cbranch_execnz .LBB6_1194
.LBB6_44:
	s_or_b64 exec, exec, s[8:9]
	s_and_saveexec_b64 s[8:9], s[12:13]
.LBB6_45:
	v_add_u32_e32 v5, v1, v11
	v_lshl_add_u32 v1, v1, 6, v0
	v_cndmask_b32_e64 v1, v1, v5, s[0:1]
	v_lshlrev_b32_e32 v1, 2, v1
	ds_write_b32 v1, v12
.LBB6_46:
	s_or_b64 exec, exec, s[8:9]
	v_add_u32_e32 v5, 48, v2
	v_mad_u64_u32 v[3:4], s[8:9], s40, v5, v[3:4]
	v_cmp_gt_u32_e32 vcc, v5, v0
	v_mov_b32_e32 v1, v4
	v_mad_u64_u32 v[12:13], s[8:9], s41, v5, v[1:2]
	v_cmp_gt_i32_e64 s[8:9], s86, v5
	s_and_b64 s[8:9], vcc, s[8:9]
	s_and_b64 s[8:9], s[2:3], s[8:9]
	v_mov_b32_e32 v4, v12
	s_xor_b64 s[8:9], s[8:9], -1
                                        ; implicit-def: $vgpr1
	s_and_saveexec_b64 s[12:13], s[8:9]
	s_xor_b64 s[8:9], exec, s[12:13]
	s_cbranch_execz .LBB6_52
; %bb.47:
	v_cmp_ne_u32_e32 vcc, v0, v5
	s_xor_b64 s[2:3], s[2:3], -1
	s_or_b64 s[12:13], s[2:3], vcc
	s_mov_b64 s[2:3], s[10:11]
	s_and_saveexec_b64 s[14:15], s[12:13]
	s_xor_b64 s[12:13], exec, s[14:15]
; %bb.48:
	v_or_b32_e32 v1, v5, v0
	v_cmp_gt_u32_e32 vcc, 64, v1
	s_andn2_b64 s[2:3], s[10:11], exec
	s_and_b64 s[14:15], vcc, exec
	s_or_b64 s[2:3], s[2:3], s[14:15]
                                        ; implicit-def: $vgpr3_vgpr4
; %bb.49:
	s_or_saveexec_b64 s[12:13], s[12:13]
	v_mov_b32_e32 v1, 0
	s_xor_b64 exec, exec, s[12:13]
	s_cbranch_execz .LBB6_51
; %bb.50:
	v_lshlrev_b64 v[3:4], 2, v[3:4]
	v_mov_b32_e32 v1, s88
	v_add_co_u32_e32 v3, vcc, s87, v3
	v_addc_co_u32_e32 v4, vcc, v1, v4, vcc
	global_load_dword v1, v[3:4], off
	s_or_b64 s[2:3], s[2:3], exec
	s_waitcnt vmcnt(0)
	v_div_scale_f32 v3, s[14:15], v1, v1, 1.0
	v_div_scale_f32 v4, vcc, 1.0, v1, 1.0
	v_rcp_f32_e32 v6, v3
	v_fma_f32 v12, -v3, v6, 1.0
	v_fmac_f32_e32 v6, v12, v6
	v_mul_f32_e32 v12, v4, v6
	v_fma_f32 v13, -v3, v12, v4
	v_fmac_f32_e32 v12, v13, v6
	v_fma_f32 v3, -v3, v12, v4
	v_div_fmas_f32 v3, v3, v6, v12
	v_div_fixup_f32 v1, v3, v1, 1.0
.LBB6_51:
	s_or_b64 exec, exec, s[12:13]
	s_andn2_b64 s[10:11], s[10:11], exec
	s_and_b64 s[2:3], s[2:3], exec
	s_or_b64 s[10:11], s[10:11], s[2:3]
                                        ; implicit-def: $vgpr3_vgpr4
.LBB6_52:
	s_or_saveexec_b64 s[2:3], s[8:9]
	v_add_u32_e32 v6, v5, v11
	v_lshl_add_u32 v5, v5, 6, v0
	s_xor_b64 exec, exec, s[2:3]
	s_cbranch_execz .LBB6_54
; %bb.53:
	v_lshlrev_b64 v[3:4], 2, v[3:4]
	v_mov_b32_e32 v1, s88
	v_add_co_u32_e32 v3, vcc, s87, v3
	v_addc_co_u32_e32 v4, vcc, v1, v4, vcc
	global_load_dword v1, v[3:4], off
	s_or_b64 s[10:11], s[10:11], exec
	s_waitcnt vmcnt(0)
	v_xor_b32_e32 v1, 0x80000000, v1
.LBB6_54:
	s_or_b64 exec, exec, s[2:3]
	v_cndmask_b32_e64 v5, v5, v6, s[0:1]
.LBB6_55:
	s_xor_b64 s[0:1], s[0:1], -1
	s_and_saveexec_b64 s[2:3], s[10:11]
; %bb.56:
	v_lshlrev_b32_e32 v3, 2, v5
	ds_write_b32 v3, v1
; %bb.57:
	s_or_b64 exec, exec, s[2:3]
	v_cndmask_b32_e64 v1, 0, 1, s[0:1]
	v_cmp_ne_u32_e64 s[56:57], 1, v1
	s_andn2_b64 vcc, exec, s[0:1]
	s_waitcnt vmcnt(0) lgkmcnt(0)
	s_barrier
	s_cbranch_vccnz .LBB6_1095
; %bb.58:
	v_or_b32_e32 v1, v0, v2
	v_cmp_eq_u32_e32 vcc, 0, v1
	s_and_saveexec_b64 s[0:1], vcc
	s_cbranch_execz .LBB6_60
; %bb.59:
	v_mov_b32_e32 v1, 0
	ds_read_b64 v[3:4], v1 offset:16376
	ds_read_b32 v1, v1 offset:16120
	s_movk_i32 s2, 0x3c00
	s_waitcnt lgkmcnt(0)
	v_mul_f32_e32 v1, v1, v4
	v_mul_f32_e32 v1, v3, v1
	v_add_u32_e64 v3, s2, 0
	ds_write2_b32 v3, v1, v1 offset0:191 offset1:254
.LBB6_60:
	s_or_b64 exec, exec, s[0:1]
	v_lshlrev_b32_e32 v3, 6, v2
	v_add_u32_e32 v5, v3, v0
	v_and_b32_e32 v4, v3, v0
	v_xor_b32_e32 v3, v3, v0
	v_lshrrev_b16_e32 v3, 1, v3
	v_add_u16_e32 v4, v4, v3
	v_and_b32_e32 v1, 1, v0
	v_sub_u32_e32 v3, 1, v4
	v_cmp_lt_u32_e64 s[8:9], 3, v5
	v_cmp_gt_u32_e64 s[2:3], 4, v5
	v_mov_b32_e32 v6, 0
	s_waitcnt lgkmcnt(0)
	s_barrier
	buffer_wbinvl1_vol
	s_and_saveexec_b64 s[0:1], s[2:3]
	s_cbranch_execz .LBB6_64
; %bb.61:
	v_lshlrev_b32_e32 v6, 8, v3
	v_lshlrev_b32_e32 v11, 2, v1
	ds_read_b32 v12, v11 offset:16112
	ds_read_b32 v6, v6 offset:16120
	v_mov_b32_e32 v11, 0
	v_cmp_gt_u32_e64 s[10:11], 2, v5
	s_waitcnt lgkmcnt(0)
	v_fma_f32 v6, v12, v6, 0
	s_and_saveexec_b64 s[12:13], s[10:11]
	s_cbranch_execz .LBB6_63
; %bb.62:
	v_lshlrev_b32_e32 v12, 2, v0
	ds_read_b32 v12, v12 offset:16368
	ds_read_b32 v11, v11 offset:16380
	s_waitcnt lgkmcnt(0)
	v_fmac_f32_e32 v6, v12, v11
.LBB6_63:
	s_or_b64 exec, exec, s[12:13]
.LBB6_64:
	s_or_b64 exec, exec, s[0:1]
	v_mov_b32_e32 v11, 0x4000
	v_cmp_ne_u32_e64 s[10:11], 0, v1
	s_xor_b64 s[0:1], s[8:9], -1
	v_lshl_add_u32 v4, v4, 2, v11
	s_and_b64 s[28:29], s[10:11], s[0:1]
	s_and_saveexec_b64 s[8:9], s[28:29]
	s_cbranch_execz .LBB6_66
; %bb.65:
	v_mov_b32_e32 v11, 0
	ds_read_b32 v11, v11 offset:15860
	s_waitcnt lgkmcnt(0)
	v_mul_f32_e32 v6, v6, v11
	v_xor_b32_e32 v11, 0x80000000, v6
	ds_write_b32 v4, v11
.LBB6_66:
	s_or_b64 exec, exec, s[8:9]
	v_cmp_eq_u32_e64 s[8:9], 0, v1
	s_and_b64 s[26:27], s[8:9], s[0:1]
	s_waitcnt lgkmcnt(0)
	s_barrier
	s_and_saveexec_b64 s[0:1], s[26:27]
	s_cbranch_execz .LBB6_68
; %bb.67:
	v_mov_b32_e32 v11, 0
	ds_read_b32 v11, v11 offset:15856
	ds_read_b32 v12, v4
	s_waitcnt lgkmcnt(0)
	v_fma_f32 v6, -v11, v12, v6
.LBB6_68:
	s_or_b64 exec, exec, s[0:1]
	s_barrier
	s_and_saveexec_b64 s[0:1], s[26:27]
	s_cbranch_execz .LBB6_70
; %bb.69:
	v_mov_b32_e32 v11, 0
	ds_read_b32 v11, v11 offset:15600
	s_waitcnt lgkmcnt(0)
	v_mul_f32_e32 v6, v6, v11
	v_xor_b32_e32 v11, 0x80000000, v6
	ds_write_b32 v4, v11
.LBB6_70:
	s_or_b64 exec, exec, s[0:1]
	s_waitcnt lgkmcnt(0)
	s_barrier
	s_barrier
	s_and_saveexec_b64 s[0:1], s[2:3]
; %bb.71:
	v_lshlrev_b32_e32 v11, 2, v1
	v_lshl_or_b32 v11, v3, 8, v11
	ds_write_b32 v11, v6 offset:16112
; %bb.72:
	s_or_b64 exec, exec, s[0:1]
	v_cmp_eq_u32_e64 s[12:13], 0, v2
	v_cmp_gt_u32_e64 s[8:9], 2, v0
	s_and_b64 s[30:31], s[12:13], s[8:9]
	s_waitcnt lgkmcnt(0)
	s_barrier
	s_barrier
	s_and_saveexec_b64 s[0:1], s[30:31]
	s_cbranch_execz .LBB6_74
; %bb.73:
	v_lshlrev_b32_e32 v6, 2, v0
	s_movk_i32 s8, 0xfc
	v_mad_u32_u24 v11, v0, s8, v6
	ds_read_b32 v12, v11 offset:16112
	s_waitcnt lgkmcnt(0)
	ds_write_b32 v6, v12 offset:15608
	ds_read_b32 v11, v11 offset:16116
	s_waitcnt lgkmcnt(0)
	ds_write_b32 v6, v11 offset:15864
.LBB6_74:
	s_or_b64 exec, exec, s[0:1]
	s_waitcnt lgkmcnt(0)
	s_barrier
	s_and_saveexec_b64 s[0:1], vcc
	s_cbranch_execz .LBB6_76
; %bb.75:
	v_mov_b32_e32 v6, 0
	ds_read_b64 v[11:12], v6 offset:15856
	ds_read_b32 v6, v6 offset:15600
	s_movk_i32 s8, 0x3c00
	s_waitcnt lgkmcnt(0)
	v_mul_f32_e32 v6, v6, v12
	v_mul_f32_e32 v6, v11, v6
	v_add_u32_e64 v11, s8, 0
	ds_write2_b32 v11, v6, v6 offset0:61 offset1:124
.LBB6_76:
	s_or_b64 exec, exec, s[0:1]
	v_lshrrev_b32_e32 v12, 2, v5
	v_and_b32_e32 v6, 3, v0
	v_sub_u32_e32 v11, 3, v12
	v_cmp_lt_u32_e64 s[8:9], 15, v5
	v_cmp_gt_u32_e64 s[18:19], 16, v5
	v_mov_b32_e32 v13, 0
	s_waitcnt lgkmcnt(0)
	s_barrier
	buffer_wbinvl1_vol
	s_and_saveexec_b64 s[0:1], s[18:19]
	s_cbranch_execz .LBB6_82
; %bb.77:
	v_lshlrev_b32_e32 v15, 2, v6
	v_lshlrev_b32_e32 v14, 8, v11
	ds_read_b32 v13, v15 offset:15584
	ds_read_b32 v16, v14 offset:15600
	v_cmp_gt_u32_e64 s[10:11], 12, v5
	s_waitcnt lgkmcnt(0)
	v_fma_f32 v13, v13, v16, 0
	s_and_saveexec_b64 s[14:15], s[10:11]
	s_cbranch_execnz .LBB6_1206
; %bb.78:
	s_or_b64 exec, exec, s[14:15]
	v_cmp_gt_u32_e64 s[10:11], 8, v5
	s_and_saveexec_b64 s[14:15], s[10:11]
	s_cbranch_execnz .LBB6_1207
.LBB6_79:
	s_or_b64 exec, exec, s[14:15]
	v_cmp_gt_u32_e64 s[10:11], 4, v5
	s_and_saveexec_b64 s[14:15], s[10:11]
	s_cbranch_execz .LBB6_81
.LBB6_80:
	v_lshlrev_b32_e32 v14, 2, v0
	v_mov_b32_e32 v15, 0
	ds_read_b32 v14, v14 offset:16352
	ds_read_b32 v15, v15 offset:16380
	s_waitcnt lgkmcnt(0)
	v_fmac_f32_e32 v13, v14, v15
.LBB6_81:
	s_or_b64 exec, exec, s[14:15]
.LBB6_82:
                                        ; implicit-def: $vgpr27 : SGPR spill to VGPR lane
	v_writelane_b32 v27, s37, 0
	v_writelane_b32 v27, s36, 1
	s_or_b64 exec, exec, s[0:1]
	v_mov_b32_e32 v14, 0x4000
	v_cmp_eq_u32_e64 s[10:11], 3, v6
	s_xor_b64 s[0:1], s[8:9], -1
	v_lshl_add_u32 v12, v12, 2, v14
	s_and_b64 s[36:37], s[10:11], s[0:1]
	s_and_saveexec_b64 s[8:9], s[36:37]
	s_cbranch_execz .LBB6_84
; %bb.83:
	v_mov_b32_e32 v14, 0
	ds_read_b32 v14, v14 offset:15340
	s_waitcnt lgkmcnt(0)
	v_mul_f32_e32 v13, v13, v14
	v_xor_b32_e32 v14, 0x80000000, v13
	ds_write_b32 v12, v14
.LBB6_84:
	s_or_b64 exec, exec, s[8:9]
	v_cmp_ne_u32_e64 s[8:9], 3, v6
	s_and_b64 s[38:39], s[8:9], s[0:1]
	s_waitcnt lgkmcnt(0)
	s_barrier
	s_and_saveexec_b64 s[8:9], s[38:39]
	s_cbranch_execz .LBB6_86
; %bb.85:
	v_lshlrev_b32_e32 v14, 2, v6
	ds_read_b32 v14, v14 offset:15328
	ds_read_b32 v15, v12
	s_waitcnt lgkmcnt(0)
	v_fma_f32 v13, -v14, v15, v13
.LBB6_86:
	s_or_b64 exec, exec, s[8:9]
	v_cmp_eq_u32_e64 s[8:9], 2, v6
	s_and_b64 s[42:43], s[8:9], s[0:1]
	s_barrier
	s_and_saveexec_b64 s[8:9], s[42:43]
	s_cbranch_execz .LBB6_88
; %bb.87:
	v_mov_b32_e32 v14, 0
	ds_read_b32 v14, v14 offset:15080
	s_waitcnt lgkmcnt(0)
	v_mul_f32_e32 v13, v13, v14
	v_xor_b32_e32 v14, 0x80000000, v13
	ds_write_b32 v12, v14
.LBB6_88:
	s_or_b64 exec, exec, s[8:9]
	v_cmp_gt_u32_e64 s[8:9], 2, v6
	s_and_b64 s[44:45], s[8:9], s[0:1]
	s_waitcnt lgkmcnt(0)
	s_barrier
	s_and_saveexec_b64 s[8:9], s[44:45]
	s_cbranch_execz .LBB6_90
; %bb.89:
	v_lshlrev_b32_e32 v14, 2, v6
	ds_read_b32 v14, v14 offset:15072
	ds_read_b32 v15, v12
	s_waitcnt lgkmcnt(0)
	v_fma_f32 v13, -v14, v15, v13
.LBB6_90:
	s_or_b64 exec, exec, s[8:9]
	v_cmp_eq_u32_e64 s[8:9], 1, v6
	s_and_b64 s[52:53], s[8:9], s[0:1]
	s_barrier
	s_and_saveexec_b64 s[8:9], s[52:53]
	s_cbranch_execz .LBB6_92
; %bb.91:
	v_mov_b32_e32 v14, 0
	ds_read_b32 v14, v14 offset:14820
	s_waitcnt lgkmcnt(0)
	v_mul_f32_e32 v13, v13, v14
	v_xor_b32_e32 v14, 0x80000000, v13
	ds_write_b32 v12, v14
.LBB6_92:
	s_or_b64 exec, exec, s[8:9]
	v_cmp_eq_u32_e64 s[8:9], 0, v6
	s_and_b64 s[34:35], s[8:9], s[0:1]
	s_waitcnt lgkmcnt(0)
	s_barrier
	s_and_saveexec_b64 s[0:1], s[34:35]
	s_cbranch_execz .LBB6_94
; %bb.93:
	v_mov_b32_e32 v14, 0
	ds_read_b32 v14, v14 offset:14816
	ds_read_b32 v15, v12
	s_waitcnt lgkmcnt(0)
	v_fma_f32 v13, -v14, v15, v13
.LBB6_94:
	s_or_b64 exec, exec, s[0:1]
	s_barrier
	s_and_saveexec_b64 s[0:1], s[34:35]
	s_cbranch_execz .LBB6_96
; %bb.95:
	v_mov_b32_e32 v14, 0
	ds_read_b32 v14, v14 offset:14560
	s_waitcnt lgkmcnt(0)
	v_mul_f32_e32 v13, v13, v14
	v_xor_b32_e32 v14, 0x80000000, v13
	ds_write_b32 v12, v14
.LBB6_96:
	s_or_b64 exec, exec, s[0:1]
	s_waitcnt lgkmcnt(0)
	s_barrier
	s_barrier
	s_and_saveexec_b64 s[0:1], s[18:19]
; %bb.97:
	v_lshlrev_b32_e32 v14, 2, v6
	v_lshl_or_b32 v14, v11, 8, v14
	ds_write_b32 v14, v13 offset:15584
; %bb.98:
	s_or_b64 exec, exec, s[0:1]
	v_cmp_gt_u32_e64 s[8:9], 4, v0
	s_and_b64 s[54:55], s[12:13], s[8:9]
	s_waitcnt lgkmcnt(0)
	s_barrier
	s_barrier
	s_and_saveexec_b64 s[0:1], s[54:55]
	s_cbranch_execz .LBB6_100
; %bb.99:
	v_lshlrev_b32_e32 v13, 8, v0
	ds_read_b32 v14, v13 offset:15584
	s_movk_i32 s8, 0xff04
	v_mad_i32_i24 v15, v0, s8, v13
	s_waitcnt lgkmcnt(0)
	ds_write_b32 v15, v14 offset:14576
	ds_read_b32 v14, v13 offset:15588
	s_waitcnt lgkmcnt(0)
	ds_write_b32 v15, v14 offset:14832
	ds_read_b32 v14, v13 offset:15592
	;; [unrolled: 3-line block ×3, first 2 shown]
	s_waitcnt lgkmcnt(0)
	ds_write_b32 v15, v13 offset:15344
.LBB6_100:
	s_or_b64 exec, exec, s[0:1]
	s_waitcnt lgkmcnt(0)
	s_barrier
	s_and_saveexec_b64 s[0:1], vcc
	s_cbranch_execz .LBB6_102
; %bb.101:
	v_mov_b32_e32 v15, 0
	ds_read_b64 v[13:14], v15 offset:15336
	ds_read_b32 v15, v15 offset:15080
	s_movk_i32 s8, 0x3800
	s_waitcnt lgkmcnt(0)
	v_mul_f32_e32 v14, v15, v14
	v_mul_f32_e32 v13, v13, v14
	v_add_u32_e64 v14, s8, 0
	ds_write2_b32 v14, v13, v13 offset0:187 offset1:250
.LBB6_102:
	s_or_b64 exec, exec, s[0:1]
	v_mov_b32_e32 v13, 0
	s_waitcnt lgkmcnt(0)
	s_barrier
	buffer_wbinvl1_vol
	s_and_saveexec_b64 s[0:1], s[2:3]
	s_cbranch_execz .LBB6_106
; %bb.103:
	v_lshlrev_b32_e32 v13, 8, v3
	v_lshlrev_b32_e32 v14, 2, v1
	ds_read_b32 v15, v14 offset:15072
	ds_read_b32 v13, v13 offset:15080
	v_mov_b32_e32 v14, 0
	v_cmp_gt_u32_e64 s[8:9], 2, v5
	s_waitcnt lgkmcnt(0)
	v_fma_f32 v13, v15, v13, 0
	s_and_saveexec_b64 s[10:11], s[8:9]
	s_cbranch_execz .LBB6_105
; %bb.104:
	v_lshlrev_b32_e32 v15, 2, v0
	ds_read_b32 v15, v15 offset:15328
	ds_read_b32 v14, v14 offset:15340
	s_waitcnt lgkmcnt(0)
	v_fmac_f32_e32 v13, v15, v14
.LBB6_105:
	s_or_b64 exec, exec, s[10:11]
.LBB6_106:
	s_or_b64 exec, exec, s[0:1]
	s_and_saveexec_b64 s[0:1], s[28:29]
	s_cbranch_execz .LBB6_108
; %bb.107:
	v_mov_b32_e32 v14, 0
	ds_read_b32 v14, v14 offset:14820
	s_waitcnt lgkmcnt(0)
	v_mul_f32_e32 v13, v13, v14
	v_xor_b32_e32 v14, 0x80000000, v13
	ds_write_b32 v4, v14
.LBB6_108:
	s_or_b64 exec, exec, s[0:1]
	s_waitcnt lgkmcnt(0)
	s_barrier
	s_and_saveexec_b64 s[0:1], s[26:27]
	s_cbranch_execz .LBB6_110
; %bb.109:
	v_mov_b32_e32 v14, 0
	ds_read_b32 v14, v14 offset:14816
	ds_read_b32 v15, v4
	s_waitcnt lgkmcnt(0)
	v_fma_f32 v13, -v14, v15, v13
.LBB6_110:
	s_or_b64 exec, exec, s[0:1]
	s_barrier
	s_and_saveexec_b64 s[0:1], s[26:27]
	s_cbranch_execz .LBB6_112
; %bb.111:
	v_mov_b32_e32 v14, 0
	ds_read_b32 v14, v14 offset:14560
	s_waitcnt lgkmcnt(0)
	v_mul_f32_e32 v13, v13, v14
	v_xor_b32_e32 v14, 0x80000000, v13
	ds_write_b32 v4, v14
.LBB6_112:
	s_or_b64 exec, exec, s[0:1]
	s_waitcnt lgkmcnt(0)
	s_barrier
	s_barrier
	s_and_saveexec_b64 s[0:1], s[2:3]
; %bb.113:
	v_lshlrev_b32_e32 v14, 2, v1
	v_lshl_or_b32 v14, v3, 8, v14
	ds_write_b32 v14, v13 offset:15072
; %bb.114:
	s_or_b64 exec, exec, s[0:1]
	s_waitcnt lgkmcnt(0)
	s_barrier
	s_barrier
	s_and_saveexec_b64 s[0:1], s[30:31]
	s_cbranch_execz .LBB6_116
; %bb.115:
	v_lshlrev_b32_e32 v13, 2, v0
	s_movk_i32 s8, 0xfc
	v_mad_u32_u24 v14, v0, s8, v13
	ds_read_b32 v15, v14 offset:15072
	s_waitcnt lgkmcnt(0)
	ds_write_b32 v13, v15 offset:14568
	ds_read_b32 v14, v14 offset:15076
	s_waitcnt lgkmcnt(0)
	ds_write_b32 v13, v14 offset:14824
.LBB6_116:
	s_or_b64 exec, exec, s[0:1]
	s_waitcnt lgkmcnt(0)
	s_barrier
	s_and_saveexec_b64 s[0:1], vcc
	s_cbranch_execz .LBB6_118
; %bb.117:
	v_mov_b32_e32 v15, 0
	ds_read_b64 v[13:14], v15 offset:14816
	ds_read_b32 v15, v15 offset:14560
	s_movk_i32 s8, 0x3800
	s_waitcnt lgkmcnt(0)
	v_mul_f32_e32 v14, v15, v14
	v_mul_f32_e32 v13, v13, v14
	v_add_u32_e64 v14, s8, 0
	ds_write2_b32 v14, v13, v13 offset0:57 offset1:120
.LBB6_118:
	s_or_b64 exec, exec, s[0:1]
	v_lshrrev_b32_e32 v15, 3, v5
	v_and_b32_e32 v13, 7, v0
	v_sub_u32_e32 v14, 7, v15
	v_cmp_lt_u32_e64 s[10:11], 63, v5
	v_cmp_gt_u32_e64 s[8:9], 64, v5
	v_mov_b32_e32 v16, 0
	s_waitcnt lgkmcnt(0)
	s_barrier
	buffer_wbinvl1_vol
	s_and_saveexec_b64 s[0:1], s[8:9]
	s_cbranch_execz .LBB6_128
; %bb.119:
	v_lshlrev_b32_e32 v18, 2, v13
	v_lshlrev_b32_e32 v17, 8, v14
	ds_read_b32 v16, v18 offset:14528
	ds_read_b32 v19, v17 offset:14560
	v_cmp_gt_u32_e64 s[14:15], 56, v5
	s_waitcnt lgkmcnt(0)
	v_fma_f32 v16, v16, v19, 0
	s_and_saveexec_b64 s[16:17], s[14:15]
	s_cbranch_execnz .LBB6_1208
; %bb.120:
	s_or_b64 exec, exec, s[16:17]
	v_cmp_gt_u32_e64 s[14:15], 48, v5
	s_and_saveexec_b64 s[16:17], s[14:15]
	s_cbranch_execnz .LBB6_1209
.LBB6_121:
	s_or_b64 exec, exec, s[16:17]
	v_cmp_gt_u32_e64 s[14:15], 40, v5
	s_and_saveexec_b64 s[16:17], s[14:15]
	s_cbranch_execnz .LBB6_1210
.LBB6_122:
	s_or_b64 exec, exec, s[16:17]
	v_cmp_gt_u32_e64 s[14:15], 32, v5
	s_and_saveexec_b64 s[16:17], s[14:15]
	s_cbranch_execnz .LBB6_1211
.LBB6_123:
	s_or_b64 exec, exec, s[16:17]
	v_cmp_gt_u32_e64 s[14:15], 24, v5
	s_and_saveexec_b64 s[16:17], s[14:15]
	s_cbranch_execnz .LBB6_1212
.LBB6_124:
	s_or_b64 exec, exec, s[16:17]
	s_and_saveexec_b64 s[14:15], s[18:19]
	s_cbranch_execnz .LBB6_1213
.LBB6_125:
	s_or_b64 exec, exec, s[14:15]
	v_cmp_gt_u32_e64 s[14:15], 8, v5
	s_and_saveexec_b64 s[16:17], s[14:15]
	s_cbranch_execz .LBB6_127
.LBB6_126:
	v_lshlrev_b32_e32 v17, 2, v0
	v_mov_b32_e32 v18, 0
	ds_read_b32 v17, v17 offset:16320
	ds_read_b32 v18, v18 offset:16380
	s_waitcnt lgkmcnt(0)
	v_fmac_f32_e32 v16, v17, v18
.LBB6_127:
	s_or_b64 exec, exec, s[16:17]
.LBB6_128:
	v_writelane_b32 v27, s56, 2
	v_writelane_b32 v27, s57, 3
	s_or_b64 exec, exec, s[0:1]
	v_mov_b32_e32 v17, 0x4000
	v_cmp_eq_u32_e64 s[14:15], 7, v13
	s_xor_b64 s[0:1], s[10:11], -1
	v_lshl_add_u32 v15, v15, 2, v17
	s_and_b64 s[56:57], s[14:15], s[0:1]
	s_and_saveexec_b64 s[10:11], s[56:57]
	s_cbranch_execz .LBB6_130
; %bb.129:
	v_mov_b32_e32 v17, 0
	ds_read_b32 v17, v17 offset:14300
	s_waitcnt lgkmcnt(0)
	v_mul_f32_e32 v16, v16, v17
	v_xor_b32_e32 v17, 0x80000000, v16
	ds_write_b32 v15, v17
.LBB6_130:
	s_or_b64 exec, exec, s[10:11]
	v_cmp_ne_u32_e64 s[10:11], 7, v13
	s_and_b64 s[58:59], s[10:11], s[0:1]
	s_waitcnt lgkmcnt(0)
	s_barrier
	s_and_saveexec_b64 s[10:11], s[58:59]
	s_cbranch_execz .LBB6_132
; %bb.131:
	v_lshlrev_b32_e32 v17, 2, v13
	ds_read_b32 v17, v17 offset:14272
	ds_read_b32 v18, v15
	s_waitcnt lgkmcnt(0)
	v_fma_f32 v16, -v17, v18, v16
.LBB6_132:
	s_or_b64 exec, exec, s[10:11]
	v_cmp_eq_u32_e64 s[10:11], 6, v13
	s_and_b64 s[60:61], s[10:11], s[0:1]
	s_barrier
	s_and_saveexec_b64 s[10:11], s[60:61]
	s_cbranch_execz .LBB6_134
; %bb.133:
	v_mov_b32_e32 v17, 0
	ds_read_b32 v17, v17 offset:14040
	s_waitcnt lgkmcnt(0)
	v_mul_f32_e32 v16, v16, v17
	v_xor_b32_e32 v17, 0x80000000, v16
	ds_write_b32 v15, v17
.LBB6_134:
	s_or_b64 exec, exec, s[10:11]
	v_cmp_gt_u32_e64 s[10:11], 6, v13
	s_and_b64 s[62:63], s[10:11], s[0:1]
	s_waitcnt lgkmcnt(0)
	s_barrier
	s_and_saveexec_b64 s[10:11], s[62:63]
	s_cbranch_execz .LBB6_136
; %bb.135:
	v_lshlrev_b32_e32 v17, 2, v13
	ds_read_b32 v17, v17 offset:14016
	ds_read_b32 v18, v15
	s_waitcnt lgkmcnt(0)
	v_fma_f32 v16, -v17, v18, v16
.LBB6_136:
	s_or_b64 exec, exec, s[10:11]
	v_cmp_eq_u32_e64 s[10:11], 5, v13
	s_and_b64 s[64:65], s[10:11], s[0:1]
	s_barrier
	s_and_saveexec_b64 s[10:11], s[64:65]
	s_cbranch_execz .LBB6_138
; %bb.137:
	v_mov_b32_e32 v17, 0
	ds_read_b32 v17, v17 offset:13780
	s_waitcnt lgkmcnt(0)
	v_mul_f32_e32 v16, v16, v17
	v_xor_b32_e32 v17, 0x80000000, v16
	ds_write_b32 v15, v17
.LBB6_138:
	s_or_b64 exec, exec, s[10:11]
	v_cmp_gt_u32_e64 s[10:11], 5, v13
	;; [unrolled: 28-line block ×5, first 2 shown]
	s_and_b64 s[80:81], s[10:11], s[0:1]
	s_waitcnt lgkmcnt(0)
	s_barrier
	s_and_saveexec_b64 s[10:11], s[80:81]
	s_cbranch_execz .LBB6_152
; %bb.151:
	v_lshlrev_b32_e32 v17, 2, v13
	ds_read_b32 v17, v17 offset:12992
	ds_read_b32 v18, v15
	s_waitcnt lgkmcnt(0)
	v_fma_f32 v16, -v17, v18, v16
.LBB6_152:
	s_or_b64 exec, exec, s[10:11]
	v_cmp_eq_u32_e64 s[10:11], 1, v13
	s_and_b64 s[82:83], s[10:11], s[0:1]
	s_barrier
	s_and_saveexec_b64 s[10:11], s[82:83]
	s_cbranch_execz .LBB6_154
; %bb.153:
	v_mov_b32_e32 v17, 0
	ds_read_b32 v17, v17 offset:12740
	s_waitcnt lgkmcnt(0)
	v_mul_f32_e32 v16, v16, v17
	v_xor_b32_e32 v17, 0x80000000, v16
	ds_write_b32 v15, v17
.LBB6_154:
	s_or_b64 exec, exec, s[10:11]
	v_cmp_eq_u32_e64 s[10:11], 0, v13
	s_and_b64 s[66:67], s[10:11], s[0:1]
	s_waitcnt lgkmcnt(0)
	s_barrier
	s_and_saveexec_b64 s[0:1], s[66:67]
	s_cbranch_execz .LBB6_156
; %bb.155:
	v_mov_b32_e32 v17, 0
	ds_read_b32 v17, v17 offset:12736
	ds_read_b32 v18, v15
	s_waitcnt lgkmcnt(0)
	v_fma_f32 v16, -v17, v18, v16
.LBB6_156:
	s_or_b64 exec, exec, s[0:1]
	s_barrier
	s_and_saveexec_b64 s[0:1], s[66:67]
	s_cbranch_execz .LBB6_158
; %bb.157:
	v_mov_b32_e32 v17, 0
	ds_read_b32 v17, v17 offset:12480
	s_waitcnt lgkmcnt(0)
	v_mul_f32_e32 v16, v16, v17
	v_xor_b32_e32 v17, 0x80000000, v16
	ds_write_b32 v15, v17
.LBB6_158:
	s_or_b64 exec, exec, s[0:1]
	s_waitcnt lgkmcnt(0)
	s_barrier
	s_barrier
	s_and_saveexec_b64 s[0:1], s[8:9]
; %bb.159:
	v_lshlrev_b32_e32 v17, 2, v13
	v_lshl_or_b32 v17, v14, 8, v17
	ds_write_b32 v17, v16 offset:14528
; %bb.160:
	s_or_b64 exec, exec, s[0:1]
	v_cmp_gt_u32_e64 s[10:11], 8, v0
	s_and_b64 s[84:85], s[12:13], s[10:11]
	s_waitcnt lgkmcnt(0)
	s_barrier
	s_barrier
	s_and_saveexec_b64 s[0:1], s[84:85]
	s_cbranch_execz .LBB6_162
; %bb.161:
	v_lshlrev_b32_e32 v16, 8, v0
	ds_read_b32 v17, v16 offset:14528
	s_movk_i32 s10, 0xff04
	v_mad_i32_i24 v18, v0, s10, v16
	s_waitcnt lgkmcnt(0)
	ds_write_b32 v18, v17 offset:12512
	ds_read_b32 v17, v16 offset:14532
	s_waitcnt lgkmcnt(0)
	ds_write_b32 v18, v17 offset:12768
	ds_read_b32 v17, v16 offset:14536
	;; [unrolled: 3-line block ×7, first 2 shown]
	s_waitcnt lgkmcnt(0)
	ds_write_b32 v18, v16 offset:14304
.LBB6_162:
	s_or_b64 exec, exec, s[0:1]
	s_waitcnt lgkmcnt(0)
	s_barrier
	s_and_saveexec_b64 s[0:1], vcc
	s_cbranch_execz .LBB6_164
; %bb.163:
	v_mov_b32_e32 v18, 0
	ds_read_b64 v[16:17], v18 offset:14296
	ds_read_b32 v18, v18 offset:14040
	s_movk_i32 s10, 0x3400
	s_waitcnt lgkmcnt(0)
	v_mul_f32_e32 v17, v18, v17
	v_mul_f32_e32 v16, v16, v17
	v_add_u32_e64 v17, s10, 0
	ds_write2_b32 v17, v16, v16 offset0:183 offset1:246
.LBB6_164:
	s_or_b64 exec, exec, s[0:1]
	v_mov_b32_e32 v16, 0
	s_waitcnt lgkmcnt(0)
	s_barrier
	buffer_wbinvl1_vol
	s_and_saveexec_b64 s[0:1], s[2:3]
	s_cbranch_execz .LBB6_168
; %bb.165:
	v_lshlrev_b32_e32 v16, 8, v3
	v_lshlrev_b32_e32 v17, 2, v1
	ds_read_b32 v18, v17 offset:14032
	ds_read_b32 v16, v16 offset:14040
	v_mov_b32_e32 v17, 0
	v_cmp_gt_u32_e64 s[10:11], 2, v5
	s_waitcnt lgkmcnt(0)
	v_fma_f32 v16, v18, v16, 0
	s_and_saveexec_b64 s[14:15], s[10:11]
	s_cbranch_execz .LBB6_167
; %bb.166:
	v_lshlrev_b32_e32 v18, 2, v0
	ds_read_b32 v18, v18 offset:14288
	ds_read_b32 v17, v17 offset:14300
	s_waitcnt lgkmcnt(0)
	v_fmac_f32_e32 v16, v18, v17
.LBB6_167:
	s_or_b64 exec, exec, s[14:15]
.LBB6_168:
	s_or_b64 exec, exec, s[0:1]
	s_and_saveexec_b64 s[0:1], s[28:29]
	s_cbranch_execz .LBB6_170
; %bb.169:
	v_mov_b32_e32 v17, 0
	ds_read_b32 v17, v17 offset:13780
	s_waitcnt lgkmcnt(0)
	v_mul_f32_e32 v16, v16, v17
	v_xor_b32_e32 v17, 0x80000000, v16
	ds_write_b32 v4, v17
.LBB6_170:
	s_or_b64 exec, exec, s[0:1]
	s_waitcnt lgkmcnt(0)
	s_barrier
	s_and_saveexec_b64 s[0:1], s[26:27]
	s_cbranch_execz .LBB6_172
; %bb.171:
	v_mov_b32_e32 v17, 0
	ds_read_b32 v17, v17 offset:13776
	ds_read_b32 v18, v4
	s_waitcnt lgkmcnt(0)
	v_fma_f32 v16, -v17, v18, v16
.LBB6_172:
	s_or_b64 exec, exec, s[0:1]
	s_barrier
	s_and_saveexec_b64 s[0:1], s[26:27]
	s_cbranch_execz .LBB6_174
; %bb.173:
	v_mov_b32_e32 v17, 0
	ds_read_b32 v17, v17 offset:13520
	s_waitcnt lgkmcnt(0)
	v_mul_f32_e32 v16, v16, v17
	v_xor_b32_e32 v17, 0x80000000, v16
	ds_write_b32 v4, v17
.LBB6_174:
	s_or_b64 exec, exec, s[0:1]
	s_waitcnt lgkmcnt(0)
	s_barrier
	s_barrier
	s_and_saveexec_b64 s[0:1], s[2:3]
; %bb.175:
	v_lshlrev_b32_e32 v17, 2, v1
	v_lshl_or_b32 v17, v3, 8, v17
	ds_write_b32 v17, v16 offset:14032
; %bb.176:
	s_or_b64 exec, exec, s[0:1]
	s_waitcnt lgkmcnt(0)
	s_barrier
	s_barrier
	s_and_saveexec_b64 s[0:1], s[30:31]
	s_cbranch_execz .LBB6_178
; %bb.177:
	v_lshlrev_b32_e32 v16, 2, v0
	s_movk_i32 s10, 0xfc
	v_mad_u32_u24 v17, v0, s10, v16
	ds_read_b32 v18, v17 offset:14032
	s_waitcnt lgkmcnt(0)
	ds_write_b32 v16, v18 offset:13528
	ds_read_b32 v17, v17 offset:14036
	s_waitcnt lgkmcnt(0)
	ds_write_b32 v16, v17 offset:13784
.LBB6_178:
	s_or_b64 exec, exec, s[0:1]
	s_waitcnt lgkmcnt(0)
	s_barrier
	s_and_saveexec_b64 s[0:1], vcc
	s_cbranch_execz .LBB6_180
; %bb.179:
	v_mov_b32_e32 v18, 0
	ds_read_b64 v[16:17], v18 offset:13776
	ds_read_b32 v18, v18 offset:13520
	s_movk_i32 s10, 0x3400
	s_waitcnt lgkmcnt(0)
	v_mul_f32_e32 v17, v18, v17
	v_mul_f32_e32 v16, v16, v17
	v_add_u32_e64 v17, s10, 0
	ds_write2_b32 v17, v16, v16 offset0:53 offset1:116
.LBB6_180:
	s_or_b64 exec, exec, s[0:1]
	v_mov_b32_e32 v16, 0
	s_waitcnt lgkmcnt(0)
	s_barrier
	buffer_wbinvl1_vol
	s_and_saveexec_b64 s[0:1], s[18:19]
	s_cbranch_execz .LBB6_186
; %bb.181:
	v_lshlrev_b32_e32 v18, 2, v6
	v_lshlrev_b32_e32 v17, 8, v11
	ds_read_b32 v16, v18 offset:13504
	ds_read_b32 v19, v17 offset:13520
	v_cmp_gt_u32_e64 s[10:11], 12, v5
	s_waitcnt lgkmcnt(0)
	v_fma_f32 v16, v16, v19, 0
	s_and_saveexec_b64 s[14:15], s[10:11]
	s_cbranch_execnz .LBB6_1214
; %bb.182:
	s_or_b64 exec, exec, s[14:15]
	v_cmp_gt_u32_e64 s[10:11], 8, v5
	s_and_saveexec_b64 s[14:15], s[10:11]
	s_cbranch_execnz .LBB6_1215
.LBB6_183:
	s_or_b64 exec, exec, s[14:15]
	v_cmp_gt_u32_e64 s[10:11], 4, v5
	s_and_saveexec_b64 s[14:15], s[10:11]
	s_cbranch_execz .LBB6_185
.LBB6_184:
	v_lshlrev_b32_e32 v17, 2, v0
	v_mov_b32_e32 v18, 0
	ds_read_b32 v17, v17 offset:14272
	ds_read_b32 v18, v18 offset:14300
	s_waitcnt lgkmcnt(0)
	v_fmac_f32_e32 v16, v17, v18
.LBB6_185:
	s_or_b64 exec, exec, s[14:15]
.LBB6_186:
	s_or_b64 exec, exec, s[0:1]
	s_and_saveexec_b64 s[0:1], s[36:37]
	s_cbranch_execz .LBB6_188
; %bb.187:
	v_mov_b32_e32 v17, 0
	ds_read_b32 v17, v17 offset:13260
	s_waitcnt lgkmcnt(0)
	v_mul_f32_e32 v16, v16, v17
	v_xor_b32_e32 v17, 0x80000000, v16
	ds_write_b32 v12, v17
.LBB6_188:
	s_or_b64 exec, exec, s[0:1]
	s_waitcnt lgkmcnt(0)
	s_barrier
	s_and_saveexec_b64 s[0:1], s[38:39]
	s_cbranch_execz .LBB6_190
; %bb.189:
	v_lshlrev_b32_e32 v17, 2, v6
	ds_read_b32 v17, v17 offset:13248
	ds_read_b32 v18, v12
	s_waitcnt lgkmcnt(0)
	v_fma_f32 v16, -v17, v18, v16
.LBB6_190:
	s_or_b64 exec, exec, s[0:1]
	s_barrier
	s_and_saveexec_b64 s[0:1], s[42:43]
	s_cbranch_execz .LBB6_192
; %bb.191:
	v_mov_b32_e32 v17, 0
	ds_read_b32 v17, v17 offset:13000
	s_waitcnt lgkmcnt(0)
	v_mul_f32_e32 v16, v16, v17
	v_xor_b32_e32 v17, 0x80000000, v16
	ds_write_b32 v12, v17
.LBB6_192:
	s_or_b64 exec, exec, s[0:1]
	s_waitcnt lgkmcnt(0)
	s_barrier
	s_and_saveexec_b64 s[0:1], s[44:45]
	s_cbranch_execz .LBB6_194
; %bb.193:
	v_lshlrev_b32_e32 v17, 2, v6
	ds_read_b32 v17, v17 offset:12992
	ds_read_b32 v18, v12
	s_waitcnt lgkmcnt(0)
	v_fma_f32 v16, -v17, v18, v16
.LBB6_194:
	s_or_b64 exec, exec, s[0:1]
	s_barrier
	s_and_saveexec_b64 s[0:1], s[52:53]
	s_cbranch_execz .LBB6_196
; %bb.195:
	v_mov_b32_e32 v17, 0
	ds_read_b32 v17, v17 offset:12740
	s_waitcnt lgkmcnt(0)
	v_mul_f32_e32 v16, v16, v17
	v_xor_b32_e32 v17, 0x80000000, v16
	ds_write_b32 v12, v17
.LBB6_196:
	s_or_b64 exec, exec, s[0:1]
	s_waitcnt lgkmcnt(0)
	s_barrier
	s_and_saveexec_b64 s[0:1], s[34:35]
	s_cbranch_execz .LBB6_198
; %bb.197:
	v_mov_b32_e32 v17, 0
	ds_read_b32 v17, v17 offset:12736
	ds_read_b32 v18, v12
	s_waitcnt lgkmcnt(0)
	v_fma_f32 v16, -v17, v18, v16
.LBB6_198:
	s_or_b64 exec, exec, s[0:1]
	s_barrier
	s_and_saveexec_b64 s[0:1], s[34:35]
	s_cbranch_execz .LBB6_200
; %bb.199:
	v_mov_b32_e32 v17, 0
	ds_read_b32 v17, v17 offset:12480
	s_waitcnt lgkmcnt(0)
	v_mul_f32_e32 v16, v16, v17
	v_xor_b32_e32 v17, 0x80000000, v16
	ds_write_b32 v12, v17
.LBB6_200:
	s_or_b64 exec, exec, s[0:1]
	s_waitcnt lgkmcnt(0)
	s_barrier
	s_barrier
	s_and_saveexec_b64 s[0:1], s[18:19]
; %bb.201:
	v_lshlrev_b32_e32 v17, 2, v6
	v_lshl_or_b32 v17, v11, 8, v17
	ds_write_b32 v17, v16 offset:13504
; %bb.202:
	s_or_b64 exec, exec, s[0:1]
	s_waitcnt lgkmcnt(0)
	s_barrier
	s_barrier
	s_and_saveexec_b64 s[0:1], s[54:55]
	s_cbranch_execz .LBB6_204
; %bb.203:
	v_lshlrev_b32_e32 v16, 8, v0
	ds_read_b32 v17, v16 offset:13504
	s_movk_i32 s10, 0xff04
	v_mad_i32_i24 v18, v0, s10, v16
	s_waitcnt lgkmcnt(0)
	ds_write_b32 v18, v17 offset:12496
	ds_read_b32 v17, v16 offset:13508
	s_waitcnt lgkmcnt(0)
	ds_write_b32 v18, v17 offset:12752
	ds_read_b32 v17, v16 offset:13512
	s_waitcnt lgkmcnt(0)
	ds_write_b32 v18, v17 offset:13008
	ds_read_b32 v16, v16 offset:13516
	s_waitcnt lgkmcnt(0)
	ds_write_b32 v18, v16 offset:13264
.LBB6_204:
	s_or_b64 exec, exec, s[0:1]
	s_waitcnt lgkmcnt(0)
	s_barrier
	s_and_saveexec_b64 s[0:1], vcc
	s_cbranch_execz .LBB6_206
; %bb.205:
	v_mov_b32_e32 v18, 0
	ds_read_b64 v[16:17], v18 offset:13256
	ds_read_b32 v18, v18 offset:13000
	s_movk_i32 s10, 0x3000
	s_waitcnt lgkmcnt(0)
	v_mul_f32_e32 v17, v18, v17
	v_mul_f32_e32 v16, v16, v17
	v_add_u32_e64 v17, s10, 0
	ds_write2_b32 v17, v16, v16 offset0:179 offset1:242
.LBB6_206:
	s_or_b64 exec, exec, s[0:1]
	v_mov_b32_e32 v16, 0
	s_waitcnt lgkmcnt(0)
	s_barrier
	buffer_wbinvl1_vol
	s_and_saveexec_b64 s[0:1], s[2:3]
	s_cbranch_execz .LBB6_210
; %bb.207:
	v_lshlrev_b32_e32 v16, 8, v3
	v_lshlrev_b32_e32 v17, 2, v1
	ds_read_b32 v18, v17 offset:12992
	ds_read_b32 v16, v16 offset:13000
	v_mov_b32_e32 v17, 0
	v_cmp_gt_u32_e64 s[10:11], 2, v5
	s_waitcnt lgkmcnt(0)
	v_fma_f32 v16, v18, v16, 0
	s_and_saveexec_b64 s[14:15], s[10:11]
	s_cbranch_execz .LBB6_209
; %bb.208:
	v_lshlrev_b32_e32 v18, 2, v0
	ds_read_b32 v18, v18 offset:13248
	ds_read_b32 v17, v17 offset:13260
	s_waitcnt lgkmcnt(0)
	v_fmac_f32_e32 v16, v18, v17
.LBB6_209:
	s_or_b64 exec, exec, s[14:15]
.LBB6_210:
	s_or_b64 exec, exec, s[0:1]
	s_and_saveexec_b64 s[0:1], s[28:29]
	s_cbranch_execz .LBB6_212
; %bb.211:
	v_mov_b32_e32 v17, 0
	ds_read_b32 v17, v17 offset:12740
	s_waitcnt lgkmcnt(0)
	v_mul_f32_e32 v16, v16, v17
	v_xor_b32_e32 v17, 0x80000000, v16
	ds_write_b32 v4, v17
.LBB6_212:
	s_or_b64 exec, exec, s[0:1]
	s_waitcnt lgkmcnt(0)
	s_barrier
	s_and_saveexec_b64 s[0:1], s[26:27]
	s_cbranch_execz .LBB6_214
; %bb.213:
	v_mov_b32_e32 v17, 0
	ds_read_b32 v17, v17 offset:12736
	ds_read_b32 v18, v4
	s_waitcnt lgkmcnt(0)
	v_fma_f32 v16, -v17, v18, v16
.LBB6_214:
	s_or_b64 exec, exec, s[0:1]
	s_barrier
	s_and_saveexec_b64 s[0:1], s[26:27]
	s_cbranch_execz .LBB6_216
; %bb.215:
	v_mov_b32_e32 v17, 0
	ds_read_b32 v17, v17 offset:12480
	s_waitcnt lgkmcnt(0)
	v_mul_f32_e32 v16, v16, v17
	v_xor_b32_e32 v17, 0x80000000, v16
	ds_write_b32 v4, v17
.LBB6_216:
	s_or_b64 exec, exec, s[0:1]
	s_waitcnt lgkmcnt(0)
	s_barrier
	s_barrier
	s_and_saveexec_b64 s[0:1], s[2:3]
; %bb.217:
	v_lshlrev_b32_e32 v17, 2, v1
	v_lshl_or_b32 v17, v3, 8, v17
	ds_write_b32 v17, v16 offset:12992
; %bb.218:
	s_or_b64 exec, exec, s[0:1]
	s_waitcnt lgkmcnt(0)
	s_barrier
	s_barrier
	s_and_saveexec_b64 s[0:1], s[30:31]
	s_cbranch_execz .LBB6_220
; %bb.219:
	v_lshlrev_b32_e32 v16, 2, v0
	s_movk_i32 s10, 0xfc
	v_mad_u32_u24 v17, v0, s10, v16
	ds_read_b32 v18, v17 offset:12992
	s_waitcnt lgkmcnt(0)
	ds_write_b32 v16, v18 offset:12488
	ds_read_b32 v17, v17 offset:12996
	s_waitcnt lgkmcnt(0)
	ds_write_b32 v16, v17 offset:12744
.LBB6_220:
	s_or_b64 exec, exec, s[0:1]
	s_waitcnt lgkmcnt(0)
	s_barrier
	s_and_saveexec_b64 s[0:1], vcc
	s_cbranch_execz .LBB6_222
; %bb.221:
	v_mov_b32_e32 v18, 0
	ds_read_b64 v[16:17], v18 offset:12736
	ds_read_b32 v18, v18 offset:12480
	s_movk_i32 s10, 0x3000
	s_waitcnt lgkmcnt(0)
	v_mul_f32_e32 v17, v18, v17
	v_mul_f32_e32 v16, v16, v17
	v_add_u32_e64 v17, s10, 0
	ds_write2_b32 v17, v16, v16 offset0:49 offset1:112
.LBB6_222:
	s_or_b64 exec, exec, s[0:1]
	s_movk_i32 s0, 0xff
	v_lshrrev_b32_e32 v18, 4, v5
	v_cmp_lt_u32_e64 s[14:15], s0, v5
	s_movk_i32 s0, 0x100
	v_and_b32_e32 v16, 15, v0
	v_sub_u32_e32 v17, 15, v18
	v_cmp_gt_u32_e64 s[10:11], s0, v5
	v_mov_b32_e32 v19, 0
	s_waitcnt lgkmcnt(0)
	s_barrier
	buffer_wbinvl1_vol
	s_and_saveexec_b64 s[0:1], s[10:11]
	s_cbranch_execz .LBB6_250
; %bb.223:
	v_lshlrev_b32_e32 v21, 2, v16
	v_lshlrev_b32_e32 v20, 8, v17
	ds_read_b32 v19, v21 offset:12416
	ds_read_b32 v22, v20 offset:12480
	s_movk_i32 s16, 0xf0
	v_cmp_gt_u32_e64 s[16:17], s16, v5
	s_waitcnt lgkmcnt(0)
	v_fma_f32 v19, v19, v22, 0
	s_and_saveexec_b64 s[20:21], s[16:17]
	s_cbranch_execz .LBB6_225
; %bb.224:
	ds_read_b32 v22, v21 offset:12672
	ds_read_b32 v23, v20 offset:12484
	s_waitcnt lgkmcnt(0)
	v_fmac_f32_e32 v19, v22, v23
.LBB6_225:
	s_or_b64 exec, exec, s[20:21]
	s_movk_i32 s16, 0xe0
	v_cmp_gt_u32_e64 s[16:17], s16, v5
	s_and_saveexec_b64 s[20:21], s[16:17]
	s_cbranch_execz .LBB6_227
; %bb.226:
	ds_read_b32 v22, v21 offset:12928
	ds_read_b32 v23, v20 offset:12488
	s_waitcnt lgkmcnt(0)
	v_fmac_f32_e32 v19, v22, v23
.LBB6_227:
	s_or_b64 exec, exec, s[20:21]
	s_movk_i32 s16, 0xd0
	v_cmp_gt_u32_e64 s[16:17], s16, v5
	;; [unrolled: 11-line block ×10, first 2 shown]
	s_and_saveexec_b64 s[20:21], s[16:17]
	s_cbranch_execnz .LBB6_1216
; %bb.244:
	s_or_b64 exec, exec, s[20:21]
	s_and_saveexec_b64 s[16:17], s[8:9]
	s_cbranch_execnz .LBB6_1217
.LBB6_245:
	s_or_b64 exec, exec, s[16:17]
	v_cmp_gt_u32_e64 s[16:17], 48, v5
	s_and_saveexec_b64 s[20:21], s[16:17]
	s_cbranch_execnz .LBB6_1218
.LBB6_246:
	s_or_b64 exec, exec, s[20:21]
	v_cmp_gt_u32_e64 s[16:17], 32, v5
	s_and_saveexec_b64 s[20:21], s[16:17]
	s_cbranch_execnz .LBB6_1219
.LBB6_247:
	s_or_b64 exec, exec, s[20:21]
	v_cmp_gt_u32_e64 s[16:17], 16, v5
	s_and_saveexec_b64 s[20:21], s[16:17]
	s_cbranch_execz .LBB6_249
.LBB6_248:
	v_lshlrev_b32_e32 v20, 2, v0
	v_mov_b32_e32 v21, 0
	ds_read_b32 v20, v20 offset:16256
	ds_read_b32 v21, v21 offset:16380
	s_waitcnt lgkmcnt(0)
	v_fmac_f32_e32 v19, v20, v21
.LBB6_249:
	s_or_b64 exec, exec, s[20:21]
.LBB6_250:
	s_or_b64 exec, exec, s[0:1]
	v_mov_b32_e32 v20, 0x4000
	v_lshl_add_u32 v18, v18, 2, v20
	v_cmp_eq_u32_e64 s[16:17], 15, v16
	s_xor_b64 s[20:21], s[14:15], -1
	s_and_b64 s[14:15], s[16:17], s[20:21]
	s_mov_b64 s[0:1], exec
	v_writelane_b32 v27, s14, 4
	v_writelane_b32 v27, s15, 5
	s_and_b64 s[14:15], s[0:1], s[14:15]
	s_mov_b64 exec, s[14:15]
	s_cbranch_execz .LBB6_252
; %bb.251:
	v_mov_b32_e32 v20, 0
	ds_read_b32 v20, v20 offset:12220
	s_waitcnt lgkmcnt(0)
	v_mul_f32_e32 v19, v19, v20
	v_xor_b32_e32 v20, 0x80000000, v19
	ds_write_b32 v18, v20
.LBB6_252:
	s_or_b64 exec, exec, s[0:1]
	v_cmp_ne_u32_e64 s[14:15], 15, v16
	s_waitcnt lgkmcnt(0)
	s_barrier
	s_and_b64 s[14:15], s[14:15], s[20:21]
	s_mov_b64 s[0:1], exec
	v_writelane_b32 v27, s14, 6
	v_writelane_b32 v27, s15, 7
	s_and_b64 s[14:15], s[0:1], s[14:15]
	s_mov_b64 exec, s[14:15]
	s_cbranch_execz .LBB6_254
; %bb.253:
	v_lshlrev_b32_e32 v20, 2, v16
	ds_read_b32 v20, v20 offset:12160
	ds_read_b32 v21, v18
	s_waitcnt lgkmcnt(0)
	v_fma_f32 v19, -v20, v21, v19
.LBB6_254:
	s_or_b64 exec, exec, s[0:1]
	v_cmp_eq_u32_e64 s[14:15], 14, v16
	s_barrier
	s_and_b64 s[14:15], s[14:15], s[20:21]
	s_mov_b64 s[0:1], exec
	v_writelane_b32 v27, s14, 8
	v_writelane_b32 v27, s15, 9
	s_and_b64 s[14:15], s[0:1], s[14:15]
	s_mov_b64 exec, s[14:15]
	s_cbranch_execz .LBB6_256
; %bb.255:
	v_mov_b32_e32 v20, 0
	ds_read_b32 v20, v20 offset:11960
	s_waitcnt lgkmcnt(0)
	v_mul_f32_e32 v19, v19, v20
	v_xor_b32_e32 v20, 0x80000000, v19
	ds_write_b32 v18, v20
.LBB6_256:
	s_or_b64 exec, exec, s[0:1]
	v_cmp_gt_u32_e64 s[14:15], 14, v16
	s_waitcnt lgkmcnt(0)
	s_barrier
	s_and_b64 s[14:15], s[14:15], s[20:21]
	s_mov_b64 s[0:1], exec
	v_writelane_b32 v27, s14, 10
	v_writelane_b32 v27, s15, 11
	s_and_b64 s[14:15], s[0:1], s[14:15]
	s_mov_b64 exec, s[14:15]
	s_cbranch_execz .LBB6_258
; %bb.257:
	v_lshlrev_b32_e32 v20, 2, v16
	ds_read_b32 v20, v20 offset:11904
	ds_read_b32 v21, v18
	s_waitcnt lgkmcnt(0)
	v_fma_f32 v19, -v20, v21, v19
.LBB6_258:
	s_or_b64 exec, exec, s[0:1]
	v_cmp_eq_u32_e64 s[14:15], 13, v16
	s_barrier
	s_and_b64 s[14:15], s[14:15], s[20:21]
	s_mov_b64 s[0:1], exec
	v_writelane_b32 v27, s14, 12
	v_writelane_b32 v27, s15, 13
	s_and_b64 s[14:15], s[0:1], s[14:15]
	s_mov_b64 exec, s[14:15]
	s_cbranch_execz .LBB6_260
; %bb.259:
	v_mov_b32_e32 v20, 0
	ds_read_b32 v20, v20 offset:11700
	s_waitcnt lgkmcnt(0)
	v_mul_f32_e32 v19, v19, v20
	v_xor_b32_e32 v20, 0x80000000, v19
	ds_write_b32 v18, v20
.LBB6_260:
	s_or_b64 exec, exec, s[0:1]
	v_cmp_gt_u32_e64 s[14:15], 13, v16
	;; [unrolled: 36-line block ×13, first 2 shown]
	s_and_b64 s[0:1], s[14:15], s[20:21]
	s_waitcnt lgkmcnt(0)
	s_barrier
	s_and_saveexec_b64 s[14:15], s[0:1]
	s_cbranch_execz .LBB6_306
; %bb.305:
	v_lshlrev_b32_e32 v20, 2, v16
	ds_read_b32 v20, v20 offset:8832
	ds_read_b32 v21, v18
	s_waitcnt lgkmcnt(0)
	v_fma_f32 v19, -v20, v21, v19
.LBB6_306:
	s_or_b64 exec, exec, s[14:15]
	v_cmp_eq_u32_e64 s[14:15], 1, v16
	s_barrier
	s_and_b64 s[16:17], s[14:15], s[20:21]
	s_mov_b64 s[14:15], exec
	v_writelane_b32 v27, s16, 58
	v_writelane_b32 v27, s17, 59
	s_and_b64 s[16:17], s[14:15], s[16:17]
	s_mov_b64 exec, s[16:17]
	s_cbranch_execz .LBB6_308
; %bb.307:
	v_mov_b32_e32 v20, 0
	ds_read_b32 v20, v20 offset:8580
	s_waitcnt lgkmcnt(0)
	v_mul_f32_e32 v19, v19, v20
	v_xor_b32_e32 v20, 0x80000000, v19
	ds_write_b32 v18, v20
.LBB6_308:
	s_or_b64 exec, exec, s[14:15]
	v_cmp_eq_u32_e64 s[14:15], 0, v16
	s_and_b64 s[92:93], s[14:15], s[20:21]
	s_waitcnt lgkmcnt(0)
	s_barrier
	s_and_saveexec_b64 s[14:15], s[92:93]
	s_cbranch_execz .LBB6_310
; %bb.309:
	v_mov_b32_e32 v20, 0
	ds_read_b32 v20, v20 offset:8576
	ds_read_b32 v21, v18
	s_waitcnt lgkmcnt(0)
	v_fma_f32 v19, -v20, v21, v19
.LBB6_310:
	s_or_b64 exec, exec, s[14:15]
	s_barrier
	s_and_saveexec_b64 s[14:15], s[92:93]
	s_cbranch_execz .LBB6_312
; %bb.311:
	v_mov_b32_e32 v20, 0
	ds_read_b32 v20, v20 offset:8320
	s_waitcnt lgkmcnt(0)
	v_mul_f32_e32 v19, v19, v20
	v_xor_b32_e32 v20, 0x80000000, v19
	ds_write_b32 v18, v20
.LBB6_312:
	s_or_b64 exec, exec, s[14:15]
	s_waitcnt lgkmcnt(0)
	s_barrier
	s_barrier
	s_and_saveexec_b64 s[14:15], s[10:11]
; %bb.313:
	v_lshlrev_b32_e32 v20, 2, v16
	v_lshl_or_b32 v20, v17, 8, v20
	ds_write_b32 v20, v19 offset:12416
; %bb.314:
	s_or_b64 exec, exec, s[14:15]
	v_cmp_gt_u32_e64 s[14:15], 16, v0
	s_waitcnt lgkmcnt(0)
	s_barrier
	s_barrier
	s_and_b64 s[16:17], s[12:13], s[14:15]
	s_mov_b64 s[14:15], exec
	v_writelane_b32 v27, s16, 60
	v_writelane_b32 v27, s17, 61
	s_and_b64 s[16:17], s[14:15], s[16:17]
	s_mov_b64 exec, s[16:17]
	s_cbranch_execz .LBB6_316
; %bb.315:
	v_lshlrev_b32_e32 v19, 8, v0
	ds_read_b32 v20, v19 offset:12416
	s_movk_i32 s16, 0xff04
	v_mad_i32_i24 v21, v0, s16, v19
	s_waitcnt lgkmcnt(0)
	ds_write_b32 v21, v20 offset:8384
	ds_read_b32 v20, v19 offset:12420
	s_waitcnt lgkmcnt(0)
	ds_write_b32 v21, v20 offset:8640
	ds_read_b32 v20, v19 offset:12424
	;; [unrolled: 3-line block ×15, first 2 shown]
	s_waitcnt lgkmcnt(0)
	ds_write_b32 v21, v19 offset:12224
.LBB6_316:
	s_or_b64 exec, exec, s[14:15]
	s_waitcnt lgkmcnt(0)
	s_barrier
	s_and_saveexec_b64 s[14:15], vcc
	s_cbranch_execz .LBB6_318
; %bb.317:
	v_mov_b32_e32 v21, 0
	ds_read_b64 v[19:20], v21 offset:12216
	ds_read_b32 v21, v21 offset:11960
	s_movk_i32 s16, 0x2c00
	s_waitcnt lgkmcnt(0)
	v_mul_f32_e32 v20, v21, v20
	v_mul_f32_e32 v19, v19, v20
	v_add_u32_e64 v20, s16, 0
	ds_write2_b32 v20, v19, v19 offset0:175 offset1:238
.LBB6_318:
	s_or_b64 exec, exec, s[14:15]
	v_mov_b32_e32 v19, 0
	s_waitcnt lgkmcnt(0)
	s_barrier
	buffer_wbinvl1_vol
	s_and_saveexec_b64 s[16:17], s[2:3]
	s_cbranch_execz .LBB6_322
; %bb.319:
	v_lshlrev_b32_e32 v19, 8, v3
	v_lshlrev_b32_e32 v20, 2, v1
	ds_read_b32 v21, v20 offset:11952
	ds_read_b32 v19, v19 offset:11960
	v_mov_b32_e32 v20, 0
	v_cmp_gt_u32_e64 s[14:15], 2, v5
	s_waitcnt lgkmcnt(0)
	v_fma_f32 v19, v21, v19, 0
	s_and_saveexec_b64 s[20:21], s[14:15]
	s_cbranch_execz .LBB6_321
; %bb.320:
	v_lshlrev_b32_e32 v21, 2, v0
	ds_read_b32 v21, v21 offset:12208
	ds_read_b32 v20, v20 offset:12220
	s_waitcnt lgkmcnt(0)
	v_fmac_f32_e32 v19, v21, v20
.LBB6_321:
	s_or_b64 exec, exec, s[20:21]
.LBB6_322:
	s_or_b64 exec, exec, s[16:17]
	s_and_saveexec_b64 s[14:15], s[28:29]
	s_cbranch_execz .LBB6_324
; %bb.323:
	v_mov_b32_e32 v20, 0
	ds_read_b32 v20, v20 offset:11700
	s_waitcnt lgkmcnt(0)
	v_mul_f32_e32 v19, v19, v20
	v_xor_b32_e32 v20, 0x80000000, v19
	ds_write_b32 v4, v20
.LBB6_324:
	s_or_b64 exec, exec, s[14:15]
	s_waitcnt lgkmcnt(0)
	s_barrier
	s_and_saveexec_b64 s[14:15], s[26:27]
	s_cbranch_execz .LBB6_326
; %bb.325:
	v_mov_b32_e32 v20, 0
	ds_read_b32 v20, v20 offset:11696
	ds_read_b32 v21, v4
	s_waitcnt lgkmcnt(0)
	v_fma_f32 v19, -v20, v21, v19
.LBB6_326:
	s_or_b64 exec, exec, s[14:15]
	s_barrier
	s_and_saveexec_b64 s[14:15], s[26:27]
	s_cbranch_execz .LBB6_328
; %bb.327:
	v_mov_b32_e32 v20, 0
	ds_read_b32 v20, v20 offset:11440
	s_waitcnt lgkmcnt(0)
	v_mul_f32_e32 v19, v19, v20
	v_xor_b32_e32 v20, 0x80000000, v19
	ds_write_b32 v4, v20
.LBB6_328:
	s_or_b64 exec, exec, s[14:15]
	s_waitcnt lgkmcnt(0)
	s_barrier
	s_barrier
	s_and_saveexec_b64 s[14:15], s[2:3]
; %bb.329:
	v_lshlrev_b32_e32 v20, 2, v1
	v_lshl_or_b32 v20, v3, 8, v20
	ds_write_b32 v20, v19 offset:11952
; %bb.330:
	s_or_b64 exec, exec, s[14:15]
	s_waitcnt lgkmcnt(0)
	s_barrier
	s_barrier
	s_and_saveexec_b64 s[14:15], s[30:31]
	s_cbranch_execz .LBB6_332
; %bb.331:
	v_lshlrev_b32_e32 v19, 2, v0
	s_movk_i32 s16, 0xfc
	v_mad_u32_u24 v20, v0, s16, v19
	ds_read_b32 v21, v20 offset:11952
	s_waitcnt lgkmcnt(0)
	ds_write_b32 v19, v21 offset:11448
	ds_read_b32 v20, v20 offset:11956
	s_waitcnt lgkmcnt(0)
	ds_write_b32 v19, v20 offset:11704
.LBB6_332:
	s_or_b64 exec, exec, s[14:15]
	s_waitcnt lgkmcnt(0)
	s_barrier
	s_and_saveexec_b64 s[14:15], vcc
	s_cbranch_execz .LBB6_334
; %bb.333:
	v_mov_b32_e32 v21, 0
	ds_read_b64 v[19:20], v21 offset:11696
	ds_read_b32 v21, v21 offset:11440
	s_movk_i32 s16, 0x2c00
	s_waitcnt lgkmcnt(0)
	v_mul_f32_e32 v20, v21, v20
	v_mul_f32_e32 v19, v19, v20
	v_add_u32_e64 v20, s16, 0
	ds_write2_b32 v20, v19, v19 offset0:45 offset1:108
.LBB6_334:
	s_or_b64 exec, exec, s[14:15]
	v_mov_b32_e32 v19, 0
	s_waitcnt lgkmcnt(0)
	s_barrier
	buffer_wbinvl1_vol
	s_and_saveexec_b64 s[16:17], s[18:19]
	s_cbranch_execz .LBB6_340
; %bb.335:
	v_lshlrev_b32_e32 v21, 2, v6
	v_lshlrev_b32_e32 v20, 8, v11
	ds_read_b32 v19, v21 offset:11424
	ds_read_b32 v22, v20 offset:11440
	v_cmp_gt_u32_e64 s[14:15], 12, v5
	s_waitcnt lgkmcnt(0)
	v_fma_f32 v19, v19, v22, 0
	s_and_saveexec_b64 s[20:21], s[14:15]
	s_cbranch_execnz .LBB6_1220
; %bb.336:
	s_or_b64 exec, exec, s[20:21]
	v_cmp_gt_u32_e64 s[14:15], 8, v5
	s_and_saveexec_b64 s[20:21], s[14:15]
	s_cbranch_execnz .LBB6_1221
.LBB6_337:
	s_or_b64 exec, exec, s[20:21]
	v_cmp_gt_u32_e64 s[14:15], 4, v5
	s_and_saveexec_b64 s[20:21], s[14:15]
	s_cbranch_execz .LBB6_339
.LBB6_338:
	v_lshlrev_b32_e32 v20, 2, v0
	v_mov_b32_e32 v21, 0
	ds_read_b32 v20, v20 offset:12192
	ds_read_b32 v21, v21 offset:12220
	s_waitcnt lgkmcnt(0)
	v_fmac_f32_e32 v19, v20, v21
.LBB6_339:
	s_or_b64 exec, exec, s[20:21]
.LBB6_340:
	s_or_b64 exec, exec, s[16:17]
	s_and_saveexec_b64 s[14:15], s[36:37]
	s_cbranch_execz .LBB6_342
; %bb.341:
	v_mov_b32_e32 v20, 0
	ds_read_b32 v20, v20 offset:11180
	s_waitcnt lgkmcnt(0)
	v_mul_f32_e32 v19, v19, v20
	v_xor_b32_e32 v20, 0x80000000, v19
	ds_write_b32 v12, v20
.LBB6_342:
	s_or_b64 exec, exec, s[14:15]
	s_waitcnt lgkmcnt(0)
	s_barrier
	s_and_saveexec_b64 s[14:15], s[38:39]
	s_cbranch_execz .LBB6_344
; %bb.343:
	v_lshlrev_b32_e32 v20, 2, v6
	ds_read_b32 v20, v20 offset:11168
	ds_read_b32 v21, v12
	s_waitcnt lgkmcnt(0)
	v_fma_f32 v19, -v20, v21, v19
.LBB6_344:
	s_or_b64 exec, exec, s[14:15]
	s_barrier
	s_and_saveexec_b64 s[14:15], s[42:43]
	s_cbranch_execz .LBB6_346
; %bb.345:
	v_mov_b32_e32 v20, 0
	ds_read_b32 v20, v20 offset:10920
	s_waitcnt lgkmcnt(0)
	v_mul_f32_e32 v19, v19, v20
	v_xor_b32_e32 v20, 0x80000000, v19
	ds_write_b32 v12, v20
.LBB6_346:
	s_or_b64 exec, exec, s[14:15]
	s_waitcnt lgkmcnt(0)
	s_barrier
	s_and_saveexec_b64 s[14:15], s[44:45]
	s_cbranch_execz .LBB6_348
; %bb.347:
	v_lshlrev_b32_e32 v20, 2, v6
	ds_read_b32 v20, v20 offset:10912
	ds_read_b32 v21, v12
	s_waitcnt lgkmcnt(0)
	v_fma_f32 v19, -v20, v21, v19
.LBB6_348:
	s_or_b64 exec, exec, s[14:15]
	s_barrier
	s_and_saveexec_b64 s[14:15], s[52:53]
	s_cbranch_execz .LBB6_350
; %bb.349:
	v_mov_b32_e32 v20, 0
	ds_read_b32 v20, v20 offset:10660
	s_waitcnt lgkmcnt(0)
	v_mul_f32_e32 v19, v19, v20
	v_xor_b32_e32 v20, 0x80000000, v19
	ds_write_b32 v12, v20
.LBB6_350:
	s_or_b64 exec, exec, s[14:15]
	s_waitcnt lgkmcnt(0)
	s_barrier
	s_and_saveexec_b64 s[14:15], s[34:35]
	s_cbranch_execz .LBB6_352
; %bb.351:
	v_mov_b32_e32 v20, 0
	ds_read_b32 v20, v20 offset:10656
	ds_read_b32 v21, v12
	s_waitcnt lgkmcnt(0)
	v_fma_f32 v19, -v20, v21, v19
.LBB6_352:
	s_or_b64 exec, exec, s[14:15]
	s_barrier
	s_and_saveexec_b64 s[14:15], s[34:35]
	s_cbranch_execz .LBB6_354
; %bb.353:
	v_mov_b32_e32 v20, 0
	ds_read_b32 v20, v20 offset:10400
	s_waitcnt lgkmcnt(0)
	v_mul_f32_e32 v19, v19, v20
	v_xor_b32_e32 v20, 0x80000000, v19
	ds_write_b32 v12, v20
.LBB6_354:
	s_or_b64 exec, exec, s[14:15]
	s_waitcnt lgkmcnt(0)
	s_barrier
	s_barrier
	s_and_saveexec_b64 s[14:15], s[18:19]
; %bb.355:
	v_lshlrev_b32_e32 v20, 2, v6
	v_lshl_or_b32 v20, v11, 8, v20
	ds_write_b32 v20, v19 offset:11424
; %bb.356:
	s_or_b64 exec, exec, s[14:15]
	s_waitcnt lgkmcnt(0)
	s_barrier
	s_barrier
	s_and_saveexec_b64 s[14:15], s[54:55]
	s_cbranch_execz .LBB6_358
; %bb.357:
	v_lshlrev_b32_e32 v19, 8, v0
	ds_read_b32 v20, v19 offset:11424
	s_movk_i32 s16, 0xff04
	v_mad_i32_i24 v21, v0, s16, v19
	s_waitcnt lgkmcnt(0)
	ds_write_b32 v21, v20 offset:10416
	ds_read_b32 v20, v19 offset:11428
	s_waitcnt lgkmcnt(0)
	ds_write_b32 v21, v20 offset:10672
	ds_read_b32 v20, v19 offset:11432
	;; [unrolled: 3-line block ×3, first 2 shown]
	s_waitcnt lgkmcnt(0)
	ds_write_b32 v21, v19 offset:11184
.LBB6_358:
	s_or_b64 exec, exec, s[14:15]
	s_waitcnt lgkmcnt(0)
	s_barrier
	s_and_saveexec_b64 s[14:15], vcc
	s_cbranch_execz .LBB6_360
; %bb.359:
	v_mov_b32_e32 v21, 0
	ds_read_b64 v[19:20], v21 offset:11176
	ds_read_b32 v21, v21 offset:10920
	s_movk_i32 s16, 0x2800
	s_waitcnt lgkmcnt(0)
	v_mul_f32_e32 v20, v21, v20
	v_mul_f32_e32 v19, v19, v20
	v_add_u32_e64 v20, s16, 0
	ds_write2_b32 v20, v19, v19 offset0:171 offset1:234
.LBB6_360:
	s_or_b64 exec, exec, s[14:15]
	v_mov_b32_e32 v19, 0
	s_waitcnt lgkmcnt(0)
	s_barrier
	buffer_wbinvl1_vol
	s_and_saveexec_b64 s[16:17], s[2:3]
	s_cbranch_execz .LBB6_364
; %bb.361:
	v_lshlrev_b32_e32 v19, 8, v3
	v_lshlrev_b32_e32 v20, 2, v1
	ds_read_b32 v21, v20 offset:10912
	ds_read_b32 v19, v19 offset:10920
	v_mov_b32_e32 v20, 0
	v_cmp_gt_u32_e64 s[14:15], 2, v5
	s_waitcnt lgkmcnt(0)
	v_fma_f32 v19, v21, v19, 0
	s_and_saveexec_b64 s[20:21], s[14:15]
	s_cbranch_execz .LBB6_363
; %bb.362:
	v_lshlrev_b32_e32 v21, 2, v0
	ds_read_b32 v21, v21 offset:11168
	ds_read_b32 v20, v20 offset:11180
	s_waitcnt lgkmcnt(0)
	v_fmac_f32_e32 v19, v21, v20
.LBB6_363:
	s_or_b64 exec, exec, s[20:21]
.LBB6_364:
	s_or_b64 exec, exec, s[16:17]
	s_and_saveexec_b64 s[14:15], s[28:29]
	s_cbranch_execz .LBB6_366
; %bb.365:
	v_mov_b32_e32 v20, 0
	ds_read_b32 v20, v20 offset:10660
	s_waitcnt lgkmcnt(0)
	v_mul_f32_e32 v19, v19, v20
	v_xor_b32_e32 v20, 0x80000000, v19
	ds_write_b32 v4, v20
.LBB6_366:
	s_or_b64 exec, exec, s[14:15]
	s_waitcnt lgkmcnt(0)
	s_barrier
	s_and_saveexec_b64 s[14:15], s[26:27]
	s_cbranch_execz .LBB6_368
; %bb.367:
	v_mov_b32_e32 v20, 0
	ds_read_b32 v20, v20 offset:10656
	ds_read_b32 v21, v4
	s_waitcnt lgkmcnt(0)
	v_fma_f32 v19, -v20, v21, v19
.LBB6_368:
	s_or_b64 exec, exec, s[14:15]
	s_barrier
	s_and_saveexec_b64 s[14:15], s[26:27]
	s_cbranch_execz .LBB6_370
; %bb.369:
	v_mov_b32_e32 v20, 0
	ds_read_b32 v20, v20 offset:10400
	s_waitcnt lgkmcnt(0)
	v_mul_f32_e32 v19, v19, v20
	v_xor_b32_e32 v20, 0x80000000, v19
	ds_write_b32 v4, v20
.LBB6_370:
	s_or_b64 exec, exec, s[14:15]
	s_waitcnt lgkmcnt(0)
	s_barrier
	s_barrier
	s_and_saveexec_b64 s[14:15], s[2:3]
; %bb.371:
	v_lshlrev_b32_e32 v20, 2, v1
	v_lshl_or_b32 v20, v3, 8, v20
	ds_write_b32 v20, v19 offset:10912
; %bb.372:
	s_or_b64 exec, exec, s[14:15]
	s_waitcnt lgkmcnt(0)
	s_barrier
	s_barrier
	s_and_saveexec_b64 s[14:15], s[30:31]
	s_cbranch_execz .LBB6_374
; %bb.373:
	v_lshlrev_b32_e32 v19, 2, v0
	s_movk_i32 s16, 0xfc
	v_mad_u32_u24 v20, v0, s16, v19
	ds_read_b32 v21, v20 offset:10912
	s_waitcnt lgkmcnt(0)
	ds_write_b32 v19, v21 offset:10408
	ds_read_b32 v20, v20 offset:10916
	s_waitcnt lgkmcnt(0)
	ds_write_b32 v19, v20 offset:10664
.LBB6_374:
	s_or_b64 exec, exec, s[14:15]
	s_waitcnt lgkmcnt(0)
	s_barrier
	s_and_saveexec_b64 s[14:15], vcc
	s_cbranch_execz .LBB6_376
; %bb.375:
	v_mov_b32_e32 v21, 0
	ds_read_b64 v[19:20], v21 offset:10656
	ds_read_b32 v21, v21 offset:10400
	s_movk_i32 s16, 0x2800
	s_waitcnt lgkmcnt(0)
	v_mul_f32_e32 v20, v21, v20
	v_mul_f32_e32 v19, v19, v20
	v_add_u32_e64 v20, s16, 0
	ds_write2_b32 v20, v19, v19 offset0:41 offset1:104
.LBB6_376:
	s_or_b64 exec, exec, s[14:15]
	v_mov_b32_e32 v19, 0
	s_waitcnt lgkmcnt(0)
	s_barrier
	buffer_wbinvl1_vol
	s_and_saveexec_b64 s[16:17], s[8:9]
	s_cbranch_execz .LBB6_386
; %bb.377:
	v_lshlrev_b32_e32 v21, 2, v13
	v_lshlrev_b32_e32 v20, 8, v14
	ds_read_b32 v19, v21 offset:10368
	ds_read_b32 v22, v20 offset:10400
	v_cmp_gt_u32_e64 s[14:15], 56, v5
	s_waitcnt lgkmcnt(0)
	v_fma_f32 v19, v19, v22, 0
	s_and_saveexec_b64 s[20:21], s[14:15]
	s_cbranch_execnz .LBB6_1222
; %bb.378:
	s_or_b64 exec, exec, s[20:21]
	v_cmp_gt_u32_e64 s[14:15], 48, v5
	s_and_saveexec_b64 s[20:21], s[14:15]
	s_cbranch_execnz .LBB6_1223
.LBB6_379:
	s_or_b64 exec, exec, s[20:21]
	v_cmp_gt_u32_e64 s[14:15], 40, v5
	s_and_saveexec_b64 s[20:21], s[14:15]
	s_cbranch_execnz .LBB6_1224
.LBB6_380:
	s_or_b64 exec, exec, s[20:21]
	v_cmp_gt_u32_e64 s[14:15], 32, v5
	s_and_saveexec_b64 s[20:21], s[14:15]
	s_cbranch_execnz .LBB6_1225
.LBB6_381:
	s_or_b64 exec, exec, s[20:21]
	v_cmp_gt_u32_e64 s[14:15], 24, v5
	s_and_saveexec_b64 s[20:21], s[14:15]
	s_cbranch_execnz .LBB6_1226
.LBB6_382:
	s_or_b64 exec, exec, s[20:21]
	s_and_saveexec_b64 s[14:15], s[18:19]
	s_cbranch_execnz .LBB6_1227
.LBB6_383:
	s_or_b64 exec, exec, s[14:15]
	v_cmp_gt_u32_e64 s[14:15], 8, v5
	s_and_saveexec_b64 s[20:21], s[14:15]
	s_cbranch_execz .LBB6_385
.LBB6_384:
	v_lshlrev_b32_e32 v20, 2, v0
	v_mov_b32_e32 v21, 0
	ds_read_b32 v20, v20 offset:12160
	ds_read_b32 v21, v21 offset:12220
	s_waitcnt lgkmcnt(0)
	v_fmac_f32_e32 v19, v20, v21
.LBB6_385:
	s_or_b64 exec, exec, s[20:21]
.LBB6_386:
	s_or_b64 exec, exec, s[16:17]
	s_and_saveexec_b64 s[14:15], s[56:57]
	s_cbranch_execz .LBB6_388
; %bb.387:
	v_mov_b32_e32 v20, 0
	ds_read_b32 v20, v20 offset:10140
	s_waitcnt lgkmcnt(0)
	v_mul_f32_e32 v19, v19, v20
	v_xor_b32_e32 v20, 0x80000000, v19
	ds_write_b32 v15, v20
.LBB6_388:
	s_or_b64 exec, exec, s[14:15]
	s_waitcnt lgkmcnt(0)
	s_barrier
	s_and_saveexec_b64 s[14:15], s[58:59]
	s_cbranch_execz .LBB6_390
; %bb.389:
	v_lshlrev_b32_e32 v20, 2, v13
	ds_read_b32 v20, v20 offset:10112
	ds_read_b32 v21, v15
	s_waitcnt lgkmcnt(0)
	v_fma_f32 v19, -v20, v21, v19
.LBB6_390:
	s_or_b64 exec, exec, s[14:15]
	s_barrier
	s_and_saveexec_b64 s[14:15], s[60:61]
	s_cbranch_execz .LBB6_392
; %bb.391:
	v_mov_b32_e32 v20, 0
	ds_read_b32 v20, v20 offset:9880
	s_waitcnt lgkmcnt(0)
	v_mul_f32_e32 v19, v19, v20
	v_xor_b32_e32 v20, 0x80000000, v19
	ds_write_b32 v15, v20
.LBB6_392:
	s_or_b64 exec, exec, s[14:15]
	s_waitcnt lgkmcnt(0)
	s_barrier
	s_and_saveexec_b64 s[14:15], s[62:63]
	s_cbranch_execz .LBB6_394
; %bb.393:
	v_lshlrev_b32_e32 v20, 2, v13
	ds_read_b32 v20, v20 offset:9856
	ds_read_b32 v21, v15
	s_waitcnt lgkmcnt(0)
	v_fma_f32 v19, -v20, v21, v19
.LBB6_394:
	s_or_b64 exec, exec, s[14:15]
	s_barrier
	;; [unrolled: 24-line block ×6, first 2 shown]
	s_and_saveexec_b64 s[14:15], s[82:83]
	s_cbranch_execz .LBB6_412
; %bb.411:
	v_mov_b32_e32 v20, 0
	ds_read_b32 v20, v20 offset:8580
	s_waitcnt lgkmcnt(0)
	v_mul_f32_e32 v19, v19, v20
	v_xor_b32_e32 v20, 0x80000000, v19
	ds_write_b32 v15, v20
.LBB6_412:
	s_or_b64 exec, exec, s[14:15]
	s_waitcnt lgkmcnt(0)
	s_barrier
	s_and_saveexec_b64 s[14:15], s[66:67]
	s_cbranch_execz .LBB6_414
; %bb.413:
	v_mov_b32_e32 v20, 0
	ds_read_b32 v20, v20 offset:8576
	ds_read_b32 v21, v15
	s_waitcnt lgkmcnt(0)
	v_fma_f32 v19, -v20, v21, v19
.LBB6_414:
	s_or_b64 exec, exec, s[14:15]
	s_barrier
	s_and_saveexec_b64 s[14:15], s[66:67]
	s_cbranch_execz .LBB6_416
; %bb.415:
	v_mov_b32_e32 v20, 0
	ds_read_b32 v20, v20 offset:8320
	s_waitcnt lgkmcnt(0)
	v_mul_f32_e32 v19, v19, v20
	v_xor_b32_e32 v20, 0x80000000, v19
	ds_write_b32 v15, v20
.LBB6_416:
	s_or_b64 exec, exec, s[14:15]
	s_waitcnt lgkmcnt(0)
	s_barrier
	s_barrier
	s_and_saveexec_b64 s[14:15], s[8:9]
; %bb.417:
	v_lshlrev_b32_e32 v20, 2, v13
	v_lshl_or_b32 v20, v14, 8, v20
	ds_write_b32 v20, v19 offset:10368
; %bb.418:
	s_or_b64 exec, exec, s[14:15]
	s_waitcnt lgkmcnt(0)
	s_barrier
	s_barrier
	s_and_saveexec_b64 s[14:15], s[84:85]
	s_cbranch_execz .LBB6_420
; %bb.419:
	v_lshlrev_b32_e32 v19, 8, v0
	ds_read_b32 v20, v19 offset:10368
	s_movk_i32 s16, 0xff04
	v_mad_i32_i24 v21, v0, s16, v19
	s_waitcnt lgkmcnt(0)
	ds_write_b32 v21, v20 offset:8352
	ds_read_b32 v20, v19 offset:10372
	s_waitcnt lgkmcnt(0)
	ds_write_b32 v21, v20 offset:8608
	ds_read_b32 v20, v19 offset:10376
	;; [unrolled: 3-line block ×7, first 2 shown]
	s_waitcnt lgkmcnt(0)
	ds_write_b32 v21, v19 offset:10144
.LBB6_420:
	s_or_b64 exec, exec, s[14:15]
	s_waitcnt lgkmcnt(0)
	s_barrier
	s_and_saveexec_b64 s[14:15], vcc
	s_cbranch_execz .LBB6_422
; %bb.421:
	v_mov_b32_e32 v21, 0
	ds_read_b64 v[19:20], v21 offset:10136
	ds_read_b32 v21, v21 offset:9880
	s_movk_i32 s16, 0x2400
	s_waitcnt lgkmcnt(0)
	v_mul_f32_e32 v20, v21, v20
	v_mul_f32_e32 v19, v19, v20
	v_add_u32_e64 v20, s16, 0
	ds_write2_b32 v20, v19, v19 offset0:167 offset1:230
.LBB6_422:
	s_or_b64 exec, exec, s[14:15]
	v_mov_b32_e32 v19, 0
	s_waitcnt lgkmcnt(0)
	s_barrier
	buffer_wbinvl1_vol
	s_and_saveexec_b64 s[16:17], s[2:3]
	s_cbranch_execz .LBB6_426
; %bb.423:
	v_lshlrev_b32_e32 v19, 8, v3
	v_lshlrev_b32_e32 v20, 2, v1
	ds_read_b32 v21, v20 offset:9872
	ds_read_b32 v19, v19 offset:9880
	v_mov_b32_e32 v20, 0
	v_cmp_gt_u32_e64 s[14:15], 2, v5
	s_waitcnt lgkmcnt(0)
	v_fma_f32 v19, v21, v19, 0
	s_and_saveexec_b64 s[20:21], s[14:15]
	s_cbranch_execz .LBB6_425
; %bb.424:
	v_lshlrev_b32_e32 v21, 2, v0
	ds_read_b32 v21, v21 offset:10128
	ds_read_b32 v20, v20 offset:10140
	s_waitcnt lgkmcnt(0)
	v_fmac_f32_e32 v19, v21, v20
.LBB6_425:
	s_or_b64 exec, exec, s[20:21]
.LBB6_426:
	s_or_b64 exec, exec, s[16:17]
	s_and_saveexec_b64 s[14:15], s[28:29]
	s_cbranch_execz .LBB6_428
; %bb.427:
	v_mov_b32_e32 v20, 0
	ds_read_b32 v20, v20 offset:9620
	s_waitcnt lgkmcnt(0)
	v_mul_f32_e32 v19, v19, v20
	v_xor_b32_e32 v20, 0x80000000, v19
	ds_write_b32 v4, v20
.LBB6_428:
	s_or_b64 exec, exec, s[14:15]
	s_waitcnt lgkmcnt(0)
	s_barrier
	s_and_saveexec_b64 s[14:15], s[26:27]
	s_cbranch_execz .LBB6_430
; %bb.429:
	v_mov_b32_e32 v20, 0
	ds_read_b32 v20, v20 offset:9616
	ds_read_b32 v21, v4
	s_waitcnt lgkmcnt(0)
	v_fma_f32 v19, -v20, v21, v19
.LBB6_430:
	s_or_b64 exec, exec, s[14:15]
	s_barrier
	s_and_saveexec_b64 s[14:15], s[26:27]
	s_cbranch_execz .LBB6_432
; %bb.431:
	v_mov_b32_e32 v20, 0
	ds_read_b32 v20, v20 offset:9360
	s_waitcnt lgkmcnt(0)
	v_mul_f32_e32 v19, v19, v20
	v_xor_b32_e32 v20, 0x80000000, v19
	ds_write_b32 v4, v20
.LBB6_432:
	s_or_b64 exec, exec, s[14:15]
	s_waitcnt lgkmcnt(0)
	s_barrier
	s_barrier
	s_and_saveexec_b64 s[14:15], s[2:3]
; %bb.433:
	v_lshlrev_b32_e32 v20, 2, v1
	v_lshl_or_b32 v20, v3, 8, v20
	ds_write_b32 v20, v19 offset:9872
; %bb.434:
	s_or_b64 exec, exec, s[14:15]
	s_waitcnt lgkmcnt(0)
	s_barrier
	s_barrier
	s_and_saveexec_b64 s[14:15], s[30:31]
	s_cbranch_execz .LBB6_436
; %bb.435:
	v_lshlrev_b32_e32 v19, 2, v0
	s_movk_i32 s16, 0xfc
	v_mad_u32_u24 v20, v0, s16, v19
	ds_read_b32 v21, v20 offset:9872
	s_waitcnt lgkmcnt(0)
	ds_write_b32 v19, v21 offset:9368
	ds_read_b32 v20, v20 offset:9876
	s_waitcnt lgkmcnt(0)
	ds_write_b32 v19, v20 offset:9624
.LBB6_436:
	s_or_b64 exec, exec, s[14:15]
	s_waitcnt lgkmcnt(0)
	s_barrier
	s_and_saveexec_b64 s[14:15], vcc
	s_cbranch_execz .LBB6_438
; %bb.437:
	v_mov_b32_e32 v21, 0
	ds_read_b64 v[19:20], v21 offset:9616
	ds_read_b32 v21, v21 offset:9360
	s_movk_i32 s16, 0x2400
	s_waitcnt lgkmcnt(0)
	v_mul_f32_e32 v20, v21, v20
	v_mul_f32_e32 v19, v19, v20
	v_add_u32_e64 v20, s16, 0
	ds_write2_b32 v20, v19, v19 offset0:37 offset1:100
.LBB6_438:
	s_or_b64 exec, exec, s[14:15]
	v_mov_b32_e32 v19, 0
	s_waitcnt lgkmcnt(0)
	s_barrier
	buffer_wbinvl1_vol
	s_and_saveexec_b64 s[16:17], s[18:19]
	s_cbranch_execz .LBB6_444
; %bb.439:
	v_lshlrev_b32_e32 v21, 2, v6
	v_lshlrev_b32_e32 v20, 8, v11
	ds_read_b32 v19, v21 offset:9344
	ds_read_b32 v22, v20 offset:9360
	v_cmp_gt_u32_e64 s[14:15], 12, v5
	s_waitcnt lgkmcnt(0)
	v_fma_f32 v19, v19, v22, 0
	s_and_saveexec_b64 s[20:21], s[14:15]
	s_cbranch_execnz .LBB6_1228
; %bb.440:
	s_or_b64 exec, exec, s[20:21]
	v_cmp_gt_u32_e64 s[14:15], 8, v5
	s_and_saveexec_b64 s[20:21], s[14:15]
	s_cbranch_execnz .LBB6_1229
.LBB6_441:
	s_or_b64 exec, exec, s[20:21]
	v_cmp_gt_u32_e64 s[14:15], 4, v5
	s_and_saveexec_b64 s[20:21], s[14:15]
	s_cbranch_execz .LBB6_443
.LBB6_442:
	v_lshlrev_b32_e32 v20, 2, v0
	v_mov_b32_e32 v21, 0
	ds_read_b32 v20, v20 offset:10112
	ds_read_b32 v21, v21 offset:10140
	s_waitcnt lgkmcnt(0)
	v_fmac_f32_e32 v19, v20, v21
.LBB6_443:
	s_or_b64 exec, exec, s[20:21]
.LBB6_444:
	s_or_b64 exec, exec, s[16:17]
	s_and_saveexec_b64 s[14:15], s[36:37]
	s_cbranch_execz .LBB6_446
; %bb.445:
	v_mov_b32_e32 v20, 0
	ds_read_b32 v20, v20 offset:9100
	s_waitcnt lgkmcnt(0)
	v_mul_f32_e32 v19, v19, v20
	v_xor_b32_e32 v20, 0x80000000, v19
	ds_write_b32 v12, v20
.LBB6_446:
	s_or_b64 exec, exec, s[14:15]
	s_waitcnt lgkmcnt(0)
	s_barrier
	s_and_saveexec_b64 s[14:15], s[38:39]
	s_cbranch_execz .LBB6_448
; %bb.447:
	v_lshlrev_b32_e32 v20, 2, v6
	ds_read_b32 v20, v20 offset:9088
	ds_read_b32 v21, v12
	s_waitcnt lgkmcnt(0)
	v_fma_f32 v19, -v20, v21, v19
.LBB6_448:
	s_or_b64 exec, exec, s[14:15]
	s_barrier
	s_and_saveexec_b64 s[14:15], s[42:43]
	s_cbranch_execz .LBB6_450
; %bb.449:
	v_mov_b32_e32 v20, 0
	ds_read_b32 v20, v20 offset:8840
	s_waitcnt lgkmcnt(0)
	v_mul_f32_e32 v19, v19, v20
	v_xor_b32_e32 v20, 0x80000000, v19
	ds_write_b32 v12, v20
.LBB6_450:
	s_or_b64 exec, exec, s[14:15]
	s_waitcnt lgkmcnt(0)
	s_barrier
	s_and_saveexec_b64 s[14:15], s[44:45]
	s_cbranch_execz .LBB6_452
; %bb.451:
	v_lshlrev_b32_e32 v20, 2, v6
	ds_read_b32 v20, v20 offset:8832
	ds_read_b32 v21, v12
	s_waitcnt lgkmcnt(0)
	v_fma_f32 v19, -v20, v21, v19
.LBB6_452:
	s_or_b64 exec, exec, s[14:15]
	s_barrier
	s_and_saveexec_b64 s[14:15], s[52:53]
	s_cbranch_execz .LBB6_454
; %bb.453:
	v_mov_b32_e32 v20, 0
	ds_read_b32 v20, v20 offset:8580
	s_waitcnt lgkmcnt(0)
	v_mul_f32_e32 v19, v19, v20
	v_xor_b32_e32 v20, 0x80000000, v19
	ds_write_b32 v12, v20
.LBB6_454:
	s_or_b64 exec, exec, s[14:15]
	s_waitcnt lgkmcnt(0)
	s_barrier
	s_and_saveexec_b64 s[14:15], s[34:35]
	s_cbranch_execz .LBB6_456
; %bb.455:
	v_mov_b32_e32 v20, 0
	ds_read_b32 v20, v20 offset:8576
	ds_read_b32 v21, v12
	s_waitcnt lgkmcnt(0)
	v_fma_f32 v19, -v20, v21, v19
.LBB6_456:
	s_or_b64 exec, exec, s[14:15]
	s_barrier
	s_and_saveexec_b64 s[14:15], s[34:35]
	s_cbranch_execz .LBB6_458
; %bb.457:
	v_mov_b32_e32 v20, 0
	ds_read_b32 v20, v20 offset:8320
	s_waitcnt lgkmcnt(0)
	v_mul_f32_e32 v19, v19, v20
	v_xor_b32_e32 v20, 0x80000000, v19
	ds_write_b32 v12, v20
.LBB6_458:
	s_or_b64 exec, exec, s[14:15]
	s_waitcnt lgkmcnt(0)
	s_barrier
	s_barrier
	s_and_saveexec_b64 s[14:15], s[18:19]
; %bb.459:
	v_lshlrev_b32_e32 v20, 2, v6
	v_lshl_or_b32 v20, v11, 8, v20
	ds_write_b32 v20, v19 offset:9344
; %bb.460:
	s_or_b64 exec, exec, s[14:15]
	s_waitcnt lgkmcnt(0)
	s_barrier
	s_barrier
	s_and_saveexec_b64 s[14:15], s[54:55]
	s_cbranch_execz .LBB6_462
; %bb.461:
	v_lshlrev_b32_e32 v19, 8, v0
	ds_read_b32 v20, v19 offset:9344
	s_movk_i32 s16, 0xff04
	v_mad_i32_i24 v21, v0, s16, v19
	s_waitcnt lgkmcnt(0)
	ds_write_b32 v21, v20 offset:8336
	ds_read_b32 v20, v19 offset:9348
	s_waitcnt lgkmcnt(0)
	ds_write_b32 v21, v20 offset:8592
	ds_read_b32 v20, v19 offset:9352
	;; [unrolled: 3-line block ×3, first 2 shown]
	s_waitcnt lgkmcnt(0)
	ds_write_b32 v21, v19 offset:9104
.LBB6_462:
	s_or_b64 exec, exec, s[14:15]
	s_waitcnt lgkmcnt(0)
	s_barrier
	s_and_saveexec_b64 s[14:15], vcc
	s_cbranch_execz .LBB6_464
; %bb.463:
	v_mov_b32_e32 v21, 0
	ds_read_b64 v[19:20], v21 offset:9096
	ds_read_b32 v21, v21 offset:8840
	s_movk_i32 s16, 0x2000
	s_waitcnt lgkmcnt(0)
	v_mul_f32_e32 v20, v21, v20
	v_mul_f32_e32 v19, v19, v20
	v_add_u32_e64 v20, s16, 0
	ds_write2_b32 v20, v19, v19 offset0:163 offset1:226
.LBB6_464:
	s_or_b64 exec, exec, s[14:15]
	v_mov_b32_e32 v19, 0
	s_waitcnt lgkmcnt(0)
	s_barrier
	buffer_wbinvl1_vol
	s_and_saveexec_b64 s[16:17], s[2:3]
	s_cbranch_execz .LBB6_468
; %bb.465:
	v_lshlrev_b32_e32 v19, 8, v3
	v_lshlrev_b32_e32 v20, 2, v1
	ds_read_b32 v21, v20 offset:8832
	ds_read_b32 v19, v19 offset:8840
	v_mov_b32_e32 v20, 0
	v_cmp_gt_u32_e64 s[14:15], 2, v5
	s_waitcnt lgkmcnt(0)
	v_fma_f32 v19, v21, v19, 0
	s_and_saveexec_b64 s[20:21], s[14:15]
	s_cbranch_execz .LBB6_467
; %bb.466:
	v_lshlrev_b32_e32 v21, 2, v0
	ds_read_b32 v21, v21 offset:9088
	ds_read_b32 v20, v20 offset:9100
	s_waitcnt lgkmcnt(0)
	v_fmac_f32_e32 v19, v21, v20
.LBB6_467:
	s_or_b64 exec, exec, s[20:21]
.LBB6_468:
	s_or_b64 exec, exec, s[16:17]
	s_and_saveexec_b64 s[14:15], s[28:29]
	s_cbranch_execz .LBB6_470
; %bb.469:
	v_mov_b32_e32 v20, 0
	ds_read_b32 v20, v20 offset:8580
	s_waitcnt lgkmcnt(0)
	v_mul_f32_e32 v19, v19, v20
	v_xor_b32_e32 v20, 0x80000000, v19
	ds_write_b32 v4, v20
.LBB6_470:
	s_or_b64 exec, exec, s[14:15]
	s_waitcnt lgkmcnt(0)
	s_barrier
	s_and_saveexec_b64 s[14:15], s[26:27]
	s_cbranch_execz .LBB6_472
; %bb.471:
	v_mov_b32_e32 v20, 0
	ds_read_b32 v20, v20 offset:8576
	ds_read_b32 v21, v4
	s_waitcnt lgkmcnt(0)
	v_fma_f32 v19, -v20, v21, v19
.LBB6_472:
	s_or_b64 exec, exec, s[14:15]
	s_barrier
	s_and_saveexec_b64 s[14:15], s[26:27]
	s_cbranch_execz .LBB6_474
; %bb.473:
	v_mov_b32_e32 v20, 0
	ds_read_b32 v20, v20 offset:8320
	s_waitcnt lgkmcnt(0)
	v_mul_f32_e32 v19, v19, v20
	v_xor_b32_e32 v20, 0x80000000, v19
	ds_write_b32 v4, v20
.LBB6_474:
	s_or_b64 exec, exec, s[14:15]
	s_waitcnt lgkmcnt(0)
	s_barrier
	s_barrier
	s_and_saveexec_b64 s[14:15], s[2:3]
; %bb.475:
	v_lshlrev_b32_e32 v20, 2, v1
	v_lshl_or_b32 v20, v3, 8, v20
	ds_write_b32 v20, v19 offset:8832
; %bb.476:
	s_or_b64 exec, exec, s[14:15]
	s_waitcnt lgkmcnt(0)
	s_barrier
	s_barrier
	s_and_saveexec_b64 s[14:15], s[30:31]
	s_cbranch_execz .LBB6_478
; %bb.477:
	v_lshlrev_b32_e32 v19, 2, v0
	s_movk_i32 s16, 0xfc
	v_mad_u32_u24 v20, v0, s16, v19
	ds_read_b32 v21, v20 offset:8832
	s_waitcnt lgkmcnt(0)
	ds_write_b32 v19, v21 offset:8328
	ds_read_b32 v20, v20 offset:8836
	s_waitcnt lgkmcnt(0)
	ds_write_b32 v19, v20 offset:8584
.LBB6_478:
	s_or_b64 exec, exec, s[14:15]
	s_waitcnt lgkmcnt(0)
	s_barrier
	s_and_saveexec_b64 s[14:15], vcc
	s_cbranch_execz .LBB6_480
; %bb.479:
	v_mov_b32_e32 v21, 0
	ds_read_b64 v[19:20], v21 offset:8576
	ds_read_b32 v21, v21 offset:8320
	s_movk_i32 s16, 0x2000
	s_waitcnt lgkmcnt(0)
	v_mul_f32_e32 v20, v21, v20
	v_mul_f32_e32 v19, v19, v20
	v_add_u32_e64 v20, s16, 0
	ds_write2_b32 v20, v19, v19 offset0:33 offset1:96
.LBB6_480:
	s_or_b64 exec, exec, s[14:15]
	s_movk_i32 s14, 0x3ff
	v_lshrrev_b32_e32 v22, 5, v5
	v_cmp_lt_u32_e64 s[16:17], s14, v5
	s_movk_i32 s14, 0x400
	v_and_b32_e32 v19, 31, v0
	v_sub_u32_e32 v20, 31, v22
	v_cmp_gt_u32_e64 s[14:15], s14, v5
	v_mov_b32_e32 v21, 0
	s_waitcnt lgkmcnt(0)
	s_barrier
	buffer_wbinvl1_vol
	s_and_saveexec_b64 s[90:91], s[14:15]
	s_cbranch_execz .LBB6_542
; %bb.481:
	v_lshlrev_b32_e32 v24, 2, v19
	v_lshlrev_b32_e32 v23, 8, v20
	ds_read_b32 v21, v24 offset:8192
	ds_read_b32 v25, v23 offset:8320
	s_movk_i32 s20, 0x3e0
	v_cmp_gt_u32_e64 s[20:21], s20, v5
	s_waitcnt lgkmcnt(0)
	v_fma_f32 v21, v21, v25, 0
	s_and_saveexec_b64 s[94:95], s[20:21]
	s_cbranch_execz .LBB6_483
; %bb.482:
	ds_read_b32 v25, v24 offset:8448
	ds_read_b32 v26, v23 offset:8324
	s_waitcnt lgkmcnt(0)
	v_fmac_f32_e32 v21, v25, v26
.LBB6_483:
	s_or_b64 exec, exec, s[94:95]
	s_movk_i32 s20, 0x3c0
	v_cmp_gt_u32_e64 s[20:21], s20, v5
	s_and_saveexec_b64 s[94:95], s[20:21]
	s_cbranch_execz .LBB6_485
; %bb.484:
	ds_read_b32 v25, v24 offset:8704
	ds_read_b32 v26, v23 offset:8328
	s_waitcnt lgkmcnt(0)
	v_fmac_f32_e32 v21, v25, v26
.LBB6_485:
	s_or_b64 exec, exec, s[94:95]
	s_movk_i32 s20, 0x3a0
	v_cmp_gt_u32_e64 s[20:21], s20, v5
	;; [unrolled: 11-line block ×22, first 2 shown]
	s_and_saveexec_b64 s[94:95], s[20:21]
	s_cbranch_execz .LBB6_527
; %bb.526:
	ds_read_b32 v25, v24 offset:14080
	ds_read_b32 v26, v23 offset:8412
	s_waitcnt lgkmcnt(0)
	v_fmac_f32_e32 v21, v25, v26
.LBB6_527:
	s_or_b64 exec, exec, s[94:95]
	s_and_saveexec_b64 s[20:21], s[10:11]
	s_cbranch_execz .LBB6_529
; %bb.528:
	ds_read_b32 v25, v24 offset:14336
	ds_read_b32 v26, v23 offset:8416
	s_waitcnt lgkmcnt(0)
	v_fmac_f32_e32 v21, v25, v26
.LBB6_529:
	s_or_b64 exec, exec, s[20:21]
	s_movk_i32 s20, 0xe0
	v_cmp_gt_u32_e64 s[20:21], s20, v5
	s_and_saveexec_b64 s[94:95], s[20:21]
	s_cbranch_execz .LBB6_531
; %bb.530:
	ds_read_b32 v25, v24 offset:14592
	ds_read_b32 v26, v23 offset:8420
	s_waitcnt lgkmcnt(0)
	v_fmac_f32_e32 v21, v25, v26
.LBB6_531:
	s_or_b64 exec, exec, s[94:95]
	s_movk_i32 s20, 0xc0
	v_cmp_gt_u32_e64 s[20:21], s20, v5
	;; [unrolled: 11-line block ×5, first 2 shown]
	s_and_saveexec_b64 s[94:95], s[20:21]
	s_cbranch_execnz .LBB6_1230
; %bb.538:
	s_or_b64 exec, exec, s[94:95]
	s_and_saveexec_b64 s[20:21], s[8:9]
	s_cbranch_execnz .LBB6_1231
.LBB6_539:
	s_or_b64 exec, exec, s[20:21]
	v_cmp_gt_u32_e64 s[20:21], 32, v5
	s_and_saveexec_b64 s[94:95], s[20:21]
	s_cbranch_execz .LBB6_541
.LBB6_540:
	v_lshlrev_b32_e32 v23, 2, v0
	v_mov_b32_e32 v24, 0
	ds_read_b32 v23, v23 offset:16128
	ds_read_b32 v24, v24 offset:16380
	s_waitcnt lgkmcnt(0)
	v_fmac_f32_e32 v21, v23, v24
.LBB6_541:
	s_or_b64 exec, exec, s[94:95]
.LBB6_542:
	s_or_b64 exec, exec, s[90:91]
	v_mov_b32_e32 v23, 0x4000
	v_cmp_eq_u32_e64 s[20:21], 31, v19
	s_xor_b64 s[90:91], s[16:17], -1
	v_lshl_add_u32 v22, v22, 2, v23
	s_and_b64 s[20:21], s[20:21], s[90:91]
	s_and_saveexec_b64 s[16:17], s[20:21]
	s_cbranch_execz .LBB6_544
; %bb.543:
	v_mov_b32_e32 v23, 0
	ds_read_b32 v23, v23 offset:8060
	s_waitcnt lgkmcnt(0)
	v_mul_f32_e32 v21, v21, v23
	v_xor_b32_e32 v23, 0x80000000, v21
	ds_write_b32 v22, v23
.LBB6_544:
	s_or_b64 exec, exec, s[16:17]
	v_cmp_ne_u32_e64 s[16:17], 31, v19
	s_and_b64 s[20:21], s[16:17], s[90:91]
	s_waitcnt lgkmcnt(0)
	s_barrier
	s_and_saveexec_b64 s[16:17], s[20:21]
	s_cbranch_execz .LBB6_546
; %bb.545:
	v_lshlrev_b32_e32 v23, 2, v19
	ds_read_b32 v23, v23 offset:7936
	ds_read_b32 v24, v22
	s_waitcnt lgkmcnt(0)
	v_fma_f32 v21, -v23, v24, v21
.LBB6_546:
	s_or_b64 exec, exec, s[16:17]
	v_cmp_eq_u32_e64 s[16:17], 30, v19
	s_and_b64 s[20:21], s[16:17], s[90:91]
	s_barrier
	s_and_saveexec_b64 s[16:17], s[20:21]
	s_cbranch_execz .LBB6_548
; %bb.547:
	v_mov_b32_e32 v23, 0
	ds_read_b32 v23, v23 offset:7800
	s_waitcnt lgkmcnt(0)
	v_mul_f32_e32 v21, v21, v23
	v_xor_b32_e32 v23, 0x80000000, v21
	ds_write_b32 v22, v23
.LBB6_548:
	s_or_b64 exec, exec, s[16:17]
	v_cmp_gt_u32_e64 s[16:17], 30, v19
	s_and_b64 s[20:21], s[16:17], s[90:91]
	s_waitcnt lgkmcnt(0)
	s_barrier
	s_and_saveexec_b64 s[16:17], s[20:21]
	s_cbranch_execz .LBB6_550
; %bb.549:
	v_lshlrev_b32_e32 v23, 2, v19
	ds_read_b32 v23, v23 offset:7680
	ds_read_b32 v24, v22
	s_waitcnt lgkmcnt(0)
	v_fma_f32 v21, -v23, v24, v21
.LBB6_550:
	s_or_b64 exec, exec, s[16:17]
	v_cmp_eq_u32_e64 s[16:17], 29, v19
	s_and_b64 s[20:21], s[16:17], s[90:91]
	s_barrier
	s_and_saveexec_b64 s[16:17], s[20:21]
	s_cbranch_execz .LBB6_552
; %bb.551:
	v_mov_b32_e32 v23, 0
	ds_read_b32 v23, v23 offset:7540
	s_waitcnt lgkmcnt(0)
	v_mul_f32_e32 v21, v21, v23
	v_xor_b32_e32 v23, 0x80000000, v21
	ds_write_b32 v22, v23
.LBB6_552:
	s_or_b64 exec, exec, s[16:17]
	v_cmp_gt_u32_e64 s[16:17], 29, v19
	s_and_b64 s[20:21], s[16:17], s[90:91]
	s_waitcnt lgkmcnt(0)
	s_barrier
	s_and_saveexec_b64 s[16:17], s[20:21]
	s_cbranch_execz .LBB6_554
; %bb.553:
	v_lshlrev_b32_e32 v23, 2, v19
	ds_read_b32 v23, v23 offset:7424
	ds_read_b32 v24, v22
	s_waitcnt lgkmcnt(0)
	v_fma_f32 v21, -v23, v24, v21
.LBB6_554:
	s_or_b64 exec, exec, s[16:17]
	v_cmp_eq_u32_e64 s[16:17], 28, v19
	s_and_b64 s[20:21], s[16:17], s[90:91]
	s_barrier
	s_and_saveexec_b64 s[16:17], s[20:21]
	s_cbranch_execz .LBB6_556
; %bb.555:
	v_mov_b32_e32 v23, 0
	ds_read_b32 v23, v23 offset:7280
	s_waitcnt lgkmcnt(0)
	v_mul_f32_e32 v21, v21, v23
	v_xor_b32_e32 v23, 0x80000000, v21
	ds_write_b32 v22, v23
.LBB6_556:
	s_or_b64 exec, exec, s[16:17]
	v_cmp_gt_u32_e64 s[16:17], 28, v19
	s_and_b64 s[20:21], s[16:17], s[90:91]
	s_waitcnt lgkmcnt(0)
	s_barrier
	s_and_saveexec_b64 s[16:17], s[20:21]
	s_cbranch_execz .LBB6_558
; %bb.557:
	v_lshlrev_b32_e32 v23, 2, v19
	ds_read_b32 v23, v23 offset:7168
	ds_read_b32 v24, v22
	s_waitcnt lgkmcnt(0)
	v_fma_f32 v21, -v23, v24, v21
.LBB6_558:
	s_or_b64 exec, exec, s[16:17]
	v_cmp_eq_u32_e64 s[16:17], 27, v19
	s_and_b64 s[20:21], s[16:17], s[90:91]
	s_barrier
	s_and_saveexec_b64 s[16:17], s[20:21]
	s_cbranch_execz .LBB6_560
; %bb.559:
	v_mov_b32_e32 v23, 0
	ds_read_b32 v23, v23 offset:7020
	s_waitcnt lgkmcnt(0)
	v_mul_f32_e32 v21, v21, v23
	v_xor_b32_e32 v23, 0x80000000, v21
	ds_write_b32 v22, v23
.LBB6_560:
	s_or_b64 exec, exec, s[16:17]
	v_cmp_gt_u32_e64 s[16:17], 27, v19
	s_and_b64 s[20:21], s[16:17], s[90:91]
	s_waitcnt lgkmcnt(0)
	s_barrier
	s_and_saveexec_b64 s[16:17], s[20:21]
	s_cbranch_execz .LBB6_562
; %bb.561:
	v_lshlrev_b32_e32 v23, 2, v19
	ds_read_b32 v23, v23 offset:6912
	ds_read_b32 v24, v22
	s_waitcnt lgkmcnt(0)
	v_fma_f32 v21, -v23, v24, v21
.LBB6_562:
	s_or_b64 exec, exec, s[16:17]
	v_cmp_eq_u32_e64 s[16:17], 26, v19
	s_and_b64 s[20:21], s[16:17], s[90:91]
	s_barrier
	s_and_saveexec_b64 s[16:17], s[20:21]
	s_cbranch_execz .LBB6_564
; %bb.563:
	v_mov_b32_e32 v23, 0
	ds_read_b32 v23, v23 offset:6760
	s_waitcnt lgkmcnt(0)
	v_mul_f32_e32 v21, v21, v23
	v_xor_b32_e32 v23, 0x80000000, v21
	ds_write_b32 v22, v23
.LBB6_564:
	s_or_b64 exec, exec, s[16:17]
	v_cmp_gt_u32_e64 s[16:17], 26, v19
	s_and_b64 s[20:21], s[16:17], s[90:91]
	s_waitcnt lgkmcnt(0)
	s_barrier
	s_and_saveexec_b64 s[16:17], s[20:21]
	s_cbranch_execz .LBB6_566
; %bb.565:
	v_lshlrev_b32_e32 v23, 2, v19
	ds_read_b32 v23, v23 offset:6656
	ds_read_b32 v24, v22
	s_waitcnt lgkmcnt(0)
	v_fma_f32 v21, -v23, v24, v21
.LBB6_566:
	s_or_b64 exec, exec, s[16:17]
	v_cmp_eq_u32_e64 s[16:17], 25, v19
	s_and_b64 s[20:21], s[16:17], s[90:91]
	s_barrier
	s_and_saveexec_b64 s[16:17], s[20:21]
	s_cbranch_execz .LBB6_568
; %bb.567:
	v_mov_b32_e32 v23, 0
	ds_read_b32 v23, v23 offset:6500
	s_waitcnt lgkmcnt(0)
	v_mul_f32_e32 v21, v21, v23
	v_xor_b32_e32 v23, 0x80000000, v21
	ds_write_b32 v22, v23
.LBB6_568:
	s_or_b64 exec, exec, s[16:17]
	v_cmp_gt_u32_e64 s[16:17], 25, v19
	s_and_b64 s[20:21], s[16:17], s[90:91]
	s_waitcnt lgkmcnt(0)
	s_barrier
	s_and_saveexec_b64 s[16:17], s[20:21]
	s_cbranch_execz .LBB6_570
; %bb.569:
	v_lshlrev_b32_e32 v23, 2, v19
	ds_read_b32 v23, v23 offset:6400
	ds_read_b32 v24, v22
	s_waitcnt lgkmcnt(0)
	v_fma_f32 v21, -v23, v24, v21
.LBB6_570:
	s_or_b64 exec, exec, s[16:17]
	v_cmp_eq_u32_e64 s[16:17], 24, v19
	s_and_b64 s[20:21], s[16:17], s[90:91]
	s_barrier
	s_and_saveexec_b64 s[16:17], s[20:21]
	s_cbranch_execz .LBB6_572
; %bb.571:
	v_mov_b32_e32 v23, 0
	ds_read_b32 v23, v23 offset:6240
	s_waitcnt lgkmcnt(0)
	v_mul_f32_e32 v21, v21, v23
	v_xor_b32_e32 v23, 0x80000000, v21
	ds_write_b32 v22, v23
.LBB6_572:
	s_or_b64 exec, exec, s[16:17]
	v_cmp_gt_u32_e64 s[16:17], 24, v19
	s_and_b64 s[20:21], s[16:17], s[90:91]
	s_waitcnt lgkmcnt(0)
	s_barrier
	s_and_saveexec_b64 s[16:17], s[20:21]
	s_cbranch_execz .LBB6_574
; %bb.573:
	v_lshlrev_b32_e32 v23, 2, v19
	ds_read_b32 v23, v23 offset:6144
	ds_read_b32 v24, v22
	s_waitcnt lgkmcnt(0)
	v_fma_f32 v21, -v23, v24, v21
.LBB6_574:
	s_or_b64 exec, exec, s[16:17]
	v_cmp_eq_u32_e64 s[16:17], 23, v19
	s_and_b64 s[20:21], s[16:17], s[90:91]
	s_barrier
	s_and_saveexec_b64 s[16:17], s[20:21]
	s_cbranch_execz .LBB6_576
; %bb.575:
	v_mov_b32_e32 v23, 0
	ds_read_b32 v23, v23 offset:5980
	s_waitcnt lgkmcnt(0)
	v_mul_f32_e32 v21, v21, v23
	v_xor_b32_e32 v23, 0x80000000, v21
	ds_write_b32 v22, v23
.LBB6_576:
	s_or_b64 exec, exec, s[16:17]
	v_cmp_gt_u32_e64 s[16:17], 23, v19
	s_and_b64 s[20:21], s[16:17], s[90:91]
	s_waitcnt lgkmcnt(0)
	s_barrier
	s_and_saveexec_b64 s[16:17], s[20:21]
	s_cbranch_execz .LBB6_578
; %bb.577:
	v_lshlrev_b32_e32 v23, 2, v19
	ds_read_b32 v23, v23 offset:5888
	ds_read_b32 v24, v22
	s_waitcnt lgkmcnt(0)
	v_fma_f32 v21, -v23, v24, v21
.LBB6_578:
	s_or_b64 exec, exec, s[16:17]
	v_cmp_eq_u32_e64 s[16:17], 22, v19
	s_and_b64 s[20:21], s[16:17], s[90:91]
	s_barrier
	s_and_saveexec_b64 s[16:17], s[20:21]
	s_cbranch_execz .LBB6_580
; %bb.579:
	v_mov_b32_e32 v23, 0
	ds_read_b32 v23, v23 offset:5720
	s_waitcnt lgkmcnt(0)
	v_mul_f32_e32 v21, v21, v23
	v_xor_b32_e32 v23, 0x80000000, v21
	ds_write_b32 v22, v23
.LBB6_580:
	s_or_b64 exec, exec, s[16:17]
	v_cmp_gt_u32_e64 s[16:17], 22, v19
	s_and_b64 s[20:21], s[16:17], s[90:91]
	s_waitcnt lgkmcnt(0)
	s_barrier
	s_and_saveexec_b64 s[16:17], s[20:21]
	s_cbranch_execz .LBB6_582
; %bb.581:
	v_lshlrev_b32_e32 v23, 2, v19
	ds_read_b32 v23, v23 offset:5632
	ds_read_b32 v24, v22
	s_waitcnt lgkmcnt(0)
	v_fma_f32 v21, -v23, v24, v21
.LBB6_582:
	s_or_b64 exec, exec, s[16:17]
	v_cmp_eq_u32_e64 s[16:17], 21, v19
	s_and_b64 s[20:21], s[16:17], s[90:91]
	s_barrier
	s_and_saveexec_b64 s[16:17], s[20:21]
	s_cbranch_execz .LBB6_584
; %bb.583:
	v_mov_b32_e32 v23, 0
	ds_read_b32 v23, v23 offset:5460
	s_waitcnt lgkmcnt(0)
	v_mul_f32_e32 v21, v21, v23
	v_xor_b32_e32 v23, 0x80000000, v21
	ds_write_b32 v22, v23
.LBB6_584:
	s_or_b64 exec, exec, s[16:17]
	v_cmp_gt_u32_e64 s[16:17], 21, v19
	s_and_b64 s[20:21], s[16:17], s[90:91]
	s_waitcnt lgkmcnt(0)
	s_barrier
	s_and_saveexec_b64 s[16:17], s[20:21]
	s_cbranch_execz .LBB6_586
; %bb.585:
	v_lshlrev_b32_e32 v23, 2, v19
	ds_read_b32 v23, v23 offset:5376
	ds_read_b32 v24, v22
	s_waitcnt lgkmcnt(0)
	v_fma_f32 v21, -v23, v24, v21
.LBB6_586:
	s_or_b64 exec, exec, s[16:17]
	v_cmp_eq_u32_e64 s[16:17], 20, v19
	s_and_b64 s[20:21], s[16:17], s[90:91]
	s_barrier
	s_and_saveexec_b64 s[16:17], s[20:21]
	s_cbranch_execz .LBB6_588
; %bb.587:
	v_mov_b32_e32 v23, 0
	ds_read_b32 v23, v23 offset:5200
	s_waitcnt lgkmcnt(0)
	v_mul_f32_e32 v21, v21, v23
	v_xor_b32_e32 v23, 0x80000000, v21
	ds_write_b32 v22, v23
.LBB6_588:
	s_or_b64 exec, exec, s[16:17]
	v_cmp_gt_u32_e64 s[16:17], 20, v19
	s_and_b64 s[20:21], s[16:17], s[90:91]
	s_waitcnt lgkmcnt(0)
	s_barrier
	s_and_saveexec_b64 s[16:17], s[20:21]
	s_cbranch_execz .LBB6_590
; %bb.589:
	v_lshlrev_b32_e32 v23, 2, v19
	ds_read_b32 v23, v23 offset:5120
	ds_read_b32 v24, v22
	s_waitcnt lgkmcnt(0)
	v_fma_f32 v21, -v23, v24, v21
.LBB6_590:
	s_or_b64 exec, exec, s[16:17]
	v_cmp_eq_u32_e64 s[16:17], 19, v19
	s_and_b64 s[20:21], s[16:17], s[90:91]
	s_barrier
	s_and_saveexec_b64 s[16:17], s[20:21]
	s_cbranch_execz .LBB6_592
; %bb.591:
	v_mov_b32_e32 v23, 0
	ds_read_b32 v23, v23 offset:4940
	s_waitcnt lgkmcnt(0)
	v_mul_f32_e32 v21, v21, v23
	v_xor_b32_e32 v23, 0x80000000, v21
	ds_write_b32 v22, v23
.LBB6_592:
	s_or_b64 exec, exec, s[16:17]
	v_cmp_gt_u32_e64 s[16:17], 19, v19
	s_and_b64 s[20:21], s[16:17], s[90:91]
	s_waitcnt lgkmcnt(0)
	s_barrier
	s_and_saveexec_b64 s[16:17], s[20:21]
	s_cbranch_execz .LBB6_594
; %bb.593:
	v_lshlrev_b32_e32 v23, 2, v19
	ds_read_b32 v23, v23 offset:4864
	ds_read_b32 v24, v22
	s_waitcnt lgkmcnt(0)
	v_fma_f32 v21, -v23, v24, v21
.LBB6_594:
	s_or_b64 exec, exec, s[16:17]
	v_cmp_eq_u32_e64 s[16:17], 18, v19
	s_and_b64 s[20:21], s[16:17], s[90:91]
	s_barrier
	s_and_saveexec_b64 s[16:17], s[20:21]
	s_cbranch_execz .LBB6_596
; %bb.595:
	v_mov_b32_e32 v23, 0
	ds_read_b32 v23, v23 offset:4680
	s_waitcnt lgkmcnt(0)
	v_mul_f32_e32 v21, v21, v23
	v_xor_b32_e32 v23, 0x80000000, v21
	ds_write_b32 v22, v23
.LBB6_596:
	s_or_b64 exec, exec, s[16:17]
	v_cmp_gt_u32_e64 s[16:17], 18, v19
	s_and_b64 s[20:21], s[16:17], s[90:91]
	s_waitcnt lgkmcnt(0)
	s_barrier
	s_and_saveexec_b64 s[16:17], s[20:21]
	s_cbranch_execz .LBB6_598
; %bb.597:
	v_lshlrev_b32_e32 v23, 2, v19
	ds_read_b32 v23, v23 offset:4608
	ds_read_b32 v24, v22
	s_waitcnt lgkmcnt(0)
	v_fma_f32 v21, -v23, v24, v21
.LBB6_598:
	s_or_b64 exec, exec, s[16:17]
	v_cmp_eq_u32_e64 s[16:17], 17, v19
	s_and_b64 s[20:21], s[16:17], s[90:91]
	s_barrier
	s_and_saveexec_b64 s[16:17], s[20:21]
	s_cbranch_execz .LBB6_600
; %bb.599:
	v_mov_b32_e32 v23, 0
	ds_read_b32 v23, v23 offset:4420
	s_waitcnt lgkmcnt(0)
	v_mul_f32_e32 v21, v21, v23
	v_xor_b32_e32 v23, 0x80000000, v21
	ds_write_b32 v22, v23
.LBB6_600:
	s_or_b64 exec, exec, s[16:17]
	v_cmp_gt_u32_e64 s[16:17], 17, v19
	s_and_b64 s[20:21], s[16:17], s[90:91]
	s_waitcnt lgkmcnt(0)
	s_barrier
	s_and_saveexec_b64 s[16:17], s[20:21]
	s_cbranch_execz .LBB6_602
; %bb.601:
	v_lshlrev_b32_e32 v23, 2, v19
	ds_read_b32 v23, v23 offset:4352
	ds_read_b32 v24, v22
	s_waitcnt lgkmcnt(0)
	v_fma_f32 v21, -v23, v24, v21
.LBB6_602:
	s_or_b64 exec, exec, s[16:17]
	v_cmp_eq_u32_e64 s[16:17], 16, v19
	s_and_b64 s[20:21], s[16:17], s[90:91]
	s_barrier
	s_and_saveexec_b64 s[16:17], s[20:21]
	s_cbranch_execz .LBB6_604
; %bb.603:
	v_mov_b32_e32 v23, 0
	ds_read_b32 v23, v23 offset:4160
	s_waitcnt lgkmcnt(0)
	v_mul_f32_e32 v21, v21, v23
	v_xor_b32_e32 v23, 0x80000000, v21
	ds_write_b32 v22, v23
.LBB6_604:
	s_or_b64 exec, exec, s[16:17]
	v_cmp_gt_u32_e64 s[16:17], 16, v19
	s_and_b64 s[20:21], s[16:17], s[90:91]
	s_waitcnt lgkmcnt(0)
	s_barrier
	s_and_saveexec_b64 s[16:17], s[20:21]
	s_cbranch_execz .LBB6_606
; %bb.605:
	v_lshlrev_b32_e32 v23, 2, v19
	ds_read_b32 v23, v23 offset:4096
	ds_read_b32 v24, v22
	s_waitcnt lgkmcnt(0)
	v_fma_f32 v21, -v23, v24, v21
.LBB6_606:
	s_or_b64 exec, exec, s[16:17]
	v_cmp_eq_u32_e64 s[16:17], 15, v19
	s_and_b64 s[20:21], s[16:17], s[90:91]
	s_barrier
	s_and_saveexec_b64 s[16:17], s[20:21]
	s_cbranch_execz .LBB6_608
; %bb.607:
	v_mov_b32_e32 v23, 0
	ds_read_b32 v23, v23 offset:3900
	s_waitcnt lgkmcnt(0)
	v_mul_f32_e32 v21, v21, v23
	v_xor_b32_e32 v23, 0x80000000, v21
	ds_write_b32 v22, v23
.LBB6_608:
	s_or_b64 exec, exec, s[16:17]
	v_cmp_gt_u32_e64 s[16:17], 15, v19
	s_and_b64 s[20:21], s[16:17], s[90:91]
	s_waitcnt lgkmcnt(0)
	s_barrier
	s_and_saveexec_b64 s[16:17], s[20:21]
	s_cbranch_execz .LBB6_610
; %bb.609:
	v_lshlrev_b32_e32 v23, 2, v19
	ds_read_b32 v23, v23 offset:3840
	ds_read_b32 v24, v22
	s_waitcnt lgkmcnt(0)
	v_fma_f32 v21, -v23, v24, v21
.LBB6_610:
	s_or_b64 exec, exec, s[16:17]
	v_cmp_eq_u32_e64 s[16:17], 14, v19
	s_and_b64 s[20:21], s[16:17], s[90:91]
	s_barrier
	s_and_saveexec_b64 s[16:17], s[20:21]
	s_cbranch_execz .LBB6_612
; %bb.611:
	v_mov_b32_e32 v23, 0
	ds_read_b32 v23, v23 offset:3640
	s_waitcnt lgkmcnt(0)
	v_mul_f32_e32 v21, v21, v23
	v_xor_b32_e32 v23, 0x80000000, v21
	ds_write_b32 v22, v23
.LBB6_612:
	s_or_b64 exec, exec, s[16:17]
	v_cmp_gt_u32_e64 s[16:17], 14, v19
	s_and_b64 s[20:21], s[16:17], s[90:91]
	s_waitcnt lgkmcnt(0)
	s_barrier
	s_and_saveexec_b64 s[16:17], s[20:21]
	s_cbranch_execz .LBB6_614
; %bb.613:
	v_lshlrev_b32_e32 v23, 2, v19
	ds_read_b32 v23, v23 offset:3584
	ds_read_b32 v24, v22
	s_waitcnt lgkmcnt(0)
	v_fma_f32 v21, -v23, v24, v21
.LBB6_614:
	s_or_b64 exec, exec, s[16:17]
	v_cmp_eq_u32_e64 s[16:17], 13, v19
	s_and_b64 s[20:21], s[16:17], s[90:91]
	s_barrier
	s_and_saveexec_b64 s[16:17], s[20:21]
	s_cbranch_execz .LBB6_616
; %bb.615:
	v_mov_b32_e32 v23, 0
	ds_read_b32 v23, v23 offset:3380
	s_waitcnt lgkmcnt(0)
	v_mul_f32_e32 v21, v21, v23
	v_xor_b32_e32 v23, 0x80000000, v21
	ds_write_b32 v22, v23
.LBB6_616:
	s_or_b64 exec, exec, s[16:17]
	v_cmp_gt_u32_e64 s[16:17], 13, v19
	s_and_b64 s[20:21], s[16:17], s[90:91]
	s_waitcnt lgkmcnt(0)
	s_barrier
	s_and_saveexec_b64 s[16:17], s[20:21]
	s_cbranch_execz .LBB6_618
; %bb.617:
	v_lshlrev_b32_e32 v23, 2, v19
	ds_read_b32 v23, v23 offset:3328
	ds_read_b32 v24, v22
	s_waitcnt lgkmcnt(0)
	v_fma_f32 v21, -v23, v24, v21
.LBB6_618:
	s_or_b64 exec, exec, s[16:17]
	v_cmp_eq_u32_e64 s[16:17], 12, v19
	s_and_b64 s[20:21], s[16:17], s[90:91]
	s_barrier
	s_and_saveexec_b64 s[16:17], s[20:21]
	s_cbranch_execz .LBB6_620
; %bb.619:
	v_mov_b32_e32 v23, 0
	ds_read_b32 v23, v23 offset:3120
	s_waitcnt lgkmcnt(0)
	v_mul_f32_e32 v21, v21, v23
	v_xor_b32_e32 v23, 0x80000000, v21
	ds_write_b32 v22, v23
.LBB6_620:
	s_or_b64 exec, exec, s[16:17]
	v_cmp_gt_u32_e64 s[16:17], 12, v19
	s_and_b64 s[20:21], s[16:17], s[90:91]
	s_waitcnt lgkmcnt(0)
	s_barrier
	s_and_saveexec_b64 s[16:17], s[20:21]
	s_cbranch_execz .LBB6_622
; %bb.621:
	v_lshlrev_b32_e32 v23, 2, v19
	ds_read_b32 v23, v23 offset:3072
	ds_read_b32 v24, v22
	s_waitcnt lgkmcnt(0)
	v_fma_f32 v21, -v23, v24, v21
.LBB6_622:
	s_or_b64 exec, exec, s[16:17]
	v_cmp_eq_u32_e64 s[16:17], 11, v19
	s_and_b64 s[20:21], s[16:17], s[90:91]
	s_barrier
	s_and_saveexec_b64 s[16:17], s[20:21]
	s_cbranch_execz .LBB6_624
; %bb.623:
	v_mov_b32_e32 v23, 0
	ds_read_b32 v23, v23 offset:2860
	s_waitcnt lgkmcnt(0)
	v_mul_f32_e32 v21, v21, v23
	v_xor_b32_e32 v23, 0x80000000, v21
	ds_write_b32 v22, v23
.LBB6_624:
	s_or_b64 exec, exec, s[16:17]
	v_cmp_gt_u32_e64 s[16:17], 11, v19
	s_and_b64 s[20:21], s[16:17], s[90:91]
	s_waitcnt lgkmcnt(0)
	s_barrier
	s_and_saveexec_b64 s[16:17], s[20:21]
	s_cbranch_execz .LBB6_626
; %bb.625:
	v_lshlrev_b32_e32 v23, 2, v19
	ds_read_b32 v23, v23 offset:2816
	ds_read_b32 v24, v22
	s_waitcnt lgkmcnt(0)
	v_fma_f32 v21, -v23, v24, v21
.LBB6_626:
	s_or_b64 exec, exec, s[16:17]
	v_cmp_eq_u32_e64 s[16:17], 10, v19
	s_and_b64 s[20:21], s[16:17], s[90:91]
	s_barrier
	s_and_saveexec_b64 s[16:17], s[20:21]
	s_cbranch_execz .LBB6_628
; %bb.627:
	v_mov_b32_e32 v23, 0
	ds_read_b32 v23, v23 offset:2600
	s_waitcnt lgkmcnt(0)
	v_mul_f32_e32 v21, v21, v23
	v_xor_b32_e32 v23, 0x80000000, v21
	ds_write_b32 v22, v23
.LBB6_628:
	s_or_b64 exec, exec, s[16:17]
	v_cmp_gt_u32_e64 s[16:17], 10, v19
	s_and_b64 s[20:21], s[16:17], s[90:91]
	s_waitcnt lgkmcnt(0)
	s_barrier
	s_and_saveexec_b64 s[16:17], s[20:21]
	s_cbranch_execz .LBB6_630
; %bb.629:
	v_lshlrev_b32_e32 v23, 2, v19
	ds_read_b32 v23, v23 offset:2560
	ds_read_b32 v24, v22
	s_waitcnt lgkmcnt(0)
	v_fma_f32 v21, -v23, v24, v21
.LBB6_630:
	s_or_b64 exec, exec, s[16:17]
	v_cmp_eq_u32_e64 s[16:17], 9, v19
	s_and_b64 s[20:21], s[16:17], s[90:91]
	s_barrier
	s_and_saveexec_b64 s[16:17], s[20:21]
	s_cbranch_execz .LBB6_632
; %bb.631:
	v_mov_b32_e32 v23, 0
	ds_read_b32 v23, v23 offset:2340
	s_waitcnt lgkmcnt(0)
	v_mul_f32_e32 v21, v21, v23
	v_xor_b32_e32 v23, 0x80000000, v21
	ds_write_b32 v22, v23
.LBB6_632:
	s_or_b64 exec, exec, s[16:17]
	v_cmp_gt_u32_e64 s[16:17], 9, v19
	s_and_b64 s[20:21], s[16:17], s[90:91]
	s_waitcnt lgkmcnt(0)
	s_barrier
	s_and_saveexec_b64 s[16:17], s[20:21]
	s_cbranch_execz .LBB6_634
; %bb.633:
	v_lshlrev_b32_e32 v23, 2, v19
	ds_read_b32 v23, v23 offset:2304
	ds_read_b32 v24, v22
	s_waitcnt lgkmcnt(0)
	v_fma_f32 v21, -v23, v24, v21
.LBB6_634:
	s_or_b64 exec, exec, s[16:17]
	v_cmp_eq_u32_e64 s[16:17], 8, v19
	s_and_b64 s[20:21], s[16:17], s[90:91]
	s_barrier
	s_and_saveexec_b64 s[16:17], s[20:21]
	s_cbranch_execz .LBB6_636
; %bb.635:
	v_mov_b32_e32 v23, 0
	ds_read_b32 v23, v23 offset:2080
	s_waitcnt lgkmcnt(0)
	v_mul_f32_e32 v21, v21, v23
	v_xor_b32_e32 v23, 0x80000000, v21
	ds_write_b32 v22, v23
.LBB6_636:
	s_or_b64 exec, exec, s[16:17]
	v_cmp_gt_u32_e64 s[16:17], 8, v19
	s_and_b64 s[20:21], s[16:17], s[90:91]
	s_waitcnt lgkmcnt(0)
	s_barrier
	s_and_saveexec_b64 s[16:17], s[20:21]
	s_cbranch_execz .LBB6_638
; %bb.637:
	v_lshlrev_b32_e32 v23, 2, v19
	ds_read_b32 v23, v23 offset:2048
	ds_read_b32 v24, v22
	s_waitcnt lgkmcnt(0)
	v_fma_f32 v21, -v23, v24, v21
.LBB6_638:
	s_or_b64 exec, exec, s[16:17]
	v_cmp_eq_u32_e64 s[16:17], 7, v19
	s_and_b64 s[20:21], s[16:17], s[90:91]
	s_barrier
	s_and_saveexec_b64 s[16:17], s[20:21]
	s_cbranch_execz .LBB6_640
; %bb.639:
	v_mov_b32_e32 v23, 0
	ds_read_b32 v23, v23 offset:1820
	s_waitcnt lgkmcnt(0)
	v_mul_f32_e32 v21, v21, v23
	v_xor_b32_e32 v23, 0x80000000, v21
	ds_write_b32 v22, v23
.LBB6_640:
	s_or_b64 exec, exec, s[16:17]
	v_cmp_gt_u32_e64 s[16:17], 7, v19
	s_and_b64 s[20:21], s[16:17], s[90:91]
	s_waitcnt lgkmcnt(0)
	s_barrier
	s_and_saveexec_b64 s[16:17], s[20:21]
	s_cbranch_execz .LBB6_642
; %bb.641:
	v_lshlrev_b32_e32 v23, 2, v19
	ds_read_b32 v23, v23 offset:1792
	ds_read_b32 v24, v22
	s_waitcnt lgkmcnt(0)
	v_fma_f32 v21, -v23, v24, v21
.LBB6_642:
	s_or_b64 exec, exec, s[16:17]
	v_cmp_eq_u32_e64 s[16:17], 6, v19
	s_and_b64 s[20:21], s[16:17], s[90:91]
	s_barrier
	s_and_saveexec_b64 s[16:17], s[20:21]
	s_cbranch_execz .LBB6_644
; %bb.643:
	v_mov_b32_e32 v23, 0
	ds_read_b32 v23, v23 offset:1560
	s_waitcnt lgkmcnt(0)
	v_mul_f32_e32 v21, v21, v23
	v_xor_b32_e32 v23, 0x80000000, v21
	ds_write_b32 v22, v23
.LBB6_644:
	s_or_b64 exec, exec, s[16:17]
	v_cmp_gt_u32_e64 s[16:17], 6, v19
	s_and_b64 s[20:21], s[16:17], s[90:91]
	s_waitcnt lgkmcnt(0)
	s_barrier
	s_and_saveexec_b64 s[16:17], s[20:21]
	s_cbranch_execz .LBB6_646
; %bb.645:
	v_lshlrev_b32_e32 v23, 2, v19
	ds_read_b32 v23, v23 offset:1536
	ds_read_b32 v24, v22
	s_waitcnt lgkmcnt(0)
	v_fma_f32 v21, -v23, v24, v21
.LBB6_646:
	s_or_b64 exec, exec, s[16:17]
	v_cmp_eq_u32_e64 s[16:17], 5, v19
	s_and_b64 s[20:21], s[16:17], s[90:91]
	s_barrier
	s_and_saveexec_b64 s[16:17], s[20:21]
	s_cbranch_execz .LBB6_648
; %bb.647:
	v_mov_b32_e32 v23, 0
	ds_read_b32 v23, v23 offset:1300
	s_waitcnt lgkmcnt(0)
	v_mul_f32_e32 v21, v21, v23
	v_xor_b32_e32 v23, 0x80000000, v21
	ds_write_b32 v22, v23
.LBB6_648:
	s_or_b64 exec, exec, s[16:17]
	v_cmp_gt_u32_e64 s[16:17], 5, v19
	s_and_b64 s[20:21], s[16:17], s[90:91]
	s_waitcnt lgkmcnt(0)
	s_barrier
	s_and_saveexec_b64 s[16:17], s[20:21]
	s_cbranch_execz .LBB6_650
; %bb.649:
	v_lshlrev_b32_e32 v23, 2, v19
	ds_read_b32 v23, v23 offset:1280
	ds_read_b32 v24, v22
	s_waitcnt lgkmcnt(0)
	v_fma_f32 v21, -v23, v24, v21
.LBB6_650:
	s_or_b64 exec, exec, s[16:17]
	v_cmp_eq_u32_e64 s[16:17], 4, v19
	s_and_b64 s[20:21], s[16:17], s[90:91]
	s_barrier
	s_and_saveexec_b64 s[16:17], s[20:21]
	s_cbranch_execz .LBB6_652
; %bb.651:
	v_mov_b32_e32 v23, 0
	ds_read_b32 v23, v23 offset:1040
	s_waitcnt lgkmcnt(0)
	v_mul_f32_e32 v21, v21, v23
	v_xor_b32_e32 v23, 0x80000000, v21
	ds_write_b32 v22, v23
.LBB6_652:
	s_or_b64 exec, exec, s[16:17]
	v_cmp_gt_u32_e64 s[16:17], 4, v19
	s_and_b64 s[20:21], s[16:17], s[90:91]
	s_waitcnt lgkmcnt(0)
	s_barrier
	s_and_saveexec_b64 s[16:17], s[20:21]
	s_cbranch_execz .LBB6_654
; %bb.653:
	v_lshlrev_b32_e32 v23, 2, v19
	ds_read_b32 v23, v23 offset:1024
	ds_read_b32 v24, v22
	s_waitcnt lgkmcnt(0)
	v_fma_f32 v21, -v23, v24, v21
.LBB6_654:
	s_or_b64 exec, exec, s[16:17]
	v_cmp_eq_u32_e64 s[16:17], 3, v19
	s_and_b64 s[20:21], s[16:17], s[90:91]
	s_barrier
	s_and_saveexec_b64 s[16:17], s[20:21]
	s_cbranch_execz .LBB6_656
; %bb.655:
	v_mov_b32_e32 v23, 0
	ds_read_b32 v23, v23 offset:780
	s_waitcnt lgkmcnt(0)
	v_mul_f32_e32 v21, v21, v23
	v_xor_b32_e32 v23, 0x80000000, v21
	ds_write_b32 v22, v23
.LBB6_656:
	s_or_b64 exec, exec, s[16:17]
	v_cmp_gt_u32_e64 s[16:17], 3, v19
	s_and_b64 s[20:21], s[16:17], s[90:91]
	s_waitcnt lgkmcnt(0)
	s_barrier
	s_and_saveexec_b64 s[16:17], s[20:21]
	s_cbranch_execz .LBB6_658
; %bb.657:
	v_lshlrev_b32_e32 v23, 2, v19
	ds_read_b32 v23, v23 offset:768
	ds_read_b32 v24, v22
	s_waitcnt lgkmcnt(0)
	v_fma_f32 v21, -v23, v24, v21
.LBB6_658:
	s_or_b64 exec, exec, s[16:17]
	v_cmp_eq_u32_e64 s[16:17], 2, v19
	s_and_b64 s[20:21], s[16:17], s[90:91]
	s_barrier
	s_and_saveexec_b64 s[16:17], s[20:21]
	s_cbranch_execz .LBB6_660
; %bb.659:
	v_mov_b32_e32 v23, 0
	ds_read_b32 v23, v23 offset:520
	s_waitcnt lgkmcnt(0)
	v_mul_f32_e32 v21, v21, v23
	v_xor_b32_e32 v23, 0x80000000, v21
	ds_write_b32 v22, v23
.LBB6_660:
	s_or_b64 exec, exec, s[16:17]
	v_cmp_gt_u32_e64 s[16:17], 2, v19
	s_and_b64 s[20:21], s[16:17], s[90:91]
	s_waitcnt lgkmcnt(0)
	s_barrier
	s_and_saveexec_b64 s[16:17], s[20:21]
	s_cbranch_execz .LBB6_662
; %bb.661:
	v_lshlrev_b32_e32 v23, 2, v19
	ds_read_b32 v23, v23 offset:512
	ds_read_b32 v24, v22
	s_waitcnt lgkmcnt(0)
	v_fma_f32 v21, -v23, v24, v21
.LBB6_662:
	s_or_b64 exec, exec, s[16:17]
	v_cmp_eq_u32_e64 s[16:17], 1, v19
	s_and_b64 s[20:21], s[16:17], s[90:91]
	s_barrier
	s_and_saveexec_b64 s[16:17], s[20:21]
	s_cbranch_execz .LBB6_664
; %bb.663:
	v_mov_b32_e32 v23, 0
	ds_read_b32 v23, v23 offset:260
	s_waitcnt lgkmcnt(0)
	v_mul_f32_e32 v21, v21, v23
	v_xor_b32_e32 v23, 0x80000000, v21
	ds_write_b32 v22, v23
.LBB6_664:
	s_or_b64 exec, exec, s[16:17]
	v_cmp_eq_u32_e64 s[16:17], 0, v19
	s_and_b64 s[16:17], s[16:17], s[90:91]
	s_waitcnt lgkmcnt(0)
	s_barrier
	s_and_saveexec_b64 s[20:21], s[16:17]
	s_cbranch_execz .LBB6_666
; %bb.665:
	v_mov_b32_e32 v23, 0
	ds_read_b32 v23, v23 offset:256
	ds_read_b32 v24, v22
	s_waitcnt lgkmcnt(0)
	v_fma_f32 v21, -v23, v24, v21
.LBB6_666:
	s_or_b64 exec, exec, s[20:21]
	s_barrier
	s_and_saveexec_b64 s[20:21], s[16:17]
	s_cbranch_execz .LBB6_668
; %bb.667:
	v_mov_b32_e32 v23, 0
	ds_read_b32 v23, v23
	s_waitcnt lgkmcnt(0)
	v_mul_f32_e32 v21, v21, v23
	v_xor_b32_e32 v23, 0x80000000, v21
	ds_write_b32 v22, v23
.LBB6_668:
	s_or_b64 exec, exec, s[20:21]
	s_waitcnt lgkmcnt(0)
	s_barrier
	s_barrier
	s_and_saveexec_b64 s[16:17], s[14:15]
; %bb.669:
	v_lshlrev_b32_e32 v19, 2, v19
	v_lshl_or_b32 v19, v20, 8, v19
	ds_write_b32 v19, v21 offset:8192
; %bb.670:
	s_or_b64 exec, exec, s[16:17]
	v_cmp_gt_u32_e64 s[14:15], 32, v0
	s_and_b64 s[14:15], s[12:13], s[14:15]
	s_waitcnt lgkmcnt(0)
	s_barrier
	s_barrier
	s_and_saveexec_b64 s[12:13], s[14:15]
	s_cbranch_execz .LBB6_672
; %bb.671:
	v_lshlrev_b32_e32 v19, 8, v0
	ds_read_b32 v20, v19 offset:8192
	s_movk_i32 s14, 0xff04
	v_mad_i32_i24 v21, v0, s14, v19
	s_waitcnt lgkmcnt(0)
	ds_write_b32 v21, v20 offset:128
	ds_read_b32 v20, v19 offset:8196
	s_waitcnt lgkmcnt(0)
	ds_write_b32 v21, v20 offset:384
	ds_read_b32 v20, v19 offset:8200
	;; [unrolled: 3-line block ×31, first 2 shown]
	s_waitcnt lgkmcnt(0)
	ds_write_b32 v21, v19 offset:8064
.LBB6_672:
	s_or_b64 exec, exec, s[12:13]
	s_waitcnt lgkmcnt(0)
	s_barrier
	s_and_saveexec_b64 s[12:13], vcc
	s_cbranch_execz .LBB6_674
; %bb.673:
	v_mov_b32_e32 v21, 0
	ds_read_b64 v[19:20], v21 offset:8056
	ds_read_b32 v21, v21 offset:7800
	s_movk_i32 s14, 0x1c00
	s_waitcnt lgkmcnt(0)
	v_mul_f32_e32 v20, v21, v20
	v_mul_f32_e32 v19, v19, v20
	v_add_u32_e64 v20, s14, 0
	ds_write2_b32 v20, v19, v19 offset0:159 offset1:222
.LBB6_674:
	s_or_b64 exec, exec, s[12:13]
	v_mov_b32_e32 v19, 0
	s_waitcnt lgkmcnt(0)
	s_barrier
	buffer_wbinvl1_vol
	s_and_saveexec_b64 s[14:15], s[2:3]
	s_cbranch_execz .LBB6_678
; %bb.675:
	v_lshlrev_b32_e32 v19, 8, v3
	v_lshlrev_b32_e32 v20, 2, v1
	ds_read_b32 v21, v20 offset:7792
	ds_read_b32 v19, v19 offset:7800
	v_mov_b32_e32 v20, 0
	v_cmp_gt_u32_e64 s[12:13], 2, v5
	s_waitcnt lgkmcnt(0)
	v_fma_f32 v19, v21, v19, 0
	s_and_saveexec_b64 s[16:17], s[12:13]
	s_cbranch_execz .LBB6_677
; %bb.676:
	v_lshlrev_b32_e32 v21, 2, v0
	ds_read_b32 v21, v21 offset:8048
	ds_read_b32 v20, v20 offset:8060
	s_waitcnt lgkmcnt(0)
	v_fmac_f32_e32 v19, v21, v20
.LBB6_677:
	s_or_b64 exec, exec, s[16:17]
.LBB6_678:
	s_or_b64 exec, exec, s[14:15]
	s_and_saveexec_b64 s[12:13], s[28:29]
	s_cbranch_execz .LBB6_680
; %bb.679:
	v_mov_b32_e32 v20, 0
	ds_read_b32 v20, v20 offset:7540
	s_waitcnt lgkmcnt(0)
	v_mul_f32_e32 v19, v19, v20
	v_xor_b32_e32 v20, 0x80000000, v19
	ds_write_b32 v4, v20
.LBB6_680:
	s_or_b64 exec, exec, s[12:13]
	s_waitcnt lgkmcnt(0)
	s_barrier
	s_and_saveexec_b64 s[12:13], s[26:27]
	s_cbranch_execz .LBB6_682
; %bb.681:
	v_mov_b32_e32 v20, 0
	ds_read_b32 v20, v20 offset:7536
	ds_read_b32 v21, v4
	s_waitcnt lgkmcnt(0)
	v_fma_f32 v19, -v20, v21, v19
.LBB6_682:
	s_or_b64 exec, exec, s[12:13]
	s_barrier
	s_and_saveexec_b64 s[12:13], s[26:27]
	s_cbranch_execz .LBB6_684
; %bb.683:
	v_mov_b32_e32 v20, 0
	ds_read_b32 v20, v20 offset:7280
	s_waitcnt lgkmcnt(0)
	v_mul_f32_e32 v19, v19, v20
	v_xor_b32_e32 v20, 0x80000000, v19
	ds_write_b32 v4, v20
.LBB6_684:
	s_or_b64 exec, exec, s[12:13]
	s_waitcnt lgkmcnt(0)
	s_barrier
	s_barrier
	s_and_saveexec_b64 s[12:13], s[2:3]
; %bb.685:
	v_lshlrev_b32_e32 v20, 2, v1
	v_lshl_or_b32 v20, v3, 8, v20
	ds_write_b32 v20, v19 offset:7792
; %bb.686:
	s_or_b64 exec, exec, s[12:13]
	s_waitcnt lgkmcnt(0)
	s_barrier
	s_barrier
	s_and_saveexec_b64 s[12:13], s[30:31]
	s_cbranch_execz .LBB6_688
; %bb.687:
	v_lshlrev_b32_e32 v19, 2, v0
	s_movk_i32 s14, 0xfc
	v_mad_u32_u24 v20, v0, s14, v19
	ds_read_b32 v21, v20 offset:7792
	s_waitcnt lgkmcnt(0)
	ds_write_b32 v19, v21 offset:7288
	ds_read_b32 v20, v20 offset:7796
	s_waitcnt lgkmcnt(0)
	ds_write_b32 v19, v20 offset:7544
.LBB6_688:
	s_or_b64 exec, exec, s[12:13]
	s_waitcnt lgkmcnt(0)
	s_barrier
	s_and_saveexec_b64 s[12:13], vcc
	s_cbranch_execz .LBB6_690
; %bb.689:
	v_mov_b32_e32 v21, 0
	ds_read_b64 v[19:20], v21 offset:7536
	ds_read_b32 v21, v21 offset:7280
	s_movk_i32 s14, 0x1c00
	s_waitcnt lgkmcnt(0)
	v_mul_f32_e32 v20, v21, v20
	v_mul_f32_e32 v19, v19, v20
	v_add_u32_e64 v20, s14, 0
	ds_write2_b32 v20, v19, v19 offset0:29 offset1:92
.LBB6_690:
	s_or_b64 exec, exec, s[12:13]
	v_mov_b32_e32 v19, 0
	s_waitcnt lgkmcnt(0)
	s_barrier
	buffer_wbinvl1_vol
	s_and_saveexec_b64 s[14:15], s[18:19]
	s_cbranch_execz .LBB6_696
; %bb.691:
	v_lshlrev_b32_e32 v21, 2, v6
	v_lshlrev_b32_e32 v20, 8, v11
	ds_read_b32 v19, v21 offset:7264
	ds_read_b32 v22, v20 offset:7280
	v_cmp_gt_u32_e64 s[12:13], 12, v5
	s_waitcnt lgkmcnt(0)
	v_fma_f32 v19, v19, v22, 0
	s_and_saveexec_b64 s[16:17], s[12:13]
	s_cbranch_execnz .LBB6_1232
; %bb.692:
	s_or_b64 exec, exec, s[16:17]
	v_cmp_gt_u32_e64 s[12:13], 8, v5
	s_and_saveexec_b64 s[16:17], s[12:13]
	s_cbranch_execnz .LBB6_1233
.LBB6_693:
	s_or_b64 exec, exec, s[16:17]
	v_cmp_gt_u32_e64 s[12:13], 4, v5
	s_and_saveexec_b64 s[16:17], s[12:13]
	s_cbranch_execz .LBB6_695
.LBB6_694:
	v_lshlrev_b32_e32 v20, 2, v0
	v_mov_b32_e32 v21, 0
	ds_read_b32 v20, v20 offset:8032
	ds_read_b32 v21, v21 offset:8060
	s_waitcnt lgkmcnt(0)
	v_fmac_f32_e32 v19, v20, v21
.LBB6_695:
	s_or_b64 exec, exec, s[16:17]
.LBB6_696:
	s_or_b64 exec, exec, s[14:15]
	s_and_saveexec_b64 s[12:13], s[36:37]
	s_cbranch_execz .LBB6_698
; %bb.697:
	v_mov_b32_e32 v20, 0
	ds_read_b32 v20, v20 offset:7020
	s_waitcnt lgkmcnt(0)
	v_mul_f32_e32 v19, v19, v20
	v_xor_b32_e32 v20, 0x80000000, v19
	ds_write_b32 v12, v20
.LBB6_698:
	s_or_b64 exec, exec, s[12:13]
	s_waitcnt lgkmcnt(0)
	s_barrier
	s_and_saveexec_b64 s[12:13], s[38:39]
	s_cbranch_execz .LBB6_700
; %bb.699:
	v_lshlrev_b32_e32 v20, 2, v6
	ds_read_b32 v20, v20 offset:7008
	ds_read_b32 v21, v12
	s_waitcnt lgkmcnt(0)
	v_fma_f32 v19, -v20, v21, v19
.LBB6_700:
	s_or_b64 exec, exec, s[12:13]
	s_barrier
	s_and_saveexec_b64 s[12:13], s[42:43]
	s_cbranch_execz .LBB6_702
; %bb.701:
	v_mov_b32_e32 v20, 0
	ds_read_b32 v20, v20 offset:6760
	s_waitcnt lgkmcnt(0)
	v_mul_f32_e32 v19, v19, v20
	v_xor_b32_e32 v20, 0x80000000, v19
	ds_write_b32 v12, v20
.LBB6_702:
	s_or_b64 exec, exec, s[12:13]
	s_waitcnt lgkmcnt(0)
	s_barrier
	s_and_saveexec_b64 s[12:13], s[44:45]
	s_cbranch_execz .LBB6_704
; %bb.703:
	v_lshlrev_b32_e32 v20, 2, v6
	ds_read_b32 v20, v20 offset:6752
	ds_read_b32 v21, v12
	s_waitcnt lgkmcnt(0)
	v_fma_f32 v19, -v20, v21, v19
.LBB6_704:
	s_or_b64 exec, exec, s[12:13]
	s_barrier
	s_and_saveexec_b64 s[12:13], s[52:53]
	s_cbranch_execz .LBB6_706
; %bb.705:
	v_mov_b32_e32 v20, 0
	ds_read_b32 v20, v20 offset:6500
	s_waitcnt lgkmcnt(0)
	v_mul_f32_e32 v19, v19, v20
	v_xor_b32_e32 v20, 0x80000000, v19
	ds_write_b32 v12, v20
.LBB6_706:
	s_or_b64 exec, exec, s[12:13]
	s_waitcnt lgkmcnt(0)
	s_barrier
	s_and_saveexec_b64 s[12:13], s[34:35]
	s_cbranch_execz .LBB6_708
; %bb.707:
	v_mov_b32_e32 v20, 0
	ds_read_b32 v20, v20 offset:6496
	ds_read_b32 v21, v12
	s_waitcnt lgkmcnt(0)
	v_fma_f32 v19, -v20, v21, v19
.LBB6_708:
	s_or_b64 exec, exec, s[12:13]
	s_barrier
	s_and_saveexec_b64 s[12:13], s[34:35]
	s_cbranch_execz .LBB6_710
; %bb.709:
	v_mov_b32_e32 v20, 0
	ds_read_b32 v20, v20 offset:6240
	s_waitcnt lgkmcnt(0)
	v_mul_f32_e32 v19, v19, v20
	v_xor_b32_e32 v20, 0x80000000, v19
	ds_write_b32 v12, v20
.LBB6_710:
	s_or_b64 exec, exec, s[12:13]
	s_waitcnt lgkmcnt(0)
	s_barrier
	s_barrier
	s_and_saveexec_b64 s[12:13], s[18:19]
; %bb.711:
	v_lshlrev_b32_e32 v20, 2, v6
	v_lshl_or_b32 v20, v11, 8, v20
	ds_write_b32 v20, v19 offset:7264
; %bb.712:
	s_or_b64 exec, exec, s[12:13]
	s_waitcnt lgkmcnt(0)
	s_barrier
	s_barrier
	s_and_saveexec_b64 s[12:13], s[54:55]
	s_cbranch_execz .LBB6_714
; %bb.713:
	v_lshlrev_b32_e32 v19, 8, v0
	ds_read_b32 v20, v19 offset:7264
	s_movk_i32 s14, 0xff04
	v_mad_i32_i24 v21, v0, s14, v19
	s_waitcnt lgkmcnt(0)
	ds_write_b32 v21, v20 offset:6256
	ds_read_b32 v20, v19 offset:7268
	s_waitcnt lgkmcnt(0)
	ds_write_b32 v21, v20 offset:6512
	ds_read_b32 v20, v19 offset:7272
	;; [unrolled: 3-line block ×3, first 2 shown]
	s_waitcnt lgkmcnt(0)
	ds_write_b32 v21, v19 offset:7024
.LBB6_714:
	s_or_b64 exec, exec, s[12:13]
	s_waitcnt lgkmcnt(0)
	s_barrier
	s_and_saveexec_b64 s[12:13], vcc
	s_cbranch_execz .LBB6_716
; %bb.715:
	v_mov_b32_e32 v21, 0
	ds_read_b64 v[19:20], v21 offset:7016
	ds_read_b32 v21, v21 offset:6760
	s_movk_i32 s14, 0x1800
	s_waitcnt lgkmcnt(0)
	v_mul_f32_e32 v20, v21, v20
	v_mul_f32_e32 v19, v19, v20
	v_add_u32_e64 v20, s14, 0
	ds_write2_b32 v20, v19, v19 offset0:155 offset1:218
.LBB6_716:
	s_or_b64 exec, exec, s[12:13]
	v_mov_b32_e32 v19, 0
	s_waitcnt lgkmcnt(0)
	s_barrier
	buffer_wbinvl1_vol
	s_and_saveexec_b64 s[14:15], s[2:3]
	s_cbranch_execz .LBB6_720
; %bb.717:
	v_lshlrev_b32_e32 v19, 8, v3
	v_lshlrev_b32_e32 v20, 2, v1
	ds_read_b32 v21, v20 offset:6752
	ds_read_b32 v19, v19 offset:6760
	v_mov_b32_e32 v20, 0
	v_cmp_gt_u32_e64 s[12:13], 2, v5
	s_waitcnt lgkmcnt(0)
	v_fma_f32 v19, v21, v19, 0
	s_and_saveexec_b64 s[16:17], s[12:13]
	s_cbranch_execz .LBB6_719
; %bb.718:
	v_lshlrev_b32_e32 v21, 2, v0
	ds_read_b32 v21, v21 offset:7008
	ds_read_b32 v20, v20 offset:7020
	s_waitcnt lgkmcnt(0)
	v_fmac_f32_e32 v19, v21, v20
.LBB6_719:
	s_or_b64 exec, exec, s[16:17]
.LBB6_720:
	s_or_b64 exec, exec, s[14:15]
	s_and_saveexec_b64 s[12:13], s[28:29]
	s_cbranch_execz .LBB6_722
; %bb.721:
	v_mov_b32_e32 v20, 0
	ds_read_b32 v20, v20 offset:6500
	s_waitcnt lgkmcnt(0)
	v_mul_f32_e32 v19, v19, v20
	v_xor_b32_e32 v20, 0x80000000, v19
	ds_write_b32 v4, v20
.LBB6_722:
	s_or_b64 exec, exec, s[12:13]
	s_waitcnt lgkmcnt(0)
	s_barrier
	s_and_saveexec_b64 s[12:13], s[26:27]
	s_cbranch_execz .LBB6_724
; %bb.723:
	v_mov_b32_e32 v20, 0
	ds_read_b32 v20, v20 offset:6496
	ds_read_b32 v21, v4
	s_waitcnt lgkmcnt(0)
	v_fma_f32 v19, -v20, v21, v19
.LBB6_724:
	s_or_b64 exec, exec, s[12:13]
	s_barrier
	s_and_saveexec_b64 s[12:13], s[26:27]
	s_cbranch_execz .LBB6_726
; %bb.725:
	v_mov_b32_e32 v20, 0
	ds_read_b32 v20, v20 offset:6240
	s_waitcnt lgkmcnt(0)
	v_mul_f32_e32 v19, v19, v20
	v_xor_b32_e32 v20, 0x80000000, v19
	ds_write_b32 v4, v20
.LBB6_726:
	s_or_b64 exec, exec, s[12:13]
	s_waitcnt lgkmcnt(0)
	s_barrier
	s_barrier
	s_and_saveexec_b64 s[12:13], s[2:3]
; %bb.727:
	v_lshlrev_b32_e32 v20, 2, v1
	v_lshl_or_b32 v20, v3, 8, v20
	ds_write_b32 v20, v19 offset:6752
; %bb.728:
	s_or_b64 exec, exec, s[12:13]
	s_waitcnt lgkmcnt(0)
	s_barrier
	s_barrier
	s_and_saveexec_b64 s[12:13], s[30:31]
	s_cbranch_execz .LBB6_730
; %bb.729:
	v_lshlrev_b32_e32 v19, 2, v0
	s_movk_i32 s14, 0xfc
	v_mad_u32_u24 v20, v0, s14, v19
	ds_read_b32 v21, v20 offset:6752
	s_waitcnt lgkmcnt(0)
	ds_write_b32 v19, v21 offset:6248
	ds_read_b32 v20, v20 offset:6756
	s_waitcnt lgkmcnt(0)
	ds_write_b32 v19, v20 offset:6504
.LBB6_730:
	s_or_b64 exec, exec, s[12:13]
	s_waitcnt lgkmcnt(0)
	s_barrier
	s_and_saveexec_b64 s[12:13], vcc
	s_cbranch_execz .LBB6_732
; %bb.731:
	v_mov_b32_e32 v21, 0
	ds_read_b64 v[19:20], v21 offset:6496
	ds_read_b32 v21, v21 offset:6240
	s_movk_i32 s14, 0x1800
	s_waitcnt lgkmcnt(0)
	v_mul_f32_e32 v20, v21, v20
	v_mul_f32_e32 v19, v19, v20
	v_add_u32_e64 v20, s14, 0
	ds_write2_b32 v20, v19, v19 offset0:25 offset1:88
.LBB6_732:
	s_or_b64 exec, exec, s[12:13]
	v_mov_b32_e32 v19, 0
	s_waitcnt lgkmcnt(0)
	s_barrier
	buffer_wbinvl1_vol
	s_and_saveexec_b64 s[14:15], s[8:9]
	s_cbranch_execz .LBB6_742
; %bb.733:
	v_lshlrev_b32_e32 v21, 2, v13
	v_lshlrev_b32_e32 v20, 8, v14
	ds_read_b32 v19, v21 offset:6208
	ds_read_b32 v22, v20 offset:6240
	v_cmp_gt_u32_e64 s[12:13], 56, v5
	s_waitcnt lgkmcnt(0)
	v_fma_f32 v19, v19, v22, 0
	s_and_saveexec_b64 s[16:17], s[12:13]
	s_cbranch_execnz .LBB6_1234
; %bb.734:
	s_or_b64 exec, exec, s[16:17]
	v_cmp_gt_u32_e64 s[12:13], 48, v5
	s_and_saveexec_b64 s[16:17], s[12:13]
	s_cbranch_execnz .LBB6_1235
.LBB6_735:
	s_or_b64 exec, exec, s[16:17]
	v_cmp_gt_u32_e64 s[12:13], 40, v5
	s_and_saveexec_b64 s[16:17], s[12:13]
	s_cbranch_execnz .LBB6_1236
.LBB6_736:
	s_or_b64 exec, exec, s[16:17]
	v_cmp_gt_u32_e64 s[12:13], 32, v5
	s_and_saveexec_b64 s[16:17], s[12:13]
	s_cbranch_execnz .LBB6_1237
.LBB6_737:
	s_or_b64 exec, exec, s[16:17]
	v_cmp_gt_u32_e64 s[12:13], 24, v5
	s_and_saveexec_b64 s[16:17], s[12:13]
	s_cbranch_execnz .LBB6_1238
.LBB6_738:
	s_or_b64 exec, exec, s[16:17]
	s_and_saveexec_b64 s[12:13], s[18:19]
	s_cbranch_execnz .LBB6_1239
.LBB6_739:
	s_or_b64 exec, exec, s[12:13]
	v_cmp_gt_u32_e64 s[12:13], 8, v5
	s_and_saveexec_b64 s[16:17], s[12:13]
	s_cbranch_execz .LBB6_741
.LBB6_740:
	v_lshlrev_b32_e32 v20, 2, v0
	v_mov_b32_e32 v21, 0
	ds_read_b32 v20, v20 offset:8000
	ds_read_b32 v21, v21 offset:8060
	s_waitcnt lgkmcnt(0)
	v_fmac_f32_e32 v19, v20, v21
.LBB6_741:
	s_or_b64 exec, exec, s[16:17]
.LBB6_742:
	s_or_b64 exec, exec, s[14:15]
	s_and_saveexec_b64 s[12:13], s[56:57]
	s_cbranch_execz .LBB6_744
; %bb.743:
	v_mov_b32_e32 v20, 0
	ds_read_b32 v20, v20 offset:5980
	s_waitcnt lgkmcnt(0)
	v_mul_f32_e32 v19, v19, v20
	v_xor_b32_e32 v20, 0x80000000, v19
	ds_write_b32 v15, v20
.LBB6_744:
	s_or_b64 exec, exec, s[12:13]
	s_waitcnt lgkmcnt(0)
	s_barrier
	s_and_saveexec_b64 s[12:13], s[58:59]
	s_cbranch_execz .LBB6_746
; %bb.745:
	v_lshlrev_b32_e32 v20, 2, v13
	ds_read_b32 v20, v20 offset:5952
	ds_read_b32 v21, v15
	s_waitcnt lgkmcnt(0)
	v_fma_f32 v19, -v20, v21, v19
.LBB6_746:
	s_or_b64 exec, exec, s[12:13]
	s_barrier
	s_and_saveexec_b64 s[12:13], s[60:61]
	s_cbranch_execz .LBB6_748
; %bb.747:
	v_mov_b32_e32 v20, 0
	ds_read_b32 v20, v20 offset:5720
	s_waitcnt lgkmcnt(0)
	v_mul_f32_e32 v19, v19, v20
	v_xor_b32_e32 v20, 0x80000000, v19
	ds_write_b32 v15, v20
.LBB6_748:
	s_or_b64 exec, exec, s[12:13]
	s_waitcnt lgkmcnt(0)
	s_barrier
	s_and_saveexec_b64 s[12:13], s[62:63]
	s_cbranch_execz .LBB6_750
; %bb.749:
	v_lshlrev_b32_e32 v20, 2, v13
	ds_read_b32 v20, v20 offset:5696
	ds_read_b32 v21, v15
	s_waitcnt lgkmcnt(0)
	v_fma_f32 v19, -v20, v21, v19
.LBB6_750:
	s_or_b64 exec, exec, s[12:13]
	s_barrier
	;; [unrolled: 24-line block ×6, first 2 shown]
	s_and_saveexec_b64 s[12:13], s[82:83]
	s_cbranch_execz .LBB6_768
; %bb.767:
	v_mov_b32_e32 v20, 0
	ds_read_b32 v20, v20 offset:4420
	s_waitcnt lgkmcnt(0)
	v_mul_f32_e32 v19, v19, v20
	v_xor_b32_e32 v20, 0x80000000, v19
	ds_write_b32 v15, v20
.LBB6_768:
	s_or_b64 exec, exec, s[12:13]
	s_waitcnt lgkmcnt(0)
	s_barrier
	s_and_saveexec_b64 s[12:13], s[66:67]
	s_cbranch_execz .LBB6_770
; %bb.769:
	v_mov_b32_e32 v20, 0
	ds_read_b32 v20, v20 offset:4416
	ds_read_b32 v21, v15
	s_waitcnt lgkmcnt(0)
	v_fma_f32 v19, -v20, v21, v19
.LBB6_770:
	s_or_b64 exec, exec, s[12:13]
	s_barrier
	s_and_saveexec_b64 s[12:13], s[66:67]
	s_cbranch_execz .LBB6_772
; %bb.771:
	v_mov_b32_e32 v20, 0
	ds_read_b32 v20, v20 offset:4160
	s_waitcnt lgkmcnt(0)
	v_mul_f32_e32 v19, v19, v20
	v_xor_b32_e32 v20, 0x80000000, v19
	ds_write_b32 v15, v20
.LBB6_772:
	s_or_b64 exec, exec, s[12:13]
	s_waitcnt lgkmcnt(0)
	s_barrier
	s_barrier
	s_and_saveexec_b64 s[12:13], s[8:9]
; %bb.773:
	v_lshlrev_b32_e32 v20, 2, v13
	v_lshl_or_b32 v20, v14, 8, v20
	ds_write_b32 v20, v19 offset:6208
; %bb.774:
	s_or_b64 exec, exec, s[12:13]
	s_waitcnt lgkmcnt(0)
	s_barrier
	s_barrier
	s_and_saveexec_b64 s[12:13], s[84:85]
	s_cbranch_execz .LBB6_776
; %bb.775:
	v_lshlrev_b32_e32 v19, 8, v0
	ds_read_b32 v20, v19 offset:6208
	s_movk_i32 s14, 0xff04
	v_mad_i32_i24 v21, v0, s14, v19
	s_waitcnt lgkmcnt(0)
	ds_write_b32 v21, v20 offset:4192
	ds_read_b32 v20, v19 offset:6212
	s_waitcnt lgkmcnt(0)
	ds_write_b32 v21, v20 offset:4448
	ds_read_b32 v20, v19 offset:6216
	;; [unrolled: 3-line block ×7, first 2 shown]
	s_waitcnt lgkmcnt(0)
	ds_write_b32 v21, v19 offset:5984
.LBB6_776:
	s_or_b64 exec, exec, s[12:13]
	s_waitcnt lgkmcnt(0)
	s_barrier
	s_and_saveexec_b64 s[12:13], vcc
	s_cbranch_execz .LBB6_778
; %bb.777:
	v_mov_b32_e32 v21, 0
	ds_read_b64 v[19:20], v21 offset:5976
	ds_read_b32 v21, v21 offset:5720
	s_movk_i32 s14, 0x1400
	s_waitcnt lgkmcnt(0)
	v_mul_f32_e32 v20, v21, v20
	v_mul_f32_e32 v19, v19, v20
	v_add_u32_e64 v20, s14, 0
	ds_write2_b32 v20, v19, v19 offset0:151 offset1:214
.LBB6_778:
	s_or_b64 exec, exec, s[12:13]
	v_mov_b32_e32 v19, 0
	s_waitcnt lgkmcnt(0)
	s_barrier
	buffer_wbinvl1_vol
	s_and_saveexec_b64 s[14:15], s[2:3]
	s_cbranch_execz .LBB6_782
; %bb.779:
	v_lshlrev_b32_e32 v19, 8, v3
	v_lshlrev_b32_e32 v20, 2, v1
	ds_read_b32 v21, v20 offset:5712
	ds_read_b32 v19, v19 offset:5720
	v_mov_b32_e32 v20, 0
	v_cmp_gt_u32_e64 s[12:13], 2, v5
	s_waitcnt lgkmcnt(0)
	v_fma_f32 v19, v21, v19, 0
	s_and_saveexec_b64 s[16:17], s[12:13]
	s_cbranch_execz .LBB6_781
; %bb.780:
	v_lshlrev_b32_e32 v21, 2, v0
	ds_read_b32 v21, v21 offset:5968
	ds_read_b32 v20, v20 offset:5980
	s_waitcnt lgkmcnt(0)
	v_fmac_f32_e32 v19, v21, v20
.LBB6_781:
	s_or_b64 exec, exec, s[16:17]
.LBB6_782:
	s_or_b64 exec, exec, s[14:15]
	s_and_saveexec_b64 s[12:13], s[28:29]
	s_cbranch_execz .LBB6_784
; %bb.783:
	v_mov_b32_e32 v20, 0
	ds_read_b32 v20, v20 offset:5460
	s_waitcnt lgkmcnt(0)
	v_mul_f32_e32 v19, v19, v20
	v_xor_b32_e32 v20, 0x80000000, v19
	ds_write_b32 v4, v20
.LBB6_784:
	s_or_b64 exec, exec, s[12:13]
	s_waitcnt lgkmcnt(0)
	s_barrier
	s_and_saveexec_b64 s[12:13], s[26:27]
	s_cbranch_execz .LBB6_786
; %bb.785:
	v_mov_b32_e32 v20, 0
	ds_read_b32 v20, v20 offset:5456
	ds_read_b32 v21, v4
	s_waitcnt lgkmcnt(0)
	v_fma_f32 v19, -v20, v21, v19
.LBB6_786:
	s_or_b64 exec, exec, s[12:13]
	s_barrier
	s_and_saveexec_b64 s[12:13], s[26:27]
	s_cbranch_execz .LBB6_788
; %bb.787:
	v_mov_b32_e32 v20, 0
	ds_read_b32 v20, v20 offset:5200
	s_waitcnt lgkmcnt(0)
	v_mul_f32_e32 v19, v19, v20
	v_xor_b32_e32 v20, 0x80000000, v19
	ds_write_b32 v4, v20
.LBB6_788:
	s_or_b64 exec, exec, s[12:13]
	s_waitcnt lgkmcnt(0)
	s_barrier
	s_barrier
	s_and_saveexec_b64 s[12:13], s[2:3]
; %bb.789:
	v_lshlrev_b32_e32 v20, 2, v1
	v_lshl_or_b32 v20, v3, 8, v20
	ds_write_b32 v20, v19 offset:5712
; %bb.790:
	s_or_b64 exec, exec, s[12:13]
	s_waitcnt lgkmcnt(0)
	s_barrier
	s_barrier
	s_and_saveexec_b64 s[12:13], s[30:31]
	s_cbranch_execz .LBB6_792
; %bb.791:
	v_lshlrev_b32_e32 v19, 2, v0
	s_movk_i32 s14, 0xfc
	v_mad_u32_u24 v20, v0, s14, v19
	ds_read_b32 v21, v20 offset:5712
	s_waitcnt lgkmcnt(0)
	ds_write_b32 v19, v21 offset:5208
	ds_read_b32 v20, v20 offset:5716
	s_waitcnt lgkmcnt(0)
	ds_write_b32 v19, v20 offset:5464
.LBB6_792:
	s_or_b64 exec, exec, s[12:13]
	s_waitcnt lgkmcnt(0)
	s_barrier
	s_and_saveexec_b64 s[12:13], vcc
	s_cbranch_execz .LBB6_794
; %bb.793:
	v_mov_b32_e32 v21, 0
	ds_read_b64 v[19:20], v21 offset:5456
	ds_read_b32 v21, v21 offset:5200
	s_movk_i32 s14, 0x1400
	s_waitcnt lgkmcnt(0)
	v_mul_f32_e32 v20, v21, v20
	v_mul_f32_e32 v19, v19, v20
	v_add_u32_e64 v20, s14, 0
	ds_write2_b32 v20, v19, v19 offset0:21 offset1:84
.LBB6_794:
	s_or_b64 exec, exec, s[12:13]
	v_mov_b32_e32 v19, 0
	s_waitcnt lgkmcnt(0)
	s_barrier
	buffer_wbinvl1_vol
	s_and_saveexec_b64 s[14:15], s[18:19]
	s_cbranch_execz .LBB6_800
; %bb.795:
	v_lshlrev_b32_e32 v21, 2, v6
	v_lshlrev_b32_e32 v20, 8, v11
	ds_read_b32 v19, v21 offset:5184
	ds_read_b32 v22, v20 offset:5200
	v_cmp_gt_u32_e64 s[12:13], 12, v5
	s_waitcnt lgkmcnt(0)
	v_fma_f32 v19, v19, v22, 0
	s_and_saveexec_b64 s[16:17], s[12:13]
	s_cbranch_execnz .LBB6_1240
; %bb.796:
	s_or_b64 exec, exec, s[16:17]
	v_cmp_gt_u32_e64 s[12:13], 8, v5
	s_and_saveexec_b64 s[16:17], s[12:13]
	s_cbranch_execnz .LBB6_1241
.LBB6_797:
	s_or_b64 exec, exec, s[16:17]
	v_cmp_gt_u32_e64 s[12:13], 4, v5
	s_and_saveexec_b64 s[16:17], s[12:13]
	s_cbranch_execz .LBB6_799
.LBB6_798:
	v_lshlrev_b32_e32 v20, 2, v0
	v_mov_b32_e32 v21, 0
	ds_read_b32 v20, v20 offset:5952
	ds_read_b32 v21, v21 offset:5980
	s_waitcnt lgkmcnt(0)
	v_fmac_f32_e32 v19, v20, v21
.LBB6_799:
	s_or_b64 exec, exec, s[16:17]
.LBB6_800:
	s_or_b64 exec, exec, s[14:15]
	s_and_saveexec_b64 s[12:13], s[36:37]
	s_cbranch_execz .LBB6_802
; %bb.801:
	v_mov_b32_e32 v20, 0
	ds_read_b32 v20, v20 offset:4940
	s_waitcnt lgkmcnt(0)
	v_mul_f32_e32 v19, v19, v20
	v_xor_b32_e32 v20, 0x80000000, v19
	ds_write_b32 v12, v20
.LBB6_802:
	s_or_b64 exec, exec, s[12:13]
	s_waitcnt lgkmcnt(0)
	s_barrier
	s_and_saveexec_b64 s[12:13], s[38:39]
	s_cbranch_execz .LBB6_804
; %bb.803:
	v_lshlrev_b32_e32 v20, 2, v6
	ds_read_b32 v20, v20 offset:4928
	ds_read_b32 v21, v12
	s_waitcnt lgkmcnt(0)
	v_fma_f32 v19, -v20, v21, v19
.LBB6_804:
	s_or_b64 exec, exec, s[12:13]
	s_barrier
	s_and_saveexec_b64 s[12:13], s[42:43]
	s_cbranch_execz .LBB6_806
; %bb.805:
	v_mov_b32_e32 v20, 0
	ds_read_b32 v20, v20 offset:4680
	s_waitcnt lgkmcnt(0)
	v_mul_f32_e32 v19, v19, v20
	v_xor_b32_e32 v20, 0x80000000, v19
	ds_write_b32 v12, v20
.LBB6_806:
	s_or_b64 exec, exec, s[12:13]
	s_waitcnt lgkmcnt(0)
	s_barrier
	s_and_saveexec_b64 s[12:13], s[44:45]
	s_cbranch_execz .LBB6_808
; %bb.807:
	v_lshlrev_b32_e32 v20, 2, v6
	ds_read_b32 v20, v20 offset:4672
	ds_read_b32 v21, v12
	s_waitcnt lgkmcnt(0)
	v_fma_f32 v19, -v20, v21, v19
.LBB6_808:
	s_or_b64 exec, exec, s[12:13]
	s_barrier
	s_and_saveexec_b64 s[12:13], s[52:53]
	s_cbranch_execz .LBB6_810
; %bb.809:
	v_mov_b32_e32 v20, 0
	ds_read_b32 v20, v20 offset:4420
	s_waitcnt lgkmcnt(0)
	v_mul_f32_e32 v19, v19, v20
	v_xor_b32_e32 v20, 0x80000000, v19
	ds_write_b32 v12, v20
.LBB6_810:
	s_or_b64 exec, exec, s[12:13]
	s_waitcnt lgkmcnt(0)
	s_barrier
	s_and_saveexec_b64 s[12:13], s[34:35]
	s_cbranch_execz .LBB6_812
; %bb.811:
	v_mov_b32_e32 v20, 0
	ds_read_b32 v20, v20 offset:4416
	ds_read_b32 v21, v12
	s_waitcnt lgkmcnt(0)
	v_fma_f32 v19, -v20, v21, v19
.LBB6_812:
	s_or_b64 exec, exec, s[12:13]
	s_barrier
	s_and_saveexec_b64 s[12:13], s[34:35]
	s_cbranch_execz .LBB6_814
; %bb.813:
	v_mov_b32_e32 v20, 0
	ds_read_b32 v20, v20 offset:4160
	s_waitcnt lgkmcnt(0)
	v_mul_f32_e32 v19, v19, v20
	v_xor_b32_e32 v20, 0x80000000, v19
	ds_write_b32 v12, v20
.LBB6_814:
	s_or_b64 exec, exec, s[12:13]
	s_waitcnt lgkmcnt(0)
	s_barrier
	s_barrier
	s_and_saveexec_b64 s[12:13], s[18:19]
; %bb.815:
	v_lshlrev_b32_e32 v20, 2, v6
	v_lshl_or_b32 v20, v11, 8, v20
	ds_write_b32 v20, v19 offset:5184
; %bb.816:
	s_or_b64 exec, exec, s[12:13]
	s_waitcnt lgkmcnt(0)
	s_barrier
	s_barrier
	s_and_saveexec_b64 s[12:13], s[54:55]
	s_cbranch_execz .LBB6_818
; %bb.817:
	v_lshlrev_b32_e32 v19, 8, v0
	ds_read_b32 v20, v19 offset:5184
	s_movk_i32 s14, 0xff04
	v_mad_i32_i24 v21, v0, s14, v19
	s_waitcnt lgkmcnt(0)
	ds_write_b32 v21, v20 offset:4176
	ds_read_b32 v20, v19 offset:5188
	s_waitcnt lgkmcnt(0)
	ds_write_b32 v21, v20 offset:4432
	ds_read_b32 v20, v19 offset:5192
	;; [unrolled: 3-line block ×3, first 2 shown]
	s_waitcnt lgkmcnt(0)
	ds_write_b32 v21, v19 offset:4944
.LBB6_818:
	s_or_b64 exec, exec, s[12:13]
	s_waitcnt lgkmcnt(0)
	s_barrier
	s_and_saveexec_b64 s[12:13], vcc
	s_cbranch_execz .LBB6_820
; %bb.819:
	v_mov_b32_e32 v21, 0
	ds_read_b64 v[19:20], v21 offset:4936
	ds_read_b32 v21, v21 offset:4680
	s_movk_i32 s14, 0x1000
	s_waitcnt lgkmcnt(0)
	v_mul_f32_e32 v20, v21, v20
	v_mul_f32_e32 v19, v19, v20
	v_add_u32_e64 v20, s14, 0
	ds_write2_b32 v20, v19, v19 offset0:147 offset1:210
.LBB6_820:
	s_or_b64 exec, exec, s[12:13]
	v_mov_b32_e32 v19, 0
	s_waitcnt lgkmcnt(0)
	s_barrier
	buffer_wbinvl1_vol
	s_and_saveexec_b64 s[14:15], s[2:3]
	s_cbranch_execz .LBB6_824
; %bb.821:
	v_lshlrev_b32_e32 v19, 8, v3
	v_lshlrev_b32_e32 v20, 2, v1
	ds_read_b32 v21, v20 offset:4672
	ds_read_b32 v19, v19 offset:4680
	v_mov_b32_e32 v20, 0
	v_cmp_gt_u32_e64 s[12:13], 2, v5
	s_waitcnt lgkmcnt(0)
	v_fma_f32 v19, v21, v19, 0
	s_and_saveexec_b64 s[16:17], s[12:13]
	s_cbranch_execz .LBB6_823
; %bb.822:
	v_lshlrev_b32_e32 v21, 2, v0
	ds_read_b32 v21, v21 offset:4928
	ds_read_b32 v20, v20 offset:4940
	s_waitcnt lgkmcnt(0)
	v_fmac_f32_e32 v19, v21, v20
.LBB6_823:
	s_or_b64 exec, exec, s[16:17]
.LBB6_824:
	s_or_b64 exec, exec, s[14:15]
	s_and_saveexec_b64 s[12:13], s[28:29]
	s_cbranch_execz .LBB6_826
; %bb.825:
	v_mov_b32_e32 v20, 0
	ds_read_b32 v20, v20 offset:4420
	s_waitcnt lgkmcnt(0)
	v_mul_f32_e32 v19, v19, v20
	v_xor_b32_e32 v20, 0x80000000, v19
	ds_write_b32 v4, v20
.LBB6_826:
	s_or_b64 exec, exec, s[12:13]
	s_waitcnt lgkmcnt(0)
	s_barrier
	s_and_saveexec_b64 s[12:13], s[26:27]
	s_cbranch_execz .LBB6_828
; %bb.827:
	v_mov_b32_e32 v20, 0
	ds_read_b32 v20, v20 offset:4416
	ds_read_b32 v21, v4
	s_waitcnt lgkmcnt(0)
	v_fma_f32 v19, -v20, v21, v19
.LBB6_828:
	s_or_b64 exec, exec, s[12:13]
	s_barrier
	s_and_saveexec_b64 s[12:13], s[26:27]
	s_cbranch_execz .LBB6_830
; %bb.829:
	v_mov_b32_e32 v20, 0
	ds_read_b32 v20, v20 offset:4160
	s_waitcnt lgkmcnt(0)
	v_mul_f32_e32 v19, v19, v20
	v_xor_b32_e32 v20, 0x80000000, v19
	ds_write_b32 v4, v20
.LBB6_830:
	s_or_b64 exec, exec, s[12:13]
	s_waitcnt lgkmcnt(0)
	s_barrier
	s_barrier
	s_and_saveexec_b64 s[12:13], s[2:3]
; %bb.831:
	v_lshlrev_b32_e32 v20, 2, v1
	v_lshl_or_b32 v20, v3, 8, v20
	ds_write_b32 v20, v19 offset:4672
; %bb.832:
	s_or_b64 exec, exec, s[12:13]
	s_waitcnt lgkmcnt(0)
	s_barrier
	s_barrier
	s_and_saveexec_b64 s[12:13], s[30:31]
	s_cbranch_execz .LBB6_834
; %bb.833:
	v_lshlrev_b32_e32 v19, 2, v0
	s_movk_i32 s14, 0xfc
	v_mad_u32_u24 v20, v0, s14, v19
	ds_read_b32 v21, v20 offset:4672
	s_waitcnt lgkmcnt(0)
	ds_write_b32 v19, v21 offset:4168
	ds_read_b32 v20, v20 offset:4676
	s_waitcnt lgkmcnt(0)
	ds_write_b32 v19, v20 offset:4424
.LBB6_834:
	s_or_b64 exec, exec, s[12:13]
	s_waitcnt lgkmcnt(0)
	s_barrier
	s_and_saveexec_b64 s[12:13], vcc
	s_cbranch_execz .LBB6_836
; %bb.835:
	v_mov_b32_e32 v21, 0
	ds_read_b64 v[19:20], v21 offset:4416
	ds_read_b32 v21, v21 offset:4160
	s_movk_i32 s14, 0x1000
	s_waitcnt lgkmcnt(0)
	v_mul_f32_e32 v20, v21, v20
	v_mul_f32_e32 v19, v19, v20
	v_add_u32_e64 v20, s14, 0
	ds_write2_b32 v20, v19, v19 offset0:17 offset1:80
.LBB6_836:
	s_or_b64 exec, exec, s[12:13]
	v_mov_b32_e32 v19, 0
	s_waitcnt lgkmcnt(0)
	s_barrier
	buffer_wbinvl1_vol
	s_and_saveexec_b64 s[14:15], s[10:11]
	s_cbranch_execz .LBB6_864
; %bb.837:
	v_lshlrev_b32_e32 v21, 2, v16
	v_lshlrev_b32_e32 v20, 8, v17
	ds_read_b32 v19, v21 offset:4096
	ds_read_b32 v22, v20 offset:4160
	s_movk_i32 s12, 0xf0
	v_cmp_gt_u32_e64 s[12:13], s12, v5
	s_waitcnt lgkmcnt(0)
	v_fma_f32 v19, v19, v22, 0
	s_and_saveexec_b64 s[16:17], s[12:13]
	s_cbranch_execz .LBB6_839
; %bb.838:
	ds_read_b32 v22, v21 offset:4352
	ds_read_b32 v23, v20 offset:4164
	s_waitcnt lgkmcnt(0)
	v_fmac_f32_e32 v19, v22, v23
.LBB6_839:
	s_or_b64 exec, exec, s[16:17]
	s_movk_i32 s12, 0xe0
	v_cmp_gt_u32_e64 s[12:13], s12, v5
	s_and_saveexec_b64 s[16:17], s[12:13]
	s_cbranch_execz .LBB6_841
; %bb.840:
	ds_read_b32 v22, v21 offset:4608
	ds_read_b32 v23, v20 offset:4168
	s_waitcnt lgkmcnt(0)
	v_fmac_f32_e32 v19, v22, v23
.LBB6_841:
	s_or_b64 exec, exec, s[16:17]
	s_movk_i32 s12, 0xd0
	v_cmp_gt_u32_e64 s[12:13], s12, v5
	;; [unrolled: 11-line block ×10, first 2 shown]
	s_and_saveexec_b64 s[16:17], s[12:13]
	s_cbranch_execnz .LBB6_1242
; %bb.858:
	s_or_b64 exec, exec, s[16:17]
	s_and_saveexec_b64 s[12:13], s[8:9]
	s_cbranch_execnz .LBB6_1243
.LBB6_859:
	s_or_b64 exec, exec, s[12:13]
	v_cmp_gt_u32_e64 s[12:13], 48, v5
	s_and_saveexec_b64 s[16:17], s[12:13]
	s_cbranch_execnz .LBB6_1244
.LBB6_860:
	s_or_b64 exec, exec, s[16:17]
	v_cmp_gt_u32_e64 s[12:13], 32, v5
	s_and_saveexec_b64 s[16:17], s[12:13]
	s_cbranch_execnz .LBB6_1245
.LBB6_861:
	s_or_b64 exec, exec, s[16:17]
	v_cmp_gt_u32_e64 s[12:13], 16, v5
	s_and_saveexec_b64 s[16:17], s[12:13]
	s_cbranch_execz .LBB6_863
.LBB6_862:
	v_lshlrev_b32_e32 v20, 2, v0
	v_mov_b32_e32 v21, 0
	ds_read_b32 v20, v20 offset:7936
	ds_read_b32 v21, v21 offset:8060
	s_waitcnt lgkmcnt(0)
	v_fmac_f32_e32 v19, v20, v21
.LBB6_863:
	s_or_b64 exec, exec, s[16:17]
.LBB6_864:
	s_or_b64 exec, exec, s[14:15]
	s_mov_b64 s[12:13], exec
	v_readlane_b32 s14, v27, 4
	v_readlane_b32 s15, v27, 5
	s_and_b64 s[14:15], s[12:13], s[14:15]
	s_mov_b64 exec, s[14:15]
	s_cbranch_execz .LBB6_866
; %bb.865:
	v_mov_b32_e32 v20, 0
	ds_read_b32 v20, v20 offset:3900
	s_waitcnt lgkmcnt(0)
	v_mul_f32_e32 v19, v19, v20
	v_xor_b32_e32 v20, 0x80000000, v19
	ds_write_b32 v18, v20
.LBB6_866:
	s_or_b64 exec, exec, s[12:13]
	s_waitcnt lgkmcnt(0)
	s_barrier
	s_mov_b64 s[12:13], exec
	v_readlane_b32 s14, v27, 6
	v_readlane_b32 s15, v27, 7
	s_and_b64 s[14:15], s[12:13], s[14:15]
	s_mov_b64 exec, s[14:15]
	s_cbranch_execz .LBB6_868
; %bb.867:
	v_lshlrev_b32_e32 v20, 2, v16
	ds_read_b32 v20, v20 offset:3840
	ds_read_b32 v21, v18
	s_waitcnt lgkmcnt(0)
	v_fma_f32 v19, -v20, v21, v19
.LBB6_868:
	s_or_b64 exec, exec, s[12:13]
	s_barrier
	s_mov_b64 s[12:13], exec
	v_readlane_b32 s14, v27, 8
	v_readlane_b32 s15, v27, 9
	s_and_b64 s[14:15], s[12:13], s[14:15]
	s_mov_b64 exec, s[14:15]
	s_cbranch_execz .LBB6_870
; %bb.869:
	v_mov_b32_e32 v20, 0
	ds_read_b32 v20, v20 offset:3640
	s_waitcnt lgkmcnt(0)
	v_mul_f32_e32 v19, v19, v20
	v_xor_b32_e32 v20, 0x80000000, v19
	ds_write_b32 v18, v20
.LBB6_870:
	s_or_b64 exec, exec, s[12:13]
	s_waitcnt lgkmcnt(0)
	s_barrier
	s_mov_b64 s[12:13], exec
	v_readlane_b32 s14, v27, 10
	v_readlane_b32 s15, v27, 11
	s_and_b64 s[14:15], s[12:13], s[14:15]
	s_mov_b64 exec, s[14:15]
	s_cbranch_execz .LBB6_872
; %bb.871:
	v_lshlrev_b32_e32 v20, 2, v16
	ds_read_b32 v20, v20 offset:3584
	ds_read_b32 v21, v18
	s_waitcnt lgkmcnt(0)
	v_fma_f32 v19, -v20, v21, v19
.LBB6_872:
	s_or_b64 exec, exec, s[12:13]
	s_barrier
	;; [unrolled: 32-line block ×13, first 2 shown]
	s_mov_b64 s[12:13], exec
	v_readlane_b32 s14, v27, 56
	v_readlane_b32 s15, v27, 57
	s_and_b64 s[14:15], s[12:13], s[14:15]
	s_mov_b64 exec, s[14:15]
	s_cbranch_execz .LBB6_918
; %bb.917:
	v_mov_b32_e32 v20, 0
	ds_read_b32 v20, v20 offset:520
	s_waitcnt lgkmcnt(0)
	v_mul_f32_e32 v19, v19, v20
	v_xor_b32_e32 v20, 0x80000000, v19
	ds_write_b32 v18, v20
.LBB6_918:
	s_or_b64 exec, exec, s[12:13]
	s_waitcnt lgkmcnt(0)
	s_barrier
	s_and_saveexec_b64 s[12:13], s[0:1]
	s_cbranch_execz .LBB6_920
; %bb.919:
	v_lshlrev_b32_e32 v20, 2, v16
	ds_read_b32 v20, v20 offset:512
	ds_read_b32 v21, v18
	s_waitcnt lgkmcnt(0)
	v_fma_f32 v19, -v20, v21, v19
.LBB6_920:
	s_or_b64 exec, exec, s[12:13]
	s_barrier
	s_mov_b64 s[0:1], exec
	v_readlane_b32 s12, v27, 58
	v_readlane_b32 s13, v27, 59
	s_and_b64 s[12:13], s[0:1], s[12:13]
	s_mov_b64 exec, s[12:13]
	s_cbranch_execz .LBB6_922
; %bb.921:
	v_mov_b32_e32 v20, 0
	ds_read_b32 v20, v20 offset:260
	s_waitcnt lgkmcnt(0)
	v_mul_f32_e32 v19, v19, v20
	v_xor_b32_e32 v20, 0x80000000, v19
	ds_write_b32 v18, v20
.LBB6_922:
	s_or_b64 exec, exec, s[0:1]
	s_waitcnt lgkmcnt(0)
	s_barrier
	s_and_saveexec_b64 s[0:1], s[92:93]
	s_cbranch_execz .LBB6_924
; %bb.923:
	v_mov_b32_e32 v20, 0
	ds_read_b32 v20, v20 offset:256
	ds_read_b32 v21, v18
	s_waitcnt lgkmcnt(0)
	v_fma_f32 v19, -v20, v21, v19
.LBB6_924:
	s_or_b64 exec, exec, s[0:1]
	s_barrier
	s_and_saveexec_b64 s[0:1], s[92:93]
	s_cbranch_execz .LBB6_926
; %bb.925:
	v_mov_b32_e32 v20, 0
	ds_read_b32 v20, v20
	s_waitcnt lgkmcnt(0)
	v_mul_f32_e32 v19, v19, v20
	v_xor_b32_e32 v20, 0x80000000, v19
	ds_write_b32 v18, v20
.LBB6_926:
	s_or_b64 exec, exec, s[0:1]
	s_waitcnt lgkmcnt(0)
	s_barrier
	s_barrier
	s_and_saveexec_b64 s[0:1], s[10:11]
; %bb.927:
	v_lshlrev_b32_e32 v16, 2, v16
	v_lshl_or_b32 v16, v17, 8, v16
	ds_write_b32 v16, v19 offset:4096
; %bb.928:
	s_or_b64 exec, exec, s[0:1]
	s_waitcnt lgkmcnt(0)
	s_barrier
	s_barrier
	s_mov_b64 s[0:1], exec
	v_readlane_b32 s10, v27, 60
	v_readlane_b32 s11, v27, 61
	s_and_b64 s[10:11], s[0:1], s[10:11]
	s_mov_b64 exec, s[10:11]
	s_cbranch_execz .LBB6_930
; %bb.929:
	v_lshlrev_b32_e32 v16, 8, v0
	ds_read_b32 v17, v16 offset:4096
	s_movk_i32 s10, 0xff04
	v_mad_i32_i24 v18, v0, s10, v16
	s_waitcnt lgkmcnt(0)
	ds_write_b32 v18, v17 offset:64
	ds_read_b32 v17, v16 offset:4100
	s_waitcnt lgkmcnt(0)
	ds_write_b32 v18, v17 offset:320
	ds_read_b32 v17, v16 offset:4104
	;; [unrolled: 3-line block ×15, first 2 shown]
	s_waitcnt lgkmcnt(0)
	ds_write_b32 v18, v16 offset:3904
.LBB6_930:
	s_or_b64 exec, exec, s[0:1]
	s_waitcnt lgkmcnt(0)
	s_barrier
	s_and_saveexec_b64 s[0:1], vcc
	s_cbranch_execz .LBB6_932
; %bb.931:
	v_mov_b32_e32 v18, 0
	ds_read_b64 v[16:17], v18 offset:3896
	ds_read_b32 v18, v18 offset:3640
	s_movk_i32 s10, 0xc00
	s_waitcnt lgkmcnt(0)
	v_mul_f32_e32 v17, v18, v17
	v_mul_f32_e32 v16, v16, v17
	v_add_u32_e64 v17, s10, 0
	ds_write2_b32 v17, v16, v16 offset0:143 offset1:206
.LBB6_932:
	s_or_b64 exec, exec, s[0:1]
	v_mov_b32_e32 v16, 0
	s_waitcnt lgkmcnt(0)
	s_barrier
	buffer_wbinvl1_vol
	s_and_saveexec_b64 s[0:1], s[2:3]
	s_cbranch_execz .LBB6_936
; %bb.933:
	v_lshlrev_b32_e32 v16, 8, v3
	v_lshlrev_b32_e32 v17, 2, v1
	ds_read_b32 v18, v17 offset:3632
	ds_read_b32 v16, v16 offset:3640
	v_mov_b32_e32 v17, 0
	v_cmp_gt_u32_e64 s[10:11], 2, v5
	s_waitcnt lgkmcnt(0)
	v_fma_f32 v16, v18, v16, 0
	s_and_saveexec_b64 s[12:13], s[10:11]
	s_cbranch_execz .LBB6_935
; %bb.934:
	v_lshlrev_b32_e32 v18, 2, v0
	ds_read_b32 v18, v18 offset:3888
	ds_read_b32 v17, v17 offset:3900
	s_waitcnt lgkmcnt(0)
	v_fmac_f32_e32 v16, v18, v17
.LBB6_935:
	s_or_b64 exec, exec, s[12:13]
.LBB6_936:
	s_or_b64 exec, exec, s[0:1]
	s_and_saveexec_b64 s[0:1], s[28:29]
	s_cbranch_execz .LBB6_938
; %bb.937:
	v_mov_b32_e32 v17, 0
	ds_read_b32 v17, v17 offset:3380
	s_waitcnt lgkmcnt(0)
	v_mul_f32_e32 v16, v16, v17
	v_xor_b32_e32 v17, 0x80000000, v16
	ds_write_b32 v4, v17
.LBB6_938:
	s_or_b64 exec, exec, s[0:1]
	s_waitcnt lgkmcnt(0)
	s_barrier
	s_and_saveexec_b64 s[0:1], s[26:27]
	s_cbranch_execz .LBB6_940
; %bb.939:
	v_mov_b32_e32 v17, 0
	ds_read_b32 v17, v17 offset:3376
	ds_read_b32 v18, v4
	s_waitcnt lgkmcnt(0)
	v_fma_f32 v16, -v17, v18, v16
.LBB6_940:
	s_or_b64 exec, exec, s[0:1]
	s_barrier
	s_and_saveexec_b64 s[0:1], s[26:27]
	s_cbranch_execz .LBB6_942
; %bb.941:
	v_mov_b32_e32 v17, 0
	ds_read_b32 v17, v17 offset:3120
	s_waitcnt lgkmcnt(0)
	v_mul_f32_e32 v16, v16, v17
	v_xor_b32_e32 v17, 0x80000000, v16
	ds_write_b32 v4, v17
.LBB6_942:
	s_or_b64 exec, exec, s[0:1]
	s_waitcnt lgkmcnt(0)
	s_barrier
	s_barrier
	s_and_saveexec_b64 s[0:1], s[2:3]
; %bb.943:
	v_lshlrev_b32_e32 v17, 2, v1
	v_lshl_or_b32 v17, v3, 8, v17
	ds_write_b32 v17, v16 offset:3632
; %bb.944:
	s_or_b64 exec, exec, s[0:1]
	s_waitcnt lgkmcnt(0)
	s_barrier
	s_barrier
	s_and_saveexec_b64 s[0:1], s[30:31]
	s_cbranch_execz .LBB6_946
; %bb.945:
	v_lshlrev_b32_e32 v16, 2, v0
	s_movk_i32 s10, 0xfc
	v_mad_u32_u24 v17, v0, s10, v16
	ds_read_b32 v18, v17 offset:3632
	s_waitcnt lgkmcnt(0)
	ds_write_b32 v16, v18 offset:3128
	ds_read_b32 v17, v17 offset:3636
	s_waitcnt lgkmcnt(0)
	ds_write_b32 v16, v17 offset:3384
.LBB6_946:
	s_or_b64 exec, exec, s[0:1]
	s_waitcnt lgkmcnt(0)
	s_barrier
	s_and_saveexec_b64 s[0:1], vcc
	s_cbranch_execz .LBB6_948
; %bb.947:
	v_mov_b32_e32 v18, 0
	ds_read_b64 v[16:17], v18 offset:3376
	ds_read_b32 v18, v18 offset:3120
	s_movk_i32 s10, 0xc00
	s_waitcnt lgkmcnt(0)
	v_mul_f32_e32 v17, v18, v17
	v_mul_f32_e32 v16, v16, v17
	v_add_u32_e64 v17, s10, 0
	ds_write2_b32 v17, v16, v16 offset0:13 offset1:76
.LBB6_948:
	s_or_b64 exec, exec, s[0:1]
	v_mov_b32_e32 v16, 0
	s_waitcnt lgkmcnt(0)
	s_barrier
	buffer_wbinvl1_vol
	s_and_saveexec_b64 s[0:1], s[18:19]
	s_cbranch_execz .LBB6_954
; %bb.949:
	v_lshlrev_b32_e32 v18, 2, v6
	v_lshlrev_b32_e32 v17, 8, v11
	ds_read_b32 v16, v18 offset:3104
	ds_read_b32 v19, v17 offset:3120
	v_cmp_gt_u32_e64 s[10:11], 12, v5
	s_waitcnt lgkmcnt(0)
	v_fma_f32 v16, v16, v19, 0
	s_and_saveexec_b64 s[12:13], s[10:11]
	s_cbranch_execnz .LBB6_1246
; %bb.950:
	s_or_b64 exec, exec, s[12:13]
	v_cmp_gt_u32_e64 s[10:11], 8, v5
	s_and_saveexec_b64 s[12:13], s[10:11]
	s_cbranch_execnz .LBB6_1247
.LBB6_951:
	s_or_b64 exec, exec, s[12:13]
	v_cmp_gt_u32_e64 s[10:11], 4, v5
	s_and_saveexec_b64 s[12:13], s[10:11]
	s_cbranch_execz .LBB6_953
.LBB6_952:
	v_lshlrev_b32_e32 v17, 2, v0
	v_mov_b32_e32 v18, 0
	ds_read_b32 v17, v17 offset:3872
	ds_read_b32 v18, v18 offset:3900
	s_waitcnt lgkmcnt(0)
	v_fmac_f32_e32 v16, v17, v18
.LBB6_953:
	s_or_b64 exec, exec, s[12:13]
.LBB6_954:
	s_or_b64 exec, exec, s[0:1]
	s_and_saveexec_b64 s[0:1], s[36:37]
	s_cbranch_execz .LBB6_956
; %bb.955:
	v_mov_b32_e32 v17, 0
	ds_read_b32 v17, v17 offset:2860
	s_waitcnt lgkmcnt(0)
	v_mul_f32_e32 v16, v16, v17
	v_xor_b32_e32 v17, 0x80000000, v16
	ds_write_b32 v12, v17
.LBB6_956:
	s_or_b64 exec, exec, s[0:1]
	s_waitcnt lgkmcnt(0)
	s_barrier
	s_and_saveexec_b64 s[0:1], s[38:39]
	s_cbranch_execz .LBB6_958
; %bb.957:
	v_lshlrev_b32_e32 v17, 2, v6
	ds_read_b32 v17, v17 offset:2848
	ds_read_b32 v18, v12
	s_waitcnt lgkmcnt(0)
	v_fma_f32 v16, -v17, v18, v16
.LBB6_958:
	s_or_b64 exec, exec, s[0:1]
	s_barrier
	s_and_saveexec_b64 s[0:1], s[42:43]
	s_cbranch_execz .LBB6_960
; %bb.959:
	v_mov_b32_e32 v17, 0
	ds_read_b32 v17, v17 offset:2600
	s_waitcnt lgkmcnt(0)
	v_mul_f32_e32 v16, v16, v17
	v_xor_b32_e32 v17, 0x80000000, v16
	ds_write_b32 v12, v17
.LBB6_960:
	s_or_b64 exec, exec, s[0:1]
	s_waitcnt lgkmcnt(0)
	s_barrier
	s_and_saveexec_b64 s[0:1], s[44:45]
	s_cbranch_execz .LBB6_962
; %bb.961:
	v_lshlrev_b32_e32 v17, 2, v6
	ds_read_b32 v17, v17 offset:2592
	ds_read_b32 v18, v12
	s_waitcnt lgkmcnt(0)
	v_fma_f32 v16, -v17, v18, v16
.LBB6_962:
	s_or_b64 exec, exec, s[0:1]
	s_barrier
	s_and_saveexec_b64 s[0:1], s[52:53]
	s_cbranch_execz .LBB6_964
; %bb.963:
	v_mov_b32_e32 v17, 0
	ds_read_b32 v17, v17 offset:2340
	s_waitcnt lgkmcnt(0)
	v_mul_f32_e32 v16, v16, v17
	v_xor_b32_e32 v17, 0x80000000, v16
	ds_write_b32 v12, v17
.LBB6_964:
	s_or_b64 exec, exec, s[0:1]
	s_waitcnt lgkmcnt(0)
	s_barrier
	s_and_saveexec_b64 s[0:1], s[34:35]
	s_cbranch_execz .LBB6_966
; %bb.965:
	v_mov_b32_e32 v17, 0
	ds_read_b32 v17, v17 offset:2336
	ds_read_b32 v18, v12
	s_waitcnt lgkmcnt(0)
	v_fma_f32 v16, -v17, v18, v16
.LBB6_966:
	s_or_b64 exec, exec, s[0:1]
	s_barrier
	s_and_saveexec_b64 s[0:1], s[34:35]
	s_cbranch_execz .LBB6_968
; %bb.967:
	v_mov_b32_e32 v17, 0
	ds_read_b32 v17, v17 offset:2080
	s_waitcnt lgkmcnt(0)
	v_mul_f32_e32 v16, v16, v17
	v_xor_b32_e32 v17, 0x80000000, v16
	ds_write_b32 v12, v17
.LBB6_968:
	s_or_b64 exec, exec, s[0:1]
	s_waitcnt lgkmcnt(0)
	s_barrier
	s_barrier
	s_and_saveexec_b64 s[0:1], s[18:19]
; %bb.969:
	v_lshlrev_b32_e32 v17, 2, v6
	v_lshl_or_b32 v17, v11, 8, v17
	ds_write_b32 v17, v16 offset:3104
; %bb.970:
	s_or_b64 exec, exec, s[0:1]
	s_waitcnt lgkmcnt(0)
	s_barrier
	s_barrier
	s_and_saveexec_b64 s[0:1], s[54:55]
	s_cbranch_execz .LBB6_972
; %bb.971:
	v_lshlrev_b32_e32 v16, 8, v0
	ds_read_b32 v17, v16 offset:3104
	s_movk_i32 s10, 0xff04
	v_mad_i32_i24 v18, v0, s10, v16
	s_waitcnt lgkmcnt(0)
	ds_write_b32 v18, v17 offset:2096
	ds_read_b32 v17, v16 offset:3108
	s_waitcnt lgkmcnt(0)
	ds_write_b32 v18, v17 offset:2352
	ds_read_b32 v17, v16 offset:3112
	;; [unrolled: 3-line block ×3, first 2 shown]
	s_waitcnt lgkmcnt(0)
	ds_write_b32 v18, v16 offset:2864
.LBB6_972:
	s_or_b64 exec, exec, s[0:1]
	s_waitcnt lgkmcnt(0)
	s_barrier
	s_and_saveexec_b64 s[0:1], vcc
	s_cbranch_execz .LBB6_974
; %bb.973:
	v_mov_b32_e32 v18, 0
	ds_read_b64 v[16:17], v18 offset:2856
	ds_read_b32 v18, v18 offset:2600
	s_movk_i32 s10, 0x800
	s_waitcnt lgkmcnt(0)
	v_mul_f32_e32 v17, v18, v17
	v_mul_f32_e32 v16, v16, v17
	v_add_u32_e64 v17, s10, 0
	ds_write2_b32 v17, v16, v16 offset0:139 offset1:202
.LBB6_974:
	s_or_b64 exec, exec, s[0:1]
	v_mov_b32_e32 v16, 0
	s_waitcnt lgkmcnt(0)
	s_barrier
	buffer_wbinvl1_vol
	s_and_saveexec_b64 s[0:1], s[2:3]
	s_cbranch_execz .LBB6_978
; %bb.975:
	v_lshlrev_b32_e32 v16, 8, v3
	v_lshlrev_b32_e32 v17, 2, v1
	ds_read_b32 v18, v17 offset:2592
	ds_read_b32 v16, v16 offset:2600
	v_mov_b32_e32 v17, 0
	v_cmp_gt_u32_e64 s[10:11], 2, v5
	s_waitcnt lgkmcnt(0)
	v_fma_f32 v16, v18, v16, 0
	s_and_saveexec_b64 s[12:13], s[10:11]
	s_cbranch_execz .LBB6_977
; %bb.976:
	v_lshlrev_b32_e32 v18, 2, v0
	ds_read_b32 v18, v18 offset:2848
	ds_read_b32 v17, v17 offset:2860
	s_waitcnt lgkmcnt(0)
	v_fmac_f32_e32 v16, v18, v17
.LBB6_977:
	s_or_b64 exec, exec, s[12:13]
.LBB6_978:
	s_or_b64 exec, exec, s[0:1]
	s_and_saveexec_b64 s[0:1], s[28:29]
	s_cbranch_execz .LBB6_980
; %bb.979:
	v_mov_b32_e32 v17, 0
	ds_read_b32 v17, v17 offset:2340
	s_waitcnt lgkmcnt(0)
	v_mul_f32_e32 v16, v16, v17
	v_xor_b32_e32 v17, 0x80000000, v16
	ds_write_b32 v4, v17
.LBB6_980:
	s_or_b64 exec, exec, s[0:1]
	s_waitcnt lgkmcnt(0)
	s_barrier
	s_and_saveexec_b64 s[0:1], s[26:27]
	s_cbranch_execz .LBB6_982
; %bb.981:
	v_mov_b32_e32 v17, 0
	ds_read_b32 v17, v17 offset:2336
	ds_read_b32 v18, v4
	s_waitcnt lgkmcnt(0)
	v_fma_f32 v16, -v17, v18, v16
.LBB6_982:
	s_or_b64 exec, exec, s[0:1]
	s_barrier
	s_and_saveexec_b64 s[0:1], s[26:27]
	s_cbranch_execz .LBB6_984
; %bb.983:
	v_mov_b32_e32 v17, 0
	ds_read_b32 v17, v17 offset:2080
	s_waitcnt lgkmcnt(0)
	v_mul_f32_e32 v16, v16, v17
	v_xor_b32_e32 v17, 0x80000000, v16
	ds_write_b32 v4, v17
.LBB6_984:
	s_or_b64 exec, exec, s[0:1]
	s_waitcnt lgkmcnt(0)
	s_barrier
	s_barrier
	s_and_saveexec_b64 s[0:1], s[2:3]
; %bb.985:
	v_lshlrev_b32_e32 v17, 2, v1
	v_lshl_or_b32 v17, v3, 8, v17
	ds_write_b32 v17, v16 offset:2592
; %bb.986:
	s_or_b64 exec, exec, s[0:1]
	s_waitcnt lgkmcnt(0)
	s_barrier
	s_barrier
	s_and_saveexec_b64 s[0:1], s[30:31]
	s_cbranch_execz .LBB6_988
; %bb.987:
	v_lshlrev_b32_e32 v16, 2, v0
	s_movk_i32 s10, 0xfc
	v_mad_u32_u24 v17, v0, s10, v16
	ds_read_b32 v18, v17 offset:2592
	s_waitcnt lgkmcnt(0)
	ds_write_b32 v16, v18 offset:2088
	ds_read_b32 v17, v17 offset:2596
	s_waitcnt lgkmcnt(0)
	ds_write_b32 v16, v17 offset:2344
.LBB6_988:
	s_or_b64 exec, exec, s[0:1]
	s_waitcnt lgkmcnt(0)
	s_barrier
	s_and_saveexec_b64 s[0:1], vcc
	s_cbranch_execz .LBB6_990
; %bb.989:
	v_mov_b32_e32 v18, 0
	ds_read_b64 v[16:17], v18 offset:2336
	ds_read_b32 v18, v18 offset:2080
	s_movk_i32 s10, 0x800
	s_waitcnt lgkmcnt(0)
	v_mul_f32_e32 v17, v18, v17
	v_mul_f32_e32 v16, v16, v17
	v_add_u32_e64 v17, s10, 0
	ds_write2_b32 v17, v16, v16 offset0:9 offset1:72
.LBB6_990:
	s_or_b64 exec, exec, s[0:1]
	v_mov_b32_e32 v16, 0
	s_waitcnt lgkmcnt(0)
	s_barrier
	buffer_wbinvl1_vol
	s_and_saveexec_b64 s[0:1], s[8:9]
	s_cbranch_execz .LBB6_1000
; %bb.991:
	v_lshlrev_b32_e32 v18, 2, v13
	v_lshlrev_b32_e32 v17, 8, v14
	ds_read_b32 v16, v18 offset:2048
	ds_read_b32 v19, v17 offset:2080
	v_cmp_gt_u32_e64 s[10:11], 56, v5
	s_waitcnt lgkmcnt(0)
	v_fma_f32 v16, v16, v19, 0
	s_and_saveexec_b64 s[12:13], s[10:11]
	s_cbranch_execnz .LBB6_1248
; %bb.992:
	s_or_b64 exec, exec, s[12:13]
	v_cmp_gt_u32_e64 s[10:11], 48, v5
	s_and_saveexec_b64 s[12:13], s[10:11]
	s_cbranch_execnz .LBB6_1249
.LBB6_993:
	s_or_b64 exec, exec, s[12:13]
	v_cmp_gt_u32_e64 s[10:11], 40, v5
	s_and_saveexec_b64 s[12:13], s[10:11]
	s_cbranch_execnz .LBB6_1250
.LBB6_994:
	s_or_b64 exec, exec, s[12:13]
	v_cmp_gt_u32_e64 s[10:11], 32, v5
	s_and_saveexec_b64 s[12:13], s[10:11]
	s_cbranch_execnz .LBB6_1251
.LBB6_995:
	s_or_b64 exec, exec, s[12:13]
	v_cmp_gt_u32_e64 s[10:11], 24, v5
	s_and_saveexec_b64 s[12:13], s[10:11]
	s_cbranch_execnz .LBB6_1252
.LBB6_996:
	s_or_b64 exec, exec, s[12:13]
	s_and_saveexec_b64 s[10:11], s[18:19]
	s_cbranch_execnz .LBB6_1253
.LBB6_997:
	s_or_b64 exec, exec, s[10:11]
	v_cmp_gt_u32_e64 s[10:11], 8, v5
	s_and_saveexec_b64 s[12:13], s[10:11]
	s_cbranch_execz .LBB6_999
.LBB6_998:
	v_lshlrev_b32_e32 v17, 2, v0
	v_mov_b32_e32 v18, 0
	ds_read_b32 v17, v17 offset:3840
	ds_read_b32 v18, v18 offset:3900
	s_waitcnt lgkmcnt(0)
	v_fmac_f32_e32 v16, v17, v18
.LBB6_999:
	s_or_b64 exec, exec, s[12:13]
.LBB6_1000:
	s_or_b64 exec, exec, s[0:1]
	s_and_saveexec_b64 s[0:1], s[56:57]
	s_cbranch_execz .LBB6_1002
; %bb.1001:
	v_mov_b32_e32 v17, 0
	ds_read_b32 v17, v17 offset:1820
	s_waitcnt lgkmcnt(0)
	v_mul_f32_e32 v16, v16, v17
	v_xor_b32_e32 v17, 0x80000000, v16
	ds_write_b32 v15, v17
.LBB6_1002:
	s_or_b64 exec, exec, s[0:1]
	s_waitcnt lgkmcnt(0)
	s_barrier
	s_and_saveexec_b64 s[0:1], s[58:59]
	v_readlane_b32 s56, v27, 2
	v_readlane_b32 s57, v27, 3
	s_cbranch_execz .LBB6_1004
; %bb.1003:
	v_lshlrev_b32_e32 v17, 2, v13
	ds_read_b32 v17, v17 offset:1792
	ds_read_b32 v18, v15
	s_waitcnt lgkmcnt(0)
	v_fma_f32 v16, -v17, v18, v16
.LBB6_1004:
	s_or_b64 exec, exec, s[0:1]
	s_barrier
	s_and_saveexec_b64 s[0:1], s[60:61]
	s_cbranch_execz .LBB6_1006
; %bb.1005:
	v_mov_b32_e32 v17, 0
	ds_read_b32 v17, v17 offset:1560
	s_waitcnt lgkmcnt(0)
	v_mul_f32_e32 v16, v16, v17
	v_xor_b32_e32 v17, 0x80000000, v16
	ds_write_b32 v15, v17
.LBB6_1006:
	s_or_b64 exec, exec, s[0:1]
	s_waitcnt lgkmcnt(0)
	s_barrier
	s_and_saveexec_b64 s[0:1], s[62:63]
	s_cbranch_execz .LBB6_1008
; %bb.1007:
	v_lshlrev_b32_e32 v17, 2, v13
	ds_read_b32 v17, v17 offset:1536
	ds_read_b32 v18, v15
	s_waitcnt lgkmcnt(0)
	v_fma_f32 v16, -v17, v18, v16
.LBB6_1008:
	s_or_b64 exec, exec, s[0:1]
	s_barrier
	s_and_saveexec_b64 s[0:1], s[64:65]
	s_cbranch_execz .LBB6_1010
; %bb.1009:
	v_mov_b32_e32 v17, 0
	ds_read_b32 v17, v17 offset:1300
	s_waitcnt lgkmcnt(0)
	v_mul_f32_e32 v16, v16, v17
	v_xor_b32_e32 v17, 0x80000000, v16
	ds_write_b32 v15, v17
.LBB6_1010:
	s_or_b64 exec, exec, s[0:1]
	s_waitcnt lgkmcnt(0)
	s_barrier
	s_and_saveexec_b64 s[0:1], s[68:69]
	;; [unrolled: 24-line block ×6, first 2 shown]
	s_cbranch_execz .LBB6_1028
; %bb.1027:
	v_mov_b32_e32 v17, 0
	ds_read_b32 v17, v17 offset:256
	ds_read_b32 v18, v15
	s_waitcnt lgkmcnt(0)
	v_fma_f32 v16, -v17, v18, v16
.LBB6_1028:
	s_or_b64 exec, exec, s[0:1]
	s_barrier
	s_and_saveexec_b64 s[0:1], s[66:67]
	s_cbranch_execz .LBB6_1030
; %bb.1029:
	v_mov_b32_e32 v17, 0
	ds_read_b32 v17, v17
	s_waitcnt lgkmcnt(0)
	v_mul_f32_e32 v16, v16, v17
	v_xor_b32_e32 v17, 0x80000000, v16
	ds_write_b32 v15, v17
.LBB6_1030:
	s_or_b64 exec, exec, s[0:1]
	s_waitcnt lgkmcnt(0)
	s_barrier
	s_barrier
	s_and_saveexec_b64 s[0:1], s[8:9]
; %bb.1031:
	v_lshlrev_b32_e32 v13, 2, v13
	v_lshl_or_b32 v13, v14, 8, v13
	ds_write_b32 v13, v16 offset:2048
; %bb.1032:
	s_or_b64 exec, exec, s[0:1]
	s_waitcnt lgkmcnt(0)
	s_barrier
	s_barrier
	s_and_saveexec_b64 s[0:1], s[84:85]
	s_cbranch_execz .LBB6_1034
; %bb.1033:
	v_lshlrev_b32_e32 v13, 8, v0
	ds_read_b32 v14, v13 offset:2048
	s_movk_i32 s8, 0xff04
	v_mad_i32_i24 v15, v0, s8, v13
	s_waitcnt lgkmcnt(0)
	ds_write_b32 v15, v14 offset:32
	ds_read_b32 v14, v13 offset:2052
	s_waitcnt lgkmcnt(0)
	ds_write_b32 v15, v14 offset:288
	ds_read_b32 v14, v13 offset:2056
	;; [unrolled: 3-line block ×7, first 2 shown]
	s_waitcnt lgkmcnt(0)
	ds_write_b32 v15, v13 offset:1824
.LBB6_1034:
	s_or_b64 exec, exec, s[0:1]
	s_waitcnt lgkmcnt(0)
	s_barrier
	s_and_saveexec_b64 s[0:1], vcc
	s_cbranch_execz .LBB6_1036
; %bb.1035:
	v_mov_b32_e32 v15, 0
	ds_read_b64 v[13:14], v15 offset:1816
	ds_read_b32 v15, v15 offset:1560
	s_movk_i32 s8, 0x400
	s_waitcnt lgkmcnt(0)
	v_mul_f32_e32 v14, v15, v14
	v_mul_f32_e32 v13, v13, v14
	v_add_u32_e64 v14, s8, 0
	ds_write2_b32 v14, v13, v13 offset0:135 offset1:198
.LBB6_1036:
	s_or_b64 exec, exec, s[0:1]
	v_mov_b32_e32 v13, 0
	s_waitcnt lgkmcnt(0)
	s_barrier
	buffer_wbinvl1_vol
	s_and_saveexec_b64 s[0:1], s[2:3]
	s_cbranch_execz .LBB6_1040
; %bb.1037:
	v_lshlrev_b32_e32 v13, 8, v3
	v_lshlrev_b32_e32 v14, 2, v1
	ds_read_b32 v15, v14 offset:1552
	ds_read_b32 v13, v13 offset:1560
	v_mov_b32_e32 v14, 0
	v_cmp_gt_u32_e64 s[8:9], 2, v5
	s_waitcnt lgkmcnt(0)
	v_fma_f32 v13, v15, v13, 0
	s_and_saveexec_b64 s[10:11], s[8:9]
	s_cbranch_execz .LBB6_1039
; %bb.1038:
	v_lshlrev_b32_e32 v15, 2, v0
	ds_read_b32 v15, v15 offset:1808
	ds_read_b32 v14, v14 offset:1820
	s_waitcnt lgkmcnt(0)
	v_fmac_f32_e32 v13, v15, v14
.LBB6_1039:
	s_or_b64 exec, exec, s[10:11]
.LBB6_1040:
	s_or_b64 exec, exec, s[0:1]
	s_and_saveexec_b64 s[0:1], s[28:29]
	s_cbranch_execz .LBB6_1042
; %bb.1041:
	v_mov_b32_e32 v14, 0
	ds_read_b32 v14, v14 offset:1300
	s_waitcnt lgkmcnt(0)
	v_mul_f32_e32 v13, v13, v14
	v_xor_b32_e32 v14, 0x80000000, v13
	ds_write_b32 v4, v14
.LBB6_1042:
	s_or_b64 exec, exec, s[0:1]
	s_waitcnt lgkmcnt(0)
	s_barrier
	s_and_saveexec_b64 s[0:1], s[26:27]
	s_cbranch_execz .LBB6_1044
; %bb.1043:
	v_mov_b32_e32 v14, 0
	ds_read_b32 v14, v14 offset:1296
	ds_read_b32 v15, v4
	s_waitcnt lgkmcnt(0)
	v_fma_f32 v13, -v14, v15, v13
.LBB6_1044:
	s_or_b64 exec, exec, s[0:1]
	s_barrier
	s_and_saveexec_b64 s[0:1], s[26:27]
	s_cbranch_execz .LBB6_1046
; %bb.1045:
	v_mov_b32_e32 v14, 0
	ds_read_b32 v14, v14 offset:1040
	s_waitcnt lgkmcnt(0)
	v_mul_f32_e32 v13, v13, v14
	v_xor_b32_e32 v14, 0x80000000, v13
	ds_write_b32 v4, v14
.LBB6_1046:
	s_or_b64 exec, exec, s[0:1]
	s_waitcnt lgkmcnt(0)
	s_barrier
	s_barrier
	s_and_saveexec_b64 s[0:1], s[2:3]
; %bb.1047:
	v_lshlrev_b32_e32 v14, 2, v1
	v_lshl_or_b32 v14, v3, 8, v14
	ds_write_b32 v14, v13 offset:1552
; %bb.1048:
	s_or_b64 exec, exec, s[0:1]
	s_waitcnt lgkmcnt(0)
	s_barrier
	s_barrier
	s_and_saveexec_b64 s[0:1], s[30:31]
	s_cbranch_execz .LBB6_1050
; %bb.1049:
	v_lshlrev_b32_e32 v13, 2, v0
	s_movk_i32 s8, 0xfc
	v_mad_u32_u24 v14, v0, s8, v13
	ds_read_b32 v15, v14 offset:1552
	s_waitcnt lgkmcnt(0)
	ds_write_b32 v13, v15 offset:1048
	ds_read_b32 v14, v14 offset:1556
	s_waitcnt lgkmcnt(0)
	ds_write_b32 v13, v14 offset:1304
.LBB6_1050:
	s_or_b64 exec, exec, s[0:1]
	s_waitcnt lgkmcnt(0)
	s_barrier
	s_and_saveexec_b64 s[0:1], vcc
	s_cbranch_execz .LBB6_1052
; %bb.1051:
	v_mov_b32_e32 v15, 0
	ds_read_b64 v[13:14], v15 offset:1296
	ds_read_b32 v15, v15 offset:1040
	s_movk_i32 s8, 0x400
	s_waitcnt lgkmcnt(0)
	v_mul_f32_e32 v14, v15, v14
	v_mul_f32_e32 v13, v13, v14
	v_add_u32_e64 v14, s8, 0
	ds_write2_b32 v14, v13, v13 offset0:5 offset1:68
.LBB6_1052:
	s_or_b64 exec, exec, s[0:1]
	v_mov_b32_e32 v13, 0
	s_waitcnt lgkmcnt(0)
	s_barrier
	buffer_wbinvl1_vol
	s_and_saveexec_b64 s[0:1], s[18:19]
	s_cbranch_execz .LBB6_1058
; %bb.1053:
	v_lshlrev_b32_e32 v15, 2, v6
	v_lshlrev_b32_e32 v14, 8, v11
	ds_read_b32 v13, v15 offset:1024
	ds_read_b32 v16, v14 offset:1040
	v_cmp_gt_u32_e64 s[8:9], 12, v5
	s_waitcnt lgkmcnt(0)
	v_fma_f32 v13, v13, v16, 0
	s_and_saveexec_b64 s[10:11], s[8:9]
	s_cbranch_execnz .LBB6_1254
; %bb.1054:
	s_or_b64 exec, exec, s[10:11]
	v_cmp_gt_u32_e64 s[8:9], 8, v5
	s_and_saveexec_b64 s[10:11], s[8:9]
	s_cbranch_execnz .LBB6_1255
.LBB6_1055:
	s_or_b64 exec, exec, s[10:11]
	v_cmp_gt_u32_e64 s[8:9], 4, v5
	s_and_saveexec_b64 s[10:11], s[8:9]
	s_cbranch_execz .LBB6_1057
.LBB6_1056:
	v_lshlrev_b32_e32 v14, 2, v0
	v_mov_b32_e32 v15, 0
	ds_read_b32 v14, v14 offset:1792
	ds_read_b32 v15, v15 offset:1820
	s_waitcnt lgkmcnt(0)
	v_fmac_f32_e32 v13, v14, v15
.LBB6_1057:
	s_or_b64 exec, exec, s[10:11]
.LBB6_1058:
	s_or_b64 exec, exec, s[0:1]
	s_and_saveexec_b64 s[0:1], s[36:37]
	s_cbranch_execz .LBB6_1060
; %bb.1059:
	v_mov_b32_e32 v14, 0
	ds_read_b32 v14, v14 offset:780
	s_waitcnt lgkmcnt(0)
	v_mul_f32_e32 v13, v13, v14
	v_xor_b32_e32 v14, 0x80000000, v13
	ds_write_b32 v12, v14
.LBB6_1060:
	s_or_b64 exec, exec, s[0:1]
	s_waitcnt lgkmcnt(0)
	s_barrier
	s_and_saveexec_b64 s[0:1], s[38:39]
	v_readlane_b32 s36, v27, 1
	v_readlane_b32 s37, v27, 0
	s_cbranch_execz .LBB6_1062
; %bb.1061:
	v_lshlrev_b32_e32 v14, 2, v6
	ds_read_b32 v14, v14 offset:768
	ds_read_b32 v15, v12
	s_waitcnt lgkmcnt(0)
	v_fma_f32 v13, -v14, v15, v13
.LBB6_1062:
	s_or_b64 exec, exec, s[0:1]
	s_barrier
	s_and_saveexec_b64 s[0:1], s[42:43]
	s_cbranch_execz .LBB6_1064
; %bb.1063:
	v_mov_b32_e32 v14, 0
	ds_read_b32 v14, v14 offset:520
	s_waitcnt lgkmcnt(0)
	v_mul_f32_e32 v13, v13, v14
	v_xor_b32_e32 v14, 0x80000000, v13
	ds_write_b32 v12, v14
.LBB6_1064:
	s_or_b64 exec, exec, s[0:1]
	s_waitcnt lgkmcnt(0)
	s_barrier
	s_and_saveexec_b64 s[0:1], s[44:45]
	s_cbranch_execz .LBB6_1066
; %bb.1065:
	v_lshlrev_b32_e32 v14, 2, v6
	ds_read_b32 v14, v14 offset:512
	ds_read_b32 v15, v12
	s_waitcnt lgkmcnt(0)
	v_fma_f32 v13, -v14, v15, v13
.LBB6_1066:
	s_or_b64 exec, exec, s[0:1]
	s_barrier
	s_and_saveexec_b64 s[0:1], s[52:53]
	s_cbranch_execz .LBB6_1068
; %bb.1067:
	v_mov_b32_e32 v14, 0
	ds_read_b32 v14, v14 offset:260
	s_waitcnt lgkmcnt(0)
	v_mul_f32_e32 v13, v13, v14
	v_xor_b32_e32 v14, 0x80000000, v13
	ds_write_b32 v12, v14
.LBB6_1068:
	s_or_b64 exec, exec, s[0:1]
	s_waitcnt lgkmcnt(0)
	s_barrier
	s_and_saveexec_b64 s[0:1], s[34:35]
	s_cbranch_execz .LBB6_1070
; %bb.1069:
	v_mov_b32_e32 v14, 0
	ds_read_b32 v14, v14 offset:256
	ds_read_b32 v15, v12
	s_waitcnt lgkmcnt(0)
	v_fma_f32 v13, -v14, v15, v13
.LBB6_1070:
	s_or_b64 exec, exec, s[0:1]
	s_barrier
	s_and_saveexec_b64 s[0:1], s[34:35]
	s_cbranch_execz .LBB6_1072
; %bb.1071:
	v_mov_b32_e32 v14, 0
	ds_read_b32 v14, v14
	s_waitcnt lgkmcnt(0)
	v_mul_f32_e32 v13, v13, v14
	v_xor_b32_e32 v14, 0x80000000, v13
	ds_write_b32 v12, v14
.LBB6_1072:
	s_or_b64 exec, exec, s[0:1]
	s_waitcnt lgkmcnt(0)
	s_barrier
	s_barrier
	s_and_saveexec_b64 s[0:1], s[18:19]
; %bb.1073:
	v_lshlrev_b32_e32 v6, 2, v6
	v_lshl_or_b32 v6, v11, 8, v6
	ds_write_b32 v6, v13 offset:1024
; %bb.1074:
	s_or_b64 exec, exec, s[0:1]
	s_waitcnt lgkmcnt(0)
	s_barrier
	s_barrier
	s_and_saveexec_b64 s[0:1], s[54:55]
	s_cbranch_execz .LBB6_1076
; %bb.1075:
	v_lshlrev_b32_e32 v6, 8, v0
	ds_read_b32 v11, v6 offset:1024
	s_movk_i32 s8, 0xff04
	v_mad_i32_i24 v12, v0, s8, v6
	s_waitcnt lgkmcnt(0)
	ds_write_b32 v12, v11 offset:16
	ds_read_b32 v11, v6 offset:1028
	s_waitcnt lgkmcnt(0)
	ds_write_b32 v12, v11 offset:272
	ds_read_b32 v11, v6 offset:1032
	;; [unrolled: 3-line block ×3, first 2 shown]
	s_waitcnt lgkmcnt(0)
	ds_write_b32 v12, v6 offset:784
.LBB6_1076:
	s_or_b64 exec, exec, s[0:1]
	s_waitcnt lgkmcnt(0)
	s_barrier
	s_and_saveexec_b64 s[0:1], vcc
	s_cbranch_execz .LBB6_1078
; %bb.1077:
	v_mov_b32_e32 v6, 0
	ds_read_b64 v[11:12], v6 offset:776
	ds_read_b32 v13, v6 offset:520
	s_waitcnt lgkmcnt(0)
	v_mul_f32_e32 v12, v13, v12
	v_mul_f32_e32 v11, v11, v12
	ds_write2_b32 v6, v11, v11 offset0:131 offset1:194
.LBB6_1078:
	s_or_b64 exec, exec, s[0:1]
	v_mov_b32_e32 v6, 0
	s_waitcnt lgkmcnt(0)
	s_barrier
	buffer_wbinvl1_vol
	s_and_saveexec_b64 s[0:1], s[2:3]
	s_cbranch_execz .LBB6_1082
; %bb.1079:
	v_lshlrev_b32_e32 v6, 8, v3
	v_lshlrev_b32_e32 v11, 2, v1
	ds_read_b32 v12, v11 offset:512
	ds_read_b32 v6, v6 offset:520
	v_mov_b32_e32 v11, 0
	v_cmp_gt_u32_e64 s[8:9], 2, v5
	s_waitcnt lgkmcnt(0)
	v_fma_f32 v6, v12, v6, 0
	s_and_saveexec_b64 s[10:11], s[8:9]
	s_cbranch_execz .LBB6_1081
; %bb.1080:
	v_lshlrev_b32_e32 v5, 2, v0
	ds_read_b32 v5, v5 offset:768
	ds_read_b32 v11, v11 offset:780
	s_waitcnt lgkmcnt(0)
	v_fmac_f32_e32 v6, v5, v11
.LBB6_1081:
	s_or_b64 exec, exec, s[10:11]
.LBB6_1082:
	s_or_b64 exec, exec, s[0:1]
	s_and_saveexec_b64 s[0:1], s[28:29]
	s_cbranch_execz .LBB6_1084
; %bb.1083:
	v_mov_b32_e32 v5, 0
	ds_read_b32 v5, v5 offset:260
	s_waitcnt lgkmcnt(0)
	v_mul_f32_e32 v6, v6, v5
	v_xor_b32_e32 v5, 0x80000000, v6
	ds_write_b32 v4, v5
.LBB6_1084:
	s_or_b64 exec, exec, s[0:1]
	s_waitcnt lgkmcnt(0)
	s_barrier
	s_and_saveexec_b64 s[0:1], s[26:27]
	s_cbranch_execz .LBB6_1086
; %bb.1085:
	v_mov_b32_e32 v5, 0
	ds_read_b32 v5, v5 offset:256
	ds_read_b32 v11, v4
	s_waitcnt lgkmcnt(0)
	v_fma_f32 v6, -v5, v11, v6
.LBB6_1086:
	s_or_b64 exec, exec, s[0:1]
	s_barrier
	s_and_saveexec_b64 s[0:1], s[26:27]
	s_cbranch_execz .LBB6_1088
; %bb.1087:
	v_mov_b32_e32 v5, 0
	ds_read_b32 v5, v5
	s_waitcnt lgkmcnt(0)
	v_mul_f32_e32 v6, v6, v5
	v_xor_b32_e32 v5, 0x80000000, v6
	ds_write_b32 v4, v5
.LBB6_1088:
	s_or_b64 exec, exec, s[0:1]
	s_waitcnt lgkmcnt(0)
	s_barrier
	s_barrier
	s_and_saveexec_b64 s[0:1], s[2:3]
; %bb.1089:
	v_lshlrev_b32_e32 v1, 2, v1
	v_lshl_or_b32 v1, v3, 8, v1
	ds_write_b32 v1, v6 offset:512
; %bb.1090:
	s_or_b64 exec, exec, s[0:1]
	s_waitcnt lgkmcnt(0)
	s_barrier
	s_barrier
	s_and_saveexec_b64 s[0:1], s[30:31]
	s_cbranch_execz .LBB6_1092
; %bb.1091:
	v_lshlrev_b32_e32 v1, 2, v0
	s_movk_i32 s2, 0xfc
	v_mad_u32_u24 v3, v0, s2, v1
	ds_read_b32 v4, v3 offset:512
	s_waitcnt lgkmcnt(0)
	ds_write_b32 v1, v4 offset:8
	ds_read_b32 v3, v3 offset:516
	s_waitcnt lgkmcnt(0)
	ds_write_b32 v1, v3 offset:264
.LBB6_1092:
	s_or_b64 exec, exec, s[0:1]
	s_waitcnt lgkmcnt(0)
	s_barrier
	s_and_saveexec_b64 s[0:1], vcc
	s_cbranch_execz .LBB6_1094
; %bb.1093:
	v_mov_b32_e32 v1, 0
	ds_read_b64 v[3:4], v1 offset:256
	ds_read_b32 v5, v1
	s_waitcnt lgkmcnt(0)
	v_mul_f32_e32 v4, v5, v4
	v_mul_f32_e32 v3, v3, v4
	ds_write2_b32 v1, v3, v3 offset0:1 offset1:64
.LBB6_1094:
	s_or_b64 exec, exec, s[0:1]
.LBB6_1095:
	s_load_dwordx4 s[12:15], s[4:5], 0x48
	v_cmp_le_i32_e32 vcc, s86, v0
	v_mov_b32_e32 v12, 0
	v_add_u32_e32 v3, s33, v0
	s_waitcnt lgkmcnt(0)
	s_mul_i32 s1, s13, s22
	s_mul_hi_u32 s2, s12, s22
	s_mul_i32 s0, s12, s22
	s_add_i32 s1, s2, s1
	s_lshl_b64 s[0:1], s[0:1], 2
	s_add_u32 s2, s46, s0
	s_addc_u32 s3, s47, s1
	s_lshl_b64 s[0:1], s[48:49], 2
	s_add_u32 s20, s2, s0
	s_addc_u32 s21, s3, s1
	s_and_b64 s[16:17], vcc, s[24:25]
	v_cmp_eq_u32_e64 s[2:3], 0, v2
	s_xor_b64 s[0:1], s[16:17], -1
	s_and_b64 s[4:5], s[2:3], s[0:1]
	s_barrier
	s_and_saveexec_b64 s[0:1], s[4:5]
	s_cbranch_execz .LBB6_1097
; %bb.1096:
	v_ashrrev_i32_e32 v1, 31, v3
	v_mul_lo_u32 v6, s51, v3
	v_mad_u64_u32 v[4:5], s[4:5], s50, v3, 0
	v_mul_lo_u32 v1, s50, v1
	v_add3_u32 v5, v5, v1, v6
	v_lshlrev_b64 v[4:5], 2, v[4:5]
	v_mov_b32_e32 v1, s21
	v_add_co_u32_e32 v4, vcc, s20, v4
	v_addc_co_u32_e32 v5, vcc, v1, v5, vcc
	global_load_dword v1, v[4:5], off
	s_waitcnt vmcnt(0)
	v_mul_f32_e64 v12, v1, -s37
.LBB6_1097:
	s_or_b64 exec, exec, s[0:1]
	s_and_b32 s0, 0xffff, s89
	v_mad_u32_u24 v11, v2, s0, v0
	s_cmp_lt_i32 s6, 1
	v_cmp_eq_u32_e64 s[4:5], 0, v11
	s_cbranch_scc1 .LBB6_1123
; %bb.1098:
	v_mad_u64_u32 v[4:5], s[0:1], s40, v3, 0
	v_cmp_gt_i32_e64 s[8:9], s7, v3
	s_mov_b32 s26, 0
	v_mov_b32_e32 v1, v5
	v_mad_u64_u32 v[5:6], s[0:1], s41, v3, v[1:2]
	s_lshl_b64 s[0:1], s[22:23], 2
	s_add_u32 s0, s14, s0
	v_lshlrev_b64 v[3:4], 2, v[4:5]
	v_mov_b32_e32 v6, 0x5000
	v_mov_b32_e32 v5, s88
	v_add_co_u32_e32 v14, vcc, s87, v3
	s_addc_u32 s1, s15, s1
	v_cmp_gt_u32_e64 s[12:13], 64, v11
	v_lshl_add_u32 v1, v11, 2, v6
	v_lshl_or_b32 v13, v2, 2, v6
	s_add_i32 s27, s6, -1
	v_addc_co_u32_e32 v15, vcc, v5, v4, vcc
	v_mov_b32_e32 v16, -1
	v_mov_b32_e32 v4, 0
	s_branch .LBB6_1101
.LBB6_1099:                             ;   in Loop: Header=BB6_1101 Depth=1
	ds_read_b32 v5, v13 offset:192
	s_waitcnt vmcnt(0) lgkmcnt(0)
	v_fmac_f32_e32 v12, v3, v5
.LBB6_1100:                             ;   in Loop: Header=BB6_1101 Depth=1
	s_or_b64 exec, exec, s[18:19]
	s_add_i32 s26, s26, 1
	s_cmp_eq_u32 s26, s6
	s_cbranch_scc1 .LBB6_1123
.LBB6_1101:                             ; =>This Loop Header: Depth=1
                                        ;     Child Loop BB6_1103 Depth 2
	v_cmp_gt_i32_e32 vcc, s26, v16
	s_and_b64 s[18:19], s[4:5], vcc
	s_and_saveexec_b64 s[10:11], s[18:19]
	s_cbranch_execz .LBB6_1104
; %bb.1102:                             ;   in Loop: Header=BB6_1101 Depth=1
	global_load_dword v16, v4, s[0:1]
	s_waitcnt vmcnt(0)
	v_cmp_le_i32_e32 vcc, s26, v16
	s_cbranch_vccnz .LBB6_1104
.LBB6_1103:                             ;   Parent Loop BB6_1101 Depth=1
                                        ; =>  This Inner Loop Header: Depth=2
	buffer_wbinvl1_vol
	global_load_dword v16, v4, s[0:1]
	s_waitcnt vmcnt(0)
	v_cmp_gt_i32_e32 vcc, s26, v16
	s_cbranch_vccnz .LBB6_1103
.LBB6_1104:                             ;   in Loop: Header=BB6_1101 Depth=1
	s_or_b64 exec, exec, s[10:11]
	s_lshl_b32 s28, s26, 6
	buffer_wbinvl1_vol
	s_barrier
	s_and_saveexec_b64 s[10:11], s[12:13]
	s_cbranch_execz .LBB6_1108
; %bb.1105:                             ;   in Loop: Header=BB6_1101 Depth=1
	v_or_b32_e32 v5, s28, v11
	v_cmp_gt_i32_e32 vcc, s7, v5
	v_mov_b32_e32 v3, 0
	s_and_saveexec_b64 s[18:19], vcc
	s_cbranch_execz .LBB6_1107
; %bb.1106:                             ;   in Loop: Header=BB6_1101 Depth=1
	v_mad_u64_u32 v[17:18], s[30:31], s50, v5, 0
	v_mov_b32_e32 v3, v18
	v_mad_u64_u32 v[5:6], s[30:31], s51, v5, v[3:4]
	v_mov_b32_e32 v3, s21
	v_mov_b32_e32 v18, v5
	v_lshlrev_b64 v[5:6], 2, v[17:18]
	v_add_co_u32_e32 v5, vcc, s20, v5
	v_addc_co_u32_e32 v6, vcc, v3, v6, vcc
	global_load_dword v3, v[5:6], off
.LBB6_1107:                             ;   in Loop: Header=BB6_1101 Depth=1
	s_or_b64 exec, exec, s[18:19]
	s_waitcnt vmcnt(0)
	ds_write_b32 v1, v3
.LBB6_1108:                             ;   in Loop: Header=BB6_1101 Depth=1
	s_or_b64 exec, exec, s[10:11]
	v_add_u32_e32 v3, s28, v2
	v_lshlrev_b64 v[5:6], 2, v[3:4]
	s_cmp_lg_u32 s26, s27
	v_add_co_u32_e32 v5, vcc, v14, v5
	s_cselect_b64 s[10:11], -1, 0
	v_addc_co_u32_e32 v6, vcc, v15, v6, vcc
	v_cmp_gt_i32_e32 vcc, s7, v3
	v_cndmask_b32_e64 v17, 0, 1, s[10:11]
	s_and_b64 s[28:29], vcc, s[8:9]
	v_cmp_ne_u32_e64 s[10:11], 1, v17
	s_waitcnt lgkmcnt(0)
	s_barrier
	s_and_saveexec_b64 s[18:19], s[28:29]
	s_cbranch_execz .LBB6_1112
; %bb.1109:                             ;   in Loop: Header=BB6_1101 Depth=1
	s_and_b64 vcc, exec, s[10:11]
	v_mov_b32_e32 v17, v8
	s_cbranch_vccnz .LBB6_1111
; %bb.1110:                             ;   in Loop: Header=BB6_1101 Depth=1
	global_load_dword v17, v[5:6], off
.LBB6_1111:                             ;   in Loop: Header=BB6_1101 Depth=1
	ds_read_b32 v18, v13
	s_waitcnt vmcnt(0) lgkmcnt(0)
	v_fmac_f32_e32 v12, v17, v18
.LBB6_1112:                             ;   in Loop: Header=BB6_1101 Depth=1
	s_or_b64 exec, exec, s[18:19]
	v_add_u32_e32 v17, 16, v3
	v_cmp_gt_i32_e32 vcc, s7, v17
	s_and_b64 s[28:29], vcc, s[8:9]
	s_and_saveexec_b64 s[18:19], s[28:29]
	s_cbranch_execz .LBB6_1116
; %bb.1113:                             ;   in Loop: Header=BB6_1101 Depth=1
	s_and_b64 vcc, exec, s[10:11]
	v_mov_b32_e32 v17, v7
	s_cbranch_vccnz .LBB6_1115
; %bb.1114:                             ;   in Loop: Header=BB6_1101 Depth=1
	global_load_dword v17, v[5:6], off offset:64
.LBB6_1115:                             ;   in Loop: Header=BB6_1101 Depth=1
	ds_read_b32 v18, v13 offset:64
	s_waitcnt vmcnt(0) lgkmcnt(0)
	v_fmac_f32_e32 v12, v17, v18
.LBB6_1116:                             ;   in Loop: Header=BB6_1101 Depth=1
	s_or_b64 exec, exec, s[18:19]
	v_add_u32_e32 v17, 32, v3
	v_cmp_gt_i32_e32 vcc, s7, v17
	s_and_b64 s[28:29], vcc, s[8:9]
	s_and_saveexec_b64 s[18:19], s[28:29]
	s_cbranch_execz .LBB6_1120
; %bb.1117:                             ;   in Loop: Header=BB6_1101 Depth=1
	s_and_b64 vcc, exec, s[10:11]
	v_mov_b32_e32 v17, v10
	s_cbranch_vccnz .LBB6_1119
; %bb.1118:                             ;   in Loop: Header=BB6_1101 Depth=1
	global_load_dword v17, v[5:6], off offset:128
.LBB6_1119:                             ;   in Loop: Header=BB6_1101 Depth=1
	ds_read_b32 v18, v13 offset:128
	s_waitcnt vmcnt(0) lgkmcnt(0)
	v_fmac_f32_e32 v12, v17, v18
.LBB6_1120:                             ;   in Loop: Header=BB6_1101 Depth=1
	s_or_b64 exec, exec, s[18:19]
	v_add_u32_e32 v3, 48, v3
	v_cmp_gt_i32_e32 vcc, s7, v3
	s_and_b64 s[28:29], vcc, s[8:9]
	s_and_saveexec_b64 s[18:19], s[28:29]
	s_cbranch_execz .LBB6_1100
; %bb.1121:                             ;   in Loop: Header=BB6_1101 Depth=1
	s_and_b64 vcc, exec, s[10:11]
	v_mov_b32_e32 v3, v9
	s_cbranch_vccnz .LBB6_1099
; %bb.1122:                             ;   in Loop: Header=BB6_1101 Depth=1
	global_load_dword v3, v[5:6], off offset:192
	s_branch .LBB6_1099
.LBB6_1123:
	v_lshl_add_u32 v1, v2, 6, v0
	s_xor_b64 s[0:1], s[24:25], -1
	v_lshlrev_b32_e32 v1, 2, v1
	ds_write_b32 v1, v12 offset:16384
	s_waitcnt lgkmcnt(0)
	s_barrier
	s_and_saveexec_b64 s[4:5], s[2:3]
	s_cbranch_execz .LBB6_1125
; %bb.1124:
	v_lshlrev_b32_e32 v15, 2, v0
	ds_read2st64_b32 v[3:4], v15 offset0:65 offset1:66
	ds_read2st64_b32 v[5:6], v15 offset0:67 offset1:68
	;; [unrolled: 1-line block ×5, first 2 shown]
	s_waitcnt lgkmcnt(4)
	v_add_f32_e32 v3, v12, v3
	v_add_f32_e32 v3, v3, v4
	s_waitcnt lgkmcnt(3)
	v_add_f32_e32 v3, v3, v5
	v_add_f32_e32 v3, v3, v6
	;; [unrolled: 3-line block ×4, first 2 shown]
	ds_read2st64_b32 v[3:4], v15 offset0:75 offset1:76
	ds_read2st64_b32 v[5:6], v15 offset0:77 offset1:78
	ds_read_b32 v8, v15 offset:20224
	s_waitcnt lgkmcnt(3)
	v_add_f32_e32 v7, v7, v13
	v_add_f32_e32 v7, v7, v14
	s_waitcnt lgkmcnt(2)
	v_add_f32_e32 v3, v7, v3
	v_add_f32_e32 v3, v3, v4
	;; [unrolled: 3-line block ×3, first 2 shown]
	s_waitcnt lgkmcnt(0)
	v_add_f32_e32 v3, v3, v8
	v_cndmask_b32_e64 v12, -v3, 0, s[16:17]
.LBB6_1125:
	s_or_b64 exec, exec, s[4:5]
	s_and_b64 vcc, exec, s[56:57]
	s_cbranch_vccnz .LBB6_1138
; %bb.1126:
	v_mov_b32_e32 v3, 0x5000
	v_lshl_or_b32 v4, v2, 2, v3
	s_and_saveexec_b64 s[4:5], s[2:3]
; %bb.1127:
	v_lshl_add_u32 v3, v0, 2, v4
	ds_write_b32 v3, v12
; %bb.1128:
	s_or_b64 exec, exec, s[4:5]
	v_cmp_le_u32_e32 vcc, v2, v0
	v_mov_b32_e32 v3, 0
	s_waitcnt lgkmcnt(0)
	s_barrier
	s_and_saveexec_b64 s[4:5], vcc
	s_cbranch_execz .LBB6_1130
; %bb.1129:
	ds_read_b32 v3, v1
	ds_read_b32 v5, v4
	s_waitcnt lgkmcnt(0)
	v_fma_f32 v3, v3, v5, 0
.LBB6_1130:
	s_or_b64 exec, exec, s[4:5]
	v_add_u32_e32 v5, 16, v2
	v_cmp_ge_u32_e32 vcc, v0, v5
	s_and_saveexec_b64 s[4:5], vcc
	s_cbranch_execz .LBB6_1132
; %bb.1131:
	ds_read_b32 v5, v1 offset:4096
	ds_read_b32 v6, v4 offset:64
	s_waitcnt lgkmcnt(0)
	v_fmac_f32_e32 v3, v5, v6
.LBB6_1132:
	s_or_b64 exec, exec, s[4:5]
	v_add_u32_e32 v5, 32, v2
	v_cmp_ge_u32_e32 vcc, v0, v5
	s_and_saveexec_b64 s[4:5], vcc
	s_cbranch_execz .LBB6_1134
; %bb.1133:
	ds_read_b32 v5, v1 offset:8192
	ds_read_b32 v6, v4 offset:128
	s_waitcnt lgkmcnt(0)
	v_fmac_f32_e32 v3, v5, v6
.LBB6_1134:
	s_or_b64 exec, exec, s[4:5]
	v_add_u32_e32 v2, 48, v2
	v_add_u32_e32 v5, 0x4000, v1
	v_cmp_ge_u32_e32 vcc, v0, v2
	s_and_saveexec_b64 s[4:5], vcc
	s_cbranch_execz .LBB6_1136
; %bb.1135:
	ds_read_b32 v1, v1 offset:12288
	ds_read_b32 v2, v4 offset:192
	s_waitcnt lgkmcnt(0)
	v_fmac_f32_e32 v3, v1, v2
.LBB6_1136:
	s_or_b64 exec, exec, s[4:5]
	s_mov_b64 s[6:7], 0
	s_mov_b64 s[4:5], 0
	ds_write_b32 v5, v3
	s_waitcnt lgkmcnt(0)
	s_barrier
                                        ; implicit-def: $vgpr4
                                        ; implicit-def: $vgpr1_vgpr2
	s_and_saveexec_b64 s[8:9], s[2:3]
	s_cbranch_execz .LBB6_1195
; %bb.1137:
	v_lshlrev_b32_e32 v10, 2, v0
	ds_read2st64_b32 v[1:2], v10 offset0:65 offset1:66
	ds_read2st64_b32 v[4:5], v10 offset0:67 offset1:68
	;; [unrolled: 1-line block ×4, first 2 shown]
	s_mov_b64 s[4:5], exec
	s_waitcnt lgkmcnt(3)
	v_add_f32_e32 v1, v3, v1
	v_add_f32_e32 v1, v2, v1
	s_waitcnt lgkmcnt(2)
	v_add_f32_e32 v1, v4, v1
	v_add_f32_e32 v1, v5, v1
	ds_read2st64_b32 v[2:3], v10 offset0:73 offset1:74
	s_waitcnt lgkmcnt(2)
	v_add_f32_e32 v1, v6, v1
	v_add_f32_e32 v1, v7, v1
	s_waitcnt lgkmcnt(1)
	v_add_f32_e32 v1, v8, v1
	v_add_f32_e32 v1, v9, v1
	ds_read2st64_b32 v[4:5], v10 offset0:75 offset1:76
	ds_read2st64_b32 v[6:7], v10 offset0:77 offset1:78
	ds_read_b32 v8, v10 offset:20224
	v_add_u32_e32 v10, s33, v11
	s_waitcnt lgkmcnt(3)
	v_add_f32_e32 v9, v2, v1
	v_mad_u64_u32 v[1:2], s[10:11], s50, v10, 0
	v_add_f32_e32 v3, v3, v9
	s_waitcnt lgkmcnt(2)
	v_add_f32_e32 v3, v4, v3
	v_add_f32_e32 v4, v5, v3
	v_mad_u64_u32 v[2:3], s[10:11], s51, v10, v[2:3]
	s_waitcnt lgkmcnt(1)
	v_add_f32_e32 v3, v6, v4
	v_add_f32_e32 v3, v7, v3
	s_waitcnt lgkmcnt(0)
	v_add_f32_e32 v4, v8, v3
	s_or_b64 exec, exec, s[8:9]
	s_and_b64 vcc, exec, s[6:7]
	s_cbranch_vccnz .LBB6_1139
	s_branch .LBB6_1196
.LBB6_1138:
	s_mov_b64 s[4:5], 0
                                        ; implicit-def: $vgpr4
                                        ; implicit-def: $vgpr1_vgpr2
	s_cbranch_execz .LBB6_1196
.LBB6_1139:
	v_mul_u32_u24_e32 v1, 0x104, v0
	v_lshlrev_b32_e32 v2, 8, v0
	v_sub_u32_e32 v2, v1, v2
	s_mov_b32 s8, 0
	v_mov_b32_e32 v3, 0
	v_mov_b32_e32 v4, v0
	s_branch .LBB6_1141
.LBB6_1140:                             ;   in Loop: Header=BB6_1141 Depth=1
	s_or_b64 exec, exec, s[6:7]
	s_add_i32 s8, s8, 4
	v_add_u32_e32 v2, 0x400, v2
	s_cmp_lg_u32 s8, 64
	v_add_u32_e32 v4, -4, v4
	s_barrier
	s_cbranch_scc0 .LBB6_1157
.LBB6_1141:                             ; =>This Inner Loop Header: Depth=1
	v_cmp_eq_u32_e32 vcc, 0, v4
	s_and_b64 s[10:11], s[2:3], vcc
	s_and_saveexec_b64 s[6:7], s[10:11]
	s_cbranch_execz .LBB6_1143
; %bb.1142:                             ;   in Loop: Header=BB6_1141 Depth=1
	ds_read_b32 v5, v1
	s_waitcnt lgkmcnt(0)
	v_mul_f32_e32 v12, v12, v5
	ds_write_b32 v3, v12 offset:20736
.LBB6_1143:                             ;   in Loop: Header=BB6_1141 Depth=1
	s_or_b64 exec, exec, s[6:7]
	v_cmp_lt_u32_e32 vcc, s8, v0
	s_and_b64 s[10:11], s[2:3], vcc
	s_waitcnt lgkmcnt(0)
	s_barrier
	s_and_saveexec_b64 s[6:7], s[10:11]
	s_cbranch_execz .LBB6_1145
; %bb.1144:                             ;   in Loop: Header=BB6_1141 Depth=1
	ds_read_b32 v5, v2
	ds_read_b32 v6, v3 offset:20736
	s_waitcnt lgkmcnt(0)
	v_fmac_f32_e32 v12, v5, v6
.LBB6_1145:                             ;   in Loop: Header=BB6_1141 Depth=1
	s_or_b64 exec, exec, s[6:7]
	s_or_b32 s9, s8, 1
	v_cmp_eq_u32_e32 vcc, s9, v0
	s_and_b64 s[10:11], s[2:3], vcc
	s_barrier
	s_and_saveexec_b64 s[6:7], s[10:11]
	s_cbranch_execz .LBB6_1147
; %bb.1146:                             ;   in Loop: Header=BB6_1141 Depth=1
	ds_read_b32 v5, v1
	s_waitcnt lgkmcnt(0)
	v_mul_f32_e32 v12, v12, v5
	ds_write_b32 v3, v12 offset:20736
.LBB6_1147:                             ;   in Loop: Header=BB6_1141 Depth=1
	s_or_b64 exec, exec, s[6:7]
	v_cmp_lt_u32_e32 vcc, s9, v0
	s_and_b64 s[10:11], s[2:3], vcc
	s_waitcnt lgkmcnt(0)
	s_barrier
	s_and_saveexec_b64 s[6:7], s[10:11]
	s_cbranch_execz .LBB6_1149
; %bb.1148:                             ;   in Loop: Header=BB6_1141 Depth=1
	ds_read_b32 v5, v2 offset:256
	ds_read_b32 v6, v3 offset:20736
	s_waitcnt lgkmcnt(0)
	v_fmac_f32_e32 v12, v5, v6
.LBB6_1149:                             ;   in Loop: Header=BB6_1141 Depth=1
	s_or_b64 exec, exec, s[6:7]
	s_or_b32 s9, s8, 2
	v_cmp_eq_u32_e32 vcc, s9, v0
	s_and_b64 s[10:11], s[2:3], vcc
	s_barrier
	s_and_saveexec_b64 s[6:7], s[10:11]
	s_cbranch_execz .LBB6_1151
; %bb.1150:                             ;   in Loop: Header=BB6_1141 Depth=1
	ds_read_b32 v5, v1
	s_waitcnt lgkmcnt(0)
	v_mul_f32_e32 v12, v12, v5
	ds_write_b32 v3, v12 offset:20736
.LBB6_1151:                             ;   in Loop: Header=BB6_1141 Depth=1
	s_or_b64 exec, exec, s[6:7]
	v_cmp_lt_u32_e32 vcc, s9, v0
	s_and_b64 s[10:11], s[2:3], vcc
	s_waitcnt lgkmcnt(0)
	s_barrier
	s_and_saveexec_b64 s[6:7], s[10:11]
	s_cbranch_execz .LBB6_1153
; %bb.1152:                             ;   in Loop: Header=BB6_1141 Depth=1
	ds_read_b32 v5, v2 offset:512
	ds_read_b32 v6, v3 offset:20736
	s_waitcnt lgkmcnt(0)
	v_fmac_f32_e32 v12, v5, v6
.LBB6_1153:                             ;   in Loop: Header=BB6_1141 Depth=1
	s_or_b64 exec, exec, s[6:7]
	s_or_b32 s9, s8, 3
	v_cmp_eq_u32_e32 vcc, s9, v0
	s_and_b64 s[10:11], s[2:3], vcc
	s_barrier
	s_and_saveexec_b64 s[6:7], s[10:11]
	s_cbranch_execz .LBB6_1155
; %bb.1154:                             ;   in Loop: Header=BB6_1141 Depth=1
	ds_read_b32 v5, v1
	s_waitcnt lgkmcnt(0)
	v_mul_f32_e32 v12, v12, v5
	ds_write_b32 v3, v12 offset:20736
.LBB6_1155:                             ;   in Loop: Header=BB6_1141 Depth=1
	s_or_b64 exec, exec, s[6:7]
	v_cmp_lt_u32_e32 vcc, s9, v0
	s_and_b64 s[10:11], s[2:3], vcc
	s_waitcnt lgkmcnt(0)
	s_barrier
	s_and_saveexec_b64 s[6:7], s[10:11]
	s_cbranch_execz .LBB6_1140
; %bb.1156:                             ;   in Loop: Header=BB6_1141 Depth=1
	ds_read_b32 v5, v2 offset:768
	ds_read_b32 v6, v3 offset:20736
	s_waitcnt lgkmcnt(0)
	v_fmac_f32_e32 v12, v5, v6
	s_branch .LBB6_1140
.LBB6_1157:
	s_and_b64 vcc, exec, s[0:1]
	s_cbranch_vccz .LBB6_1197
; %bb.1158:
	s_and_b64 s[0:1], s[2:3], exec
	s_cbranch_execz .LBB6_1198
	s_branch .LBB6_1199
.LBB6_1159:
	v_cmp_ne_u32_e32 vcc, v0, v2
	s_and_saveexec_b64 s[12:13], vcc
	s_xor_b64 s[12:13], exec, s[12:13]
; %bb.1160:
	v_or_b32_e32 v1, v2, v0
	v_cmp_gt_u32_e32 vcc, 64, v1
	s_and_b64 s[10:11], vcc, exec
                                        ; implicit-def: $vgpr5_vgpr6
; %bb.1161:
	s_or_saveexec_b64 s[12:13], s[12:13]
	v_mov_b32_e32 v1, 0
	s_xor_b64 exec, exec, s[12:13]
	s_cbranch_execz .LBB6_1163
; %bb.1162:
	v_lshlrev_b64 v[5:6], 2, v[5:6]
	v_mov_b32_e32 v1, s88
	v_add_co_u32_e32 v5, vcc, s87, v5
	v_addc_co_u32_e32 v6, vcc, v1, v6, vcc
	global_load_dword v1, v[5:6], off
	s_or_b64 s[10:11], s[10:11], exec
	s_waitcnt vmcnt(0)
	v_div_scale_f32 v5, s[14:15], v1, v1, 1.0
	v_div_scale_f32 v6, vcc, 1.0, v1, 1.0
	v_rcp_f32_e32 v12, v5
	v_fma_f32 v13, -v5, v12, 1.0
	v_fmac_f32_e32 v12, v13, v12
	v_mul_f32_e32 v13, v6, v12
	v_fma_f32 v14, -v5, v13, v6
	v_fmac_f32_e32 v13, v14, v12
	v_fma_f32 v5, -v5, v13, v6
	v_div_fmas_f32 v5, v5, v12, v13
	v_div_fixup_f32 v1, v5, v1, 1.0
.LBB6_1163:
	s_or_b64 exec, exec, s[12:13]
	s_and_b64 s[10:11], s[10:11], exec
                                        ; implicit-def: $vgpr5_vgpr6
	s_andn2_saveexec_b64 s[8:9], s[8:9]
	s_cbranch_execz .LBB6_14
.LBB6_1164:
	v_lshlrev_b64 v[5:6], 2, v[5:6]
	v_mov_b32_e32 v1, s88
	v_add_co_u32_e32 v5, vcc, s87, v5
	v_addc_co_u32_e32 v6, vcc, v1, v6, vcc
	global_load_dword v1, v[5:6], off
	s_or_b64 s[10:11], s[10:11], exec
	s_waitcnt vmcnt(0)
	v_xor_b32_e32 v1, 0x80000000, v1
	s_or_b64 exec, exec, s[8:9]
	s_and_saveexec_b64 s[8:9], s[10:11]
	s_cbranch_execnz .LBB6_15
	s_branch .LBB6_16
.LBB6_1165:
	v_cmp_ne_u32_e32 vcc, v0, v1
	s_and_saveexec_b64 s[10:11], vcc
	s_xor_b64 s[10:11], exec, s[10:11]
; %bb.1166:
	v_or_b32_e32 v5, v1, v0
	v_cmp_gt_u32_e32 vcc, 64, v5
	s_and_b64 s[8:9], vcc, exec
                                        ; implicit-def: $vgpr5_vgpr6
; %bb.1167:
	s_or_saveexec_b64 s[10:11], s[10:11]
	v_mov_b32_e32 v12, 0
	s_xor_b64 exec, exec, s[10:11]
	s_cbranch_execz .LBB6_1169
; %bb.1168:
	v_lshlrev_b64 v[5:6], 2, v[5:6]
	v_mov_b32_e32 v12, s88
	v_add_co_u32_e32 v5, vcc, s87, v5
	v_addc_co_u32_e32 v6, vcc, v12, v6, vcc
	global_load_dword v5, v[5:6], off
	s_or_b64 s[8:9], s[8:9], exec
	s_waitcnt vmcnt(0)
	v_div_scale_f32 v6, s[12:13], v5, v5, 1.0
	v_div_scale_f32 v12, vcc, 1.0, v5, 1.0
	v_rcp_f32_e32 v13, v6
	v_fma_f32 v14, -v6, v13, 1.0
	v_fmac_f32_e32 v13, v14, v13
	v_mul_f32_e32 v14, v12, v13
	v_fma_f32 v15, -v6, v14, v12
	v_fmac_f32_e32 v14, v15, v13
	v_fma_f32 v6, -v6, v14, v12
	v_div_fmas_f32 v6, v6, v13, v14
	v_div_fixup_f32 v12, v6, v5, 1.0
.LBB6_1169:
	s_or_b64 exec, exec, s[10:11]
	s_and_b64 s[8:9], s[8:9], exec
                                        ; implicit-def: $vgpr5_vgpr6
	s_andn2_saveexec_b64 s[2:3], s[2:3]
	s_cbranch_execz .LBB6_18
.LBB6_1170:
	v_lshlrev_b64 v[5:6], 2, v[5:6]
	v_mov_b32_e32 v12, s88
	v_add_co_u32_e32 v5, vcc, s87, v5
	v_addc_co_u32_e32 v6, vcc, v12, v6, vcc
	global_load_dword v5, v[5:6], off
	s_or_b64 s[8:9], s[8:9], exec
	s_waitcnt vmcnt(0)
	v_xor_b32_e32 v12, 0x80000000, v5
	s_or_b64 exec, exec, s[2:3]
	s_and_saveexec_b64 s[2:3], s[8:9]
	s_cbranch_execnz .LBB6_19
	s_branch .LBB6_20
.LBB6_1171:
	v_cmp_ne_u32_e32 vcc, v0, v1
	s_and_saveexec_b64 s[10:11], vcc
	s_xor_b64 s[10:11], exec, s[10:11]
; %bb.1172:
	v_or_b32_e32 v5, v1, v0
	v_cmp_gt_u32_e32 vcc, 64, v5
	s_and_b64 s[8:9], vcc, exec
                                        ; implicit-def: $vgpr5_vgpr6
; %bb.1173:
	s_or_saveexec_b64 s[10:11], s[10:11]
	v_mov_b32_e32 v12, 0
	s_xor_b64 exec, exec, s[10:11]
	s_cbranch_execz .LBB6_1175
; %bb.1174:
	v_lshlrev_b64 v[5:6], 2, v[5:6]
	v_mov_b32_e32 v12, s88
	v_add_co_u32_e32 v5, vcc, s87, v5
	v_addc_co_u32_e32 v6, vcc, v12, v6, vcc
	global_load_dword v5, v[5:6], off
	s_or_b64 s[8:9], s[8:9], exec
	s_waitcnt vmcnt(0)
	v_div_scale_f32 v6, s[12:13], v5, v5, 1.0
	v_div_scale_f32 v12, vcc, 1.0, v5, 1.0
	v_rcp_f32_e32 v13, v6
	v_fma_f32 v14, -v6, v13, 1.0
	v_fmac_f32_e32 v13, v14, v13
	v_mul_f32_e32 v14, v12, v13
	v_fma_f32 v15, -v6, v14, v12
	v_fmac_f32_e32 v14, v15, v13
	v_fma_f32 v6, -v6, v14, v12
	v_div_fmas_f32 v6, v6, v13, v14
	v_div_fixup_f32 v12, v6, v5, 1.0
.LBB6_1175:
	s_or_b64 exec, exec, s[10:11]
	s_and_b64 s[8:9], s[8:9], exec
                                        ; implicit-def: $vgpr5_vgpr6
	s_andn2_saveexec_b64 s[2:3], s[2:3]
	s_cbranch_execz .LBB6_22
.LBB6_1176:
	v_lshlrev_b64 v[5:6], 2, v[5:6]
	v_mov_b32_e32 v12, s88
	v_add_co_u32_e32 v5, vcc, s87, v5
	v_addc_co_u32_e32 v6, vcc, v12, v6, vcc
	global_load_dword v5, v[5:6], off
	s_or_b64 s[8:9], s[8:9], exec
	s_waitcnt vmcnt(0)
	v_xor_b32_e32 v12, 0x80000000, v5
	s_or_b64 exec, exec, s[2:3]
	s_and_saveexec_b64 s[2:3], s[8:9]
	s_cbranch_execnz .LBB6_23
	s_branch .LBB6_24
.LBB6_1177:
	v_cmp_ne_u32_e32 vcc, v0, v2
	s_xor_b64 s[12:13], s[2:3], -1
	s_or_b64 s[14:15], s[12:13], vcc
	s_mov_b64 s[12:13], 0
	s_and_saveexec_b64 s[16:17], s[14:15]
	s_xor_b64 s[14:15], exec, s[16:17]
; %bb.1178:
	v_or_b32_e32 v1, v2, v0
	v_cmp_gt_u32_e32 vcc, 64, v1
	s_and_b64 s[12:13], vcc, exec
                                        ; implicit-def: $vgpr5_vgpr6
; %bb.1179:
	s_or_saveexec_b64 s[14:15], s[14:15]
	v_mov_b32_e32 v1, 0
	s_xor_b64 exec, exec, s[14:15]
	s_cbranch_execz .LBB6_1181
; %bb.1180:
	v_lshlrev_b64 v[5:6], 2, v[5:6]
	v_mov_b32_e32 v1, s88
	v_add_co_u32_e32 v5, vcc, s87, v5
	v_addc_co_u32_e32 v6, vcc, v1, v6, vcc
	global_load_dword v1, v[5:6], off
	s_or_b64 s[12:13], s[12:13], exec
	s_waitcnt vmcnt(0)
	v_div_scale_f32 v5, s[16:17], v1, v1, 1.0
	v_div_scale_f32 v6, vcc, 1.0, v1, 1.0
	v_rcp_f32_e32 v12, v5
	v_fma_f32 v13, -v5, v12, 1.0
	v_fmac_f32_e32 v12, v13, v12
	v_mul_f32_e32 v13, v6, v12
	v_fma_f32 v14, -v5, v13, v6
	v_fmac_f32_e32 v13, v14, v12
	v_fma_f32 v5, -v5, v13, v6
	v_div_fmas_f32 v5, v5, v12, v13
	v_div_fixup_f32 v1, v5, v1, 1.0
.LBB6_1181:
	s_or_b64 exec, exec, s[14:15]
	s_and_b64 s[12:13], s[12:13], exec
                                        ; implicit-def: $vgpr5_vgpr6
	s_andn2_saveexec_b64 s[8:9], s[8:9]
	s_cbranch_execz .LBB6_36
.LBB6_1182:
	v_lshlrev_b64 v[5:6], 2, v[5:6]
	v_mov_b32_e32 v1, s88
	v_add_co_u32_e32 v5, vcc, s87, v5
	v_addc_co_u32_e32 v6, vcc, v1, v6, vcc
	global_load_dword v1, v[5:6], off
	s_or_b64 s[12:13], s[12:13], exec
	s_waitcnt vmcnt(0)
	v_xor_b32_e32 v1, 0x80000000, v1
	s_or_b64 exec, exec, s[8:9]
	s_and_saveexec_b64 s[8:9], s[12:13]
	s_cbranch_execnz .LBB6_37
	s_branch .LBB6_38
.LBB6_1183:
	v_cmp_ne_u32_e32 vcc, v0, v1
	s_xor_b64 s[12:13], s[2:3], -1
	s_or_b64 s[14:15], s[12:13], vcc
	s_mov_b64 s[12:13], 0
	s_and_saveexec_b64 s[16:17], s[14:15]
	s_xor_b64 s[14:15], exec, s[16:17]
; %bb.1184:
	v_or_b32_e32 v5, v1, v0
	v_cmp_gt_u32_e32 vcc, 64, v5
	s_and_b64 s[12:13], vcc, exec
                                        ; implicit-def: $vgpr5_vgpr6
; %bb.1185:
	s_or_saveexec_b64 s[14:15], s[14:15]
	v_mov_b32_e32 v12, 0
	s_xor_b64 exec, exec, s[14:15]
	s_cbranch_execz .LBB6_1187
; %bb.1186:
	v_lshlrev_b64 v[5:6], 2, v[5:6]
	v_mov_b32_e32 v12, s88
	v_add_co_u32_e32 v5, vcc, s87, v5
	v_addc_co_u32_e32 v6, vcc, v12, v6, vcc
	global_load_dword v5, v[5:6], off
	s_or_b64 s[12:13], s[12:13], exec
	s_waitcnt vmcnt(0)
	v_div_scale_f32 v6, s[16:17], v5, v5, 1.0
	v_div_scale_f32 v12, vcc, 1.0, v5, 1.0
	v_rcp_f32_e32 v13, v6
	v_fma_f32 v14, -v6, v13, 1.0
	v_fmac_f32_e32 v13, v14, v13
	v_mul_f32_e32 v14, v12, v13
	v_fma_f32 v15, -v6, v14, v12
	v_fmac_f32_e32 v14, v15, v13
	v_fma_f32 v6, -v6, v14, v12
	v_div_fmas_f32 v6, v6, v13, v14
	v_div_fixup_f32 v12, v6, v5, 1.0
.LBB6_1187:
	s_or_b64 exec, exec, s[14:15]
	s_and_b64 s[12:13], s[12:13], exec
                                        ; implicit-def: $vgpr5_vgpr6
	s_andn2_saveexec_b64 s[8:9], s[8:9]
	s_cbranch_execz .LBB6_40
.LBB6_1188:
	v_lshlrev_b64 v[5:6], 2, v[5:6]
	v_mov_b32_e32 v12, s88
	v_add_co_u32_e32 v5, vcc, s87, v5
	v_addc_co_u32_e32 v6, vcc, v12, v6, vcc
	global_load_dword v5, v[5:6], off
	s_or_b64 s[12:13], s[12:13], exec
	s_waitcnt vmcnt(0)
	v_xor_b32_e32 v12, 0x80000000, v5
	s_or_b64 exec, exec, s[8:9]
	s_and_saveexec_b64 s[8:9], s[12:13]
	s_cbranch_execnz .LBB6_41
	s_branch .LBB6_42
.LBB6_1189:
	v_cmp_ne_u32_e32 vcc, v0, v1
	s_xor_b64 s[12:13], s[2:3], -1
	s_or_b64 s[14:15], s[12:13], vcc
	s_mov_b64 s[12:13], 0
	s_and_saveexec_b64 s[16:17], s[14:15]
	s_xor_b64 s[14:15], exec, s[16:17]
; %bb.1190:
	v_or_b32_e32 v5, v1, v0
	v_cmp_gt_u32_e32 vcc, 64, v5
	s_and_b64 s[12:13], vcc, exec
                                        ; implicit-def: $vgpr5_vgpr6
; %bb.1191:
	s_or_saveexec_b64 s[14:15], s[14:15]
	v_mov_b32_e32 v12, 0
	s_xor_b64 exec, exec, s[14:15]
	s_cbranch_execz .LBB6_1193
; %bb.1192:
	v_lshlrev_b64 v[5:6], 2, v[5:6]
	v_mov_b32_e32 v12, s88
	v_add_co_u32_e32 v5, vcc, s87, v5
	v_addc_co_u32_e32 v6, vcc, v12, v6, vcc
	global_load_dword v5, v[5:6], off
	s_or_b64 s[12:13], s[12:13], exec
	s_waitcnt vmcnt(0)
	v_div_scale_f32 v6, s[16:17], v5, v5, 1.0
	v_div_scale_f32 v12, vcc, 1.0, v5, 1.0
	v_rcp_f32_e32 v13, v6
	v_fma_f32 v14, -v6, v13, 1.0
	v_fmac_f32_e32 v13, v14, v13
	v_mul_f32_e32 v14, v12, v13
	v_fma_f32 v15, -v6, v14, v12
	v_fmac_f32_e32 v14, v15, v13
	v_fma_f32 v6, -v6, v14, v12
	v_div_fmas_f32 v6, v6, v13, v14
	v_div_fixup_f32 v12, v6, v5, 1.0
.LBB6_1193:
	s_or_b64 exec, exec, s[14:15]
	s_and_b64 s[12:13], s[12:13], exec
                                        ; implicit-def: $vgpr5_vgpr6
	s_andn2_saveexec_b64 s[8:9], s[8:9]
	s_cbranch_execz .LBB6_44
.LBB6_1194:
	v_lshlrev_b64 v[5:6], 2, v[5:6]
	v_mov_b32_e32 v12, s88
	v_add_co_u32_e32 v5, vcc, s87, v5
	v_addc_co_u32_e32 v6, vcc, v12, v6, vcc
	global_load_dword v5, v[5:6], off
	s_or_b64 s[12:13], s[12:13], exec
	s_waitcnt vmcnt(0)
	v_xor_b32_e32 v12, 0x80000000, v5
	s_or_b64 exec, exec, s[8:9]
	s_and_saveexec_b64 s[8:9], s[12:13]
	s_cbranch_execnz .LBB6_45
	s_branch .LBB6_46
.LBB6_1195:
	s_or_b64 exec, exec, s[8:9]
	s_and_b64 vcc, exec, s[6:7]
	s_cbranch_vccnz .LBB6_1139
.LBB6_1196:
	v_mov_b32_e32 v12, v4
	s_and_saveexec_b64 s[0:1], s[4:5]
	s_cbranch_execnz .LBB6_1202
	s_branch .LBB6_1203
.LBB6_1197:
	s_mov_b64 s[0:1], 0
.LBB6_1198:
	v_cmp_gt_i32_e32 vcc, s86, v0
	s_and_b64 s[2:3], s[2:3], vcc
	s_andn2_b64 s[0:1], s[0:1], exec
	s_and_b64 s[2:3], s[2:3], exec
	s_or_b64 s[0:1], s[0:1], s[2:3]
.LBB6_1199:
                                        ; implicit-def: $vgpr1_vgpr2
	s_and_saveexec_b64 s[2:3], s[0:1]
	s_cbranch_execz .LBB6_1201
; %bb.1200:
	v_mov_b32_e32 v0, s36
	v_add_co_u32_e32 v1, vcc, s33, v11
	v_addc_co_u32_e32 v0, vcc, 0, v0, vcc
	v_mul_lo_u32 v0, v0, s50
	v_mul_lo_u32 v3, v1, s51
	v_mad_u64_u32 v[1:2], s[0:1], v1, s50, 0
	s_or_b64 s[4:5], s[4:5], exec
	v_add3_u32 v2, v2, v3, v0
.LBB6_1201:
	s_or_b64 exec, exec, s[2:3]
	s_and_saveexec_b64 s[0:1], s[4:5]
	s_cbranch_execz .LBB6_1203
.LBB6_1202:
	v_lshlrev_b64 v[0:1], 2, v[1:2]
	v_mov_b32_e32 v2, s21
	v_add_co_u32_e32 v0, vcc, s20, v0
	v_addc_co_u32_e32 v1, vcc, v2, v1, vcc
	global_store_dword v[0:1], v12, off
.LBB6_1203:
	s_or_b64 exec, exec, s[0:1]
	v_cmp_eq_u32_e32 vcc, 0, v11
	s_waitcnt vmcnt(0)
	buffer_wbinvl1_vol
	s_barrier
	s_and_saveexec_b64 s[0:1], vcc
	s_cbranch_execz .LBB6_1205
; %bb.1204:
	s_lshl_b64 s[2:3], s[22:23], 2
	s_add_u32 s2, s14, s2
	s_addc_u32 s3, s15, s3
	v_mov_b32_e32 v0, 0
	global_load_dword v1, v0, s[2:3]
	s_waitcnt vmcnt(0)
	v_add_u32_e32 v1, 1, v1
	global_store_dword v0, v1, s[2:3]
.LBB6_1205:
	s_or_b64 exec, exec, s[0:1]
	s_waitcnt vmcnt(0)
	buffer_wbinvl1_vol
	s_endpgm
.LBB6_1206:
	ds_read_b32 v16, v15 offset:15840
	ds_read_b32 v17, v14 offset:15604
	s_waitcnt lgkmcnt(0)
	v_fmac_f32_e32 v13, v16, v17
	s_or_b64 exec, exec, s[14:15]
	v_cmp_gt_u32_e64 s[10:11], 8, v5
	s_and_saveexec_b64 s[14:15], s[10:11]
	s_cbranch_execz .LBB6_79
.LBB6_1207:
	ds_read_b32 v15, v15 offset:16096
	ds_read_b32 v14, v14 offset:15608
	s_waitcnt lgkmcnt(0)
	v_fmac_f32_e32 v13, v15, v14
	s_or_b64 exec, exec, s[14:15]
	v_cmp_gt_u32_e64 s[10:11], 4, v5
	s_and_saveexec_b64 s[14:15], s[10:11]
	s_cbranch_execnz .LBB6_80
	s_branch .LBB6_81
.LBB6_1208:
	ds_read_b32 v19, v18 offset:14784
	ds_read_b32 v20, v17 offset:14564
	s_waitcnt lgkmcnt(0)
	v_fmac_f32_e32 v16, v19, v20
	s_or_b64 exec, exec, s[16:17]
	v_cmp_gt_u32_e64 s[14:15], 48, v5
	s_and_saveexec_b64 s[16:17], s[14:15]
	s_cbranch_execz .LBB6_121
.LBB6_1209:
	ds_read_b32 v19, v18 offset:15040
	ds_read_b32 v20, v17 offset:14568
	s_waitcnt lgkmcnt(0)
	v_fmac_f32_e32 v16, v19, v20
	s_or_b64 exec, exec, s[16:17]
	v_cmp_gt_u32_e64 s[14:15], 40, v5
	s_and_saveexec_b64 s[16:17], s[14:15]
	s_cbranch_execz .LBB6_122
.LBB6_1210:
	ds_read_b32 v19, v18 offset:15296
	ds_read_b32 v20, v17 offset:14572
	s_waitcnt lgkmcnt(0)
	v_fmac_f32_e32 v16, v19, v20
	s_or_b64 exec, exec, s[16:17]
	v_cmp_gt_u32_e64 s[14:15], 32, v5
	s_and_saveexec_b64 s[16:17], s[14:15]
	s_cbranch_execz .LBB6_123
.LBB6_1211:
	ds_read_b32 v19, v18 offset:15552
	ds_read_b32 v20, v17 offset:14576
	s_waitcnt lgkmcnt(0)
	v_fmac_f32_e32 v16, v19, v20
	s_or_b64 exec, exec, s[16:17]
	v_cmp_gt_u32_e64 s[14:15], 24, v5
	s_and_saveexec_b64 s[16:17], s[14:15]
	s_cbranch_execz .LBB6_124
.LBB6_1212:
	ds_read_b32 v19, v18 offset:15808
	ds_read_b32 v20, v17 offset:14580
	s_waitcnt lgkmcnt(0)
	v_fmac_f32_e32 v16, v19, v20
	s_or_b64 exec, exec, s[16:17]
	s_and_saveexec_b64 s[14:15], s[18:19]
	s_cbranch_execz .LBB6_125
.LBB6_1213:
	ds_read_b32 v18, v18 offset:16064
	ds_read_b32 v17, v17 offset:14584
	s_waitcnt lgkmcnt(0)
	v_fmac_f32_e32 v16, v18, v17
	s_or_b64 exec, exec, s[14:15]
	v_cmp_gt_u32_e64 s[14:15], 8, v5
	s_and_saveexec_b64 s[16:17], s[14:15]
	s_cbranch_execnz .LBB6_126
	s_branch .LBB6_127
.LBB6_1214:
	ds_read_b32 v19, v18 offset:13760
	ds_read_b32 v20, v17 offset:13524
	s_waitcnt lgkmcnt(0)
	v_fmac_f32_e32 v16, v19, v20
	s_or_b64 exec, exec, s[14:15]
	v_cmp_gt_u32_e64 s[10:11], 8, v5
	s_and_saveexec_b64 s[14:15], s[10:11]
	s_cbranch_execz .LBB6_183
.LBB6_1215:
	ds_read_b32 v18, v18 offset:14016
	ds_read_b32 v17, v17 offset:13528
	s_waitcnt lgkmcnt(0)
	v_fmac_f32_e32 v16, v18, v17
	s_or_b64 exec, exec, s[14:15]
	v_cmp_gt_u32_e64 s[10:11], 4, v5
	s_and_saveexec_b64 s[14:15], s[10:11]
	s_cbranch_execnz .LBB6_184
	s_branch .LBB6_185
.LBB6_1216:
	ds_read_b32 v22, v21 offset:15232
	ds_read_b32 v23, v20 offset:12524
	s_waitcnt lgkmcnt(0)
	v_fmac_f32_e32 v19, v22, v23
	s_or_b64 exec, exec, s[20:21]
	s_and_saveexec_b64 s[16:17], s[8:9]
	s_cbranch_execz .LBB6_245
.LBB6_1217:
	ds_read_b32 v22, v21 offset:15488
	ds_read_b32 v23, v20 offset:12528
	s_waitcnt lgkmcnt(0)
	v_fmac_f32_e32 v19, v22, v23
	s_or_b64 exec, exec, s[16:17]
	v_cmp_gt_u32_e64 s[16:17], 48, v5
	s_and_saveexec_b64 s[20:21], s[16:17]
	s_cbranch_execz .LBB6_246
.LBB6_1218:
	ds_read_b32 v22, v21 offset:15744
	ds_read_b32 v23, v20 offset:12532
	s_waitcnt lgkmcnt(0)
	v_fmac_f32_e32 v19, v22, v23
	s_or_b64 exec, exec, s[20:21]
	v_cmp_gt_u32_e64 s[16:17], 32, v5
	s_and_saveexec_b64 s[20:21], s[16:17]
	s_cbranch_execz .LBB6_247
.LBB6_1219:
	ds_read_b32 v21, v21 offset:16000
	ds_read_b32 v20, v20 offset:12536
	s_waitcnt lgkmcnt(0)
	v_fmac_f32_e32 v19, v21, v20
	s_or_b64 exec, exec, s[20:21]
	v_cmp_gt_u32_e64 s[16:17], 16, v5
	s_and_saveexec_b64 s[20:21], s[16:17]
	s_cbranch_execnz .LBB6_248
	s_branch .LBB6_249
.LBB6_1220:
	ds_read_b32 v22, v21 offset:11680
	ds_read_b32 v23, v20 offset:11444
	s_waitcnt lgkmcnt(0)
	v_fmac_f32_e32 v19, v22, v23
	s_or_b64 exec, exec, s[20:21]
	v_cmp_gt_u32_e64 s[14:15], 8, v5
	s_and_saveexec_b64 s[20:21], s[14:15]
	s_cbranch_execz .LBB6_337
.LBB6_1221:
	ds_read_b32 v21, v21 offset:11936
	ds_read_b32 v20, v20 offset:11448
	s_waitcnt lgkmcnt(0)
	v_fmac_f32_e32 v19, v21, v20
	s_or_b64 exec, exec, s[20:21]
	v_cmp_gt_u32_e64 s[14:15], 4, v5
	s_and_saveexec_b64 s[20:21], s[14:15]
	s_cbranch_execnz .LBB6_338
	s_branch .LBB6_339
.LBB6_1222:
	ds_read_b32 v22, v21 offset:10624
	ds_read_b32 v23, v20 offset:10404
	s_waitcnt lgkmcnt(0)
	v_fmac_f32_e32 v19, v22, v23
	s_or_b64 exec, exec, s[20:21]
	v_cmp_gt_u32_e64 s[14:15], 48, v5
	s_and_saveexec_b64 s[20:21], s[14:15]
	s_cbranch_execz .LBB6_379
.LBB6_1223:
	ds_read_b32 v22, v21 offset:10880
	ds_read_b32 v23, v20 offset:10408
	s_waitcnt lgkmcnt(0)
	v_fmac_f32_e32 v19, v22, v23
	s_or_b64 exec, exec, s[20:21]
	v_cmp_gt_u32_e64 s[14:15], 40, v5
	s_and_saveexec_b64 s[20:21], s[14:15]
	s_cbranch_execz .LBB6_380
.LBB6_1224:
	ds_read_b32 v22, v21 offset:11136
	ds_read_b32 v23, v20 offset:10412
	s_waitcnt lgkmcnt(0)
	v_fmac_f32_e32 v19, v22, v23
	s_or_b64 exec, exec, s[20:21]
	v_cmp_gt_u32_e64 s[14:15], 32, v5
	s_and_saveexec_b64 s[20:21], s[14:15]
	s_cbranch_execz .LBB6_381
.LBB6_1225:
	ds_read_b32 v22, v21 offset:11392
	ds_read_b32 v23, v20 offset:10416
	s_waitcnt lgkmcnt(0)
	v_fmac_f32_e32 v19, v22, v23
	s_or_b64 exec, exec, s[20:21]
	v_cmp_gt_u32_e64 s[14:15], 24, v5
	s_and_saveexec_b64 s[20:21], s[14:15]
	s_cbranch_execz .LBB6_382
.LBB6_1226:
	ds_read_b32 v22, v21 offset:11648
	ds_read_b32 v23, v20 offset:10420
	s_waitcnt lgkmcnt(0)
	v_fmac_f32_e32 v19, v22, v23
	s_or_b64 exec, exec, s[20:21]
	s_and_saveexec_b64 s[14:15], s[18:19]
	s_cbranch_execz .LBB6_383
.LBB6_1227:
	ds_read_b32 v21, v21 offset:11904
	ds_read_b32 v20, v20 offset:10424
	s_waitcnt lgkmcnt(0)
	v_fmac_f32_e32 v19, v21, v20
	s_or_b64 exec, exec, s[14:15]
	v_cmp_gt_u32_e64 s[14:15], 8, v5
	s_and_saveexec_b64 s[20:21], s[14:15]
	s_cbranch_execnz .LBB6_384
	s_branch .LBB6_385
.LBB6_1228:
	ds_read_b32 v22, v21 offset:9600
	ds_read_b32 v23, v20 offset:9364
	s_waitcnt lgkmcnt(0)
	v_fmac_f32_e32 v19, v22, v23
	s_or_b64 exec, exec, s[20:21]
	v_cmp_gt_u32_e64 s[14:15], 8, v5
	s_and_saveexec_b64 s[20:21], s[14:15]
	s_cbranch_execz .LBB6_441
.LBB6_1229:
	ds_read_b32 v21, v21 offset:9856
	ds_read_b32 v20, v20 offset:9368
	s_waitcnt lgkmcnt(0)
	v_fmac_f32_e32 v19, v21, v20
	s_or_b64 exec, exec, s[20:21]
	v_cmp_gt_u32_e64 s[14:15], 4, v5
	s_and_saveexec_b64 s[20:21], s[14:15]
	s_cbranch_execnz .LBB6_442
	s_branch .LBB6_443
.LBB6_1230:
	ds_read_b32 v25, v24 offset:15616
	ds_read_b32 v26, v23 offset:8436
	s_waitcnt lgkmcnt(0)
	v_fmac_f32_e32 v21, v25, v26
	s_or_b64 exec, exec, s[94:95]
	s_and_saveexec_b64 s[20:21], s[8:9]
	s_cbranch_execz .LBB6_539
.LBB6_1231:
	ds_read_b32 v24, v24 offset:15872
	ds_read_b32 v23, v23 offset:8440
	s_waitcnt lgkmcnt(0)
	v_fmac_f32_e32 v21, v24, v23
	s_or_b64 exec, exec, s[20:21]
	v_cmp_gt_u32_e64 s[20:21], 32, v5
	s_and_saveexec_b64 s[94:95], s[20:21]
	s_cbranch_execnz .LBB6_540
	s_branch .LBB6_541
.LBB6_1232:
	ds_read_b32 v22, v21 offset:7520
	ds_read_b32 v23, v20 offset:7284
	s_waitcnt lgkmcnt(0)
	v_fmac_f32_e32 v19, v22, v23
	s_or_b64 exec, exec, s[16:17]
	v_cmp_gt_u32_e64 s[12:13], 8, v5
	s_and_saveexec_b64 s[16:17], s[12:13]
	s_cbranch_execz .LBB6_693
.LBB6_1233:
	ds_read_b32 v21, v21 offset:7776
	ds_read_b32 v20, v20 offset:7288
	s_waitcnt lgkmcnt(0)
	v_fmac_f32_e32 v19, v21, v20
	s_or_b64 exec, exec, s[16:17]
	v_cmp_gt_u32_e64 s[12:13], 4, v5
	s_and_saveexec_b64 s[16:17], s[12:13]
	s_cbranch_execnz .LBB6_694
	s_branch .LBB6_695
.LBB6_1234:
	ds_read_b32 v22, v21 offset:6464
	ds_read_b32 v23, v20 offset:6244
	s_waitcnt lgkmcnt(0)
	v_fmac_f32_e32 v19, v22, v23
	s_or_b64 exec, exec, s[16:17]
	v_cmp_gt_u32_e64 s[12:13], 48, v5
	s_and_saveexec_b64 s[16:17], s[12:13]
	s_cbranch_execz .LBB6_735
.LBB6_1235:
	ds_read_b32 v22, v21 offset:6720
	ds_read_b32 v23, v20 offset:6248
	s_waitcnt lgkmcnt(0)
	v_fmac_f32_e32 v19, v22, v23
	s_or_b64 exec, exec, s[16:17]
	v_cmp_gt_u32_e64 s[12:13], 40, v5
	s_and_saveexec_b64 s[16:17], s[12:13]
	s_cbranch_execz .LBB6_736
.LBB6_1236:
	ds_read_b32 v22, v21 offset:6976
	ds_read_b32 v23, v20 offset:6252
	s_waitcnt lgkmcnt(0)
	v_fmac_f32_e32 v19, v22, v23
	s_or_b64 exec, exec, s[16:17]
	v_cmp_gt_u32_e64 s[12:13], 32, v5
	s_and_saveexec_b64 s[16:17], s[12:13]
	s_cbranch_execz .LBB6_737
.LBB6_1237:
	ds_read_b32 v22, v21 offset:7232
	ds_read_b32 v23, v20 offset:6256
	s_waitcnt lgkmcnt(0)
	v_fmac_f32_e32 v19, v22, v23
	s_or_b64 exec, exec, s[16:17]
	v_cmp_gt_u32_e64 s[12:13], 24, v5
	s_and_saveexec_b64 s[16:17], s[12:13]
	s_cbranch_execz .LBB6_738
.LBB6_1238:
	ds_read_b32 v22, v21 offset:7488
	ds_read_b32 v23, v20 offset:6260
	s_waitcnt lgkmcnt(0)
	v_fmac_f32_e32 v19, v22, v23
	s_or_b64 exec, exec, s[16:17]
	s_and_saveexec_b64 s[12:13], s[18:19]
	s_cbranch_execz .LBB6_739
.LBB6_1239:
	ds_read_b32 v21, v21 offset:7744
	ds_read_b32 v20, v20 offset:6264
	s_waitcnt lgkmcnt(0)
	v_fmac_f32_e32 v19, v21, v20
	s_or_b64 exec, exec, s[12:13]
	v_cmp_gt_u32_e64 s[12:13], 8, v5
	s_and_saveexec_b64 s[16:17], s[12:13]
	s_cbranch_execnz .LBB6_740
	s_branch .LBB6_741
.LBB6_1240:
	ds_read_b32 v22, v21 offset:5440
	ds_read_b32 v23, v20 offset:5204
	s_waitcnt lgkmcnt(0)
	v_fmac_f32_e32 v19, v22, v23
	s_or_b64 exec, exec, s[16:17]
	v_cmp_gt_u32_e64 s[12:13], 8, v5
	s_and_saveexec_b64 s[16:17], s[12:13]
	s_cbranch_execz .LBB6_797
.LBB6_1241:
	ds_read_b32 v21, v21 offset:5696
	ds_read_b32 v20, v20 offset:5208
	s_waitcnt lgkmcnt(0)
	v_fmac_f32_e32 v19, v21, v20
	s_or_b64 exec, exec, s[16:17]
	v_cmp_gt_u32_e64 s[12:13], 4, v5
	s_and_saveexec_b64 s[16:17], s[12:13]
	s_cbranch_execnz .LBB6_798
	s_branch .LBB6_799
.LBB6_1242:
	ds_read_b32 v22, v21 offset:6912
	ds_read_b32 v23, v20 offset:4204
	s_waitcnt lgkmcnt(0)
	v_fmac_f32_e32 v19, v22, v23
	s_or_b64 exec, exec, s[16:17]
	s_and_saveexec_b64 s[12:13], s[8:9]
	s_cbranch_execz .LBB6_859
.LBB6_1243:
	ds_read_b32 v22, v21 offset:7168
	ds_read_b32 v23, v20 offset:4208
	s_waitcnt lgkmcnt(0)
	v_fmac_f32_e32 v19, v22, v23
	s_or_b64 exec, exec, s[12:13]
	v_cmp_gt_u32_e64 s[12:13], 48, v5
	s_and_saveexec_b64 s[16:17], s[12:13]
	s_cbranch_execz .LBB6_860
.LBB6_1244:
	ds_read_b32 v22, v21 offset:7424
	ds_read_b32 v23, v20 offset:4212
	s_waitcnt lgkmcnt(0)
	v_fmac_f32_e32 v19, v22, v23
	s_or_b64 exec, exec, s[16:17]
	v_cmp_gt_u32_e64 s[12:13], 32, v5
	s_and_saveexec_b64 s[16:17], s[12:13]
	s_cbranch_execz .LBB6_861
.LBB6_1245:
	ds_read_b32 v21, v21 offset:7680
	ds_read_b32 v20, v20 offset:4216
	s_waitcnt lgkmcnt(0)
	v_fmac_f32_e32 v19, v21, v20
	s_or_b64 exec, exec, s[16:17]
	v_cmp_gt_u32_e64 s[12:13], 16, v5
	s_and_saveexec_b64 s[16:17], s[12:13]
	s_cbranch_execnz .LBB6_862
	s_branch .LBB6_863
.LBB6_1246:
	ds_read_b32 v19, v18 offset:3360
	ds_read_b32 v20, v17 offset:3124
	s_waitcnt lgkmcnt(0)
	v_fmac_f32_e32 v16, v19, v20
	s_or_b64 exec, exec, s[12:13]
	v_cmp_gt_u32_e64 s[10:11], 8, v5
	s_and_saveexec_b64 s[12:13], s[10:11]
	s_cbranch_execz .LBB6_951
.LBB6_1247:
	ds_read_b32 v18, v18 offset:3616
	ds_read_b32 v17, v17 offset:3128
	s_waitcnt lgkmcnt(0)
	v_fmac_f32_e32 v16, v18, v17
	s_or_b64 exec, exec, s[12:13]
	v_cmp_gt_u32_e64 s[10:11], 4, v5
	s_and_saveexec_b64 s[12:13], s[10:11]
	s_cbranch_execnz .LBB6_952
	s_branch .LBB6_953
.LBB6_1248:
	ds_read_b32 v19, v18 offset:2304
	ds_read_b32 v20, v17 offset:2084
	s_waitcnt lgkmcnt(0)
	v_fmac_f32_e32 v16, v19, v20
	s_or_b64 exec, exec, s[12:13]
	v_cmp_gt_u32_e64 s[10:11], 48, v5
	s_and_saveexec_b64 s[12:13], s[10:11]
	s_cbranch_execz .LBB6_993
.LBB6_1249:
	ds_read_b32 v19, v18 offset:2560
	ds_read_b32 v20, v17 offset:2088
	s_waitcnt lgkmcnt(0)
	v_fmac_f32_e32 v16, v19, v20
	s_or_b64 exec, exec, s[12:13]
	v_cmp_gt_u32_e64 s[10:11], 40, v5
	s_and_saveexec_b64 s[12:13], s[10:11]
	s_cbranch_execz .LBB6_994
.LBB6_1250:
	ds_read_b32 v19, v18 offset:2816
	ds_read_b32 v20, v17 offset:2092
	s_waitcnt lgkmcnt(0)
	v_fmac_f32_e32 v16, v19, v20
	s_or_b64 exec, exec, s[12:13]
	v_cmp_gt_u32_e64 s[10:11], 32, v5
	s_and_saveexec_b64 s[12:13], s[10:11]
	s_cbranch_execz .LBB6_995
.LBB6_1251:
	ds_read_b32 v19, v18 offset:3072
	ds_read_b32 v20, v17 offset:2096
	s_waitcnt lgkmcnt(0)
	v_fmac_f32_e32 v16, v19, v20
	s_or_b64 exec, exec, s[12:13]
	v_cmp_gt_u32_e64 s[10:11], 24, v5
	s_and_saveexec_b64 s[12:13], s[10:11]
	s_cbranch_execz .LBB6_996
.LBB6_1252:
	ds_read_b32 v19, v18 offset:3328
	ds_read_b32 v20, v17 offset:2100
	s_waitcnt lgkmcnt(0)
	v_fmac_f32_e32 v16, v19, v20
	s_or_b64 exec, exec, s[12:13]
	s_and_saveexec_b64 s[10:11], s[18:19]
	s_cbranch_execz .LBB6_997
.LBB6_1253:
	ds_read_b32 v18, v18 offset:3584
	ds_read_b32 v17, v17 offset:2104
	s_waitcnt lgkmcnt(0)
	v_fmac_f32_e32 v16, v18, v17
	s_or_b64 exec, exec, s[10:11]
	v_cmp_gt_u32_e64 s[10:11], 8, v5
	s_and_saveexec_b64 s[12:13], s[10:11]
	s_cbranch_execnz .LBB6_998
	s_branch .LBB6_999
.LBB6_1254:
	ds_read_b32 v16, v15 offset:1280
	ds_read_b32 v17, v14 offset:1044
	s_waitcnt lgkmcnt(0)
	v_fmac_f32_e32 v13, v16, v17
	s_or_b64 exec, exec, s[10:11]
	v_cmp_gt_u32_e64 s[8:9], 8, v5
	s_and_saveexec_b64 s[10:11], s[8:9]
	s_cbranch_execz .LBB6_1055
.LBB6_1255:
	ds_read_b32 v15, v15 offset:1536
	ds_read_b32 v14, v14 offset:1048
	s_waitcnt lgkmcnt(0)
	v_fmac_f32_e32 v13, v15, v14
	s_or_b64 exec, exec, s[10:11]
	v_cmp_gt_u32_e64 s[8:9], 4, v5
	s_and_saveexec_b64 s[10:11], s[8:9]
	s_cbranch_execnz .LBB6_1056
	s_branch .LBB6_1057
	.section	.rodata,"a",@progbits
	.p2align	6, 0x0
	.amdhsa_kernel _ZL19rocblas_trsv_deviceILi64ELi16ELb0ELb1ELb1ELb0EfPKfS1_PfEviT7_lllT6_T8_lllPii
		.amdhsa_group_segment_fixed_size 20740
		.amdhsa_private_segment_fixed_size 0
		.amdhsa_kernarg_size 352
		.amdhsa_user_sgpr_count 6
		.amdhsa_user_sgpr_private_segment_buffer 1
		.amdhsa_user_sgpr_dispatch_ptr 0
		.amdhsa_user_sgpr_queue_ptr 0
		.amdhsa_user_sgpr_kernarg_segment_ptr 1
		.amdhsa_user_sgpr_dispatch_id 0
		.amdhsa_user_sgpr_flat_scratch_init 0
		.amdhsa_user_sgpr_private_segment_size 0
		.amdhsa_uses_dynamic_stack 0
		.amdhsa_system_sgpr_private_segment_wavefront_offset 0
		.amdhsa_system_sgpr_workgroup_id_x 1
		.amdhsa_system_sgpr_workgroup_id_y 0
		.amdhsa_system_sgpr_workgroup_id_z 1
		.amdhsa_system_sgpr_workgroup_info 0
		.amdhsa_system_vgpr_workitem_id 1
		.amdhsa_next_free_vgpr 29
		.amdhsa_next_free_sgpr 96
		.amdhsa_reserve_vcc 1
		.amdhsa_reserve_flat_scratch 0
		.amdhsa_float_round_mode_32 0
		.amdhsa_float_round_mode_16_64 0
		.amdhsa_float_denorm_mode_32 3
		.amdhsa_float_denorm_mode_16_64 3
		.amdhsa_dx10_clamp 1
		.amdhsa_ieee_mode 1
		.amdhsa_fp16_overflow 0
		.amdhsa_exception_fp_ieee_invalid_op 0
		.amdhsa_exception_fp_denorm_src 0
		.amdhsa_exception_fp_ieee_div_zero 0
		.amdhsa_exception_fp_ieee_overflow 0
		.amdhsa_exception_fp_ieee_underflow 0
		.amdhsa_exception_fp_ieee_inexact 0
		.amdhsa_exception_int_div_zero 0
	.end_amdhsa_kernel
	.section	.text._ZL19rocblas_trsv_deviceILi64ELi16ELb0ELb1ELb1ELb0EfPKfS1_PfEviT7_lllT6_T8_lllPii,"axG",@progbits,_ZL19rocblas_trsv_deviceILi64ELi16ELb0ELb1ELb1ELb0EfPKfS1_PfEviT7_lllT6_T8_lllPii,comdat
.Lfunc_end6:
	.size	_ZL19rocblas_trsv_deviceILi64ELi16ELb0ELb1ELb1ELb0EfPKfS1_PfEviT7_lllT6_T8_lllPii, .Lfunc_end6-_ZL19rocblas_trsv_deviceILi64ELi16ELb0ELb1ELb1ELb0EfPKfS1_PfEviT7_lllT6_T8_lllPii
                                        ; -- End function
	.set _ZL19rocblas_trsv_deviceILi64ELi16ELb0ELb1ELb1ELb0EfPKfS1_PfEviT7_lllT6_T8_lllPii.num_vgpr, 28
	.set _ZL19rocblas_trsv_deviceILi64ELi16ELb0ELb1ELb1ELb0EfPKfS1_PfEviT7_lllT6_T8_lllPii.num_agpr, 0
	.set _ZL19rocblas_trsv_deviceILi64ELi16ELb0ELb1ELb1ELb0EfPKfS1_PfEviT7_lllT6_T8_lllPii.numbered_sgpr, 96
	.set _ZL19rocblas_trsv_deviceILi64ELi16ELb0ELb1ELb1ELb0EfPKfS1_PfEviT7_lllT6_T8_lllPii.num_named_barrier, 0
	.set _ZL19rocblas_trsv_deviceILi64ELi16ELb0ELb1ELb1ELb0EfPKfS1_PfEviT7_lllT6_T8_lllPii.private_seg_size, 0
	.set _ZL19rocblas_trsv_deviceILi64ELi16ELb0ELb1ELb1ELb0EfPKfS1_PfEviT7_lllT6_T8_lllPii.uses_vcc, 1
	.set _ZL19rocblas_trsv_deviceILi64ELi16ELb0ELb1ELb1ELb0EfPKfS1_PfEviT7_lllT6_T8_lllPii.uses_flat_scratch, 0
	.set _ZL19rocblas_trsv_deviceILi64ELi16ELb0ELb1ELb1ELb0EfPKfS1_PfEviT7_lllT6_T8_lllPii.has_dyn_sized_stack, 0
	.set _ZL19rocblas_trsv_deviceILi64ELi16ELb0ELb1ELb1ELb0EfPKfS1_PfEviT7_lllT6_T8_lllPii.has_recursion, 0
	.set _ZL19rocblas_trsv_deviceILi64ELi16ELb0ELb1ELb1ELb0EfPKfS1_PfEviT7_lllT6_T8_lllPii.has_indirect_call, 0
	.section	.AMDGPU.csdata,"",@progbits
; Kernel info:
; codeLenInByte = 40676
; TotalNumSgprs: 100
; NumVgprs: 28
; ScratchSize: 0
; MemoryBound: 0
; FloatMode: 240
; IeeeMode: 1
; LDSByteSize: 20740 bytes/workgroup (compile time only)
; SGPRBlocks: 12
; VGPRBlocks: 7
; NumSGPRsForWavesPerEU: 100
; NumVGPRsForWavesPerEU: 29
; Occupancy: 8
; WaveLimiterHint : 0
; COMPUTE_PGM_RSRC2:SCRATCH_EN: 0
; COMPUTE_PGM_RSRC2:USER_SGPR: 6
; COMPUTE_PGM_RSRC2:TRAP_HANDLER: 0
; COMPUTE_PGM_RSRC2:TGID_X_EN: 1
; COMPUTE_PGM_RSRC2:TGID_Y_EN: 0
; COMPUTE_PGM_RSRC2:TGID_Z_EN: 1
; COMPUTE_PGM_RSRC2:TIDIG_COMP_CNT: 1
	.section	.text._ZL19rocblas_trsv_deviceILi64ELi16ELb1ELb0ELb0ELb1EfPKfS1_PfEviT7_lllT6_T8_lllPii,"axG",@progbits,_ZL19rocblas_trsv_deviceILi64ELi16ELb1ELb0ELb0ELb1EfPKfS1_PfEviT7_lllT6_T8_lllPii,comdat
	.globl	_ZL19rocblas_trsv_deviceILi64ELi16ELb1ELb0ELb0ELb1EfPKfS1_PfEviT7_lllT6_T8_lllPii ; -- Begin function _ZL19rocblas_trsv_deviceILi64ELi16ELb1ELb0ELb0ELb1EfPKfS1_PfEviT7_lllT6_T8_lllPii
	.p2align	8
	.type	_ZL19rocblas_trsv_deviceILi64ELi16ELb1ELb0ELb0ELb1EfPKfS1_PfEviT7_lllT6_T8_lllPii,@function
_ZL19rocblas_trsv_deviceILi64ELi16ELb1ELb0ELb0ELb1EfPKfS1_PfEviT7_lllT6_T8_lllPii: ; @_ZL19rocblas_trsv_deviceILi64ELi16ELb1ELb0ELb0ELb1EfPKfS1_PfEviT7_lllT6_T8_lllPii
; %bb.0:
	s_load_dwordx16 s[16:31], s[4:5], 0x8
	s_load_dword s33, s[4:5], 0x0
	s_mov_b32 s34, s7
	s_mov_b32 s35, 0
	s_waitcnt lgkmcnt(0)
	s_mul_i32 s0, s23, s7
	s_mul_hi_u32 s1, s22, s7
	s_add_i32 s1, s1, s0
	s_mul_i32 s0, s22, s7
	s_lshl_b64 s[0:1], s[0:1], 2
	s_add_u32 s2, s16, s0
	s_addc_u32 s3, s17, s1
	s_load_dword s17, s[24:25], 0x0
	s_load_dword s16, s[4:5], 0x6c
	s_lshl_b64 s[0:1], s[18:19], 2
	s_add_u32 s90, s2, s0
	s_addc_u32 s91, s3, s1
	s_cmp_eq_u32 s6, 0
	s_cbranch_scc1 .LBB7_10
; %bb.1:
	s_lshl_b32 s2, s6, 6
	v_add_u32_e32 v2, s2, v1
	v_subrev_u32_e32 v4, 64, v2
	v_ashrrev_i32_e32 v2, 31, v4
	v_mul_lo_u32 v7, s20, v2
	v_mul_lo_u32 v8, s21, v4
	v_mad_u64_u32 v[2:3], s[0:1], s20, v4, 0
	v_add_u32_e32 v5, s2, v0
	v_ashrrev_i32_e32 v6, 31, v5
	v_add3_u32 v3, v3, v7, v8
	v_lshlrev_b64 v[2:3], 2, v[2:3]
	v_mov_b32_e32 v7, s91
	v_add_co_u32_e64 v8, s[0:1], s90, v2
	v_addc_co_u32_e64 v7, s[0:1], v7, v3, s[0:1]
	v_lshlrev_b64 v[2:3], 2, v[5:6]
	v_cmp_gt_i32_e32 vcc, s33, v5
	v_add_co_u32_e64 v2, s[0:1], v8, v2
	v_addc_co_u32_e64 v3, s[0:1], v7, v3, s[0:1]
	v_cmp_gt_i32_e64 s[0:1], s33, v4
	s_and_b64 s[2:3], vcc, s[0:1]
	v_mov_b32_e32 v8, 0
	v_mov_b32_e32 v7, 0
	s_waitcnt lgkmcnt(0)
	s_barrier
	s_and_saveexec_b64 s[0:1], s[2:3]
	s_cbranch_execz .LBB7_3
; %bb.2:
	global_load_dword v7, v[2:3], off
.LBB7_3:
	s_or_b64 exec, exec, s[0:1]
	v_add_u32_e32 v5, 16, v4
	v_cmp_gt_i32_e64 s[0:1], s33, v5
	s_and_b64 s[0:1], vcc, s[0:1]
	s_waitcnt vmcnt(0)
	s_barrier
	s_and_saveexec_b64 s[2:3], s[0:1]
	s_cbranch_execz .LBB7_5
; %bb.4:
	s_lshl_b64 s[0:1], s[20:21], 6
	v_mov_b32_e32 v6, s1
	v_add_co_u32_e64 v5, s[0:1], s0, v2
	v_addc_co_u32_e64 v6, s[0:1], v3, v6, s[0:1]
	global_load_dword v8, v[5:6], off
.LBB7_5:
	s_or_b64 exec, exec, s[2:3]
	v_add_u32_e32 v5, 32, v4
	v_cmp_gt_i32_e64 s[0:1], s33, v5
	s_and_b64 s[0:1], vcc, s[0:1]
	v_mov_b32_e32 v9, 0
	v_mov_b32_e32 v10, 0
	s_waitcnt vmcnt(0)
	s_barrier
	s_and_saveexec_b64 s[2:3], s[0:1]
	s_cbranch_execz .LBB7_7
; %bb.6:
	s_lshl_b64 s[0:1], s[20:21], 7
	v_mov_b32_e32 v6, s1
	v_add_co_u32_e64 v5, s[0:1], s0, v2
	v_addc_co_u32_e64 v6, s[0:1], v3, v6, s[0:1]
	global_load_dword v10, v[5:6], off
.LBB7_7:
	s_or_b64 exec, exec, s[2:3]
	v_add_u32_e32 v4, 48, v4
	v_cmp_gt_i32_e64 s[0:1], s33, v4
	s_and_b64 s[2:3], vcc, s[0:1]
	s_waitcnt vmcnt(0)
	s_barrier
	s_and_saveexec_b64 s[0:1], s[2:3]
	s_cbranch_execz .LBB7_9
; %bb.8:
	v_mov_b32_e32 v4, 0xc0
	v_mad_u64_u32 v[2:3], s[2:3], s20, v4, v[2:3]
	s_mul_i32 s2, s21, 0xc0
	v_add_u32_e32 v3, s2, v3
	global_load_dword v9, v[2:3], off
.LBB7_9:
	s_or_b64 exec, exec, s[0:1]
	s_branch .LBB7_11
.LBB7_10:
                                        ; implicit-def: $vgpr9
                                        ; implicit-def: $vgpr10
                                        ; implicit-def: $vgpr8
                                        ; implicit-def: $vgpr7
.LBB7_11:
	s_ashr_i32 s0, s33, 31
	s_lshr_b32 s0, s0, 26
	s_add_i32 s0, s33, s0
	s_andn2_b32 s0, s0, 63
	s_sub_i32 s7, s33, s0
	s_add_i32 s0, s33, -1
	s_ashr_i32 s1, s0, 31
	s_lshr_b32 s1, s1, 26
	s_add_i32 s0, s0, s1
	s_ashr_i32 s0, s0, 6
	s_cmp_eq_u32 s0, s6
	s_cselect_b64 s[0:1], -1, 0
	s_cmp_lg_u32 s7, 0
	s_cselect_b64 s[2:3], -1, 0
	s_and_b64 s[18:19], s[2:3], s[0:1]
	s_mov_b64 s[2:3], -1
	s_and_b64 vcc, exec, s[18:19]
	v_cmp_le_u32_e64 s[0:1], v0, v1
	v_lshlrev_b32_e32 v6, 2, v0
	s_cbranch_vccnz .LBB7_27
; %bb.12:
	s_add_u32 s2, s20, 1
	s_addc_u32 s3, s21, 0
	s_lshl_b32 s8, s6, 6
	s_ashr_i32 s9, s8, 31
	s_mul_hi_u32 s10, s2, s8
	s_mul_i32 s9, s2, s9
	s_add_i32 s9, s10, s9
	s_mul_i32 s3, s3, s8
	s_add_i32 s3, s9, s3
	s_mul_i32 s2, s2, s8
	s_lshl_b64 s[2:3], s[2:3], 2
	s_add_u32 s2, s90, s2
	s_addc_u32 s3, s91, s3
	v_lshlrev_b32_e32 v4, 2, v0
	v_mov_b32_e32 v3, s3
	v_add_co_u32_e32 v2, vcc, s2, v4
	v_mov_b32_e32 v5, 0
	v_addc_co_u32_e32 v3, vcc, 0, v3, vcc
	s_mov_b64 s[2:3], 0
	s_and_saveexec_b64 s[8:9], s[0:1]
	s_xor_b64 s[0:1], exec, s[8:9]
	s_cbranch_execnz .LBB7_1087
; %bb.13:
	s_andn2_saveexec_b64 s[0:1], s[0:1]
	s_cbranch_execnz .LBB7_1088
.LBB7_14:
	s_or_b64 exec, exec, s[0:1]
	s_and_saveexec_b64 s[0:1], s[2:3]
.LBB7_15:
	v_lshl_add_u32 v11, v1, 8, v4
	ds_write_b32 v11, v5
.LBB7_16:
	s_or_b64 exec, exec, s[0:1]
	v_add_u32_e32 v5, 16, v1
	v_cmp_le_u32_e32 vcc, v0, v5
	s_mov_b64 s[0:1], 0
	s_and_saveexec_b64 s[2:3], vcc
	s_xor_b64 s[2:3], exec, s[2:3]
	s_cbranch_execnz .LBB7_1089
; %bb.17:
	s_or_saveexec_b64 s[2:3], s[2:3]
	v_mov_b32_e32 v11, 0
	s_xor_b64 exec, exec, s[2:3]
	s_cbranch_execnz .LBB7_1090
.LBB7_18:
	s_or_b64 exec, exec, s[2:3]
	s_and_saveexec_b64 s[2:3], s[0:1]
.LBB7_19:
	v_lshl_add_u32 v5, v5, 8, v4
	ds_write_b32 v5, v11
.LBB7_20:
	s_or_b64 exec, exec, s[2:3]
	v_add_u32_e32 v5, 32, v1
	v_cmp_le_u32_e32 vcc, v0, v5
	s_mov_b64 s[0:1], 0
	s_and_saveexec_b64 s[2:3], vcc
	s_xor_b64 s[2:3], exec, s[2:3]
	s_cbranch_execnz .LBB7_1091
; %bb.21:
	s_or_saveexec_b64 s[2:3], s[2:3]
	v_mov_b32_e32 v11, 0
	s_xor_b64 exec, exec, s[2:3]
	s_cbranch_execnz .LBB7_1092
.LBB7_22:
	s_or_b64 exec, exec, s[2:3]
	s_and_saveexec_b64 s[2:3], s[0:1]
.LBB7_23:
	v_lshl_add_u32 v4, v5, 8, v4
	ds_write_b32 v4, v11
.LBB7_24:
	s_or_b64 exec, exec, s[2:3]
	v_add_u32_e32 v4, 48, v1
	v_cmp_le_u32_e32 vcc, v0, v4
	s_mov_b64 s[0:1], -1
	s_mov_b64 s[2:3], 0
	s_mov_b64 s[8:9], 0
	s_and_saveexec_b64 s[10:11], vcc
	s_xor_b64 s[10:11], exec, s[10:11]
; %bb.25:
	v_or_b32_e32 v5, v4, v0
	v_cmp_gt_u32_e32 vcc, 64, v5
	s_and_b64 s[8:9], vcc, exec
	s_xor_b64 s[0:1], exec, -1
; %bb.26:
	s_or_b64 exec, exec, s[10:11]
	v_lshl_add_u32 v5, v4, 6, v0
	s_and_b64 vcc, exec, s[2:3]
	s_cbranch_vccnz .LBB7_28
	s_branch .LBB7_43
.LBB7_27:
	s_mov_b64 s[0:1], 0
	s_mov_b64 s[8:9], 0
                                        ; implicit-def: $vgpr5
                                        ; implicit-def: $vgpr2_vgpr3
                                        ; implicit-def: $vgpr4
	s_and_b64 vcc, exec, s[2:3]
	s_cbranch_vccz .LBB7_43
.LBB7_28:
	s_add_u32 s0, s20, 1
	s_addc_u32 s1, s21, 0
	s_lshl_b32 s2, s6, 6
	s_ashr_i32 s3, s2, 31
	s_mul_hi_u32 s10, s0, s2
	s_mul_i32 s3, s0, s3
	s_add_i32 s3, s10, s3
	s_mul_i32 s1, s1, s2
	s_add_i32 s1, s3, s1
	s_mul_i32 s0, s0, s2
	s_lshl_b64 s[0:1], s[0:1], 2
	s_add_u32 s0, s90, s0
	s_addc_u32 s1, s91, s1
	v_lshlrev_b32_e32 v4, 2, v0
	v_mov_b32_e32 v3, s1
	v_add_co_u32_e64 v2, s[0:1], s0, v4
	v_addc_co_u32_e64 v3, s[0:1], 0, v3, s[0:1]
	v_max_i32_e32 v11, v1, v0
	v_cmp_le_u32_e64 s[0:1], v0, v1
	v_cmp_le_i32_e64 s[2:3], s7, v11
	v_cmp_gt_i32_e32 vcc, s7, v0
	v_mov_b32_e32 v5, 0
	s_or_b64 s[0:1], s[2:3], s[0:1]
	s_mov_b64 s[2:3], 0
	s_and_saveexec_b64 s[10:11], s[0:1]
	s_xor_b64 s[10:11], exec, s[10:11]
	s_cbranch_execnz .LBB7_1093
; %bb.29:
	s_andn2_saveexec_b64 s[10:11], s[10:11]
	s_cbranch_execnz .LBB7_1094
.LBB7_30:
	s_or_b64 exec, exec, s[10:11]
	s_and_saveexec_b64 s[0:1], s[2:3]
.LBB7_31:
	v_lshl_add_u32 v11, v1, 8, v4
	ds_write_b32 v11, v5
.LBB7_32:
	s_or_b64 exec, exec, s[0:1]
	v_add_u32_e32 v5, 16, v1
	v_cmp_gt_u32_e64 s[0:1], v0, v5
	v_cmp_gt_i32_e64 s[2:3], s7, v5
	s_and_b64 s[0:1], s[0:1], s[2:3]
	s_and_b64 s[0:1], s[0:1], vcc
	s_xor_b64 s[0:1], s[0:1], -1
	s_mov_b64 s[2:3], 0
	s_and_saveexec_b64 s[10:11], s[0:1]
	s_xor_b64 s[10:11], exec, s[10:11]
	s_cbranch_execnz .LBB7_1095
; %bb.33:
	s_or_saveexec_b64 s[10:11], s[10:11]
	v_mov_b32_e32 v11, 0
	s_xor_b64 exec, exec, s[10:11]
	s_cbranch_execnz .LBB7_1096
.LBB7_34:
	s_or_b64 exec, exec, s[10:11]
	s_and_saveexec_b64 s[0:1], s[2:3]
.LBB7_35:
	v_lshl_add_u32 v5, v5, 8, v4
	ds_write_b32 v5, v11
.LBB7_36:
	s_or_b64 exec, exec, s[0:1]
	v_add_u32_e32 v5, 32, v1
	v_cmp_gt_u32_e64 s[0:1], v0, v5
	v_cmp_gt_i32_e64 s[2:3], s7, v5
	s_and_b64 s[0:1], s[0:1], s[2:3]
	s_and_b64 s[0:1], s[0:1], vcc
	s_xor_b64 s[0:1], s[0:1], -1
	s_mov_b64 s[2:3], 0
	s_and_saveexec_b64 s[10:11], s[0:1]
	s_xor_b64 s[10:11], exec, s[10:11]
	s_cbranch_execnz .LBB7_1097
; %bb.37:
	s_or_saveexec_b64 s[10:11], s[10:11]
	v_mov_b32_e32 v11, 0
	s_xor_b64 exec, exec, s[10:11]
	s_cbranch_execnz .LBB7_1098
.LBB7_38:
	s_or_b64 exec, exec, s[10:11]
	s_and_saveexec_b64 s[0:1], s[2:3]
.LBB7_39:
	v_lshl_add_u32 v4, v5, 8, v4
	ds_write_b32 v4, v11
.LBB7_40:
	s_or_b64 exec, exec, s[0:1]
	v_add_u32_e32 v4, 48, v1
	v_cmp_gt_u32_e64 s[0:1], v0, v4
	v_cmp_gt_i32_e64 s[2:3], s7, v4
	s_and_b64 s[0:1], s[0:1], s[2:3]
	s_and_b64 s[2:3], s[0:1], vcc
	s_mov_b64 s[0:1], -1
	s_xor_b64 s[10:11], s[2:3], -1
	s_and_saveexec_b64 s[2:3], s[10:11]
; %bb.41:
	v_or_b32_e32 v5, v4, v0
	v_cmp_gt_u32_e32 vcc, 64, v5
	s_andn2_b64 s[0:1], s[8:9], exec
	s_and_b64 s[8:9], vcc, exec
	s_or_b64 s[8:9], s[0:1], s[8:9]
	s_xor_b64 s[0:1], exec, -1
; %bb.42:
	s_or_b64 exec, exec, s[2:3]
	v_lshl_add_u32 v5, v4, 6, v0
.LBB7_43:
	v_mov_b32_e32 v11, 0
	s_and_saveexec_b64 s[2:3], s[0:1]
	s_cbranch_execnz .LBB7_1065
; %bb.44:
	s_or_b64 exec, exec, s[2:3]
	s_and_saveexec_b64 s[0:1], s[8:9]
.LBB7_45:
	v_lshlrev_b32_e32 v2, 2, v5
	ds_write_b32 v2, v11
.LBB7_46:
	s_or_b64 exec, exec, s[0:1]
	s_cmp_lt_i32 s6, 5
	s_cselect_b64 s[0:1], -1, 0
	s_or_b64 s[22:23], s[0:1], s[18:19]
	s_and_b64 vcc, exec, s[22:23]
	s_waitcnt vmcnt(0) lgkmcnt(0)
	s_barrier
	s_cbranch_vccnz .LBB7_1022
; %bb.47:
	v_or_b32_e32 v2, v0, v1
	v_cmp_eq_u32_e32 vcc, 0, v2
	s_and_saveexec_b64 s[0:1], vcc
; %bb.48:
	v_mov_b32_e32 v2, 1.0
	v_mov_b32_e32 v3, 0
	ds_write2_b32 v3, v2, v2 offset1:65
; %bb.49:
	s_or_b64 exec, exec, s[0:1]
	v_lshl_add_u32 v4, v1, 6, v0
	v_and_b32_e32 v12, 1, v0
	v_lshrrev_b32_e32 v5, 1, v4
	v_lshlrev_b32_e32 v2, 2, v12
	v_cmp_lt_u32_e64 s[2:3], 3, v4
	v_cmp_gt_u32_e64 s[0:1], 4, v4
	v_lshl_or_b32 v2, v5, 8, v2
	v_mov_b32_e32 v11, 0
	s_waitcnt lgkmcnt(0)
	s_barrier
	s_and_saveexec_b64 s[10:11], s[0:1]
	s_cbranch_execz .LBB7_53
; %bb.50:
	v_mul_u32_u24_e32 v3, 0x104, v5
	ds_read_b32 v13, v2 offset:8
	ds_read_b32 v3, v3
	v_mov_b32_e32 v11, 0
	v_cmp_gt_u32_e64 s[8:9], 2, v4
	s_waitcnt lgkmcnt(0)
	v_fma_f32 v3, v13, v3, 0
	s_and_saveexec_b64 s[12:13], s[8:9]
	s_cbranch_execz .LBB7_52
; %bb.51:
	v_lshlrev_b32_e32 v13, 2, v0
	ds_read_b32 v13, v13 offset:264
	ds_read_b32 v11, v11 offset:4
	s_waitcnt lgkmcnt(0)
	v_fmac_f32_e32 v3, v13, v11
.LBB7_52:
	s_or_b64 exec, exec, s[12:13]
	v_xor_b32_e32 v11, 0x80000000, v3
.LBB7_53:
	s_or_b64 exec, exec, s[10:11]
	v_mov_b32_e32 v3, 0x4000
	v_cmp_eq_u32_e64 s[8:9], 0, v12
	s_xor_b64 s[10:11], s[2:3], -1
	v_lshl_add_u32 v3, v5, 2, v3
	s_and_b64 s[36:37], s[8:9], s[10:11]
	s_and_saveexec_b64 s[2:3], s[36:37]
; %bb.54:
	ds_write_b32 v3, v11
; %bb.55:
	s_or_b64 exec, exec, s[2:3]
	v_cmp_ne_u32_e64 s[2:3], 0, v12
	s_and_b64 s[24:25], s[2:3], s[10:11]
	s_waitcnt lgkmcnt(0)
	s_barrier
	s_and_saveexec_b64 s[2:3], s[24:25]
	s_cbranch_execz .LBB7_57
; %bb.56:
	v_mov_b32_e32 v12, 0
	ds_read_b32 v12, v12 offset:524
	ds_read_b32 v13, v3
	s_waitcnt lgkmcnt(0)
	v_fmac_f32_e32 v11, v12, v13
.LBB7_57:
	s_or_b64 exec, exec, s[2:3]
	s_barrier
	s_and_saveexec_b64 s[2:3], s[24:25]
; %bb.58:
	ds_write_b32 v3, v11
; %bb.59:
	s_or_b64 exec, exec, s[2:3]
	s_waitcnt lgkmcnt(0)
	s_barrier
	s_barrier
	s_and_saveexec_b64 s[2:3], s[0:1]
; %bb.60:
	v_xor_b32_e32 v11, 0x80000000, v11
	ds_write_b32 v2, v11 offset:8
; %bb.61:
	s_or_b64 exec, exec, s[2:3]
	s_waitcnt lgkmcnt(0)
	s_barrier
	s_barrier
	s_and_saveexec_b64 s[2:3], vcc
; %bb.62:
	v_mov_b32_e32 v11, 1.0
	v_mov_b32_e32 v12, 0
	ds_write2_b32 v12, v11, v11 offset0:130 offset1:195
; %bb.63:
	s_or_b64 exec, exec, s[2:3]
	v_and_b32_e32 v14, 3, v0
	v_lshrrev_b32_e32 v15, 2, v4
	v_lshlrev_b32_e32 v12, 2, v14
	v_cmp_lt_u32_e64 s[8:9], 15, v4
	v_cmp_gt_u32_e64 s[2:3], 16, v4
	v_lshl_or_b32 v11, v15, 8, v12
	v_mov_b32_e32 v16, 0
	s_waitcnt lgkmcnt(0)
	s_barrier
	s_and_saveexec_b64 s[12:13], s[2:3]
	s_cbranch_execz .LBB7_69
; %bb.64:
	v_mul_u32_u24_e32 v16, 0x104, v15
	ds_read_b32 v13, v11 offset:16
	ds_read_b32 v17, v16
	v_cmp_gt_u32_e64 s[10:11], 12, v4
	s_waitcnt lgkmcnt(0)
	v_fma_f32 v13, v13, v17, 0
	s_and_saveexec_b64 s[14:15], s[10:11]
	s_cbranch_execnz .LBB7_1110
; %bb.65:
	s_or_b64 exec, exec, s[14:15]
	v_cmp_gt_u32_e64 s[10:11], 8, v4
	s_and_saveexec_b64 s[14:15], s[10:11]
	s_cbranch_execnz .LBB7_1111
.LBB7_66:
	s_or_b64 exec, exec, s[14:15]
	v_cmp_gt_u32_e64 s[10:11], 4, v4
	s_and_saveexec_b64 s[14:15], s[10:11]
	s_cbranch_execz .LBB7_68
.LBB7_67:
	v_lshlrev_b32_e32 v16, 2, v0
	v_mov_b32_e32 v17, 0
	ds_read_b32 v16, v16 offset:784
	ds_read_b32 v17, v17 offset:12
	s_waitcnt lgkmcnt(0)
	v_fmac_f32_e32 v13, v16, v17
.LBB7_68:
	s_or_b64 exec, exec, s[14:15]
	v_xor_b32_e32 v16, 0x80000000, v13
.LBB7_69:
                                        ; implicit-def: $vgpr34 : SGPR spill to VGPR lane
	v_writelane_b32 v34, s17, 0
	s_or_b64 exec, exec, s[12:13]
	v_mov_b32_e32 v13, 0x4000
	v_cmp_eq_u32_e64 s[10:11], 0, v14
	s_xor_b64 s[12:13], s[8:9], -1
	v_lshl_add_u32 v13, v15, 2, v13
	s_and_b64 s[40:41], s[10:11], s[12:13]
	s_and_saveexec_b64 s[8:9], s[40:41]
; %bb.70:
	ds_write_b32 v13, v16
; %bb.71:
	s_or_b64 exec, exec, s[8:9]
	v_cmp_ne_u32_e64 s[8:9], 0, v14
	s_and_b64 s[42:43], s[8:9], s[12:13]
	s_waitcnt lgkmcnt(0)
	s_barrier
	s_and_saveexec_b64 s[8:9], s[42:43]
	s_cbranch_execz .LBB7_73
; %bb.72:
	ds_read_b32 v17, v12 offset:1040
	ds_read_b32 v18, v13
	s_waitcnt lgkmcnt(0)
	v_fmac_f32_e32 v16, v17, v18
.LBB7_73:
	s_or_b64 exec, exec, s[8:9]
	v_cmp_eq_u32_e64 s[8:9], 1, v14
	s_and_b64 s[44:45], s[8:9], s[12:13]
	s_barrier
	s_and_saveexec_b64 s[8:9], s[44:45]
; %bb.74:
	ds_write_b32 v13, v16
; %bb.75:
	s_or_b64 exec, exec, s[8:9]
	v_cmp_lt_u32_e64 s[8:9], 1, v14
	s_and_b64 s[46:47], s[8:9], s[12:13]
	s_waitcnt lgkmcnt(0)
	s_barrier
	s_and_saveexec_b64 s[8:9], s[46:47]
	s_cbranch_execz .LBB7_77
; %bb.76:
	ds_read_b32 v17, v12 offset:1296
	ds_read_b32 v18, v13
	s_waitcnt lgkmcnt(0)
	v_fmac_f32_e32 v16, v17, v18
.LBB7_77:
	s_or_b64 exec, exec, s[8:9]
	v_cmp_eq_u32_e64 s[8:9], 2, v14
	s_and_b64 s[48:49], s[8:9], s[12:13]
	s_barrier
	s_and_saveexec_b64 s[8:9], s[48:49]
; %bb.78:
	ds_write_b32 v13, v16
; %bb.79:
	s_or_b64 exec, exec, s[8:9]
	v_cmp_eq_u32_e64 s[8:9], 3, v14
	s_and_b64 s[38:39], s[8:9], s[12:13]
	s_waitcnt lgkmcnt(0)
	s_barrier
	s_and_saveexec_b64 s[8:9], s[38:39]
	s_cbranch_execz .LBB7_81
; %bb.80:
	v_mov_b32_e32 v17, 0
	ds_read_b32 v17, v17 offset:1564
	ds_read_b32 v18, v13
	s_waitcnt lgkmcnt(0)
	v_fmac_f32_e32 v16, v17, v18
.LBB7_81:
	s_or_b64 exec, exec, s[8:9]
	s_barrier
	s_and_saveexec_b64 s[8:9], s[38:39]
; %bb.82:
	ds_write_b32 v13, v16
; %bb.83:
	s_or_b64 exec, exec, s[8:9]
	s_waitcnt lgkmcnt(0)
	s_barrier
	s_barrier
	s_and_saveexec_b64 s[8:9], s[2:3]
; %bb.84:
	v_xor_b32_e32 v16, 0x80000000, v16
	ds_write_b32 v11, v16 offset:16
; %bb.85:
	s_or_b64 exec, exec, s[8:9]
	s_waitcnt lgkmcnt(0)
	s_barrier
	s_barrier
	s_and_saveexec_b64 s[8:9], vcc
; %bb.86:
	s_movk_i32 s10, 0x400
	v_mov_b32_e32 v16, 1.0
	v_add_u32_e64 v17, s10, 0
	ds_write2_b32 v17, v16, v16 offset0:4 offset1:69
; %bb.87:
	s_or_b64 exec, exec, s[8:9]
	v_mov_b32_e32 v16, 0
	s_waitcnt lgkmcnt(0)
	s_barrier
	s_and_saveexec_b64 s[10:11], s[0:1]
	s_cbranch_execz .LBB7_91
; %bb.88:
	v_mul_u32_u24_e32 v16, 0x104, v5
	ds_read_b32 v18, v2 offset:1048
	ds_read_b32 v16, v16 offset:1040
	v_mov_b32_e32 v17, 0
	v_cmp_gt_u32_e64 s[8:9], 2, v4
	s_waitcnt lgkmcnt(0)
	v_fma_f32 v16, v18, v16, 0
	s_and_saveexec_b64 s[12:13], s[8:9]
	s_cbranch_execz .LBB7_90
; %bb.89:
	v_lshlrev_b32_e32 v18, 2, v0
	ds_read_b32 v18, v18 offset:1304
	ds_read_b32 v17, v17 offset:1044
	s_waitcnt lgkmcnt(0)
	v_fmac_f32_e32 v16, v18, v17
.LBB7_90:
	s_or_b64 exec, exec, s[12:13]
	v_xor_b32_e32 v16, 0x80000000, v16
.LBB7_91:
	s_or_b64 exec, exec, s[10:11]
	s_and_saveexec_b64 s[8:9], s[36:37]
; %bb.92:
	ds_write_b32 v3, v16
; %bb.93:
	s_or_b64 exec, exec, s[8:9]
	s_waitcnt lgkmcnt(0)
	s_barrier
	s_and_saveexec_b64 s[8:9], s[24:25]
	s_cbranch_execz .LBB7_95
; %bb.94:
	v_mov_b32_e32 v17, 0
	ds_read_b32 v17, v17 offset:1564
	ds_read_b32 v18, v3
	s_waitcnt lgkmcnt(0)
	v_fmac_f32_e32 v16, v17, v18
.LBB7_95:
	s_or_b64 exec, exec, s[8:9]
	s_barrier
	s_and_saveexec_b64 s[8:9], s[24:25]
; %bb.96:
	ds_write_b32 v3, v16
; %bb.97:
	s_or_b64 exec, exec, s[8:9]
	s_waitcnt lgkmcnt(0)
	s_barrier
	s_barrier
	s_and_saveexec_b64 s[8:9], s[0:1]
; %bb.98:
	v_xor_b32_e32 v16, 0x80000000, v16
	ds_write_b32 v2, v16 offset:1048
; %bb.99:
	s_or_b64 exec, exec, s[8:9]
	s_waitcnt lgkmcnt(0)
	s_barrier
	s_barrier
	s_and_saveexec_b64 s[8:9], vcc
; %bb.100:
	s_movk_i32 s10, 0x400
	v_mov_b32_e32 v16, 1.0
	v_add_u32_e64 v17, s10, 0
	ds_write2_b32 v17, v16, v16 offset0:134 offset1:199
; %bb.101:
	s_or_b64 exec, exec, s[8:9]
	v_and_b32_e32 v19, 7, v0
	v_lshrrev_b32_e32 v20, 3, v4
	v_lshlrev_b32_e32 v17, 2, v19
	v_cmp_lt_u32_e64 s[8:9], 63, v4
	v_cmp_gt_u32_e64 s[14:15], 64, v4
	v_lshl_or_b32 v16, v20, 8, v17
	v_mov_b32_e32 v21, 0
	s_waitcnt lgkmcnt(0)
	s_barrier
	s_and_saveexec_b64 s[12:13], s[14:15]
	s_cbranch_execz .LBB7_111
; %bb.102:
	v_mul_u32_u24_e32 v21, 0x104, v20
	ds_read_b32 v18, v16 offset:32
	ds_read_b32 v22, v21
	v_cmp_gt_u32_e64 s[10:11], 56, v4
	s_waitcnt lgkmcnt(0)
	v_fma_f32 v18, v18, v22, 0
	s_and_saveexec_b64 s[16:17], s[10:11]
	s_cbranch_execnz .LBB7_1112
; %bb.103:
	s_or_b64 exec, exec, s[16:17]
	v_cmp_gt_u32_e64 s[10:11], 48, v4
	s_and_saveexec_b64 s[16:17], s[10:11]
	s_cbranch_execnz .LBB7_1113
.LBB7_104:
	s_or_b64 exec, exec, s[16:17]
	v_cmp_gt_u32_e64 s[10:11], 40, v4
	s_and_saveexec_b64 s[16:17], s[10:11]
	s_cbranch_execnz .LBB7_1114
.LBB7_105:
	s_or_b64 exec, exec, s[16:17]
	v_cmp_gt_u32_e64 s[10:11], 32, v4
	s_and_saveexec_b64 s[16:17], s[10:11]
	s_cbranch_execnz .LBB7_1115
.LBB7_106:
	s_or_b64 exec, exec, s[16:17]
	v_cmp_gt_u32_e64 s[10:11], 24, v4
	s_and_saveexec_b64 s[16:17], s[10:11]
	s_cbranch_execnz .LBB7_1116
.LBB7_107:
	s_or_b64 exec, exec, s[16:17]
	v_cmp_gt_u32_e64 s[10:11], 16, v4
	s_and_saveexec_b64 s[16:17], s[10:11]
	s_cbranch_execnz .LBB7_1117
.LBB7_108:
	s_or_b64 exec, exec, s[16:17]
	v_cmp_gt_u32_e64 s[10:11], 8, v4
	s_and_saveexec_b64 s[16:17], s[10:11]
	s_cbranch_execz .LBB7_110
.LBB7_109:
	v_lshlrev_b32_e32 v21, 2, v0
	v_mov_b32_e32 v22, 0
	ds_read_b32 v21, v21 offset:1824
	ds_read_b32 v22, v22 offset:28
	s_waitcnt lgkmcnt(0)
	v_fmac_f32_e32 v18, v21, v22
.LBB7_110:
	s_or_b64 exec, exec, s[16:17]
	v_xor_b32_e32 v21, 0x80000000, v18
.LBB7_111:
	s_or_b64 exec, exec, s[12:13]
	v_mov_b32_e32 v18, 0x4000
	v_cmp_eq_u32_e64 s[10:11], 0, v19
	s_xor_b64 s[12:13], s[8:9], -1
	v_lshl_add_u32 v18, v20, 2, v18
	s_and_b64 s[50:51], s[10:11], s[12:13]
	s_and_saveexec_b64 s[8:9], s[50:51]
; %bb.112:
	ds_write_b32 v18, v21
; %bb.113:
	s_or_b64 exec, exec, s[8:9]
	v_cmp_ne_u32_e64 s[8:9], 0, v19
	s_and_b64 s[52:53], s[8:9], s[12:13]
	s_waitcnt lgkmcnt(0)
	s_barrier
	s_and_saveexec_b64 s[8:9], s[52:53]
	s_cbranch_execz .LBB7_115
; %bb.114:
	ds_read_b32 v22, v17 offset:2080
	ds_read_b32 v23, v18
	s_waitcnt lgkmcnt(0)
	v_fmac_f32_e32 v21, v22, v23
.LBB7_115:
	s_or_b64 exec, exec, s[8:9]
	v_cmp_eq_u32_e64 s[8:9], 1, v19
	s_and_b64 s[54:55], s[8:9], s[12:13]
	s_barrier
	s_and_saveexec_b64 s[8:9], s[54:55]
; %bb.116:
	ds_write_b32 v18, v21
; %bb.117:
	s_or_b64 exec, exec, s[8:9]
	v_cmp_lt_u32_e64 s[8:9], 1, v19
	s_and_b64 s[56:57], s[8:9], s[12:13]
	s_waitcnt lgkmcnt(0)
	s_barrier
	s_and_saveexec_b64 s[8:9], s[56:57]
	s_cbranch_execz .LBB7_119
; %bb.118:
	ds_read_b32 v22, v17 offset:2336
	ds_read_b32 v23, v18
	s_waitcnt lgkmcnt(0)
	v_fmac_f32_e32 v21, v22, v23
.LBB7_119:
	s_or_b64 exec, exec, s[8:9]
	v_cmp_eq_u32_e64 s[8:9], 2, v19
	s_and_b64 s[60:61], s[8:9], s[12:13]
	s_barrier
	s_and_saveexec_b64 s[8:9], s[60:61]
; %bb.120:
	ds_write_b32 v18, v21
; %bb.121:
	s_or_b64 exec, exec, s[8:9]
	v_cmp_lt_u32_e64 s[8:9], 2, v19
	;; [unrolled: 21-line block ×5, first 2 shown]
	s_and_b64 s[74:75], s[8:9], s[12:13]
	s_waitcnt lgkmcnt(0)
	s_barrier
	s_and_saveexec_b64 s[8:9], s[74:75]
	s_cbranch_execz .LBB7_135
; %bb.134:
	ds_read_b32 v22, v17 offset:3360
	ds_read_b32 v23, v18
	s_waitcnt lgkmcnt(0)
	v_fmac_f32_e32 v21, v22, v23
.LBB7_135:
	s_or_b64 exec, exec, s[8:9]
	v_cmp_eq_u32_e64 s[8:9], 6, v19
	s_and_b64 s[76:77], s[8:9], s[12:13]
	s_barrier
	s_and_saveexec_b64 s[8:9], s[76:77]
; %bb.136:
	ds_write_b32 v18, v21
; %bb.137:
	s_or_b64 exec, exec, s[8:9]
	v_cmp_eq_u32_e64 s[8:9], 7, v19
	s_and_b64 s[58:59], s[8:9], s[12:13]
	s_waitcnt lgkmcnt(0)
	s_barrier
	s_and_saveexec_b64 s[8:9], s[58:59]
	s_cbranch_execz .LBB7_139
; %bb.138:
	v_mov_b32_e32 v22, 0
	ds_read_b32 v22, v22 offset:3644
	ds_read_b32 v23, v18
	s_waitcnt lgkmcnt(0)
	v_fmac_f32_e32 v21, v22, v23
.LBB7_139:
	s_or_b64 exec, exec, s[8:9]
	s_barrier
	s_and_saveexec_b64 s[8:9], s[58:59]
; %bb.140:
	ds_write_b32 v18, v21
; %bb.141:
	s_or_b64 exec, exec, s[8:9]
	s_waitcnt lgkmcnt(0)
	s_barrier
	s_barrier
	s_and_saveexec_b64 s[8:9], s[14:15]
; %bb.142:
	v_xor_b32_e32 v21, 0x80000000, v21
	ds_write_b32 v16, v21 offset:32
; %bb.143:
	s_or_b64 exec, exec, s[8:9]
	s_waitcnt lgkmcnt(0)
	s_barrier
	s_barrier
	s_and_saveexec_b64 s[8:9], vcc
; %bb.144:
	s_movk_i32 s10, 0x800
	v_mov_b32_e32 v21, 1.0
	v_add_u32_e64 v22, s10, 0
	ds_write2_b32 v22, v21, v21 offset0:8 offset1:73
; %bb.145:
	s_or_b64 exec, exec, s[8:9]
	v_mov_b32_e32 v21, 0
	s_waitcnt lgkmcnt(0)
	s_barrier
	s_and_saveexec_b64 s[10:11], s[0:1]
	s_cbranch_execz .LBB7_149
; %bb.146:
	v_mul_u32_u24_e32 v21, 0x104, v5
	ds_read_b32 v23, v2 offset:2088
	ds_read_b32 v21, v21 offset:2080
	v_mov_b32_e32 v22, 0
	v_cmp_gt_u32_e64 s[8:9], 2, v4
	s_waitcnt lgkmcnt(0)
	v_fma_f32 v21, v23, v21, 0
	s_and_saveexec_b64 s[12:13], s[8:9]
	s_cbranch_execz .LBB7_148
; %bb.147:
	v_lshlrev_b32_e32 v23, 2, v0
	ds_read_b32 v23, v23 offset:2344
	ds_read_b32 v22, v22 offset:2084
	s_waitcnt lgkmcnt(0)
	v_fmac_f32_e32 v21, v23, v22
.LBB7_148:
	s_or_b64 exec, exec, s[12:13]
	v_xor_b32_e32 v21, 0x80000000, v21
.LBB7_149:
	s_or_b64 exec, exec, s[10:11]
	s_and_saveexec_b64 s[8:9], s[36:37]
; %bb.150:
	ds_write_b32 v3, v21
; %bb.151:
	s_or_b64 exec, exec, s[8:9]
	s_waitcnt lgkmcnt(0)
	s_barrier
	s_and_saveexec_b64 s[8:9], s[24:25]
	s_cbranch_execz .LBB7_153
; %bb.152:
	v_mov_b32_e32 v22, 0
	ds_read_b32 v22, v22 offset:2604
	ds_read_b32 v23, v3
	s_waitcnt lgkmcnt(0)
	v_fmac_f32_e32 v21, v22, v23
.LBB7_153:
	s_or_b64 exec, exec, s[8:9]
	s_barrier
	s_and_saveexec_b64 s[8:9], s[24:25]
; %bb.154:
	ds_write_b32 v3, v21
; %bb.155:
	s_or_b64 exec, exec, s[8:9]
	s_waitcnt lgkmcnt(0)
	s_barrier
	s_barrier
	s_and_saveexec_b64 s[8:9], s[0:1]
; %bb.156:
	v_xor_b32_e32 v21, 0x80000000, v21
	ds_write_b32 v2, v21 offset:2088
; %bb.157:
	s_or_b64 exec, exec, s[8:9]
	s_waitcnt lgkmcnt(0)
	s_barrier
	s_barrier
	s_and_saveexec_b64 s[8:9], vcc
; %bb.158:
	s_movk_i32 s10, 0x800
	v_mov_b32_e32 v21, 1.0
	v_add_u32_e64 v22, s10, 0
	ds_write2_b32 v22, v21, v21 offset0:138 offset1:203
; %bb.159:
	s_or_b64 exec, exec, s[8:9]
	v_mov_b32_e32 v21, 0
	s_waitcnt lgkmcnt(0)
	s_barrier
	s_and_saveexec_b64 s[10:11], s[2:3]
	s_cbranch_execz .LBB7_165
; %bb.160:
	v_mul_u32_u24_e32 v22, 0x104, v15
	ds_read_b32 v21, v11 offset:2096
	ds_read_b32 v23, v22 offset:2080
	v_cmp_gt_u32_e64 s[8:9], 12, v4
	s_waitcnt lgkmcnt(0)
	v_fma_f32 v21, v21, v23, 0
	s_and_saveexec_b64 s[12:13], s[8:9]
	s_cbranch_execnz .LBB7_1118
; %bb.161:
	s_or_b64 exec, exec, s[12:13]
	v_cmp_gt_u32_e64 s[8:9], 8, v4
	s_and_saveexec_b64 s[12:13], s[8:9]
	s_cbranch_execnz .LBB7_1119
.LBB7_162:
	s_or_b64 exec, exec, s[12:13]
	v_cmp_gt_u32_e64 s[8:9], 4, v4
	s_and_saveexec_b64 s[12:13], s[8:9]
	s_cbranch_execz .LBB7_164
.LBB7_163:
	v_lshlrev_b32_e32 v22, 2, v0
	v_mov_b32_e32 v23, 0
	ds_read_b32 v22, v22 offset:2864
	ds_read_b32 v23, v23 offset:2092
	s_waitcnt lgkmcnt(0)
	v_fmac_f32_e32 v21, v22, v23
.LBB7_164:
	s_or_b64 exec, exec, s[12:13]
	v_xor_b32_e32 v21, 0x80000000, v21
.LBB7_165:
	s_or_b64 exec, exec, s[10:11]
	s_and_saveexec_b64 s[8:9], s[40:41]
; %bb.166:
	ds_write_b32 v13, v21
; %bb.167:
	s_or_b64 exec, exec, s[8:9]
	s_waitcnt lgkmcnt(0)
	s_barrier
	s_and_saveexec_b64 s[8:9], s[42:43]
	s_cbranch_execz .LBB7_169
; %bb.168:
	ds_read_b32 v22, v12 offset:3120
	ds_read_b32 v23, v13
	s_waitcnt lgkmcnt(0)
	v_fmac_f32_e32 v21, v22, v23
.LBB7_169:
	s_or_b64 exec, exec, s[8:9]
	s_barrier
	s_and_saveexec_b64 s[8:9], s[44:45]
; %bb.170:
	ds_write_b32 v13, v21
; %bb.171:
	s_or_b64 exec, exec, s[8:9]
	s_waitcnt lgkmcnt(0)
	s_barrier
	s_and_saveexec_b64 s[8:9], s[46:47]
	s_cbranch_execz .LBB7_173
; %bb.172:
	ds_read_b32 v22, v12 offset:3376
	ds_read_b32 v23, v13
	s_waitcnt lgkmcnt(0)
	v_fmac_f32_e32 v21, v22, v23
.LBB7_173:
	s_or_b64 exec, exec, s[8:9]
	s_barrier
	s_and_saveexec_b64 s[8:9], s[48:49]
; %bb.174:
	ds_write_b32 v13, v21
; %bb.175:
	s_or_b64 exec, exec, s[8:9]
	s_waitcnt lgkmcnt(0)
	s_barrier
	s_and_saveexec_b64 s[8:9], s[38:39]
	s_cbranch_execz .LBB7_177
; %bb.176:
	v_mov_b32_e32 v22, 0
	ds_read_b32 v22, v22 offset:3644
	ds_read_b32 v23, v13
	s_waitcnt lgkmcnt(0)
	v_fmac_f32_e32 v21, v22, v23
.LBB7_177:
	s_or_b64 exec, exec, s[8:9]
	s_barrier
	s_and_saveexec_b64 s[8:9], s[38:39]
; %bb.178:
	ds_write_b32 v13, v21
; %bb.179:
	s_or_b64 exec, exec, s[8:9]
	s_waitcnt lgkmcnt(0)
	s_barrier
	s_barrier
	s_and_saveexec_b64 s[8:9], s[2:3]
; %bb.180:
	v_xor_b32_e32 v21, 0x80000000, v21
	ds_write_b32 v11, v21 offset:2096
; %bb.181:
	s_or_b64 exec, exec, s[8:9]
	s_waitcnt lgkmcnt(0)
	s_barrier
	s_barrier
	s_and_saveexec_b64 s[8:9], vcc
; %bb.182:
	s_movk_i32 s10, 0xc00
	v_mov_b32_e32 v21, 1.0
	v_add_u32_e64 v22, s10, 0
	ds_write2_b32 v22, v21, v21 offset0:12 offset1:77
; %bb.183:
	s_or_b64 exec, exec, s[8:9]
	v_mov_b32_e32 v21, 0
	s_waitcnt lgkmcnt(0)
	s_barrier
	s_and_saveexec_b64 s[10:11], s[0:1]
	s_cbranch_execz .LBB7_187
; %bb.184:
	v_mul_u32_u24_e32 v21, 0x104, v5
	ds_read_b32 v23, v2 offset:3128
	ds_read_b32 v21, v21 offset:3120
	v_mov_b32_e32 v22, 0
	v_cmp_gt_u32_e64 s[8:9], 2, v4
	s_waitcnt lgkmcnt(0)
	v_fma_f32 v21, v23, v21, 0
	s_and_saveexec_b64 s[12:13], s[8:9]
	s_cbranch_execz .LBB7_186
; %bb.185:
	v_lshlrev_b32_e32 v23, 2, v0
	ds_read_b32 v23, v23 offset:3384
	ds_read_b32 v22, v22 offset:3124
	s_waitcnt lgkmcnt(0)
	v_fmac_f32_e32 v21, v23, v22
.LBB7_186:
	s_or_b64 exec, exec, s[12:13]
	v_xor_b32_e32 v21, 0x80000000, v21
.LBB7_187:
	s_or_b64 exec, exec, s[10:11]
	s_and_saveexec_b64 s[8:9], s[36:37]
; %bb.188:
	ds_write_b32 v3, v21
; %bb.189:
	s_or_b64 exec, exec, s[8:9]
	s_waitcnt lgkmcnt(0)
	s_barrier
	s_and_saveexec_b64 s[8:9], s[24:25]
	s_cbranch_execz .LBB7_191
; %bb.190:
	v_mov_b32_e32 v22, 0
	ds_read_b32 v22, v22 offset:3644
	ds_read_b32 v23, v3
	s_waitcnt lgkmcnt(0)
	v_fmac_f32_e32 v21, v22, v23
.LBB7_191:
	s_or_b64 exec, exec, s[8:9]
	s_barrier
	s_and_saveexec_b64 s[8:9], s[24:25]
; %bb.192:
	ds_write_b32 v3, v21
; %bb.193:
	s_or_b64 exec, exec, s[8:9]
	s_waitcnt lgkmcnt(0)
	s_barrier
	s_barrier
	s_and_saveexec_b64 s[8:9], s[0:1]
; %bb.194:
	v_xor_b32_e32 v21, 0x80000000, v21
	ds_write_b32 v2, v21 offset:3128
; %bb.195:
	s_or_b64 exec, exec, s[8:9]
	s_waitcnt lgkmcnt(0)
	s_barrier
	s_barrier
	s_and_saveexec_b64 s[8:9], vcc
; %bb.196:
	s_movk_i32 s10, 0xc00
	v_mov_b32_e32 v21, 1.0
	v_add_u32_e64 v22, s10, 0
	ds_write2_b32 v22, v21, v21 offset0:142 offset1:207
; %bb.197:
	s_or_b64 exec, exec, s[8:9]
	v_lshrrev_b32_e32 v25, 4, v4
	v_and_b32_e32 v22, 15, v0
	s_movk_i32 s8, 0xff
	v_lshlrev_b32_e32 v24, 6, v25
	v_cmp_lt_u32_e64 s[10:11], s8, v4
	s_movk_i32 s8, 0x100
	v_or_b32_e32 v21, v24, v22
	v_cmp_gt_u32_e64 s[8:9], s8, v4
	v_lshlrev_b32_e32 v21, 2, v21
	v_mov_b32_e32 v26, 0
	s_waitcnt lgkmcnt(0)
	s_barrier
	s_and_saveexec_b64 s[16:17], s[8:9]
	s_cbranch_execz .LBB7_225
; %bb.198:
	v_mul_u32_u24_e32 v26, 0x104, v25
	ds_read_b32 v23, v21 offset:64
	ds_read_b32 v27, v26
	s_movk_i32 s12, 0xf0
	v_cmp_gt_u32_e64 s[12:13], s12, v4
	s_waitcnt lgkmcnt(0)
	v_fma_f32 v23, v23, v27, 0
	s_and_saveexec_b64 s[78:79], s[12:13]
	s_cbranch_execz .LBB7_200
; %bb.199:
	v_lshlrev_b32_e32 v27, 2, v25
	v_sub_u32_e32 v27, v26, v27
	v_lshl_add_u32 v27, v22, 2, v27
	ds_read_b32 v27, v27 offset:320
	ds_read_b32 v28, v26 offset:4
	s_waitcnt lgkmcnt(0)
	v_fmac_f32_e32 v23, v27, v28
.LBB7_200:
	s_or_b64 exec, exec, s[78:79]
	s_movk_i32 s12, 0xe0
	v_cmp_gt_u32_e64 s[12:13], s12, v4
	s_and_saveexec_b64 s[78:79], s[12:13]
	s_cbranch_execz .LBB7_202
; %bb.201:
	v_lshlrev_b32_e32 v27, 2, v25
	v_sub_u32_e32 v27, v26, v27
	v_lshl_add_u32 v27, v22, 2, v27
	ds_read_b32 v27, v27 offset:576
	ds_read_b32 v28, v26 offset:8
	s_waitcnt lgkmcnt(0)
	v_fmac_f32_e32 v23, v27, v28
.LBB7_202:
	s_or_b64 exec, exec, s[78:79]
	s_movk_i32 s12, 0xd0
	v_cmp_gt_u32_e64 s[12:13], s12, v4
	;; [unrolled: 14-line block ×7, first 2 shown]
	s_and_saveexec_b64 s[78:79], s[12:13]
	s_cbranch_execz .LBB7_214
; %bb.213:
	ds_read_b32 v27, v21 offset:2112
	ds_read_b32 v28, v26 offset:32
	s_waitcnt lgkmcnt(0)
	v_fmac_f32_e32 v23, v27, v28
.LBB7_214:
	s_or_b64 exec, exec, s[78:79]
	s_movk_i32 s12, 0x70
	v_cmp_gt_u32_e64 s[12:13], s12, v4
	s_and_saveexec_b64 s[78:79], s[12:13]
	s_cbranch_execz .LBB7_216
; %bb.215:
	v_lshlrev_b32_e32 v27, 2, v25
	v_sub_u32_e32 v27, v26, v27
	v_lshl_add_u32 v27, v22, 2, v27
	ds_read_b32 v27, v27 offset:2368
	ds_read_b32 v28, v26 offset:36
	s_waitcnt lgkmcnt(0)
	v_fmac_f32_e32 v23, v27, v28
.LBB7_216:
	s_or_b64 exec, exec, s[78:79]
	s_movk_i32 s12, 0x60
	v_cmp_gt_u32_e64 s[12:13], s12, v4
	s_and_saveexec_b64 s[78:79], s[12:13]
	s_cbranch_execz .LBB7_218
; %bb.217:
	v_lshlrev_b32_e32 v27, 2, v22
	v_lshl_add_u32 v27, v24, 2, v27
	ds_read_b32 v27, v27 offset:2624
	ds_read_b32 v28, v26 offset:40
	s_waitcnt lgkmcnt(0)
	v_fmac_f32_e32 v23, v27, v28
.LBB7_218:
	s_or_b64 exec, exec, s[78:79]
	s_movk_i32 s12, 0x50
	v_cmp_gt_u32_e64 s[12:13], s12, v4
	s_and_saveexec_b64 s[78:79], s[12:13]
	s_cbranch_execnz .LBB7_1120
; %bb.219:
	s_or_b64 exec, exec, s[78:79]
	v_cmp_gt_u32_e64 s[12:13], 64, v4
	s_and_saveexec_b64 s[78:79], s[12:13]
	s_cbranch_execnz .LBB7_1121
.LBB7_220:
	s_or_b64 exec, exec, s[78:79]
	v_cmp_gt_u32_e64 s[12:13], 48, v4
	s_and_saveexec_b64 s[78:79], s[12:13]
	s_cbranch_execnz .LBB7_1122
.LBB7_221:
	s_or_b64 exec, exec, s[78:79]
	v_cmp_gt_u32_e64 s[12:13], 32, v4
	s_and_saveexec_b64 s[78:79], s[12:13]
	s_cbranch_execnz .LBB7_1123
.LBB7_222:
	s_or_b64 exec, exec, s[78:79]
	v_cmp_gt_u32_e64 s[12:13], 16, v4
	s_and_saveexec_b64 s[78:79], s[12:13]
	s_cbranch_execz .LBB7_224
.LBB7_223:
	v_lshlrev_b32_e32 v26, 2, v0
	v_mov_b32_e32 v27, 0
	ds_read_b32 v26, v26 offset:3904
	ds_read_b32 v27, v27 offset:60
	s_waitcnt lgkmcnt(0)
	v_fmac_f32_e32 v23, v26, v27
.LBB7_224:
	s_or_b64 exec, exec, s[78:79]
	v_xor_b32_e32 v26, 0x80000000, v23
.LBB7_225:
	s_or_b64 exec, exec, s[16:17]
	v_mov_b32_e32 v23, 0x4000
	v_lshl_add_u32 v23, v25, 2, v23
	v_cmp_eq_u32_e64 s[12:13], 0, v22
	s_xor_b64 s[16:17], s[10:11], -1
	s_and_b64 s[12:13], s[12:13], s[16:17]
	s_mov_b64 s[10:11], exec
	v_writelane_b32 v34, s12, 1
	v_writelane_b32 v34, s13, 2
	s_and_b64 s[12:13], s[10:11], s[12:13]
	s_mov_b64 exec, s[12:13]
; %bb.226:
	ds_write_b32 v23, v26
; %bb.227:
	s_or_b64 exec, exec, s[10:11]
	v_cmp_ne_u32_e64 s[10:11], 0, v22
	s_waitcnt lgkmcnt(0)
	s_barrier
	s_and_b64 s[12:13], s[10:11], s[16:17]
	s_mov_b64 s[10:11], exec
	v_writelane_b32 v34, s12, 3
	v_writelane_b32 v34, s13, 4
	s_and_b64 s[12:13], s[10:11], s[12:13]
	s_mov_b64 exec, s[12:13]
	s_cbranch_execz .LBB7_229
; %bb.228:
	v_lshlrev_b32_e32 v27, 2, v22
	ds_read_b32 v27, v27 offset:4160
	ds_read_b32 v28, v23
	s_waitcnt lgkmcnt(0)
	v_fmac_f32_e32 v26, v27, v28
.LBB7_229:
	s_or_b64 exec, exec, s[10:11]
	v_cmp_eq_u32_e64 s[10:11], 1, v22
	s_barrier
	s_and_b64 s[12:13], s[10:11], s[16:17]
	s_mov_b64 s[10:11], exec
	v_writelane_b32 v34, s12, 5
	v_writelane_b32 v34, s13, 6
	s_and_b64 s[12:13], s[10:11], s[12:13]
	s_mov_b64 exec, s[12:13]
; %bb.230:
	ds_write_b32 v23, v26
; %bb.231:
	s_or_b64 exec, exec, s[10:11]
	v_cmp_lt_u32_e64 s[10:11], 1, v22
	s_waitcnt lgkmcnt(0)
	s_barrier
	s_and_b64 s[12:13], s[10:11], s[16:17]
	s_mov_b64 s[10:11], exec
	v_writelane_b32 v34, s12, 7
	v_writelane_b32 v34, s13, 8
	s_and_b64 s[12:13], s[10:11], s[12:13]
	s_mov_b64 exec, s[12:13]
	s_cbranch_execz .LBB7_233
; %bb.232:
	v_lshlrev_b32_e32 v27, 2, v22
	ds_read_b32 v27, v27 offset:4416
	ds_read_b32 v28, v23
	s_waitcnt lgkmcnt(0)
	v_fmac_f32_e32 v26, v27, v28
.LBB7_233:
	s_or_b64 exec, exec, s[10:11]
	v_cmp_eq_u32_e64 s[10:11], 2, v22
	s_barrier
	s_and_b64 s[12:13], s[10:11], s[16:17]
	s_mov_b64 s[10:11], exec
	v_writelane_b32 v34, s12, 9
	v_writelane_b32 v34, s13, 10
	s_and_b64 s[12:13], s[10:11], s[12:13]
	s_mov_b64 exec, s[12:13]
; %bb.234:
	ds_write_b32 v23, v26
; %bb.235:
	s_or_b64 exec, exec, s[10:11]
	v_cmp_lt_u32_e64 s[10:11], 2, v22
	s_waitcnt lgkmcnt(0)
	s_barrier
	s_and_b64 s[12:13], s[10:11], s[16:17]
	s_mov_b64 s[10:11], exec
	v_writelane_b32 v34, s12, 11
	v_writelane_b32 v34, s13, 12
	s_and_b64 s[12:13], s[10:11], s[12:13]
	s_mov_b64 exec, s[12:13]
	s_cbranch_execz .LBB7_237
; %bb.236:
	v_lshlrev_b32_e32 v27, 2, v22
	ds_read_b32 v27, v27 offset:4672
	ds_read_b32 v28, v23
	s_waitcnt lgkmcnt(0)
	v_fmac_f32_e32 v26, v27, v28
.LBB7_237:
	s_or_b64 exec, exec, s[10:11]
	v_cmp_eq_u32_e64 s[10:11], 3, v22
	s_barrier
	s_and_b64 s[12:13], s[10:11], s[16:17]
	s_mov_b64 s[10:11], exec
	v_writelane_b32 v34, s12, 13
	v_writelane_b32 v34, s13, 14
	s_and_b64 s[12:13], s[10:11], s[12:13]
	s_mov_b64 exec, s[12:13]
; %bb.238:
	ds_write_b32 v23, v26
; %bb.239:
	s_or_b64 exec, exec, s[10:11]
	v_cmp_lt_u32_e64 s[10:11], 3, v22
	s_waitcnt lgkmcnt(0)
	s_barrier
	s_and_b64 s[12:13], s[10:11], s[16:17]
	s_mov_b64 s[10:11], exec
	v_writelane_b32 v34, s12, 15
	v_writelane_b32 v34, s13, 16
	s_and_b64 s[12:13], s[10:11], s[12:13]
	s_mov_b64 exec, s[12:13]
	s_cbranch_execz .LBB7_241
; %bb.240:
	v_lshlrev_b32_e32 v27, 2, v22
	ds_read_b32 v27, v27 offset:4928
	ds_read_b32 v28, v23
	s_waitcnt lgkmcnt(0)
	v_fmac_f32_e32 v26, v27, v28
.LBB7_241:
	s_or_b64 exec, exec, s[10:11]
	v_cmp_eq_u32_e64 s[10:11], 4, v22
	s_barrier
	s_and_b64 s[12:13], s[10:11], s[16:17]
	s_mov_b64 s[10:11], exec
	v_writelane_b32 v34, s12, 17
	v_writelane_b32 v34, s13, 18
	s_and_b64 s[12:13], s[10:11], s[12:13]
	s_mov_b64 exec, s[12:13]
; %bb.242:
	ds_write_b32 v23, v26
; %bb.243:
	s_or_b64 exec, exec, s[10:11]
	v_cmp_lt_u32_e64 s[10:11], 4, v22
	s_waitcnt lgkmcnt(0)
	s_barrier
	s_and_b64 s[12:13], s[10:11], s[16:17]
	s_mov_b64 s[10:11], exec
	v_writelane_b32 v34, s12, 19
	v_writelane_b32 v34, s13, 20
	s_and_b64 s[12:13], s[10:11], s[12:13]
	s_mov_b64 exec, s[12:13]
	s_cbranch_execz .LBB7_245
; %bb.244:
	v_lshlrev_b32_e32 v27, 2, v22
	ds_read_b32 v27, v27 offset:5184
	ds_read_b32 v28, v23
	s_waitcnt lgkmcnt(0)
	v_fmac_f32_e32 v26, v27, v28
.LBB7_245:
	s_or_b64 exec, exec, s[10:11]
	v_cmp_eq_u32_e64 s[10:11], 5, v22
	s_barrier
	s_and_b64 s[12:13], s[10:11], s[16:17]
	s_mov_b64 s[10:11], exec
	v_writelane_b32 v34, s12, 21
	v_writelane_b32 v34, s13, 22
	s_and_b64 s[12:13], s[10:11], s[12:13]
	s_mov_b64 exec, s[12:13]
; %bb.246:
	ds_write_b32 v23, v26
; %bb.247:
	s_or_b64 exec, exec, s[10:11]
	v_cmp_lt_u32_e64 s[10:11], 5, v22
	s_waitcnt lgkmcnt(0)
	s_barrier
	s_and_b64 s[12:13], s[10:11], s[16:17]
	s_mov_b64 s[10:11], exec
	v_writelane_b32 v34, s12, 23
	v_writelane_b32 v34, s13, 24
	s_and_b64 s[12:13], s[10:11], s[12:13]
	s_mov_b64 exec, s[12:13]
	s_cbranch_execz .LBB7_249
; %bb.248:
	v_lshlrev_b32_e32 v27, 2, v22
	ds_read_b32 v27, v27 offset:5440
	ds_read_b32 v28, v23
	s_waitcnt lgkmcnt(0)
	v_fmac_f32_e32 v26, v27, v28
.LBB7_249:
	s_or_b64 exec, exec, s[10:11]
	v_cmp_eq_u32_e64 s[10:11], 6, v22
	s_barrier
	s_and_b64 s[12:13], s[10:11], s[16:17]
	s_mov_b64 s[10:11], exec
	v_writelane_b32 v34, s12, 25
	v_writelane_b32 v34, s13, 26
	s_and_b64 s[12:13], s[10:11], s[12:13]
	s_mov_b64 exec, s[12:13]
; %bb.250:
	ds_write_b32 v23, v26
; %bb.251:
	s_or_b64 exec, exec, s[10:11]
	v_cmp_lt_u32_e64 s[10:11], 6, v22
	s_waitcnt lgkmcnt(0)
	s_barrier
	s_and_b64 s[12:13], s[10:11], s[16:17]
	s_mov_b64 s[10:11], exec
	v_writelane_b32 v34, s12, 27
	v_writelane_b32 v34, s13, 28
	s_and_b64 s[12:13], s[10:11], s[12:13]
	s_mov_b64 exec, s[12:13]
	s_cbranch_execz .LBB7_253
; %bb.252:
	v_lshlrev_b32_e32 v27, 2, v22
	ds_read_b32 v27, v27 offset:5696
	ds_read_b32 v28, v23
	s_waitcnt lgkmcnt(0)
	v_fmac_f32_e32 v26, v27, v28
.LBB7_253:
	s_or_b64 exec, exec, s[10:11]
	v_cmp_eq_u32_e64 s[10:11], 7, v22
	s_barrier
	s_and_b64 s[12:13], s[10:11], s[16:17]
	s_mov_b64 s[10:11], exec
	v_writelane_b32 v34, s12, 29
	v_writelane_b32 v34, s13, 30
	s_and_b64 s[12:13], s[10:11], s[12:13]
	s_mov_b64 exec, s[12:13]
; %bb.254:
	ds_write_b32 v23, v26
; %bb.255:
	s_or_b64 exec, exec, s[10:11]
	v_cmp_lt_u32_e64 s[10:11], 7, v22
	s_waitcnt lgkmcnt(0)
	s_barrier
	s_and_b64 s[12:13], s[10:11], s[16:17]
	s_mov_b64 s[10:11], exec
	v_writelane_b32 v34, s12, 31
	v_writelane_b32 v34, s13, 32
	s_and_b64 s[12:13], s[10:11], s[12:13]
	s_mov_b64 exec, s[12:13]
	s_cbranch_execz .LBB7_257
; %bb.256:
	v_lshlrev_b32_e32 v27, 2, v22
	ds_read_b32 v27, v27 offset:5952
	ds_read_b32 v28, v23
	s_waitcnt lgkmcnt(0)
	v_fmac_f32_e32 v26, v27, v28
.LBB7_257:
	s_or_b64 exec, exec, s[10:11]
	v_cmp_eq_u32_e64 s[10:11], 8, v22
	s_barrier
	s_and_b64 s[12:13], s[10:11], s[16:17]
	s_mov_b64 s[10:11], exec
	v_writelane_b32 v34, s12, 33
	v_writelane_b32 v34, s13, 34
	s_and_b64 s[12:13], s[10:11], s[12:13]
	s_mov_b64 exec, s[12:13]
; %bb.258:
	ds_write_b32 v23, v26
; %bb.259:
	s_or_b64 exec, exec, s[10:11]
	v_cmp_lt_u32_e64 s[10:11], 8, v22
	s_waitcnt lgkmcnt(0)
	s_barrier
	s_and_b64 s[12:13], s[10:11], s[16:17]
	s_mov_b64 s[10:11], exec
	v_writelane_b32 v34, s12, 35
	v_writelane_b32 v34, s13, 36
	s_and_b64 s[12:13], s[10:11], s[12:13]
	s_mov_b64 exec, s[12:13]
	s_cbranch_execz .LBB7_261
; %bb.260:
	v_lshlrev_b32_e32 v27, 2, v22
	ds_read_b32 v27, v27 offset:6208
	ds_read_b32 v28, v23
	s_waitcnt lgkmcnt(0)
	v_fmac_f32_e32 v26, v27, v28
.LBB7_261:
	s_or_b64 exec, exec, s[10:11]
	v_cmp_eq_u32_e64 s[10:11], 9, v22
	s_barrier
	s_and_b64 s[12:13], s[10:11], s[16:17]
	s_mov_b64 s[10:11], exec
	v_writelane_b32 v34, s12, 37
	v_writelane_b32 v34, s13, 38
	s_and_b64 s[12:13], s[10:11], s[12:13]
	s_mov_b64 exec, s[12:13]
; %bb.262:
	ds_write_b32 v23, v26
; %bb.263:
	s_or_b64 exec, exec, s[10:11]
	v_cmp_lt_u32_e64 s[10:11], 9, v22
	s_waitcnt lgkmcnt(0)
	s_barrier
	s_and_b64 s[12:13], s[10:11], s[16:17]
	s_mov_b64 s[10:11], exec
	v_writelane_b32 v34, s12, 39
	v_writelane_b32 v34, s13, 40
	s_and_b64 s[12:13], s[10:11], s[12:13]
	s_mov_b64 exec, s[12:13]
	s_cbranch_execz .LBB7_265
; %bb.264:
	v_lshlrev_b32_e32 v27, 2, v22
	ds_read_b32 v27, v27 offset:6464
	ds_read_b32 v28, v23
	s_waitcnt lgkmcnt(0)
	v_fmac_f32_e32 v26, v27, v28
.LBB7_265:
	s_or_b64 exec, exec, s[10:11]
	v_cmp_eq_u32_e64 s[10:11], 10, v22
	s_barrier
	s_and_b64 s[12:13], s[10:11], s[16:17]
	s_mov_b64 s[10:11], exec
	v_writelane_b32 v34, s12, 41
	v_writelane_b32 v34, s13, 42
	s_and_b64 s[12:13], s[10:11], s[12:13]
	s_mov_b64 exec, s[12:13]
; %bb.266:
	ds_write_b32 v23, v26
; %bb.267:
	s_or_b64 exec, exec, s[10:11]
	v_cmp_lt_u32_e64 s[10:11], 10, v22
	s_waitcnt lgkmcnt(0)
	s_barrier
	s_and_b64 s[12:13], s[10:11], s[16:17]
	s_mov_b64 s[10:11], exec
	v_writelane_b32 v34, s12, 43
	v_writelane_b32 v34, s13, 44
	s_and_b64 s[12:13], s[10:11], s[12:13]
	s_mov_b64 exec, s[12:13]
	s_cbranch_execz .LBB7_269
; %bb.268:
	v_lshlrev_b32_e32 v27, 2, v22
	ds_read_b32 v27, v27 offset:6720
	ds_read_b32 v28, v23
	s_waitcnt lgkmcnt(0)
	v_fmac_f32_e32 v26, v27, v28
.LBB7_269:
	s_or_b64 exec, exec, s[10:11]
	v_cmp_eq_u32_e64 s[10:11], 11, v22
	s_barrier
	s_and_b64 s[12:13], s[10:11], s[16:17]
	s_mov_b64 s[10:11], exec
	v_writelane_b32 v34, s12, 45
	v_writelane_b32 v34, s13, 46
	s_and_b64 s[12:13], s[10:11], s[12:13]
	s_mov_b64 exec, s[12:13]
; %bb.270:
	ds_write_b32 v23, v26
; %bb.271:
	s_or_b64 exec, exec, s[10:11]
	v_cmp_lt_u32_e64 s[10:11], 11, v22
	s_waitcnt lgkmcnt(0)
	s_barrier
	s_and_b64 s[12:13], s[10:11], s[16:17]
	s_mov_b64 s[10:11], exec
	v_writelane_b32 v34, s12, 47
	v_writelane_b32 v34, s13, 48
	s_and_b64 s[12:13], s[10:11], s[12:13]
	s_mov_b64 exec, s[12:13]
	s_cbranch_execz .LBB7_273
; %bb.272:
	v_lshlrev_b32_e32 v27, 2, v22
	ds_read_b32 v27, v27 offset:6976
	ds_read_b32 v28, v23
	s_waitcnt lgkmcnt(0)
	v_fmac_f32_e32 v26, v27, v28
.LBB7_273:
	s_or_b64 exec, exec, s[10:11]
	v_cmp_eq_u32_e64 s[10:11], 12, v22
	s_and_b64 s[92:93], s[10:11], s[16:17]
	s_barrier
	s_and_saveexec_b64 s[10:11], s[92:93]
; %bb.274:
	ds_write_b32 v23, v26
; %bb.275:
	s_or_b64 exec, exec, s[10:11]
	v_cmp_lt_u32_e64 s[10:11], 12, v22
	s_and_b64 s[94:95], s[10:11], s[16:17]
	s_waitcnt lgkmcnt(0)
	s_barrier
	s_and_saveexec_b64 s[10:11], s[94:95]
	s_cbranch_execz .LBB7_277
; %bb.276:
	v_lshlrev_b32_e32 v27, 2, v22
	ds_read_b32 v27, v27 offset:7232
	ds_read_b32 v28, v23
	s_waitcnt lgkmcnt(0)
	v_fmac_f32_e32 v26, v27, v28
.LBB7_277:
	s_or_b64 exec, exec, s[10:11]
	v_cmp_eq_u32_e64 s[10:11], 13, v22
	s_and_b64 s[78:79], s[10:11], s[16:17]
	s_barrier
	s_and_saveexec_b64 s[10:11], s[78:79]
; %bb.278:
	ds_write_b32 v23, v26
; %bb.279:
	s_or_b64 exec, exec, s[10:11]
	v_cmp_lt_u32_e64 s[10:11], 13, v22
	s_and_b64 s[80:81], s[10:11], s[16:17]
	s_waitcnt lgkmcnt(0)
	s_barrier
	s_and_saveexec_b64 s[10:11], s[80:81]
	s_cbranch_execz .LBB7_281
; %bb.280:
	v_lshlrev_b32_e32 v27, 2, v22
	ds_read_b32 v27, v27 offset:7488
	ds_read_b32 v28, v23
	s_waitcnt lgkmcnt(0)
	v_fmac_f32_e32 v26, v27, v28
.LBB7_281:
	s_or_b64 exec, exec, s[10:11]
	v_cmp_eq_u32_e64 s[10:11], 14, v22
	s_and_b64 s[84:85], s[10:11], s[16:17]
	s_barrier
	s_and_saveexec_b64 s[10:11], s[84:85]
; %bb.282:
	ds_write_b32 v23, v26
; %bb.283:
	s_or_b64 exec, exec, s[10:11]
	v_cmp_eq_u32_e64 s[10:11], 15, v22
	s_and_b64 s[82:83], s[10:11], s[16:17]
	s_waitcnt lgkmcnt(0)
	s_barrier
	s_and_saveexec_b64 s[10:11], s[82:83]
	s_cbranch_execz .LBB7_285
; %bb.284:
	v_mov_b32_e32 v27, 0
	ds_read_b32 v27, v27 offset:7804
	ds_read_b32 v28, v23
	s_waitcnt lgkmcnt(0)
	v_fmac_f32_e32 v26, v27, v28
.LBB7_285:
	s_or_b64 exec, exec, s[10:11]
	s_barrier
	s_and_saveexec_b64 s[10:11], s[82:83]
; %bb.286:
	ds_write_b32 v23, v26
; %bb.287:
	s_or_b64 exec, exec, s[10:11]
	s_waitcnt lgkmcnt(0)
	s_barrier
	s_barrier
	s_and_saveexec_b64 s[10:11], s[8:9]
; %bb.288:
	v_xor_b32_e32 v26, 0x80000000, v26
	ds_write_b32 v21, v26 offset:64
; %bb.289:
	s_or_b64 exec, exec, s[10:11]
	s_waitcnt lgkmcnt(0)
	s_barrier
	s_barrier
	s_and_saveexec_b64 s[10:11], vcc
; %bb.290:
	s_movk_i32 s12, 0x1000
	v_mov_b32_e32 v26, 1.0
	v_add_u32_e64 v27, s12, 0
	ds_write2_b32 v27, v26, v26 offset0:16 offset1:81
; %bb.291:
	s_or_b64 exec, exec, s[10:11]
	v_mov_b32_e32 v26, 0
	s_waitcnt lgkmcnt(0)
	s_barrier
	s_and_saveexec_b64 s[12:13], s[0:1]
	s_cbranch_execz .LBB7_295
; %bb.292:
	v_mul_u32_u24_e32 v26, 0x104, v5
	ds_read_b32 v28, v2 offset:4168
	ds_read_b32 v26, v26 offset:4160
	v_mov_b32_e32 v27, 0
	v_cmp_gt_u32_e64 s[10:11], 2, v4
	s_waitcnt lgkmcnt(0)
	v_fma_f32 v26, v28, v26, 0
	s_and_saveexec_b64 s[16:17], s[10:11]
	s_cbranch_execz .LBB7_294
; %bb.293:
	v_lshlrev_b32_e32 v28, 2, v0
	ds_read_b32 v28, v28 offset:4424
	ds_read_b32 v27, v27 offset:4164
	s_waitcnt lgkmcnt(0)
	v_fmac_f32_e32 v26, v28, v27
.LBB7_294:
	s_or_b64 exec, exec, s[16:17]
	v_xor_b32_e32 v26, 0x80000000, v26
.LBB7_295:
	s_or_b64 exec, exec, s[12:13]
	s_and_saveexec_b64 s[10:11], s[36:37]
; %bb.296:
	ds_write_b32 v3, v26
; %bb.297:
	s_or_b64 exec, exec, s[10:11]
	s_waitcnt lgkmcnt(0)
	s_barrier
	s_and_saveexec_b64 s[10:11], s[24:25]
	s_cbranch_execz .LBB7_299
; %bb.298:
	v_mov_b32_e32 v27, 0
	ds_read_b32 v27, v27 offset:4684
	ds_read_b32 v28, v3
	s_waitcnt lgkmcnt(0)
	v_fmac_f32_e32 v26, v27, v28
.LBB7_299:
	s_or_b64 exec, exec, s[10:11]
	s_barrier
	s_and_saveexec_b64 s[10:11], s[24:25]
; %bb.300:
	ds_write_b32 v3, v26
; %bb.301:
	s_or_b64 exec, exec, s[10:11]
	s_waitcnt lgkmcnt(0)
	s_barrier
	s_barrier
	s_and_saveexec_b64 s[10:11], s[0:1]
; %bb.302:
	v_xor_b32_e32 v26, 0x80000000, v26
	ds_write_b32 v2, v26 offset:4168
; %bb.303:
	s_or_b64 exec, exec, s[10:11]
	s_waitcnt lgkmcnt(0)
	s_barrier
	s_barrier
	s_and_saveexec_b64 s[10:11], vcc
; %bb.304:
	s_movk_i32 s12, 0x1000
	v_mov_b32_e32 v26, 1.0
	v_add_u32_e64 v27, s12, 0
	ds_write2_b32 v27, v26, v26 offset0:146 offset1:211
; %bb.305:
	s_or_b64 exec, exec, s[10:11]
	v_mov_b32_e32 v26, 0
	s_waitcnt lgkmcnt(0)
	s_barrier
	s_and_saveexec_b64 s[12:13], s[2:3]
	s_cbranch_execz .LBB7_311
; %bb.306:
	v_mul_u32_u24_e32 v27, 0x104, v15
	ds_read_b32 v26, v11 offset:4176
	ds_read_b32 v28, v27 offset:4160
	v_cmp_gt_u32_e64 s[10:11], 12, v4
	s_waitcnt lgkmcnt(0)
	v_fma_f32 v26, v26, v28, 0
	s_and_saveexec_b64 s[16:17], s[10:11]
	s_cbranch_execnz .LBB7_1124
; %bb.307:
	s_or_b64 exec, exec, s[16:17]
	v_cmp_gt_u32_e64 s[10:11], 8, v4
	s_and_saveexec_b64 s[16:17], s[10:11]
	s_cbranch_execnz .LBB7_1125
.LBB7_308:
	s_or_b64 exec, exec, s[16:17]
	v_cmp_gt_u32_e64 s[10:11], 4, v4
	s_and_saveexec_b64 s[16:17], s[10:11]
	s_cbranch_execz .LBB7_310
.LBB7_309:
	v_lshlrev_b32_e32 v27, 2, v0
	v_mov_b32_e32 v28, 0
	ds_read_b32 v27, v27 offset:4944
	ds_read_b32 v28, v28 offset:4172
	s_waitcnt lgkmcnt(0)
	v_fmac_f32_e32 v26, v27, v28
.LBB7_310:
	s_or_b64 exec, exec, s[16:17]
	v_xor_b32_e32 v26, 0x80000000, v26
.LBB7_311:
	s_or_b64 exec, exec, s[12:13]
	s_and_saveexec_b64 s[10:11], s[40:41]
; %bb.312:
	ds_write_b32 v13, v26
; %bb.313:
	s_or_b64 exec, exec, s[10:11]
	s_waitcnt lgkmcnt(0)
	s_barrier
	s_and_saveexec_b64 s[10:11], s[42:43]
	s_cbranch_execz .LBB7_315
; %bb.314:
	ds_read_b32 v27, v12 offset:5200
	ds_read_b32 v28, v13
	s_waitcnt lgkmcnt(0)
	v_fmac_f32_e32 v26, v27, v28
.LBB7_315:
	s_or_b64 exec, exec, s[10:11]
	s_barrier
	s_and_saveexec_b64 s[10:11], s[44:45]
; %bb.316:
	ds_write_b32 v13, v26
; %bb.317:
	s_or_b64 exec, exec, s[10:11]
	s_waitcnt lgkmcnt(0)
	s_barrier
	s_and_saveexec_b64 s[10:11], s[46:47]
	s_cbranch_execz .LBB7_319
; %bb.318:
	ds_read_b32 v27, v12 offset:5456
	ds_read_b32 v28, v13
	s_waitcnt lgkmcnt(0)
	v_fmac_f32_e32 v26, v27, v28
.LBB7_319:
	s_or_b64 exec, exec, s[10:11]
	s_barrier
	s_and_saveexec_b64 s[10:11], s[48:49]
; %bb.320:
	ds_write_b32 v13, v26
; %bb.321:
	s_or_b64 exec, exec, s[10:11]
	s_waitcnt lgkmcnt(0)
	s_barrier
	s_and_saveexec_b64 s[10:11], s[38:39]
	s_cbranch_execz .LBB7_323
; %bb.322:
	v_mov_b32_e32 v27, 0
	ds_read_b32 v27, v27 offset:5724
	ds_read_b32 v28, v13
	s_waitcnt lgkmcnt(0)
	v_fmac_f32_e32 v26, v27, v28
.LBB7_323:
	s_or_b64 exec, exec, s[10:11]
	s_barrier
	s_and_saveexec_b64 s[10:11], s[38:39]
; %bb.324:
	ds_write_b32 v13, v26
; %bb.325:
	s_or_b64 exec, exec, s[10:11]
	s_waitcnt lgkmcnt(0)
	s_barrier
	s_barrier
	s_and_saveexec_b64 s[10:11], s[2:3]
; %bb.326:
	v_xor_b32_e32 v26, 0x80000000, v26
	ds_write_b32 v11, v26 offset:4176
; %bb.327:
	s_or_b64 exec, exec, s[10:11]
	s_waitcnt lgkmcnt(0)
	s_barrier
	s_barrier
	s_and_saveexec_b64 s[10:11], vcc
; %bb.328:
	s_movk_i32 s12, 0x1400
	v_mov_b32_e32 v26, 1.0
	v_add_u32_e64 v27, s12, 0
	ds_write2_b32 v27, v26, v26 offset0:20 offset1:85
; %bb.329:
	s_or_b64 exec, exec, s[10:11]
	v_mov_b32_e32 v26, 0
	s_waitcnt lgkmcnt(0)
	s_barrier
	s_and_saveexec_b64 s[12:13], s[0:1]
	s_cbranch_execz .LBB7_333
; %bb.330:
	v_mul_u32_u24_e32 v26, 0x104, v5
	ds_read_b32 v28, v2 offset:5208
	ds_read_b32 v26, v26 offset:5200
	v_mov_b32_e32 v27, 0
	v_cmp_gt_u32_e64 s[10:11], 2, v4
	s_waitcnt lgkmcnt(0)
	v_fma_f32 v26, v28, v26, 0
	s_and_saveexec_b64 s[16:17], s[10:11]
	s_cbranch_execz .LBB7_332
; %bb.331:
	v_lshlrev_b32_e32 v28, 2, v0
	ds_read_b32 v28, v28 offset:5464
	ds_read_b32 v27, v27 offset:5204
	s_waitcnt lgkmcnt(0)
	v_fmac_f32_e32 v26, v28, v27
.LBB7_332:
	s_or_b64 exec, exec, s[16:17]
	v_xor_b32_e32 v26, 0x80000000, v26
.LBB7_333:
	s_or_b64 exec, exec, s[12:13]
	s_and_saveexec_b64 s[10:11], s[36:37]
; %bb.334:
	ds_write_b32 v3, v26
; %bb.335:
	s_or_b64 exec, exec, s[10:11]
	s_waitcnt lgkmcnt(0)
	s_barrier
	s_and_saveexec_b64 s[10:11], s[24:25]
	s_cbranch_execz .LBB7_337
; %bb.336:
	v_mov_b32_e32 v27, 0
	ds_read_b32 v27, v27 offset:5724
	ds_read_b32 v28, v3
	s_waitcnt lgkmcnt(0)
	v_fmac_f32_e32 v26, v27, v28
.LBB7_337:
	s_or_b64 exec, exec, s[10:11]
	s_barrier
	s_and_saveexec_b64 s[10:11], s[24:25]
; %bb.338:
	ds_write_b32 v3, v26
; %bb.339:
	s_or_b64 exec, exec, s[10:11]
	s_waitcnt lgkmcnt(0)
	s_barrier
	s_barrier
	s_and_saveexec_b64 s[10:11], s[0:1]
; %bb.340:
	v_xor_b32_e32 v26, 0x80000000, v26
	ds_write_b32 v2, v26 offset:5208
; %bb.341:
	s_or_b64 exec, exec, s[10:11]
	s_waitcnt lgkmcnt(0)
	s_barrier
	s_barrier
	s_and_saveexec_b64 s[10:11], vcc
; %bb.342:
	s_movk_i32 s12, 0x1400
	v_mov_b32_e32 v26, 1.0
	v_add_u32_e64 v27, s12, 0
	ds_write2_b32 v27, v26, v26 offset0:150 offset1:215
; %bb.343:
	s_or_b64 exec, exec, s[10:11]
	v_mov_b32_e32 v26, 0
	s_waitcnt lgkmcnt(0)
	s_barrier
	s_and_saveexec_b64 s[12:13], s[14:15]
	s_cbranch_execz .LBB7_353
; %bb.344:
	v_mul_u32_u24_e32 v27, 0x104, v20
	ds_read_b32 v26, v16 offset:4192
	ds_read_b32 v28, v27 offset:4160
	v_cmp_gt_u32_e64 s[10:11], 56, v4
	s_waitcnt lgkmcnt(0)
	v_fma_f32 v26, v26, v28, 0
	s_and_saveexec_b64 s[16:17], s[10:11]
	s_cbranch_execnz .LBB7_1126
; %bb.345:
	s_or_b64 exec, exec, s[16:17]
	v_cmp_gt_u32_e64 s[10:11], 48, v4
	s_and_saveexec_b64 s[16:17], s[10:11]
	s_cbranch_execnz .LBB7_1127
.LBB7_346:
	s_or_b64 exec, exec, s[16:17]
	v_cmp_gt_u32_e64 s[10:11], 40, v4
	s_and_saveexec_b64 s[16:17], s[10:11]
	s_cbranch_execnz .LBB7_1128
.LBB7_347:
	s_or_b64 exec, exec, s[16:17]
	v_cmp_gt_u32_e64 s[10:11], 32, v4
	s_and_saveexec_b64 s[16:17], s[10:11]
	s_cbranch_execnz .LBB7_1129
.LBB7_348:
	s_or_b64 exec, exec, s[16:17]
	v_cmp_gt_u32_e64 s[10:11], 24, v4
	s_and_saveexec_b64 s[16:17], s[10:11]
	s_cbranch_execnz .LBB7_1130
.LBB7_349:
	s_or_b64 exec, exec, s[16:17]
	v_cmp_gt_u32_e64 s[10:11], 16, v4
	s_and_saveexec_b64 s[16:17], s[10:11]
	s_cbranch_execnz .LBB7_1131
.LBB7_350:
	s_or_b64 exec, exec, s[16:17]
	v_cmp_gt_u32_e64 s[10:11], 8, v4
	s_and_saveexec_b64 s[16:17], s[10:11]
	s_cbranch_execz .LBB7_352
.LBB7_351:
	v_lshlrev_b32_e32 v27, 2, v0
	v_mov_b32_e32 v28, 0
	ds_read_b32 v27, v27 offset:5984
	ds_read_b32 v28, v28 offset:4188
	s_waitcnt lgkmcnt(0)
	v_fmac_f32_e32 v26, v27, v28
.LBB7_352:
	s_or_b64 exec, exec, s[16:17]
	v_xor_b32_e32 v26, 0x80000000, v26
.LBB7_353:
	s_or_b64 exec, exec, s[12:13]
	s_and_saveexec_b64 s[10:11], s[50:51]
; %bb.354:
	ds_write_b32 v18, v26
; %bb.355:
	s_or_b64 exec, exec, s[10:11]
	s_waitcnt lgkmcnt(0)
	s_barrier
	s_and_saveexec_b64 s[10:11], s[52:53]
	s_cbranch_execz .LBB7_357
; %bb.356:
	ds_read_b32 v27, v17 offset:6240
	ds_read_b32 v28, v18
	s_waitcnt lgkmcnt(0)
	v_fmac_f32_e32 v26, v27, v28
.LBB7_357:
	s_or_b64 exec, exec, s[10:11]
	s_barrier
	s_and_saveexec_b64 s[10:11], s[54:55]
; %bb.358:
	ds_write_b32 v18, v26
; %bb.359:
	s_or_b64 exec, exec, s[10:11]
	s_waitcnt lgkmcnt(0)
	s_barrier
	s_and_saveexec_b64 s[10:11], s[56:57]
	s_cbranch_execz .LBB7_361
; %bb.360:
	ds_read_b32 v27, v17 offset:6496
	ds_read_b32 v28, v18
	s_waitcnt lgkmcnt(0)
	v_fmac_f32_e32 v26, v27, v28
.LBB7_361:
	s_or_b64 exec, exec, s[10:11]
	s_barrier
	;; [unrolled: 17-line block ×6, first 2 shown]
	s_and_saveexec_b64 s[10:11], s[76:77]
; %bb.378:
	ds_write_b32 v18, v26
; %bb.379:
	s_or_b64 exec, exec, s[10:11]
	s_waitcnt lgkmcnt(0)
	s_barrier
	s_and_saveexec_b64 s[10:11], s[58:59]
	s_cbranch_execz .LBB7_381
; %bb.380:
	v_mov_b32_e32 v27, 0
	ds_read_b32 v27, v27 offset:7804
	ds_read_b32 v28, v18
	s_waitcnt lgkmcnt(0)
	v_fmac_f32_e32 v26, v27, v28
.LBB7_381:
	s_or_b64 exec, exec, s[10:11]
	s_barrier
	s_and_saveexec_b64 s[10:11], s[58:59]
; %bb.382:
	ds_write_b32 v18, v26
; %bb.383:
	s_or_b64 exec, exec, s[10:11]
	s_waitcnt lgkmcnt(0)
	s_barrier
	s_barrier
	s_and_saveexec_b64 s[10:11], s[14:15]
; %bb.384:
	v_xor_b32_e32 v26, 0x80000000, v26
	ds_write_b32 v16, v26 offset:4192
; %bb.385:
	s_or_b64 exec, exec, s[10:11]
	s_waitcnt lgkmcnt(0)
	s_barrier
	s_barrier
	s_and_saveexec_b64 s[10:11], vcc
; %bb.386:
	s_movk_i32 s12, 0x1800
	v_mov_b32_e32 v26, 1.0
	v_add_u32_e64 v27, s12, 0
	ds_write2_b32 v27, v26, v26 offset0:24 offset1:89
; %bb.387:
	s_or_b64 exec, exec, s[10:11]
	v_mov_b32_e32 v26, 0
	s_waitcnt lgkmcnt(0)
	s_barrier
	s_and_saveexec_b64 s[12:13], s[0:1]
	s_cbranch_execz .LBB7_391
; %bb.388:
	v_mul_u32_u24_e32 v26, 0x104, v5
	ds_read_b32 v28, v2 offset:6248
	ds_read_b32 v26, v26 offset:6240
	v_mov_b32_e32 v27, 0
	v_cmp_gt_u32_e64 s[10:11], 2, v4
	s_waitcnt lgkmcnt(0)
	v_fma_f32 v26, v28, v26, 0
	s_and_saveexec_b64 s[16:17], s[10:11]
	s_cbranch_execz .LBB7_390
; %bb.389:
	v_lshlrev_b32_e32 v28, 2, v0
	ds_read_b32 v28, v28 offset:6504
	ds_read_b32 v27, v27 offset:6244
	s_waitcnt lgkmcnt(0)
	v_fmac_f32_e32 v26, v28, v27
.LBB7_390:
	s_or_b64 exec, exec, s[16:17]
	v_xor_b32_e32 v26, 0x80000000, v26
.LBB7_391:
	s_or_b64 exec, exec, s[12:13]
	s_and_saveexec_b64 s[10:11], s[36:37]
; %bb.392:
	ds_write_b32 v3, v26
; %bb.393:
	s_or_b64 exec, exec, s[10:11]
	s_waitcnt lgkmcnt(0)
	s_barrier
	s_and_saveexec_b64 s[10:11], s[24:25]
	s_cbranch_execz .LBB7_395
; %bb.394:
	v_mov_b32_e32 v27, 0
	ds_read_b32 v27, v27 offset:6764
	ds_read_b32 v28, v3
	s_waitcnt lgkmcnt(0)
	v_fmac_f32_e32 v26, v27, v28
.LBB7_395:
	s_or_b64 exec, exec, s[10:11]
	s_barrier
	s_and_saveexec_b64 s[10:11], s[24:25]
; %bb.396:
	ds_write_b32 v3, v26
; %bb.397:
	s_or_b64 exec, exec, s[10:11]
	s_waitcnt lgkmcnt(0)
	s_barrier
	s_barrier
	s_and_saveexec_b64 s[10:11], s[0:1]
; %bb.398:
	v_xor_b32_e32 v26, 0x80000000, v26
	ds_write_b32 v2, v26 offset:6248
; %bb.399:
	s_or_b64 exec, exec, s[10:11]
	s_waitcnt lgkmcnt(0)
	s_barrier
	s_barrier
	s_and_saveexec_b64 s[10:11], vcc
; %bb.400:
	s_movk_i32 s12, 0x1800
	v_mov_b32_e32 v26, 1.0
	v_add_u32_e64 v27, s12, 0
	ds_write2_b32 v27, v26, v26 offset0:154 offset1:219
; %bb.401:
	s_or_b64 exec, exec, s[10:11]
	v_mov_b32_e32 v26, 0
	s_waitcnt lgkmcnt(0)
	s_barrier
	s_and_saveexec_b64 s[12:13], s[2:3]
	s_cbranch_execz .LBB7_407
; %bb.402:
	v_mul_u32_u24_e32 v27, 0x104, v15
	ds_read_b32 v26, v11 offset:6256
	ds_read_b32 v28, v27 offset:6240
	v_cmp_gt_u32_e64 s[10:11], 12, v4
	s_waitcnt lgkmcnt(0)
	v_fma_f32 v26, v26, v28, 0
	s_and_saveexec_b64 s[16:17], s[10:11]
	s_cbranch_execnz .LBB7_1132
; %bb.403:
	s_or_b64 exec, exec, s[16:17]
	v_cmp_gt_u32_e64 s[10:11], 8, v4
	s_and_saveexec_b64 s[16:17], s[10:11]
	s_cbranch_execnz .LBB7_1133
.LBB7_404:
	s_or_b64 exec, exec, s[16:17]
	v_cmp_gt_u32_e64 s[10:11], 4, v4
	s_and_saveexec_b64 s[16:17], s[10:11]
	s_cbranch_execz .LBB7_406
.LBB7_405:
	v_lshlrev_b32_e32 v27, 2, v0
	v_mov_b32_e32 v28, 0
	ds_read_b32 v27, v27 offset:7024
	ds_read_b32 v28, v28 offset:6252
	s_waitcnt lgkmcnt(0)
	v_fmac_f32_e32 v26, v27, v28
.LBB7_406:
	s_or_b64 exec, exec, s[16:17]
	v_xor_b32_e32 v26, 0x80000000, v26
.LBB7_407:
	s_or_b64 exec, exec, s[12:13]
	s_and_saveexec_b64 s[10:11], s[40:41]
; %bb.408:
	ds_write_b32 v13, v26
; %bb.409:
	s_or_b64 exec, exec, s[10:11]
	s_waitcnt lgkmcnt(0)
	s_barrier
	s_and_saveexec_b64 s[10:11], s[42:43]
	s_cbranch_execz .LBB7_411
; %bb.410:
	ds_read_b32 v27, v12 offset:7280
	ds_read_b32 v28, v13
	s_waitcnt lgkmcnt(0)
	v_fmac_f32_e32 v26, v27, v28
.LBB7_411:
	s_or_b64 exec, exec, s[10:11]
	s_barrier
	s_and_saveexec_b64 s[10:11], s[44:45]
; %bb.412:
	ds_write_b32 v13, v26
; %bb.413:
	s_or_b64 exec, exec, s[10:11]
	s_waitcnt lgkmcnt(0)
	s_barrier
	s_and_saveexec_b64 s[10:11], s[46:47]
	s_cbranch_execz .LBB7_415
; %bb.414:
	ds_read_b32 v27, v12 offset:7536
	ds_read_b32 v28, v13
	s_waitcnt lgkmcnt(0)
	v_fmac_f32_e32 v26, v27, v28
.LBB7_415:
	s_or_b64 exec, exec, s[10:11]
	s_barrier
	s_and_saveexec_b64 s[10:11], s[48:49]
; %bb.416:
	ds_write_b32 v13, v26
; %bb.417:
	s_or_b64 exec, exec, s[10:11]
	s_waitcnt lgkmcnt(0)
	s_barrier
	s_and_saveexec_b64 s[10:11], s[38:39]
	s_cbranch_execz .LBB7_419
; %bb.418:
	v_mov_b32_e32 v27, 0
	ds_read_b32 v27, v27 offset:7804
	ds_read_b32 v28, v13
	s_waitcnt lgkmcnt(0)
	v_fmac_f32_e32 v26, v27, v28
.LBB7_419:
	s_or_b64 exec, exec, s[10:11]
	s_barrier
	s_and_saveexec_b64 s[10:11], s[38:39]
; %bb.420:
	ds_write_b32 v13, v26
; %bb.421:
	s_or_b64 exec, exec, s[10:11]
	s_waitcnt lgkmcnt(0)
	s_barrier
	s_barrier
	s_and_saveexec_b64 s[10:11], s[2:3]
; %bb.422:
	v_xor_b32_e32 v26, 0x80000000, v26
	ds_write_b32 v11, v26 offset:6256
; %bb.423:
	s_or_b64 exec, exec, s[10:11]
	s_waitcnt lgkmcnt(0)
	s_barrier
	s_barrier
	s_and_saveexec_b64 s[10:11], vcc
; %bb.424:
	s_movk_i32 s12, 0x1c00
	v_mov_b32_e32 v26, 1.0
	v_add_u32_e64 v27, s12, 0
	ds_write2_b32 v27, v26, v26 offset0:28 offset1:93
; %bb.425:
	s_or_b64 exec, exec, s[10:11]
	v_mov_b32_e32 v26, 0
	s_waitcnt lgkmcnt(0)
	s_barrier
	s_and_saveexec_b64 s[12:13], s[0:1]
	s_cbranch_execz .LBB7_429
; %bb.426:
	v_mul_u32_u24_e32 v26, 0x104, v5
	ds_read_b32 v28, v2 offset:7288
	ds_read_b32 v26, v26 offset:7280
	v_mov_b32_e32 v27, 0
	v_cmp_gt_u32_e64 s[10:11], 2, v4
	s_waitcnt lgkmcnt(0)
	v_fma_f32 v26, v28, v26, 0
	s_and_saveexec_b64 s[16:17], s[10:11]
	s_cbranch_execz .LBB7_428
; %bb.427:
	v_lshlrev_b32_e32 v28, 2, v0
	ds_read_b32 v28, v28 offset:7544
	ds_read_b32 v27, v27 offset:7284
	s_waitcnt lgkmcnt(0)
	v_fmac_f32_e32 v26, v28, v27
.LBB7_428:
	s_or_b64 exec, exec, s[16:17]
	v_xor_b32_e32 v26, 0x80000000, v26
.LBB7_429:
	s_or_b64 exec, exec, s[12:13]
	s_and_saveexec_b64 s[10:11], s[36:37]
; %bb.430:
	ds_write_b32 v3, v26
; %bb.431:
	s_or_b64 exec, exec, s[10:11]
	s_waitcnt lgkmcnt(0)
	s_barrier
	s_and_saveexec_b64 s[10:11], s[24:25]
	s_cbranch_execz .LBB7_433
; %bb.432:
	v_mov_b32_e32 v27, 0
	ds_read_b32 v27, v27 offset:7804
	ds_read_b32 v28, v3
	s_waitcnt lgkmcnt(0)
	v_fmac_f32_e32 v26, v27, v28
.LBB7_433:
	s_or_b64 exec, exec, s[10:11]
	s_barrier
	s_and_saveexec_b64 s[10:11], s[24:25]
; %bb.434:
	ds_write_b32 v3, v26
; %bb.435:
	s_or_b64 exec, exec, s[10:11]
	s_waitcnt lgkmcnt(0)
	s_barrier
	s_barrier
	s_and_saveexec_b64 s[10:11], s[0:1]
; %bb.436:
	v_xor_b32_e32 v26, 0x80000000, v26
	ds_write_b32 v2, v26 offset:7288
; %bb.437:
	s_or_b64 exec, exec, s[10:11]
	s_waitcnt lgkmcnt(0)
	s_barrier
	s_barrier
	s_and_saveexec_b64 s[10:11], vcc
; %bb.438:
	s_movk_i32 s12, 0x1c00
	v_mov_b32_e32 v26, 1.0
	v_add_u32_e64 v27, s12, 0
	ds_write2_b32 v27, v26, v26 offset0:158 offset1:223
; %bb.439:
	s_or_b64 exec, exec, s[10:11]
	v_and_b32_e32 v27, 31, v0
	s_movk_i32 s10, 0x3ff
	v_lshrrev_b32_e32 v30, 5, v4
	v_cmp_lt_u32_e64 s[12:13], s10, v4
	s_movk_i32 s10, 0x400
	v_lshlrev_b32_e32 v28, 2, v27
	v_cmp_gt_u32_e64 s[10:11], s10, v4
	v_lshl_or_b32 v26, v30, 8, v28
	v_mov_b32_e32 v29, 0
	s_waitcnt lgkmcnt(0)
	s_barrier
	s_and_saveexec_b64 s[86:87], s[10:11]
	s_cbranch_execz .LBB7_501
; %bb.440:
	v_mul_u32_u24_e32 v31, 0x104, v30
	ds_read_b32 v29, v26 offset:128
	ds_read_b32 v32, v31
	s_movk_i32 s16, 0x3e0
	v_cmp_gt_u32_e64 s[16:17], s16, v4
	s_waitcnt lgkmcnt(0)
	v_fma_f32 v29, v29, v32, 0
	s_and_saveexec_b64 s[88:89], s[16:17]
	s_cbranch_execz .LBB7_442
; %bb.441:
	ds_read_b32 v32, v26 offset:384
	ds_read_b32 v33, v31 offset:4
	s_waitcnt lgkmcnt(0)
	v_fmac_f32_e32 v29, v32, v33
.LBB7_442:
	s_or_b64 exec, exec, s[88:89]
	s_movk_i32 s16, 0x3c0
	v_cmp_gt_u32_e64 s[16:17], s16, v4
	s_and_saveexec_b64 s[88:89], s[16:17]
	s_cbranch_execz .LBB7_444
; %bb.443:
	ds_read_b32 v32, v26 offset:640
	ds_read_b32 v33, v31 offset:8
	s_waitcnt lgkmcnt(0)
	v_fmac_f32_e32 v29, v32, v33
.LBB7_444:
	s_or_b64 exec, exec, s[88:89]
	s_movk_i32 s16, 0x3a0
	v_cmp_gt_u32_e64 s[16:17], s16, v4
	;; [unrolled: 11-line block ×28, first 2 shown]
	s_and_saveexec_b64 s[88:89], s[16:17]
	s_cbranch_execnz .LBB7_1134
; %bb.497:
	s_or_b64 exec, exec, s[88:89]
	v_cmp_gt_u32_e64 s[16:17], 64, v4
	s_and_saveexec_b64 s[88:89], s[16:17]
	s_cbranch_execnz .LBB7_1135
.LBB7_498:
	s_or_b64 exec, exec, s[88:89]
	v_cmp_gt_u32_e64 s[16:17], 32, v4
	s_and_saveexec_b64 s[88:89], s[16:17]
	s_cbranch_execz .LBB7_500
.LBB7_499:
	v_lshlrev_b32_e32 v31, 2, v0
	v_mov_b32_e32 v32, 0
	ds_read_b32 v31, v31 offset:8064
	ds_read_b32 v32, v32 offset:124
	s_waitcnt lgkmcnt(0)
	v_fmac_f32_e32 v29, v31, v32
.LBB7_500:
	s_or_b64 exec, exec, s[88:89]
	v_xor_b32_e32 v29, 0x80000000, v29
.LBB7_501:
	s_or_b64 exec, exec, s[86:87]
	v_mov_b32_e32 v31, 0x4000
	v_cmp_eq_u32_e64 s[16:17], 0, v27
	s_xor_b64 s[86:87], s[12:13], -1
	v_lshl_or_b32 v30, v30, 2, v31
	s_and_b64 s[16:17], s[16:17], s[86:87]
	s_and_saveexec_b64 s[12:13], s[16:17]
; %bb.502:
	ds_write_b32 v30, v29
; %bb.503:
	s_or_b64 exec, exec, s[12:13]
	v_cmp_ne_u32_e64 s[12:13], 0, v27
	s_and_b64 s[16:17], s[12:13], s[86:87]
	s_waitcnt lgkmcnt(0)
	s_barrier
	s_and_saveexec_b64 s[12:13], s[16:17]
	s_cbranch_execz .LBB7_505
; %bb.504:
	ds_read_b32 v31, v28 offset:8320
	ds_read_b32 v32, v30
	s_waitcnt lgkmcnt(0)
	v_fmac_f32_e32 v29, v31, v32
.LBB7_505:
	s_or_b64 exec, exec, s[12:13]
	v_cmp_eq_u32_e64 s[12:13], 1, v27
	s_and_b64 s[16:17], s[12:13], s[86:87]
	s_barrier
	s_and_saveexec_b64 s[12:13], s[16:17]
; %bb.506:
	ds_write_b32 v30, v29
; %bb.507:
	s_or_b64 exec, exec, s[12:13]
	v_cmp_lt_u32_e64 s[12:13], 1, v27
	s_and_b64 s[16:17], s[12:13], s[86:87]
	s_waitcnt lgkmcnt(0)
	s_barrier
	s_and_saveexec_b64 s[12:13], s[16:17]
	s_cbranch_execz .LBB7_509
; %bb.508:
	ds_read_b32 v31, v28 offset:8576
	ds_read_b32 v32, v30
	s_waitcnt lgkmcnt(0)
	v_fmac_f32_e32 v29, v31, v32
.LBB7_509:
	s_or_b64 exec, exec, s[12:13]
	v_cmp_eq_u32_e64 s[12:13], 2, v27
	s_and_b64 s[16:17], s[12:13], s[86:87]
	s_barrier
	s_and_saveexec_b64 s[12:13], s[16:17]
; %bb.510:
	ds_write_b32 v30, v29
; %bb.511:
	s_or_b64 exec, exec, s[12:13]
	v_cmp_lt_u32_e64 s[12:13], 2, v27
	;; [unrolled: 21-line block ×29, first 2 shown]
	s_and_b64 s[16:17], s[12:13], s[86:87]
	s_waitcnt lgkmcnt(0)
	s_barrier
	s_and_saveexec_b64 s[12:13], s[16:17]
	s_cbranch_execz .LBB7_621
; %bb.620:
	ds_read_b32 v28, v28 offset:15744
	ds_read_b32 v31, v30
	s_waitcnt lgkmcnt(0)
	v_fmac_f32_e32 v29, v28, v31
.LBB7_621:
	s_or_b64 exec, exec, s[12:13]
	v_cmp_eq_u32_e64 s[12:13], 30, v27
	s_and_b64 s[16:17], s[12:13], s[86:87]
	s_barrier
	s_and_saveexec_b64 s[12:13], s[16:17]
; %bb.622:
	ds_write_b32 v30, v29
; %bb.623:
	s_or_b64 exec, exec, s[12:13]
	v_cmp_eq_u32_e64 s[12:13], 31, v27
	s_and_b64 s[12:13], s[12:13], s[86:87]
	s_waitcnt lgkmcnt(0)
	s_barrier
	s_and_saveexec_b64 s[16:17], s[12:13]
	s_cbranch_execz .LBB7_625
; %bb.624:
	v_mov_b32_e32 v27, 0
	ds_read_b32 v27, v27 offset:16124
	ds_read_b32 v28, v30
	s_waitcnt lgkmcnt(0)
	v_fmac_f32_e32 v29, v27, v28
.LBB7_625:
	s_or_b64 exec, exec, s[16:17]
	s_barrier
	s_and_saveexec_b64 s[16:17], s[12:13]
; %bb.626:
	ds_write_b32 v30, v29
; %bb.627:
	s_or_b64 exec, exec, s[16:17]
	s_waitcnt lgkmcnt(0)
	s_barrier
	s_barrier
	s_and_saveexec_b64 s[12:13], s[10:11]
; %bb.628:
	v_xor_b32_e32 v27, 0x80000000, v29
	ds_write_b32 v26, v27 offset:128
; %bb.629:
	s_or_b64 exec, exec, s[12:13]
	s_waitcnt lgkmcnt(0)
	s_barrier
	s_barrier
	s_and_saveexec_b64 s[10:11], vcc
; %bb.630:
	s_movk_i32 s12, 0x2000
	v_mov_b32_e32 v26, 1.0
	v_add_u32_e64 v27, s12, 0
	ds_write2_b32 v27, v26, v26 offset0:32 offset1:97
; %bb.631:
	s_or_b64 exec, exec, s[10:11]
	v_mov_b32_e32 v26, 0
	s_waitcnt lgkmcnt(0)
	s_barrier
	s_and_saveexec_b64 s[12:13], s[0:1]
	s_cbranch_execz .LBB7_635
; %bb.632:
	v_mul_u32_u24_e32 v26, 0x104, v5
	ds_read_b32 v28, v2 offset:8328
	ds_read_b32 v26, v26 offset:8320
	v_mov_b32_e32 v27, 0
	v_cmp_gt_u32_e64 s[10:11], 2, v4
	s_waitcnt lgkmcnt(0)
	v_fma_f32 v26, v28, v26, 0
	s_and_saveexec_b64 s[16:17], s[10:11]
	s_cbranch_execz .LBB7_634
; %bb.633:
	v_lshlrev_b32_e32 v28, 2, v0
	ds_read_b32 v28, v28 offset:8584
	ds_read_b32 v27, v27 offset:8324
	s_waitcnt lgkmcnt(0)
	v_fmac_f32_e32 v26, v28, v27
.LBB7_634:
	s_or_b64 exec, exec, s[16:17]
	v_xor_b32_e32 v26, 0x80000000, v26
.LBB7_635:
	s_or_b64 exec, exec, s[12:13]
	s_and_saveexec_b64 s[10:11], s[36:37]
; %bb.636:
	ds_write_b32 v3, v26
; %bb.637:
	s_or_b64 exec, exec, s[10:11]
	s_waitcnt lgkmcnt(0)
	s_barrier
	s_and_saveexec_b64 s[10:11], s[24:25]
	s_cbranch_execz .LBB7_639
; %bb.638:
	v_mov_b32_e32 v27, 0
	ds_read_b32 v27, v27 offset:8844
	ds_read_b32 v28, v3
	s_waitcnt lgkmcnt(0)
	v_fmac_f32_e32 v26, v27, v28
.LBB7_639:
	s_or_b64 exec, exec, s[10:11]
	s_barrier
	s_and_saveexec_b64 s[10:11], s[24:25]
; %bb.640:
	ds_write_b32 v3, v26
; %bb.641:
	s_or_b64 exec, exec, s[10:11]
	s_waitcnt lgkmcnt(0)
	s_barrier
	s_barrier
	s_and_saveexec_b64 s[10:11], s[0:1]
; %bb.642:
	v_xor_b32_e32 v26, 0x80000000, v26
	ds_write_b32 v2, v26 offset:8328
; %bb.643:
	s_or_b64 exec, exec, s[10:11]
	s_waitcnt lgkmcnt(0)
	s_barrier
	s_barrier
	s_and_saveexec_b64 s[10:11], vcc
; %bb.644:
	s_movk_i32 s12, 0x2000
	v_mov_b32_e32 v26, 1.0
	v_add_u32_e64 v27, s12, 0
	ds_write2_b32 v27, v26, v26 offset0:162 offset1:227
; %bb.645:
	s_or_b64 exec, exec, s[10:11]
	v_mov_b32_e32 v26, 0
	s_waitcnt lgkmcnt(0)
	s_barrier
	s_and_saveexec_b64 s[12:13], s[2:3]
	s_cbranch_execz .LBB7_651
; %bb.646:
	v_mul_u32_u24_e32 v27, 0x104, v15
	ds_read_b32 v26, v11 offset:8336
	ds_read_b32 v28, v27 offset:8320
	v_cmp_gt_u32_e64 s[10:11], 12, v4
	s_waitcnt lgkmcnt(0)
	v_fma_f32 v26, v26, v28, 0
	s_and_saveexec_b64 s[16:17], s[10:11]
	s_cbranch_execnz .LBB7_1136
; %bb.647:
	s_or_b64 exec, exec, s[16:17]
	v_cmp_gt_u32_e64 s[10:11], 8, v4
	s_and_saveexec_b64 s[16:17], s[10:11]
	s_cbranch_execnz .LBB7_1137
.LBB7_648:
	s_or_b64 exec, exec, s[16:17]
	v_cmp_gt_u32_e64 s[10:11], 4, v4
	s_and_saveexec_b64 s[16:17], s[10:11]
	s_cbranch_execz .LBB7_650
.LBB7_649:
	v_lshlrev_b32_e32 v27, 2, v0
	v_mov_b32_e32 v28, 0
	ds_read_b32 v27, v27 offset:9104
	ds_read_b32 v28, v28 offset:8332
	s_waitcnt lgkmcnt(0)
	v_fmac_f32_e32 v26, v27, v28
.LBB7_650:
	s_or_b64 exec, exec, s[16:17]
	v_xor_b32_e32 v26, 0x80000000, v26
.LBB7_651:
	s_or_b64 exec, exec, s[12:13]
	s_and_saveexec_b64 s[10:11], s[40:41]
; %bb.652:
	ds_write_b32 v13, v26
; %bb.653:
	s_or_b64 exec, exec, s[10:11]
	s_waitcnt lgkmcnt(0)
	s_barrier
	s_and_saveexec_b64 s[10:11], s[42:43]
	s_cbranch_execz .LBB7_655
; %bb.654:
	ds_read_b32 v27, v12 offset:9360
	ds_read_b32 v28, v13
	s_waitcnt lgkmcnt(0)
	v_fmac_f32_e32 v26, v27, v28
.LBB7_655:
	s_or_b64 exec, exec, s[10:11]
	s_barrier
	s_and_saveexec_b64 s[10:11], s[44:45]
; %bb.656:
	ds_write_b32 v13, v26
; %bb.657:
	s_or_b64 exec, exec, s[10:11]
	s_waitcnt lgkmcnt(0)
	s_barrier
	s_and_saveexec_b64 s[10:11], s[46:47]
	s_cbranch_execz .LBB7_659
; %bb.658:
	ds_read_b32 v27, v12 offset:9616
	ds_read_b32 v28, v13
	s_waitcnt lgkmcnt(0)
	v_fmac_f32_e32 v26, v27, v28
.LBB7_659:
	s_or_b64 exec, exec, s[10:11]
	s_barrier
	s_and_saveexec_b64 s[10:11], s[48:49]
; %bb.660:
	ds_write_b32 v13, v26
; %bb.661:
	s_or_b64 exec, exec, s[10:11]
	s_waitcnt lgkmcnt(0)
	s_barrier
	s_and_saveexec_b64 s[10:11], s[38:39]
	s_cbranch_execz .LBB7_663
; %bb.662:
	v_mov_b32_e32 v27, 0
	ds_read_b32 v27, v27 offset:9884
	ds_read_b32 v28, v13
	s_waitcnt lgkmcnt(0)
	v_fmac_f32_e32 v26, v27, v28
.LBB7_663:
	s_or_b64 exec, exec, s[10:11]
	s_barrier
	s_and_saveexec_b64 s[10:11], s[38:39]
; %bb.664:
	ds_write_b32 v13, v26
; %bb.665:
	s_or_b64 exec, exec, s[10:11]
	s_waitcnt lgkmcnt(0)
	s_barrier
	s_barrier
	s_and_saveexec_b64 s[10:11], s[2:3]
; %bb.666:
	v_xor_b32_e32 v26, 0x80000000, v26
	ds_write_b32 v11, v26 offset:8336
; %bb.667:
	s_or_b64 exec, exec, s[10:11]
	s_waitcnt lgkmcnt(0)
	s_barrier
	s_barrier
	s_and_saveexec_b64 s[10:11], vcc
; %bb.668:
	s_movk_i32 s12, 0x2400
	v_mov_b32_e32 v26, 1.0
	v_add_u32_e64 v27, s12, 0
	ds_write2_b32 v27, v26, v26 offset0:36 offset1:101
; %bb.669:
	s_or_b64 exec, exec, s[10:11]
	v_mov_b32_e32 v26, 0
	s_waitcnt lgkmcnt(0)
	s_barrier
	s_and_saveexec_b64 s[12:13], s[0:1]
	s_cbranch_execz .LBB7_673
; %bb.670:
	v_mul_u32_u24_e32 v26, 0x104, v5
	ds_read_b32 v28, v2 offset:9368
	ds_read_b32 v26, v26 offset:9360
	v_mov_b32_e32 v27, 0
	v_cmp_gt_u32_e64 s[10:11], 2, v4
	s_waitcnt lgkmcnt(0)
	v_fma_f32 v26, v28, v26, 0
	s_and_saveexec_b64 s[16:17], s[10:11]
	s_cbranch_execz .LBB7_672
; %bb.671:
	v_lshlrev_b32_e32 v28, 2, v0
	ds_read_b32 v28, v28 offset:9624
	ds_read_b32 v27, v27 offset:9364
	s_waitcnt lgkmcnt(0)
	v_fmac_f32_e32 v26, v28, v27
.LBB7_672:
	s_or_b64 exec, exec, s[16:17]
	v_xor_b32_e32 v26, 0x80000000, v26
.LBB7_673:
	s_or_b64 exec, exec, s[12:13]
	s_and_saveexec_b64 s[10:11], s[36:37]
; %bb.674:
	ds_write_b32 v3, v26
; %bb.675:
	s_or_b64 exec, exec, s[10:11]
	s_waitcnt lgkmcnt(0)
	s_barrier
	s_and_saveexec_b64 s[10:11], s[24:25]
	s_cbranch_execz .LBB7_677
; %bb.676:
	v_mov_b32_e32 v27, 0
	ds_read_b32 v27, v27 offset:9884
	ds_read_b32 v28, v3
	s_waitcnt lgkmcnt(0)
	v_fmac_f32_e32 v26, v27, v28
.LBB7_677:
	s_or_b64 exec, exec, s[10:11]
	s_barrier
	s_and_saveexec_b64 s[10:11], s[24:25]
; %bb.678:
	ds_write_b32 v3, v26
; %bb.679:
	s_or_b64 exec, exec, s[10:11]
	s_waitcnt lgkmcnt(0)
	s_barrier
	s_barrier
	s_and_saveexec_b64 s[10:11], s[0:1]
; %bb.680:
	v_xor_b32_e32 v26, 0x80000000, v26
	ds_write_b32 v2, v26 offset:9368
; %bb.681:
	s_or_b64 exec, exec, s[10:11]
	s_waitcnt lgkmcnt(0)
	s_barrier
	s_barrier
	s_and_saveexec_b64 s[10:11], vcc
; %bb.682:
	s_movk_i32 s12, 0x2400
	v_mov_b32_e32 v26, 1.0
	v_add_u32_e64 v27, s12, 0
	ds_write2_b32 v27, v26, v26 offset0:166 offset1:231
; %bb.683:
	s_or_b64 exec, exec, s[10:11]
	v_mov_b32_e32 v26, 0
	s_waitcnt lgkmcnt(0)
	s_barrier
	s_and_saveexec_b64 s[12:13], s[14:15]
	s_cbranch_execz .LBB7_693
; %bb.684:
	v_mul_u32_u24_e32 v27, 0x104, v20
	ds_read_b32 v26, v16 offset:8352
	ds_read_b32 v28, v27 offset:8320
	v_cmp_gt_u32_e64 s[10:11], 56, v4
	s_waitcnt lgkmcnt(0)
	v_fma_f32 v26, v26, v28, 0
	s_and_saveexec_b64 s[16:17], s[10:11]
	s_cbranch_execnz .LBB7_1138
; %bb.685:
	s_or_b64 exec, exec, s[16:17]
	v_cmp_gt_u32_e64 s[10:11], 48, v4
	s_and_saveexec_b64 s[16:17], s[10:11]
	s_cbranch_execnz .LBB7_1139
.LBB7_686:
	s_or_b64 exec, exec, s[16:17]
	v_cmp_gt_u32_e64 s[10:11], 40, v4
	s_and_saveexec_b64 s[16:17], s[10:11]
	s_cbranch_execnz .LBB7_1140
.LBB7_687:
	s_or_b64 exec, exec, s[16:17]
	v_cmp_gt_u32_e64 s[10:11], 32, v4
	s_and_saveexec_b64 s[16:17], s[10:11]
	s_cbranch_execnz .LBB7_1141
.LBB7_688:
	s_or_b64 exec, exec, s[16:17]
	v_cmp_gt_u32_e64 s[10:11], 24, v4
	s_and_saveexec_b64 s[16:17], s[10:11]
	s_cbranch_execnz .LBB7_1142
.LBB7_689:
	s_or_b64 exec, exec, s[16:17]
	v_cmp_gt_u32_e64 s[10:11], 16, v4
	s_and_saveexec_b64 s[16:17], s[10:11]
	s_cbranch_execnz .LBB7_1143
.LBB7_690:
	s_or_b64 exec, exec, s[16:17]
	v_cmp_gt_u32_e64 s[10:11], 8, v4
	s_and_saveexec_b64 s[16:17], s[10:11]
	s_cbranch_execz .LBB7_692
.LBB7_691:
	v_lshlrev_b32_e32 v27, 2, v0
	v_mov_b32_e32 v28, 0
	ds_read_b32 v27, v27 offset:10144
	ds_read_b32 v28, v28 offset:8348
	s_waitcnt lgkmcnt(0)
	v_fmac_f32_e32 v26, v27, v28
.LBB7_692:
	s_or_b64 exec, exec, s[16:17]
	v_xor_b32_e32 v26, 0x80000000, v26
.LBB7_693:
	s_or_b64 exec, exec, s[12:13]
	s_and_saveexec_b64 s[10:11], s[50:51]
; %bb.694:
	ds_write_b32 v18, v26
; %bb.695:
	s_or_b64 exec, exec, s[10:11]
	s_waitcnt lgkmcnt(0)
	s_barrier
	s_and_saveexec_b64 s[10:11], s[52:53]
	s_cbranch_execz .LBB7_697
; %bb.696:
	ds_read_b32 v27, v17 offset:10400
	ds_read_b32 v28, v18
	s_waitcnt lgkmcnt(0)
	v_fmac_f32_e32 v26, v27, v28
.LBB7_697:
	s_or_b64 exec, exec, s[10:11]
	s_barrier
	s_and_saveexec_b64 s[10:11], s[54:55]
; %bb.698:
	ds_write_b32 v18, v26
; %bb.699:
	s_or_b64 exec, exec, s[10:11]
	s_waitcnt lgkmcnt(0)
	s_barrier
	s_and_saveexec_b64 s[10:11], s[56:57]
	s_cbranch_execz .LBB7_701
; %bb.700:
	ds_read_b32 v27, v17 offset:10656
	ds_read_b32 v28, v18
	s_waitcnt lgkmcnt(0)
	v_fmac_f32_e32 v26, v27, v28
.LBB7_701:
	s_or_b64 exec, exec, s[10:11]
	s_barrier
	;; [unrolled: 17-line block ×6, first 2 shown]
	s_and_saveexec_b64 s[10:11], s[76:77]
; %bb.718:
	ds_write_b32 v18, v26
; %bb.719:
	s_or_b64 exec, exec, s[10:11]
	s_waitcnt lgkmcnt(0)
	s_barrier
	s_and_saveexec_b64 s[10:11], s[58:59]
	s_cbranch_execz .LBB7_721
; %bb.720:
	v_mov_b32_e32 v27, 0
	ds_read_b32 v27, v27 offset:11964
	ds_read_b32 v28, v18
	s_waitcnt lgkmcnt(0)
	v_fmac_f32_e32 v26, v27, v28
.LBB7_721:
	s_or_b64 exec, exec, s[10:11]
	s_barrier
	s_and_saveexec_b64 s[10:11], s[58:59]
; %bb.722:
	ds_write_b32 v18, v26
; %bb.723:
	s_or_b64 exec, exec, s[10:11]
	s_waitcnt lgkmcnt(0)
	s_barrier
	s_barrier
	s_and_saveexec_b64 s[10:11], s[14:15]
; %bb.724:
	v_xor_b32_e32 v26, 0x80000000, v26
	ds_write_b32 v16, v26 offset:8352
; %bb.725:
	s_or_b64 exec, exec, s[10:11]
	s_waitcnt lgkmcnt(0)
	s_barrier
	s_barrier
	s_and_saveexec_b64 s[10:11], vcc
; %bb.726:
	s_movk_i32 s12, 0x2800
	v_mov_b32_e32 v26, 1.0
	v_add_u32_e64 v27, s12, 0
	ds_write2_b32 v27, v26, v26 offset0:40 offset1:105
; %bb.727:
	s_or_b64 exec, exec, s[10:11]
	v_mov_b32_e32 v26, 0
	s_waitcnt lgkmcnt(0)
	s_barrier
	s_and_saveexec_b64 s[12:13], s[0:1]
	s_cbranch_execz .LBB7_731
; %bb.728:
	v_mul_u32_u24_e32 v26, 0x104, v5
	ds_read_b32 v28, v2 offset:10408
	ds_read_b32 v26, v26 offset:10400
	v_mov_b32_e32 v27, 0
	v_cmp_gt_u32_e64 s[10:11], 2, v4
	s_waitcnt lgkmcnt(0)
	v_fma_f32 v26, v28, v26, 0
	s_and_saveexec_b64 s[16:17], s[10:11]
	s_cbranch_execz .LBB7_730
; %bb.729:
	v_lshlrev_b32_e32 v28, 2, v0
	ds_read_b32 v28, v28 offset:10664
	ds_read_b32 v27, v27 offset:10404
	s_waitcnt lgkmcnt(0)
	v_fmac_f32_e32 v26, v28, v27
.LBB7_730:
	s_or_b64 exec, exec, s[16:17]
	v_xor_b32_e32 v26, 0x80000000, v26
.LBB7_731:
	s_or_b64 exec, exec, s[12:13]
	s_and_saveexec_b64 s[10:11], s[36:37]
; %bb.732:
	ds_write_b32 v3, v26
; %bb.733:
	s_or_b64 exec, exec, s[10:11]
	s_waitcnt lgkmcnt(0)
	s_barrier
	s_and_saveexec_b64 s[10:11], s[24:25]
	s_cbranch_execz .LBB7_735
; %bb.734:
	v_mov_b32_e32 v27, 0
	ds_read_b32 v27, v27 offset:10924
	ds_read_b32 v28, v3
	s_waitcnt lgkmcnt(0)
	v_fmac_f32_e32 v26, v27, v28
.LBB7_735:
	s_or_b64 exec, exec, s[10:11]
	s_barrier
	s_and_saveexec_b64 s[10:11], s[24:25]
; %bb.736:
	ds_write_b32 v3, v26
; %bb.737:
	s_or_b64 exec, exec, s[10:11]
	s_waitcnt lgkmcnt(0)
	s_barrier
	s_barrier
	s_and_saveexec_b64 s[10:11], s[0:1]
; %bb.738:
	v_xor_b32_e32 v26, 0x80000000, v26
	ds_write_b32 v2, v26 offset:10408
; %bb.739:
	s_or_b64 exec, exec, s[10:11]
	s_waitcnt lgkmcnt(0)
	s_barrier
	s_barrier
	s_and_saveexec_b64 s[10:11], vcc
; %bb.740:
	s_movk_i32 s12, 0x2800
	v_mov_b32_e32 v26, 1.0
	v_add_u32_e64 v27, s12, 0
	ds_write2_b32 v27, v26, v26 offset0:170 offset1:235
; %bb.741:
	s_or_b64 exec, exec, s[10:11]
	v_mov_b32_e32 v26, 0
	s_waitcnt lgkmcnt(0)
	s_barrier
	s_and_saveexec_b64 s[12:13], s[2:3]
	s_cbranch_execz .LBB7_747
; %bb.742:
	v_mul_u32_u24_e32 v27, 0x104, v15
	ds_read_b32 v26, v11 offset:10416
	ds_read_b32 v28, v27 offset:10400
	v_cmp_gt_u32_e64 s[10:11], 12, v4
	s_waitcnt lgkmcnt(0)
	v_fma_f32 v26, v26, v28, 0
	s_and_saveexec_b64 s[16:17], s[10:11]
	s_cbranch_execnz .LBB7_1144
; %bb.743:
	s_or_b64 exec, exec, s[16:17]
	v_cmp_gt_u32_e64 s[10:11], 8, v4
	s_and_saveexec_b64 s[16:17], s[10:11]
	s_cbranch_execnz .LBB7_1145
.LBB7_744:
	s_or_b64 exec, exec, s[16:17]
	v_cmp_gt_u32_e64 s[10:11], 4, v4
	s_and_saveexec_b64 s[16:17], s[10:11]
	s_cbranch_execz .LBB7_746
.LBB7_745:
	v_lshlrev_b32_e32 v27, 2, v0
	v_mov_b32_e32 v28, 0
	ds_read_b32 v27, v27 offset:11184
	ds_read_b32 v28, v28 offset:10412
	s_waitcnt lgkmcnt(0)
	v_fmac_f32_e32 v26, v27, v28
.LBB7_746:
	s_or_b64 exec, exec, s[16:17]
	v_xor_b32_e32 v26, 0x80000000, v26
.LBB7_747:
	s_or_b64 exec, exec, s[12:13]
	s_and_saveexec_b64 s[10:11], s[40:41]
; %bb.748:
	ds_write_b32 v13, v26
; %bb.749:
	s_or_b64 exec, exec, s[10:11]
	s_waitcnt lgkmcnt(0)
	s_barrier
	s_and_saveexec_b64 s[10:11], s[42:43]
	s_cbranch_execz .LBB7_751
; %bb.750:
	ds_read_b32 v27, v12 offset:11440
	ds_read_b32 v28, v13
	s_waitcnt lgkmcnt(0)
	v_fmac_f32_e32 v26, v27, v28
.LBB7_751:
	s_or_b64 exec, exec, s[10:11]
	s_barrier
	s_and_saveexec_b64 s[10:11], s[44:45]
; %bb.752:
	ds_write_b32 v13, v26
; %bb.753:
	s_or_b64 exec, exec, s[10:11]
	s_waitcnt lgkmcnt(0)
	s_barrier
	s_and_saveexec_b64 s[10:11], s[46:47]
	s_cbranch_execz .LBB7_755
; %bb.754:
	ds_read_b32 v27, v12 offset:11696
	ds_read_b32 v28, v13
	s_waitcnt lgkmcnt(0)
	v_fmac_f32_e32 v26, v27, v28
.LBB7_755:
	s_or_b64 exec, exec, s[10:11]
	s_barrier
	s_and_saveexec_b64 s[10:11], s[48:49]
; %bb.756:
	ds_write_b32 v13, v26
; %bb.757:
	s_or_b64 exec, exec, s[10:11]
	s_waitcnt lgkmcnt(0)
	s_barrier
	s_and_saveexec_b64 s[10:11], s[38:39]
	s_cbranch_execz .LBB7_759
; %bb.758:
	v_mov_b32_e32 v27, 0
	ds_read_b32 v27, v27 offset:11964
	ds_read_b32 v28, v13
	s_waitcnt lgkmcnt(0)
	v_fmac_f32_e32 v26, v27, v28
.LBB7_759:
	s_or_b64 exec, exec, s[10:11]
	s_barrier
	s_and_saveexec_b64 s[10:11], s[38:39]
; %bb.760:
	ds_write_b32 v13, v26
; %bb.761:
	s_or_b64 exec, exec, s[10:11]
	s_waitcnt lgkmcnt(0)
	s_barrier
	s_barrier
	s_and_saveexec_b64 s[10:11], s[2:3]
; %bb.762:
	v_xor_b32_e32 v26, 0x80000000, v26
	ds_write_b32 v11, v26 offset:10416
; %bb.763:
	s_or_b64 exec, exec, s[10:11]
	s_waitcnt lgkmcnt(0)
	s_barrier
	s_barrier
	s_and_saveexec_b64 s[10:11], vcc
; %bb.764:
	s_movk_i32 s12, 0x2c00
	v_mov_b32_e32 v26, 1.0
	v_add_u32_e64 v27, s12, 0
	ds_write2_b32 v27, v26, v26 offset0:44 offset1:109
; %bb.765:
	s_or_b64 exec, exec, s[10:11]
	v_mov_b32_e32 v26, 0
	s_waitcnt lgkmcnt(0)
	s_barrier
	s_and_saveexec_b64 s[12:13], s[0:1]
	s_cbranch_execz .LBB7_769
; %bb.766:
	v_mul_u32_u24_e32 v26, 0x104, v5
	ds_read_b32 v28, v2 offset:11448
	ds_read_b32 v26, v26 offset:11440
	v_mov_b32_e32 v27, 0
	v_cmp_gt_u32_e64 s[10:11], 2, v4
	s_waitcnt lgkmcnt(0)
	v_fma_f32 v26, v28, v26, 0
	s_and_saveexec_b64 s[16:17], s[10:11]
	s_cbranch_execz .LBB7_768
; %bb.767:
	v_lshlrev_b32_e32 v28, 2, v0
	ds_read_b32 v28, v28 offset:11704
	ds_read_b32 v27, v27 offset:11444
	s_waitcnt lgkmcnt(0)
	v_fmac_f32_e32 v26, v28, v27
.LBB7_768:
	s_or_b64 exec, exec, s[16:17]
	v_xor_b32_e32 v26, 0x80000000, v26
.LBB7_769:
	s_or_b64 exec, exec, s[12:13]
	s_and_saveexec_b64 s[10:11], s[36:37]
; %bb.770:
	ds_write_b32 v3, v26
; %bb.771:
	s_or_b64 exec, exec, s[10:11]
	s_waitcnt lgkmcnt(0)
	s_barrier
	s_and_saveexec_b64 s[10:11], s[24:25]
	s_cbranch_execz .LBB7_773
; %bb.772:
	v_mov_b32_e32 v27, 0
	ds_read_b32 v27, v27 offset:11964
	ds_read_b32 v28, v3
	s_waitcnt lgkmcnt(0)
	v_fmac_f32_e32 v26, v27, v28
.LBB7_773:
	s_or_b64 exec, exec, s[10:11]
	s_barrier
	s_and_saveexec_b64 s[10:11], s[24:25]
; %bb.774:
	ds_write_b32 v3, v26
; %bb.775:
	s_or_b64 exec, exec, s[10:11]
	s_waitcnt lgkmcnt(0)
	s_barrier
	s_barrier
	s_and_saveexec_b64 s[10:11], s[0:1]
; %bb.776:
	v_xor_b32_e32 v26, 0x80000000, v26
	ds_write_b32 v2, v26 offset:11448
; %bb.777:
	s_or_b64 exec, exec, s[10:11]
	s_waitcnt lgkmcnt(0)
	s_barrier
	s_barrier
	s_and_saveexec_b64 s[10:11], vcc
; %bb.778:
	s_movk_i32 s12, 0x2c00
	v_mov_b32_e32 v26, 1.0
	v_add_u32_e64 v27, s12, 0
	ds_write2_b32 v27, v26, v26 offset0:174 offset1:239
; %bb.779:
	s_or_b64 exec, exec, s[10:11]
	v_mov_b32_e32 v26, 0
	s_waitcnt lgkmcnt(0)
	s_barrier
	s_and_saveexec_b64 s[12:13], s[8:9]
	s_cbranch_execz .LBB7_807
; %bb.780:
	v_mul_u32_u24_e32 v27, 0x104, v25
	ds_read_b32 v26, v21 offset:8384
	ds_read_b32 v28, v27 offset:8320
	s_movk_i32 s10, 0xf0
	v_cmp_gt_u32_e64 s[10:11], s10, v4
	s_waitcnt lgkmcnt(0)
	v_fma_f32 v26, v26, v28, 0
	s_and_saveexec_b64 s[16:17], s[10:11]
	s_cbranch_execz .LBB7_782
; %bb.781:
	v_lshlrev_b32_e32 v28, 2, v25
	v_sub_u32_e32 v28, v27, v28
	v_lshl_add_u32 v28, v22, 2, v28
	ds_read_b32 v28, v28 offset:8640
	ds_read_b32 v29, v27 offset:8324
	s_waitcnt lgkmcnt(0)
	v_fmac_f32_e32 v26, v28, v29
.LBB7_782:
	s_or_b64 exec, exec, s[16:17]
	s_movk_i32 s10, 0xe0
	v_cmp_gt_u32_e64 s[10:11], s10, v4
	s_and_saveexec_b64 s[16:17], s[10:11]
	s_cbranch_execz .LBB7_784
; %bb.783:
	v_lshlrev_b32_e32 v28, 2, v25
	v_sub_u32_e32 v28, v27, v28
	v_lshl_add_u32 v28, v22, 2, v28
	ds_read_b32 v28, v28 offset:8896
	ds_read_b32 v29, v27 offset:8328
	s_waitcnt lgkmcnt(0)
	v_fmac_f32_e32 v26, v28, v29
.LBB7_784:
	s_or_b64 exec, exec, s[16:17]
	s_movk_i32 s10, 0xd0
	v_cmp_gt_u32_e64 s[10:11], s10, v4
	;; [unrolled: 14-line block ×7, first 2 shown]
	s_and_saveexec_b64 s[16:17], s[10:11]
	s_cbranch_execz .LBB7_796
; %bb.795:
	ds_read_b32 v25, v21 offset:10432
	ds_read_b32 v28, v27 offset:8352
	s_waitcnt lgkmcnt(0)
	v_fmac_f32_e32 v26, v25, v28
.LBB7_796:
	s_or_b64 exec, exec, s[16:17]
	s_movk_i32 s10, 0x70
	v_cmp_gt_u32_e64 s[10:11], s10, v4
	s_and_saveexec_b64 s[16:17], s[10:11]
	s_cbranch_execz .LBB7_798
; %bb.797:
	v_lshlrev_b32_e32 v25, 2, v22
	v_lshl_add_u32 v25, v24, 2, v25
	ds_read_b32 v25, v25 offset:10688
	ds_read_b32 v28, v27 offset:8356
	s_waitcnt lgkmcnt(0)
	v_fmac_f32_e32 v26, v25, v28
.LBB7_798:
	s_or_b64 exec, exec, s[16:17]
	s_movk_i32 s10, 0x60
	v_cmp_gt_u32_e64 s[10:11], s10, v4
	s_and_saveexec_b64 s[16:17], s[10:11]
	s_cbranch_execz .LBB7_800
; %bb.799:
	v_lshlrev_b32_e32 v25, 2, v22
	v_lshl_add_u32 v25, v24, 2, v25
	ds_read_b32 v25, v25 offset:10944
	ds_read_b32 v28, v27 offset:8360
	s_waitcnt lgkmcnt(0)
	v_fmac_f32_e32 v26, v25, v28
.LBB7_800:
	s_or_b64 exec, exec, s[16:17]
	s_movk_i32 s10, 0x50
	v_cmp_gt_u32_e64 s[10:11], s10, v4
	s_and_saveexec_b64 s[16:17], s[10:11]
	s_cbranch_execnz .LBB7_1146
; %bb.801:
	s_or_b64 exec, exec, s[16:17]
	v_cmp_gt_u32_e64 s[10:11], 64, v4
	s_and_saveexec_b64 s[16:17], s[10:11]
	s_cbranch_execnz .LBB7_1147
.LBB7_802:
	s_or_b64 exec, exec, s[16:17]
	v_cmp_gt_u32_e64 s[10:11], 48, v4
	s_and_saveexec_b64 s[16:17], s[10:11]
	s_cbranch_execnz .LBB7_1148
.LBB7_803:
	s_or_b64 exec, exec, s[16:17]
	v_cmp_gt_u32_e64 s[10:11], 32, v4
	s_and_saveexec_b64 s[16:17], s[10:11]
	s_cbranch_execnz .LBB7_1149
.LBB7_804:
	s_or_b64 exec, exec, s[16:17]
	v_cmp_gt_u32_e64 s[10:11], 16, v4
	s_and_saveexec_b64 s[16:17], s[10:11]
	s_cbranch_execz .LBB7_806
.LBB7_805:
	v_lshlrev_b32_e32 v24, 2, v0
	v_mov_b32_e32 v25, 0
	ds_read_b32 v24, v24 offset:12224
	ds_read_b32 v25, v25 offset:8380
	s_waitcnt lgkmcnt(0)
	v_fmac_f32_e32 v26, v24, v25
.LBB7_806:
	s_or_b64 exec, exec, s[16:17]
	v_xor_b32_e32 v26, 0x80000000, v26
.LBB7_807:
	s_or_b64 exec, exec, s[12:13]
	s_mov_b64 s[10:11], exec
	v_readlane_b32 s12, v34, 1
	v_readlane_b32 s13, v34, 2
	s_and_b64 s[12:13], s[10:11], s[12:13]
	s_mov_b64 exec, s[12:13]
; %bb.808:
	ds_write_b32 v23, v26
; %bb.809:
	s_or_b64 exec, exec, s[10:11]
	s_waitcnt lgkmcnt(0)
	s_barrier
	s_mov_b64 s[10:11], exec
	v_readlane_b32 s12, v34, 3
	v_readlane_b32 s13, v34, 4
	s_and_b64 s[12:13], s[10:11], s[12:13]
	s_mov_b64 exec, s[12:13]
	s_cbranch_execz .LBB7_811
; %bb.810:
	v_lshlrev_b32_e32 v24, 2, v22
	ds_read_b32 v24, v24 offset:12480
	ds_read_b32 v25, v23
	s_waitcnt lgkmcnt(0)
	v_fmac_f32_e32 v26, v24, v25
.LBB7_811:
	s_or_b64 exec, exec, s[10:11]
	s_barrier
	s_mov_b64 s[10:11], exec
	v_readlane_b32 s12, v34, 5
	v_readlane_b32 s13, v34, 6
	s_and_b64 s[12:13], s[10:11], s[12:13]
	s_mov_b64 exec, s[12:13]
; %bb.812:
	ds_write_b32 v23, v26
; %bb.813:
	s_or_b64 exec, exec, s[10:11]
	s_waitcnt lgkmcnt(0)
	s_barrier
	s_mov_b64 s[10:11], exec
	v_readlane_b32 s12, v34, 7
	v_readlane_b32 s13, v34, 8
	s_and_b64 s[12:13], s[10:11], s[12:13]
	s_mov_b64 exec, s[12:13]
	s_cbranch_execz .LBB7_815
; %bb.814:
	v_lshlrev_b32_e32 v24, 2, v22
	ds_read_b32 v24, v24 offset:12736
	ds_read_b32 v25, v23
	s_waitcnt lgkmcnt(0)
	v_fmac_f32_e32 v26, v24, v25
.LBB7_815:
	s_or_b64 exec, exec, s[10:11]
	s_barrier
	;; [unrolled: 26-line block ×12, first 2 shown]
	s_and_saveexec_b64 s[10:11], s[92:93]
; %bb.856:
	ds_write_b32 v23, v26
; %bb.857:
	s_or_b64 exec, exec, s[10:11]
	s_waitcnt lgkmcnt(0)
	s_barrier
	s_and_saveexec_b64 s[10:11], s[94:95]
	s_cbranch_execz .LBB7_859
; %bb.858:
	v_lshlrev_b32_e32 v24, 2, v22
	ds_read_b32 v24, v24 offset:15552
	ds_read_b32 v25, v23
	s_waitcnt lgkmcnt(0)
	v_fmac_f32_e32 v26, v24, v25
.LBB7_859:
	s_or_b64 exec, exec, s[10:11]
	s_barrier
	s_and_saveexec_b64 s[10:11], s[78:79]
; %bb.860:
	ds_write_b32 v23, v26
; %bb.861:
	s_or_b64 exec, exec, s[10:11]
	s_waitcnt lgkmcnt(0)
	s_barrier
	s_and_saveexec_b64 s[10:11], s[80:81]
	s_cbranch_execz .LBB7_863
; %bb.862:
	v_lshlrev_b32_e32 v22, 2, v22
	ds_read_b32 v22, v22 offset:15808
	ds_read_b32 v24, v23
	s_waitcnt lgkmcnt(0)
	v_fmac_f32_e32 v26, v22, v24
.LBB7_863:
	s_or_b64 exec, exec, s[10:11]
	s_barrier
	s_and_saveexec_b64 s[10:11], s[84:85]
; %bb.864:
	ds_write_b32 v23, v26
; %bb.865:
	s_or_b64 exec, exec, s[10:11]
	s_waitcnt lgkmcnt(0)
	s_barrier
	s_and_saveexec_b64 s[10:11], s[82:83]
	s_cbranch_execz .LBB7_867
; %bb.866:
	v_mov_b32_e32 v22, 0
	ds_read_b32 v22, v22 offset:16124
	ds_read_b32 v24, v23
	s_waitcnt lgkmcnt(0)
	v_fmac_f32_e32 v26, v22, v24
.LBB7_867:
	s_or_b64 exec, exec, s[10:11]
	s_barrier
	s_and_saveexec_b64 s[10:11], s[82:83]
; %bb.868:
	ds_write_b32 v23, v26
; %bb.869:
	s_or_b64 exec, exec, s[10:11]
	s_waitcnt lgkmcnt(0)
	s_barrier
	s_barrier
	s_and_saveexec_b64 s[10:11], s[8:9]
; %bb.870:
	v_xor_b32_e32 v22, 0x80000000, v26
	ds_write_b32 v21, v22 offset:8384
; %bb.871:
	s_or_b64 exec, exec, s[10:11]
	s_waitcnt lgkmcnt(0)
	s_barrier
	s_barrier
	s_and_saveexec_b64 s[8:9], vcc
; %bb.872:
	s_movk_i32 s10, 0x3000
	v_mov_b32_e32 v21, 1.0
	v_add_u32_e64 v22, s10, 0
	ds_write2_b32 v22, v21, v21 offset0:48 offset1:113
; %bb.873:
	s_or_b64 exec, exec, s[8:9]
	v_mov_b32_e32 v21, 0
	s_waitcnt lgkmcnt(0)
	s_barrier
	s_and_saveexec_b64 s[10:11], s[0:1]
	s_cbranch_execz .LBB7_877
; %bb.874:
	v_mul_u32_u24_e32 v21, 0x104, v5
	ds_read_b32 v23, v2 offset:12488
	ds_read_b32 v21, v21 offset:12480
	v_mov_b32_e32 v22, 0
	v_cmp_gt_u32_e64 s[8:9], 2, v4
	s_waitcnt lgkmcnt(0)
	v_fma_f32 v21, v23, v21, 0
	s_and_saveexec_b64 s[12:13], s[8:9]
	s_cbranch_execz .LBB7_876
; %bb.875:
	v_lshlrev_b32_e32 v23, 2, v0
	ds_read_b32 v23, v23 offset:12744
	ds_read_b32 v22, v22 offset:12484
	s_waitcnt lgkmcnt(0)
	v_fmac_f32_e32 v21, v23, v22
.LBB7_876:
	s_or_b64 exec, exec, s[12:13]
	v_xor_b32_e32 v21, 0x80000000, v21
.LBB7_877:
	s_or_b64 exec, exec, s[10:11]
	s_and_saveexec_b64 s[8:9], s[36:37]
; %bb.878:
	ds_write_b32 v3, v21
; %bb.879:
	s_or_b64 exec, exec, s[8:9]
	s_waitcnt lgkmcnt(0)
	s_barrier
	s_and_saveexec_b64 s[8:9], s[24:25]
	s_cbranch_execz .LBB7_881
; %bb.880:
	v_mov_b32_e32 v22, 0
	ds_read_b32 v22, v22 offset:13004
	ds_read_b32 v23, v3
	s_waitcnt lgkmcnt(0)
	v_fmac_f32_e32 v21, v22, v23
.LBB7_881:
	s_or_b64 exec, exec, s[8:9]
	s_barrier
	s_and_saveexec_b64 s[8:9], s[24:25]
; %bb.882:
	ds_write_b32 v3, v21
; %bb.883:
	s_or_b64 exec, exec, s[8:9]
	s_waitcnt lgkmcnt(0)
	s_barrier
	s_barrier
	s_and_saveexec_b64 s[8:9], s[0:1]
; %bb.884:
	v_xor_b32_e32 v21, 0x80000000, v21
	ds_write_b32 v2, v21 offset:12488
; %bb.885:
	s_or_b64 exec, exec, s[8:9]
	s_waitcnt lgkmcnt(0)
	s_barrier
	s_barrier
	s_and_saveexec_b64 s[8:9], vcc
; %bb.886:
	s_movk_i32 s10, 0x3000
	v_mov_b32_e32 v21, 1.0
	v_add_u32_e64 v22, s10, 0
	ds_write2_b32 v22, v21, v21 offset0:178 offset1:243
; %bb.887:
	s_or_b64 exec, exec, s[8:9]
	v_mov_b32_e32 v21, 0
	s_waitcnt lgkmcnt(0)
	s_barrier
	s_and_saveexec_b64 s[10:11], s[2:3]
	s_cbranch_execz .LBB7_893
; %bb.888:
	v_mul_u32_u24_e32 v22, 0x104, v15
	ds_read_b32 v21, v11 offset:12496
	ds_read_b32 v23, v22 offset:12480
	v_cmp_gt_u32_e64 s[8:9], 12, v4
	s_waitcnt lgkmcnt(0)
	v_fma_f32 v21, v21, v23, 0
	s_and_saveexec_b64 s[12:13], s[8:9]
	s_cbranch_execnz .LBB7_1150
; %bb.889:
	s_or_b64 exec, exec, s[12:13]
	v_cmp_gt_u32_e64 s[8:9], 8, v4
	s_and_saveexec_b64 s[12:13], s[8:9]
	s_cbranch_execnz .LBB7_1151
.LBB7_890:
	s_or_b64 exec, exec, s[12:13]
	v_cmp_gt_u32_e64 s[8:9], 4, v4
	s_and_saveexec_b64 s[12:13], s[8:9]
	s_cbranch_execz .LBB7_892
.LBB7_891:
	v_lshlrev_b32_e32 v22, 2, v0
	v_mov_b32_e32 v23, 0
	ds_read_b32 v22, v22 offset:13264
	ds_read_b32 v23, v23 offset:12492
	s_waitcnt lgkmcnt(0)
	v_fmac_f32_e32 v21, v22, v23
.LBB7_892:
	s_or_b64 exec, exec, s[12:13]
	v_xor_b32_e32 v21, 0x80000000, v21
.LBB7_893:
	s_or_b64 exec, exec, s[10:11]
	s_and_saveexec_b64 s[8:9], s[40:41]
; %bb.894:
	ds_write_b32 v13, v21
; %bb.895:
	s_or_b64 exec, exec, s[8:9]
	s_waitcnt lgkmcnt(0)
	s_barrier
	s_and_saveexec_b64 s[8:9], s[42:43]
	s_cbranch_execz .LBB7_897
; %bb.896:
	ds_read_b32 v22, v12 offset:13520
	ds_read_b32 v23, v13
	s_waitcnt lgkmcnt(0)
	v_fmac_f32_e32 v21, v22, v23
.LBB7_897:
	s_or_b64 exec, exec, s[8:9]
	s_barrier
	s_and_saveexec_b64 s[8:9], s[44:45]
; %bb.898:
	ds_write_b32 v13, v21
; %bb.899:
	s_or_b64 exec, exec, s[8:9]
	s_waitcnt lgkmcnt(0)
	s_barrier
	s_and_saveexec_b64 s[8:9], s[46:47]
	s_cbranch_execz .LBB7_901
; %bb.900:
	ds_read_b32 v22, v12 offset:13776
	ds_read_b32 v23, v13
	s_waitcnt lgkmcnt(0)
	v_fmac_f32_e32 v21, v22, v23
.LBB7_901:
	s_or_b64 exec, exec, s[8:9]
	s_barrier
	s_and_saveexec_b64 s[8:9], s[48:49]
; %bb.902:
	ds_write_b32 v13, v21
; %bb.903:
	s_or_b64 exec, exec, s[8:9]
	s_waitcnt lgkmcnt(0)
	s_barrier
	s_and_saveexec_b64 s[8:9], s[38:39]
	s_cbranch_execz .LBB7_905
; %bb.904:
	v_mov_b32_e32 v22, 0
	ds_read_b32 v22, v22 offset:14044
	ds_read_b32 v23, v13
	s_waitcnt lgkmcnt(0)
	v_fmac_f32_e32 v21, v22, v23
.LBB7_905:
	s_or_b64 exec, exec, s[8:9]
	s_barrier
	s_and_saveexec_b64 s[8:9], s[38:39]
; %bb.906:
	ds_write_b32 v13, v21
; %bb.907:
	s_or_b64 exec, exec, s[8:9]
	s_waitcnt lgkmcnt(0)
	s_barrier
	s_barrier
	s_and_saveexec_b64 s[8:9], s[2:3]
; %bb.908:
	v_xor_b32_e32 v21, 0x80000000, v21
	ds_write_b32 v11, v21 offset:12496
; %bb.909:
	s_or_b64 exec, exec, s[8:9]
	s_waitcnt lgkmcnt(0)
	s_barrier
	s_barrier
	s_and_saveexec_b64 s[8:9], vcc
; %bb.910:
	s_movk_i32 s10, 0x3400
	v_mov_b32_e32 v21, 1.0
	v_add_u32_e64 v22, s10, 0
	ds_write2_b32 v22, v21, v21 offset0:52 offset1:117
; %bb.911:
	s_or_b64 exec, exec, s[8:9]
	v_mov_b32_e32 v21, 0
	s_waitcnt lgkmcnt(0)
	s_barrier
	s_and_saveexec_b64 s[10:11], s[0:1]
	s_cbranch_execz .LBB7_915
; %bb.912:
	v_mul_u32_u24_e32 v21, 0x104, v5
	ds_read_b32 v23, v2 offset:13528
	ds_read_b32 v21, v21 offset:13520
	v_mov_b32_e32 v22, 0
	v_cmp_gt_u32_e64 s[8:9], 2, v4
	s_waitcnt lgkmcnt(0)
	v_fma_f32 v21, v23, v21, 0
	s_and_saveexec_b64 s[12:13], s[8:9]
	s_cbranch_execz .LBB7_914
; %bb.913:
	v_lshlrev_b32_e32 v23, 2, v0
	ds_read_b32 v23, v23 offset:13784
	ds_read_b32 v22, v22 offset:13524
	s_waitcnt lgkmcnt(0)
	v_fmac_f32_e32 v21, v23, v22
.LBB7_914:
	s_or_b64 exec, exec, s[12:13]
	v_xor_b32_e32 v21, 0x80000000, v21
.LBB7_915:
	s_or_b64 exec, exec, s[10:11]
	s_and_saveexec_b64 s[8:9], s[36:37]
; %bb.916:
	ds_write_b32 v3, v21
; %bb.917:
	s_or_b64 exec, exec, s[8:9]
	s_waitcnt lgkmcnt(0)
	s_barrier
	s_and_saveexec_b64 s[8:9], s[24:25]
	s_cbranch_execz .LBB7_919
; %bb.918:
	v_mov_b32_e32 v22, 0
	ds_read_b32 v22, v22 offset:14044
	ds_read_b32 v23, v3
	s_waitcnt lgkmcnt(0)
	v_fmac_f32_e32 v21, v22, v23
.LBB7_919:
	s_or_b64 exec, exec, s[8:9]
	s_barrier
	s_and_saveexec_b64 s[8:9], s[24:25]
; %bb.920:
	ds_write_b32 v3, v21
; %bb.921:
	s_or_b64 exec, exec, s[8:9]
	s_waitcnt lgkmcnt(0)
	s_barrier
	s_barrier
	s_and_saveexec_b64 s[8:9], s[0:1]
; %bb.922:
	v_xor_b32_e32 v21, 0x80000000, v21
	ds_write_b32 v2, v21 offset:13528
; %bb.923:
	s_or_b64 exec, exec, s[8:9]
	s_waitcnt lgkmcnt(0)
	s_barrier
	s_barrier
	s_and_saveexec_b64 s[8:9], vcc
; %bb.924:
	s_movk_i32 s10, 0x3400
	v_mov_b32_e32 v21, 1.0
	v_add_u32_e64 v22, s10, 0
	ds_write2_b32 v22, v21, v21 offset0:182 offset1:247
; %bb.925:
	s_or_b64 exec, exec, s[8:9]
	v_mov_b32_e32 v21, 0
	s_waitcnt lgkmcnt(0)
	s_barrier
	s_and_saveexec_b64 s[10:11], s[14:15]
	s_cbranch_execz .LBB7_935
; %bb.926:
	v_mul_u32_u24_e32 v22, 0x104, v20
	ds_read_b32 v21, v16 offset:12512
	ds_read_b32 v23, v22 offset:12480
	v_cmp_gt_u32_e64 s[8:9], 56, v4
	s_waitcnt lgkmcnt(0)
	v_fma_f32 v21, v21, v23, 0
	s_and_saveexec_b64 s[12:13], s[8:9]
	s_cbranch_execnz .LBB7_1152
; %bb.927:
	s_or_b64 exec, exec, s[12:13]
	v_cmp_gt_u32_e64 s[8:9], 48, v4
	s_and_saveexec_b64 s[12:13], s[8:9]
	s_cbranch_execnz .LBB7_1153
.LBB7_928:
	s_or_b64 exec, exec, s[12:13]
	v_cmp_gt_u32_e64 s[8:9], 40, v4
	s_and_saveexec_b64 s[12:13], s[8:9]
	s_cbranch_execnz .LBB7_1154
.LBB7_929:
	s_or_b64 exec, exec, s[12:13]
	v_cmp_gt_u32_e64 s[8:9], 32, v4
	s_and_saveexec_b64 s[12:13], s[8:9]
	s_cbranch_execnz .LBB7_1155
.LBB7_930:
	s_or_b64 exec, exec, s[12:13]
	v_cmp_gt_u32_e64 s[8:9], 24, v4
	s_and_saveexec_b64 s[12:13], s[8:9]
	s_cbranch_execnz .LBB7_1156
.LBB7_931:
	s_or_b64 exec, exec, s[12:13]
	v_cmp_gt_u32_e64 s[8:9], 16, v4
	s_and_saveexec_b64 s[12:13], s[8:9]
	s_cbranch_execnz .LBB7_1157
.LBB7_932:
	s_or_b64 exec, exec, s[12:13]
	v_cmp_gt_u32_e64 s[8:9], 8, v4
	s_and_saveexec_b64 s[12:13], s[8:9]
	s_cbranch_execz .LBB7_934
.LBB7_933:
	v_lshlrev_b32_e32 v19, 2, v0
	v_mov_b32_e32 v20, 0
	ds_read_b32 v19, v19 offset:14304
	ds_read_b32 v20, v20 offset:12508
	s_waitcnt lgkmcnt(0)
	v_fmac_f32_e32 v21, v19, v20
.LBB7_934:
	s_or_b64 exec, exec, s[12:13]
	v_xor_b32_e32 v21, 0x80000000, v21
.LBB7_935:
	s_or_b64 exec, exec, s[10:11]
	s_and_saveexec_b64 s[8:9], s[50:51]
; %bb.936:
	ds_write_b32 v18, v21
; %bb.937:
	s_or_b64 exec, exec, s[8:9]
	s_waitcnt lgkmcnt(0)
	s_barrier
	s_and_saveexec_b64 s[8:9], s[52:53]
	s_cbranch_execz .LBB7_939
; %bb.938:
	ds_read_b32 v19, v17 offset:14560
	ds_read_b32 v20, v18
	s_waitcnt lgkmcnt(0)
	v_fmac_f32_e32 v21, v19, v20
.LBB7_939:
	s_or_b64 exec, exec, s[8:9]
	s_barrier
	s_and_saveexec_b64 s[8:9], s[54:55]
; %bb.940:
	ds_write_b32 v18, v21
; %bb.941:
	s_or_b64 exec, exec, s[8:9]
	s_waitcnt lgkmcnt(0)
	s_barrier
	s_and_saveexec_b64 s[8:9], s[56:57]
	s_cbranch_execz .LBB7_943
; %bb.942:
	ds_read_b32 v19, v17 offset:14816
	ds_read_b32 v20, v18
	s_waitcnt lgkmcnt(0)
	v_fmac_f32_e32 v21, v19, v20
.LBB7_943:
	s_or_b64 exec, exec, s[8:9]
	s_barrier
	;; [unrolled: 17-line block ×6, first 2 shown]
	s_and_saveexec_b64 s[8:9], s[76:77]
; %bb.960:
	ds_write_b32 v18, v21
; %bb.961:
	s_or_b64 exec, exec, s[8:9]
	s_waitcnt lgkmcnt(0)
	s_barrier
	s_and_saveexec_b64 s[8:9], s[58:59]
	s_cbranch_execz .LBB7_963
; %bb.962:
	v_mov_b32_e32 v17, 0
	ds_read_b32 v17, v17 offset:16124
	ds_read_b32 v19, v18
	s_waitcnt lgkmcnt(0)
	v_fmac_f32_e32 v21, v17, v19
.LBB7_963:
	s_or_b64 exec, exec, s[8:9]
	s_barrier
	s_and_saveexec_b64 s[8:9], s[58:59]
; %bb.964:
	ds_write_b32 v18, v21
; %bb.965:
	s_or_b64 exec, exec, s[8:9]
	s_waitcnt lgkmcnt(0)
	s_barrier
	s_barrier
	s_and_saveexec_b64 s[8:9], s[14:15]
; %bb.966:
	v_xor_b32_e32 v17, 0x80000000, v21
	ds_write_b32 v16, v17 offset:12512
; %bb.967:
	s_or_b64 exec, exec, s[8:9]
	s_waitcnt lgkmcnt(0)
	s_barrier
	s_barrier
	s_and_saveexec_b64 s[8:9], vcc
; %bb.968:
	s_movk_i32 s10, 0x3800
	v_mov_b32_e32 v16, 1.0
	v_add_u32_e64 v17, s10, 0
	ds_write2_b32 v17, v16, v16 offset0:56 offset1:121
; %bb.969:
	s_or_b64 exec, exec, s[8:9]
	v_mov_b32_e32 v16, 0
	s_waitcnt lgkmcnt(0)
	s_barrier
	s_and_saveexec_b64 s[10:11], s[0:1]
	s_cbranch_execz .LBB7_973
; %bb.970:
	v_mul_u32_u24_e32 v16, 0x104, v5
	ds_read_b32 v18, v2 offset:14568
	ds_read_b32 v16, v16 offset:14560
	v_mov_b32_e32 v17, 0
	v_cmp_gt_u32_e64 s[8:9], 2, v4
	s_waitcnt lgkmcnt(0)
	v_fma_f32 v16, v18, v16, 0
	s_and_saveexec_b64 s[12:13], s[8:9]
	s_cbranch_execz .LBB7_972
; %bb.971:
	v_lshlrev_b32_e32 v18, 2, v0
	ds_read_b32 v18, v18 offset:14824
	ds_read_b32 v17, v17 offset:14564
	s_waitcnt lgkmcnt(0)
	v_fmac_f32_e32 v16, v18, v17
.LBB7_972:
	s_or_b64 exec, exec, s[12:13]
	v_xor_b32_e32 v16, 0x80000000, v16
.LBB7_973:
	s_or_b64 exec, exec, s[10:11]
	s_and_saveexec_b64 s[8:9], s[36:37]
; %bb.974:
	ds_write_b32 v3, v16
; %bb.975:
	s_or_b64 exec, exec, s[8:9]
	s_waitcnt lgkmcnt(0)
	s_barrier
	s_and_saveexec_b64 s[8:9], s[24:25]
	s_cbranch_execz .LBB7_977
; %bb.976:
	v_mov_b32_e32 v17, 0
	ds_read_b32 v17, v17 offset:15084
	ds_read_b32 v18, v3
	s_waitcnt lgkmcnt(0)
	v_fmac_f32_e32 v16, v17, v18
.LBB7_977:
	s_or_b64 exec, exec, s[8:9]
	s_barrier
	s_and_saveexec_b64 s[8:9], s[24:25]
; %bb.978:
	ds_write_b32 v3, v16
; %bb.979:
	s_or_b64 exec, exec, s[8:9]
	s_waitcnt lgkmcnt(0)
	s_barrier
	s_barrier
	s_and_saveexec_b64 s[8:9], s[0:1]
; %bb.980:
	v_xor_b32_e32 v16, 0x80000000, v16
	ds_write_b32 v2, v16 offset:14568
; %bb.981:
	s_or_b64 exec, exec, s[8:9]
	s_waitcnt lgkmcnt(0)
	s_barrier
	s_barrier
	s_and_saveexec_b64 s[8:9], vcc
; %bb.982:
	s_movk_i32 s10, 0x3800
	v_mov_b32_e32 v16, 1.0
	v_add_u32_e64 v17, s10, 0
	ds_write2_b32 v17, v16, v16 offset0:186 offset1:251
; %bb.983:
	s_or_b64 exec, exec, s[8:9]
	v_mov_b32_e32 v16, 0
	s_waitcnt lgkmcnt(0)
	s_barrier
	s_and_saveexec_b64 s[10:11], s[2:3]
	s_cbranch_execz .LBB7_989
; %bb.984:
	v_mul_u32_u24_e32 v17, 0x104, v15
	ds_read_b32 v16, v11 offset:14576
	ds_read_b32 v18, v17 offset:14560
	v_cmp_gt_u32_e64 s[8:9], 12, v4
	s_waitcnt lgkmcnt(0)
	v_fma_f32 v16, v16, v18, 0
	s_and_saveexec_b64 s[12:13], s[8:9]
	s_cbranch_execnz .LBB7_1158
; %bb.985:
	s_or_b64 exec, exec, s[12:13]
	v_cmp_gt_u32_e64 s[8:9], 8, v4
	s_and_saveexec_b64 s[12:13], s[8:9]
	s_cbranch_execnz .LBB7_1159
.LBB7_986:
	s_or_b64 exec, exec, s[12:13]
	v_cmp_gt_u32_e64 s[8:9], 4, v4
	s_and_saveexec_b64 s[12:13], s[8:9]
	s_cbranch_execz .LBB7_988
.LBB7_987:
	v_lshlrev_b32_e32 v14, 2, v0
	v_mov_b32_e32 v15, 0
	ds_read_b32 v14, v14 offset:15344
	ds_read_b32 v15, v15 offset:14572
	s_waitcnt lgkmcnt(0)
	v_fmac_f32_e32 v16, v14, v15
.LBB7_988:
	s_or_b64 exec, exec, s[12:13]
	v_xor_b32_e32 v16, 0x80000000, v16
.LBB7_989:
	s_or_b64 exec, exec, s[10:11]
	s_and_saveexec_b64 s[8:9], s[40:41]
; %bb.990:
	ds_write_b32 v13, v16
; %bb.991:
	s_or_b64 exec, exec, s[8:9]
	s_waitcnt lgkmcnt(0)
	s_barrier
	s_and_saveexec_b64 s[8:9], s[42:43]
	s_load_dword s16, s[4:5], 0x6c
	v_readlane_b32 s17, v34, 0
	s_cbranch_execz .LBB7_993
; %bb.992:
	ds_read_b32 v14, v12 offset:15600
	ds_read_b32 v15, v13
	s_waitcnt lgkmcnt(0)
	v_fmac_f32_e32 v16, v14, v15
.LBB7_993:
	s_or_b64 exec, exec, s[8:9]
	s_waitcnt lgkmcnt(0)
	s_barrier
	s_and_saveexec_b64 s[8:9], s[44:45]
; %bb.994:
	ds_write_b32 v13, v16
; %bb.995:
	s_or_b64 exec, exec, s[8:9]
	s_waitcnt lgkmcnt(0)
	s_barrier
	s_and_saveexec_b64 s[8:9], s[46:47]
	s_cbranch_execz .LBB7_997
; %bb.996:
	ds_read_b32 v12, v12 offset:15856
	ds_read_b32 v14, v13
	s_waitcnt lgkmcnt(0)
	v_fmac_f32_e32 v16, v12, v14
.LBB7_997:
	s_or_b64 exec, exec, s[8:9]
	s_barrier
	s_and_saveexec_b64 s[8:9], s[48:49]
; %bb.998:
	ds_write_b32 v13, v16
; %bb.999:
	s_or_b64 exec, exec, s[8:9]
	s_waitcnt lgkmcnt(0)
	s_barrier
	s_and_saveexec_b64 s[8:9], s[38:39]
	s_cbranch_execz .LBB7_1001
; %bb.1000:
	v_mov_b32_e32 v12, 0
	ds_read_b32 v12, v12 offset:16124
	ds_read_b32 v14, v13
	s_waitcnt lgkmcnt(0)
	v_fmac_f32_e32 v16, v12, v14
.LBB7_1001:
	s_or_b64 exec, exec, s[8:9]
	s_barrier
	s_and_saveexec_b64 s[8:9], s[38:39]
; %bb.1002:
	ds_write_b32 v13, v16
; %bb.1003:
	s_or_b64 exec, exec, s[8:9]
	s_waitcnt lgkmcnt(0)
	s_barrier
	s_barrier
	s_and_saveexec_b64 s[8:9], s[2:3]
; %bb.1004:
	v_xor_b32_e32 v12, 0x80000000, v16
	ds_write_b32 v11, v12 offset:14576
; %bb.1005:
	s_or_b64 exec, exec, s[8:9]
	s_waitcnt lgkmcnt(0)
	s_barrier
	s_barrier
	s_and_saveexec_b64 s[2:3], vcc
; %bb.1006:
	s_movk_i32 s8, 0x3c00
	v_mov_b32_e32 v11, 1.0
	v_add_u32_e64 v12, s8, 0
	ds_write2_b32 v12, v11, v11 offset0:60 offset1:125
; %bb.1007:
	s_or_b64 exec, exec, s[2:3]
	v_mov_b32_e32 v11, 0
	s_waitcnt lgkmcnt(0)
	s_barrier
	s_and_saveexec_b64 s[8:9], s[0:1]
	s_cbranch_execz .LBB7_1011
; %bb.1008:
	v_mul_u32_u24_e32 v5, 0x104, v5
	ds_read_b32 v12, v2 offset:15608
	ds_read_b32 v5, v5 offset:15600
	v_mov_b32_e32 v11, 0
	v_cmp_gt_u32_e64 s[2:3], 2, v4
	s_waitcnt lgkmcnt(0)
	v_fma_f32 v5, v12, v5, 0
	s_and_saveexec_b64 s[10:11], s[2:3]
	s_cbranch_execz .LBB7_1010
; %bb.1009:
	v_lshlrev_b32_e32 v4, 2, v0
	ds_read_b32 v4, v4 offset:15864
	ds_read_b32 v11, v11 offset:15604
	s_waitcnt lgkmcnt(0)
	v_fmac_f32_e32 v5, v4, v11
.LBB7_1010:
	s_or_b64 exec, exec, s[10:11]
	v_xor_b32_e32 v11, 0x80000000, v5
.LBB7_1011:
	s_or_b64 exec, exec, s[8:9]
	s_and_saveexec_b64 s[2:3], s[36:37]
; %bb.1012:
	ds_write_b32 v3, v11
; %bb.1013:
	s_or_b64 exec, exec, s[2:3]
	s_waitcnt lgkmcnt(0)
	s_barrier
	s_and_saveexec_b64 s[2:3], s[24:25]
	s_cbranch_execz .LBB7_1015
; %bb.1014:
	v_mov_b32_e32 v4, 0
	ds_read_b32 v4, v4 offset:16124
	ds_read_b32 v5, v3
	s_waitcnt lgkmcnt(0)
	v_fmac_f32_e32 v11, v4, v5
.LBB7_1015:
	s_or_b64 exec, exec, s[2:3]
	s_barrier
	s_and_saveexec_b64 s[2:3], s[24:25]
; %bb.1016:
	ds_write_b32 v3, v11
; %bb.1017:
	s_or_b64 exec, exec, s[2:3]
	s_waitcnt lgkmcnt(0)
	s_barrier
	s_barrier
	s_and_saveexec_b64 s[2:3], s[0:1]
; %bb.1018:
	v_xor_b32_e32 v3, 0x80000000, v11
	ds_write_b32 v2, v3 offset:15608
; %bb.1019:
	s_or_b64 exec, exec, s[2:3]
	s_waitcnt lgkmcnt(0)
	s_barrier
	s_barrier
	s_and_saveexec_b64 s[0:1], vcc
; %bb.1020:
	s_movk_i32 s2, 0x3c00
	v_mov_b32_e32 v2, 1.0
	v_add_u32_e64 v3, s2, 0
	ds_write2_b32 v3, v2, v2 offset0:190 offset1:255
; %bb.1021:
	s_or_b64 exec, exec, s[0:1]
.LBB7_1022:
	s_load_dwordx4 s[12:15], s[4:5], 0x48
	v_cmp_le_i32_e32 vcc, s7, v0
	v_mov_b32_e32 v12, 0
	v_lshl_add_u32 v2, s6, 6, v0
	s_waitcnt lgkmcnt(0)
	s_mul_i32 s1, s13, s34
	s_mul_hi_u32 s2, s12, s34
	s_mul_i32 s0, s12, s34
	s_add_i32 s1, s2, s1
	s_lshl_b64 s[0:1], s[0:1], 2
	s_add_u32 s2, s26, s0
	s_addc_u32 s3, s27, s1
	s_lshl_b64 s[0:1], s[28:29], 2
	s_add_u32 s36, s2, s0
	s_addc_u32 s37, s3, s1
	s_and_b64 s[12:13], vcc, s[18:19]
	v_cmp_eq_u32_e64 s[0:1], 0, v1
	s_xor_b64 s[2:3], s[12:13], -1
	s_and_b64 s[4:5], s[0:1], s[2:3]
	s_barrier
	s_and_saveexec_b64 s[2:3], s[4:5]
	s_cbranch_execz .LBB7_1024
; %bb.1023:
	v_ashrrev_i32_e32 v5, 31, v2
	v_mul_lo_u32 v11, s31, v2
	v_mad_u64_u32 v[3:4], s[4:5], s30, v2, 0
	v_mul_lo_u32 v5, s30, v5
	v_add3_u32 v4, v4, v5, v11
	v_lshlrev_b64 v[3:4], 2, v[3:4]
	v_mov_b32_e32 v5, s37
	v_add_co_u32_e32 v3, vcc, s36, v3
	v_addc_co_u32_e32 v4, vcc, v5, v4, vcc
	global_load_dword v3, v[3:4], off
	s_waitcnt vmcnt(0)
	v_mul_f32_e64 v12, v3, -s17
.LBB7_1024:
	s_or_b64 exec, exec, s[2:3]
	s_and_b32 s2, 0xffff, s16
	v_mad_u32_u24 v11, v1, s2, v0
	s_cmp_lt_i32 s6, 1
	v_cmp_eq_u32_e64 s[2:3], 0, v11
	s_cbranch_scc1 .LBB7_1050
; %bb.1025:
	v_mov_b32_e32 v3, 0
	v_mov_b32_e32 v4, 0x5000
	v_lshl_add_u32 v13, v11, 2, v4
	v_lshl_or_b32 v14, v1, 2, v4
	v_lshlrev_b64 v[4:5], 2, v[2:3]
	s_lshl_b64 s[4:5], s[34:35], 2
	s_add_u32 s16, s14, s4
	v_cmp_gt_i32_e64 s[10:11], s33, v2
	v_mov_b32_e32 v15, s91
	v_add_co_u32_e32 v2, vcc, s90, v4
	s_mul_i32 s8, s21, 0xc0
	s_mul_hi_u32 s9, s20, 0xc0
	s_mov_b32 s38, 0
	s_addc_u32 s17, s15, s5
	v_cmp_gt_u32_e64 s[4:5], 64, v11
	s_add_i32 s39, s6, -1
	v_addc_co_u32_e32 v15, vcc, v15, v5, vcc
	s_lshl_b64 s[24:25], s[20:21], 6
	s_lshl_b64 s[26:27], s[20:21], 7
	s_add_i32 s40, s9, s8
	s_mul_i32 s41, s20, 0xc0
	v_mov_b32_e32 v16, -1
	s_branch .LBB7_1028
.LBB7_1026:                             ;   in Loop: Header=BB7_1028 Depth=1
	ds_read_b32 v4, v14 offset:192
	s_waitcnt vmcnt(0) lgkmcnt(0)
	v_fmac_f32_e32 v12, v17, v4
.LBB7_1027:                             ;   in Loop: Header=BB7_1028 Depth=1
	s_or_b64 exec, exec, s[28:29]
	s_add_i32 s38, s38, 1
	s_cmp_eq_u32 s38, s6
	s_cbranch_scc1 .LBB7_1050
.LBB7_1028:                             ; =>This Loop Header: Depth=1
                                        ;     Child Loop BB7_1030 Depth 2
	v_cmp_gt_i32_e32 vcc, s38, v16
	s_and_b64 s[28:29], s[2:3], vcc
	s_and_saveexec_b64 s[8:9], s[28:29]
	s_cbranch_execz .LBB7_1031
; %bb.1029:                             ;   in Loop: Header=BB7_1028 Depth=1
	global_load_dword v16, v3, s[16:17]
	s_waitcnt vmcnt(0)
	v_cmp_le_i32_e32 vcc, s38, v16
	s_cbranch_vccnz .LBB7_1031
.LBB7_1030:                             ;   Parent Loop BB7_1028 Depth=1
                                        ; =>  This Inner Loop Header: Depth=2
	buffer_wbinvl1_vol
	global_load_dword v16, v3, s[16:17]
	s_waitcnt vmcnt(0)
	v_cmp_gt_i32_e32 vcc, s38, v16
	s_cbranch_vccnz .LBB7_1030
.LBB7_1031:                             ;   in Loop: Header=BB7_1028 Depth=1
	s_or_b64 exec, exec, s[8:9]
	s_lshl_b32 s42, s38, 6
	buffer_wbinvl1_vol
	s_barrier
	s_and_saveexec_b64 s[8:9], s[4:5]
	s_cbranch_execz .LBB7_1035
; %bb.1032:                             ;   in Loop: Header=BB7_1028 Depth=1
	v_or_b32_e32 v5, s42, v11
	v_cmp_gt_i32_e32 vcc, s33, v5
	v_mov_b32_e32 v4, 0
	s_and_saveexec_b64 s[28:29], vcc
	s_cbranch_execz .LBB7_1034
; %bb.1033:                             ;   in Loop: Header=BB7_1028 Depth=1
	v_mad_u64_u32 v[17:18], s[44:45], s30, v5, 0
	v_mov_b32_e32 v19, s37
	v_mov_b32_e32 v4, v18
	v_mad_u64_u32 v[4:5], s[44:45], s31, v5, v[4:5]
	v_mov_b32_e32 v18, v4
	v_lshlrev_b64 v[4:5], 2, v[17:18]
	v_add_co_u32_e32 v4, vcc, s36, v4
	v_addc_co_u32_e32 v5, vcc, v19, v5, vcc
	global_load_dword v4, v[4:5], off
.LBB7_1034:                             ;   in Loop: Header=BB7_1028 Depth=1
	s_or_b64 exec, exec, s[28:29]
	s_waitcnt vmcnt(0)
	ds_write_b32 v13, v4
.LBB7_1035:                             ;   in Loop: Header=BB7_1028 Depth=1
	s_or_b64 exec, exec, s[8:9]
	v_add_u32_e32 v17, s42, v1
	v_mad_u64_u32 v[4:5], s[8:9], s20, v17, 0
	s_cmp_lg_u32 s38, s39
	s_waitcnt lgkmcnt(0)
	v_mad_u64_u32 v[18:19], s[8:9], s21, v17, v[5:6]
	s_cselect_b64 s[8:9], -1, 0
	s_barrier
	v_mov_b32_e32 v5, v18
	v_lshlrev_b64 v[4:5], 2, v[4:5]
	v_cndmask_b32_e64 v18, 0, 1, s[8:9]
	v_add_co_u32_e32 v4, vcc, v2, v4
	v_addc_co_u32_e32 v5, vcc, v15, v5, vcc
	v_cmp_gt_i32_e32 vcc, s33, v17
	s_and_b64 s[42:43], s[10:11], vcc
	v_cmp_ne_u32_e64 s[8:9], 1, v18
	s_and_saveexec_b64 s[28:29], s[42:43]
	s_cbranch_execz .LBB7_1039
; %bb.1036:                             ;   in Loop: Header=BB7_1028 Depth=1
	s_and_b64 vcc, exec, s[8:9]
	v_mov_b32_e32 v18, v7
	s_cbranch_vccnz .LBB7_1038
; %bb.1037:                             ;   in Loop: Header=BB7_1028 Depth=1
	global_load_dword v18, v[4:5], off
.LBB7_1038:                             ;   in Loop: Header=BB7_1028 Depth=1
	ds_read_b32 v19, v14
	s_waitcnt vmcnt(0) lgkmcnt(0)
	v_fmac_f32_e32 v12, v18, v19
.LBB7_1039:                             ;   in Loop: Header=BB7_1028 Depth=1
	s_or_b64 exec, exec, s[28:29]
	v_add_u32_e32 v18, 16, v17
	v_cmp_gt_i32_e32 vcc, s33, v18
	s_and_b64 s[42:43], s[10:11], vcc
	s_and_saveexec_b64 s[28:29], s[42:43]
	s_cbranch_execz .LBB7_1043
; %bb.1040:                             ;   in Loop: Header=BB7_1028 Depth=1
	s_and_b64 vcc, exec, s[8:9]
	v_mov_b32_e32 v18, v8
	s_cbranch_vccnz .LBB7_1042
; %bb.1041:                             ;   in Loop: Header=BB7_1028 Depth=1
	v_mov_b32_e32 v19, s25
	v_add_co_u32_e32 v18, vcc, s24, v4
	v_addc_co_u32_e32 v19, vcc, v5, v19, vcc
	global_load_dword v18, v[18:19], off
.LBB7_1042:                             ;   in Loop: Header=BB7_1028 Depth=1
	ds_read_b32 v19, v14 offset:64
	s_waitcnt vmcnt(0) lgkmcnt(0)
	v_fmac_f32_e32 v12, v18, v19
.LBB7_1043:                             ;   in Loop: Header=BB7_1028 Depth=1
	s_or_b64 exec, exec, s[28:29]
	v_add_u32_e32 v18, 32, v17
	v_cmp_gt_i32_e32 vcc, s33, v18
	s_and_b64 s[42:43], s[10:11], vcc
	s_and_saveexec_b64 s[28:29], s[42:43]
	s_cbranch_execz .LBB7_1047
; %bb.1044:                             ;   in Loop: Header=BB7_1028 Depth=1
	s_and_b64 vcc, exec, s[8:9]
	v_mov_b32_e32 v18, v10
	s_cbranch_vccnz .LBB7_1046
; %bb.1045:                             ;   in Loop: Header=BB7_1028 Depth=1
	v_mov_b32_e32 v19, s27
	v_add_co_u32_e32 v18, vcc, s26, v4
	v_addc_co_u32_e32 v19, vcc, v5, v19, vcc
	global_load_dword v18, v[18:19], off
.LBB7_1046:                             ;   in Loop: Header=BB7_1028 Depth=1
	ds_read_b32 v19, v14 offset:128
	s_waitcnt vmcnt(0) lgkmcnt(0)
	v_fmac_f32_e32 v12, v18, v19
.LBB7_1047:                             ;   in Loop: Header=BB7_1028 Depth=1
	s_or_b64 exec, exec, s[28:29]
	v_add_u32_e32 v17, 48, v17
	v_cmp_gt_i32_e32 vcc, s33, v17
	s_and_b64 s[42:43], s[10:11], vcc
	s_and_saveexec_b64 s[28:29], s[42:43]
	s_cbranch_execz .LBB7_1027
; %bb.1048:                             ;   in Loop: Header=BB7_1028 Depth=1
	s_and_b64 vcc, exec, s[8:9]
	v_mov_b32_e32 v17, v9
	s_cbranch_vccnz .LBB7_1026
; %bb.1049:                             ;   in Loop: Header=BB7_1028 Depth=1
	v_mov_b32_e32 v17, s40
	v_add_co_u32_e32 v4, vcc, s41, v4
	v_addc_co_u32_e32 v5, vcc, v5, v17, vcc
	global_load_dword v17, v[4:5], off
	s_branch .LBB7_1026
.LBB7_1050:
	v_lshl_add_u32 v2, v1, 6, v0
	s_xor_b64 s[2:3], s[18:19], -1
	s_xor_b64 s[4:5], s[22:23], -1
	v_lshlrev_b32_e32 v2, 2, v2
	ds_write_b32 v2, v12 offset:16384
	s_waitcnt lgkmcnt(0)
	s_barrier
	s_and_saveexec_b64 s[8:9], s[0:1]
	s_cbranch_execz .LBB7_1052
; %bb.1051:
	v_lshlrev_b32_e32 v5, 2, v0
	ds_read2st64_b32 v[3:4], v5 offset0:65 offset1:66
	ds_read2st64_b32 v[7:8], v5 offset0:67 offset1:68
	;; [unrolled: 1-line block ×5, first 2 shown]
	s_waitcnt lgkmcnt(4)
	v_add_f32_e32 v3, v12, v3
	v_add_f32_e32 v3, v3, v4
	s_waitcnt lgkmcnt(3)
	v_add_f32_e32 v3, v3, v7
	v_add_f32_e32 v3, v3, v8
	;; [unrolled: 3-line block ×4, first 2 shown]
	ds_read2st64_b32 v[3:4], v5 offset0:75 offset1:76
	ds_read2st64_b32 v[7:8], v5 offset0:77 offset1:78
	ds_read_b32 v5, v5 offset:20224
	s_waitcnt lgkmcnt(3)
	v_add_f32_e32 v9, v9, v15
	v_add_f32_e32 v9, v9, v16
	s_waitcnt lgkmcnt(2)
	v_add_f32_e32 v3, v9, v3
	v_add_f32_e32 v3, v3, v4
	;; [unrolled: 3-line block ×3, first 2 shown]
	s_waitcnt lgkmcnt(0)
	v_add_f32_e32 v3, v3, v5
	v_cndmask_b32_e64 v12, -v3, 0, s[12:13]
.LBB7_1052:
	s_or_b64 exec, exec, s[8:9]
	s_andn2_b64 vcc, exec, s[4:5]
	s_cbranch_vccnz .LBB7_1066
; %bb.1053:
	v_mov_b32_e32 v3, 0x5000
	v_lshl_or_b32 v4, v1, 2, v3
	s_and_saveexec_b64 s[4:5], s[0:1]
; %bb.1054:
	v_lshl_add_u32 v3, v0, 2, v4
	ds_write_b32 v3, v12
; %bb.1055:
	s_or_b64 exec, exec, s[4:5]
	v_cmp_ge_u32_e32 vcc, v0, v1
	v_mov_b32_e32 v3, 0
	s_waitcnt lgkmcnt(0)
	s_barrier
	s_and_saveexec_b64 s[4:5], vcc
	s_cbranch_execz .LBB7_1057
; %bb.1056:
	ds_read_b32 v3, v2
	ds_read_b32 v5, v4
	s_waitcnt lgkmcnt(0)
	v_fma_f32 v3, v3, v5, 0
.LBB7_1057:
	s_or_b64 exec, exec, s[4:5]
	v_add_u32_e32 v5, 16, v1
	v_cmp_ge_u32_e32 vcc, v0, v5
	s_and_saveexec_b64 s[4:5], vcc
	s_cbranch_execz .LBB7_1059
; %bb.1058:
	ds_read_b32 v5, v2 offset:4096
	ds_read_b32 v7, v4 offset:64
	s_waitcnt lgkmcnt(0)
	v_fmac_f32_e32 v3, v5, v7
.LBB7_1059:
	s_or_b64 exec, exec, s[4:5]
	v_add_u32_e32 v5, 32, v1
	v_cmp_ge_u32_e32 vcc, v0, v5
	s_and_saveexec_b64 s[4:5], vcc
	s_cbranch_execz .LBB7_1061
; %bb.1060:
	ds_read_b32 v5, v2 offset:8192
	ds_read_b32 v7, v4 offset:128
	s_waitcnt lgkmcnt(0)
	v_fmac_f32_e32 v3, v5, v7
.LBB7_1061:
	s_or_b64 exec, exec, s[4:5]
	v_add_u32_e32 v1, 48, v1
	v_add_u32_e32 v5, 0x4000, v2
	v_cmp_ge_u32_e32 vcc, v0, v1
	s_and_saveexec_b64 s[4:5], vcc
	s_cbranch_execz .LBB7_1063
; %bb.1062:
	ds_read_b32 v1, v2 offset:12288
	ds_read_b32 v2, v4 offset:192
	s_waitcnt lgkmcnt(0)
	v_fmac_f32_e32 v3, v1, v2
.LBB7_1063:
	s_or_b64 exec, exec, s[4:5]
	s_mov_b64 s[8:9], 0
	s_mov_b64 s[4:5], 0
	ds_write_b32 v5, v3
	s_waitcnt lgkmcnt(0)
	s_barrier
                                        ; implicit-def: $vgpr4
                                        ; implicit-def: $vgpr1_vgpr2
	s_and_saveexec_b64 s[10:11], s[0:1]
	s_cbranch_execz .LBB7_1099
; %bb.1064:
	v_lshlrev_b32_e32 v13, 2, v0
	ds_read2st64_b32 v[1:2], v13 offset0:65 offset1:66
	ds_read2st64_b32 v[4:5], v13 offset0:67 offset1:68
	;; [unrolled: 1-line block ×4, first 2 shown]
	s_mov_b64 s[4:5], exec
	s_waitcnt lgkmcnt(3)
	v_add_f32_e32 v1, v3, v1
	v_add_f32_e32 v1, v2, v1
	s_waitcnt lgkmcnt(2)
	v_add_f32_e32 v1, v4, v1
	v_add_f32_e32 v1, v5, v1
	ds_read2st64_b32 v[2:3], v13 offset0:73 offset1:74
	s_waitcnt lgkmcnt(2)
	v_add_f32_e32 v1, v7, v1
	v_add_f32_e32 v1, v8, v1
	s_waitcnt lgkmcnt(1)
	v_add_f32_e32 v1, v9, v1
	v_add_f32_e32 v1, v10, v1
	ds_read2st64_b32 v[4:5], v13 offset0:75 offset1:76
	ds_read2st64_b32 v[7:8], v13 offset0:77 offset1:78
	ds_read_b32 v9, v13 offset:20224
	v_lshl_add_u32 v13, s6, 6, v11
	s_waitcnt lgkmcnt(3)
	v_add_f32_e32 v10, v2, v1
	v_mad_u64_u32 v[1:2], s[12:13], s30, v13, 0
	v_add_f32_e32 v3, v3, v10
	s_waitcnt lgkmcnt(2)
	v_add_f32_e32 v3, v4, v3
	v_add_f32_e32 v4, v5, v3
	v_mad_u64_u32 v[2:3], s[12:13], s31, v13, v[2:3]
	s_waitcnt lgkmcnt(1)
	v_add_f32_e32 v3, v7, v4
	v_add_f32_e32 v3, v8, v3
	s_waitcnt lgkmcnt(0)
	v_add_f32_e32 v4, v9, v3
	s_or_b64 exec, exec, s[10:11]
	s_and_b64 vcc, exec, s[8:9]
	s_cbranch_vccnz .LBB7_1067
	s_branch .LBB7_1100
.LBB7_1065:
	v_mad_u64_u32 v[11:12], s[0:1], s20, v4, 0
	s_or_b64 s[8:9], s[8:9], exec
	v_mad_u64_u32 v[12:13], s[0:1], s21, v4, v[12:13]
	v_lshlrev_b64 v[11:12], 2, v[11:12]
	v_add_co_u32_e32 v2, vcc, v2, v11
	v_addc_co_u32_e32 v3, vcc, v3, v12, vcc
	global_load_dword v2, v[2:3], off
	s_waitcnt vmcnt(0)
	v_xor_b32_e32 v11, 0x80000000, v2
	s_or_b64 exec, exec, s[2:3]
	s_and_saveexec_b64 s[0:1], s[8:9]
	s_cbranch_execnz .LBB7_45
	s_branch .LBB7_46
.LBB7_1066:
	s_mov_b64 s[4:5], 0
                                        ; implicit-def: $vgpr4
                                        ; implicit-def: $vgpr1_vgpr2
	s_cbranch_execz .LBB7_1100
.LBB7_1067:
	s_mov_b32 s10, 0
	v_mov_b32_e32 v1, 0
	v_mov_b32_e32 v2, v0
	s_branch .LBB7_1069
.LBB7_1068:                             ;   in Loop: Header=BB7_1069 Depth=1
	s_or_b64 exec, exec, s[8:9]
	s_add_i32 s10, s10, 4
	v_add_u32_e32 v6, 0x400, v6
	s_cmp_lg_u32 s10, 64
	v_add_u32_e32 v2, -4, v2
	s_barrier
	s_cbranch_scc0 .LBB7_1085
.LBB7_1069:                             ; =>This Inner Loop Header: Depth=1
	v_cmp_eq_u32_e32 vcc, 0, v2
	s_and_b64 s[12:13], s[0:1], vcc
	s_and_saveexec_b64 s[8:9], s[12:13]
; %bb.1070:                             ;   in Loop: Header=BB7_1069 Depth=1
	ds_write_b32 v1, v12 offset:20736
; %bb.1071:                             ;   in Loop: Header=BB7_1069 Depth=1
	s_or_b64 exec, exec, s[8:9]
	v_cmp_lt_u32_e32 vcc, s10, v0
	s_and_b64 s[12:13], s[0:1], vcc
	s_waitcnt lgkmcnt(0)
	s_barrier
	s_and_saveexec_b64 s[8:9], s[12:13]
	s_cbranch_execz .LBB7_1073
; %bb.1072:                             ;   in Loop: Header=BB7_1069 Depth=1
	ds_read_b32 v3, v6
	ds_read_b32 v4, v1 offset:20736
	s_waitcnt lgkmcnt(0)
	v_fmac_f32_e32 v12, v3, v4
.LBB7_1073:                             ;   in Loop: Header=BB7_1069 Depth=1
	s_or_b64 exec, exec, s[8:9]
	s_or_b32 s11, s10, 1
	v_cmp_eq_u32_e32 vcc, s11, v0
	s_and_b64 s[12:13], s[0:1], vcc
	s_barrier
	s_and_saveexec_b64 s[8:9], s[12:13]
; %bb.1074:                             ;   in Loop: Header=BB7_1069 Depth=1
	ds_write_b32 v1, v12 offset:20736
; %bb.1075:                             ;   in Loop: Header=BB7_1069 Depth=1
	s_or_b64 exec, exec, s[8:9]
	v_cmp_lt_u32_e32 vcc, s11, v0
	s_and_b64 s[12:13], s[0:1], vcc
	s_waitcnt lgkmcnt(0)
	s_barrier
	s_and_saveexec_b64 s[8:9], s[12:13]
	s_cbranch_execz .LBB7_1077
; %bb.1076:                             ;   in Loop: Header=BB7_1069 Depth=1
	ds_read_b32 v3, v6 offset:256
	ds_read_b32 v4, v1 offset:20736
	s_waitcnt lgkmcnt(0)
	v_fmac_f32_e32 v12, v3, v4
.LBB7_1077:                             ;   in Loop: Header=BB7_1069 Depth=1
	s_or_b64 exec, exec, s[8:9]
	s_or_b32 s11, s10, 2
	v_cmp_eq_u32_e32 vcc, s11, v0
	s_and_b64 s[12:13], s[0:1], vcc
	s_barrier
	s_and_saveexec_b64 s[8:9], s[12:13]
; %bb.1078:                             ;   in Loop: Header=BB7_1069 Depth=1
	ds_write_b32 v1, v12 offset:20736
; %bb.1079:                             ;   in Loop: Header=BB7_1069 Depth=1
	s_or_b64 exec, exec, s[8:9]
	v_cmp_lt_u32_e32 vcc, s11, v0
	s_and_b64 s[12:13], s[0:1], vcc
	s_waitcnt lgkmcnt(0)
	s_barrier
	s_and_saveexec_b64 s[8:9], s[12:13]
	s_cbranch_execz .LBB7_1081
; %bb.1080:                             ;   in Loop: Header=BB7_1069 Depth=1
	ds_read_b32 v3, v6 offset:512
	ds_read_b32 v4, v1 offset:20736
	s_waitcnt lgkmcnt(0)
	v_fmac_f32_e32 v12, v3, v4
.LBB7_1081:                             ;   in Loop: Header=BB7_1069 Depth=1
	s_or_b64 exec, exec, s[8:9]
	s_or_b32 s11, s10, 3
	v_cmp_eq_u32_e32 vcc, s11, v0
	s_and_b64 s[12:13], s[0:1], vcc
	s_barrier
	s_and_saveexec_b64 s[8:9], s[12:13]
; %bb.1082:                             ;   in Loop: Header=BB7_1069 Depth=1
	ds_write_b32 v1, v12 offset:20736
; %bb.1083:                             ;   in Loop: Header=BB7_1069 Depth=1
	s_or_b64 exec, exec, s[8:9]
	v_cmp_lt_u32_e32 vcc, s11, v0
	s_and_b64 s[12:13], s[0:1], vcc
	s_waitcnt lgkmcnt(0)
	s_barrier
	s_and_saveexec_b64 s[8:9], s[12:13]
	s_cbranch_execz .LBB7_1068
; %bb.1084:                             ;   in Loop: Header=BB7_1069 Depth=1
	ds_read_b32 v3, v6 offset:768
	ds_read_b32 v4, v1 offset:20736
	s_waitcnt lgkmcnt(0)
	v_fmac_f32_e32 v12, v3, v4
	s_branch .LBB7_1068
.LBB7_1085:
	s_and_b64 vcc, exec, s[2:3]
	s_cbranch_vccz .LBB7_1101
; %bb.1086:
	s_and_b64 s[2:3], s[0:1], exec
	s_cbranch_execz .LBB7_1102
	s_branch .LBB7_1103
.LBB7_1087:
	v_or_b32_e32 v11, v1, v0
	v_cmp_gt_u32_e32 vcc, 64, v11
	s_and_b64 s[2:3], vcc, exec
	s_andn2_saveexec_b64 s[0:1], s[0:1]
	s_cbranch_execz .LBB7_14
.LBB7_1088:
	v_mad_u64_u32 v[11:12], s[8:9], s20, v1, 0
	s_or_b64 s[2:3], s[2:3], exec
	v_mov_b32_e32 v5, v12
	v_mad_u64_u32 v[12:13], s[8:9], s21, v1, v[5:6]
	v_lshlrev_b64 v[11:12], 2, v[11:12]
	v_add_co_u32_e32 v11, vcc, v2, v11
	v_addc_co_u32_e32 v12, vcc, v3, v12, vcc
	global_load_dword v5, v[11:12], off
	s_waitcnt vmcnt(0)
	v_xor_b32_e32 v5, 0x80000000, v5
	s_or_b64 exec, exec, s[0:1]
	s_and_saveexec_b64 s[0:1], s[2:3]
	s_cbranch_execnz .LBB7_15
	s_branch .LBB7_16
.LBB7_1089:
	v_or_b32_e32 v11, v5, v0
	v_cmp_gt_u32_e32 vcc, 64, v11
	s_and_b64 s[0:1], vcc, exec
	s_or_saveexec_b64 s[2:3], s[2:3]
	v_mov_b32_e32 v11, 0
	s_xor_b64 exec, exec, s[2:3]
	s_cbranch_execz .LBB7_18
.LBB7_1090:
	v_mad_u64_u32 v[11:12], s[8:9], s20, v5, 0
	s_or_b64 s[0:1], s[0:1], exec
	v_mad_u64_u32 v[12:13], s[8:9], s21, v5, v[12:13]
	v_lshlrev_b64 v[11:12], 2, v[11:12]
	v_add_co_u32_e32 v11, vcc, v2, v11
	v_addc_co_u32_e32 v12, vcc, v3, v12, vcc
	global_load_dword v11, v[11:12], off
	s_waitcnt vmcnt(0)
	v_xor_b32_e32 v11, 0x80000000, v11
	s_or_b64 exec, exec, s[2:3]
	s_and_saveexec_b64 s[2:3], s[0:1]
	s_cbranch_execnz .LBB7_19
	s_branch .LBB7_20
.LBB7_1091:
	v_or_b32_e32 v11, v5, v0
	v_cmp_gt_u32_e32 vcc, 64, v11
	s_and_b64 s[0:1], vcc, exec
	s_or_saveexec_b64 s[2:3], s[2:3]
	v_mov_b32_e32 v11, 0
	s_xor_b64 exec, exec, s[2:3]
	s_cbranch_execz .LBB7_22
.LBB7_1092:
	v_mad_u64_u32 v[11:12], s[8:9], s20, v5, 0
	s_or_b64 s[0:1], s[0:1], exec
	v_mad_u64_u32 v[12:13], s[8:9], s21, v5, v[12:13]
	v_lshlrev_b64 v[11:12], 2, v[11:12]
	v_add_co_u32_e32 v11, vcc, v2, v11
	v_addc_co_u32_e32 v12, vcc, v3, v12, vcc
	global_load_dword v11, v[11:12], off
	s_waitcnt vmcnt(0)
	v_xor_b32_e32 v11, 0x80000000, v11
	s_or_b64 exec, exec, s[2:3]
	s_and_saveexec_b64 s[2:3], s[0:1]
	s_cbranch_execnz .LBB7_23
	s_branch .LBB7_24
.LBB7_1093:
	v_or_b32_e32 v11, v1, v0
	v_cmp_gt_u32_e64 s[0:1], 64, v11
	s_and_b64 s[2:3], s[0:1], exec
	s_andn2_saveexec_b64 s[10:11], s[10:11]
	s_cbranch_execz .LBB7_30
.LBB7_1094:
	v_mad_u64_u32 v[11:12], s[0:1], s20, v1, 0
	s_or_b64 s[2:3], s[2:3], exec
	v_mov_b32_e32 v5, v12
	v_mad_u64_u32 v[12:13], s[0:1], s21, v1, v[5:6]
	v_lshlrev_b64 v[11:12], 2, v[11:12]
	v_add_co_u32_e64 v11, s[0:1], v2, v11
	v_addc_co_u32_e64 v12, s[0:1], v3, v12, s[0:1]
	global_load_dword v5, v[11:12], off
	s_waitcnt vmcnt(0)
	v_xor_b32_e32 v5, 0x80000000, v5
	s_or_b64 exec, exec, s[10:11]
	s_and_saveexec_b64 s[0:1], s[2:3]
	s_cbranch_execnz .LBB7_31
	s_branch .LBB7_32
.LBB7_1095:
	v_or_b32_e32 v11, v5, v0
	v_cmp_gt_u32_e64 s[0:1], 64, v11
	s_and_b64 s[2:3], s[0:1], exec
	s_or_saveexec_b64 s[10:11], s[10:11]
	v_mov_b32_e32 v11, 0
	s_xor_b64 exec, exec, s[10:11]
	s_cbranch_execz .LBB7_34
.LBB7_1096:
	v_mad_u64_u32 v[11:12], s[0:1], s20, v5, 0
	s_or_b64 s[2:3], s[2:3], exec
	v_mad_u64_u32 v[12:13], s[0:1], s21, v5, v[12:13]
	v_lshlrev_b64 v[11:12], 2, v[11:12]
	v_add_co_u32_e64 v11, s[0:1], v2, v11
	v_addc_co_u32_e64 v12, s[0:1], v3, v12, s[0:1]
	global_load_dword v11, v[11:12], off
	s_waitcnt vmcnt(0)
	v_xor_b32_e32 v11, 0x80000000, v11
	s_or_b64 exec, exec, s[10:11]
	s_and_saveexec_b64 s[0:1], s[2:3]
	s_cbranch_execnz .LBB7_35
	s_branch .LBB7_36
.LBB7_1097:
	v_or_b32_e32 v11, v5, v0
	v_cmp_gt_u32_e64 s[0:1], 64, v11
	s_and_b64 s[2:3], s[0:1], exec
	s_or_saveexec_b64 s[10:11], s[10:11]
	v_mov_b32_e32 v11, 0
	s_xor_b64 exec, exec, s[10:11]
	s_cbranch_execz .LBB7_38
.LBB7_1098:
	v_mad_u64_u32 v[11:12], s[0:1], s20, v5, 0
	s_or_b64 s[2:3], s[2:3], exec
	v_mad_u64_u32 v[12:13], s[0:1], s21, v5, v[12:13]
	v_lshlrev_b64 v[11:12], 2, v[11:12]
	v_add_co_u32_e64 v11, s[0:1], v2, v11
	v_addc_co_u32_e64 v12, s[0:1], v3, v12, s[0:1]
	global_load_dword v11, v[11:12], off
	s_waitcnt vmcnt(0)
	v_xor_b32_e32 v11, 0x80000000, v11
	s_or_b64 exec, exec, s[10:11]
	s_and_saveexec_b64 s[0:1], s[2:3]
	s_cbranch_execnz .LBB7_39
	s_branch .LBB7_40
.LBB7_1099:
	s_or_b64 exec, exec, s[10:11]
	s_and_b64 vcc, exec, s[8:9]
	s_cbranch_vccnz .LBB7_1067
.LBB7_1100:
	v_mov_b32_e32 v12, v4
	s_and_saveexec_b64 s[0:1], s[4:5]
	s_cbranch_execnz .LBB7_1106
	s_branch .LBB7_1107
.LBB7_1101:
	s_mov_b64 s[2:3], 0
.LBB7_1102:
	v_cmp_gt_i32_e32 vcc, s7, v0
	s_and_b64 s[0:1], s[0:1], vcc
	s_andn2_b64 s[2:3], s[2:3], exec
	s_and_b64 s[0:1], s[0:1], exec
	s_or_b64 s[2:3], s[2:3], s[0:1]
.LBB7_1103:
                                        ; implicit-def: $vgpr1_vgpr2
	s_and_saveexec_b64 s[0:1], s[2:3]
	s_cbranch_execz .LBB7_1105
; %bb.1104:
	s_lshl_b32 s2, s6, 6
	s_ashr_i32 s3, s2, 31
	v_mov_b32_e32 v0, s3
	v_add_co_u32_e32 v1, vcc, s2, v11
	v_addc_co_u32_e32 v0, vcc, 0, v0, vcc
	v_mul_lo_u32 v0, v0, s30
	v_mul_lo_u32 v3, v1, s31
	v_mad_u64_u32 v[1:2], s[2:3], v1, s30, 0
	s_or_b64 s[4:5], s[4:5], exec
	v_add3_u32 v2, v2, v3, v0
.LBB7_1105:
	s_or_b64 exec, exec, s[0:1]
	s_and_saveexec_b64 s[0:1], s[4:5]
	s_cbranch_execz .LBB7_1107
.LBB7_1106:
	v_lshlrev_b64 v[0:1], 2, v[1:2]
	v_mov_b32_e32 v2, s37
	v_add_co_u32_e32 v0, vcc, s36, v0
	v_addc_co_u32_e32 v1, vcc, v2, v1, vcc
	global_store_dword v[0:1], v12, off
.LBB7_1107:
	s_or_b64 exec, exec, s[0:1]
	v_cmp_eq_u32_e32 vcc, 0, v11
	s_waitcnt vmcnt(0)
	buffer_wbinvl1_vol
	s_barrier
	s_and_saveexec_b64 s[0:1], vcc
	s_cbranch_execz .LBB7_1109
; %bb.1108:
	s_lshl_b64 s[2:3], s[34:35], 2
	s_add_u32 s2, s14, s2
	s_addc_u32 s3, s15, s3
	v_mov_b32_e32 v0, 0
	global_load_dword v1, v0, s[2:3]
	s_waitcnt vmcnt(0)
	v_add_u32_e32 v1, 1, v1
	global_store_dword v0, v1, s[2:3]
.LBB7_1109:
	s_or_b64 exec, exec, s[0:1]
	s_waitcnt vmcnt(0)
	buffer_wbinvl1_vol
	s_endpgm
.LBB7_1110:
	v_lshlrev_b32_e32 v17, 2, v15
	v_sub_u32_e32 v17, v16, v17
	v_lshl_add_u32 v17, v14, 2, v17
	ds_read_b32 v17, v17 offset:272
	ds_read_b32 v18, v16 offset:4
	s_waitcnt lgkmcnt(0)
	v_fmac_f32_e32 v13, v17, v18
	s_or_b64 exec, exec, s[14:15]
	v_cmp_gt_u32_e64 s[10:11], 8, v4
	s_and_saveexec_b64 s[14:15], s[10:11]
	s_cbranch_execz .LBB7_66
.LBB7_1111:
	ds_read_b32 v17, v11 offset:528
	ds_read_b32 v16, v16 offset:8
	s_waitcnt lgkmcnt(0)
	v_fmac_f32_e32 v13, v17, v16
	s_or_b64 exec, exec, s[14:15]
	v_cmp_gt_u32_e64 s[10:11], 4, v4
	s_and_saveexec_b64 s[14:15], s[10:11]
	s_cbranch_execnz .LBB7_67
	s_branch .LBB7_68
.LBB7_1112:
	v_lshlrev_b32_e32 v22, 2, v20
	v_sub_u32_e32 v22, v21, v22
	v_lshl_add_u32 v22, v19, 2, v22
	ds_read_b32 v22, v22 offset:288
	ds_read_b32 v23, v21 offset:4
	s_waitcnt lgkmcnt(0)
	v_fmac_f32_e32 v18, v22, v23
	s_or_b64 exec, exec, s[16:17]
	v_cmp_gt_u32_e64 s[10:11], 48, v4
	s_and_saveexec_b64 s[16:17], s[10:11]
	s_cbranch_execz .LBB7_104
.LBB7_1113:
	v_lshlrev_b32_e32 v22, 2, v20
	v_sub_u32_e32 v22, v21, v22
	v_lshl_add_u32 v22, v19, 2, v22
	ds_read_b32 v22, v22 offset:544
	ds_read_b32 v23, v21 offset:8
	s_waitcnt lgkmcnt(0)
	v_fmac_f32_e32 v18, v22, v23
	s_or_b64 exec, exec, s[16:17]
	v_cmp_gt_u32_e64 s[10:11], 40, v4
	s_and_saveexec_b64 s[16:17], s[10:11]
	s_cbranch_execz .LBB7_105
.LBB7_1114:
	v_lshlrev_b32_e32 v22, 2, v20
	v_sub_u32_e32 v22, v21, v22
	v_lshl_add_u32 v22, v19, 2, v22
	ds_read_b32 v22, v22 offset:800
	ds_read_b32 v23, v21 offset:12
	s_waitcnt lgkmcnt(0)
	v_fmac_f32_e32 v18, v22, v23
	s_or_b64 exec, exec, s[16:17]
	v_cmp_gt_u32_e64 s[10:11], 32, v4
	s_and_saveexec_b64 s[16:17], s[10:11]
	s_cbranch_execz .LBB7_106
.LBB7_1115:
	ds_read_b32 v22, v16 offset:1056
	ds_read_b32 v23, v21 offset:16
	s_waitcnt lgkmcnt(0)
	v_fmac_f32_e32 v18, v22, v23
	s_or_b64 exec, exec, s[16:17]
	v_cmp_gt_u32_e64 s[10:11], 24, v4
	s_and_saveexec_b64 s[16:17], s[10:11]
	s_cbranch_execz .LBB7_107
.LBB7_1116:
	v_lshlrev_b32_e32 v22, 2, v20
	v_sub_u32_e32 v22, v21, v22
	v_lshl_add_u32 v22, v19, 2, v22
	ds_read_b32 v22, v22 offset:1312
	ds_read_b32 v23, v21 offset:20
	s_waitcnt lgkmcnt(0)
	v_fmac_f32_e32 v18, v22, v23
	s_or_b64 exec, exec, s[16:17]
	v_cmp_gt_u32_e64 s[10:11], 16, v4
	s_and_saveexec_b64 s[16:17], s[10:11]
	s_cbranch_execz .LBB7_108
.LBB7_1117:
	ds_read_b32 v22, v16 offset:1568
	ds_read_b32 v21, v21 offset:24
	s_waitcnt lgkmcnt(0)
	v_fmac_f32_e32 v18, v22, v21
	s_or_b64 exec, exec, s[16:17]
	v_cmp_gt_u32_e64 s[10:11], 8, v4
	s_and_saveexec_b64 s[16:17], s[10:11]
	s_cbranch_execnz .LBB7_109
	s_branch .LBB7_110
.LBB7_1118:
	v_lshlrev_b32_e32 v23, 2, v15
	v_sub_u32_e32 v23, v22, v23
	v_lshl_add_u32 v23, v14, 2, v23
	ds_read_b32 v23, v23 offset:2352
	ds_read_b32 v24, v22 offset:2084
	s_waitcnt lgkmcnt(0)
	v_fmac_f32_e32 v21, v23, v24
	s_or_b64 exec, exec, s[12:13]
	v_cmp_gt_u32_e64 s[8:9], 8, v4
	s_and_saveexec_b64 s[12:13], s[8:9]
	s_cbranch_execz .LBB7_162
.LBB7_1119:
	ds_read_b32 v23, v11 offset:2608
	ds_read_b32 v22, v22 offset:2088
	s_waitcnt lgkmcnt(0)
	v_fmac_f32_e32 v21, v23, v22
	s_or_b64 exec, exec, s[12:13]
	v_cmp_gt_u32_e64 s[8:9], 4, v4
	s_and_saveexec_b64 s[12:13], s[8:9]
	s_cbranch_execnz .LBB7_163
	s_branch .LBB7_164
.LBB7_1120:
	v_lshlrev_b32_e32 v27, 2, v22
	v_lshl_add_u32 v27, v24, 2, v27
	ds_read_b32 v27, v27 offset:2880
	ds_read_b32 v28, v26 offset:44
	s_waitcnt lgkmcnt(0)
	v_fmac_f32_e32 v23, v27, v28
	s_or_b64 exec, exec, s[78:79]
	v_cmp_gt_u32_e64 s[12:13], 64, v4
	s_and_saveexec_b64 s[78:79], s[12:13]
	s_cbranch_execz .LBB7_220
.LBB7_1121:
	ds_read_b32 v27, v21 offset:3136
	ds_read_b32 v28, v26 offset:48
	s_waitcnt lgkmcnt(0)
	v_fmac_f32_e32 v23, v27, v28
	s_or_b64 exec, exec, s[78:79]
	v_cmp_gt_u32_e64 s[12:13], 48, v4
	s_and_saveexec_b64 s[78:79], s[12:13]
	s_cbranch_execz .LBB7_221
.LBB7_1122:
	v_lshlrev_b32_e32 v27, 2, v22
	v_lshl_add_u32 v27, v24, 2, v27
	ds_read_b32 v27, v27 offset:3392
	ds_read_b32 v28, v26 offset:52
	s_waitcnt lgkmcnt(0)
	v_fmac_f32_e32 v23, v27, v28
	s_or_b64 exec, exec, s[78:79]
	v_cmp_gt_u32_e64 s[12:13], 32, v4
	s_and_saveexec_b64 s[78:79], s[12:13]
	s_cbranch_execz .LBB7_222
.LBB7_1123:
	ds_read_b32 v27, v21 offset:3648
	ds_read_b32 v26, v26 offset:56
	s_waitcnt lgkmcnt(0)
	v_fmac_f32_e32 v23, v27, v26
	s_or_b64 exec, exec, s[78:79]
	v_cmp_gt_u32_e64 s[12:13], 16, v4
	s_and_saveexec_b64 s[78:79], s[12:13]
	s_cbranch_execnz .LBB7_223
	s_branch .LBB7_224
.LBB7_1124:
	v_lshlrev_b32_e32 v28, 2, v15
	v_sub_u32_e32 v28, v27, v28
	v_lshl_add_u32 v28, v14, 2, v28
	ds_read_b32 v28, v28 offset:4432
	ds_read_b32 v29, v27 offset:4164
	s_waitcnt lgkmcnt(0)
	v_fmac_f32_e32 v26, v28, v29
	s_or_b64 exec, exec, s[16:17]
	v_cmp_gt_u32_e64 s[10:11], 8, v4
	s_and_saveexec_b64 s[16:17], s[10:11]
	s_cbranch_execz .LBB7_308
.LBB7_1125:
	ds_read_b32 v28, v11 offset:4688
	ds_read_b32 v27, v27 offset:4168
	s_waitcnt lgkmcnt(0)
	v_fmac_f32_e32 v26, v28, v27
	s_or_b64 exec, exec, s[16:17]
	v_cmp_gt_u32_e64 s[10:11], 4, v4
	s_and_saveexec_b64 s[16:17], s[10:11]
	s_cbranch_execnz .LBB7_309
	s_branch .LBB7_310
.LBB7_1126:
	v_lshlrev_b32_e32 v28, 2, v20
	v_sub_u32_e32 v28, v27, v28
	v_lshl_add_u32 v28, v19, 2, v28
	ds_read_b32 v28, v28 offset:4448
	ds_read_b32 v29, v27 offset:4164
	s_waitcnt lgkmcnt(0)
	v_fmac_f32_e32 v26, v28, v29
	s_or_b64 exec, exec, s[16:17]
	v_cmp_gt_u32_e64 s[10:11], 48, v4
	s_and_saveexec_b64 s[16:17], s[10:11]
	s_cbranch_execz .LBB7_346
.LBB7_1127:
	v_lshlrev_b32_e32 v28, 2, v20
	v_sub_u32_e32 v28, v27, v28
	v_lshl_add_u32 v28, v19, 2, v28
	ds_read_b32 v28, v28 offset:4704
	ds_read_b32 v29, v27 offset:4168
	s_waitcnt lgkmcnt(0)
	v_fmac_f32_e32 v26, v28, v29
	s_or_b64 exec, exec, s[16:17]
	v_cmp_gt_u32_e64 s[10:11], 40, v4
	s_and_saveexec_b64 s[16:17], s[10:11]
	s_cbranch_execz .LBB7_347
.LBB7_1128:
	v_lshlrev_b32_e32 v28, 2, v20
	v_sub_u32_e32 v28, v27, v28
	v_lshl_add_u32 v28, v19, 2, v28
	ds_read_b32 v28, v28 offset:4960
	ds_read_b32 v29, v27 offset:4172
	s_waitcnt lgkmcnt(0)
	v_fmac_f32_e32 v26, v28, v29
	s_or_b64 exec, exec, s[16:17]
	v_cmp_gt_u32_e64 s[10:11], 32, v4
	s_and_saveexec_b64 s[16:17], s[10:11]
	s_cbranch_execz .LBB7_348
.LBB7_1129:
	ds_read_b32 v28, v16 offset:5216
	ds_read_b32 v29, v27 offset:4176
	s_waitcnt lgkmcnt(0)
	v_fmac_f32_e32 v26, v28, v29
	s_or_b64 exec, exec, s[16:17]
	v_cmp_gt_u32_e64 s[10:11], 24, v4
	s_and_saveexec_b64 s[16:17], s[10:11]
	s_cbranch_execz .LBB7_349
.LBB7_1130:
	v_lshlrev_b32_e32 v28, 2, v20
	v_sub_u32_e32 v28, v27, v28
	v_lshl_add_u32 v28, v19, 2, v28
	ds_read_b32 v28, v28 offset:5472
	ds_read_b32 v29, v27 offset:4180
	s_waitcnt lgkmcnt(0)
	v_fmac_f32_e32 v26, v28, v29
	s_or_b64 exec, exec, s[16:17]
	v_cmp_gt_u32_e64 s[10:11], 16, v4
	s_and_saveexec_b64 s[16:17], s[10:11]
	s_cbranch_execz .LBB7_350
.LBB7_1131:
	ds_read_b32 v28, v16 offset:5728
	ds_read_b32 v27, v27 offset:4184
	s_waitcnt lgkmcnt(0)
	v_fmac_f32_e32 v26, v28, v27
	s_or_b64 exec, exec, s[16:17]
	v_cmp_gt_u32_e64 s[10:11], 8, v4
	s_and_saveexec_b64 s[16:17], s[10:11]
	s_cbranch_execnz .LBB7_351
	s_branch .LBB7_352
.LBB7_1132:
	v_lshlrev_b32_e32 v28, 2, v15
	v_sub_u32_e32 v28, v27, v28
	v_lshl_add_u32 v28, v14, 2, v28
	ds_read_b32 v28, v28 offset:6512
	ds_read_b32 v29, v27 offset:6244
	s_waitcnt lgkmcnt(0)
	v_fmac_f32_e32 v26, v28, v29
	s_or_b64 exec, exec, s[16:17]
	v_cmp_gt_u32_e64 s[10:11], 8, v4
	s_and_saveexec_b64 s[16:17], s[10:11]
	s_cbranch_execz .LBB7_404
.LBB7_1133:
	ds_read_b32 v28, v11 offset:6768
	ds_read_b32 v27, v27 offset:6248
	s_waitcnt lgkmcnt(0)
	v_fmac_f32_e32 v26, v28, v27
	s_or_b64 exec, exec, s[16:17]
	v_cmp_gt_u32_e64 s[10:11], 4, v4
	s_and_saveexec_b64 s[16:17], s[10:11]
	s_cbranch_execnz .LBB7_405
	s_branch .LBB7_406
.LBB7_1134:
	ds_read_b32 v32, v26 offset:7552
	ds_read_b32 v33, v31 offset:116
	s_waitcnt lgkmcnt(0)
	v_fmac_f32_e32 v29, v32, v33
	s_or_b64 exec, exec, s[88:89]
	v_cmp_gt_u32_e64 s[16:17], 64, v4
	s_and_saveexec_b64 s[88:89], s[16:17]
	s_cbranch_execz .LBB7_498
.LBB7_1135:
	ds_read_b32 v32, v26 offset:7808
	ds_read_b32 v31, v31 offset:120
	s_waitcnt lgkmcnt(0)
	v_fmac_f32_e32 v29, v32, v31
	s_or_b64 exec, exec, s[88:89]
	v_cmp_gt_u32_e64 s[16:17], 32, v4
	s_and_saveexec_b64 s[88:89], s[16:17]
	s_cbranch_execnz .LBB7_499
	s_branch .LBB7_500
.LBB7_1136:
	v_lshlrev_b32_e32 v28, 2, v15
	v_sub_u32_e32 v28, v27, v28
	v_lshl_add_u32 v28, v14, 2, v28
	ds_read_b32 v28, v28 offset:8592
	ds_read_b32 v29, v27 offset:8324
	s_waitcnt lgkmcnt(0)
	v_fmac_f32_e32 v26, v28, v29
	s_or_b64 exec, exec, s[16:17]
	v_cmp_gt_u32_e64 s[10:11], 8, v4
	s_and_saveexec_b64 s[16:17], s[10:11]
	s_cbranch_execz .LBB7_648
.LBB7_1137:
	ds_read_b32 v28, v11 offset:8848
	ds_read_b32 v27, v27 offset:8328
	s_waitcnt lgkmcnt(0)
	v_fmac_f32_e32 v26, v28, v27
	s_or_b64 exec, exec, s[16:17]
	v_cmp_gt_u32_e64 s[10:11], 4, v4
	s_and_saveexec_b64 s[16:17], s[10:11]
	s_cbranch_execnz .LBB7_649
	s_branch .LBB7_650
.LBB7_1138:
	v_lshlrev_b32_e32 v28, 2, v20
	v_sub_u32_e32 v28, v27, v28
	v_lshl_add_u32 v28, v19, 2, v28
	ds_read_b32 v28, v28 offset:8608
	ds_read_b32 v29, v27 offset:8324
	s_waitcnt lgkmcnt(0)
	v_fmac_f32_e32 v26, v28, v29
	s_or_b64 exec, exec, s[16:17]
	v_cmp_gt_u32_e64 s[10:11], 48, v4
	s_and_saveexec_b64 s[16:17], s[10:11]
	s_cbranch_execz .LBB7_686
.LBB7_1139:
	v_lshlrev_b32_e32 v28, 2, v20
	v_sub_u32_e32 v28, v27, v28
	v_lshl_add_u32 v28, v19, 2, v28
	ds_read_b32 v28, v28 offset:8864
	ds_read_b32 v29, v27 offset:8328
	s_waitcnt lgkmcnt(0)
	v_fmac_f32_e32 v26, v28, v29
	s_or_b64 exec, exec, s[16:17]
	v_cmp_gt_u32_e64 s[10:11], 40, v4
	s_and_saveexec_b64 s[16:17], s[10:11]
	s_cbranch_execz .LBB7_687
.LBB7_1140:
	v_lshlrev_b32_e32 v28, 2, v20
	v_sub_u32_e32 v28, v27, v28
	v_lshl_add_u32 v28, v19, 2, v28
	ds_read_b32 v28, v28 offset:9120
	ds_read_b32 v29, v27 offset:8332
	s_waitcnt lgkmcnt(0)
	v_fmac_f32_e32 v26, v28, v29
	s_or_b64 exec, exec, s[16:17]
	v_cmp_gt_u32_e64 s[10:11], 32, v4
	s_and_saveexec_b64 s[16:17], s[10:11]
	s_cbranch_execz .LBB7_688
.LBB7_1141:
	ds_read_b32 v28, v16 offset:9376
	ds_read_b32 v29, v27 offset:8336
	s_waitcnt lgkmcnt(0)
	v_fmac_f32_e32 v26, v28, v29
	s_or_b64 exec, exec, s[16:17]
	v_cmp_gt_u32_e64 s[10:11], 24, v4
	s_and_saveexec_b64 s[16:17], s[10:11]
	s_cbranch_execz .LBB7_689
.LBB7_1142:
	v_lshlrev_b32_e32 v28, 2, v20
	v_sub_u32_e32 v28, v27, v28
	v_lshl_add_u32 v28, v19, 2, v28
	ds_read_b32 v28, v28 offset:9632
	ds_read_b32 v29, v27 offset:8340
	s_waitcnt lgkmcnt(0)
	v_fmac_f32_e32 v26, v28, v29
	s_or_b64 exec, exec, s[16:17]
	v_cmp_gt_u32_e64 s[10:11], 16, v4
	s_and_saveexec_b64 s[16:17], s[10:11]
	s_cbranch_execz .LBB7_690
.LBB7_1143:
	ds_read_b32 v28, v16 offset:9888
	ds_read_b32 v27, v27 offset:8344
	s_waitcnt lgkmcnt(0)
	v_fmac_f32_e32 v26, v28, v27
	s_or_b64 exec, exec, s[16:17]
	v_cmp_gt_u32_e64 s[10:11], 8, v4
	s_and_saveexec_b64 s[16:17], s[10:11]
	s_cbranch_execnz .LBB7_691
	s_branch .LBB7_692
.LBB7_1144:
	v_lshlrev_b32_e32 v28, 2, v15
	v_sub_u32_e32 v28, v27, v28
	v_lshl_add_u32 v28, v14, 2, v28
	ds_read_b32 v28, v28 offset:10672
	ds_read_b32 v29, v27 offset:10404
	s_waitcnt lgkmcnt(0)
	v_fmac_f32_e32 v26, v28, v29
	s_or_b64 exec, exec, s[16:17]
	v_cmp_gt_u32_e64 s[10:11], 8, v4
	s_and_saveexec_b64 s[16:17], s[10:11]
	s_cbranch_execz .LBB7_744
.LBB7_1145:
	ds_read_b32 v28, v11 offset:10928
	ds_read_b32 v27, v27 offset:10408
	s_waitcnt lgkmcnt(0)
	v_fmac_f32_e32 v26, v28, v27
	s_or_b64 exec, exec, s[16:17]
	v_cmp_gt_u32_e64 s[10:11], 4, v4
	s_and_saveexec_b64 s[16:17], s[10:11]
	s_cbranch_execnz .LBB7_745
	s_branch .LBB7_746
.LBB7_1146:
	v_lshlrev_b32_e32 v25, 2, v22
	v_lshl_add_u32 v25, v24, 2, v25
	ds_read_b32 v25, v25 offset:11200
	ds_read_b32 v28, v27 offset:8364
	s_waitcnt lgkmcnt(0)
	v_fmac_f32_e32 v26, v25, v28
	s_or_b64 exec, exec, s[16:17]
	v_cmp_gt_u32_e64 s[10:11], 64, v4
	s_and_saveexec_b64 s[16:17], s[10:11]
	s_cbranch_execz .LBB7_802
.LBB7_1147:
	ds_read_b32 v25, v21 offset:11456
	ds_read_b32 v28, v27 offset:8368
	s_waitcnt lgkmcnt(0)
	v_fmac_f32_e32 v26, v25, v28
	s_or_b64 exec, exec, s[16:17]
	v_cmp_gt_u32_e64 s[10:11], 48, v4
	s_and_saveexec_b64 s[16:17], s[10:11]
	s_cbranch_execz .LBB7_803
.LBB7_1148:
	v_lshlrev_b32_e32 v25, 2, v22
	v_lshl_add_u32 v24, v24, 2, v25
	ds_read_b32 v24, v24 offset:11712
	ds_read_b32 v25, v27 offset:8372
	s_waitcnt lgkmcnt(0)
	v_fmac_f32_e32 v26, v24, v25
	s_or_b64 exec, exec, s[16:17]
	v_cmp_gt_u32_e64 s[10:11], 32, v4
	s_and_saveexec_b64 s[16:17], s[10:11]
	s_cbranch_execz .LBB7_804
.LBB7_1149:
	ds_read_b32 v24, v21 offset:11968
	ds_read_b32 v25, v27 offset:8376
	s_waitcnt lgkmcnt(0)
	v_fmac_f32_e32 v26, v24, v25
	s_or_b64 exec, exec, s[16:17]
	v_cmp_gt_u32_e64 s[10:11], 16, v4
	s_and_saveexec_b64 s[16:17], s[10:11]
	s_cbranch_execnz .LBB7_805
	s_branch .LBB7_806
.LBB7_1150:
	v_lshlrev_b32_e32 v23, 2, v15
	v_sub_u32_e32 v23, v22, v23
	v_lshl_add_u32 v23, v14, 2, v23
	ds_read_b32 v23, v23 offset:12752
	ds_read_b32 v24, v22 offset:12484
	s_waitcnt lgkmcnt(0)
	v_fmac_f32_e32 v21, v23, v24
	s_or_b64 exec, exec, s[12:13]
	v_cmp_gt_u32_e64 s[8:9], 8, v4
	s_and_saveexec_b64 s[12:13], s[8:9]
	s_cbranch_execz .LBB7_890
.LBB7_1151:
	ds_read_b32 v23, v11 offset:13008
	ds_read_b32 v22, v22 offset:12488
	s_waitcnt lgkmcnt(0)
	v_fmac_f32_e32 v21, v23, v22
	s_or_b64 exec, exec, s[12:13]
	v_cmp_gt_u32_e64 s[8:9], 4, v4
	s_and_saveexec_b64 s[12:13], s[8:9]
	s_cbranch_execnz .LBB7_891
	s_branch .LBB7_892
.LBB7_1152:
	v_lshlrev_b32_e32 v23, 2, v20
	v_sub_u32_e32 v23, v22, v23
	v_lshl_add_u32 v23, v19, 2, v23
	ds_read_b32 v23, v23 offset:12768
	ds_read_b32 v24, v22 offset:12484
	s_waitcnt lgkmcnt(0)
	v_fmac_f32_e32 v21, v23, v24
	s_or_b64 exec, exec, s[12:13]
	v_cmp_gt_u32_e64 s[8:9], 48, v4
	s_and_saveexec_b64 s[12:13], s[8:9]
	s_cbranch_execz .LBB7_928
.LBB7_1153:
	v_lshlrev_b32_e32 v23, 2, v20
	v_sub_u32_e32 v23, v22, v23
	v_lshl_add_u32 v23, v19, 2, v23
	ds_read_b32 v23, v23 offset:13024
	ds_read_b32 v24, v22 offset:12488
	s_waitcnt lgkmcnt(0)
	v_fmac_f32_e32 v21, v23, v24
	s_or_b64 exec, exec, s[12:13]
	v_cmp_gt_u32_e64 s[8:9], 40, v4
	s_and_saveexec_b64 s[12:13], s[8:9]
	s_cbranch_execz .LBB7_929
.LBB7_1154:
	v_lshlrev_b32_e32 v23, 2, v20
	v_sub_u32_e32 v23, v22, v23
	v_lshl_add_u32 v23, v19, 2, v23
	ds_read_b32 v23, v23 offset:13280
	ds_read_b32 v24, v22 offset:12492
	s_waitcnt lgkmcnt(0)
	v_fmac_f32_e32 v21, v23, v24
	s_or_b64 exec, exec, s[12:13]
	v_cmp_gt_u32_e64 s[8:9], 32, v4
	s_and_saveexec_b64 s[12:13], s[8:9]
	s_cbranch_execz .LBB7_930
.LBB7_1155:
	ds_read_b32 v23, v16 offset:13536
	ds_read_b32 v24, v22 offset:12496
	s_waitcnt lgkmcnt(0)
	v_fmac_f32_e32 v21, v23, v24
	s_or_b64 exec, exec, s[12:13]
	v_cmp_gt_u32_e64 s[8:9], 24, v4
	s_and_saveexec_b64 s[12:13], s[8:9]
	s_cbranch_execz .LBB7_931
.LBB7_1156:
	v_lshlrev_b32_e32 v20, 2, v20
	v_sub_u32_e32 v20, v22, v20
	v_lshl_add_u32 v19, v19, 2, v20
	ds_read_b32 v19, v19 offset:13792
	ds_read_b32 v20, v22 offset:12500
	s_waitcnt lgkmcnt(0)
	v_fmac_f32_e32 v21, v19, v20
	s_or_b64 exec, exec, s[12:13]
	v_cmp_gt_u32_e64 s[8:9], 16, v4
	s_and_saveexec_b64 s[12:13], s[8:9]
	s_cbranch_execz .LBB7_932
.LBB7_1157:
	ds_read_b32 v19, v16 offset:14048
	ds_read_b32 v20, v22 offset:12504
	s_waitcnt lgkmcnt(0)
	v_fmac_f32_e32 v21, v19, v20
	s_or_b64 exec, exec, s[12:13]
	v_cmp_gt_u32_e64 s[8:9], 8, v4
	s_and_saveexec_b64 s[12:13], s[8:9]
	s_cbranch_execnz .LBB7_933
	s_branch .LBB7_934
.LBB7_1158:
	v_lshlrev_b32_e32 v15, 2, v15
	v_sub_u32_e32 v15, v17, v15
	v_lshl_add_u32 v14, v14, 2, v15
	ds_read_b32 v14, v14 offset:14832
	ds_read_b32 v15, v17 offset:14564
	s_waitcnt lgkmcnt(0)
	v_fmac_f32_e32 v16, v14, v15
	s_or_b64 exec, exec, s[12:13]
	v_cmp_gt_u32_e64 s[8:9], 8, v4
	s_and_saveexec_b64 s[12:13], s[8:9]
	s_cbranch_execz .LBB7_986
.LBB7_1159:
	ds_read_b32 v14, v11 offset:15088
	ds_read_b32 v15, v17 offset:14568
	s_waitcnt lgkmcnt(0)
	v_fmac_f32_e32 v16, v14, v15
	s_or_b64 exec, exec, s[12:13]
	v_cmp_gt_u32_e64 s[8:9], 4, v4
	s_and_saveexec_b64 s[12:13], s[8:9]
	s_cbranch_execnz .LBB7_987
	s_branch .LBB7_988
	.section	.rodata,"a",@progbits
	.p2align	6, 0x0
	.amdhsa_kernel _ZL19rocblas_trsv_deviceILi64ELi16ELb1ELb0ELb0ELb1EfPKfS1_PfEviT7_lllT6_T8_lllPii
		.amdhsa_group_segment_fixed_size 20740
		.amdhsa_private_segment_fixed_size 0
		.amdhsa_kernarg_size 352
		.amdhsa_user_sgpr_count 6
		.amdhsa_user_sgpr_private_segment_buffer 1
		.amdhsa_user_sgpr_dispatch_ptr 0
		.amdhsa_user_sgpr_queue_ptr 0
		.amdhsa_user_sgpr_kernarg_segment_ptr 1
		.amdhsa_user_sgpr_dispatch_id 0
		.amdhsa_user_sgpr_flat_scratch_init 0
		.amdhsa_user_sgpr_private_segment_size 0
		.amdhsa_uses_dynamic_stack 0
		.amdhsa_system_sgpr_private_segment_wavefront_offset 0
		.amdhsa_system_sgpr_workgroup_id_x 1
		.amdhsa_system_sgpr_workgroup_id_y 0
		.amdhsa_system_sgpr_workgroup_id_z 1
		.amdhsa_system_sgpr_workgroup_info 0
		.amdhsa_system_vgpr_workitem_id 1
		.amdhsa_next_free_vgpr 35
		.amdhsa_next_free_sgpr 96
		.amdhsa_reserve_vcc 1
		.amdhsa_reserve_flat_scratch 0
		.amdhsa_float_round_mode_32 0
		.amdhsa_float_round_mode_16_64 0
		.amdhsa_float_denorm_mode_32 3
		.amdhsa_float_denorm_mode_16_64 3
		.amdhsa_dx10_clamp 1
		.amdhsa_ieee_mode 1
		.amdhsa_fp16_overflow 0
		.amdhsa_exception_fp_ieee_invalid_op 0
		.amdhsa_exception_fp_denorm_src 0
		.amdhsa_exception_fp_ieee_div_zero 0
		.amdhsa_exception_fp_ieee_overflow 0
		.amdhsa_exception_fp_ieee_underflow 0
		.amdhsa_exception_fp_ieee_inexact 0
		.amdhsa_exception_int_div_zero 0
	.end_amdhsa_kernel
	.section	.text._ZL19rocblas_trsv_deviceILi64ELi16ELb1ELb0ELb0ELb1EfPKfS1_PfEviT7_lllT6_T8_lllPii,"axG",@progbits,_ZL19rocblas_trsv_deviceILi64ELi16ELb1ELb0ELb0ELb1EfPKfS1_PfEviT7_lllT6_T8_lllPii,comdat
.Lfunc_end7:
	.size	_ZL19rocblas_trsv_deviceILi64ELi16ELb1ELb0ELb0ELb1EfPKfS1_PfEviT7_lllT6_T8_lllPii, .Lfunc_end7-_ZL19rocblas_trsv_deviceILi64ELi16ELb1ELb0ELb0ELb1EfPKfS1_PfEviT7_lllT6_T8_lllPii
                                        ; -- End function
	.set _ZL19rocblas_trsv_deviceILi64ELi16ELb1ELb0ELb0ELb1EfPKfS1_PfEviT7_lllT6_T8_lllPii.num_vgpr, 35
	.set _ZL19rocblas_trsv_deviceILi64ELi16ELb1ELb0ELb0ELb1EfPKfS1_PfEviT7_lllT6_T8_lllPii.num_agpr, 0
	.set _ZL19rocblas_trsv_deviceILi64ELi16ELb1ELb0ELb0ELb1EfPKfS1_PfEviT7_lllT6_T8_lllPii.numbered_sgpr, 96
	.set _ZL19rocblas_trsv_deviceILi64ELi16ELb1ELb0ELb0ELb1EfPKfS1_PfEviT7_lllT6_T8_lllPii.num_named_barrier, 0
	.set _ZL19rocblas_trsv_deviceILi64ELi16ELb1ELb0ELb0ELb1EfPKfS1_PfEviT7_lllT6_T8_lllPii.private_seg_size, 0
	.set _ZL19rocblas_trsv_deviceILi64ELi16ELb1ELb0ELb0ELb1EfPKfS1_PfEviT7_lllT6_T8_lllPii.uses_vcc, 1
	.set _ZL19rocblas_trsv_deviceILi64ELi16ELb1ELb0ELb0ELb1EfPKfS1_PfEviT7_lllT6_T8_lllPii.uses_flat_scratch, 0
	.set _ZL19rocblas_trsv_deviceILi64ELi16ELb1ELb0ELb0ELb1EfPKfS1_PfEviT7_lllT6_T8_lllPii.has_dyn_sized_stack, 0
	.set _ZL19rocblas_trsv_deviceILi64ELi16ELb1ELb0ELb0ELb1EfPKfS1_PfEviT7_lllT6_T8_lllPii.has_recursion, 0
	.set _ZL19rocblas_trsv_deviceILi64ELi16ELb1ELb0ELb0ELb1EfPKfS1_PfEviT7_lllT6_T8_lllPii.has_indirect_call, 0
	.section	.AMDGPU.csdata,"",@progbits
; Kernel info:
; codeLenInByte = 28664
; TotalNumSgprs: 100
; NumVgprs: 35
; ScratchSize: 0
; MemoryBound: 0
; FloatMode: 240
; IeeeMode: 1
; LDSByteSize: 20740 bytes/workgroup (compile time only)
; SGPRBlocks: 12
; VGPRBlocks: 8
; NumSGPRsForWavesPerEU: 100
; NumVGPRsForWavesPerEU: 35
; Occupancy: 7
; WaveLimiterHint : 0
; COMPUTE_PGM_RSRC2:SCRATCH_EN: 0
; COMPUTE_PGM_RSRC2:USER_SGPR: 6
; COMPUTE_PGM_RSRC2:TRAP_HANDLER: 0
; COMPUTE_PGM_RSRC2:TGID_X_EN: 1
; COMPUTE_PGM_RSRC2:TGID_Y_EN: 0
; COMPUTE_PGM_RSRC2:TGID_Z_EN: 1
; COMPUTE_PGM_RSRC2:TIDIG_COMP_CNT: 1
	.section	.text._ZL19rocblas_trsv_deviceILi64ELi16ELb1ELb1ELb0ELb1EfPKfS1_PfEviT7_lllT6_T8_lllPii,"axG",@progbits,_ZL19rocblas_trsv_deviceILi64ELi16ELb1ELb1ELb0ELb1EfPKfS1_PfEviT7_lllT6_T8_lllPii,comdat
	.globl	_ZL19rocblas_trsv_deviceILi64ELi16ELb1ELb1ELb0ELb1EfPKfS1_PfEviT7_lllT6_T8_lllPii ; -- Begin function _ZL19rocblas_trsv_deviceILi64ELi16ELb1ELb1ELb0ELb1EfPKfS1_PfEviT7_lllT6_T8_lllPii
	.p2align	8
	.type	_ZL19rocblas_trsv_deviceILi64ELi16ELb1ELb1ELb0ELb1EfPKfS1_PfEviT7_lllT6_T8_lllPii,@function
_ZL19rocblas_trsv_deviceILi64ELi16ELb1ELb1ELb0ELb1EfPKfS1_PfEviT7_lllT6_T8_lllPii: ; @_ZL19rocblas_trsv_deviceILi64ELi16ELb1ELb1ELb0ELb1EfPKfS1_PfEviT7_lllT6_T8_lllPii
; %bb.0:
	s_load_dwordx16 s[36:51], s[4:5], 0x8
	s_load_dword s24, s[4:5], 0x0
	s_mov_b32 s22, s7
	s_mov_b32 s23, 0
	s_waitcnt lgkmcnt(0)
	s_mul_i32 s0, s43, s7
	s_mul_hi_u32 s1, s42, s7
	s_add_i32 s1, s1, s0
	s_mul_i32 s0, s42, s7
	s_load_dword s7, s[4:5], 0x60
	s_lshl_b64 s[0:1], s[0:1], 2
	s_add_u32 s2, s36, s0
	s_addc_u32 s3, s37, s1
	s_lshl_b64 s[0:1], s[38:39], 2
	s_load_dword s18, s[44:45], 0x0
	s_load_dword s93, s[4:5], 0x6c
	s_add_u32 s91, s2, s0
	s_addc_u32 s92, s3, s1
	s_waitcnt lgkmcnt(0)
	s_add_i32 s7, s7, -1
	s_sub_i32 s33, s7, s6
	s_cmp_eq_u32 s6, 0
	s_cbranch_scc1 .LBB8_10
; %bb.1:
	s_lshl_b32 s2, s33, 6
	v_add_u32_e32 v6, s2, v0
	v_ashrrev_i32_e32 v2, 31, v6
	v_mul_lo_u32 v7, s40, v2
	v_mul_lo_u32 v8, s41, v6
	v_mad_u64_u32 v[4:5], s[0:1], s40, v6, 0
	v_add3_u32 v2, v1, s2, 64
	v_ashrrev_i32_e32 v3, 31, v2
	v_add3_u32 v5, v5, v7, v8
	v_lshlrev_b64 v[4:5], 2, v[4:5]
	v_cmp_gt_i32_e32 vcc, s24, v6
	v_mov_b32_e32 v6, s92
	v_add_co_u32_e64 v7, s[0:1], s91, v4
	v_lshlrev_b64 v[3:4], 2, v[2:3]
	v_addc_co_u32_e64 v5, s[0:1], v6, v5, s[0:1]
	v_add_co_u32_e64 v3, s[0:1], v7, v3
	v_addc_co_u32_e64 v4, s[0:1], v5, v4, s[0:1]
	v_cmp_gt_i32_e64 s[0:1], s24, v2
	s_and_b64 s[2:3], s[0:1], vcc
	v_mov_b32_e32 v6, 0
	v_mov_b32_e32 v7, 0
	s_barrier
	s_and_saveexec_b64 s[0:1], s[2:3]
	s_cbranch_execz .LBB8_3
; %bb.2:
	global_load_dword v7, v[3:4], off
.LBB8_3:
	s_or_b64 exec, exec, s[0:1]
	v_add_u32_e32 v5, 16, v2
	v_cmp_gt_i32_e64 s[0:1], s24, v5
	s_and_b64 s[2:3], s[0:1], vcc
	s_waitcnt vmcnt(0)
	s_barrier
	s_and_saveexec_b64 s[0:1], s[2:3]
	s_cbranch_execz .LBB8_5
; %bb.4:
	global_load_dword v6, v[3:4], off offset:64
.LBB8_5:
	s_or_b64 exec, exec, s[0:1]
	v_add_u32_e32 v5, 32, v2
	v_cmp_gt_i32_e64 s[0:1], s24, v5
	s_and_b64 s[2:3], s[0:1], vcc
	v_mov_b32_e32 v8, 0
	v_mov_b32_e32 v9, 0
	s_waitcnt vmcnt(0)
	s_barrier
	s_and_saveexec_b64 s[0:1], s[2:3]
	s_cbranch_execz .LBB8_7
; %bb.6:
	global_load_dword v9, v[3:4], off offset:128
.LBB8_7:
	s_or_b64 exec, exec, s[0:1]
	v_add_u32_e32 v2, 48, v2
	v_cmp_gt_i32_e64 s[0:1], s24, v2
	s_and_b64 s[2:3], s[0:1], vcc
	s_waitcnt vmcnt(0)
	s_barrier
	s_and_saveexec_b64 s[0:1], s[2:3]
	s_cbranch_execz .LBB8_9
; %bb.8:
	global_load_dword v8, v[3:4], off offset:192
.LBB8_9:
	s_or_b64 exec, exec, s[0:1]
	s_branch .LBB8_11
.LBB8_10:
                                        ; implicit-def: $vgpr8
                                        ; implicit-def: $vgpr9
                                        ; implicit-def: $vgpr6
                                        ; implicit-def: $vgpr7
.LBB8_11:
	s_ashr_i32 s25, s24, 31
	s_lshr_b32 s0, s25, 26
	s_add_i32 s0, s24, s0
	s_andn2_b32 s0, s0, 63
	s_sub_i32 s90, s24, s0
	s_add_i32 s0, s24, -1
	s_ashr_i32 s1, s0, 31
	s_lshr_b32 s1, s1, 26
	s_add_i32 s0, s0, s1
	s_ashr_i32 s0, s0, 6
	s_cmp_eq_u32 s0, s33
	s_cselect_b64 s[0:1], -1, 0
	s_cmp_lg_u32 s90, 0
	s_cselect_b64 s[2:3], -1, 0
	s_and_b64 s[26:27], s[2:3], s[0:1]
	s_cmp_lt_i32 s6, 5
	s_cselect_b64 s[2:3], -1, 0
	s_mov_b64 s[12:13], -1
	s_or_b64 s[0:1], s[2:3], s[26:27]
	v_lshlrev_b32_e32 v4, 6, v0
	s_and_b64 vcc, exec, s[26:27]
	v_cmp_le_u32_e64 s[8:9], v0, v1
	s_cbranch_vccnz .LBB8_27
; %bb.12:
	s_add_u32 s10, s40, 1
	s_addc_u32 s11, s41, 0
	s_lshl_b32 s12, s33, 6
	s_ashr_i32 s13, s12, 31
	s_mul_hi_u32 s14, s10, s12
	s_mul_i32 s13, s10, s13
	s_add_i32 s13, s14, s13
	s_mul_i32 s11, s11, s12
	s_add_i32 s11, s13, s11
	s_mul_i32 s10, s10, s12
	s_lshl_b64 s[10:11], s[10:11], 2
	s_add_u32 s10, s91, s10
	s_addc_u32 s11, s92, s11
	v_lshlrev_b32_e32 v2, 2, v0
	v_mov_b32_e32 v3, s11
	v_add_co_u32_e32 v2, vcc, s10, v2
	v_mov_b32_e32 v5, 0
	v_addc_co_u32_e32 v3, vcc, 0, v3, vcc
	s_mov_b64 s[10:11], 0
	s_and_saveexec_b64 s[12:13], s[8:9]
	s_xor_b64 s[8:9], exec, s[12:13]
	s_cbranch_execnz .LBB8_1154
; %bb.13:
	s_andn2_saveexec_b64 s[8:9], s[8:9]
	s_cbranch_execnz .LBB8_1155
.LBB8_14:
	s_or_b64 exec, exec, s[8:9]
	s_and_saveexec_b64 s[8:9], s[10:11]
.LBB8_15:
	v_add_u32_e32 v10, v1, v4
	v_lshl_add_u32 v11, v1, 6, v0
	v_cndmask_b32_e64 v10, v11, v10, s[2:3]
	v_lshlrev_b32_e32 v10, 2, v10
	ds_write_b32 v10, v5
.LBB8_16:
	s_or_b64 exec, exec, s[8:9]
	v_add_u32_e32 v5, 16, v1
	v_cmp_le_u32_e32 vcc, v0, v5
	s_mov_b64 s[2:3], 0
	s_and_saveexec_b64 s[8:9], vcc
	s_xor_b64 s[8:9], exec, s[8:9]
	s_cbranch_execnz .LBB8_1156
; %bb.17:
	s_or_saveexec_b64 s[8:9], s[8:9]
	v_mov_b32_e32 v10, 0
	s_xor_b64 exec, exec, s[8:9]
	s_cbranch_execnz .LBB8_1157
.LBB8_18:
	s_or_b64 exec, exec, s[8:9]
	s_and_saveexec_b64 s[8:9], s[2:3]
.LBB8_19:
	v_add_u32_e32 v11, v5, v4
	v_lshl_add_u32 v5, v5, 6, v0
	v_cndmask_b32_e64 v5, v5, v11, s[0:1]
	v_lshlrev_b32_e32 v5, 2, v5
	ds_write_b32 v5, v10
.LBB8_20:
	s_or_b64 exec, exec, s[8:9]
	v_add_u32_e32 v5, 32, v1
	v_cmp_le_u32_e32 vcc, v0, v5
	s_mov_b64 s[2:3], 0
	s_and_saveexec_b64 s[8:9], vcc
	s_xor_b64 s[8:9], exec, s[8:9]
	s_cbranch_execnz .LBB8_1158
; %bb.21:
	s_or_saveexec_b64 s[8:9], s[8:9]
	v_mov_b32_e32 v10, 0
	s_xor_b64 exec, exec, s[8:9]
	s_cbranch_execnz .LBB8_1159
.LBB8_22:
	s_or_b64 exec, exec, s[8:9]
	s_and_saveexec_b64 s[8:9], s[2:3]
.LBB8_23:
	v_add_u32_e32 v11, v5, v4
	v_lshl_add_u32 v5, v5, 6, v0
	v_cndmask_b32_e64 v5, v5, v11, s[0:1]
	v_lshlrev_b32_e32 v5, 2, v5
	ds_write_b32 v5, v10
.LBB8_24:
	s_or_b64 exec, exec, s[8:9]
	v_add_u32_e32 v5, 48, v1
	v_add_u32_e32 v10, v5, v4
	v_lshl_add_u32 v11, v5, 6, v0
	v_cmp_le_u32_e32 vcc, v0, v5
	s_mov_b64 s[2:3], -1
	s_mov_b64 s[12:13], 0
	s_mov_b64 s[10:11], 0
	s_and_saveexec_b64 s[8:9], vcc
	s_xor_b64 s[8:9], exec, s[8:9]
; %bb.25:
	v_or_b32_e32 v12, v5, v0
	v_cmp_gt_u32_e32 vcc, 64, v12
	s_and_b64 s[10:11], vcc, exec
	s_xor_b64 s[2:3], exec, -1
; %bb.26:
	s_or_b64 exec, exec, s[8:9]
	v_cndmask_b32_e64 v10, v11, v10, s[0:1]
	s_and_b64 vcc, exec, s[12:13]
	s_cbranch_vccnz .LBB8_28
	s_branch .LBB8_43
.LBB8_27:
	s_mov_b64 s[2:3], 0
	s_mov_b64 s[10:11], 0
                                        ; implicit-def: $vgpr10
                                        ; implicit-def: $vgpr2_vgpr3
                                        ; implicit-def: $vgpr5
	s_and_b64 vcc, exec, s[12:13]
	s_cbranch_vccz .LBB8_43
.LBB8_28:
	s_add_u32 s2, s40, 1
	s_addc_u32 s3, s41, 0
	s_lshl_b32 s8, s33, 6
	s_ashr_i32 s9, s8, 31
	s_mul_hi_u32 s12, s2, s8
	s_mul_i32 s9, s2, s9
	s_add_i32 s9, s12, s9
	s_mul_i32 s3, s3, s8
	s_add_i32 s3, s9, s3
	s_mul_i32 s2, s2, s8
	s_lshl_b64 s[2:3], s[2:3], 2
	s_add_u32 s2, s91, s2
	s_addc_u32 s3, s92, s3
	v_lshlrev_b32_e32 v2, 2, v0
	v_mov_b32_e32 v3, s3
	v_add_co_u32_e64 v2, s[2:3], s2, v2
	v_addc_co_u32_e64 v3, s[2:3], 0, v3, s[2:3]
	v_max_i32_e32 v10, v1, v0
	v_cmp_le_u32_e64 s[2:3], v0, v1
	v_cmp_le_i32_e64 s[8:9], s90, v10
	v_cmp_gt_i32_e32 vcc, s90, v0
	v_mov_b32_e32 v5, 0
	s_or_b64 s[2:3], s[8:9], s[2:3]
	s_mov_b64 s[8:9], 0
	s_and_saveexec_b64 s[12:13], s[2:3]
	s_xor_b64 s[12:13], exec, s[12:13]
	s_cbranch_execnz .LBB8_1160
; %bb.29:
	s_andn2_saveexec_b64 s[12:13], s[12:13]
	s_cbranch_execnz .LBB8_1161
.LBB8_30:
	s_or_b64 exec, exec, s[12:13]
	s_and_saveexec_b64 s[2:3], s[8:9]
.LBB8_31:
	v_lshlrev_b32_e32 v10, 2, v4
	v_lshl_add_u32 v10, v1, 2, v10
	ds_write_b32 v10, v5
.LBB8_32:
	s_or_b64 exec, exec, s[2:3]
	v_add_u32_e32 v5, 16, v1
	v_cmp_gt_u32_e64 s[2:3], v0, v5
	v_cmp_gt_i32_e64 s[8:9], s90, v5
	s_and_b64 s[2:3], s[2:3], s[8:9]
	s_and_b64 s[2:3], s[2:3], vcc
	s_xor_b64 s[2:3], s[2:3], -1
	s_mov_b64 s[8:9], 0
	s_and_saveexec_b64 s[12:13], s[2:3]
	s_xor_b64 s[12:13], exec, s[12:13]
	s_cbranch_execnz .LBB8_1162
; %bb.33:
	s_or_saveexec_b64 s[12:13], s[12:13]
	v_mov_b32_e32 v10, 0
	s_xor_b64 exec, exec, s[12:13]
	s_cbranch_execnz .LBB8_1163
.LBB8_34:
	s_or_b64 exec, exec, s[12:13]
	s_and_saveexec_b64 s[2:3], s[8:9]
.LBB8_35:
	v_add_u32_e32 v11, v5, v4
	v_lshl_add_u32 v5, v5, 6, v0
	v_cndmask_b32_e64 v5, v5, v11, s[0:1]
	v_lshlrev_b32_e32 v5, 2, v5
	ds_write_b32 v5, v10
.LBB8_36:
	s_or_b64 exec, exec, s[2:3]
	v_add_u32_e32 v5, 32, v1
	v_cmp_gt_u32_e64 s[2:3], v0, v5
	v_cmp_gt_i32_e64 s[8:9], s90, v5
	s_and_b64 s[2:3], s[2:3], s[8:9]
	s_and_b64 s[2:3], s[2:3], vcc
	s_xor_b64 s[2:3], s[2:3], -1
	s_mov_b64 s[8:9], 0
	s_and_saveexec_b64 s[12:13], s[2:3]
	s_xor_b64 s[12:13], exec, s[12:13]
	s_cbranch_execnz .LBB8_1164
; %bb.37:
	s_or_saveexec_b64 s[12:13], s[12:13]
	v_mov_b32_e32 v10, 0
	s_xor_b64 exec, exec, s[12:13]
	s_cbranch_execnz .LBB8_1165
.LBB8_38:
	s_or_b64 exec, exec, s[12:13]
	s_and_saveexec_b64 s[2:3], s[8:9]
.LBB8_39:
	v_add_u32_e32 v11, v5, v4
	v_lshl_add_u32 v5, v5, 6, v0
	v_cndmask_b32_e64 v5, v5, v11, s[0:1]
	v_lshlrev_b32_e32 v5, 2, v5
	ds_write_b32 v5, v10
.LBB8_40:
	s_or_b64 exec, exec, s[2:3]
	v_add_u32_e32 v5, 48, v1
	v_cmp_gt_u32_e64 s[2:3], v0, v5
	v_cmp_gt_i32_e64 s[8:9], s90, v5
	s_and_b64 s[2:3], s[2:3], s[8:9]
	s_and_b64 s[8:9], s[2:3], vcc
	v_add_u32_e32 v4, v5, v4
	v_lshl_add_u32 v10, v5, 6, v0
	s_mov_b64 s[2:3], -1
	s_xor_b64 s[12:13], s[8:9], -1
	s_and_saveexec_b64 s[8:9], s[12:13]
; %bb.41:
	v_or_b32_e32 v11, v5, v0
	v_cmp_gt_u32_e32 vcc, 64, v11
	s_andn2_b64 s[2:3], s[10:11], exec
	s_and_b64 s[10:11], vcc, exec
	s_or_b64 s[10:11], s[2:3], s[10:11]
	s_xor_b64 s[2:3], exec, -1
; %bb.42:
	s_or_b64 exec, exec, s[8:9]
	v_cndmask_b32_e64 v10, v10, v4, s[0:1]
.LBB8_43:
	v_mov_b32_e32 v4, 0
	s_and_saveexec_b64 s[8:9], s[2:3]
	s_cbranch_execnz .LBB8_1127
; %bb.44:
	s_or_b64 exec, exec, s[8:9]
	s_xor_b64 s[0:1], s[0:1], -1
	s_and_saveexec_b64 s[2:3], s[10:11]
.LBB8_45:
	v_lshlrev_b32_e32 v2, 2, v10
	ds_write_b32 v2, v4
.LBB8_46:
	s_or_b64 exec, exec, s[2:3]
	v_cndmask_b32_e64 v2, 0, 1, s[0:1]
	v_cmp_ne_u32_e64 s[38:39], 1, v2
	s_andn2_b64 vcc, exec, s[0:1]
	s_waitcnt vmcnt(0) lgkmcnt(0)
	s_barrier
	s_cbranch_vccnz .LBB8_1084
; %bb.47:
	v_or_b32_e32 v2, v0, v1
	v_cmp_eq_u32_e32 vcc, 0, v2
	s_and_saveexec_b64 s[0:1], vcc
	s_cbranch_execz .LBB8_49
; %bb.48:
	v_mov_b32_e32 v4, 0
	ds_read_b32 v2, v4 offset:4
	v_mov_b32_e32 v3, 1.0
	ds_write_b32 v4, v3
	s_waitcnt lgkmcnt(1)
	ds_write_b64 v4, v[2:3] offset:256
.LBB8_49:
	s_or_b64 exec, exec, s[0:1]
	v_lshl_add_u32 v4, v1, 6, v0
	v_and_b32_e32 v11, 1, v0
	v_lshrrev_b32_e32 v5, 1, v4
	v_lshlrev_b32_e32 v2, 2, v11
	v_cmp_lt_u32_e64 s[8:9], 3, v4
	v_cmp_gt_u32_e64 s[2:3], 4, v4
	v_lshl_or_b32 v2, v5, 8, v2
	v_mov_b32_e32 v10, 0
	s_waitcnt lgkmcnt(0)
	s_barrier
	s_and_saveexec_b64 s[0:1], s[2:3]
	s_cbranch_execz .LBB8_53
; %bb.50:
	v_mul_u32_u24_e32 v3, 0x104, v5
	ds_read_b32 v12, v2 offset:8
	ds_read_b32 v3, v3
	v_mov_b32_e32 v10, 0
	v_cmp_gt_u32_e64 s[10:11], 2, v4
	s_waitcnt lgkmcnt(0)
	v_fma_f32 v3, v12, v3, 0
	s_and_saveexec_b64 s[12:13], s[10:11]
	s_cbranch_execz .LBB8_52
; %bb.51:
	v_lshlrev_b32_e32 v12, 2, v0
	ds_read_b32 v12, v12 offset:264
	ds_read_b32 v10, v10 offset:4
	s_waitcnt lgkmcnt(0)
	v_fmac_f32_e32 v3, v12, v10
.LBB8_52:
	s_or_b64 exec, exec, s[12:13]
	v_xor_b32_e32 v10, 0x80000000, v3
.LBB8_53:
                                        ; implicit-def: $vgpr33 : SGPR spill to VGPR lane
	v_writelane_b32 v33, s18, 0
	s_or_b64 exec, exec, s[0:1]
	v_mov_b32_e32 v3, 0x4000
	v_cmp_eq_u32_e64 s[10:11], 0, v11
	s_xor_b64 s[0:1], s[8:9], -1
	v_lshl_add_u32 v3, v5, 2, v3
	s_and_b64 s[30:31], s[10:11], s[0:1]
	s_and_saveexec_b64 s[8:9], s[30:31]
; %bb.54:
	ds_write_b32 v3, v10
; %bb.55:
	s_or_b64 exec, exec, s[8:9]
	v_cmp_ne_u32_e64 s[8:9], 0, v11
	s_and_b64 s[28:29], s[8:9], s[0:1]
	s_waitcnt lgkmcnt(0)
	s_barrier
	s_and_saveexec_b64 s[0:1], s[28:29]
	s_cbranch_execz .LBB8_57
; %bb.56:
	v_mov_b32_e32 v11, 0
	ds_read_b32 v11, v11 offset:524
	ds_read_b32 v12, v3
	s_waitcnt lgkmcnt(0)
	v_fmac_f32_e32 v10, v11, v12
.LBB8_57:
	s_or_b64 exec, exec, s[0:1]
	s_barrier
	s_and_saveexec_b64 s[0:1], s[28:29]
; %bb.58:
	ds_write_b32 v3, v10
; %bb.59:
	s_or_b64 exec, exec, s[0:1]
	s_waitcnt lgkmcnt(0)
	s_barrier
	s_barrier
	s_and_saveexec_b64 s[0:1], s[2:3]
; %bb.60:
	v_xor_b32_e32 v10, 0x80000000, v10
	ds_write_b32 v2, v10 offset:8
; %bb.61:
	s_or_b64 exec, exec, s[0:1]
	v_cmp_eq_u32_e64 s[12:13], 0, v1
	v_cmp_gt_u32_e64 s[8:9], 2, v0
	s_and_b64 s[34:35], s[12:13], s[8:9]
	s_waitcnt lgkmcnt(0)
	s_barrier
	s_barrier
	s_and_saveexec_b64 s[0:1], s[34:35]
	s_cbranch_execz .LBB8_63
; %bb.62:
	v_lshlrev_b32_e32 v10, 2, v0
	s_movk_i32 s8, 0xfc
	v_mad_u32_u24 v11, v0, s8, v10
	ds_read_b32 v12, v11 offset:8
	s_waitcnt lgkmcnt(0)
	ds_write_b32 v10, v12 offset:512
	ds_read_b32 v11, v11 offset:12
	s_waitcnt lgkmcnt(0)
	ds_write_b32 v10, v11 offset:768
.LBB8_63:
	s_or_b64 exec, exec, s[0:1]
	s_waitcnt lgkmcnt(0)
	s_barrier
	s_and_saveexec_b64 s[0:1], vcc
	s_cbranch_execz .LBB8_65
; %bb.64:
	v_mov_b32_e32 v12, 0
	ds_read_b32 v10, v12 offset:524
	v_mov_b32_e32 v11, 1.0
	ds_write_b32 v12, v11 offset:520
	s_waitcnt lgkmcnt(1)
	ds_write_b64 v12, v[10:11] offset:776
.LBB8_65:
	s_or_b64 exec, exec, s[0:1]
	v_and_b32_e32 v13, 3, v0
	v_lshrrev_b32_e32 v14, 2, v4
	v_lshlrev_b32_e32 v11, 2, v13
	v_cmp_lt_u32_e64 s[8:9], 15, v4
	v_cmp_gt_u32_e64 s[18:19], 16, v4
	v_lshl_or_b32 v10, v14, 8, v11
	v_mov_b32_e32 v15, 0
	s_waitcnt lgkmcnt(0)
	s_barrier
	s_and_saveexec_b64 s[0:1], s[18:19]
	s_cbranch_execz .LBB8_71
; %bb.66:
	v_mul_u32_u24_e32 v15, 0x104, v14
	ds_read_b32 v12, v10 offset:16
	ds_read_b32 v16, v15
	v_cmp_gt_u32_e64 s[10:11], 12, v4
	s_waitcnt lgkmcnt(0)
	v_fma_f32 v12, v12, v16, 0
	s_and_saveexec_b64 s[14:15], s[10:11]
	s_cbranch_execnz .LBB8_1170
; %bb.67:
	s_or_b64 exec, exec, s[14:15]
	v_cmp_gt_u32_e64 s[10:11], 8, v4
	s_and_saveexec_b64 s[14:15], s[10:11]
	s_cbranch_execnz .LBB8_1171
.LBB8_68:
	s_or_b64 exec, exec, s[14:15]
	v_cmp_gt_u32_e64 s[10:11], 4, v4
	s_and_saveexec_b64 s[14:15], s[10:11]
	s_cbranch_execz .LBB8_70
.LBB8_69:
	v_lshlrev_b32_e32 v15, 2, v0
	v_mov_b32_e32 v16, 0
	ds_read_b32 v15, v15 offset:784
	ds_read_b32 v16, v16 offset:12
	s_waitcnt lgkmcnt(0)
	v_fmac_f32_e32 v12, v15, v16
.LBB8_70:
	s_or_b64 exec, exec, s[14:15]
	v_xor_b32_e32 v15, 0x80000000, v12
.LBB8_71:
	v_writelane_b32 v33, s38, 1
	v_writelane_b32 v33, s39, 2
	s_or_b64 exec, exec, s[0:1]
	v_mov_b32_e32 v12, 0x4000
	v_cmp_eq_u32_e64 s[10:11], 0, v13
	s_xor_b64 s[0:1], s[8:9], -1
	v_lshl_add_u32 v12, v14, 2, v12
	s_and_b64 s[38:39], s[10:11], s[0:1]
	s_and_saveexec_b64 s[8:9], s[38:39]
; %bb.72:
	ds_write_b32 v12, v15
; %bb.73:
	s_or_b64 exec, exec, s[8:9]
	v_cmp_ne_u32_e64 s[8:9], 0, v13
	s_and_b64 s[42:43], s[8:9], s[0:1]
	s_waitcnt lgkmcnt(0)
	s_barrier
	s_and_saveexec_b64 s[8:9], s[42:43]
	s_cbranch_execz .LBB8_75
; %bb.74:
	ds_read_b32 v16, v11 offset:1040
	ds_read_b32 v17, v12
	s_waitcnt lgkmcnt(0)
	v_fmac_f32_e32 v15, v16, v17
.LBB8_75:
	s_or_b64 exec, exec, s[8:9]
	v_cmp_eq_u32_e64 s[8:9], 1, v13
	s_and_b64 s[44:45], s[8:9], s[0:1]
	s_barrier
	s_and_saveexec_b64 s[8:9], s[44:45]
; %bb.76:
	ds_write_b32 v12, v15
; %bb.77:
	s_or_b64 exec, exec, s[8:9]
	v_cmp_lt_u32_e64 s[8:9], 1, v13
	s_and_b64 s[52:53], s[8:9], s[0:1]
	s_waitcnt lgkmcnt(0)
	s_barrier
	s_and_saveexec_b64 s[8:9], s[52:53]
	s_cbranch_execz .LBB8_79
; %bb.78:
	ds_read_b32 v16, v11 offset:1296
	ds_read_b32 v17, v12
	s_waitcnt lgkmcnt(0)
	v_fmac_f32_e32 v15, v16, v17
.LBB8_79:
	s_or_b64 exec, exec, s[8:9]
	v_cmp_eq_u32_e64 s[8:9], 2, v13
	s_and_b64 s[54:55], s[8:9], s[0:1]
	s_barrier
	s_and_saveexec_b64 s[8:9], s[54:55]
; %bb.80:
	ds_write_b32 v12, v15
; %bb.81:
	s_or_b64 exec, exec, s[8:9]
	v_cmp_eq_u32_e64 s[8:9], 3, v13
	s_and_b64 s[36:37], s[8:9], s[0:1]
	s_waitcnt lgkmcnt(0)
	s_barrier
	s_and_saveexec_b64 s[0:1], s[36:37]
	s_cbranch_execz .LBB8_83
; %bb.82:
	v_mov_b32_e32 v16, 0
	ds_read_b32 v16, v16 offset:1564
	ds_read_b32 v17, v12
	s_waitcnt lgkmcnt(0)
	v_fmac_f32_e32 v15, v16, v17
.LBB8_83:
	s_or_b64 exec, exec, s[0:1]
	s_barrier
	s_and_saveexec_b64 s[0:1], s[36:37]
; %bb.84:
	ds_write_b32 v12, v15
; %bb.85:
	s_or_b64 exec, exec, s[0:1]
	s_waitcnt lgkmcnt(0)
	s_barrier
	s_barrier
	s_and_saveexec_b64 s[0:1], s[18:19]
; %bb.86:
	v_xor_b32_e32 v15, 0x80000000, v15
	ds_write_b32 v10, v15 offset:16
; %bb.87:
	s_or_b64 exec, exec, s[0:1]
	v_cmp_gt_u32_e64 s[8:9], 4, v0
	s_and_b64 s[56:57], s[12:13], s[8:9]
	s_waitcnt lgkmcnt(0)
	s_barrier
	s_barrier
	s_and_saveexec_b64 s[0:1], s[56:57]
	s_cbranch_execz .LBB8_89
; %bb.88:
	v_lshlrev_b32_e32 v15, 8, v0
	ds_read_b32 v16, v15 offset:16
	s_movk_i32 s8, 0xff04
	v_mad_i32_i24 v17, v0, s8, v15
	s_waitcnt lgkmcnt(0)
	ds_write_b32 v17, v16 offset:1024
	ds_read_b32 v16, v15 offset:20
	s_waitcnt lgkmcnt(0)
	ds_write_b32 v17, v16 offset:1280
	ds_read_b32 v16, v15 offset:24
	;; [unrolled: 3-line block ×3, first 2 shown]
	s_waitcnt lgkmcnt(0)
	ds_write_b32 v17, v15 offset:1792
.LBB8_89:
	s_or_b64 exec, exec, s[0:1]
	s_waitcnt lgkmcnt(0)
	s_barrier
	s_and_saveexec_b64 s[0:1], vcc
	s_cbranch_execz .LBB8_91
; %bb.90:
	v_mov_b32_e32 v17, 0
	ds_read_b32 v15, v17 offset:1044
	v_mov_b32_e32 v16, 1.0
	ds_write_b32 v17, v16 offset:1040
	s_waitcnt lgkmcnt(1)
	ds_write_b64 v17, v[15:16] offset:1296
.LBB8_91:
	s_or_b64 exec, exec, s[0:1]
	v_mov_b32_e32 v15, 0
	s_waitcnt lgkmcnt(0)
	s_barrier
	s_and_saveexec_b64 s[0:1], s[2:3]
	s_cbranch_execz .LBB8_95
; %bb.92:
	v_mul_u32_u24_e32 v15, 0x104, v5
	ds_read_b32 v17, v2 offset:1048
	ds_read_b32 v15, v15 offset:1040
	v_mov_b32_e32 v16, 0
	v_cmp_gt_u32_e64 s[8:9], 2, v4
	s_waitcnt lgkmcnt(0)
	v_fma_f32 v15, v17, v15, 0
	s_and_saveexec_b64 s[10:11], s[8:9]
	s_cbranch_execz .LBB8_94
; %bb.93:
	v_lshlrev_b32_e32 v17, 2, v0
	ds_read_b32 v17, v17 offset:1304
	ds_read_b32 v16, v16 offset:1044
	s_waitcnt lgkmcnt(0)
	v_fmac_f32_e32 v15, v17, v16
.LBB8_94:
	s_or_b64 exec, exec, s[10:11]
	v_xor_b32_e32 v15, 0x80000000, v15
.LBB8_95:
	s_or_b64 exec, exec, s[0:1]
	s_and_saveexec_b64 s[0:1], s[30:31]
; %bb.96:
	ds_write_b32 v3, v15
; %bb.97:
	s_or_b64 exec, exec, s[0:1]
	s_waitcnt lgkmcnt(0)
	s_barrier
	s_and_saveexec_b64 s[0:1], s[28:29]
	s_cbranch_execz .LBB8_99
; %bb.98:
	v_mov_b32_e32 v16, 0
	ds_read_b32 v16, v16 offset:1564
	ds_read_b32 v17, v3
	s_waitcnt lgkmcnt(0)
	v_fmac_f32_e32 v15, v16, v17
.LBB8_99:
	s_or_b64 exec, exec, s[0:1]
	s_barrier
	s_and_saveexec_b64 s[0:1], s[28:29]
; %bb.100:
	ds_write_b32 v3, v15
; %bb.101:
	s_or_b64 exec, exec, s[0:1]
	s_waitcnt lgkmcnt(0)
	s_barrier
	s_barrier
	s_and_saveexec_b64 s[0:1], s[2:3]
; %bb.102:
	v_xor_b32_e32 v15, 0x80000000, v15
	ds_write_b32 v2, v15 offset:1048
; %bb.103:
	s_or_b64 exec, exec, s[0:1]
	s_waitcnt lgkmcnt(0)
	s_barrier
	s_barrier
	s_and_saveexec_b64 s[0:1], s[34:35]
	s_cbranch_execz .LBB8_105
; %bb.104:
	v_lshlrev_b32_e32 v15, 2, v0
	s_movk_i32 s8, 0xfc
	v_mad_u32_u24 v16, v0, s8, v15
	ds_read_b32 v17, v16 offset:1048
	s_waitcnt lgkmcnt(0)
	ds_write_b32 v15, v17 offset:1552
	ds_read_b32 v16, v16 offset:1052
	s_waitcnt lgkmcnt(0)
	ds_write_b32 v15, v16 offset:1808
.LBB8_105:
	s_or_b64 exec, exec, s[0:1]
	s_waitcnt lgkmcnt(0)
	s_barrier
	s_and_saveexec_b64 s[0:1], vcc
	s_cbranch_execz .LBB8_107
; %bb.106:
	v_mov_b32_e32 v17, 0
	ds_read_b32 v15, v17 offset:1564
	v_mov_b32_e32 v16, 1.0
	ds_write_b32 v17, v16 offset:1560
	s_waitcnt lgkmcnt(1)
	ds_write_b64 v17, v[15:16] offset:1816
.LBB8_107:
	s_or_b64 exec, exec, s[0:1]
	v_and_b32_e32 v18, 7, v0
	v_lshrrev_b32_e32 v19, 3, v4
	v_lshlrev_b32_e32 v16, 2, v18
	v_cmp_lt_u32_e64 s[10:11], 63, v4
	v_cmp_gt_u32_e64 s[8:9], 64, v4
	v_lshl_or_b32 v15, v19, 8, v16
	v_mov_b32_e32 v20, 0
	s_waitcnt lgkmcnt(0)
	s_barrier
	s_and_saveexec_b64 s[0:1], s[8:9]
	s_cbranch_execz .LBB8_117
; %bb.108:
	v_mul_u32_u24_e32 v20, 0x104, v19
	ds_read_b32 v17, v15 offset:32
	ds_read_b32 v21, v20
	v_cmp_gt_u32_e64 s[14:15], 56, v4
	s_waitcnt lgkmcnt(0)
	v_fma_f32 v17, v17, v21, 0
	s_and_saveexec_b64 s[16:17], s[14:15]
	s_cbranch_execnz .LBB8_1172
; %bb.109:
	s_or_b64 exec, exec, s[16:17]
	v_cmp_gt_u32_e64 s[14:15], 48, v4
	s_and_saveexec_b64 s[16:17], s[14:15]
	s_cbranch_execnz .LBB8_1173
.LBB8_110:
	s_or_b64 exec, exec, s[16:17]
	v_cmp_gt_u32_e64 s[14:15], 40, v4
	s_and_saveexec_b64 s[16:17], s[14:15]
	s_cbranch_execnz .LBB8_1174
.LBB8_111:
	s_or_b64 exec, exec, s[16:17]
	v_cmp_gt_u32_e64 s[14:15], 32, v4
	s_and_saveexec_b64 s[16:17], s[14:15]
	s_cbranch_execnz .LBB8_1175
.LBB8_112:
	s_or_b64 exec, exec, s[16:17]
	v_cmp_gt_u32_e64 s[14:15], 24, v4
	s_and_saveexec_b64 s[16:17], s[14:15]
	s_cbranch_execnz .LBB8_1176
.LBB8_113:
	s_or_b64 exec, exec, s[16:17]
	v_cmp_gt_u32_e64 s[14:15], 16, v4
	s_and_saveexec_b64 s[16:17], s[14:15]
	s_cbranch_execnz .LBB8_1177
.LBB8_114:
	s_or_b64 exec, exec, s[16:17]
	v_cmp_gt_u32_e64 s[14:15], 8, v4
	s_and_saveexec_b64 s[16:17], s[14:15]
	s_cbranch_execz .LBB8_116
.LBB8_115:
	v_lshlrev_b32_e32 v20, 2, v0
	v_mov_b32_e32 v21, 0
	ds_read_b32 v20, v20 offset:1824
	ds_read_b32 v21, v21 offset:28
	s_waitcnt lgkmcnt(0)
	v_fmac_f32_e32 v17, v20, v21
.LBB8_116:
	s_or_b64 exec, exec, s[16:17]
	v_xor_b32_e32 v20, 0x80000000, v17
.LBB8_117:
	s_or_b64 exec, exec, s[0:1]
	v_mov_b32_e32 v17, 0x4000
	v_cmp_eq_u32_e64 s[14:15], 0, v18
	s_xor_b64 s[0:1], s[10:11], -1
	v_lshl_add_u32 v17, v19, 2, v17
	s_and_b64 s[58:59], s[14:15], s[0:1]
	s_and_saveexec_b64 s[10:11], s[58:59]
; %bb.118:
	ds_write_b32 v17, v20
; %bb.119:
	s_or_b64 exec, exec, s[10:11]
	v_cmp_ne_u32_e64 s[10:11], 0, v18
	s_and_b64 s[60:61], s[10:11], s[0:1]
	s_waitcnt lgkmcnt(0)
	s_barrier
	s_and_saveexec_b64 s[10:11], s[60:61]
	s_cbranch_execz .LBB8_121
; %bb.120:
	ds_read_b32 v21, v16 offset:2080
	ds_read_b32 v22, v17
	s_waitcnt lgkmcnt(0)
	v_fmac_f32_e32 v20, v21, v22
.LBB8_121:
	s_or_b64 exec, exec, s[10:11]
	v_cmp_eq_u32_e64 s[10:11], 1, v18
	s_and_b64 s[62:63], s[10:11], s[0:1]
	s_barrier
	s_and_saveexec_b64 s[10:11], s[62:63]
; %bb.122:
	ds_write_b32 v17, v20
; %bb.123:
	s_or_b64 exec, exec, s[10:11]
	v_cmp_lt_u32_e64 s[10:11], 1, v18
	s_and_b64 s[64:65], s[10:11], s[0:1]
	s_waitcnt lgkmcnt(0)
	s_barrier
	s_and_saveexec_b64 s[10:11], s[64:65]
	s_cbranch_execz .LBB8_125
; %bb.124:
	ds_read_b32 v21, v16 offset:2336
	ds_read_b32 v22, v17
	s_waitcnt lgkmcnt(0)
	v_fmac_f32_e32 v20, v21, v22
.LBB8_125:
	s_or_b64 exec, exec, s[10:11]
	v_cmp_eq_u32_e64 s[10:11], 2, v18
	s_and_b64 s[68:69], s[10:11], s[0:1]
	s_barrier
	s_and_saveexec_b64 s[10:11], s[68:69]
; %bb.126:
	ds_write_b32 v17, v20
; %bb.127:
	s_or_b64 exec, exec, s[10:11]
	v_cmp_lt_u32_e64 s[10:11], 2, v18
	;; [unrolled: 21-line block ×5, first 2 shown]
	s_and_b64 s[82:83], s[10:11], s[0:1]
	s_waitcnt lgkmcnt(0)
	s_barrier
	s_and_saveexec_b64 s[10:11], s[82:83]
	s_cbranch_execz .LBB8_141
; %bb.140:
	ds_read_b32 v21, v16 offset:3360
	ds_read_b32 v22, v17
	s_waitcnt lgkmcnt(0)
	v_fmac_f32_e32 v20, v21, v22
.LBB8_141:
	s_or_b64 exec, exec, s[10:11]
	v_cmp_eq_u32_e64 s[10:11], 6, v18
	s_and_b64 s[84:85], s[10:11], s[0:1]
	s_barrier
	s_and_saveexec_b64 s[10:11], s[84:85]
; %bb.142:
	ds_write_b32 v17, v20
; %bb.143:
	s_or_b64 exec, exec, s[10:11]
	v_cmp_eq_u32_e64 s[10:11], 7, v18
	s_and_b64 s[66:67], s[10:11], s[0:1]
	s_waitcnt lgkmcnt(0)
	s_barrier
	s_and_saveexec_b64 s[0:1], s[66:67]
	s_cbranch_execz .LBB8_145
; %bb.144:
	v_mov_b32_e32 v21, 0
	ds_read_b32 v21, v21 offset:3644
	ds_read_b32 v22, v17
	s_waitcnt lgkmcnt(0)
	v_fmac_f32_e32 v20, v21, v22
.LBB8_145:
	s_or_b64 exec, exec, s[0:1]
	s_barrier
	s_and_saveexec_b64 s[0:1], s[66:67]
; %bb.146:
	ds_write_b32 v17, v20
; %bb.147:
	s_or_b64 exec, exec, s[0:1]
	s_waitcnt lgkmcnt(0)
	s_barrier
	s_barrier
	s_and_saveexec_b64 s[0:1], s[8:9]
; %bb.148:
	v_xor_b32_e32 v20, 0x80000000, v20
	ds_write_b32 v15, v20 offset:32
; %bb.149:
	s_or_b64 exec, exec, s[0:1]
	v_cmp_gt_u32_e64 s[10:11], 8, v0
	s_and_b64 s[86:87], s[12:13], s[10:11]
	s_waitcnt lgkmcnt(0)
	s_barrier
	s_barrier
	s_and_saveexec_b64 s[0:1], s[86:87]
	s_cbranch_execz .LBB8_151
; %bb.150:
	v_lshlrev_b32_e32 v20, 8, v0
	ds_read_b32 v21, v20 offset:32
	s_movk_i32 s10, 0xff04
	v_mad_i32_i24 v22, v0, s10, v20
	s_waitcnt lgkmcnt(0)
	ds_write_b32 v22, v21 offset:2048
	ds_read_b32 v21, v20 offset:36
	s_waitcnt lgkmcnt(0)
	ds_write_b32 v22, v21 offset:2304
	ds_read_b32 v21, v20 offset:40
	;; [unrolled: 3-line block ×7, first 2 shown]
	s_waitcnt lgkmcnt(0)
	ds_write_b32 v22, v20 offset:3840
.LBB8_151:
	s_or_b64 exec, exec, s[0:1]
	s_waitcnt lgkmcnt(0)
	s_barrier
	s_and_saveexec_b64 s[0:1], vcc
	s_cbranch_execz .LBB8_153
; %bb.152:
	v_mov_b32_e32 v22, 0
	ds_read_b32 v20, v22 offset:2084
	v_mov_b32_e32 v21, 1.0
	ds_write_b32 v22, v21 offset:2080
	s_waitcnt lgkmcnt(1)
	ds_write_b64 v22, v[20:21] offset:2336
.LBB8_153:
	s_or_b64 exec, exec, s[0:1]
	v_mov_b32_e32 v20, 0
	s_waitcnt lgkmcnt(0)
	s_barrier
	s_and_saveexec_b64 s[0:1], s[2:3]
	s_cbranch_execz .LBB8_157
; %bb.154:
	v_mul_u32_u24_e32 v20, 0x104, v5
	ds_read_b32 v22, v2 offset:2088
	ds_read_b32 v20, v20 offset:2080
	v_mov_b32_e32 v21, 0
	v_cmp_gt_u32_e64 s[10:11], 2, v4
	s_waitcnt lgkmcnt(0)
	v_fma_f32 v20, v22, v20, 0
	s_and_saveexec_b64 s[14:15], s[10:11]
	s_cbranch_execz .LBB8_156
; %bb.155:
	v_lshlrev_b32_e32 v22, 2, v0
	ds_read_b32 v22, v22 offset:2344
	ds_read_b32 v21, v21 offset:2084
	s_waitcnt lgkmcnt(0)
	v_fmac_f32_e32 v20, v22, v21
.LBB8_156:
	s_or_b64 exec, exec, s[14:15]
	v_xor_b32_e32 v20, 0x80000000, v20
.LBB8_157:
	s_or_b64 exec, exec, s[0:1]
	s_and_saveexec_b64 s[0:1], s[30:31]
; %bb.158:
	ds_write_b32 v3, v20
; %bb.159:
	s_or_b64 exec, exec, s[0:1]
	s_waitcnt lgkmcnt(0)
	s_barrier
	s_and_saveexec_b64 s[0:1], s[28:29]
	s_cbranch_execz .LBB8_161
; %bb.160:
	v_mov_b32_e32 v21, 0
	ds_read_b32 v21, v21 offset:2604
	ds_read_b32 v22, v3
	s_waitcnt lgkmcnt(0)
	v_fmac_f32_e32 v20, v21, v22
.LBB8_161:
	s_or_b64 exec, exec, s[0:1]
	s_barrier
	s_and_saveexec_b64 s[0:1], s[28:29]
; %bb.162:
	ds_write_b32 v3, v20
; %bb.163:
	s_or_b64 exec, exec, s[0:1]
	s_waitcnt lgkmcnt(0)
	s_barrier
	s_barrier
	s_and_saveexec_b64 s[0:1], s[2:3]
; %bb.164:
	v_xor_b32_e32 v20, 0x80000000, v20
	ds_write_b32 v2, v20 offset:2088
; %bb.165:
	s_or_b64 exec, exec, s[0:1]
	s_waitcnt lgkmcnt(0)
	s_barrier
	s_barrier
	s_and_saveexec_b64 s[0:1], s[34:35]
	s_cbranch_execz .LBB8_167
; %bb.166:
	v_lshlrev_b32_e32 v20, 2, v0
	s_movk_i32 s10, 0xfc
	v_mad_u32_u24 v21, v0, s10, v20
	ds_read_b32 v22, v21 offset:2088
	s_waitcnt lgkmcnt(0)
	ds_write_b32 v20, v22 offset:2592
	ds_read_b32 v21, v21 offset:2092
	s_waitcnt lgkmcnt(0)
	ds_write_b32 v20, v21 offset:2848
.LBB8_167:
	s_or_b64 exec, exec, s[0:1]
	s_waitcnt lgkmcnt(0)
	s_barrier
	s_and_saveexec_b64 s[0:1], vcc
	s_cbranch_execz .LBB8_169
; %bb.168:
	v_mov_b32_e32 v22, 0
	ds_read_b32 v20, v22 offset:2604
	v_mov_b32_e32 v21, 1.0
	ds_write_b32 v22, v21 offset:2600
	s_waitcnt lgkmcnt(1)
	ds_write_b64 v22, v[20:21] offset:2856
.LBB8_169:
	s_or_b64 exec, exec, s[0:1]
	v_mov_b32_e32 v20, 0
	s_waitcnt lgkmcnt(0)
	s_barrier
	s_and_saveexec_b64 s[0:1], s[18:19]
	s_cbranch_execz .LBB8_175
; %bb.170:
	v_mul_u32_u24_e32 v21, 0x104, v14
	ds_read_b32 v20, v10 offset:2096
	ds_read_b32 v22, v21 offset:2080
	v_cmp_gt_u32_e64 s[10:11], 12, v4
	s_waitcnt lgkmcnt(0)
	v_fma_f32 v20, v20, v22, 0
	s_and_saveexec_b64 s[14:15], s[10:11]
	s_cbranch_execnz .LBB8_1178
; %bb.171:
	s_or_b64 exec, exec, s[14:15]
	v_cmp_gt_u32_e64 s[10:11], 8, v4
	s_and_saveexec_b64 s[14:15], s[10:11]
	s_cbranch_execnz .LBB8_1179
.LBB8_172:
	s_or_b64 exec, exec, s[14:15]
	v_cmp_gt_u32_e64 s[10:11], 4, v4
	s_and_saveexec_b64 s[14:15], s[10:11]
	s_cbranch_execz .LBB8_174
.LBB8_173:
	v_lshlrev_b32_e32 v21, 2, v0
	v_mov_b32_e32 v22, 0
	ds_read_b32 v21, v21 offset:2864
	ds_read_b32 v22, v22 offset:2092
	s_waitcnt lgkmcnt(0)
	v_fmac_f32_e32 v20, v21, v22
.LBB8_174:
	s_or_b64 exec, exec, s[14:15]
	v_xor_b32_e32 v20, 0x80000000, v20
.LBB8_175:
	s_or_b64 exec, exec, s[0:1]
	s_and_saveexec_b64 s[0:1], s[38:39]
; %bb.176:
	ds_write_b32 v12, v20
; %bb.177:
	s_or_b64 exec, exec, s[0:1]
	s_waitcnt lgkmcnt(0)
	s_barrier
	s_and_saveexec_b64 s[0:1], s[42:43]
	s_cbranch_execz .LBB8_179
; %bb.178:
	ds_read_b32 v21, v11 offset:3120
	ds_read_b32 v22, v12
	s_waitcnt lgkmcnt(0)
	v_fmac_f32_e32 v20, v21, v22
.LBB8_179:
	s_or_b64 exec, exec, s[0:1]
	s_barrier
	s_and_saveexec_b64 s[0:1], s[44:45]
; %bb.180:
	ds_write_b32 v12, v20
; %bb.181:
	s_or_b64 exec, exec, s[0:1]
	s_waitcnt lgkmcnt(0)
	s_barrier
	s_and_saveexec_b64 s[0:1], s[52:53]
	s_cbranch_execz .LBB8_183
; %bb.182:
	ds_read_b32 v21, v11 offset:3376
	ds_read_b32 v22, v12
	s_waitcnt lgkmcnt(0)
	v_fmac_f32_e32 v20, v21, v22
.LBB8_183:
	s_or_b64 exec, exec, s[0:1]
	s_barrier
	s_and_saveexec_b64 s[0:1], s[54:55]
; %bb.184:
	ds_write_b32 v12, v20
; %bb.185:
	s_or_b64 exec, exec, s[0:1]
	s_waitcnt lgkmcnt(0)
	s_barrier
	s_and_saveexec_b64 s[0:1], s[36:37]
	s_cbranch_execz .LBB8_187
; %bb.186:
	v_mov_b32_e32 v21, 0
	ds_read_b32 v21, v21 offset:3644
	ds_read_b32 v22, v12
	s_waitcnt lgkmcnt(0)
	v_fmac_f32_e32 v20, v21, v22
.LBB8_187:
	s_or_b64 exec, exec, s[0:1]
	s_barrier
	s_and_saveexec_b64 s[0:1], s[36:37]
; %bb.188:
	ds_write_b32 v12, v20
; %bb.189:
	s_or_b64 exec, exec, s[0:1]
	s_waitcnt lgkmcnt(0)
	s_barrier
	s_barrier
	s_and_saveexec_b64 s[0:1], s[18:19]
; %bb.190:
	v_xor_b32_e32 v20, 0x80000000, v20
	ds_write_b32 v10, v20 offset:2096
; %bb.191:
	s_or_b64 exec, exec, s[0:1]
	s_waitcnt lgkmcnt(0)
	s_barrier
	s_barrier
	s_and_saveexec_b64 s[0:1], s[56:57]
	s_cbranch_execz .LBB8_193
; %bb.192:
	v_lshlrev_b32_e32 v20, 8, v0
	ds_read_b32 v21, v20 offset:2096
	s_movk_i32 s10, 0xff04
	v_mad_i32_i24 v22, v0, s10, v20
	s_waitcnt lgkmcnt(0)
	ds_write_b32 v22, v21 offset:3104
	ds_read_b32 v21, v20 offset:2100
	s_waitcnt lgkmcnt(0)
	ds_write_b32 v22, v21 offset:3360
	ds_read_b32 v21, v20 offset:2104
	;; [unrolled: 3-line block ×3, first 2 shown]
	s_waitcnt lgkmcnt(0)
	ds_write_b32 v22, v20 offset:3872
.LBB8_193:
	s_or_b64 exec, exec, s[0:1]
	s_waitcnt lgkmcnt(0)
	s_barrier
	s_and_saveexec_b64 s[0:1], vcc
	s_cbranch_execz .LBB8_195
; %bb.194:
	v_mov_b32_e32 v22, 0
	ds_read_b32 v20, v22 offset:3124
	v_mov_b32_e32 v21, 1.0
	ds_write_b32 v22, v21 offset:3120
	s_waitcnt lgkmcnt(1)
	ds_write_b64 v22, v[20:21] offset:3376
.LBB8_195:
	s_or_b64 exec, exec, s[0:1]
	v_mov_b32_e32 v20, 0
	s_waitcnt lgkmcnt(0)
	s_barrier
	s_and_saveexec_b64 s[0:1], s[2:3]
	s_cbranch_execz .LBB8_199
; %bb.196:
	v_mul_u32_u24_e32 v20, 0x104, v5
	ds_read_b32 v22, v2 offset:3128
	ds_read_b32 v20, v20 offset:3120
	v_mov_b32_e32 v21, 0
	v_cmp_gt_u32_e64 s[10:11], 2, v4
	s_waitcnt lgkmcnt(0)
	v_fma_f32 v20, v22, v20, 0
	s_and_saveexec_b64 s[14:15], s[10:11]
	s_cbranch_execz .LBB8_198
; %bb.197:
	v_lshlrev_b32_e32 v22, 2, v0
	ds_read_b32 v22, v22 offset:3384
	ds_read_b32 v21, v21 offset:3124
	s_waitcnt lgkmcnt(0)
	v_fmac_f32_e32 v20, v22, v21
.LBB8_198:
	s_or_b64 exec, exec, s[14:15]
	v_xor_b32_e32 v20, 0x80000000, v20
.LBB8_199:
	s_or_b64 exec, exec, s[0:1]
	s_and_saveexec_b64 s[0:1], s[30:31]
; %bb.200:
	ds_write_b32 v3, v20
; %bb.201:
	s_or_b64 exec, exec, s[0:1]
	s_waitcnt lgkmcnt(0)
	s_barrier
	s_and_saveexec_b64 s[0:1], s[28:29]
	s_cbranch_execz .LBB8_203
; %bb.202:
	v_mov_b32_e32 v21, 0
	ds_read_b32 v21, v21 offset:3644
	ds_read_b32 v22, v3
	s_waitcnt lgkmcnt(0)
	v_fmac_f32_e32 v20, v21, v22
.LBB8_203:
	s_or_b64 exec, exec, s[0:1]
	s_barrier
	s_and_saveexec_b64 s[0:1], s[28:29]
; %bb.204:
	ds_write_b32 v3, v20
; %bb.205:
	s_or_b64 exec, exec, s[0:1]
	s_waitcnt lgkmcnt(0)
	s_barrier
	s_barrier
	s_and_saveexec_b64 s[0:1], s[2:3]
; %bb.206:
	v_xor_b32_e32 v20, 0x80000000, v20
	ds_write_b32 v2, v20 offset:3128
; %bb.207:
	s_or_b64 exec, exec, s[0:1]
	s_waitcnt lgkmcnt(0)
	s_barrier
	s_barrier
	s_and_saveexec_b64 s[0:1], s[34:35]
	s_cbranch_execz .LBB8_209
; %bb.208:
	v_lshlrev_b32_e32 v20, 2, v0
	s_movk_i32 s10, 0xfc
	v_mad_u32_u24 v21, v0, s10, v20
	ds_read_b32 v22, v21 offset:3128
	s_waitcnt lgkmcnt(0)
	ds_write_b32 v20, v22 offset:3632
	ds_read_b32 v21, v21 offset:3132
	s_waitcnt lgkmcnt(0)
	ds_write_b32 v20, v21 offset:3888
.LBB8_209:
	s_or_b64 exec, exec, s[0:1]
	s_waitcnt lgkmcnt(0)
	s_barrier
	s_and_saveexec_b64 s[0:1], vcc
	s_cbranch_execz .LBB8_211
; %bb.210:
	v_mov_b32_e32 v22, 0
	ds_read_b32 v20, v22 offset:3644
	v_mov_b32_e32 v21, 1.0
	ds_write_b32 v22, v21 offset:3640
	s_waitcnt lgkmcnt(1)
	ds_write_b64 v22, v[20:21] offset:3896
.LBB8_211:
	s_or_b64 exec, exec, s[0:1]
	v_lshrrev_b32_e32 v24, 4, v4
	v_and_b32_e32 v21, 15, v0
	s_movk_i32 s0, 0xff
	v_lshlrev_b32_e32 v23, 6, v24
	v_cmp_lt_u32_e64 s[14:15], s0, v4
	s_movk_i32 s0, 0x100
	v_or_b32_e32 v20, v23, v21
	v_cmp_gt_u32_e64 s[10:11], s0, v4
	v_lshlrev_b32_e32 v20, 2, v20
	v_mov_b32_e32 v25, 0
	s_waitcnt lgkmcnt(0)
	s_barrier
	s_and_saveexec_b64 s[0:1], s[10:11]
	s_cbranch_execz .LBB8_239
; %bb.212:
	v_mul_u32_u24_e32 v25, 0x104, v24
	ds_read_b32 v22, v20 offset:64
	ds_read_b32 v26, v25
	s_movk_i32 s16, 0xf0
	v_cmp_gt_u32_e64 s[16:17], s16, v4
	s_waitcnt lgkmcnt(0)
	v_fma_f32 v22, v22, v26, 0
	s_and_saveexec_b64 s[20:21], s[16:17]
	s_cbranch_execz .LBB8_214
; %bb.213:
	v_lshlrev_b32_e32 v26, 2, v24
	v_sub_u32_e32 v26, v25, v26
	v_lshl_add_u32 v26, v21, 2, v26
	ds_read_b32 v26, v26 offset:320
	ds_read_b32 v27, v25 offset:4
	s_waitcnt lgkmcnt(0)
	v_fmac_f32_e32 v22, v26, v27
.LBB8_214:
	s_or_b64 exec, exec, s[20:21]
	s_movk_i32 s16, 0xe0
	v_cmp_gt_u32_e64 s[16:17], s16, v4
	s_and_saveexec_b64 s[20:21], s[16:17]
	s_cbranch_execz .LBB8_216
; %bb.215:
	v_lshlrev_b32_e32 v26, 2, v24
	v_sub_u32_e32 v26, v25, v26
	v_lshl_add_u32 v26, v21, 2, v26
	ds_read_b32 v26, v26 offset:576
	ds_read_b32 v27, v25 offset:8
	s_waitcnt lgkmcnt(0)
	v_fmac_f32_e32 v22, v26, v27
.LBB8_216:
	s_or_b64 exec, exec, s[20:21]
	s_movk_i32 s16, 0xd0
	v_cmp_gt_u32_e64 s[16:17], s16, v4
	s_and_saveexec_b64 s[20:21], s[16:17]
	s_cbranch_execz .LBB8_218
; %bb.217:
	v_lshlrev_b32_e32 v26, 2, v24
	v_sub_u32_e32 v26, v25, v26
	v_lshl_add_u32 v26, v21, 2, v26
	ds_read_b32 v26, v26 offset:832
	ds_read_b32 v27, v25 offset:12
	s_waitcnt lgkmcnt(0)
	v_fmac_f32_e32 v22, v26, v27
.LBB8_218:
	s_or_b64 exec, exec, s[20:21]
	s_movk_i32 s16, 0xc0
	v_cmp_gt_u32_e64 s[16:17], s16, v4
	s_and_saveexec_b64 s[20:21], s[16:17]
	s_cbranch_execz .LBB8_220
; %bb.219:
	v_lshlrev_b32_e32 v26, 2, v24
	v_sub_u32_e32 v26, v25, v26
	v_lshl_add_u32 v26, v21, 2, v26
	ds_read_b32 v26, v26 offset:1088
	ds_read_b32 v27, v25 offset:16
	s_waitcnt lgkmcnt(0)
	v_fmac_f32_e32 v22, v26, v27
.LBB8_220:
	s_or_b64 exec, exec, s[20:21]
	s_movk_i32 s16, 0xb0
	v_cmp_gt_u32_e64 s[16:17], s16, v4
	s_and_saveexec_b64 s[20:21], s[16:17]
	s_cbranch_execz .LBB8_222
; %bb.221:
	v_lshlrev_b32_e32 v26, 2, v24
	v_sub_u32_e32 v26, v25, v26
	v_lshl_add_u32 v26, v21, 2, v26
	ds_read_b32 v26, v26 offset:1344
	ds_read_b32 v27, v25 offset:20
	s_waitcnt lgkmcnt(0)
	v_fmac_f32_e32 v22, v26, v27
.LBB8_222:
	s_or_b64 exec, exec, s[20:21]
	s_movk_i32 s16, 0xa0
	v_cmp_gt_u32_e64 s[16:17], s16, v4
	s_and_saveexec_b64 s[20:21], s[16:17]
	s_cbranch_execz .LBB8_224
; %bb.223:
	v_lshlrev_b32_e32 v26, 2, v24
	v_sub_u32_e32 v26, v25, v26
	v_lshl_add_u32 v26, v21, 2, v26
	ds_read_b32 v26, v26 offset:1600
	ds_read_b32 v27, v25 offset:24
	s_waitcnt lgkmcnt(0)
	v_fmac_f32_e32 v22, v26, v27
.LBB8_224:
	s_or_b64 exec, exec, s[20:21]
	s_movk_i32 s16, 0x90
	v_cmp_gt_u32_e64 s[16:17], s16, v4
	s_and_saveexec_b64 s[20:21], s[16:17]
	s_cbranch_execz .LBB8_226
; %bb.225:
	v_lshlrev_b32_e32 v26, 2, v24
	v_sub_u32_e32 v26, v25, v26
	v_lshl_add_u32 v26, v21, 2, v26
	ds_read_b32 v26, v26 offset:1856
	ds_read_b32 v27, v25 offset:28
	s_waitcnt lgkmcnt(0)
	v_fmac_f32_e32 v22, v26, v27
.LBB8_226:
	s_or_b64 exec, exec, s[20:21]
	s_movk_i32 s16, 0x80
	v_cmp_gt_u32_e64 s[16:17], s16, v4
	s_and_saveexec_b64 s[20:21], s[16:17]
	s_cbranch_execz .LBB8_228
; %bb.227:
	ds_read_b32 v26, v20 offset:2112
	ds_read_b32 v27, v25 offset:32
	s_waitcnt lgkmcnt(0)
	v_fmac_f32_e32 v22, v26, v27
.LBB8_228:
	s_or_b64 exec, exec, s[20:21]
	s_movk_i32 s16, 0x70
	v_cmp_gt_u32_e64 s[16:17], s16, v4
	s_and_saveexec_b64 s[20:21], s[16:17]
	s_cbranch_execz .LBB8_230
; %bb.229:
	v_lshlrev_b32_e32 v26, 2, v24
	v_sub_u32_e32 v26, v25, v26
	v_lshl_add_u32 v26, v21, 2, v26
	ds_read_b32 v26, v26 offset:2368
	ds_read_b32 v27, v25 offset:36
	s_waitcnt lgkmcnt(0)
	v_fmac_f32_e32 v22, v26, v27
.LBB8_230:
	s_or_b64 exec, exec, s[20:21]
	s_movk_i32 s16, 0x60
	v_cmp_gt_u32_e64 s[16:17], s16, v4
	s_and_saveexec_b64 s[20:21], s[16:17]
	s_cbranch_execz .LBB8_232
; %bb.231:
	v_lshlrev_b32_e32 v26, 2, v21
	v_lshl_add_u32 v26, v23, 2, v26
	ds_read_b32 v26, v26 offset:2624
	ds_read_b32 v27, v25 offset:40
	s_waitcnt lgkmcnt(0)
	v_fmac_f32_e32 v22, v26, v27
.LBB8_232:
	s_or_b64 exec, exec, s[20:21]
	s_movk_i32 s16, 0x50
	v_cmp_gt_u32_e64 s[16:17], s16, v4
	s_and_saveexec_b64 s[20:21], s[16:17]
	s_cbranch_execnz .LBB8_1180
; %bb.233:
	s_or_b64 exec, exec, s[20:21]
	v_cmp_gt_u32_e64 s[16:17], 64, v4
	s_and_saveexec_b64 s[20:21], s[16:17]
	s_cbranch_execnz .LBB8_1181
.LBB8_234:
	s_or_b64 exec, exec, s[20:21]
	v_cmp_gt_u32_e64 s[16:17], 48, v4
	s_and_saveexec_b64 s[20:21], s[16:17]
	s_cbranch_execnz .LBB8_1182
.LBB8_235:
	s_or_b64 exec, exec, s[20:21]
	v_cmp_gt_u32_e64 s[16:17], 32, v4
	s_and_saveexec_b64 s[20:21], s[16:17]
	s_cbranch_execnz .LBB8_1183
.LBB8_236:
	s_or_b64 exec, exec, s[20:21]
	v_cmp_gt_u32_e64 s[16:17], 16, v4
	s_and_saveexec_b64 s[20:21], s[16:17]
	s_cbranch_execz .LBB8_238
.LBB8_237:
	v_lshlrev_b32_e32 v25, 2, v0
	v_mov_b32_e32 v26, 0
	ds_read_b32 v25, v25 offset:3904
	ds_read_b32 v26, v26 offset:60
	s_waitcnt lgkmcnt(0)
	v_fmac_f32_e32 v22, v25, v26
.LBB8_238:
	s_or_b64 exec, exec, s[20:21]
	v_xor_b32_e32 v25, 0x80000000, v22
.LBB8_239:
	s_or_b64 exec, exec, s[0:1]
	v_mov_b32_e32 v22, 0x4000
	v_lshl_add_u32 v22, v24, 2, v22
	v_cmp_eq_u32_e64 s[16:17], 0, v21
	s_xor_b64 s[20:21], s[14:15], -1
	s_and_b64 s[14:15], s[16:17], s[20:21]
	s_mov_b64 s[0:1], exec
	v_writelane_b32 v33, s14, 3
	v_writelane_b32 v33, s15, 4
	s_and_b64 s[14:15], s[0:1], s[14:15]
	s_mov_b64 exec, s[14:15]
; %bb.240:
	ds_write_b32 v22, v25
; %bb.241:
	s_or_b64 exec, exec, s[0:1]
	v_cmp_ne_u32_e64 s[14:15], 0, v21
	s_waitcnt lgkmcnt(0)
	s_barrier
	s_and_b64 s[14:15], s[14:15], s[20:21]
	s_mov_b64 s[0:1], exec
	v_writelane_b32 v33, s14, 5
	v_writelane_b32 v33, s15, 6
	s_and_b64 s[14:15], s[0:1], s[14:15]
	s_mov_b64 exec, s[14:15]
	s_cbranch_execz .LBB8_243
; %bb.242:
	v_lshlrev_b32_e32 v26, 2, v21
	ds_read_b32 v26, v26 offset:4160
	ds_read_b32 v27, v22
	s_waitcnt lgkmcnt(0)
	v_fmac_f32_e32 v25, v26, v27
.LBB8_243:
	s_or_b64 exec, exec, s[0:1]
	v_cmp_eq_u32_e64 s[14:15], 1, v21
	s_barrier
	s_and_b64 s[14:15], s[14:15], s[20:21]
	s_mov_b64 s[0:1], exec
	v_writelane_b32 v33, s14, 7
	v_writelane_b32 v33, s15, 8
	s_and_b64 s[14:15], s[0:1], s[14:15]
	s_mov_b64 exec, s[14:15]
; %bb.244:
	ds_write_b32 v22, v25
; %bb.245:
	s_or_b64 exec, exec, s[0:1]
	v_cmp_lt_u32_e64 s[14:15], 1, v21
	s_waitcnt lgkmcnt(0)
	s_barrier
	s_and_b64 s[14:15], s[14:15], s[20:21]
	s_mov_b64 s[0:1], exec
	v_writelane_b32 v33, s14, 9
	v_writelane_b32 v33, s15, 10
	s_and_b64 s[14:15], s[0:1], s[14:15]
	s_mov_b64 exec, s[14:15]
	s_cbranch_execz .LBB8_247
; %bb.246:
	v_lshlrev_b32_e32 v26, 2, v21
	ds_read_b32 v26, v26 offset:4416
	ds_read_b32 v27, v22
	s_waitcnt lgkmcnt(0)
	v_fmac_f32_e32 v25, v26, v27
.LBB8_247:
	s_or_b64 exec, exec, s[0:1]
	v_cmp_eq_u32_e64 s[14:15], 2, v21
	s_barrier
	s_and_b64 s[14:15], s[14:15], s[20:21]
	s_mov_b64 s[0:1], exec
	v_writelane_b32 v33, s14, 11
	v_writelane_b32 v33, s15, 12
	s_and_b64 s[14:15], s[0:1], s[14:15]
	s_mov_b64 exec, s[14:15]
; %bb.248:
	ds_write_b32 v22, v25
; %bb.249:
	s_or_b64 exec, exec, s[0:1]
	v_cmp_lt_u32_e64 s[14:15], 2, v21
	;; [unrolled: 30-line block ×13, first 2 shown]
	s_waitcnt lgkmcnt(0)
	s_barrier
	s_and_b64 s[14:15], s[14:15], s[20:21]
	s_mov_b64 s[0:1], exec
	v_writelane_b32 v33, s14, 57
	v_writelane_b32 v33, s15, 58
	s_and_b64 s[14:15], s[0:1], s[14:15]
	s_mov_b64 exec, s[14:15]
	s_cbranch_execz .LBB8_295
; %bb.294:
	v_lshlrev_b32_e32 v26, 2, v21
	ds_read_b32 v26, v26 offset:7488
	ds_read_b32 v27, v22
	s_waitcnt lgkmcnt(0)
	v_fmac_f32_e32 v25, v26, v27
.LBB8_295:
	s_or_b64 exec, exec, s[0:1]
	v_cmp_eq_u32_e64 s[14:15], 14, v21
	s_barrier
	s_and_b64 s[14:15], s[14:15], s[20:21]
	s_mov_b64 s[0:1], exec
	v_writelane_b32 v33, s14, 59
	v_writelane_b32 v33, s15, 60
	s_and_b64 s[14:15], s[0:1], s[14:15]
	s_mov_b64 exec, s[14:15]
; %bb.296:
	ds_write_b32 v22, v25
; %bb.297:
	s_or_b64 exec, exec, s[0:1]
	v_cmp_eq_u32_e64 s[14:15], 15, v21
	s_and_b64 s[88:89], s[14:15], s[20:21]
	s_waitcnt lgkmcnt(0)
	s_barrier
	s_and_saveexec_b64 s[0:1], s[88:89]
	s_cbranch_execz .LBB8_299
; %bb.298:
	v_mov_b32_e32 v26, 0
	ds_read_b32 v26, v26 offset:7804
	ds_read_b32 v27, v22
	s_waitcnt lgkmcnt(0)
	v_fmac_f32_e32 v25, v26, v27
.LBB8_299:
	s_or_b64 exec, exec, s[0:1]
	s_barrier
	s_and_saveexec_b64 s[0:1], s[88:89]
; %bb.300:
	ds_write_b32 v22, v25
; %bb.301:
	s_or_b64 exec, exec, s[0:1]
	s_waitcnt lgkmcnt(0)
	s_barrier
	s_barrier
	s_and_saveexec_b64 s[0:1], s[10:11]
; %bb.302:
	v_xor_b32_e32 v25, 0x80000000, v25
	ds_write_b32 v20, v25 offset:64
; %bb.303:
	s_or_b64 exec, exec, s[0:1]
	v_cmp_gt_u32_e64 s[14:15], 16, v0
	s_waitcnt lgkmcnt(0)
	s_barrier
	s_barrier
	s_and_b64 s[0:1], s[12:13], s[14:15]
	s_mov_b64 s[14:15], exec
	v_writelane_b32 v33, s0, 61
	v_writelane_b32 v33, s1, 62
	s_and_b64 s[0:1], s[14:15], s[0:1]
	s_mov_b64 exec, s[0:1]
	s_cbranch_execz .LBB8_305
; %bb.304:
	v_lshlrev_b32_e32 v25, 8, v0
	ds_read_b32 v26, v25 offset:64
	s_movk_i32 s0, 0xff04
	v_mad_i32_i24 v27, v0, s0, v25
	s_waitcnt lgkmcnt(0)
	ds_write_b32 v27, v26 offset:4096
	ds_read_b32 v26, v25 offset:68
	s_waitcnt lgkmcnt(0)
	ds_write_b32 v27, v26 offset:4352
	ds_read_b32 v26, v25 offset:72
	;; [unrolled: 3-line block ×15, first 2 shown]
	s_waitcnt lgkmcnt(0)
	ds_write_b32 v27, v25 offset:7936
.LBB8_305:
	s_or_b64 exec, exec, s[14:15]
	s_waitcnt lgkmcnt(0)
	s_barrier
	s_and_saveexec_b64 s[14:15], vcc
	s_cbranch_execz .LBB8_307
; %bb.306:
	v_mov_b32_e32 v27, 0
	ds_read_b32 v25, v27 offset:4164
	v_mov_b32_e32 v26, 1.0
	ds_write_b32 v27, v26 offset:4160
	s_waitcnt lgkmcnt(1)
	ds_write_b64 v27, v[25:26] offset:4416
.LBB8_307:
	s_or_b64 exec, exec, s[14:15]
	v_mov_b32_e32 v25, 0
	s_waitcnt lgkmcnt(0)
	s_barrier
	s_and_saveexec_b64 s[16:17], s[2:3]
	s_cbranch_execz .LBB8_311
; %bb.308:
	v_mul_u32_u24_e32 v25, 0x104, v5
	ds_read_b32 v27, v2 offset:4168
	ds_read_b32 v25, v25 offset:4160
	v_mov_b32_e32 v26, 0
	v_cmp_gt_u32_e64 s[14:15], 2, v4
	s_waitcnt lgkmcnt(0)
	v_fma_f32 v25, v27, v25, 0
	s_and_saveexec_b64 s[0:1], s[14:15]
	s_cbranch_execz .LBB8_310
; %bb.309:
	v_lshlrev_b32_e32 v27, 2, v0
	ds_read_b32 v27, v27 offset:4424
	ds_read_b32 v26, v26 offset:4164
	s_waitcnt lgkmcnt(0)
	v_fmac_f32_e32 v25, v27, v26
.LBB8_310:
	s_or_b64 exec, exec, s[0:1]
	v_xor_b32_e32 v25, 0x80000000, v25
.LBB8_311:
	s_or_b64 exec, exec, s[16:17]
	s_and_saveexec_b64 s[0:1], s[30:31]
; %bb.312:
	ds_write_b32 v3, v25
; %bb.313:
	s_or_b64 exec, exec, s[0:1]
	s_waitcnt lgkmcnt(0)
	s_barrier
	s_and_saveexec_b64 s[0:1], s[28:29]
	s_cbranch_execz .LBB8_315
; %bb.314:
	v_mov_b32_e32 v26, 0
	ds_read_b32 v26, v26 offset:4684
	ds_read_b32 v27, v3
	s_waitcnt lgkmcnt(0)
	v_fmac_f32_e32 v25, v26, v27
.LBB8_315:
	s_or_b64 exec, exec, s[0:1]
	s_barrier
	s_and_saveexec_b64 s[0:1], s[28:29]
; %bb.316:
	ds_write_b32 v3, v25
; %bb.317:
	s_or_b64 exec, exec, s[0:1]
	s_waitcnt lgkmcnt(0)
	s_barrier
	s_barrier
	s_and_saveexec_b64 s[0:1], s[2:3]
; %bb.318:
	v_xor_b32_e32 v25, 0x80000000, v25
	ds_write_b32 v2, v25 offset:4168
; %bb.319:
	s_or_b64 exec, exec, s[0:1]
	s_waitcnt lgkmcnt(0)
	s_barrier
	s_barrier
	s_and_saveexec_b64 s[0:1], s[34:35]
	s_cbranch_execz .LBB8_321
; %bb.320:
	v_lshlrev_b32_e32 v25, 2, v0
	s_movk_i32 s14, 0xfc
	v_mad_u32_u24 v26, v0, s14, v25
	ds_read_b32 v27, v26 offset:4168
	s_waitcnt lgkmcnt(0)
	ds_write_b32 v25, v27 offset:4672
	ds_read_b32 v26, v26 offset:4172
	s_waitcnt lgkmcnt(0)
	ds_write_b32 v25, v26 offset:4928
.LBB8_321:
	s_or_b64 exec, exec, s[0:1]
	s_waitcnt lgkmcnt(0)
	s_barrier
	s_and_saveexec_b64 s[14:15], vcc
	s_cbranch_execz .LBB8_323
; %bb.322:
	v_mov_b32_e32 v27, 0
	ds_read_b32 v25, v27 offset:4684
	v_mov_b32_e32 v26, 1.0
	ds_write_b32 v27, v26 offset:4680
	s_waitcnt lgkmcnt(1)
	ds_write_b64 v27, v[25:26] offset:4936
.LBB8_323:
	s_or_b64 exec, exec, s[14:15]
	v_mov_b32_e32 v25, 0
	s_waitcnt lgkmcnt(0)
	s_barrier
	s_and_saveexec_b64 s[16:17], s[18:19]
	s_cbranch_execz .LBB8_329
; %bb.324:
	v_mul_u32_u24_e32 v26, 0x104, v14
	ds_read_b32 v25, v10 offset:4176
	ds_read_b32 v27, v26 offset:4160
	v_cmp_gt_u32_e64 s[14:15], 12, v4
	s_waitcnt lgkmcnt(0)
	v_fma_f32 v25, v25, v27, 0
	s_and_saveexec_b64 s[20:21], s[14:15]
	s_cbranch_execnz .LBB8_1184
; %bb.325:
	s_or_b64 exec, exec, s[20:21]
	v_cmp_gt_u32_e64 s[14:15], 8, v4
	s_and_saveexec_b64 s[0:1], s[14:15]
	s_cbranch_execnz .LBB8_1185
.LBB8_326:
	s_or_b64 exec, exec, s[0:1]
	v_cmp_gt_u32_e64 s[14:15], 4, v4
	s_and_saveexec_b64 s[20:21], s[14:15]
	s_cbranch_execz .LBB8_328
.LBB8_327:
	v_lshlrev_b32_e32 v26, 2, v0
	v_mov_b32_e32 v27, 0
	ds_read_b32 v26, v26 offset:4944
	ds_read_b32 v27, v27 offset:4172
	s_waitcnt lgkmcnt(0)
	v_fmac_f32_e32 v25, v26, v27
.LBB8_328:
	s_or_b64 exec, exec, s[20:21]
	v_xor_b32_e32 v25, 0x80000000, v25
.LBB8_329:
	s_or_b64 exec, exec, s[16:17]
	s_and_saveexec_b64 s[0:1], s[38:39]
; %bb.330:
	ds_write_b32 v12, v25
; %bb.331:
	s_or_b64 exec, exec, s[0:1]
	s_waitcnt lgkmcnt(0)
	s_barrier
	s_and_saveexec_b64 s[0:1], s[42:43]
	s_cbranch_execz .LBB8_333
; %bb.332:
	ds_read_b32 v26, v11 offset:5200
	ds_read_b32 v27, v12
	s_waitcnt lgkmcnt(0)
	v_fmac_f32_e32 v25, v26, v27
.LBB8_333:
	s_or_b64 exec, exec, s[0:1]
	s_barrier
	s_and_saveexec_b64 s[0:1], s[44:45]
; %bb.334:
	ds_write_b32 v12, v25
; %bb.335:
	s_or_b64 exec, exec, s[0:1]
	s_waitcnt lgkmcnt(0)
	s_barrier
	s_and_saveexec_b64 s[0:1], s[52:53]
	s_cbranch_execz .LBB8_337
; %bb.336:
	ds_read_b32 v26, v11 offset:5456
	ds_read_b32 v27, v12
	s_waitcnt lgkmcnt(0)
	v_fmac_f32_e32 v25, v26, v27
.LBB8_337:
	s_or_b64 exec, exec, s[0:1]
	s_barrier
	s_and_saveexec_b64 s[0:1], s[54:55]
; %bb.338:
	ds_write_b32 v12, v25
; %bb.339:
	s_or_b64 exec, exec, s[0:1]
	s_waitcnt lgkmcnt(0)
	s_barrier
	s_and_saveexec_b64 s[0:1], s[36:37]
	s_cbranch_execz .LBB8_341
; %bb.340:
	v_mov_b32_e32 v26, 0
	ds_read_b32 v26, v26 offset:5724
	ds_read_b32 v27, v12
	s_waitcnt lgkmcnt(0)
	v_fmac_f32_e32 v25, v26, v27
.LBB8_341:
	s_or_b64 exec, exec, s[0:1]
	s_barrier
	s_and_saveexec_b64 s[0:1], s[36:37]
; %bb.342:
	ds_write_b32 v12, v25
; %bb.343:
	s_or_b64 exec, exec, s[0:1]
	s_waitcnt lgkmcnt(0)
	s_barrier
	s_barrier
	s_and_saveexec_b64 s[0:1], s[18:19]
; %bb.344:
	v_xor_b32_e32 v25, 0x80000000, v25
	ds_write_b32 v10, v25 offset:4176
; %bb.345:
	s_or_b64 exec, exec, s[0:1]
	s_waitcnt lgkmcnt(0)
	s_barrier
	s_barrier
	s_and_saveexec_b64 s[14:15], s[56:57]
	s_cbranch_execz .LBB8_347
; %bb.346:
	v_lshlrev_b32_e32 v25, 8, v0
	ds_read_b32 v26, v25 offset:4176
	s_movk_i32 s0, 0xff04
	v_mad_i32_i24 v27, v0, s0, v25
	s_waitcnt lgkmcnt(0)
	ds_write_b32 v27, v26 offset:5184
	ds_read_b32 v26, v25 offset:4180
	s_waitcnt lgkmcnt(0)
	ds_write_b32 v27, v26 offset:5440
	ds_read_b32 v26, v25 offset:4184
	;; [unrolled: 3-line block ×3, first 2 shown]
	s_waitcnt lgkmcnt(0)
	ds_write_b32 v27, v25 offset:5952
.LBB8_347:
	s_or_b64 exec, exec, s[14:15]
	s_waitcnt lgkmcnt(0)
	s_barrier
	s_and_saveexec_b64 s[14:15], vcc
	s_cbranch_execz .LBB8_349
; %bb.348:
	v_mov_b32_e32 v27, 0
	ds_read_b32 v25, v27 offset:5204
	v_mov_b32_e32 v26, 1.0
	ds_write_b32 v27, v26 offset:5200
	s_waitcnt lgkmcnt(1)
	ds_write_b64 v27, v[25:26] offset:5456
.LBB8_349:
	s_or_b64 exec, exec, s[14:15]
	v_mov_b32_e32 v25, 0
	s_waitcnt lgkmcnt(0)
	s_barrier
	s_and_saveexec_b64 s[16:17], s[2:3]
	s_cbranch_execz .LBB8_353
; %bb.350:
	v_mul_u32_u24_e32 v25, 0x104, v5
	ds_read_b32 v27, v2 offset:5208
	ds_read_b32 v25, v25 offset:5200
	v_mov_b32_e32 v26, 0
	v_cmp_gt_u32_e64 s[14:15], 2, v4
	s_waitcnt lgkmcnt(0)
	v_fma_f32 v25, v27, v25, 0
	s_and_saveexec_b64 s[0:1], s[14:15]
	s_cbranch_execz .LBB8_352
; %bb.351:
	v_lshlrev_b32_e32 v27, 2, v0
	ds_read_b32 v27, v27 offset:5464
	ds_read_b32 v26, v26 offset:5204
	s_waitcnt lgkmcnt(0)
	v_fmac_f32_e32 v25, v27, v26
.LBB8_352:
	s_or_b64 exec, exec, s[0:1]
	v_xor_b32_e32 v25, 0x80000000, v25
.LBB8_353:
	s_or_b64 exec, exec, s[16:17]
	s_and_saveexec_b64 s[0:1], s[30:31]
; %bb.354:
	ds_write_b32 v3, v25
; %bb.355:
	s_or_b64 exec, exec, s[0:1]
	s_waitcnt lgkmcnt(0)
	s_barrier
	s_and_saveexec_b64 s[0:1], s[28:29]
	s_cbranch_execz .LBB8_357
; %bb.356:
	v_mov_b32_e32 v26, 0
	ds_read_b32 v26, v26 offset:5724
	ds_read_b32 v27, v3
	s_waitcnt lgkmcnt(0)
	v_fmac_f32_e32 v25, v26, v27
.LBB8_357:
	s_or_b64 exec, exec, s[0:1]
	s_barrier
	s_and_saveexec_b64 s[0:1], s[28:29]
; %bb.358:
	ds_write_b32 v3, v25
; %bb.359:
	s_or_b64 exec, exec, s[0:1]
	s_waitcnt lgkmcnt(0)
	s_barrier
	s_barrier
	s_and_saveexec_b64 s[0:1], s[2:3]
; %bb.360:
	v_xor_b32_e32 v25, 0x80000000, v25
	ds_write_b32 v2, v25 offset:5208
; %bb.361:
	s_or_b64 exec, exec, s[0:1]
	s_waitcnt lgkmcnt(0)
	s_barrier
	s_barrier
	s_and_saveexec_b64 s[0:1], s[34:35]
	s_cbranch_execz .LBB8_363
; %bb.362:
	v_lshlrev_b32_e32 v25, 2, v0
	s_movk_i32 s14, 0xfc
	v_mad_u32_u24 v26, v0, s14, v25
	ds_read_b32 v27, v26 offset:5208
	s_waitcnt lgkmcnt(0)
	ds_write_b32 v25, v27 offset:5712
	ds_read_b32 v26, v26 offset:5212
	s_waitcnt lgkmcnt(0)
	ds_write_b32 v25, v26 offset:5968
.LBB8_363:
	s_or_b64 exec, exec, s[0:1]
	s_waitcnt lgkmcnt(0)
	s_barrier
	s_and_saveexec_b64 s[14:15], vcc
	s_cbranch_execz .LBB8_365
; %bb.364:
	v_mov_b32_e32 v27, 0
	ds_read_b32 v25, v27 offset:5724
	v_mov_b32_e32 v26, 1.0
	ds_write_b32 v27, v26 offset:5720
	s_waitcnt lgkmcnt(1)
	ds_write_b64 v27, v[25:26] offset:5976
.LBB8_365:
	s_or_b64 exec, exec, s[14:15]
	v_mov_b32_e32 v25, 0
	s_waitcnt lgkmcnt(0)
	s_barrier
	s_and_saveexec_b64 s[16:17], s[8:9]
	s_cbranch_execz .LBB8_375
; %bb.366:
	v_mul_u32_u24_e32 v26, 0x104, v19
	ds_read_b32 v25, v15 offset:4192
	ds_read_b32 v27, v26 offset:4160
	v_cmp_gt_u32_e64 s[14:15], 56, v4
	s_waitcnt lgkmcnt(0)
	v_fma_f32 v25, v25, v27, 0
	s_and_saveexec_b64 s[20:21], s[14:15]
	s_cbranch_execnz .LBB8_1186
; %bb.367:
	s_or_b64 exec, exec, s[20:21]
	v_cmp_gt_u32_e64 s[14:15], 48, v4
	s_and_saveexec_b64 s[20:21], s[14:15]
	s_cbranch_execnz .LBB8_1187
.LBB8_368:
	s_or_b64 exec, exec, s[20:21]
	v_cmp_gt_u32_e64 s[14:15], 40, v4
	s_and_saveexec_b64 s[20:21], s[14:15]
	s_cbranch_execnz .LBB8_1188
.LBB8_369:
	s_or_b64 exec, exec, s[20:21]
	v_cmp_gt_u32_e64 s[14:15], 32, v4
	s_and_saveexec_b64 s[0:1], s[14:15]
	s_cbranch_execnz .LBB8_1189
.LBB8_370:
	s_or_b64 exec, exec, s[0:1]
	v_cmp_gt_u32_e64 s[14:15], 24, v4
	s_and_saveexec_b64 s[20:21], s[14:15]
	s_cbranch_execnz .LBB8_1190
.LBB8_371:
	s_or_b64 exec, exec, s[20:21]
	v_cmp_gt_u32_e64 s[14:15], 16, v4
	s_and_saveexec_b64 s[0:1], s[14:15]
	s_cbranch_execnz .LBB8_1191
.LBB8_372:
	s_or_b64 exec, exec, s[0:1]
	v_cmp_gt_u32_e64 s[14:15], 8, v4
	s_and_saveexec_b64 s[20:21], s[14:15]
	s_cbranch_execz .LBB8_374
.LBB8_373:
	v_lshlrev_b32_e32 v26, 2, v0
	v_mov_b32_e32 v27, 0
	ds_read_b32 v26, v26 offset:5984
	ds_read_b32 v27, v27 offset:4188
	s_waitcnt lgkmcnt(0)
	v_fmac_f32_e32 v25, v26, v27
.LBB8_374:
	s_or_b64 exec, exec, s[20:21]
	v_xor_b32_e32 v25, 0x80000000, v25
.LBB8_375:
	s_or_b64 exec, exec, s[16:17]
	s_and_saveexec_b64 s[0:1], s[58:59]
; %bb.376:
	ds_write_b32 v17, v25
; %bb.377:
	s_or_b64 exec, exec, s[0:1]
	s_waitcnt lgkmcnt(0)
	s_barrier
	s_and_saveexec_b64 s[0:1], s[60:61]
	s_cbranch_execz .LBB8_379
; %bb.378:
	ds_read_b32 v26, v16 offset:6240
	ds_read_b32 v27, v17
	s_waitcnt lgkmcnt(0)
	v_fmac_f32_e32 v25, v26, v27
.LBB8_379:
	s_or_b64 exec, exec, s[0:1]
	s_barrier
	s_and_saveexec_b64 s[0:1], s[62:63]
; %bb.380:
	ds_write_b32 v17, v25
; %bb.381:
	s_or_b64 exec, exec, s[0:1]
	s_waitcnt lgkmcnt(0)
	s_barrier
	s_and_saveexec_b64 s[0:1], s[64:65]
	s_cbranch_execz .LBB8_383
; %bb.382:
	ds_read_b32 v26, v16 offset:6496
	ds_read_b32 v27, v17
	s_waitcnt lgkmcnt(0)
	v_fmac_f32_e32 v25, v26, v27
.LBB8_383:
	s_or_b64 exec, exec, s[0:1]
	s_barrier
	;; [unrolled: 17-line block ×6, first 2 shown]
	s_and_saveexec_b64 s[0:1], s[84:85]
; %bb.400:
	ds_write_b32 v17, v25
; %bb.401:
	s_or_b64 exec, exec, s[0:1]
	s_waitcnt lgkmcnt(0)
	s_barrier
	s_and_saveexec_b64 s[0:1], s[66:67]
	s_cbranch_execz .LBB8_403
; %bb.402:
	v_mov_b32_e32 v26, 0
	ds_read_b32 v26, v26 offset:7804
	ds_read_b32 v27, v17
	s_waitcnt lgkmcnt(0)
	v_fmac_f32_e32 v25, v26, v27
.LBB8_403:
	s_or_b64 exec, exec, s[0:1]
	s_barrier
	s_and_saveexec_b64 s[0:1], s[66:67]
; %bb.404:
	ds_write_b32 v17, v25
; %bb.405:
	s_or_b64 exec, exec, s[0:1]
	s_waitcnt lgkmcnt(0)
	s_barrier
	s_barrier
	s_and_saveexec_b64 s[0:1], s[8:9]
; %bb.406:
	v_xor_b32_e32 v25, 0x80000000, v25
	ds_write_b32 v15, v25 offset:4192
; %bb.407:
	s_or_b64 exec, exec, s[0:1]
	s_waitcnt lgkmcnt(0)
	s_barrier
	s_barrier
	s_and_saveexec_b64 s[14:15], s[86:87]
	s_cbranch_execz .LBB8_409
; %bb.408:
	v_lshlrev_b32_e32 v25, 8, v0
	ds_read_b32 v26, v25 offset:4192
	s_movk_i32 s0, 0xff04
	v_mad_i32_i24 v27, v0, s0, v25
	s_waitcnt lgkmcnt(0)
	ds_write_b32 v27, v26 offset:6208
	ds_read_b32 v26, v25 offset:4196
	s_waitcnt lgkmcnt(0)
	ds_write_b32 v27, v26 offset:6464
	ds_read_b32 v26, v25 offset:4200
	;; [unrolled: 3-line block ×7, first 2 shown]
	s_waitcnt lgkmcnt(0)
	ds_write_b32 v27, v25 offset:8000
.LBB8_409:
	s_or_b64 exec, exec, s[14:15]
	s_waitcnt lgkmcnt(0)
	s_barrier
	s_and_saveexec_b64 s[14:15], vcc
	s_cbranch_execz .LBB8_411
; %bb.410:
	v_mov_b32_e32 v27, 0
	ds_read_b32 v25, v27 offset:6244
	v_mov_b32_e32 v26, 1.0
	ds_write_b32 v27, v26 offset:6240
	s_waitcnt lgkmcnt(1)
	ds_write_b64 v27, v[25:26] offset:6496
.LBB8_411:
	s_or_b64 exec, exec, s[14:15]
	v_mov_b32_e32 v25, 0
	s_waitcnt lgkmcnt(0)
	s_barrier
	s_and_saveexec_b64 s[16:17], s[2:3]
	s_cbranch_execz .LBB8_415
; %bb.412:
	v_mul_u32_u24_e32 v25, 0x104, v5
	ds_read_b32 v27, v2 offset:6248
	ds_read_b32 v25, v25 offset:6240
	v_mov_b32_e32 v26, 0
	v_cmp_gt_u32_e64 s[14:15], 2, v4
	s_waitcnt lgkmcnt(0)
	v_fma_f32 v25, v27, v25, 0
	s_and_saveexec_b64 s[0:1], s[14:15]
	s_cbranch_execz .LBB8_414
; %bb.413:
	v_lshlrev_b32_e32 v27, 2, v0
	ds_read_b32 v27, v27 offset:6504
	ds_read_b32 v26, v26 offset:6244
	s_waitcnt lgkmcnt(0)
	v_fmac_f32_e32 v25, v27, v26
.LBB8_414:
	s_or_b64 exec, exec, s[0:1]
	v_xor_b32_e32 v25, 0x80000000, v25
.LBB8_415:
	s_or_b64 exec, exec, s[16:17]
	s_and_saveexec_b64 s[0:1], s[30:31]
; %bb.416:
	ds_write_b32 v3, v25
; %bb.417:
	s_or_b64 exec, exec, s[0:1]
	s_waitcnt lgkmcnt(0)
	s_barrier
	s_and_saveexec_b64 s[0:1], s[28:29]
	s_cbranch_execz .LBB8_419
; %bb.418:
	v_mov_b32_e32 v26, 0
	ds_read_b32 v26, v26 offset:6764
	ds_read_b32 v27, v3
	s_waitcnt lgkmcnt(0)
	v_fmac_f32_e32 v25, v26, v27
.LBB8_419:
	s_or_b64 exec, exec, s[0:1]
	s_barrier
	s_and_saveexec_b64 s[0:1], s[28:29]
; %bb.420:
	ds_write_b32 v3, v25
; %bb.421:
	s_or_b64 exec, exec, s[0:1]
	s_waitcnt lgkmcnt(0)
	s_barrier
	s_barrier
	s_and_saveexec_b64 s[0:1], s[2:3]
; %bb.422:
	v_xor_b32_e32 v25, 0x80000000, v25
	ds_write_b32 v2, v25 offset:6248
; %bb.423:
	s_or_b64 exec, exec, s[0:1]
	s_waitcnt lgkmcnt(0)
	s_barrier
	s_barrier
	s_and_saveexec_b64 s[0:1], s[34:35]
	s_cbranch_execz .LBB8_425
; %bb.424:
	v_lshlrev_b32_e32 v25, 2, v0
	s_movk_i32 s14, 0xfc
	v_mad_u32_u24 v26, v0, s14, v25
	ds_read_b32 v27, v26 offset:6248
	s_waitcnt lgkmcnt(0)
	ds_write_b32 v25, v27 offset:6752
	ds_read_b32 v26, v26 offset:6252
	s_waitcnt lgkmcnt(0)
	ds_write_b32 v25, v26 offset:7008
.LBB8_425:
	s_or_b64 exec, exec, s[0:1]
	s_waitcnt lgkmcnt(0)
	s_barrier
	s_and_saveexec_b64 s[14:15], vcc
	s_cbranch_execz .LBB8_427
; %bb.426:
	v_mov_b32_e32 v27, 0
	ds_read_b32 v25, v27 offset:6764
	v_mov_b32_e32 v26, 1.0
	ds_write_b32 v27, v26 offset:6760
	s_waitcnt lgkmcnt(1)
	ds_write_b64 v27, v[25:26] offset:7016
.LBB8_427:
	s_or_b64 exec, exec, s[14:15]
	v_mov_b32_e32 v25, 0
	s_waitcnt lgkmcnt(0)
	s_barrier
	s_and_saveexec_b64 s[16:17], s[18:19]
	s_cbranch_execz .LBB8_433
; %bb.428:
	v_mul_u32_u24_e32 v26, 0x104, v14
	ds_read_b32 v25, v10 offset:6256
	ds_read_b32 v27, v26 offset:6240
	v_cmp_gt_u32_e64 s[14:15], 12, v4
	s_waitcnt lgkmcnt(0)
	v_fma_f32 v25, v25, v27, 0
	s_and_saveexec_b64 s[20:21], s[14:15]
	s_cbranch_execnz .LBB8_1192
; %bb.429:
	s_or_b64 exec, exec, s[20:21]
	v_cmp_gt_u32_e64 s[14:15], 8, v4
	s_and_saveexec_b64 s[0:1], s[14:15]
	s_cbranch_execnz .LBB8_1193
.LBB8_430:
	s_or_b64 exec, exec, s[0:1]
	v_cmp_gt_u32_e64 s[14:15], 4, v4
	s_and_saveexec_b64 s[20:21], s[14:15]
	s_cbranch_execz .LBB8_432
.LBB8_431:
	v_lshlrev_b32_e32 v26, 2, v0
	v_mov_b32_e32 v27, 0
	ds_read_b32 v26, v26 offset:7024
	ds_read_b32 v27, v27 offset:6252
	s_waitcnt lgkmcnt(0)
	v_fmac_f32_e32 v25, v26, v27
.LBB8_432:
	s_or_b64 exec, exec, s[20:21]
	v_xor_b32_e32 v25, 0x80000000, v25
.LBB8_433:
	s_or_b64 exec, exec, s[16:17]
	s_and_saveexec_b64 s[0:1], s[38:39]
; %bb.434:
	ds_write_b32 v12, v25
; %bb.435:
	s_or_b64 exec, exec, s[0:1]
	s_waitcnt lgkmcnt(0)
	s_barrier
	s_and_saveexec_b64 s[0:1], s[42:43]
	s_cbranch_execz .LBB8_437
; %bb.436:
	ds_read_b32 v26, v11 offset:7280
	ds_read_b32 v27, v12
	s_waitcnt lgkmcnt(0)
	v_fmac_f32_e32 v25, v26, v27
.LBB8_437:
	s_or_b64 exec, exec, s[0:1]
	s_barrier
	s_and_saveexec_b64 s[0:1], s[44:45]
; %bb.438:
	ds_write_b32 v12, v25
; %bb.439:
	s_or_b64 exec, exec, s[0:1]
	s_waitcnt lgkmcnt(0)
	s_barrier
	s_and_saveexec_b64 s[0:1], s[52:53]
	s_cbranch_execz .LBB8_441
; %bb.440:
	ds_read_b32 v26, v11 offset:7536
	ds_read_b32 v27, v12
	s_waitcnt lgkmcnt(0)
	v_fmac_f32_e32 v25, v26, v27
.LBB8_441:
	s_or_b64 exec, exec, s[0:1]
	s_barrier
	s_and_saveexec_b64 s[0:1], s[54:55]
; %bb.442:
	ds_write_b32 v12, v25
; %bb.443:
	s_or_b64 exec, exec, s[0:1]
	s_waitcnt lgkmcnt(0)
	s_barrier
	s_and_saveexec_b64 s[0:1], s[36:37]
	s_cbranch_execz .LBB8_445
; %bb.444:
	v_mov_b32_e32 v26, 0
	ds_read_b32 v26, v26 offset:7804
	ds_read_b32 v27, v12
	s_waitcnt lgkmcnt(0)
	v_fmac_f32_e32 v25, v26, v27
.LBB8_445:
	s_or_b64 exec, exec, s[0:1]
	s_barrier
	s_and_saveexec_b64 s[0:1], s[36:37]
; %bb.446:
	ds_write_b32 v12, v25
; %bb.447:
	s_or_b64 exec, exec, s[0:1]
	s_waitcnt lgkmcnt(0)
	s_barrier
	s_barrier
	s_and_saveexec_b64 s[0:1], s[18:19]
; %bb.448:
	v_xor_b32_e32 v25, 0x80000000, v25
	ds_write_b32 v10, v25 offset:6256
; %bb.449:
	s_or_b64 exec, exec, s[0:1]
	s_waitcnt lgkmcnt(0)
	s_barrier
	s_barrier
	s_and_saveexec_b64 s[14:15], s[56:57]
	s_cbranch_execz .LBB8_451
; %bb.450:
	v_lshlrev_b32_e32 v25, 8, v0
	ds_read_b32 v26, v25 offset:6256
	s_movk_i32 s0, 0xff04
	v_mad_i32_i24 v27, v0, s0, v25
	s_waitcnt lgkmcnt(0)
	ds_write_b32 v27, v26 offset:7264
	ds_read_b32 v26, v25 offset:6260
	s_waitcnt lgkmcnt(0)
	ds_write_b32 v27, v26 offset:7520
	ds_read_b32 v26, v25 offset:6264
	;; [unrolled: 3-line block ×3, first 2 shown]
	s_waitcnt lgkmcnt(0)
	ds_write_b32 v27, v25 offset:8032
.LBB8_451:
	s_or_b64 exec, exec, s[14:15]
	s_waitcnt lgkmcnt(0)
	s_barrier
	s_and_saveexec_b64 s[14:15], vcc
	s_cbranch_execz .LBB8_453
; %bb.452:
	v_mov_b32_e32 v27, 0
	ds_read_b32 v25, v27 offset:7284
	v_mov_b32_e32 v26, 1.0
	ds_write_b32 v27, v26 offset:7280
	s_waitcnt lgkmcnt(1)
	ds_write_b64 v27, v[25:26] offset:7536
.LBB8_453:
	s_or_b64 exec, exec, s[14:15]
	v_mov_b32_e32 v25, 0
	s_waitcnt lgkmcnt(0)
	s_barrier
	s_and_saveexec_b64 s[16:17], s[2:3]
	s_cbranch_execz .LBB8_457
; %bb.454:
	v_mul_u32_u24_e32 v25, 0x104, v5
	ds_read_b32 v27, v2 offset:7288
	ds_read_b32 v25, v25 offset:7280
	v_mov_b32_e32 v26, 0
	v_cmp_gt_u32_e64 s[14:15], 2, v4
	s_waitcnt lgkmcnt(0)
	v_fma_f32 v25, v27, v25, 0
	s_and_saveexec_b64 s[0:1], s[14:15]
	s_cbranch_execz .LBB8_456
; %bb.455:
	v_lshlrev_b32_e32 v27, 2, v0
	ds_read_b32 v27, v27 offset:7544
	ds_read_b32 v26, v26 offset:7284
	s_waitcnt lgkmcnt(0)
	v_fmac_f32_e32 v25, v27, v26
.LBB8_456:
	s_or_b64 exec, exec, s[0:1]
	v_xor_b32_e32 v25, 0x80000000, v25
.LBB8_457:
	s_or_b64 exec, exec, s[16:17]
	s_and_saveexec_b64 s[0:1], s[30:31]
; %bb.458:
	ds_write_b32 v3, v25
; %bb.459:
	s_or_b64 exec, exec, s[0:1]
	s_waitcnt lgkmcnt(0)
	s_barrier
	s_and_saveexec_b64 s[0:1], s[28:29]
	s_cbranch_execz .LBB8_461
; %bb.460:
	v_mov_b32_e32 v26, 0
	ds_read_b32 v26, v26 offset:7804
	ds_read_b32 v27, v3
	s_waitcnt lgkmcnt(0)
	v_fmac_f32_e32 v25, v26, v27
.LBB8_461:
	s_or_b64 exec, exec, s[0:1]
	s_barrier
	s_and_saveexec_b64 s[0:1], s[28:29]
; %bb.462:
	ds_write_b32 v3, v25
; %bb.463:
	s_or_b64 exec, exec, s[0:1]
	s_waitcnt lgkmcnt(0)
	s_barrier
	s_barrier
	s_and_saveexec_b64 s[0:1], s[2:3]
; %bb.464:
	v_xor_b32_e32 v25, 0x80000000, v25
	ds_write_b32 v2, v25 offset:7288
; %bb.465:
	s_or_b64 exec, exec, s[0:1]
	s_waitcnt lgkmcnt(0)
	s_barrier
	s_barrier
	s_and_saveexec_b64 s[0:1], s[34:35]
	s_cbranch_execz .LBB8_467
; %bb.466:
	v_lshlrev_b32_e32 v25, 2, v0
	s_movk_i32 s14, 0xfc
	v_mad_u32_u24 v26, v0, s14, v25
	ds_read_b32 v27, v26 offset:7288
	s_waitcnt lgkmcnt(0)
	ds_write_b32 v25, v27 offset:7792
	ds_read_b32 v26, v26 offset:7292
	s_waitcnt lgkmcnt(0)
	ds_write_b32 v25, v26 offset:8048
.LBB8_467:
	s_or_b64 exec, exec, s[0:1]
	s_waitcnt lgkmcnt(0)
	s_barrier
	s_and_saveexec_b64 s[14:15], vcc
	s_cbranch_execz .LBB8_469
; %bb.468:
	v_mov_b32_e32 v27, 0
	ds_read_b32 v25, v27 offset:7804
	v_mov_b32_e32 v26, 1.0
	ds_write_b32 v27, v26 offset:7800
	s_waitcnt lgkmcnt(1)
	ds_write_b64 v27, v[25:26] offset:8056
.LBB8_469:
	s_or_b64 exec, exec, s[14:15]
	v_and_b32_e32 v26, 31, v0
	s_movk_i32 s0, 0x3ff
	v_lshrrev_b32_e32 v29, 5, v4
	v_cmp_lt_u32_e64 s[16:17], s0, v4
	s_movk_i32 s0, 0x400
	v_lshlrev_b32_e32 v27, 2, v26
	v_cmp_gt_u32_e64 s[14:15], s0, v4
	v_lshl_or_b32 v25, v29, 8, v27
	v_mov_b32_e32 v28, 0
	s_waitcnt lgkmcnt(0)
	s_barrier
	s_and_saveexec_b64 s[94:95], s[14:15]
	s_cbranch_execz .LBB8_531
; %bb.470:
	v_mul_u32_u24_e32 v30, 0x104, v29
	ds_read_b32 v28, v25 offset:128
	ds_read_b32 v31, v30
	s_movk_i32 s0, 0x3e0
	v_cmp_gt_u32_e64 s[20:21], s0, v4
	s_waitcnt lgkmcnt(0)
	v_fma_f32 v28, v28, v31, 0
	s_and_saveexec_b64 s[0:1], s[20:21]
	s_cbranch_execz .LBB8_472
; %bb.471:
	ds_read_b32 v31, v25 offset:384
	ds_read_b32 v32, v30 offset:4
	s_waitcnt lgkmcnt(0)
	v_fmac_f32_e32 v28, v31, v32
.LBB8_472:
	s_or_b64 exec, exec, s[0:1]
	s_movk_i32 s0, 0x3c0
	v_cmp_gt_u32_e64 s[20:21], s0, v4
	s_and_saveexec_b64 s[0:1], s[20:21]
	s_cbranch_execz .LBB8_474
; %bb.473:
	ds_read_b32 v31, v25 offset:640
	ds_read_b32 v32, v30 offset:8
	s_waitcnt lgkmcnt(0)
	v_fmac_f32_e32 v28, v31, v32
.LBB8_474:
	s_or_b64 exec, exec, s[0:1]
	s_movk_i32 s0, 0x3a0
	v_cmp_gt_u32_e64 s[20:21], s0, v4
	s_and_saveexec_b64 s[0:1], s[20:21]
	s_cbranch_execz .LBB8_476
; %bb.475:
	ds_read_b32 v31, v25 offset:896
	ds_read_b32 v32, v30 offset:12
	s_waitcnt lgkmcnt(0)
	v_fmac_f32_e32 v28, v31, v32
.LBB8_476:
	s_or_b64 exec, exec, s[0:1]
	s_movk_i32 s0, 0x380
	v_cmp_gt_u32_e64 s[20:21], s0, v4
	s_and_saveexec_b64 s[0:1], s[20:21]
	s_cbranch_execz .LBB8_478
; %bb.477:
	ds_read_b32 v31, v25 offset:1152
	ds_read_b32 v32, v30 offset:16
	s_waitcnt lgkmcnt(0)
	v_fmac_f32_e32 v28, v31, v32
.LBB8_478:
	s_or_b64 exec, exec, s[0:1]
	s_movk_i32 s0, 0x360
	v_cmp_gt_u32_e64 s[20:21], s0, v4
	s_and_saveexec_b64 s[0:1], s[20:21]
	s_cbranch_execz .LBB8_480
; %bb.479:
	ds_read_b32 v31, v25 offset:1408
	ds_read_b32 v32, v30 offset:20
	s_waitcnt lgkmcnt(0)
	v_fmac_f32_e32 v28, v31, v32
.LBB8_480:
	s_or_b64 exec, exec, s[0:1]
	s_movk_i32 s0, 0x340
	v_cmp_gt_u32_e64 s[20:21], s0, v4
	s_and_saveexec_b64 s[0:1], s[20:21]
	s_cbranch_execz .LBB8_482
; %bb.481:
	ds_read_b32 v31, v25 offset:1664
	ds_read_b32 v32, v30 offset:24
	s_waitcnt lgkmcnt(0)
	v_fmac_f32_e32 v28, v31, v32
.LBB8_482:
	s_or_b64 exec, exec, s[0:1]
	s_movk_i32 s0, 0x320
	v_cmp_gt_u32_e64 s[20:21], s0, v4
	s_and_saveexec_b64 s[0:1], s[20:21]
	s_cbranch_execz .LBB8_484
; %bb.483:
	ds_read_b32 v31, v25 offset:1920
	ds_read_b32 v32, v30 offset:28
	s_waitcnt lgkmcnt(0)
	v_fmac_f32_e32 v28, v31, v32
.LBB8_484:
	s_or_b64 exec, exec, s[0:1]
	s_movk_i32 s0, 0x300
	v_cmp_gt_u32_e64 s[20:21], s0, v4
	s_and_saveexec_b64 s[0:1], s[20:21]
	s_cbranch_execz .LBB8_486
; %bb.485:
	ds_read_b32 v31, v25 offset:2176
	ds_read_b32 v32, v30 offset:32
	s_waitcnt lgkmcnt(0)
	v_fmac_f32_e32 v28, v31, v32
.LBB8_486:
	s_or_b64 exec, exec, s[0:1]
	s_movk_i32 s0, 0x2e0
	v_cmp_gt_u32_e64 s[20:21], s0, v4
	s_and_saveexec_b64 s[0:1], s[20:21]
	s_cbranch_execz .LBB8_488
; %bb.487:
	ds_read_b32 v31, v25 offset:2432
	ds_read_b32 v32, v30 offset:36
	s_waitcnt lgkmcnt(0)
	v_fmac_f32_e32 v28, v31, v32
.LBB8_488:
	s_or_b64 exec, exec, s[0:1]
	s_movk_i32 s0, 0x2c0
	v_cmp_gt_u32_e64 s[20:21], s0, v4
	s_and_saveexec_b64 s[0:1], s[20:21]
	s_cbranch_execz .LBB8_490
; %bb.489:
	ds_read_b32 v31, v25 offset:2688
	ds_read_b32 v32, v30 offset:40
	s_waitcnt lgkmcnt(0)
	v_fmac_f32_e32 v28, v31, v32
.LBB8_490:
	s_or_b64 exec, exec, s[0:1]
	s_movk_i32 s0, 0x2a0
	v_cmp_gt_u32_e64 s[20:21], s0, v4
	s_and_saveexec_b64 s[0:1], s[20:21]
	s_cbranch_execz .LBB8_492
; %bb.491:
	ds_read_b32 v31, v25 offset:2944
	ds_read_b32 v32, v30 offset:44
	s_waitcnt lgkmcnt(0)
	v_fmac_f32_e32 v28, v31, v32
.LBB8_492:
	s_or_b64 exec, exec, s[0:1]
	s_movk_i32 s0, 0x280
	v_cmp_gt_u32_e64 s[20:21], s0, v4
	s_and_saveexec_b64 s[0:1], s[20:21]
	s_cbranch_execz .LBB8_494
; %bb.493:
	ds_read_b32 v31, v25 offset:3200
	ds_read_b32 v32, v30 offset:48
	s_waitcnt lgkmcnt(0)
	v_fmac_f32_e32 v28, v31, v32
.LBB8_494:
	s_or_b64 exec, exec, s[0:1]
	s_movk_i32 s0, 0x260
	v_cmp_gt_u32_e64 s[20:21], s0, v4
	s_and_saveexec_b64 s[0:1], s[20:21]
	s_cbranch_execz .LBB8_496
; %bb.495:
	ds_read_b32 v31, v25 offset:3456
	ds_read_b32 v32, v30 offset:52
	s_waitcnt lgkmcnt(0)
	v_fmac_f32_e32 v28, v31, v32
.LBB8_496:
	s_or_b64 exec, exec, s[0:1]
	s_movk_i32 s0, 0x240
	v_cmp_gt_u32_e64 s[20:21], s0, v4
	s_and_saveexec_b64 s[0:1], s[20:21]
	s_cbranch_execz .LBB8_498
; %bb.497:
	ds_read_b32 v31, v25 offset:3712
	ds_read_b32 v32, v30 offset:56
	s_waitcnt lgkmcnt(0)
	v_fmac_f32_e32 v28, v31, v32
.LBB8_498:
	s_or_b64 exec, exec, s[0:1]
	s_movk_i32 s0, 0x220
	v_cmp_gt_u32_e64 s[20:21], s0, v4
	s_and_saveexec_b64 s[0:1], s[20:21]
	s_cbranch_execz .LBB8_500
; %bb.499:
	ds_read_b32 v31, v25 offset:3968
	ds_read_b32 v32, v30 offset:60
	s_waitcnt lgkmcnt(0)
	v_fmac_f32_e32 v28, v31, v32
.LBB8_500:
	s_or_b64 exec, exec, s[0:1]
	s_movk_i32 s0, 0x200
	v_cmp_gt_u32_e64 s[20:21], s0, v4
	s_and_saveexec_b64 s[0:1], s[20:21]
	s_cbranch_execz .LBB8_502
; %bb.501:
	ds_read_b32 v31, v25 offset:4224
	ds_read_b32 v32, v30 offset:64
	s_waitcnt lgkmcnt(0)
	v_fmac_f32_e32 v28, v31, v32
.LBB8_502:
	s_or_b64 exec, exec, s[0:1]
	s_movk_i32 s0, 0x1e0
	v_cmp_gt_u32_e64 s[20:21], s0, v4
	s_and_saveexec_b64 s[0:1], s[20:21]
	s_cbranch_execz .LBB8_504
; %bb.503:
	ds_read_b32 v31, v25 offset:4480
	ds_read_b32 v32, v30 offset:68
	s_waitcnt lgkmcnt(0)
	v_fmac_f32_e32 v28, v31, v32
.LBB8_504:
	s_or_b64 exec, exec, s[0:1]
	s_movk_i32 s0, 0x1c0
	v_cmp_gt_u32_e64 s[20:21], s0, v4
	s_and_saveexec_b64 s[0:1], s[20:21]
	s_cbranch_execz .LBB8_506
; %bb.505:
	ds_read_b32 v31, v25 offset:4736
	ds_read_b32 v32, v30 offset:72
	s_waitcnt lgkmcnt(0)
	v_fmac_f32_e32 v28, v31, v32
.LBB8_506:
	s_or_b64 exec, exec, s[0:1]
	s_movk_i32 s0, 0x1a0
	v_cmp_gt_u32_e64 s[20:21], s0, v4
	s_and_saveexec_b64 s[0:1], s[20:21]
	s_cbranch_execz .LBB8_508
; %bb.507:
	ds_read_b32 v31, v25 offset:4992
	ds_read_b32 v32, v30 offset:76
	s_waitcnt lgkmcnt(0)
	v_fmac_f32_e32 v28, v31, v32
.LBB8_508:
	s_or_b64 exec, exec, s[0:1]
	s_movk_i32 s0, 0x180
	v_cmp_gt_u32_e64 s[20:21], s0, v4
	s_and_saveexec_b64 s[0:1], s[20:21]
	s_cbranch_execz .LBB8_510
; %bb.509:
	ds_read_b32 v31, v25 offset:5248
	ds_read_b32 v32, v30 offset:80
	s_waitcnt lgkmcnt(0)
	v_fmac_f32_e32 v28, v31, v32
.LBB8_510:
	s_or_b64 exec, exec, s[0:1]
	s_movk_i32 s0, 0x160
	v_cmp_gt_u32_e64 s[20:21], s0, v4
	s_and_saveexec_b64 s[0:1], s[20:21]
	s_cbranch_execz .LBB8_512
; %bb.511:
	ds_read_b32 v31, v25 offset:5504
	ds_read_b32 v32, v30 offset:84
	s_waitcnt lgkmcnt(0)
	v_fmac_f32_e32 v28, v31, v32
.LBB8_512:
	s_or_b64 exec, exec, s[0:1]
	s_movk_i32 s0, 0x140
	v_cmp_gt_u32_e64 s[20:21], s0, v4
	s_and_saveexec_b64 s[0:1], s[20:21]
	s_cbranch_execz .LBB8_514
; %bb.513:
	ds_read_b32 v31, v25 offset:5760
	ds_read_b32 v32, v30 offset:88
	s_waitcnt lgkmcnt(0)
	v_fmac_f32_e32 v28, v31, v32
.LBB8_514:
	s_or_b64 exec, exec, s[0:1]
	s_movk_i32 s0, 0x120
	v_cmp_gt_u32_e64 s[20:21], s0, v4
	s_and_saveexec_b64 s[0:1], s[20:21]
	s_cbranch_execz .LBB8_516
; %bb.515:
	ds_read_b32 v31, v25 offset:6016
	ds_read_b32 v32, v30 offset:92
	s_waitcnt lgkmcnt(0)
	v_fmac_f32_e32 v28, v31, v32
.LBB8_516:
	s_or_b64 exec, exec, s[0:1]
	s_movk_i32 s0, 0x100
	v_cmp_gt_u32_e64 s[20:21], s0, v4
	s_and_saveexec_b64 s[0:1], s[20:21]
	s_cbranch_execz .LBB8_518
; %bb.517:
	ds_read_b32 v31, v25 offset:6272
	ds_read_b32 v32, v30 offset:96
	s_waitcnt lgkmcnt(0)
	v_fmac_f32_e32 v28, v31, v32
.LBB8_518:
	s_or_b64 exec, exec, s[0:1]
	s_movk_i32 s0, 0xe0
	v_cmp_gt_u32_e64 s[20:21], s0, v4
	s_and_saveexec_b64 s[0:1], s[20:21]
	s_cbranch_execz .LBB8_520
; %bb.519:
	ds_read_b32 v31, v25 offset:6528
	ds_read_b32 v32, v30 offset:100
	s_waitcnt lgkmcnt(0)
	v_fmac_f32_e32 v28, v31, v32
.LBB8_520:
	s_or_b64 exec, exec, s[0:1]
	s_movk_i32 s0, 0xc0
	v_cmp_gt_u32_e64 s[20:21], s0, v4
	s_and_saveexec_b64 s[0:1], s[20:21]
	s_cbranch_execz .LBB8_522
; %bb.521:
	ds_read_b32 v31, v25 offset:6784
	ds_read_b32 v32, v30 offset:104
	s_waitcnt lgkmcnt(0)
	v_fmac_f32_e32 v28, v31, v32
.LBB8_522:
	s_or_b64 exec, exec, s[0:1]
	s_movk_i32 s0, 0xa0
	v_cmp_gt_u32_e64 s[20:21], s0, v4
	s_and_saveexec_b64 s[0:1], s[20:21]
	s_cbranch_execz .LBB8_524
; %bb.523:
	ds_read_b32 v31, v25 offset:7040
	ds_read_b32 v32, v30 offset:108
	s_waitcnt lgkmcnt(0)
	v_fmac_f32_e32 v28, v31, v32
.LBB8_524:
	s_or_b64 exec, exec, s[0:1]
	s_movk_i32 s0, 0x80
	v_cmp_gt_u32_e64 s[20:21], s0, v4
	s_and_saveexec_b64 s[0:1], s[20:21]
	s_cbranch_execz .LBB8_526
; %bb.525:
	ds_read_b32 v31, v25 offset:7296
	ds_read_b32 v32, v30 offset:112
	s_waitcnt lgkmcnt(0)
	v_fmac_f32_e32 v28, v31, v32
.LBB8_526:
	s_or_b64 exec, exec, s[0:1]
	s_movk_i32 s0, 0x60
	v_cmp_gt_u32_e64 s[20:21], s0, v4
	s_and_saveexec_b64 s[0:1], s[20:21]
	s_cbranch_execnz .LBB8_1194
; %bb.527:
	s_or_b64 exec, exec, s[0:1]
	v_cmp_gt_u32_e64 s[20:21], 64, v4
	s_and_saveexec_b64 s[0:1], s[20:21]
	s_cbranch_execnz .LBB8_1195
.LBB8_528:
	s_or_b64 exec, exec, s[0:1]
	v_cmp_gt_u32_e64 s[20:21], 32, v4
	s_and_saveexec_b64 s[0:1], s[20:21]
	s_cbranch_execz .LBB8_530
.LBB8_529:
	v_lshlrev_b32_e32 v30, 2, v0
	v_mov_b32_e32 v31, 0
	ds_read_b32 v30, v30 offset:8064
	ds_read_b32 v31, v31 offset:124
	s_waitcnt lgkmcnt(0)
	v_fmac_f32_e32 v28, v30, v31
.LBB8_530:
	s_or_b64 exec, exec, s[0:1]
	v_xor_b32_e32 v28, 0x80000000, v28
.LBB8_531:
	s_or_b64 exec, exec, s[94:95]
	v_mov_b32_e32 v30, 0x4000
	v_cmp_eq_u32_e64 s[20:21], 0, v26
	s_xor_b64 s[94:95], s[16:17], -1
	v_lshl_or_b32 v29, v29, 2, v30
	s_and_b64 s[16:17], s[20:21], s[94:95]
	s_and_saveexec_b64 s[0:1], s[16:17]
; %bb.532:
	ds_write_b32 v29, v28
; %bb.533:
	s_or_b64 exec, exec, s[0:1]
	v_cmp_ne_u32_e64 s[16:17], 0, v26
	s_and_b64 s[16:17], s[16:17], s[94:95]
	s_waitcnt lgkmcnt(0)
	s_barrier
	s_and_saveexec_b64 s[0:1], s[16:17]
	s_cbranch_execz .LBB8_535
; %bb.534:
	ds_read_b32 v30, v27 offset:8320
	ds_read_b32 v31, v29
	s_waitcnt lgkmcnt(0)
	v_fmac_f32_e32 v28, v30, v31
.LBB8_535:
	s_or_b64 exec, exec, s[0:1]
	v_cmp_eq_u32_e64 s[16:17], 1, v26
	s_and_b64 s[16:17], s[16:17], s[94:95]
	s_barrier
	s_and_saveexec_b64 s[0:1], s[16:17]
; %bb.536:
	ds_write_b32 v29, v28
; %bb.537:
	s_or_b64 exec, exec, s[0:1]
	v_cmp_lt_u32_e64 s[16:17], 1, v26
	s_and_b64 s[16:17], s[16:17], s[94:95]
	s_waitcnt lgkmcnt(0)
	s_barrier
	s_and_saveexec_b64 s[0:1], s[16:17]
	s_cbranch_execz .LBB8_539
; %bb.538:
	ds_read_b32 v30, v27 offset:8576
	ds_read_b32 v31, v29
	s_waitcnt lgkmcnt(0)
	v_fmac_f32_e32 v28, v30, v31
.LBB8_539:
	s_or_b64 exec, exec, s[0:1]
	v_cmp_eq_u32_e64 s[16:17], 2, v26
	s_and_b64 s[16:17], s[16:17], s[94:95]
	s_barrier
	s_and_saveexec_b64 s[0:1], s[16:17]
; %bb.540:
	ds_write_b32 v29, v28
; %bb.541:
	s_or_b64 exec, exec, s[0:1]
	v_cmp_lt_u32_e64 s[16:17], 2, v26
	s_and_b64 s[16:17], s[16:17], s[94:95]
	s_waitcnt lgkmcnt(0)
	s_barrier
	s_and_saveexec_b64 s[0:1], s[16:17]
	s_cbranch_execz .LBB8_543
; %bb.542:
	ds_read_b32 v30, v27 offset:8832
	ds_read_b32 v31, v29
	s_waitcnt lgkmcnt(0)
	v_fmac_f32_e32 v28, v30, v31
.LBB8_543:
	s_or_b64 exec, exec, s[0:1]
	v_cmp_eq_u32_e64 s[16:17], 3, v26
	s_and_b64 s[16:17], s[16:17], s[94:95]
	s_barrier
	s_and_saveexec_b64 s[0:1], s[16:17]
; %bb.544:
	ds_write_b32 v29, v28
; %bb.545:
	s_or_b64 exec, exec, s[0:1]
	v_cmp_lt_u32_e64 s[16:17], 3, v26
	s_and_b64 s[16:17], s[16:17], s[94:95]
	s_waitcnt lgkmcnt(0)
	s_barrier
	s_and_saveexec_b64 s[0:1], s[16:17]
	s_cbranch_execz .LBB8_547
; %bb.546:
	ds_read_b32 v30, v27 offset:9088
	ds_read_b32 v31, v29
	s_waitcnt lgkmcnt(0)
	v_fmac_f32_e32 v28, v30, v31
.LBB8_547:
	s_or_b64 exec, exec, s[0:1]
	v_cmp_eq_u32_e64 s[16:17], 4, v26
	s_and_b64 s[16:17], s[16:17], s[94:95]
	s_barrier
	s_and_saveexec_b64 s[0:1], s[16:17]
; %bb.548:
	ds_write_b32 v29, v28
; %bb.549:
	s_or_b64 exec, exec, s[0:1]
	v_cmp_lt_u32_e64 s[16:17], 4, v26
	s_and_b64 s[16:17], s[16:17], s[94:95]
	s_waitcnt lgkmcnt(0)
	s_barrier
	s_and_saveexec_b64 s[0:1], s[16:17]
	s_cbranch_execz .LBB8_551
; %bb.550:
	ds_read_b32 v30, v27 offset:9344
	ds_read_b32 v31, v29
	s_waitcnt lgkmcnt(0)
	v_fmac_f32_e32 v28, v30, v31
.LBB8_551:
	s_or_b64 exec, exec, s[0:1]
	v_cmp_eq_u32_e64 s[16:17], 5, v26
	s_and_b64 s[16:17], s[16:17], s[94:95]
	s_barrier
	s_and_saveexec_b64 s[0:1], s[16:17]
; %bb.552:
	ds_write_b32 v29, v28
; %bb.553:
	s_or_b64 exec, exec, s[0:1]
	v_cmp_lt_u32_e64 s[16:17], 5, v26
	s_and_b64 s[16:17], s[16:17], s[94:95]
	s_waitcnt lgkmcnt(0)
	s_barrier
	s_and_saveexec_b64 s[0:1], s[16:17]
	s_cbranch_execz .LBB8_555
; %bb.554:
	ds_read_b32 v30, v27 offset:9600
	ds_read_b32 v31, v29
	s_waitcnt lgkmcnt(0)
	v_fmac_f32_e32 v28, v30, v31
.LBB8_555:
	s_or_b64 exec, exec, s[0:1]
	v_cmp_eq_u32_e64 s[16:17], 6, v26
	s_and_b64 s[16:17], s[16:17], s[94:95]
	s_barrier
	s_and_saveexec_b64 s[0:1], s[16:17]
; %bb.556:
	ds_write_b32 v29, v28
; %bb.557:
	s_or_b64 exec, exec, s[0:1]
	v_cmp_lt_u32_e64 s[16:17], 6, v26
	s_and_b64 s[16:17], s[16:17], s[94:95]
	s_waitcnt lgkmcnt(0)
	s_barrier
	s_and_saveexec_b64 s[0:1], s[16:17]
	s_cbranch_execz .LBB8_559
; %bb.558:
	ds_read_b32 v30, v27 offset:9856
	ds_read_b32 v31, v29
	s_waitcnt lgkmcnt(0)
	v_fmac_f32_e32 v28, v30, v31
.LBB8_559:
	s_or_b64 exec, exec, s[0:1]
	v_cmp_eq_u32_e64 s[16:17], 7, v26
	s_and_b64 s[16:17], s[16:17], s[94:95]
	s_barrier
	s_and_saveexec_b64 s[0:1], s[16:17]
; %bb.560:
	ds_write_b32 v29, v28
; %bb.561:
	s_or_b64 exec, exec, s[0:1]
	v_cmp_lt_u32_e64 s[16:17], 7, v26
	s_and_b64 s[16:17], s[16:17], s[94:95]
	s_waitcnt lgkmcnt(0)
	s_barrier
	s_and_saveexec_b64 s[0:1], s[16:17]
	s_cbranch_execz .LBB8_563
; %bb.562:
	ds_read_b32 v30, v27 offset:10112
	ds_read_b32 v31, v29
	s_waitcnt lgkmcnt(0)
	v_fmac_f32_e32 v28, v30, v31
.LBB8_563:
	s_or_b64 exec, exec, s[0:1]
	v_cmp_eq_u32_e64 s[16:17], 8, v26
	s_and_b64 s[16:17], s[16:17], s[94:95]
	s_barrier
	s_and_saveexec_b64 s[0:1], s[16:17]
; %bb.564:
	ds_write_b32 v29, v28
; %bb.565:
	s_or_b64 exec, exec, s[0:1]
	v_cmp_lt_u32_e64 s[16:17], 8, v26
	s_and_b64 s[16:17], s[16:17], s[94:95]
	s_waitcnt lgkmcnt(0)
	s_barrier
	s_and_saveexec_b64 s[0:1], s[16:17]
	s_cbranch_execz .LBB8_567
; %bb.566:
	ds_read_b32 v30, v27 offset:10368
	ds_read_b32 v31, v29
	s_waitcnt lgkmcnt(0)
	v_fmac_f32_e32 v28, v30, v31
.LBB8_567:
	s_or_b64 exec, exec, s[0:1]
	v_cmp_eq_u32_e64 s[16:17], 9, v26
	s_and_b64 s[16:17], s[16:17], s[94:95]
	s_barrier
	s_and_saveexec_b64 s[0:1], s[16:17]
; %bb.568:
	ds_write_b32 v29, v28
; %bb.569:
	s_or_b64 exec, exec, s[0:1]
	v_cmp_lt_u32_e64 s[16:17], 9, v26
	s_and_b64 s[16:17], s[16:17], s[94:95]
	s_waitcnt lgkmcnt(0)
	s_barrier
	s_and_saveexec_b64 s[0:1], s[16:17]
	s_cbranch_execz .LBB8_571
; %bb.570:
	ds_read_b32 v30, v27 offset:10624
	ds_read_b32 v31, v29
	s_waitcnt lgkmcnt(0)
	v_fmac_f32_e32 v28, v30, v31
.LBB8_571:
	s_or_b64 exec, exec, s[0:1]
	v_cmp_eq_u32_e64 s[16:17], 10, v26
	s_and_b64 s[16:17], s[16:17], s[94:95]
	s_barrier
	s_and_saveexec_b64 s[0:1], s[16:17]
; %bb.572:
	ds_write_b32 v29, v28
; %bb.573:
	s_or_b64 exec, exec, s[0:1]
	v_cmp_lt_u32_e64 s[16:17], 10, v26
	s_and_b64 s[16:17], s[16:17], s[94:95]
	s_waitcnt lgkmcnt(0)
	s_barrier
	s_and_saveexec_b64 s[0:1], s[16:17]
	s_cbranch_execz .LBB8_575
; %bb.574:
	ds_read_b32 v30, v27 offset:10880
	ds_read_b32 v31, v29
	s_waitcnt lgkmcnt(0)
	v_fmac_f32_e32 v28, v30, v31
.LBB8_575:
	s_or_b64 exec, exec, s[0:1]
	v_cmp_eq_u32_e64 s[16:17], 11, v26
	s_and_b64 s[16:17], s[16:17], s[94:95]
	s_barrier
	s_and_saveexec_b64 s[0:1], s[16:17]
; %bb.576:
	ds_write_b32 v29, v28
; %bb.577:
	s_or_b64 exec, exec, s[0:1]
	v_cmp_lt_u32_e64 s[16:17], 11, v26
	s_and_b64 s[16:17], s[16:17], s[94:95]
	s_waitcnt lgkmcnt(0)
	s_barrier
	s_and_saveexec_b64 s[0:1], s[16:17]
	s_cbranch_execz .LBB8_579
; %bb.578:
	ds_read_b32 v30, v27 offset:11136
	ds_read_b32 v31, v29
	s_waitcnt lgkmcnt(0)
	v_fmac_f32_e32 v28, v30, v31
.LBB8_579:
	s_or_b64 exec, exec, s[0:1]
	v_cmp_eq_u32_e64 s[16:17], 12, v26
	s_and_b64 s[16:17], s[16:17], s[94:95]
	s_barrier
	s_and_saveexec_b64 s[0:1], s[16:17]
; %bb.580:
	ds_write_b32 v29, v28
; %bb.581:
	s_or_b64 exec, exec, s[0:1]
	v_cmp_lt_u32_e64 s[16:17], 12, v26
	s_and_b64 s[16:17], s[16:17], s[94:95]
	s_waitcnt lgkmcnt(0)
	s_barrier
	s_and_saveexec_b64 s[0:1], s[16:17]
	s_cbranch_execz .LBB8_583
; %bb.582:
	ds_read_b32 v30, v27 offset:11392
	ds_read_b32 v31, v29
	s_waitcnt lgkmcnt(0)
	v_fmac_f32_e32 v28, v30, v31
.LBB8_583:
	s_or_b64 exec, exec, s[0:1]
	v_cmp_eq_u32_e64 s[16:17], 13, v26
	s_and_b64 s[16:17], s[16:17], s[94:95]
	s_barrier
	s_and_saveexec_b64 s[0:1], s[16:17]
; %bb.584:
	ds_write_b32 v29, v28
; %bb.585:
	s_or_b64 exec, exec, s[0:1]
	v_cmp_lt_u32_e64 s[16:17], 13, v26
	s_and_b64 s[16:17], s[16:17], s[94:95]
	s_waitcnt lgkmcnt(0)
	s_barrier
	s_and_saveexec_b64 s[0:1], s[16:17]
	s_cbranch_execz .LBB8_587
; %bb.586:
	ds_read_b32 v30, v27 offset:11648
	ds_read_b32 v31, v29
	s_waitcnt lgkmcnt(0)
	v_fmac_f32_e32 v28, v30, v31
.LBB8_587:
	s_or_b64 exec, exec, s[0:1]
	v_cmp_eq_u32_e64 s[16:17], 14, v26
	s_and_b64 s[16:17], s[16:17], s[94:95]
	s_barrier
	s_and_saveexec_b64 s[0:1], s[16:17]
; %bb.588:
	ds_write_b32 v29, v28
; %bb.589:
	s_or_b64 exec, exec, s[0:1]
	v_cmp_lt_u32_e64 s[16:17], 14, v26
	s_and_b64 s[16:17], s[16:17], s[94:95]
	s_waitcnt lgkmcnt(0)
	s_barrier
	s_and_saveexec_b64 s[0:1], s[16:17]
	s_cbranch_execz .LBB8_591
; %bb.590:
	ds_read_b32 v30, v27 offset:11904
	ds_read_b32 v31, v29
	s_waitcnt lgkmcnt(0)
	v_fmac_f32_e32 v28, v30, v31
.LBB8_591:
	s_or_b64 exec, exec, s[0:1]
	v_cmp_eq_u32_e64 s[16:17], 15, v26
	s_and_b64 s[16:17], s[16:17], s[94:95]
	s_barrier
	s_and_saveexec_b64 s[0:1], s[16:17]
; %bb.592:
	ds_write_b32 v29, v28
; %bb.593:
	s_or_b64 exec, exec, s[0:1]
	v_cmp_lt_u32_e64 s[16:17], 15, v26
	s_and_b64 s[16:17], s[16:17], s[94:95]
	s_waitcnt lgkmcnt(0)
	s_barrier
	s_and_saveexec_b64 s[0:1], s[16:17]
	s_cbranch_execz .LBB8_595
; %bb.594:
	ds_read_b32 v30, v27 offset:12160
	ds_read_b32 v31, v29
	s_waitcnt lgkmcnt(0)
	v_fmac_f32_e32 v28, v30, v31
.LBB8_595:
	s_or_b64 exec, exec, s[0:1]
	v_cmp_eq_u32_e64 s[16:17], 16, v26
	s_and_b64 s[16:17], s[16:17], s[94:95]
	s_barrier
	s_and_saveexec_b64 s[0:1], s[16:17]
; %bb.596:
	ds_write_b32 v29, v28
; %bb.597:
	s_or_b64 exec, exec, s[0:1]
	v_cmp_lt_u32_e64 s[16:17], 16, v26
	s_and_b64 s[16:17], s[16:17], s[94:95]
	s_waitcnt lgkmcnt(0)
	s_barrier
	s_and_saveexec_b64 s[0:1], s[16:17]
	s_cbranch_execz .LBB8_599
; %bb.598:
	ds_read_b32 v30, v27 offset:12416
	ds_read_b32 v31, v29
	s_waitcnt lgkmcnt(0)
	v_fmac_f32_e32 v28, v30, v31
.LBB8_599:
	s_or_b64 exec, exec, s[0:1]
	v_cmp_eq_u32_e64 s[16:17], 17, v26
	s_and_b64 s[16:17], s[16:17], s[94:95]
	s_barrier
	s_and_saveexec_b64 s[0:1], s[16:17]
; %bb.600:
	ds_write_b32 v29, v28
; %bb.601:
	s_or_b64 exec, exec, s[0:1]
	v_cmp_lt_u32_e64 s[16:17], 17, v26
	s_and_b64 s[16:17], s[16:17], s[94:95]
	s_waitcnt lgkmcnt(0)
	s_barrier
	s_and_saveexec_b64 s[0:1], s[16:17]
	s_cbranch_execz .LBB8_603
; %bb.602:
	ds_read_b32 v30, v27 offset:12672
	ds_read_b32 v31, v29
	s_waitcnt lgkmcnt(0)
	v_fmac_f32_e32 v28, v30, v31
.LBB8_603:
	s_or_b64 exec, exec, s[0:1]
	v_cmp_eq_u32_e64 s[16:17], 18, v26
	s_and_b64 s[16:17], s[16:17], s[94:95]
	s_barrier
	s_and_saveexec_b64 s[0:1], s[16:17]
; %bb.604:
	ds_write_b32 v29, v28
; %bb.605:
	s_or_b64 exec, exec, s[0:1]
	v_cmp_lt_u32_e64 s[16:17], 18, v26
	s_and_b64 s[16:17], s[16:17], s[94:95]
	s_waitcnt lgkmcnt(0)
	s_barrier
	s_and_saveexec_b64 s[0:1], s[16:17]
	s_cbranch_execz .LBB8_607
; %bb.606:
	ds_read_b32 v30, v27 offset:12928
	ds_read_b32 v31, v29
	s_waitcnt lgkmcnt(0)
	v_fmac_f32_e32 v28, v30, v31
.LBB8_607:
	s_or_b64 exec, exec, s[0:1]
	v_cmp_eq_u32_e64 s[16:17], 19, v26
	s_and_b64 s[16:17], s[16:17], s[94:95]
	s_barrier
	s_and_saveexec_b64 s[0:1], s[16:17]
; %bb.608:
	ds_write_b32 v29, v28
; %bb.609:
	s_or_b64 exec, exec, s[0:1]
	v_cmp_lt_u32_e64 s[16:17], 19, v26
	s_and_b64 s[16:17], s[16:17], s[94:95]
	s_waitcnt lgkmcnt(0)
	s_barrier
	s_and_saveexec_b64 s[0:1], s[16:17]
	s_cbranch_execz .LBB8_611
; %bb.610:
	ds_read_b32 v30, v27 offset:13184
	ds_read_b32 v31, v29
	s_waitcnt lgkmcnt(0)
	v_fmac_f32_e32 v28, v30, v31
.LBB8_611:
	s_or_b64 exec, exec, s[0:1]
	v_cmp_eq_u32_e64 s[16:17], 20, v26
	s_and_b64 s[16:17], s[16:17], s[94:95]
	s_barrier
	s_and_saveexec_b64 s[0:1], s[16:17]
; %bb.612:
	ds_write_b32 v29, v28
; %bb.613:
	s_or_b64 exec, exec, s[0:1]
	v_cmp_lt_u32_e64 s[16:17], 20, v26
	s_and_b64 s[16:17], s[16:17], s[94:95]
	s_waitcnt lgkmcnt(0)
	s_barrier
	s_and_saveexec_b64 s[0:1], s[16:17]
	s_cbranch_execz .LBB8_615
; %bb.614:
	ds_read_b32 v30, v27 offset:13440
	ds_read_b32 v31, v29
	s_waitcnt lgkmcnt(0)
	v_fmac_f32_e32 v28, v30, v31
.LBB8_615:
	s_or_b64 exec, exec, s[0:1]
	v_cmp_eq_u32_e64 s[16:17], 21, v26
	s_and_b64 s[16:17], s[16:17], s[94:95]
	s_barrier
	s_and_saveexec_b64 s[0:1], s[16:17]
; %bb.616:
	ds_write_b32 v29, v28
; %bb.617:
	s_or_b64 exec, exec, s[0:1]
	v_cmp_lt_u32_e64 s[16:17], 21, v26
	s_and_b64 s[16:17], s[16:17], s[94:95]
	s_waitcnt lgkmcnt(0)
	s_barrier
	s_and_saveexec_b64 s[0:1], s[16:17]
	s_cbranch_execz .LBB8_619
; %bb.618:
	ds_read_b32 v30, v27 offset:13696
	ds_read_b32 v31, v29
	s_waitcnt lgkmcnt(0)
	v_fmac_f32_e32 v28, v30, v31
.LBB8_619:
	s_or_b64 exec, exec, s[0:1]
	v_cmp_eq_u32_e64 s[16:17], 22, v26
	s_and_b64 s[16:17], s[16:17], s[94:95]
	s_barrier
	s_and_saveexec_b64 s[0:1], s[16:17]
; %bb.620:
	ds_write_b32 v29, v28
; %bb.621:
	s_or_b64 exec, exec, s[0:1]
	v_cmp_lt_u32_e64 s[16:17], 22, v26
	s_and_b64 s[16:17], s[16:17], s[94:95]
	s_waitcnt lgkmcnt(0)
	s_barrier
	s_and_saveexec_b64 s[0:1], s[16:17]
	s_cbranch_execz .LBB8_623
; %bb.622:
	ds_read_b32 v30, v27 offset:13952
	ds_read_b32 v31, v29
	s_waitcnt lgkmcnt(0)
	v_fmac_f32_e32 v28, v30, v31
.LBB8_623:
	s_or_b64 exec, exec, s[0:1]
	v_cmp_eq_u32_e64 s[16:17], 23, v26
	s_and_b64 s[16:17], s[16:17], s[94:95]
	s_barrier
	s_and_saveexec_b64 s[0:1], s[16:17]
; %bb.624:
	ds_write_b32 v29, v28
; %bb.625:
	s_or_b64 exec, exec, s[0:1]
	v_cmp_lt_u32_e64 s[16:17], 23, v26
	s_and_b64 s[16:17], s[16:17], s[94:95]
	s_waitcnt lgkmcnt(0)
	s_barrier
	s_and_saveexec_b64 s[0:1], s[16:17]
	s_cbranch_execz .LBB8_627
; %bb.626:
	ds_read_b32 v30, v27 offset:14208
	ds_read_b32 v31, v29
	s_waitcnt lgkmcnt(0)
	v_fmac_f32_e32 v28, v30, v31
.LBB8_627:
	s_or_b64 exec, exec, s[0:1]
	v_cmp_eq_u32_e64 s[16:17], 24, v26
	s_and_b64 s[16:17], s[16:17], s[94:95]
	s_barrier
	s_and_saveexec_b64 s[0:1], s[16:17]
; %bb.628:
	ds_write_b32 v29, v28
; %bb.629:
	s_or_b64 exec, exec, s[0:1]
	v_cmp_lt_u32_e64 s[16:17], 24, v26
	s_and_b64 s[16:17], s[16:17], s[94:95]
	s_waitcnt lgkmcnt(0)
	s_barrier
	s_and_saveexec_b64 s[0:1], s[16:17]
	s_cbranch_execz .LBB8_631
; %bb.630:
	ds_read_b32 v30, v27 offset:14464
	ds_read_b32 v31, v29
	s_waitcnt lgkmcnt(0)
	v_fmac_f32_e32 v28, v30, v31
.LBB8_631:
	s_or_b64 exec, exec, s[0:1]
	v_cmp_eq_u32_e64 s[16:17], 25, v26
	s_and_b64 s[16:17], s[16:17], s[94:95]
	s_barrier
	s_and_saveexec_b64 s[0:1], s[16:17]
; %bb.632:
	ds_write_b32 v29, v28
; %bb.633:
	s_or_b64 exec, exec, s[0:1]
	v_cmp_lt_u32_e64 s[16:17], 25, v26
	s_and_b64 s[16:17], s[16:17], s[94:95]
	s_waitcnt lgkmcnt(0)
	s_barrier
	s_and_saveexec_b64 s[0:1], s[16:17]
	s_cbranch_execz .LBB8_635
; %bb.634:
	ds_read_b32 v30, v27 offset:14720
	ds_read_b32 v31, v29
	s_waitcnt lgkmcnt(0)
	v_fmac_f32_e32 v28, v30, v31
.LBB8_635:
	s_or_b64 exec, exec, s[0:1]
	v_cmp_eq_u32_e64 s[16:17], 26, v26
	s_and_b64 s[16:17], s[16:17], s[94:95]
	s_barrier
	s_and_saveexec_b64 s[0:1], s[16:17]
; %bb.636:
	ds_write_b32 v29, v28
; %bb.637:
	s_or_b64 exec, exec, s[0:1]
	v_cmp_lt_u32_e64 s[16:17], 26, v26
	s_and_b64 s[16:17], s[16:17], s[94:95]
	s_waitcnt lgkmcnt(0)
	s_barrier
	s_and_saveexec_b64 s[0:1], s[16:17]
	s_cbranch_execz .LBB8_639
; %bb.638:
	ds_read_b32 v30, v27 offset:14976
	ds_read_b32 v31, v29
	s_waitcnt lgkmcnt(0)
	v_fmac_f32_e32 v28, v30, v31
.LBB8_639:
	s_or_b64 exec, exec, s[0:1]
	v_cmp_eq_u32_e64 s[16:17], 27, v26
	s_and_b64 s[16:17], s[16:17], s[94:95]
	s_barrier
	s_and_saveexec_b64 s[0:1], s[16:17]
; %bb.640:
	ds_write_b32 v29, v28
; %bb.641:
	s_or_b64 exec, exec, s[0:1]
	v_cmp_lt_u32_e64 s[16:17], 27, v26
	s_and_b64 s[16:17], s[16:17], s[94:95]
	s_waitcnt lgkmcnt(0)
	s_barrier
	s_and_saveexec_b64 s[0:1], s[16:17]
	s_cbranch_execz .LBB8_643
; %bb.642:
	ds_read_b32 v30, v27 offset:15232
	ds_read_b32 v31, v29
	s_waitcnt lgkmcnt(0)
	v_fmac_f32_e32 v28, v30, v31
.LBB8_643:
	s_or_b64 exec, exec, s[0:1]
	v_cmp_eq_u32_e64 s[16:17], 28, v26
	s_and_b64 s[16:17], s[16:17], s[94:95]
	s_barrier
	s_and_saveexec_b64 s[0:1], s[16:17]
; %bb.644:
	ds_write_b32 v29, v28
; %bb.645:
	s_or_b64 exec, exec, s[0:1]
	v_cmp_lt_u32_e64 s[16:17], 28, v26
	s_and_b64 s[16:17], s[16:17], s[94:95]
	s_waitcnt lgkmcnt(0)
	s_barrier
	s_and_saveexec_b64 s[0:1], s[16:17]
	s_cbranch_execz .LBB8_647
; %bb.646:
	ds_read_b32 v30, v27 offset:15488
	ds_read_b32 v31, v29
	s_waitcnt lgkmcnt(0)
	v_fmac_f32_e32 v28, v30, v31
.LBB8_647:
	s_or_b64 exec, exec, s[0:1]
	v_cmp_eq_u32_e64 s[16:17], 29, v26
	s_and_b64 s[16:17], s[16:17], s[94:95]
	s_barrier
	s_and_saveexec_b64 s[0:1], s[16:17]
; %bb.648:
	ds_write_b32 v29, v28
; %bb.649:
	s_or_b64 exec, exec, s[0:1]
	v_cmp_lt_u32_e64 s[16:17], 29, v26
	s_and_b64 s[16:17], s[16:17], s[94:95]
	s_waitcnt lgkmcnt(0)
	s_barrier
	s_and_saveexec_b64 s[0:1], s[16:17]
	s_cbranch_execz .LBB8_651
; %bb.650:
	ds_read_b32 v27, v27 offset:15744
	ds_read_b32 v30, v29
	s_waitcnt lgkmcnt(0)
	v_fmac_f32_e32 v28, v27, v30
.LBB8_651:
	s_or_b64 exec, exec, s[0:1]
	v_cmp_eq_u32_e64 s[16:17], 30, v26
	s_and_b64 s[16:17], s[16:17], s[94:95]
	s_barrier
	s_and_saveexec_b64 s[0:1], s[16:17]
; %bb.652:
	ds_write_b32 v29, v28
; %bb.653:
	s_or_b64 exec, exec, s[0:1]
	v_cmp_eq_u32_e64 s[16:17], 31, v26
	s_and_b64 s[16:17], s[16:17], s[94:95]
	s_waitcnt lgkmcnt(0)
	s_barrier
	s_and_saveexec_b64 s[0:1], s[16:17]
	s_cbranch_execz .LBB8_655
; %bb.654:
	v_mov_b32_e32 v26, 0
	ds_read_b32 v26, v26 offset:16124
	ds_read_b32 v27, v29
	s_waitcnt lgkmcnt(0)
	v_fmac_f32_e32 v28, v26, v27
.LBB8_655:
	s_or_b64 exec, exec, s[0:1]
	s_barrier
	s_and_saveexec_b64 s[0:1], s[16:17]
; %bb.656:
	ds_write_b32 v29, v28
; %bb.657:
	s_or_b64 exec, exec, s[0:1]
	s_waitcnt lgkmcnt(0)
	s_barrier
	s_barrier
	s_and_saveexec_b64 s[0:1], s[14:15]
; %bb.658:
	v_xor_b32_e32 v26, 0x80000000, v28
	ds_write_b32 v25, v26 offset:128
; %bb.659:
	s_or_b64 exec, exec, s[0:1]
	v_cmp_gt_u32_e64 s[14:15], 32, v0
	s_and_b64 s[0:1], s[12:13], s[14:15]
	s_waitcnt lgkmcnt(0)
	s_barrier
	s_barrier
	s_and_saveexec_b64 s[12:13], s[0:1]
	s_cbranch_execz .LBB8_661
; %bb.660:
	v_lshlrev_b32_e32 v25, 8, v0
	ds_read_b32 v26, v25 offset:128
	s_movk_i32 s0, 0xff04
	v_mad_i32_i24 v27, v0, s0, v25
	s_waitcnt lgkmcnt(0)
	ds_write_b32 v27, v26 offset:8192
	ds_read_b32 v26, v25 offset:132
	s_waitcnt lgkmcnt(0)
	ds_write_b32 v27, v26 offset:8448
	ds_read_b32 v26, v25 offset:136
	;; [unrolled: 3-line block ×31, first 2 shown]
	s_waitcnt lgkmcnt(0)
	ds_write_b32 v27, v25 offset:16128
.LBB8_661:
	s_or_b64 exec, exec, s[12:13]
	s_waitcnt lgkmcnt(0)
	s_barrier
	s_and_saveexec_b64 s[12:13], vcc
	s_cbranch_execz .LBB8_663
; %bb.662:
	v_mov_b32_e32 v27, 0
	ds_read_b32 v25, v27 offset:8324
	v_mov_b32_e32 v26, 1.0
	ds_write_b32 v27, v26 offset:8320
	s_waitcnt lgkmcnt(1)
	ds_write_b64 v27, v[25:26] offset:8576
.LBB8_663:
	s_or_b64 exec, exec, s[12:13]
	v_mov_b32_e32 v25, 0
	s_waitcnt lgkmcnt(0)
	s_barrier
	s_and_saveexec_b64 s[14:15], s[2:3]
	s_cbranch_execz .LBB8_667
; %bb.664:
	v_mul_u32_u24_e32 v25, 0x104, v5
	ds_read_b32 v27, v2 offset:8328
	ds_read_b32 v25, v25 offset:8320
	v_mov_b32_e32 v26, 0
	v_cmp_gt_u32_e64 s[12:13], 2, v4
	s_waitcnt lgkmcnt(0)
	v_fma_f32 v25, v27, v25, 0
	s_and_saveexec_b64 s[0:1], s[12:13]
	s_cbranch_execz .LBB8_666
; %bb.665:
	v_lshlrev_b32_e32 v27, 2, v0
	ds_read_b32 v27, v27 offset:8584
	ds_read_b32 v26, v26 offset:8324
	s_waitcnt lgkmcnt(0)
	v_fmac_f32_e32 v25, v27, v26
.LBB8_666:
	s_or_b64 exec, exec, s[0:1]
	v_xor_b32_e32 v25, 0x80000000, v25
.LBB8_667:
	s_or_b64 exec, exec, s[14:15]
	s_and_saveexec_b64 s[0:1], s[30:31]
; %bb.668:
	ds_write_b32 v3, v25
; %bb.669:
	s_or_b64 exec, exec, s[0:1]
	s_waitcnt lgkmcnt(0)
	s_barrier
	s_and_saveexec_b64 s[0:1], s[28:29]
	s_cbranch_execz .LBB8_671
; %bb.670:
	v_mov_b32_e32 v26, 0
	ds_read_b32 v26, v26 offset:8844
	ds_read_b32 v27, v3
	s_waitcnt lgkmcnt(0)
	v_fmac_f32_e32 v25, v26, v27
.LBB8_671:
	s_or_b64 exec, exec, s[0:1]
	s_barrier
	s_and_saveexec_b64 s[0:1], s[28:29]
; %bb.672:
	ds_write_b32 v3, v25
; %bb.673:
	s_or_b64 exec, exec, s[0:1]
	s_waitcnt lgkmcnt(0)
	s_barrier
	s_barrier
	s_and_saveexec_b64 s[0:1], s[2:3]
; %bb.674:
	v_xor_b32_e32 v25, 0x80000000, v25
	ds_write_b32 v2, v25 offset:8328
; %bb.675:
	s_or_b64 exec, exec, s[0:1]
	s_waitcnt lgkmcnt(0)
	s_barrier
	s_barrier
	s_and_saveexec_b64 s[0:1], s[34:35]
	s_cbranch_execz .LBB8_677
; %bb.676:
	v_lshlrev_b32_e32 v25, 2, v0
	s_movk_i32 s12, 0xfc
	v_mad_u32_u24 v26, v0, s12, v25
	ds_read_b32 v27, v26 offset:8328
	s_waitcnt lgkmcnt(0)
	ds_write_b32 v25, v27 offset:8832
	ds_read_b32 v26, v26 offset:8332
	s_waitcnt lgkmcnt(0)
	ds_write_b32 v25, v26 offset:9088
.LBB8_677:
	s_or_b64 exec, exec, s[0:1]
	s_waitcnt lgkmcnt(0)
	s_barrier
	s_and_saveexec_b64 s[12:13], vcc
	s_cbranch_execz .LBB8_679
; %bb.678:
	v_mov_b32_e32 v27, 0
	ds_read_b32 v25, v27 offset:8844
	v_mov_b32_e32 v26, 1.0
	ds_write_b32 v27, v26 offset:8840
	s_waitcnt lgkmcnt(1)
	ds_write_b64 v27, v[25:26] offset:9096
.LBB8_679:
	s_or_b64 exec, exec, s[12:13]
	v_mov_b32_e32 v25, 0
	s_waitcnt lgkmcnt(0)
	s_barrier
	s_and_saveexec_b64 s[14:15], s[18:19]
	s_cbranch_execz .LBB8_685
; %bb.680:
	v_mul_u32_u24_e32 v26, 0x104, v14
	ds_read_b32 v25, v10 offset:8336
	ds_read_b32 v27, v26 offset:8320
	v_cmp_gt_u32_e64 s[12:13], 12, v4
	s_waitcnt lgkmcnt(0)
	v_fma_f32 v25, v25, v27, 0
	s_and_saveexec_b64 s[16:17], s[12:13]
	s_cbranch_execnz .LBB8_1196
; %bb.681:
	s_or_b64 exec, exec, s[16:17]
	v_cmp_gt_u32_e64 s[12:13], 8, v4
	s_and_saveexec_b64 s[0:1], s[12:13]
	s_cbranch_execnz .LBB8_1197
.LBB8_682:
	s_or_b64 exec, exec, s[0:1]
	v_cmp_gt_u32_e64 s[12:13], 4, v4
	s_and_saveexec_b64 s[0:1], s[12:13]
	s_cbranch_execz .LBB8_684
.LBB8_683:
	v_lshlrev_b32_e32 v26, 2, v0
	v_mov_b32_e32 v27, 0
	ds_read_b32 v26, v26 offset:9104
	ds_read_b32 v27, v27 offset:8332
	s_waitcnt lgkmcnt(0)
	v_fmac_f32_e32 v25, v26, v27
.LBB8_684:
	s_or_b64 exec, exec, s[0:1]
	v_xor_b32_e32 v25, 0x80000000, v25
.LBB8_685:
	s_or_b64 exec, exec, s[14:15]
	s_and_saveexec_b64 s[0:1], s[38:39]
; %bb.686:
	ds_write_b32 v12, v25
; %bb.687:
	s_or_b64 exec, exec, s[0:1]
	s_waitcnt lgkmcnt(0)
	s_barrier
	s_and_saveexec_b64 s[0:1], s[42:43]
	s_cbranch_execz .LBB8_689
; %bb.688:
	ds_read_b32 v26, v11 offset:9360
	ds_read_b32 v27, v12
	s_waitcnt lgkmcnt(0)
	v_fmac_f32_e32 v25, v26, v27
.LBB8_689:
	s_or_b64 exec, exec, s[0:1]
	s_barrier
	s_and_saveexec_b64 s[0:1], s[44:45]
; %bb.690:
	ds_write_b32 v12, v25
; %bb.691:
	s_or_b64 exec, exec, s[0:1]
	s_waitcnt lgkmcnt(0)
	s_barrier
	s_and_saveexec_b64 s[0:1], s[52:53]
	s_cbranch_execz .LBB8_693
; %bb.692:
	ds_read_b32 v26, v11 offset:9616
	ds_read_b32 v27, v12
	s_waitcnt lgkmcnt(0)
	v_fmac_f32_e32 v25, v26, v27
.LBB8_693:
	s_or_b64 exec, exec, s[0:1]
	s_barrier
	s_and_saveexec_b64 s[0:1], s[54:55]
; %bb.694:
	ds_write_b32 v12, v25
; %bb.695:
	s_or_b64 exec, exec, s[0:1]
	s_waitcnt lgkmcnt(0)
	s_barrier
	s_and_saveexec_b64 s[0:1], s[36:37]
	s_cbranch_execz .LBB8_697
; %bb.696:
	v_mov_b32_e32 v26, 0
	ds_read_b32 v26, v26 offset:9884
	ds_read_b32 v27, v12
	s_waitcnt lgkmcnt(0)
	v_fmac_f32_e32 v25, v26, v27
.LBB8_697:
	s_or_b64 exec, exec, s[0:1]
	s_barrier
	s_and_saveexec_b64 s[0:1], s[36:37]
; %bb.698:
	ds_write_b32 v12, v25
; %bb.699:
	s_or_b64 exec, exec, s[0:1]
	s_waitcnt lgkmcnt(0)
	s_barrier
	s_barrier
	s_and_saveexec_b64 s[0:1], s[18:19]
; %bb.700:
	v_xor_b32_e32 v25, 0x80000000, v25
	ds_write_b32 v10, v25 offset:8336
; %bb.701:
	s_or_b64 exec, exec, s[0:1]
	s_waitcnt lgkmcnt(0)
	s_barrier
	s_barrier
	s_and_saveexec_b64 s[12:13], s[56:57]
	s_cbranch_execz .LBB8_703
; %bb.702:
	v_lshlrev_b32_e32 v25, 8, v0
	ds_read_b32 v26, v25 offset:8336
	s_movk_i32 s0, 0xff04
	v_mad_i32_i24 v27, v0, s0, v25
	s_waitcnt lgkmcnt(0)
	ds_write_b32 v27, v26 offset:9344
	ds_read_b32 v26, v25 offset:8340
	s_waitcnt lgkmcnt(0)
	ds_write_b32 v27, v26 offset:9600
	ds_read_b32 v26, v25 offset:8344
	;; [unrolled: 3-line block ×3, first 2 shown]
	s_waitcnt lgkmcnt(0)
	ds_write_b32 v27, v25 offset:10112
.LBB8_703:
	s_or_b64 exec, exec, s[12:13]
	s_waitcnt lgkmcnt(0)
	s_barrier
	s_and_saveexec_b64 s[12:13], vcc
	s_cbranch_execz .LBB8_705
; %bb.704:
	v_mov_b32_e32 v27, 0
	ds_read_b32 v25, v27 offset:9364
	v_mov_b32_e32 v26, 1.0
	ds_write_b32 v27, v26 offset:9360
	s_waitcnt lgkmcnt(1)
	ds_write_b64 v27, v[25:26] offset:9616
.LBB8_705:
	s_or_b64 exec, exec, s[12:13]
	v_mov_b32_e32 v25, 0
	s_waitcnt lgkmcnt(0)
	s_barrier
	s_and_saveexec_b64 s[14:15], s[2:3]
	s_cbranch_execz .LBB8_709
; %bb.706:
	v_mul_u32_u24_e32 v25, 0x104, v5
	ds_read_b32 v27, v2 offset:9368
	ds_read_b32 v25, v25 offset:9360
	v_mov_b32_e32 v26, 0
	v_cmp_gt_u32_e64 s[12:13], 2, v4
	s_waitcnt lgkmcnt(0)
	v_fma_f32 v25, v27, v25, 0
	s_and_saveexec_b64 s[0:1], s[12:13]
	s_cbranch_execz .LBB8_708
; %bb.707:
	v_lshlrev_b32_e32 v27, 2, v0
	ds_read_b32 v27, v27 offset:9624
	ds_read_b32 v26, v26 offset:9364
	s_waitcnt lgkmcnt(0)
	v_fmac_f32_e32 v25, v27, v26
.LBB8_708:
	s_or_b64 exec, exec, s[0:1]
	v_xor_b32_e32 v25, 0x80000000, v25
.LBB8_709:
	s_or_b64 exec, exec, s[14:15]
	s_and_saveexec_b64 s[0:1], s[30:31]
; %bb.710:
	ds_write_b32 v3, v25
; %bb.711:
	s_or_b64 exec, exec, s[0:1]
	s_waitcnt lgkmcnt(0)
	s_barrier
	s_and_saveexec_b64 s[0:1], s[28:29]
	s_cbranch_execz .LBB8_713
; %bb.712:
	v_mov_b32_e32 v26, 0
	ds_read_b32 v26, v26 offset:9884
	ds_read_b32 v27, v3
	s_waitcnt lgkmcnt(0)
	v_fmac_f32_e32 v25, v26, v27
.LBB8_713:
	s_or_b64 exec, exec, s[0:1]
	s_barrier
	s_and_saveexec_b64 s[0:1], s[28:29]
; %bb.714:
	ds_write_b32 v3, v25
; %bb.715:
	s_or_b64 exec, exec, s[0:1]
	s_waitcnt lgkmcnt(0)
	s_barrier
	s_barrier
	s_and_saveexec_b64 s[0:1], s[2:3]
; %bb.716:
	v_xor_b32_e32 v25, 0x80000000, v25
	ds_write_b32 v2, v25 offset:9368
; %bb.717:
	s_or_b64 exec, exec, s[0:1]
	s_waitcnt lgkmcnt(0)
	s_barrier
	s_barrier
	s_and_saveexec_b64 s[0:1], s[34:35]
	s_cbranch_execz .LBB8_719
; %bb.718:
	v_lshlrev_b32_e32 v25, 2, v0
	s_movk_i32 s12, 0xfc
	v_mad_u32_u24 v26, v0, s12, v25
	ds_read_b32 v27, v26 offset:9368
	s_waitcnt lgkmcnt(0)
	ds_write_b32 v25, v27 offset:9872
	ds_read_b32 v26, v26 offset:9372
	s_waitcnt lgkmcnt(0)
	ds_write_b32 v25, v26 offset:10128
.LBB8_719:
	s_or_b64 exec, exec, s[0:1]
	s_waitcnt lgkmcnt(0)
	s_barrier
	s_and_saveexec_b64 s[12:13], vcc
	s_cbranch_execz .LBB8_721
; %bb.720:
	v_mov_b32_e32 v27, 0
	ds_read_b32 v25, v27 offset:9884
	v_mov_b32_e32 v26, 1.0
	ds_write_b32 v27, v26 offset:9880
	s_waitcnt lgkmcnt(1)
	ds_write_b64 v27, v[25:26] offset:10136
.LBB8_721:
	s_or_b64 exec, exec, s[12:13]
	v_mov_b32_e32 v25, 0
	s_waitcnt lgkmcnt(0)
	s_barrier
	s_and_saveexec_b64 s[14:15], s[8:9]
	s_cbranch_execz .LBB8_731
; %bb.722:
	v_mul_u32_u24_e32 v26, 0x104, v19
	ds_read_b32 v25, v15 offset:8352
	ds_read_b32 v27, v26 offset:8320
	v_cmp_gt_u32_e64 s[12:13], 56, v4
	s_waitcnt lgkmcnt(0)
	v_fma_f32 v25, v25, v27, 0
	s_and_saveexec_b64 s[16:17], s[12:13]
	s_cbranch_execnz .LBB8_1198
; %bb.723:
	s_or_b64 exec, exec, s[16:17]
	v_cmp_gt_u32_e64 s[12:13], 48, v4
	s_and_saveexec_b64 s[0:1], s[12:13]
	s_cbranch_execnz .LBB8_1199
.LBB8_724:
	s_or_b64 exec, exec, s[0:1]
	v_cmp_gt_u32_e64 s[12:13], 40, v4
	s_and_saveexec_b64 s[0:1], s[12:13]
	s_cbranch_execnz .LBB8_1200
.LBB8_725:
	s_or_b64 exec, exec, s[0:1]
	v_cmp_gt_u32_e64 s[12:13], 32, v4
	s_and_saveexec_b64 s[0:1], s[12:13]
	s_cbranch_execnz .LBB8_1201
.LBB8_726:
	s_or_b64 exec, exec, s[0:1]
	v_cmp_gt_u32_e64 s[12:13], 24, v4
	s_and_saveexec_b64 s[0:1], s[12:13]
	s_cbranch_execnz .LBB8_1202
.LBB8_727:
	s_or_b64 exec, exec, s[0:1]
	v_cmp_gt_u32_e64 s[12:13], 16, v4
	s_and_saveexec_b64 s[0:1], s[12:13]
	s_cbranch_execnz .LBB8_1203
.LBB8_728:
	s_or_b64 exec, exec, s[0:1]
	v_cmp_gt_u32_e64 s[12:13], 8, v4
	s_and_saveexec_b64 s[0:1], s[12:13]
	s_cbranch_execz .LBB8_730
.LBB8_729:
	v_lshlrev_b32_e32 v26, 2, v0
	v_mov_b32_e32 v27, 0
	ds_read_b32 v26, v26 offset:10144
	ds_read_b32 v27, v27 offset:8348
	s_waitcnt lgkmcnt(0)
	v_fmac_f32_e32 v25, v26, v27
.LBB8_730:
	s_or_b64 exec, exec, s[0:1]
	v_xor_b32_e32 v25, 0x80000000, v25
.LBB8_731:
	s_or_b64 exec, exec, s[14:15]
	s_and_saveexec_b64 s[0:1], s[58:59]
; %bb.732:
	ds_write_b32 v17, v25
; %bb.733:
	s_or_b64 exec, exec, s[0:1]
	s_waitcnt lgkmcnt(0)
	s_barrier
	s_and_saveexec_b64 s[0:1], s[60:61]
	s_cbranch_execz .LBB8_735
; %bb.734:
	ds_read_b32 v26, v16 offset:10400
	ds_read_b32 v27, v17
	s_waitcnt lgkmcnt(0)
	v_fmac_f32_e32 v25, v26, v27
.LBB8_735:
	s_or_b64 exec, exec, s[0:1]
	s_barrier
	s_and_saveexec_b64 s[0:1], s[62:63]
; %bb.736:
	ds_write_b32 v17, v25
; %bb.737:
	s_or_b64 exec, exec, s[0:1]
	s_waitcnt lgkmcnt(0)
	s_barrier
	s_and_saveexec_b64 s[0:1], s[64:65]
	s_cbranch_execz .LBB8_739
; %bb.738:
	ds_read_b32 v26, v16 offset:10656
	ds_read_b32 v27, v17
	s_waitcnt lgkmcnt(0)
	v_fmac_f32_e32 v25, v26, v27
.LBB8_739:
	s_or_b64 exec, exec, s[0:1]
	s_barrier
	;; [unrolled: 17-line block ×6, first 2 shown]
	s_and_saveexec_b64 s[0:1], s[84:85]
; %bb.756:
	ds_write_b32 v17, v25
; %bb.757:
	s_or_b64 exec, exec, s[0:1]
	s_waitcnt lgkmcnt(0)
	s_barrier
	s_and_saveexec_b64 s[0:1], s[66:67]
	s_cbranch_execz .LBB8_759
; %bb.758:
	v_mov_b32_e32 v26, 0
	ds_read_b32 v26, v26 offset:11964
	ds_read_b32 v27, v17
	s_waitcnt lgkmcnt(0)
	v_fmac_f32_e32 v25, v26, v27
.LBB8_759:
	s_or_b64 exec, exec, s[0:1]
	s_barrier
	s_and_saveexec_b64 s[0:1], s[66:67]
; %bb.760:
	ds_write_b32 v17, v25
; %bb.761:
	s_or_b64 exec, exec, s[0:1]
	s_waitcnt lgkmcnt(0)
	s_barrier
	s_barrier
	s_and_saveexec_b64 s[0:1], s[8:9]
; %bb.762:
	v_xor_b32_e32 v25, 0x80000000, v25
	ds_write_b32 v15, v25 offset:8352
; %bb.763:
	s_or_b64 exec, exec, s[0:1]
	s_waitcnt lgkmcnt(0)
	s_barrier
	s_barrier
	s_and_saveexec_b64 s[12:13], s[86:87]
	s_cbranch_execz .LBB8_765
; %bb.764:
	v_lshlrev_b32_e32 v25, 8, v0
	ds_read_b32 v26, v25 offset:8352
	s_movk_i32 s0, 0xff04
	v_mad_i32_i24 v27, v0, s0, v25
	s_waitcnt lgkmcnt(0)
	ds_write_b32 v27, v26 offset:10368
	ds_read_b32 v26, v25 offset:8356
	s_waitcnt lgkmcnt(0)
	ds_write_b32 v27, v26 offset:10624
	ds_read_b32 v26, v25 offset:8360
	s_waitcnt lgkmcnt(0)
	ds_write_b32 v27, v26 offset:10880
	ds_read_b32 v26, v25 offset:8364
	s_waitcnt lgkmcnt(0)
	ds_write_b32 v27, v26 offset:11136
	ds_read_b32 v26, v25 offset:8368
	s_waitcnt lgkmcnt(0)
	ds_write_b32 v27, v26 offset:11392
	ds_read_b32 v26, v25 offset:8372
	s_waitcnt lgkmcnt(0)
	ds_write_b32 v27, v26 offset:11648
	ds_read_b32 v26, v25 offset:8376
	s_waitcnt lgkmcnt(0)
	ds_write_b32 v27, v26 offset:11904
	ds_read_b32 v25, v25 offset:8380
	s_waitcnt lgkmcnt(0)
	ds_write_b32 v27, v25 offset:12160
.LBB8_765:
	s_or_b64 exec, exec, s[12:13]
	s_waitcnt lgkmcnt(0)
	s_barrier
	s_and_saveexec_b64 s[12:13], vcc
	s_cbranch_execz .LBB8_767
; %bb.766:
	v_mov_b32_e32 v27, 0
	ds_read_b32 v25, v27 offset:10404
	v_mov_b32_e32 v26, 1.0
	ds_write_b32 v27, v26 offset:10400
	s_waitcnt lgkmcnt(1)
	ds_write_b64 v27, v[25:26] offset:10656
.LBB8_767:
	s_or_b64 exec, exec, s[12:13]
	v_mov_b32_e32 v25, 0
	s_waitcnt lgkmcnt(0)
	s_barrier
	s_and_saveexec_b64 s[14:15], s[2:3]
	s_cbranch_execz .LBB8_771
; %bb.768:
	v_mul_u32_u24_e32 v25, 0x104, v5
	ds_read_b32 v27, v2 offset:10408
	ds_read_b32 v25, v25 offset:10400
	v_mov_b32_e32 v26, 0
	v_cmp_gt_u32_e64 s[12:13], 2, v4
	s_waitcnt lgkmcnt(0)
	v_fma_f32 v25, v27, v25, 0
	s_and_saveexec_b64 s[0:1], s[12:13]
	s_cbranch_execz .LBB8_770
; %bb.769:
	v_lshlrev_b32_e32 v27, 2, v0
	ds_read_b32 v27, v27 offset:10664
	ds_read_b32 v26, v26 offset:10404
	s_waitcnt lgkmcnt(0)
	v_fmac_f32_e32 v25, v27, v26
.LBB8_770:
	s_or_b64 exec, exec, s[0:1]
	v_xor_b32_e32 v25, 0x80000000, v25
.LBB8_771:
	s_or_b64 exec, exec, s[14:15]
	s_and_saveexec_b64 s[0:1], s[30:31]
; %bb.772:
	ds_write_b32 v3, v25
; %bb.773:
	s_or_b64 exec, exec, s[0:1]
	s_waitcnt lgkmcnt(0)
	s_barrier
	s_and_saveexec_b64 s[0:1], s[28:29]
	s_cbranch_execz .LBB8_775
; %bb.774:
	v_mov_b32_e32 v26, 0
	ds_read_b32 v26, v26 offset:10924
	ds_read_b32 v27, v3
	s_waitcnt lgkmcnt(0)
	v_fmac_f32_e32 v25, v26, v27
.LBB8_775:
	s_or_b64 exec, exec, s[0:1]
	s_barrier
	s_and_saveexec_b64 s[0:1], s[28:29]
; %bb.776:
	ds_write_b32 v3, v25
; %bb.777:
	s_or_b64 exec, exec, s[0:1]
	s_waitcnt lgkmcnt(0)
	s_barrier
	s_barrier
	s_and_saveexec_b64 s[0:1], s[2:3]
; %bb.778:
	v_xor_b32_e32 v25, 0x80000000, v25
	ds_write_b32 v2, v25 offset:10408
; %bb.779:
	s_or_b64 exec, exec, s[0:1]
	s_waitcnt lgkmcnt(0)
	s_barrier
	s_barrier
	s_and_saveexec_b64 s[0:1], s[34:35]
	s_cbranch_execz .LBB8_781
; %bb.780:
	v_lshlrev_b32_e32 v25, 2, v0
	s_movk_i32 s12, 0xfc
	v_mad_u32_u24 v26, v0, s12, v25
	ds_read_b32 v27, v26 offset:10408
	s_waitcnt lgkmcnt(0)
	ds_write_b32 v25, v27 offset:10912
	ds_read_b32 v26, v26 offset:10412
	s_waitcnt lgkmcnt(0)
	ds_write_b32 v25, v26 offset:11168
.LBB8_781:
	s_or_b64 exec, exec, s[0:1]
	s_waitcnt lgkmcnt(0)
	s_barrier
	s_and_saveexec_b64 s[12:13], vcc
	s_cbranch_execz .LBB8_783
; %bb.782:
	v_mov_b32_e32 v27, 0
	ds_read_b32 v25, v27 offset:10924
	v_mov_b32_e32 v26, 1.0
	ds_write_b32 v27, v26 offset:10920
	s_waitcnt lgkmcnt(1)
	ds_write_b64 v27, v[25:26] offset:11176
.LBB8_783:
	s_or_b64 exec, exec, s[12:13]
	v_mov_b32_e32 v25, 0
	s_waitcnt lgkmcnt(0)
	s_barrier
	s_and_saveexec_b64 s[14:15], s[18:19]
	s_cbranch_execz .LBB8_789
; %bb.784:
	v_mul_u32_u24_e32 v26, 0x104, v14
	ds_read_b32 v25, v10 offset:10416
	ds_read_b32 v27, v26 offset:10400
	v_cmp_gt_u32_e64 s[12:13], 12, v4
	s_waitcnt lgkmcnt(0)
	v_fma_f32 v25, v25, v27, 0
	s_and_saveexec_b64 s[16:17], s[12:13]
	s_cbranch_execnz .LBB8_1204
; %bb.785:
	s_or_b64 exec, exec, s[16:17]
	v_cmp_gt_u32_e64 s[12:13], 8, v4
	s_and_saveexec_b64 s[0:1], s[12:13]
	s_cbranch_execnz .LBB8_1205
.LBB8_786:
	s_or_b64 exec, exec, s[0:1]
	v_cmp_gt_u32_e64 s[12:13], 4, v4
	s_and_saveexec_b64 s[0:1], s[12:13]
	s_cbranch_execz .LBB8_788
.LBB8_787:
	v_lshlrev_b32_e32 v26, 2, v0
	v_mov_b32_e32 v27, 0
	ds_read_b32 v26, v26 offset:11184
	ds_read_b32 v27, v27 offset:10412
	s_waitcnt lgkmcnt(0)
	v_fmac_f32_e32 v25, v26, v27
.LBB8_788:
	s_or_b64 exec, exec, s[0:1]
	v_xor_b32_e32 v25, 0x80000000, v25
.LBB8_789:
	s_or_b64 exec, exec, s[14:15]
	s_and_saveexec_b64 s[0:1], s[38:39]
; %bb.790:
	ds_write_b32 v12, v25
; %bb.791:
	s_or_b64 exec, exec, s[0:1]
	s_waitcnt lgkmcnt(0)
	s_barrier
	s_and_saveexec_b64 s[0:1], s[42:43]
	s_cbranch_execz .LBB8_793
; %bb.792:
	ds_read_b32 v26, v11 offset:11440
	ds_read_b32 v27, v12
	s_waitcnt lgkmcnt(0)
	v_fmac_f32_e32 v25, v26, v27
.LBB8_793:
	s_or_b64 exec, exec, s[0:1]
	s_barrier
	s_and_saveexec_b64 s[0:1], s[44:45]
; %bb.794:
	ds_write_b32 v12, v25
; %bb.795:
	s_or_b64 exec, exec, s[0:1]
	s_waitcnt lgkmcnt(0)
	s_barrier
	s_and_saveexec_b64 s[0:1], s[52:53]
	s_cbranch_execz .LBB8_797
; %bb.796:
	ds_read_b32 v26, v11 offset:11696
	ds_read_b32 v27, v12
	s_waitcnt lgkmcnt(0)
	v_fmac_f32_e32 v25, v26, v27
.LBB8_797:
	s_or_b64 exec, exec, s[0:1]
	s_barrier
	s_and_saveexec_b64 s[0:1], s[54:55]
; %bb.798:
	ds_write_b32 v12, v25
; %bb.799:
	s_or_b64 exec, exec, s[0:1]
	s_waitcnt lgkmcnt(0)
	s_barrier
	s_and_saveexec_b64 s[0:1], s[36:37]
	s_cbranch_execz .LBB8_801
; %bb.800:
	v_mov_b32_e32 v26, 0
	ds_read_b32 v26, v26 offset:11964
	ds_read_b32 v27, v12
	s_waitcnt lgkmcnt(0)
	v_fmac_f32_e32 v25, v26, v27
.LBB8_801:
	s_or_b64 exec, exec, s[0:1]
	s_barrier
	s_and_saveexec_b64 s[0:1], s[36:37]
; %bb.802:
	ds_write_b32 v12, v25
; %bb.803:
	s_or_b64 exec, exec, s[0:1]
	s_waitcnt lgkmcnt(0)
	s_barrier
	s_barrier
	s_and_saveexec_b64 s[0:1], s[18:19]
; %bb.804:
	v_xor_b32_e32 v25, 0x80000000, v25
	ds_write_b32 v10, v25 offset:10416
; %bb.805:
	s_or_b64 exec, exec, s[0:1]
	s_waitcnt lgkmcnt(0)
	s_barrier
	s_barrier
	s_and_saveexec_b64 s[12:13], s[56:57]
	s_cbranch_execz .LBB8_807
; %bb.806:
	v_lshlrev_b32_e32 v25, 8, v0
	ds_read_b32 v26, v25 offset:10416
	s_movk_i32 s0, 0xff04
	v_mad_i32_i24 v27, v0, s0, v25
	s_waitcnt lgkmcnt(0)
	ds_write_b32 v27, v26 offset:11424
	ds_read_b32 v26, v25 offset:10420
	s_waitcnt lgkmcnt(0)
	ds_write_b32 v27, v26 offset:11680
	ds_read_b32 v26, v25 offset:10424
	;; [unrolled: 3-line block ×3, first 2 shown]
	s_waitcnt lgkmcnt(0)
	ds_write_b32 v27, v25 offset:12192
.LBB8_807:
	s_or_b64 exec, exec, s[12:13]
	s_waitcnt lgkmcnt(0)
	s_barrier
	s_and_saveexec_b64 s[12:13], vcc
	s_cbranch_execz .LBB8_809
; %bb.808:
	v_mov_b32_e32 v27, 0
	ds_read_b32 v25, v27 offset:11444
	v_mov_b32_e32 v26, 1.0
	ds_write_b32 v27, v26 offset:11440
	s_waitcnt lgkmcnt(1)
	ds_write_b64 v27, v[25:26] offset:11696
.LBB8_809:
	s_or_b64 exec, exec, s[12:13]
	v_mov_b32_e32 v25, 0
	s_waitcnt lgkmcnt(0)
	s_barrier
	s_and_saveexec_b64 s[14:15], s[2:3]
	s_cbranch_execz .LBB8_813
; %bb.810:
	v_mul_u32_u24_e32 v25, 0x104, v5
	ds_read_b32 v27, v2 offset:11448
	ds_read_b32 v25, v25 offset:11440
	v_mov_b32_e32 v26, 0
	v_cmp_gt_u32_e64 s[12:13], 2, v4
	s_waitcnt lgkmcnt(0)
	v_fma_f32 v25, v27, v25, 0
	s_and_saveexec_b64 s[0:1], s[12:13]
	s_cbranch_execz .LBB8_812
; %bb.811:
	v_lshlrev_b32_e32 v27, 2, v0
	ds_read_b32 v27, v27 offset:11704
	ds_read_b32 v26, v26 offset:11444
	s_waitcnt lgkmcnt(0)
	v_fmac_f32_e32 v25, v27, v26
.LBB8_812:
	s_or_b64 exec, exec, s[0:1]
	v_xor_b32_e32 v25, 0x80000000, v25
.LBB8_813:
	s_or_b64 exec, exec, s[14:15]
	s_and_saveexec_b64 s[0:1], s[30:31]
; %bb.814:
	ds_write_b32 v3, v25
; %bb.815:
	s_or_b64 exec, exec, s[0:1]
	s_waitcnt lgkmcnt(0)
	s_barrier
	s_and_saveexec_b64 s[0:1], s[28:29]
	s_cbranch_execz .LBB8_817
; %bb.816:
	v_mov_b32_e32 v26, 0
	ds_read_b32 v26, v26 offset:11964
	ds_read_b32 v27, v3
	s_waitcnt lgkmcnt(0)
	v_fmac_f32_e32 v25, v26, v27
.LBB8_817:
	s_or_b64 exec, exec, s[0:1]
	s_barrier
	s_and_saveexec_b64 s[0:1], s[28:29]
; %bb.818:
	ds_write_b32 v3, v25
; %bb.819:
	s_or_b64 exec, exec, s[0:1]
	s_waitcnt lgkmcnt(0)
	s_barrier
	s_barrier
	s_and_saveexec_b64 s[0:1], s[2:3]
; %bb.820:
	v_xor_b32_e32 v25, 0x80000000, v25
	ds_write_b32 v2, v25 offset:11448
; %bb.821:
	s_or_b64 exec, exec, s[0:1]
	s_waitcnt lgkmcnt(0)
	s_barrier
	s_barrier
	s_and_saveexec_b64 s[0:1], s[34:35]
	s_cbranch_execz .LBB8_823
; %bb.822:
	v_lshlrev_b32_e32 v25, 2, v0
	s_movk_i32 s12, 0xfc
	v_mad_u32_u24 v26, v0, s12, v25
	ds_read_b32 v27, v26 offset:11448
	s_waitcnt lgkmcnt(0)
	ds_write_b32 v25, v27 offset:11952
	ds_read_b32 v26, v26 offset:11452
	s_waitcnt lgkmcnt(0)
	ds_write_b32 v25, v26 offset:12208
.LBB8_823:
	s_or_b64 exec, exec, s[0:1]
	s_waitcnt lgkmcnt(0)
	s_barrier
	s_and_saveexec_b64 s[12:13], vcc
	s_cbranch_execz .LBB8_825
; %bb.824:
	v_mov_b32_e32 v27, 0
	ds_read_b32 v25, v27 offset:11964
	v_mov_b32_e32 v26, 1.0
	ds_write_b32 v27, v26 offset:11960
	s_waitcnt lgkmcnt(1)
	ds_write_b64 v27, v[25:26] offset:12216
.LBB8_825:
	s_or_b64 exec, exec, s[12:13]
	v_mov_b32_e32 v25, 0
	s_waitcnt lgkmcnt(0)
	s_barrier
	s_and_saveexec_b64 s[14:15], s[10:11]
	s_cbranch_execz .LBB8_853
; %bb.826:
	v_mul_u32_u24_e32 v26, 0x104, v24
	ds_read_b32 v25, v20 offset:8384
	ds_read_b32 v27, v26 offset:8320
	s_movk_i32 s0, 0xf0
	v_cmp_gt_u32_e64 s[12:13], s0, v4
	s_waitcnt lgkmcnt(0)
	v_fma_f32 v25, v25, v27, 0
	s_and_saveexec_b64 s[16:17], s[12:13]
	s_cbranch_execz .LBB8_828
; %bb.827:
	v_lshlrev_b32_e32 v27, 2, v24
	v_sub_u32_e32 v27, v26, v27
	v_lshl_add_u32 v27, v21, 2, v27
	ds_read_b32 v27, v27 offset:8640
	ds_read_b32 v28, v26 offset:8324
	s_waitcnt lgkmcnt(0)
	v_fmac_f32_e32 v25, v27, v28
.LBB8_828:
	s_or_b64 exec, exec, s[16:17]
	s_movk_i32 s0, 0xe0
	v_cmp_gt_u32_e64 s[12:13], s0, v4
	s_and_saveexec_b64 s[0:1], s[12:13]
	s_cbranch_execz .LBB8_830
; %bb.829:
	v_lshlrev_b32_e32 v27, 2, v24
	v_sub_u32_e32 v27, v26, v27
	v_lshl_add_u32 v27, v21, 2, v27
	ds_read_b32 v27, v27 offset:8896
	ds_read_b32 v28, v26 offset:8328
	s_waitcnt lgkmcnt(0)
	v_fmac_f32_e32 v25, v27, v28
.LBB8_830:
	s_or_b64 exec, exec, s[0:1]
	s_movk_i32 s0, 0xd0
	v_cmp_gt_u32_e64 s[12:13], s0, v4
	;; [unrolled: 14-line block ×7, first 2 shown]
	s_and_saveexec_b64 s[0:1], s[12:13]
	s_cbranch_execz .LBB8_842
; %bb.841:
	ds_read_b32 v24, v20 offset:10432
	ds_read_b32 v27, v26 offset:8352
	s_waitcnt lgkmcnt(0)
	v_fmac_f32_e32 v25, v24, v27
.LBB8_842:
	s_or_b64 exec, exec, s[0:1]
	s_movk_i32 s0, 0x70
	v_cmp_gt_u32_e64 s[12:13], s0, v4
	s_and_saveexec_b64 s[0:1], s[12:13]
	s_cbranch_execz .LBB8_844
; %bb.843:
	v_lshlrev_b32_e32 v24, 2, v21
	v_lshl_add_u32 v24, v23, 2, v24
	ds_read_b32 v24, v24 offset:10688
	ds_read_b32 v27, v26 offset:8356
	s_waitcnt lgkmcnt(0)
	v_fmac_f32_e32 v25, v24, v27
.LBB8_844:
	s_or_b64 exec, exec, s[0:1]
	s_movk_i32 s0, 0x60
	v_cmp_gt_u32_e64 s[12:13], s0, v4
	s_and_saveexec_b64 s[0:1], s[12:13]
	s_cbranch_execz .LBB8_846
; %bb.845:
	v_lshlrev_b32_e32 v24, 2, v21
	v_lshl_add_u32 v24, v23, 2, v24
	ds_read_b32 v24, v24 offset:10944
	ds_read_b32 v27, v26 offset:8360
	s_waitcnt lgkmcnt(0)
	v_fmac_f32_e32 v25, v24, v27
.LBB8_846:
	s_or_b64 exec, exec, s[0:1]
	s_movk_i32 s0, 0x50
	v_cmp_gt_u32_e64 s[12:13], s0, v4
	s_and_saveexec_b64 s[0:1], s[12:13]
	s_cbranch_execnz .LBB8_1206
; %bb.847:
	s_or_b64 exec, exec, s[0:1]
	v_cmp_gt_u32_e64 s[12:13], 64, v4
	s_and_saveexec_b64 s[0:1], s[12:13]
	s_cbranch_execnz .LBB8_1207
.LBB8_848:
	s_or_b64 exec, exec, s[0:1]
	v_cmp_gt_u32_e64 s[12:13], 48, v4
	s_and_saveexec_b64 s[0:1], s[12:13]
	s_cbranch_execnz .LBB8_1208
.LBB8_849:
	s_or_b64 exec, exec, s[0:1]
	v_cmp_gt_u32_e64 s[12:13], 32, v4
	s_and_saveexec_b64 s[0:1], s[12:13]
	s_cbranch_execnz .LBB8_1209
.LBB8_850:
	s_or_b64 exec, exec, s[0:1]
	v_cmp_gt_u32_e64 s[12:13], 16, v4
	s_and_saveexec_b64 s[0:1], s[12:13]
	s_cbranch_execz .LBB8_852
.LBB8_851:
	v_lshlrev_b32_e32 v23, 2, v0
	v_mov_b32_e32 v24, 0
	ds_read_b32 v23, v23 offset:12224
	ds_read_b32 v24, v24 offset:8380
	s_waitcnt lgkmcnt(0)
	v_fmac_f32_e32 v25, v23, v24
.LBB8_852:
	s_or_b64 exec, exec, s[0:1]
	v_xor_b32_e32 v25, 0x80000000, v25
.LBB8_853:
	s_or_b64 exec, exec, s[14:15]
	s_mov_b64 s[0:1], exec
	v_readlane_b32 s12, v33, 3
	v_readlane_b32 s13, v33, 4
	s_and_b64 s[12:13], s[0:1], s[12:13]
	s_mov_b64 exec, s[12:13]
; %bb.854:
	ds_write_b32 v22, v25
; %bb.855:
	s_or_b64 exec, exec, s[0:1]
	s_waitcnt lgkmcnt(0)
	s_barrier
	s_mov_b64 s[0:1], exec
	v_readlane_b32 s12, v33, 5
	v_readlane_b32 s13, v33, 6
	s_and_b64 s[12:13], s[0:1], s[12:13]
	s_mov_b64 exec, s[12:13]
	s_cbranch_execz .LBB8_857
; %bb.856:
	v_lshlrev_b32_e32 v23, 2, v21
	ds_read_b32 v23, v23 offset:12480
	ds_read_b32 v24, v22
	s_waitcnt lgkmcnt(0)
	v_fmac_f32_e32 v25, v23, v24
.LBB8_857:
	s_or_b64 exec, exec, s[0:1]
	s_barrier
	s_mov_b64 s[0:1], exec
	v_readlane_b32 s12, v33, 7
	v_readlane_b32 s13, v33, 8
	s_and_b64 s[12:13], s[0:1], s[12:13]
	s_mov_b64 exec, s[12:13]
; %bb.858:
	ds_write_b32 v22, v25
; %bb.859:
	s_or_b64 exec, exec, s[0:1]
	s_waitcnt lgkmcnt(0)
	s_barrier
	s_mov_b64 s[0:1], exec
	v_readlane_b32 s12, v33, 9
	v_readlane_b32 s13, v33, 10
	s_and_b64 s[12:13], s[0:1], s[12:13]
	s_mov_b64 exec, s[12:13]
	s_cbranch_execz .LBB8_861
; %bb.860:
	v_lshlrev_b32_e32 v23, 2, v21
	ds_read_b32 v23, v23 offset:12736
	ds_read_b32 v24, v22
	s_waitcnt lgkmcnt(0)
	v_fmac_f32_e32 v25, v23, v24
.LBB8_861:
	s_or_b64 exec, exec, s[0:1]
	s_barrier
	;; [unrolled: 26-line block ×14, first 2 shown]
	s_mov_b64 s[0:1], exec
	v_readlane_b32 s12, v33, 59
	v_readlane_b32 s13, v33, 60
	s_and_b64 s[12:13], s[0:1], s[12:13]
	s_mov_b64 exec, s[12:13]
; %bb.910:
	ds_write_b32 v22, v25
; %bb.911:
	s_or_b64 exec, exec, s[0:1]
	s_waitcnt lgkmcnt(0)
	s_barrier
	s_and_saveexec_b64 s[0:1], s[88:89]
	s_cbranch_execz .LBB8_913
; %bb.912:
	v_mov_b32_e32 v21, 0
	ds_read_b32 v21, v21 offset:16124
	ds_read_b32 v23, v22
	s_waitcnt lgkmcnt(0)
	v_fmac_f32_e32 v25, v21, v23
.LBB8_913:
	s_or_b64 exec, exec, s[0:1]
	s_barrier
	s_and_saveexec_b64 s[0:1], s[88:89]
; %bb.914:
	ds_write_b32 v22, v25
; %bb.915:
	s_or_b64 exec, exec, s[0:1]
	s_waitcnt lgkmcnt(0)
	s_barrier
	s_barrier
	s_and_saveexec_b64 s[0:1], s[10:11]
; %bb.916:
	v_xor_b32_e32 v21, 0x80000000, v25
	ds_write_b32 v20, v21 offset:8384
; %bb.917:
	s_or_b64 exec, exec, s[0:1]
	s_waitcnt lgkmcnt(0)
	s_barrier
	s_barrier
	s_mov_b64 s[0:1], exec
	v_readlane_b32 s10, v33, 61
	v_readlane_b32 s11, v33, 62
	s_and_b64 s[10:11], s[0:1], s[10:11]
	s_mov_b64 exec, s[10:11]
	s_cbranch_execz .LBB8_919
; %bb.918:
	v_lshlrev_b32_e32 v20, 8, v0
	ds_read_b32 v21, v20 offset:8384
	s_movk_i32 s10, 0xff04
	v_mad_i32_i24 v22, v0, s10, v20
	s_waitcnt lgkmcnt(0)
	ds_write_b32 v22, v21 offset:12416
	ds_read_b32 v21, v20 offset:8388
	s_waitcnt lgkmcnt(0)
	ds_write_b32 v22, v21 offset:12672
	ds_read_b32 v21, v20 offset:8392
	;; [unrolled: 3-line block ×15, first 2 shown]
	s_waitcnt lgkmcnt(0)
	ds_write_b32 v22, v20 offset:16256
.LBB8_919:
	s_or_b64 exec, exec, s[0:1]
	s_waitcnt lgkmcnt(0)
	s_barrier
	s_and_saveexec_b64 s[0:1], vcc
	s_cbranch_execz .LBB8_921
; %bb.920:
	v_mov_b32_e32 v22, 0
	ds_read_b32 v20, v22 offset:12484
	v_mov_b32_e32 v21, 1.0
	ds_write_b32 v22, v21 offset:12480
	s_waitcnt lgkmcnt(1)
	ds_write_b64 v22, v[20:21] offset:12736
.LBB8_921:
	s_or_b64 exec, exec, s[0:1]
	v_mov_b32_e32 v20, 0
	s_waitcnt lgkmcnt(0)
	s_barrier
	s_and_saveexec_b64 s[0:1], s[2:3]
	s_cbranch_execz .LBB8_925
; %bb.922:
	v_mul_u32_u24_e32 v20, 0x104, v5
	ds_read_b32 v22, v2 offset:12488
	ds_read_b32 v20, v20 offset:12480
	v_mov_b32_e32 v21, 0
	v_cmp_gt_u32_e64 s[10:11], 2, v4
	s_waitcnt lgkmcnt(0)
	v_fma_f32 v20, v22, v20, 0
	s_and_saveexec_b64 s[12:13], s[10:11]
	s_cbranch_execz .LBB8_924
; %bb.923:
	v_lshlrev_b32_e32 v22, 2, v0
	ds_read_b32 v22, v22 offset:12744
	ds_read_b32 v21, v21 offset:12484
	s_waitcnt lgkmcnt(0)
	v_fmac_f32_e32 v20, v22, v21
.LBB8_924:
	s_or_b64 exec, exec, s[12:13]
	v_xor_b32_e32 v20, 0x80000000, v20
.LBB8_925:
	s_or_b64 exec, exec, s[0:1]
	s_and_saveexec_b64 s[0:1], s[30:31]
; %bb.926:
	ds_write_b32 v3, v20
; %bb.927:
	s_or_b64 exec, exec, s[0:1]
	s_waitcnt lgkmcnt(0)
	s_barrier
	s_and_saveexec_b64 s[0:1], s[28:29]
	s_cbranch_execz .LBB8_929
; %bb.928:
	v_mov_b32_e32 v21, 0
	ds_read_b32 v21, v21 offset:13004
	ds_read_b32 v22, v3
	s_waitcnt lgkmcnt(0)
	v_fmac_f32_e32 v20, v21, v22
.LBB8_929:
	s_or_b64 exec, exec, s[0:1]
	s_barrier
	s_and_saveexec_b64 s[0:1], s[28:29]
; %bb.930:
	ds_write_b32 v3, v20
; %bb.931:
	s_or_b64 exec, exec, s[0:1]
	s_waitcnt lgkmcnt(0)
	s_barrier
	s_barrier
	s_and_saveexec_b64 s[0:1], s[2:3]
; %bb.932:
	v_xor_b32_e32 v20, 0x80000000, v20
	ds_write_b32 v2, v20 offset:12488
; %bb.933:
	s_or_b64 exec, exec, s[0:1]
	s_waitcnt lgkmcnt(0)
	s_barrier
	s_barrier
	s_and_saveexec_b64 s[0:1], s[34:35]
	s_cbranch_execz .LBB8_935
; %bb.934:
	v_lshlrev_b32_e32 v20, 2, v0
	s_movk_i32 s10, 0xfc
	v_mad_u32_u24 v21, v0, s10, v20
	ds_read_b32 v22, v21 offset:12488
	s_waitcnt lgkmcnt(0)
	ds_write_b32 v20, v22 offset:12992
	ds_read_b32 v21, v21 offset:12492
	s_waitcnt lgkmcnt(0)
	ds_write_b32 v20, v21 offset:13248
.LBB8_935:
	s_or_b64 exec, exec, s[0:1]
	s_waitcnt lgkmcnt(0)
	s_barrier
	s_and_saveexec_b64 s[0:1], vcc
	s_cbranch_execz .LBB8_937
; %bb.936:
	v_mov_b32_e32 v22, 0
	ds_read_b32 v20, v22 offset:13004
	v_mov_b32_e32 v21, 1.0
	ds_write_b32 v22, v21 offset:13000
	s_waitcnt lgkmcnt(1)
	ds_write_b64 v22, v[20:21] offset:13256
.LBB8_937:
	s_or_b64 exec, exec, s[0:1]
	v_mov_b32_e32 v20, 0
	s_waitcnt lgkmcnt(0)
	s_barrier
	s_and_saveexec_b64 s[0:1], s[18:19]
	s_cbranch_execz .LBB8_943
; %bb.938:
	v_mul_u32_u24_e32 v21, 0x104, v14
	ds_read_b32 v20, v10 offset:12496
	ds_read_b32 v22, v21 offset:12480
	v_cmp_gt_u32_e64 s[10:11], 12, v4
	s_waitcnt lgkmcnt(0)
	v_fma_f32 v20, v20, v22, 0
	s_and_saveexec_b64 s[12:13], s[10:11]
	s_cbranch_execnz .LBB8_1210
; %bb.939:
	s_or_b64 exec, exec, s[12:13]
	v_cmp_gt_u32_e64 s[10:11], 8, v4
	s_and_saveexec_b64 s[12:13], s[10:11]
	s_cbranch_execnz .LBB8_1211
.LBB8_940:
	s_or_b64 exec, exec, s[12:13]
	v_cmp_gt_u32_e64 s[10:11], 4, v4
	s_and_saveexec_b64 s[12:13], s[10:11]
	s_cbranch_execz .LBB8_942
.LBB8_941:
	v_lshlrev_b32_e32 v21, 2, v0
	v_mov_b32_e32 v22, 0
	ds_read_b32 v21, v21 offset:13264
	ds_read_b32 v22, v22 offset:12492
	s_waitcnt lgkmcnt(0)
	v_fmac_f32_e32 v20, v21, v22
.LBB8_942:
	s_or_b64 exec, exec, s[12:13]
	v_xor_b32_e32 v20, 0x80000000, v20
.LBB8_943:
	s_or_b64 exec, exec, s[0:1]
	s_and_saveexec_b64 s[0:1], s[38:39]
; %bb.944:
	ds_write_b32 v12, v20
; %bb.945:
	s_or_b64 exec, exec, s[0:1]
	s_waitcnt lgkmcnt(0)
	s_barrier
	s_and_saveexec_b64 s[0:1], s[42:43]
	s_cbranch_execz .LBB8_947
; %bb.946:
	ds_read_b32 v21, v11 offset:13520
	ds_read_b32 v22, v12
	s_waitcnt lgkmcnt(0)
	v_fmac_f32_e32 v20, v21, v22
.LBB8_947:
	s_or_b64 exec, exec, s[0:1]
	s_barrier
	s_and_saveexec_b64 s[0:1], s[44:45]
; %bb.948:
	ds_write_b32 v12, v20
; %bb.949:
	s_or_b64 exec, exec, s[0:1]
	s_waitcnt lgkmcnt(0)
	s_barrier
	s_and_saveexec_b64 s[0:1], s[52:53]
	s_cbranch_execz .LBB8_951
; %bb.950:
	ds_read_b32 v21, v11 offset:13776
	ds_read_b32 v22, v12
	s_waitcnt lgkmcnt(0)
	v_fmac_f32_e32 v20, v21, v22
.LBB8_951:
	s_or_b64 exec, exec, s[0:1]
	s_barrier
	s_and_saveexec_b64 s[0:1], s[54:55]
; %bb.952:
	ds_write_b32 v12, v20
; %bb.953:
	s_or_b64 exec, exec, s[0:1]
	s_waitcnt lgkmcnt(0)
	s_barrier
	s_and_saveexec_b64 s[0:1], s[36:37]
	s_cbranch_execz .LBB8_955
; %bb.954:
	v_mov_b32_e32 v21, 0
	ds_read_b32 v21, v21 offset:14044
	ds_read_b32 v22, v12
	s_waitcnt lgkmcnt(0)
	v_fmac_f32_e32 v20, v21, v22
.LBB8_955:
	s_or_b64 exec, exec, s[0:1]
	s_barrier
	s_and_saveexec_b64 s[0:1], s[36:37]
; %bb.956:
	ds_write_b32 v12, v20
; %bb.957:
	s_or_b64 exec, exec, s[0:1]
	s_waitcnt lgkmcnt(0)
	s_barrier
	s_barrier
	s_and_saveexec_b64 s[0:1], s[18:19]
; %bb.958:
	v_xor_b32_e32 v20, 0x80000000, v20
	ds_write_b32 v10, v20 offset:12496
; %bb.959:
	s_or_b64 exec, exec, s[0:1]
	s_waitcnt lgkmcnt(0)
	s_barrier
	s_barrier
	s_and_saveexec_b64 s[0:1], s[56:57]
	s_cbranch_execz .LBB8_961
; %bb.960:
	v_lshlrev_b32_e32 v20, 8, v0
	ds_read_b32 v21, v20 offset:12496
	s_movk_i32 s10, 0xff04
	v_mad_i32_i24 v22, v0, s10, v20
	s_waitcnt lgkmcnt(0)
	ds_write_b32 v22, v21 offset:13504
	ds_read_b32 v21, v20 offset:12500
	s_waitcnt lgkmcnt(0)
	ds_write_b32 v22, v21 offset:13760
	ds_read_b32 v21, v20 offset:12504
	;; [unrolled: 3-line block ×3, first 2 shown]
	s_waitcnt lgkmcnt(0)
	ds_write_b32 v22, v20 offset:14272
.LBB8_961:
	s_or_b64 exec, exec, s[0:1]
	s_waitcnt lgkmcnt(0)
	s_barrier
	s_and_saveexec_b64 s[0:1], vcc
	s_cbranch_execz .LBB8_963
; %bb.962:
	v_mov_b32_e32 v22, 0
	ds_read_b32 v20, v22 offset:13524
	v_mov_b32_e32 v21, 1.0
	ds_write_b32 v22, v21 offset:13520
	s_waitcnt lgkmcnt(1)
	ds_write_b64 v22, v[20:21] offset:13776
.LBB8_963:
	s_or_b64 exec, exec, s[0:1]
	v_mov_b32_e32 v20, 0
	s_waitcnt lgkmcnt(0)
	s_barrier
	s_and_saveexec_b64 s[0:1], s[2:3]
	s_cbranch_execz .LBB8_967
; %bb.964:
	v_mul_u32_u24_e32 v20, 0x104, v5
	ds_read_b32 v22, v2 offset:13528
	ds_read_b32 v20, v20 offset:13520
	v_mov_b32_e32 v21, 0
	v_cmp_gt_u32_e64 s[10:11], 2, v4
	s_waitcnt lgkmcnt(0)
	v_fma_f32 v20, v22, v20, 0
	s_and_saveexec_b64 s[12:13], s[10:11]
	s_cbranch_execz .LBB8_966
; %bb.965:
	v_lshlrev_b32_e32 v22, 2, v0
	ds_read_b32 v22, v22 offset:13784
	ds_read_b32 v21, v21 offset:13524
	s_waitcnt lgkmcnt(0)
	v_fmac_f32_e32 v20, v22, v21
.LBB8_966:
	s_or_b64 exec, exec, s[12:13]
	v_xor_b32_e32 v20, 0x80000000, v20
.LBB8_967:
	s_or_b64 exec, exec, s[0:1]
	s_and_saveexec_b64 s[0:1], s[30:31]
; %bb.968:
	ds_write_b32 v3, v20
; %bb.969:
	s_or_b64 exec, exec, s[0:1]
	s_waitcnt lgkmcnt(0)
	s_barrier
	s_and_saveexec_b64 s[0:1], s[28:29]
	s_cbranch_execz .LBB8_971
; %bb.970:
	v_mov_b32_e32 v21, 0
	ds_read_b32 v21, v21 offset:14044
	ds_read_b32 v22, v3
	s_waitcnt lgkmcnt(0)
	v_fmac_f32_e32 v20, v21, v22
.LBB8_971:
	s_or_b64 exec, exec, s[0:1]
	s_barrier
	s_and_saveexec_b64 s[0:1], s[28:29]
; %bb.972:
	ds_write_b32 v3, v20
; %bb.973:
	s_or_b64 exec, exec, s[0:1]
	s_waitcnt lgkmcnt(0)
	s_barrier
	s_barrier
	s_and_saveexec_b64 s[0:1], s[2:3]
; %bb.974:
	v_xor_b32_e32 v20, 0x80000000, v20
	ds_write_b32 v2, v20 offset:13528
; %bb.975:
	s_or_b64 exec, exec, s[0:1]
	s_waitcnt lgkmcnt(0)
	s_barrier
	s_barrier
	s_and_saveexec_b64 s[0:1], s[34:35]
	s_cbranch_execz .LBB8_977
; %bb.976:
	v_lshlrev_b32_e32 v20, 2, v0
	s_movk_i32 s10, 0xfc
	v_mad_u32_u24 v21, v0, s10, v20
	ds_read_b32 v22, v21 offset:13528
	s_waitcnt lgkmcnt(0)
	ds_write_b32 v20, v22 offset:14032
	ds_read_b32 v21, v21 offset:13532
	s_waitcnt lgkmcnt(0)
	ds_write_b32 v20, v21 offset:14288
.LBB8_977:
	s_or_b64 exec, exec, s[0:1]
	s_waitcnt lgkmcnt(0)
	s_barrier
	s_and_saveexec_b64 s[0:1], vcc
	s_cbranch_execz .LBB8_979
; %bb.978:
	v_mov_b32_e32 v22, 0
	ds_read_b32 v20, v22 offset:14044
	v_mov_b32_e32 v21, 1.0
	ds_write_b32 v22, v21 offset:14040
	s_waitcnt lgkmcnt(1)
	ds_write_b64 v22, v[20:21] offset:14296
.LBB8_979:
	s_or_b64 exec, exec, s[0:1]
	v_mov_b32_e32 v20, 0
	s_waitcnt lgkmcnt(0)
	s_barrier
	s_and_saveexec_b64 s[0:1], s[8:9]
	s_cbranch_execz .LBB8_989
; %bb.980:
	v_mul_u32_u24_e32 v21, 0x104, v19
	ds_read_b32 v20, v15 offset:12512
	ds_read_b32 v22, v21 offset:12480
	v_cmp_gt_u32_e64 s[10:11], 56, v4
	s_waitcnt lgkmcnt(0)
	v_fma_f32 v20, v20, v22, 0
	s_and_saveexec_b64 s[12:13], s[10:11]
	s_cbranch_execnz .LBB8_1212
; %bb.981:
	s_or_b64 exec, exec, s[12:13]
	v_cmp_gt_u32_e64 s[10:11], 48, v4
	s_and_saveexec_b64 s[12:13], s[10:11]
	s_cbranch_execnz .LBB8_1213
.LBB8_982:
	s_or_b64 exec, exec, s[12:13]
	v_cmp_gt_u32_e64 s[10:11], 40, v4
	s_and_saveexec_b64 s[12:13], s[10:11]
	s_cbranch_execnz .LBB8_1214
.LBB8_983:
	s_or_b64 exec, exec, s[12:13]
	v_cmp_gt_u32_e64 s[10:11], 32, v4
	s_and_saveexec_b64 s[12:13], s[10:11]
	s_cbranch_execnz .LBB8_1215
.LBB8_984:
	s_or_b64 exec, exec, s[12:13]
	v_cmp_gt_u32_e64 s[10:11], 24, v4
	s_and_saveexec_b64 s[12:13], s[10:11]
	s_cbranch_execnz .LBB8_1216
.LBB8_985:
	s_or_b64 exec, exec, s[12:13]
	v_cmp_gt_u32_e64 s[10:11], 16, v4
	s_and_saveexec_b64 s[12:13], s[10:11]
	s_cbranch_execnz .LBB8_1217
.LBB8_986:
	s_or_b64 exec, exec, s[12:13]
	v_cmp_gt_u32_e64 s[10:11], 8, v4
	s_and_saveexec_b64 s[12:13], s[10:11]
	s_cbranch_execz .LBB8_988
.LBB8_987:
	v_lshlrev_b32_e32 v18, 2, v0
	v_mov_b32_e32 v19, 0
	ds_read_b32 v18, v18 offset:14304
	ds_read_b32 v19, v19 offset:12508
	s_waitcnt lgkmcnt(0)
	v_fmac_f32_e32 v20, v18, v19
.LBB8_988:
	s_or_b64 exec, exec, s[12:13]
	v_xor_b32_e32 v20, 0x80000000, v20
.LBB8_989:
	s_or_b64 exec, exec, s[0:1]
	s_and_saveexec_b64 s[0:1], s[58:59]
; %bb.990:
	ds_write_b32 v17, v20
; %bb.991:
	s_or_b64 exec, exec, s[0:1]
	s_waitcnt lgkmcnt(0)
	s_barrier
	s_and_saveexec_b64 s[0:1], s[60:61]
	s_cbranch_execz .LBB8_993
; %bb.992:
	ds_read_b32 v18, v16 offset:14560
	ds_read_b32 v19, v17
	s_waitcnt lgkmcnt(0)
	v_fmac_f32_e32 v20, v18, v19
.LBB8_993:
	s_or_b64 exec, exec, s[0:1]
	s_barrier
	s_and_saveexec_b64 s[0:1], s[62:63]
; %bb.994:
	ds_write_b32 v17, v20
; %bb.995:
	s_or_b64 exec, exec, s[0:1]
	s_waitcnt lgkmcnt(0)
	s_barrier
	s_and_saveexec_b64 s[0:1], s[64:65]
	s_cbranch_execz .LBB8_997
; %bb.996:
	ds_read_b32 v18, v16 offset:14816
	ds_read_b32 v19, v17
	s_waitcnt lgkmcnt(0)
	v_fmac_f32_e32 v20, v18, v19
.LBB8_997:
	s_or_b64 exec, exec, s[0:1]
	s_barrier
	;; [unrolled: 17-line block ×6, first 2 shown]
	s_and_saveexec_b64 s[0:1], s[84:85]
; %bb.1014:
	ds_write_b32 v17, v20
; %bb.1015:
	s_or_b64 exec, exec, s[0:1]
	s_waitcnt lgkmcnt(0)
	s_barrier
	s_and_saveexec_b64 s[0:1], s[66:67]
	s_cbranch_execz .LBB8_1017
; %bb.1016:
	v_mov_b32_e32 v16, 0
	ds_read_b32 v16, v16 offset:16124
	ds_read_b32 v18, v17
	s_waitcnt lgkmcnt(0)
	v_fmac_f32_e32 v20, v16, v18
.LBB8_1017:
	s_or_b64 exec, exec, s[0:1]
	s_barrier
	s_and_saveexec_b64 s[0:1], s[66:67]
; %bb.1018:
	ds_write_b32 v17, v20
; %bb.1019:
	s_or_b64 exec, exec, s[0:1]
	s_waitcnt lgkmcnt(0)
	s_barrier
	s_barrier
	s_and_saveexec_b64 s[0:1], s[8:9]
; %bb.1020:
	v_xor_b32_e32 v16, 0x80000000, v20
	ds_write_b32 v15, v16 offset:12512
; %bb.1021:
	s_or_b64 exec, exec, s[0:1]
	s_waitcnt lgkmcnt(0)
	s_barrier
	s_barrier
	s_and_saveexec_b64 s[0:1], s[86:87]
	s_cbranch_execz .LBB8_1023
; %bb.1022:
	v_lshlrev_b32_e32 v15, 8, v0
	ds_read_b32 v16, v15 offset:12512
	s_movk_i32 s8, 0xff04
	v_mad_i32_i24 v17, v0, s8, v15
	s_waitcnt lgkmcnt(0)
	ds_write_b32 v17, v16 offset:14528
	ds_read_b32 v16, v15 offset:12516
	s_waitcnt lgkmcnt(0)
	ds_write_b32 v17, v16 offset:14784
	ds_read_b32 v16, v15 offset:12520
	;; [unrolled: 3-line block ×7, first 2 shown]
	s_waitcnt lgkmcnt(0)
	ds_write_b32 v17, v15 offset:16320
.LBB8_1023:
	s_or_b64 exec, exec, s[0:1]
	s_waitcnt lgkmcnt(0)
	s_barrier
	s_and_saveexec_b64 s[0:1], vcc
	s_cbranch_execz .LBB8_1025
; %bb.1024:
	v_mov_b32_e32 v17, 0
	ds_read_b32 v15, v17 offset:14564
	v_mov_b32_e32 v16, 1.0
	ds_write_b32 v17, v16 offset:14560
	s_waitcnt lgkmcnt(1)
	ds_write_b64 v17, v[15:16] offset:14816
.LBB8_1025:
	s_or_b64 exec, exec, s[0:1]
	v_mov_b32_e32 v15, 0
	s_waitcnt lgkmcnt(0)
	s_barrier
	s_and_saveexec_b64 s[0:1], s[2:3]
	s_cbranch_execz .LBB8_1029
; %bb.1026:
	v_mul_u32_u24_e32 v15, 0x104, v5
	ds_read_b32 v17, v2 offset:14568
	ds_read_b32 v15, v15 offset:14560
	v_mov_b32_e32 v16, 0
	v_cmp_gt_u32_e64 s[8:9], 2, v4
	s_waitcnt lgkmcnt(0)
	v_fma_f32 v15, v17, v15, 0
	s_and_saveexec_b64 s[10:11], s[8:9]
	s_cbranch_execz .LBB8_1028
; %bb.1027:
	v_lshlrev_b32_e32 v17, 2, v0
	ds_read_b32 v17, v17 offset:14824
	ds_read_b32 v16, v16 offset:14564
	s_waitcnt lgkmcnt(0)
	v_fmac_f32_e32 v15, v17, v16
.LBB8_1028:
	s_or_b64 exec, exec, s[10:11]
	v_xor_b32_e32 v15, 0x80000000, v15
.LBB8_1029:
	s_or_b64 exec, exec, s[0:1]
	s_and_saveexec_b64 s[0:1], s[30:31]
; %bb.1030:
	ds_write_b32 v3, v15
; %bb.1031:
	s_or_b64 exec, exec, s[0:1]
	s_waitcnt lgkmcnt(0)
	s_barrier
	s_and_saveexec_b64 s[0:1], s[28:29]
	s_cbranch_execz .LBB8_1033
; %bb.1032:
	v_mov_b32_e32 v16, 0
	ds_read_b32 v16, v16 offset:15084
	ds_read_b32 v17, v3
	s_waitcnt lgkmcnt(0)
	v_fmac_f32_e32 v15, v16, v17
.LBB8_1033:
	s_or_b64 exec, exec, s[0:1]
	s_barrier
	s_and_saveexec_b64 s[0:1], s[28:29]
; %bb.1034:
	ds_write_b32 v3, v15
; %bb.1035:
	s_or_b64 exec, exec, s[0:1]
	s_waitcnt lgkmcnt(0)
	s_barrier
	s_barrier
	s_and_saveexec_b64 s[0:1], s[2:3]
; %bb.1036:
	v_xor_b32_e32 v15, 0x80000000, v15
	ds_write_b32 v2, v15 offset:14568
; %bb.1037:
	s_or_b64 exec, exec, s[0:1]
	s_waitcnt lgkmcnt(0)
	s_barrier
	s_barrier
	s_and_saveexec_b64 s[0:1], s[34:35]
	s_cbranch_execz .LBB8_1039
; %bb.1038:
	v_lshlrev_b32_e32 v15, 2, v0
	s_movk_i32 s8, 0xfc
	v_mad_u32_u24 v16, v0, s8, v15
	ds_read_b32 v17, v16 offset:14568
	s_waitcnt lgkmcnt(0)
	ds_write_b32 v15, v17 offset:15072
	ds_read_b32 v16, v16 offset:14572
	s_waitcnt lgkmcnt(0)
	ds_write_b32 v15, v16 offset:15328
.LBB8_1039:
	s_or_b64 exec, exec, s[0:1]
	s_waitcnt lgkmcnt(0)
	s_barrier
	s_and_saveexec_b64 s[0:1], vcc
	s_cbranch_execz .LBB8_1041
; %bb.1040:
	v_mov_b32_e32 v17, 0
	ds_read_b32 v15, v17 offset:15084
	v_mov_b32_e32 v16, 1.0
	ds_write_b32 v17, v16 offset:15080
	s_waitcnt lgkmcnt(1)
	ds_write_b64 v17, v[15:16] offset:15336
.LBB8_1041:
	s_or_b64 exec, exec, s[0:1]
	v_mov_b32_e32 v15, 0
	s_waitcnt lgkmcnt(0)
	s_barrier
	s_and_saveexec_b64 s[0:1], s[18:19]
	s_cbranch_execz .LBB8_1047
; %bb.1042:
	v_mul_u32_u24_e32 v16, 0x104, v14
	ds_read_b32 v15, v10 offset:14576
	ds_read_b32 v17, v16 offset:14560
	v_cmp_gt_u32_e64 s[8:9], 12, v4
	s_waitcnt lgkmcnt(0)
	v_fma_f32 v15, v15, v17, 0
	s_and_saveexec_b64 s[10:11], s[8:9]
	s_cbranch_execnz .LBB8_1218
; %bb.1043:
	s_or_b64 exec, exec, s[10:11]
	v_cmp_gt_u32_e64 s[8:9], 8, v4
	s_and_saveexec_b64 s[10:11], s[8:9]
	s_cbranch_execnz .LBB8_1219
.LBB8_1044:
	s_or_b64 exec, exec, s[10:11]
	v_cmp_gt_u32_e64 s[8:9], 4, v4
	s_and_saveexec_b64 s[10:11], s[8:9]
	s_cbranch_execz .LBB8_1046
.LBB8_1045:
	v_lshlrev_b32_e32 v13, 2, v0
	v_mov_b32_e32 v14, 0
	ds_read_b32 v13, v13 offset:15344
	ds_read_b32 v14, v14 offset:14572
	s_waitcnt lgkmcnt(0)
	v_fmac_f32_e32 v15, v13, v14
.LBB8_1046:
	s_or_b64 exec, exec, s[10:11]
	v_xor_b32_e32 v15, 0x80000000, v15
.LBB8_1047:
	s_or_b64 exec, exec, s[0:1]
	s_and_saveexec_b64 s[0:1], s[38:39]
; %bb.1048:
	ds_write_b32 v12, v15
; %bb.1049:
	s_or_b64 exec, exec, s[0:1]
	s_waitcnt lgkmcnt(0)
	s_barrier
	s_and_saveexec_b64 s[0:1], s[42:43]
	v_readlane_b32 s38, v33, 1
	v_readlane_b32 s39, v33, 2
	s_cbranch_execz .LBB8_1051
; %bb.1050:
	ds_read_b32 v13, v11 offset:15600
	ds_read_b32 v14, v12
	s_waitcnt lgkmcnt(0)
	v_fmac_f32_e32 v15, v13, v14
.LBB8_1051:
	s_or_b64 exec, exec, s[0:1]
	s_barrier
	s_and_saveexec_b64 s[0:1], s[44:45]
; %bb.1052:
	ds_write_b32 v12, v15
; %bb.1053:
	s_or_b64 exec, exec, s[0:1]
	s_waitcnt lgkmcnt(0)
	s_barrier
	s_and_saveexec_b64 s[0:1], s[52:53]
	s_cbranch_execz .LBB8_1055
; %bb.1054:
	ds_read_b32 v11, v11 offset:15856
	ds_read_b32 v13, v12
	s_waitcnt lgkmcnt(0)
	v_fmac_f32_e32 v15, v11, v13
.LBB8_1055:
	s_or_b64 exec, exec, s[0:1]
	s_barrier
	s_and_saveexec_b64 s[0:1], s[54:55]
; %bb.1056:
	ds_write_b32 v12, v15
; %bb.1057:
	s_or_b64 exec, exec, s[0:1]
	s_waitcnt lgkmcnt(0)
	s_barrier
	s_and_saveexec_b64 s[0:1], s[36:37]
	s_cbranch_execz .LBB8_1059
; %bb.1058:
	v_mov_b32_e32 v11, 0
	ds_read_b32 v11, v11 offset:16124
	ds_read_b32 v13, v12
	s_waitcnt lgkmcnt(0)
	v_fmac_f32_e32 v15, v11, v13
.LBB8_1059:
	s_or_b64 exec, exec, s[0:1]
	s_barrier
	s_and_saveexec_b64 s[0:1], s[36:37]
; %bb.1060:
	ds_write_b32 v12, v15
; %bb.1061:
	s_or_b64 exec, exec, s[0:1]
	s_waitcnt lgkmcnt(0)
	s_barrier
	s_barrier
	s_and_saveexec_b64 s[0:1], s[18:19]
; %bb.1062:
	v_xor_b32_e32 v11, 0x80000000, v15
	ds_write_b32 v10, v11 offset:14576
; %bb.1063:
	s_or_b64 exec, exec, s[0:1]
	s_waitcnt lgkmcnt(0)
	s_barrier
	s_barrier
	s_and_saveexec_b64 s[0:1], s[56:57]
	s_cbranch_execz .LBB8_1065
; %bb.1064:
	v_lshlrev_b32_e32 v10, 8, v0
	ds_read_b32 v11, v10 offset:14576
	s_movk_i32 s8, 0xff04
	v_mad_i32_i24 v12, v0, s8, v10
	s_waitcnt lgkmcnt(0)
	ds_write_b32 v12, v11 offset:15584
	ds_read_b32 v11, v10 offset:14580
	s_waitcnt lgkmcnt(0)
	ds_write_b32 v12, v11 offset:15840
	ds_read_b32 v11, v10 offset:14584
	;; [unrolled: 3-line block ×3, first 2 shown]
	s_waitcnt lgkmcnt(0)
	ds_write_b32 v12, v10 offset:16352
.LBB8_1065:
	s_or_b64 exec, exec, s[0:1]
	s_waitcnt lgkmcnt(0)
	s_barrier
	s_and_saveexec_b64 s[0:1], vcc
	s_cbranch_execz .LBB8_1067
; %bb.1066:
	v_mov_b32_e32 v12, 0
	ds_read_b32 v10, v12 offset:15604
	v_mov_b32_e32 v11, 1.0
	ds_write_b32 v12, v11 offset:15600
	s_waitcnt lgkmcnt(1)
	ds_write_b64 v12, v[10:11] offset:15856
.LBB8_1067:
	s_or_b64 exec, exec, s[0:1]
	v_mov_b32_e32 v10, 0
	s_waitcnt lgkmcnt(0)
	s_barrier
	s_and_saveexec_b64 s[0:1], s[2:3]
	s_cbranch_execz .LBB8_1071
; %bb.1068:
	v_mul_u32_u24_e32 v5, 0x104, v5
	ds_read_b32 v11, v2 offset:15608
	ds_read_b32 v5, v5 offset:15600
	v_mov_b32_e32 v10, 0
	v_cmp_gt_u32_e64 s[8:9], 2, v4
	s_waitcnt lgkmcnt(0)
	v_fma_f32 v5, v11, v5, 0
	s_and_saveexec_b64 s[10:11], s[8:9]
	s_cbranch_execz .LBB8_1070
; %bb.1069:
	v_lshlrev_b32_e32 v4, 2, v0
	ds_read_b32 v4, v4 offset:15864
	ds_read_b32 v10, v10 offset:15604
	s_waitcnt lgkmcnt(0)
	v_fmac_f32_e32 v5, v4, v10
.LBB8_1070:
	s_or_b64 exec, exec, s[10:11]
	v_xor_b32_e32 v10, 0x80000000, v5
.LBB8_1071:
	s_or_b64 exec, exec, s[0:1]
	s_and_saveexec_b64 s[0:1], s[30:31]
; %bb.1072:
	ds_write_b32 v3, v10
; %bb.1073:
	s_or_b64 exec, exec, s[0:1]
	s_waitcnt lgkmcnt(0)
	s_barrier
	s_and_saveexec_b64 s[0:1], s[28:29]
	v_readlane_b32 s18, v33, 0
	s_cbranch_execz .LBB8_1075
; %bb.1074:
	v_mov_b32_e32 v4, 0
	ds_read_b32 v4, v4 offset:16124
	ds_read_b32 v5, v3
	s_waitcnt lgkmcnt(0)
	v_fmac_f32_e32 v10, v4, v5
.LBB8_1075:
	s_or_b64 exec, exec, s[0:1]
	s_barrier
	s_and_saveexec_b64 s[0:1], s[28:29]
; %bb.1076:
	ds_write_b32 v3, v10
; %bb.1077:
	s_or_b64 exec, exec, s[0:1]
	s_waitcnt lgkmcnt(0)
	s_barrier
	s_barrier
	s_and_saveexec_b64 s[0:1], s[2:3]
; %bb.1078:
	v_xor_b32_e32 v3, 0x80000000, v10
	ds_write_b32 v2, v3 offset:15608
; %bb.1079:
	s_or_b64 exec, exec, s[0:1]
	s_waitcnt lgkmcnt(0)
	s_barrier
	s_barrier
	s_and_saveexec_b64 s[0:1], s[34:35]
	s_cbranch_execz .LBB8_1081
; %bb.1080:
	v_lshlrev_b32_e32 v2, 2, v0
	s_movk_i32 s2, 0xfc
	v_mad_u32_u24 v3, v0, s2, v2
	ds_read_b32 v4, v3 offset:15608
	s_waitcnt lgkmcnt(0)
	ds_write_b32 v2, v4 offset:16112
	ds_read_b32 v3, v3 offset:15612
	s_waitcnt lgkmcnt(0)
	ds_write_b32 v2, v3 offset:16368
.LBB8_1081:
	s_or_b64 exec, exec, s[0:1]
	s_waitcnt lgkmcnt(0)
	s_barrier
	s_and_saveexec_b64 s[0:1], vcc
	s_cbranch_execz .LBB8_1083
; %bb.1082:
	v_mov_b32_e32 v4, 0
	ds_read_b32 v2, v4 offset:16124
	v_mov_b32_e32 v3, 1.0
	ds_write_b32 v4, v3 offset:16120
	s_waitcnt lgkmcnt(1)
	ds_write_b64 v4, v[2:3] offset:16376
.LBB8_1083:
	s_or_b64 exec, exec, s[0:1]
.LBB8_1084:
	s_load_dwordx4 s[12:15], s[4:5], 0x48
	v_cmp_le_i32_e32 vcc, s90, v0
	v_mov_b32_e32 v11, 0
	v_lshl_add_u32 v2, s33, 6, v0
	s_waitcnt lgkmcnt(0)
	s_mul_i32 s1, s13, s22
	s_mul_hi_u32 s2, s12, s22
	s_mul_i32 s0, s12, s22
	s_add_i32 s1, s2, s1
	s_lshl_b64 s[0:1], s[0:1], 2
	s_add_u32 s2, s46, s0
	s_addc_u32 s3, s47, s1
	s_lshl_b64 s[0:1], s[48:49], 2
	s_add_u32 s20, s2, s0
	s_addc_u32 s21, s3, s1
	s_and_b64 s[16:17], vcc, s[26:27]
	v_cmp_eq_u32_e64 s[2:3], 0, v1
	s_xor_b64 s[0:1], s[16:17], -1
	s_and_b64 s[4:5], s[2:3], s[0:1]
	s_barrier
	s_and_saveexec_b64 s[0:1], s[4:5]
	s_cbranch_execz .LBB8_1086
; %bb.1085:
	v_ashrrev_i32_e32 v5, 31, v2
	v_mul_lo_u32 v10, s51, v2
	v_mad_u64_u32 v[3:4], s[4:5], s50, v2, 0
	v_mul_lo_u32 v5, s50, v5
	v_add3_u32 v4, v4, v5, v10
	v_lshlrev_b64 v[3:4], 2, v[3:4]
	v_mov_b32_e32 v5, s21
	v_add_co_u32_e32 v3, vcc, s20, v3
	v_addc_co_u32_e32 v4, vcc, v5, v4, vcc
	global_load_dword v3, v[3:4], off
	s_waitcnt vmcnt(0)
	v_mul_f32_e64 v11, v3, -s18
.LBB8_1086:
	s_or_b64 exec, exec, s[0:1]
	s_and_b32 s0, 0xffff, s93
	v_mad_u32_u24 v10, v1, s0, v0
	s_cmp_lt_i32 s6, 1
	v_cmp_eq_u32_e64 s[4:5], 0, v10
	s_cbranch_scc1 .LBB8_1112
; %bb.1087:
	v_ashrrev_i32_e32 v5, 31, v2
	v_mul_lo_u32 v12, s41, v2
	v_mad_u64_u32 v[3:4], s[0:1], s40, v2, 0
	v_mul_lo_u32 v5, s40, v5
	v_cmp_gt_i32_e64 s[8:9], s24, v2
	s_lshl_b64 s[0:1], s[22:23], 2
	s_add_u32 s0, s14, s0
	v_add3_u32 v4, v4, v5, v12
	v_lshlrev_b64 v[2:3], 2, v[3:4]
	v_mov_b32_e32 v5, 0x5000
	v_mov_b32_e32 v4, s92
	v_add_co_u32_e32 v14, vcc, s91, v2
	s_mov_b32 s28, 0
	s_addc_u32 s1, s15, s1
	v_cmp_gt_u32_e64 s[12:13], 64, v10
	v_lshl_add_u32 v12, v10, 2, v5
	v_lshl_or_b32 v13, v1, 2, v5
	s_add_i32 s29, s33, 1
	v_addc_co_u32_e32 v15, vcc, v4, v3, vcc
	v_mov_b32_e32 v17, -1
	v_mov_b32_e32 v16, 0
	s_branch .LBB8_1090
.LBB8_1088:                             ;   in Loop: Header=BB8_1090 Depth=1
	ds_read_b32 v2, v13 offset:192
	s_waitcnt vmcnt(0) lgkmcnt(0)
	v_fmac_f32_e32 v11, v4, v2
.LBB8_1089:                             ;   in Loop: Header=BB8_1090 Depth=1
	s_or_b64 exec, exec, s[18:19]
	s_add_i32 s28, s28, 1
	s_cmp_eq_u32 s28, s6
	s_cbranch_scc1 .LBB8_1112
.LBB8_1090:                             ; =>This Loop Header: Depth=1
                                        ;     Child Loop BB8_1092 Depth 2
	v_cmp_gt_i32_e32 vcc, s28, v17
	s_and_b64 s[18:19], s[4:5], vcc
	s_and_saveexec_b64 s[10:11], s[18:19]
	s_cbranch_execz .LBB8_1093
; %bb.1091:                             ;   in Loop: Header=BB8_1090 Depth=1
	global_load_dword v17, v16, s[0:1]
	s_waitcnt vmcnt(0)
	v_cmp_le_i32_e32 vcc, s28, v17
	s_cbranch_vccnz .LBB8_1093
.LBB8_1092:                             ;   Parent Loop BB8_1090 Depth=1
                                        ; =>  This Inner Loop Header: Depth=2
	buffer_wbinvl1_vol
	global_load_dword v17, v16, s[0:1]
	s_waitcnt vmcnt(0)
	v_cmp_gt_i32_e32 vcc, s28, v17
	s_cbranch_vccnz .LBB8_1092
.LBB8_1093:                             ;   in Loop: Header=BB8_1090 Depth=1
	s_or_b64 exec, exec, s[10:11]
	s_sub_i32 s30, s7, s28
	s_lshl_b32 s31, s30, 6
	buffer_wbinvl1_vol
	s_barrier
	s_and_saveexec_b64 s[10:11], s[12:13]
	s_cbranch_execz .LBB8_1097
; %bb.1094:                             ;   in Loop: Header=BB8_1090 Depth=1
	s_ashr_i32 s18, s31, 31
	v_mov_b32_e32 v3, s18
	v_or_b32_e32 v2, s31, v10
	v_cmp_gt_i64_e32 vcc, s[24:25], v[2:3]
	v_mov_b32_e32 v4, 0
	s_and_saveexec_b64 s[18:19], vcc
	s_cbranch_execz .LBB8_1096
; %bb.1095:                             ;   in Loop: Header=BB8_1090 Depth=1
	v_mul_lo_u32 v4, v3, s50
	v_mul_lo_u32 v5, v2, s51
	v_mad_u64_u32 v[2:3], s[34:35], v2, s50, 0
	v_add3_u32 v3, v3, v5, v4
	v_lshlrev_b64 v[2:3], 2, v[2:3]
	v_mov_b32_e32 v4, s21
	v_add_co_u32_e32 v2, vcc, s20, v2
	v_addc_co_u32_e32 v3, vcc, v4, v3, vcc
	global_load_dword v4, v[2:3], off
.LBB8_1096:                             ;   in Loop: Header=BB8_1090 Depth=1
	s_or_b64 exec, exec, s[18:19]
	s_waitcnt vmcnt(0)
	ds_write_b32 v12, v4
.LBB8_1097:                             ;   in Loop: Header=BB8_1090 Depth=1
	s_or_b64 exec, exec, s[10:11]
	v_add_u32_e32 v4, s31, v1
	v_ashrrev_i32_e32 v5, 31, v4
	v_lshlrev_b64 v[2:3], 2, v[4:5]
	s_cmp_lg_u32 s30, s29
	v_add_co_u32_e32 v2, vcc, v14, v2
	s_cselect_b64 s[10:11], -1, 0
	v_addc_co_u32_e32 v3, vcc, v15, v3, vcc
	v_cmp_gt_i32_e32 vcc, s24, v4
	v_cndmask_b32_e64 v5, 0, 1, s[10:11]
	s_and_b64 s[30:31], vcc, s[8:9]
	v_cmp_ne_u32_e64 s[10:11], 1, v5
	s_waitcnt lgkmcnt(0)
	s_barrier
	s_and_saveexec_b64 s[18:19], s[30:31]
	s_cbranch_execz .LBB8_1101
; %bb.1098:                             ;   in Loop: Header=BB8_1090 Depth=1
	s_and_b64 vcc, exec, s[10:11]
	v_mov_b32_e32 v5, v7
	s_cbranch_vccnz .LBB8_1100
; %bb.1099:                             ;   in Loop: Header=BB8_1090 Depth=1
	global_load_dword v5, v[2:3], off
.LBB8_1100:                             ;   in Loop: Header=BB8_1090 Depth=1
	ds_read_b32 v18, v13
	s_waitcnt vmcnt(0) lgkmcnt(0)
	v_fmac_f32_e32 v11, v5, v18
.LBB8_1101:                             ;   in Loop: Header=BB8_1090 Depth=1
	s_or_b64 exec, exec, s[18:19]
	v_add_u32_e32 v5, 16, v4
	v_cmp_gt_i32_e32 vcc, s24, v5
	s_and_b64 s[30:31], vcc, s[8:9]
	s_and_saveexec_b64 s[18:19], s[30:31]
	s_cbranch_execz .LBB8_1105
; %bb.1102:                             ;   in Loop: Header=BB8_1090 Depth=1
	s_and_b64 vcc, exec, s[10:11]
	v_mov_b32_e32 v5, v6
	s_cbranch_vccnz .LBB8_1104
; %bb.1103:                             ;   in Loop: Header=BB8_1090 Depth=1
	global_load_dword v5, v[2:3], off offset:64
.LBB8_1104:                             ;   in Loop: Header=BB8_1090 Depth=1
	ds_read_b32 v18, v13 offset:64
	s_waitcnt vmcnt(0) lgkmcnt(0)
	v_fmac_f32_e32 v11, v5, v18
.LBB8_1105:                             ;   in Loop: Header=BB8_1090 Depth=1
	s_or_b64 exec, exec, s[18:19]
	v_add_u32_e32 v5, 32, v4
	v_cmp_gt_i32_e32 vcc, s24, v5
	s_and_b64 s[30:31], vcc, s[8:9]
	s_and_saveexec_b64 s[18:19], s[30:31]
	s_cbranch_execz .LBB8_1109
; %bb.1106:                             ;   in Loop: Header=BB8_1090 Depth=1
	s_and_b64 vcc, exec, s[10:11]
	v_mov_b32_e32 v5, v9
	s_cbranch_vccnz .LBB8_1108
; %bb.1107:                             ;   in Loop: Header=BB8_1090 Depth=1
	global_load_dword v5, v[2:3], off offset:128
.LBB8_1108:                             ;   in Loop: Header=BB8_1090 Depth=1
	ds_read_b32 v18, v13 offset:128
	s_waitcnt vmcnt(0) lgkmcnt(0)
	v_fmac_f32_e32 v11, v5, v18
.LBB8_1109:                             ;   in Loop: Header=BB8_1090 Depth=1
	s_or_b64 exec, exec, s[18:19]
	v_add_u32_e32 v4, 48, v4
	v_cmp_gt_i32_e32 vcc, s24, v4
	s_and_b64 s[30:31], vcc, s[8:9]
	s_and_saveexec_b64 s[18:19], s[30:31]
	s_cbranch_execz .LBB8_1089
; %bb.1110:                             ;   in Loop: Header=BB8_1090 Depth=1
	s_and_b64 vcc, exec, s[10:11]
	v_mov_b32_e32 v4, v8
	s_cbranch_vccnz .LBB8_1088
; %bb.1111:                             ;   in Loop: Header=BB8_1090 Depth=1
	global_load_dword v4, v[2:3], off offset:192
	s_branch .LBB8_1088
.LBB8_1112:
	v_lshl_add_u32 v2, v1, 6, v0
	s_xor_b64 s[0:1], s[26:27], -1
	v_lshlrev_b32_e32 v2, 2, v2
	ds_write_b32 v2, v11 offset:16384
	s_waitcnt lgkmcnt(0)
	s_barrier
	s_and_saveexec_b64 s[4:5], s[2:3]
	s_cbranch_execz .LBB8_1114
; %bb.1113:
	v_lshlrev_b32_e32 v9, 2, v0
	ds_read2st64_b32 v[3:4], v9 offset0:65 offset1:66
	ds_read2st64_b32 v[5:6], v9 offset0:67 offset1:68
	;; [unrolled: 1-line block ×5, first 2 shown]
	s_waitcnt lgkmcnt(4)
	v_add_f32_e32 v3, v11, v3
	v_add_f32_e32 v3, v3, v4
	s_waitcnt lgkmcnt(3)
	v_add_f32_e32 v3, v3, v5
	v_add_f32_e32 v3, v3, v6
	;; [unrolled: 3-line block ×4, first 2 shown]
	ds_read2st64_b32 v[3:4], v9 offset0:75 offset1:76
	ds_read2st64_b32 v[5:6], v9 offset0:77 offset1:78
	ds_read_b32 v8, v9 offset:20224
	s_waitcnt lgkmcnt(3)
	v_add_f32_e32 v7, v7, v14
	v_add_f32_e32 v7, v7, v15
	s_waitcnt lgkmcnt(2)
	v_add_f32_e32 v3, v7, v3
	v_add_f32_e32 v3, v3, v4
	;; [unrolled: 3-line block ×3, first 2 shown]
	s_waitcnt lgkmcnt(0)
	v_add_f32_e32 v3, v3, v8
	v_cndmask_b32_e64 v11, -v3, 0, s[16:17]
.LBB8_1114:
	s_or_b64 exec, exec, s[4:5]
	s_and_b64 vcc, exec, s[38:39]
	s_cbranch_vccnz .LBB8_1128
; %bb.1115:
	v_mov_b32_e32 v3, 0x5000
	v_lshl_or_b32 v4, v1, 2, v3
	s_and_saveexec_b64 s[4:5], s[2:3]
; %bb.1116:
	v_lshl_add_u32 v3, v0, 2, v4
	ds_write_b32 v3, v11
; %bb.1117:
	s_or_b64 exec, exec, s[4:5]
	v_cmp_le_u32_e32 vcc, v0, v1
	v_mov_b32_e32 v3, 0
	s_waitcnt lgkmcnt(0)
	s_barrier
	s_and_saveexec_b64 s[4:5], vcc
	s_cbranch_execz .LBB8_1119
; %bb.1118:
	ds_read_b32 v3, v2
	ds_read_b32 v5, v4
	s_waitcnt lgkmcnt(0)
	v_fma_f32 v3, v3, v5, 0
.LBB8_1119:
	s_or_b64 exec, exec, s[4:5]
	v_add_u32_e32 v5, 16, v1
	v_cmp_le_u32_e32 vcc, v0, v5
	s_and_saveexec_b64 s[4:5], vcc
	s_cbranch_execz .LBB8_1121
; %bb.1120:
	ds_read_b32 v5, v2 offset:4096
	ds_read_b32 v6, v4 offset:64
	s_waitcnt lgkmcnt(0)
	v_fmac_f32_e32 v3, v5, v6
.LBB8_1121:
	s_or_b64 exec, exec, s[4:5]
	v_add_u32_e32 v5, 32, v1
	v_cmp_le_u32_e32 vcc, v0, v5
	s_and_saveexec_b64 s[4:5], vcc
	s_cbranch_execz .LBB8_1123
; %bb.1122:
	ds_read_b32 v5, v2 offset:8192
	ds_read_b32 v6, v4 offset:128
	s_waitcnt lgkmcnt(0)
	v_fmac_f32_e32 v3, v5, v6
.LBB8_1123:
	s_or_b64 exec, exec, s[4:5]
	v_add_u32_e32 v1, 48, v1
	v_add_u32_e32 v5, 0x4000, v2
	v_cmp_le_u32_e32 vcc, v0, v1
	s_and_saveexec_b64 s[4:5], vcc
	s_cbranch_execz .LBB8_1125
; %bb.1124:
	ds_read_b32 v1, v2 offset:12288
	ds_read_b32 v2, v4 offset:192
	s_waitcnt lgkmcnt(0)
	v_fmac_f32_e32 v3, v1, v2
.LBB8_1125:
	s_or_b64 exec, exec, s[4:5]
	s_mov_b64 s[6:7], 0
	s_mov_b64 s[4:5], 0
	ds_write_b32 v5, v3
	s_waitcnt lgkmcnt(0)
	s_barrier
                                        ; implicit-def: $vgpr1
	s_and_saveexec_b64 s[8:9], s[2:3]
	s_cbranch_execz .LBB8_1166
; %bb.1126:
	v_lshlrev_b32_e32 v12, 2, v0
	ds_read2st64_b32 v[1:2], v12 offset0:65 offset1:66
	ds_read2st64_b32 v[4:5], v12 offset0:67 offset1:68
	;; [unrolled: 1-line block ×4, first 2 shown]
	s_mov_b64 s[4:5], exec
	s_waitcnt lgkmcnt(3)
	v_add_f32_e32 v1, v3, v1
	v_add_f32_e32 v1, v2, v1
	s_waitcnt lgkmcnt(2)
	v_add_f32_e32 v1, v4, v1
	v_add_f32_e32 v1, v5, v1
	;; [unrolled: 3-line block ×3, first 2 shown]
	s_waitcnt lgkmcnt(0)
	v_add_f32_e32 v3, v8, v1
	ds_read2st64_b32 v[1:2], v12 offset0:73 offset1:74
	v_add_f32_e32 v7, v9, v3
	ds_read2st64_b32 v[3:4], v12 offset0:75 offset1:76
	ds_read2st64_b32 v[5:6], v12 offset0:77 offset1:78
	ds_read_b32 v8, v12 offset:20224
	s_waitcnt lgkmcnt(3)
	v_add_f32_e32 v1, v1, v7
	v_add_f32_e32 v1, v2, v1
	s_waitcnt lgkmcnt(2)
	v_add_f32_e32 v1, v3, v1
	v_add_f32_e32 v1, v4, v1
	s_waitcnt lgkmcnt(1)
	v_add_f32_e32 v1, v5, v1
	v_add_f32_e32 v1, v6, v1
	s_waitcnt lgkmcnt(0)
	v_add_f32_e32 v1, v8, v1
	s_or_b64 exec, exec, s[8:9]
	s_and_b64 vcc, exec, s[6:7]
	s_cbranch_vccnz .LBB8_1129
	s_branch .LBB8_1167
.LBB8_1127:
	v_mad_u64_u32 v[11:12], s[2:3], s40, v5, 0
	s_or_b64 s[10:11], s[10:11], exec
	v_mov_b32_e32 v4, v12
	v_mad_u64_u32 v[4:5], s[2:3], s41, v5, v[4:5]
	v_mov_b32_e32 v12, v4
	v_lshlrev_b64 v[4:5], 2, v[11:12]
	v_add_co_u32_e32 v2, vcc, v2, v4
	v_addc_co_u32_e32 v3, vcc, v3, v5, vcc
	global_load_dword v2, v[2:3], off
	s_waitcnt vmcnt(0)
	v_xor_b32_e32 v4, 0x80000000, v2
	s_or_b64 exec, exec, s[8:9]
	s_xor_b64 s[0:1], s[0:1], -1
	s_and_saveexec_b64 s[2:3], s[10:11]
	s_cbranch_execnz .LBB8_45
	s_branch .LBB8_46
.LBB8_1128:
	s_mov_b64 s[4:5], 0
                                        ; implicit-def: $vgpr1
	s_cbranch_execz .LBB8_1167
.LBB8_1129:
	v_mov_b32_e32 v1, 0x3c00
	v_lshl_add_u32 v1, v0, 2, v1
	v_mov_b32_e32 v3, 63
	v_mov_b32_e32 v2, 0
	s_branch .LBB8_1131
.LBB8_1130:                             ;   in Loop: Header=BB8_1131 Depth=1
	s_or_b64 exec, exec, s[6:7]
	v_subrev_co_u32_e32 v3, vcc, 1, v3
	s_andn2_b64 vcc, exec, vcc
	v_add_u32_e32 v1, 0xfffffc00, v1
	s_barrier
	s_cbranch_vccz .LBB8_1147
.LBB8_1131:                             ; =>This Inner Loop Header: Depth=1
	v_cmp_eq_u32_e32 vcc, v0, v3
	s_and_b64 s[8:9], s[2:3], vcc
	s_and_saveexec_b64 s[6:7], s[8:9]
; %bb.1132:                             ;   in Loop: Header=BB8_1131 Depth=1
	ds_write_b32 v2, v11 offset:20736
; %bb.1133:                             ;   in Loop: Header=BB8_1131 Depth=1
	s_or_b64 exec, exec, s[6:7]
	v_cmp_lt_u32_e32 vcc, v0, v3
	s_and_b64 s[8:9], s[2:3], vcc
	s_waitcnt lgkmcnt(0)
	s_barrier
	s_and_saveexec_b64 s[6:7], s[8:9]
	s_cbranch_execz .LBB8_1135
; %bb.1134:                             ;   in Loop: Header=BB8_1131 Depth=1
	ds_read_b32 v4, v1 offset:768
	ds_read_b32 v5, v2 offset:20736
	s_waitcnt lgkmcnt(0)
	v_fmac_f32_e32 v11, v4, v5
.LBB8_1135:                             ;   in Loop: Header=BB8_1131 Depth=1
	s_or_b64 exec, exec, s[6:7]
	v_add_u32_e32 v3, -1, v3
	v_cmp_eq_u32_e32 vcc, v0, v3
	s_and_b64 s[8:9], s[2:3], vcc
	s_barrier
	s_and_saveexec_b64 s[6:7], s[8:9]
; %bb.1136:                             ;   in Loop: Header=BB8_1131 Depth=1
	ds_write_b32 v2, v11 offset:20736
; %bb.1137:                             ;   in Loop: Header=BB8_1131 Depth=1
	s_or_b64 exec, exec, s[6:7]
	v_cmp_lt_u32_e32 vcc, v0, v3
	s_and_b64 s[8:9], s[2:3], vcc
	s_waitcnt lgkmcnt(0)
	s_barrier
	s_and_saveexec_b64 s[6:7], s[8:9]
	s_cbranch_execz .LBB8_1139
; %bb.1138:                             ;   in Loop: Header=BB8_1131 Depth=1
	ds_read_b32 v4, v1 offset:512
	ds_read_b32 v5, v2 offset:20736
	s_waitcnt lgkmcnt(0)
	v_fmac_f32_e32 v11, v4, v5
.LBB8_1139:                             ;   in Loop: Header=BB8_1131 Depth=1
	s_or_b64 exec, exec, s[6:7]
	v_add_u32_e32 v3, -1, v3
	v_cmp_eq_u32_e32 vcc, v0, v3
	s_and_b64 s[8:9], s[2:3], vcc
	s_barrier
	;; [unrolled: 22-line block ×3, first 2 shown]
	s_and_saveexec_b64 s[6:7], s[8:9]
; %bb.1144:                             ;   in Loop: Header=BB8_1131 Depth=1
	ds_write_b32 v2, v11 offset:20736
; %bb.1145:                             ;   in Loop: Header=BB8_1131 Depth=1
	s_or_b64 exec, exec, s[6:7]
	v_cmp_lt_u32_e32 vcc, v0, v3
	s_and_b64 s[8:9], s[2:3], vcc
	s_waitcnt lgkmcnt(0)
	s_barrier
	s_and_saveexec_b64 s[6:7], s[8:9]
	s_cbranch_execz .LBB8_1130
; %bb.1146:                             ;   in Loop: Header=BB8_1131 Depth=1
	ds_read_b32 v4, v1
	ds_read_b32 v5, v2 offset:20736
	s_waitcnt lgkmcnt(0)
	v_fmac_f32_e32 v11, v4, v5
	s_branch .LBB8_1130
.LBB8_1147:
	s_mov_b64 s[6:7], -1
	s_and_b64 vcc, exec, s[0:1]
	s_cbranch_vccnz .LBB8_1168
; %bb.1148:
	s_andn2_b64 vcc, exec, s[6:7]
	s_cbranch_vccz .LBB8_1169
.LBB8_1149:
	s_and_saveexec_b64 s[0:1], s[4:5]
	s_cbranch_execz .LBB8_1151
.LBB8_1150:
	s_lshl_b32 s2, s33, 6
	s_ashr_i32 s3, s2, 31
	v_mov_b32_e32 v0, s3
	v_add_co_u32_e32 v1, vcc, s2, v10
	v_addc_co_u32_e32 v0, vcc, 0, v0, vcc
	v_mul_lo_u32 v2, v0, s50
	v_mul_lo_u32 v3, v1, s51
	v_mad_u64_u32 v[0:1], s[2:3], v1, s50, 0
	v_add3_u32 v1, v1, v3, v2
	v_lshlrev_b64 v[0:1], 2, v[0:1]
	v_mov_b32_e32 v2, s21
	v_add_co_u32_e32 v0, vcc, s20, v0
	v_addc_co_u32_e32 v1, vcc, v2, v1, vcc
	global_store_dword v[0:1], v11, off
.LBB8_1151:
	s_or_b64 exec, exec, s[0:1]
	v_cmp_eq_u32_e32 vcc, 0, v10
	s_waitcnt vmcnt(0)
	buffer_wbinvl1_vol
	s_barrier
	s_and_saveexec_b64 s[0:1], vcc
	s_cbranch_execz .LBB8_1153
; %bb.1152:
	s_lshl_b64 s[2:3], s[22:23], 2
	s_add_u32 s2, s14, s2
	s_addc_u32 s3, s15, s3
	v_mov_b32_e32 v0, 0
	global_load_dword v1, v0, s[2:3]
	s_waitcnt vmcnt(0)
	v_add_u32_e32 v1, 1, v1
	global_store_dword v0, v1, s[2:3]
.LBB8_1153:
	s_or_b64 exec, exec, s[0:1]
	s_waitcnt vmcnt(0)
	buffer_wbinvl1_vol
	s_endpgm
.LBB8_1154:
	v_or_b32_e32 v10, v1, v0
	v_cmp_gt_u32_e32 vcc, 64, v10
	s_and_b64 s[10:11], vcc, exec
	s_andn2_saveexec_b64 s[8:9], s[8:9]
	s_cbranch_execz .LBB8_14
.LBB8_1155:
	v_mad_u64_u32 v[10:11], s[12:13], s40, v1, 0
	s_or_b64 s[10:11], s[10:11], exec
	v_mov_b32_e32 v5, v11
	v_mad_u64_u32 v[11:12], s[12:13], s41, v1, v[5:6]
	v_lshlrev_b64 v[10:11], 2, v[10:11]
	v_add_co_u32_e32 v10, vcc, v2, v10
	v_addc_co_u32_e32 v11, vcc, v3, v11, vcc
	global_load_dword v5, v[10:11], off
	s_waitcnt vmcnt(0)
	v_xor_b32_e32 v5, 0x80000000, v5
	s_or_b64 exec, exec, s[8:9]
	s_and_saveexec_b64 s[8:9], s[10:11]
	s_cbranch_execnz .LBB8_15
	s_branch .LBB8_16
.LBB8_1156:
	v_or_b32_e32 v10, v5, v0
	v_cmp_gt_u32_e32 vcc, 64, v10
	s_and_b64 s[2:3], vcc, exec
	s_or_saveexec_b64 s[8:9], s[8:9]
	v_mov_b32_e32 v10, 0
	s_xor_b64 exec, exec, s[8:9]
	s_cbranch_execz .LBB8_18
.LBB8_1157:
	v_mad_u64_u32 v[10:11], s[10:11], s40, v5, 0
	s_or_b64 s[2:3], s[2:3], exec
	v_mad_u64_u32 v[11:12], s[10:11], s41, v5, v[11:12]
	v_lshlrev_b64 v[10:11], 2, v[10:11]
	v_add_co_u32_e32 v10, vcc, v2, v10
	v_addc_co_u32_e32 v11, vcc, v3, v11, vcc
	global_load_dword v10, v[10:11], off
	s_waitcnt vmcnt(0)
	v_xor_b32_e32 v10, 0x80000000, v10
	s_or_b64 exec, exec, s[8:9]
	s_and_saveexec_b64 s[8:9], s[2:3]
	s_cbranch_execnz .LBB8_19
	s_branch .LBB8_20
.LBB8_1158:
	v_or_b32_e32 v10, v5, v0
	v_cmp_gt_u32_e32 vcc, 64, v10
	s_and_b64 s[2:3], vcc, exec
	s_or_saveexec_b64 s[8:9], s[8:9]
	v_mov_b32_e32 v10, 0
	s_xor_b64 exec, exec, s[8:9]
	s_cbranch_execz .LBB8_22
.LBB8_1159:
	v_mad_u64_u32 v[10:11], s[10:11], s40, v5, 0
	s_or_b64 s[2:3], s[2:3], exec
	v_mad_u64_u32 v[11:12], s[10:11], s41, v5, v[11:12]
	v_lshlrev_b64 v[10:11], 2, v[10:11]
	v_add_co_u32_e32 v10, vcc, v2, v10
	v_addc_co_u32_e32 v11, vcc, v3, v11, vcc
	global_load_dword v10, v[10:11], off
	s_waitcnt vmcnt(0)
	v_xor_b32_e32 v10, 0x80000000, v10
	s_or_b64 exec, exec, s[8:9]
	s_and_saveexec_b64 s[8:9], s[2:3]
	s_cbranch_execnz .LBB8_23
	s_branch .LBB8_24
.LBB8_1160:
	v_or_b32_e32 v10, v1, v0
	v_cmp_gt_u32_e64 s[2:3], 64, v10
	s_and_b64 s[8:9], s[2:3], exec
	s_andn2_saveexec_b64 s[12:13], s[12:13]
	s_cbranch_execz .LBB8_30
.LBB8_1161:
	v_mad_u64_u32 v[10:11], s[2:3], s40, v1, 0
	s_or_b64 s[8:9], s[8:9], exec
	v_mov_b32_e32 v5, v11
	v_mad_u64_u32 v[11:12], s[2:3], s41, v1, v[5:6]
	v_lshlrev_b64 v[10:11], 2, v[10:11]
	v_add_co_u32_e64 v10, s[2:3], v2, v10
	v_addc_co_u32_e64 v11, s[2:3], v3, v11, s[2:3]
	global_load_dword v5, v[10:11], off
	s_waitcnt vmcnt(0)
	v_xor_b32_e32 v5, 0x80000000, v5
	s_or_b64 exec, exec, s[12:13]
	s_and_saveexec_b64 s[2:3], s[8:9]
	s_cbranch_execnz .LBB8_31
	s_branch .LBB8_32
.LBB8_1162:
	v_or_b32_e32 v10, v5, v0
	v_cmp_gt_u32_e64 s[2:3], 64, v10
	s_and_b64 s[8:9], s[2:3], exec
	s_or_saveexec_b64 s[12:13], s[12:13]
	v_mov_b32_e32 v10, 0
	s_xor_b64 exec, exec, s[12:13]
	s_cbranch_execz .LBB8_34
.LBB8_1163:
	v_mad_u64_u32 v[10:11], s[2:3], s40, v5, 0
	s_or_b64 s[8:9], s[8:9], exec
	v_mad_u64_u32 v[11:12], s[2:3], s41, v5, v[11:12]
	v_lshlrev_b64 v[10:11], 2, v[10:11]
	v_add_co_u32_e64 v10, s[2:3], v2, v10
	v_addc_co_u32_e64 v11, s[2:3], v3, v11, s[2:3]
	global_load_dword v10, v[10:11], off
	s_waitcnt vmcnt(0)
	v_xor_b32_e32 v10, 0x80000000, v10
	s_or_b64 exec, exec, s[12:13]
	s_and_saveexec_b64 s[2:3], s[8:9]
	s_cbranch_execnz .LBB8_35
	s_branch .LBB8_36
.LBB8_1164:
	v_or_b32_e32 v10, v5, v0
	v_cmp_gt_u32_e64 s[2:3], 64, v10
	s_and_b64 s[8:9], s[2:3], exec
	s_or_saveexec_b64 s[12:13], s[12:13]
	v_mov_b32_e32 v10, 0
	s_xor_b64 exec, exec, s[12:13]
	s_cbranch_execz .LBB8_38
.LBB8_1165:
	v_mad_u64_u32 v[10:11], s[2:3], s40, v5, 0
	s_or_b64 s[8:9], s[8:9], exec
	v_mad_u64_u32 v[11:12], s[2:3], s41, v5, v[11:12]
	v_lshlrev_b64 v[10:11], 2, v[10:11]
	v_add_co_u32_e64 v10, s[2:3], v2, v10
	v_addc_co_u32_e64 v11, s[2:3], v3, v11, s[2:3]
	global_load_dword v10, v[10:11], off
	s_waitcnt vmcnt(0)
	v_xor_b32_e32 v10, 0x80000000, v10
	s_or_b64 exec, exec, s[12:13]
	s_and_saveexec_b64 s[2:3], s[8:9]
	s_cbranch_execnz .LBB8_39
	s_branch .LBB8_40
.LBB8_1166:
	s_or_b64 exec, exec, s[8:9]
	s_and_b64 vcc, exec, s[6:7]
	s_cbranch_vccnz .LBB8_1129
.LBB8_1167:
	v_mov_b32_e32 v11, v1
	s_and_saveexec_b64 s[0:1], s[4:5]
	s_cbranch_execnz .LBB8_1150
	s_branch .LBB8_1151
.LBB8_1168:
	s_andn2_b64 s[0:1], s[4:5], exec
	s_and_b64 s[4:5], s[2:3], exec
	s_or_b64 s[4:5], s[0:1], s[4:5]
	s_cbranch_execnz .LBB8_1149
.LBB8_1169:
	v_cmp_gt_i32_e32 vcc, s90, v0
	s_and_b64 s[0:1], s[2:3], vcc
	s_andn2_b64 s[2:3], s[4:5], exec
	s_and_b64 s[0:1], s[0:1], exec
	s_or_b64 s[4:5], s[2:3], s[0:1]
	s_and_saveexec_b64 s[0:1], s[4:5]
	s_cbranch_execnz .LBB8_1150
	s_branch .LBB8_1151
.LBB8_1170:
	v_lshlrev_b32_e32 v16, 2, v14
	v_sub_u32_e32 v16, v15, v16
	v_lshl_add_u32 v16, v13, 2, v16
	ds_read_b32 v16, v16 offset:272
	ds_read_b32 v17, v15 offset:4
	s_waitcnt lgkmcnt(0)
	v_fmac_f32_e32 v12, v16, v17
	s_or_b64 exec, exec, s[14:15]
	v_cmp_gt_u32_e64 s[10:11], 8, v4
	s_and_saveexec_b64 s[14:15], s[10:11]
	s_cbranch_execz .LBB8_68
.LBB8_1171:
	ds_read_b32 v16, v10 offset:528
	ds_read_b32 v15, v15 offset:8
	s_waitcnt lgkmcnt(0)
	v_fmac_f32_e32 v12, v16, v15
	s_or_b64 exec, exec, s[14:15]
	v_cmp_gt_u32_e64 s[10:11], 4, v4
	s_and_saveexec_b64 s[14:15], s[10:11]
	s_cbranch_execnz .LBB8_69
	s_branch .LBB8_70
.LBB8_1172:
	v_lshlrev_b32_e32 v21, 2, v19
	v_sub_u32_e32 v21, v20, v21
	v_lshl_add_u32 v21, v18, 2, v21
	ds_read_b32 v21, v21 offset:288
	ds_read_b32 v22, v20 offset:4
	s_waitcnt lgkmcnt(0)
	v_fmac_f32_e32 v17, v21, v22
	s_or_b64 exec, exec, s[16:17]
	v_cmp_gt_u32_e64 s[14:15], 48, v4
	s_and_saveexec_b64 s[16:17], s[14:15]
	s_cbranch_execz .LBB8_110
.LBB8_1173:
	v_lshlrev_b32_e32 v21, 2, v19
	v_sub_u32_e32 v21, v20, v21
	v_lshl_add_u32 v21, v18, 2, v21
	ds_read_b32 v21, v21 offset:544
	ds_read_b32 v22, v20 offset:8
	s_waitcnt lgkmcnt(0)
	v_fmac_f32_e32 v17, v21, v22
	s_or_b64 exec, exec, s[16:17]
	v_cmp_gt_u32_e64 s[14:15], 40, v4
	s_and_saveexec_b64 s[16:17], s[14:15]
	s_cbranch_execz .LBB8_111
.LBB8_1174:
	v_lshlrev_b32_e32 v21, 2, v19
	v_sub_u32_e32 v21, v20, v21
	v_lshl_add_u32 v21, v18, 2, v21
	ds_read_b32 v21, v21 offset:800
	ds_read_b32 v22, v20 offset:12
	s_waitcnt lgkmcnt(0)
	v_fmac_f32_e32 v17, v21, v22
	s_or_b64 exec, exec, s[16:17]
	v_cmp_gt_u32_e64 s[14:15], 32, v4
	s_and_saveexec_b64 s[16:17], s[14:15]
	s_cbranch_execz .LBB8_112
.LBB8_1175:
	ds_read_b32 v21, v15 offset:1056
	ds_read_b32 v22, v20 offset:16
	s_waitcnt lgkmcnt(0)
	v_fmac_f32_e32 v17, v21, v22
	s_or_b64 exec, exec, s[16:17]
	v_cmp_gt_u32_e64 s[14:15], 24, v4
	s_and_saveexec_b64 s[16:17], s[14:15]
	s_cbranch_execz .LBB8_113
.LBB8_1176:
	v_lshlrev_b32_e32 v21, 2, v19
	v_sub_u32_e32 v21, v20, v21
	v_lshl_add_u32 v21, v18, 2, v21
	ds_read_b32 v21, v21 offset:1312
	ds_read_b32 v22, v20 offset:20
	s_waitcnt lgkmcnt(0)
	v_fmac_f32_e32 v17, v21, v22
	s_or_b64 exec, exec, s[16:17]
	v_cmp_gt_u32_e64 s[14:15], 16, v4
	s_and_saveexec_b64 s[16:17], s[14:15]
	s_cbranch_execz .LBB8_114
.LBB8_1177:
	ds_read_b32 v21, v15 offset:1568
	ds_read_b32 v20, v20 offset:24
	s_waitcnt lgkmcnt(0)
	v_fmac_f32_e32 v17, v21, v20
	s_or_b64 exec, exec, s[16:17]
	v_cmp_gt_u32_e64 s[14:15], 8, v4
	s_and_saveexec_b64 s[16:17], s[14:15]
	s_cbranch_execnz .LBB8_115
	s_branch .LBB8_116
.LBB8_1178:
	v_lshlrev_b32_e32 v22, 2, v14
	v_sub_u32_e32 v22, v21, v22
	v_lshl_add_u32 v22, v13, 2, v22
	ds_read_b32 v22, v22 offset:2352
	ds_read_b32 v23, v21 offset:2084
	s_waitcnt lgkmcnt(0)
	v_fmac_f32_e32 v20, v22, v23
	s_or_b64 exec, exec, s[14:15]
	v_cmp_gt_u32_e64 s[10:11], 8, v4
	s_and_saveexec_b64 s[14:15], s[10:11]
	s_cbranch_execz .LBB8_172
.LBB8_1179:
	ds_read_b32 v22, v10 offset:2608
	ds_read_b32 v21, v21 offset:2088
	s_waitcnt lgkmcnt(0)
	v_fmac_f32_e32 v20, v22, v21
	s_or_b64 exec, exec, s[14:15]
	v_cmp_gt_u32_e64 s[10:11], 4, v4
	s_and_saveexec_b64 s[14:15], s[10:11]
	s_cbranch_execnz .LBB8_173
	s_branch .LBB8_174
.LBB8_1180:
	v_lshlrev_b32_e32 v26, 2, v21
	v_lshl_add_u32 v26, v23, 2, v26
	ds_read_b32 v26, v26 offset:2880
	ds_read_b32 v27, v25 offset:44
	s_waitcnt lgkmcnt(0)
	v_fmac_f32_e32 v22, v26, v27
	s_or_b64 exec, exec, s[20:21]
	v_cmp_gt_u32_e64 s[16:17], 64, v4
	s_and_saveexec_b64 s[20:21], s[16:17]
	s_cbranch_execz .LBB8_234
.LBB8_1181:
	ds_read_b32 v26, v20 offset:3136
	ds_read_b32 v27, v25 offset:48
	s_waitcnt lgkmcnt(0)
	v_fmac_f32_e32 v22, v26, v27
	s_or_b64 exec, exec, s[20:21]
	v_cmp_gt_u32_e64 s[16:17], 48, v4
	s_and_saveexec_b64 s[20:21], s[16:17]
	s_cbranch_execz .LBB8_235
.LBB8_1182:
	v_lshlrev_b32_e32 v26, 2, v21
	v_lshl_add_u32 v26, v23, 2, v26
	ds_read_b32 v26, v26 offset:3392
	ds_read_b32 v27, v25 offset:52
	s_waitcnt lgkmcnt(0)
	v_fmac_f32_e32 v22, v26, v27
	s_or_b64 exec, exec, s[20:21]
	v_cmp_gt_u32_e64 s[16:17], 32, v4
	s_and_saveexec_b64 s[20:21], s[16:17]
	s_cbranch_execz .LBB8_236
.LBB8_1183:
	ds_read_b32 v26, v20 offset:3648
	ds_read_b32 v25, v25 offset:56
	s_waitcnt lgkmcnt(0)
	v_fmac_f32_e32 v22, v26, v25
	s_or_b64 exec, exec, s[20:21]
	v_cmp_gt_u32_e64 s[16:17], 16, v4
	s_and_saveexec_b64 s[20:21], s[16:17]
	s_cbranch_execnz .LBB8_237
	s_branch .LBB8_238
.LBB8_1184:
	v_lshlrev_b32_e32 v27, 2, v14
	v_sub_u32_e32 v27, v26, v27
	v_lshl_add_u32 v27, v13, 2, v27
	ds_read_b32 v27, v27 offset:4432
	ds_read_b32 v28, v26 offset:4164
	s_waitcnt lgkmcnt(0)
	v_fmac_f32_e32 v25, v27, v28
	s_or_b64 exec, exec, s[20:21]
	v_cmp_gt_u32_e64 s[14:15], 8, v4
	s_and_saveexec_b64 s[0:1], s[14:15]
	s_cbranch_execz .LBB8_326
.LBB8_1185:
	ds_read_b32 v27, v10 offset:4688
	ds_read_b32 v26, v26 offset:4168
	s_waitcnt lgkmcnt(0)
	v_fmac_f32_e32 v25, v27, v26
	s_or_b64 exec, exec, s[0:1]
	v_cmp_gt_u32_e64 s[14:15], 4, v4
	s_and_saveexec_b64 s[20:21], s[14:15]
	s_cbranch_execnz .LBB8_327
	s_branch .LBB8_328
.LBB8_1186:
	v_lshlrev_b32_e32 v27, 2, v19
	v_sub_u32_e32 v27, v26, v27
	v_lshl_add_u32 v27, v18, 2, v27
	ds_read_b32 v27, v27 offset:4448
	ds_read_b32 v28, v26 offset:4164
	s_waitcnt lgkmcnt(0)
	v_fmac_f32_e32 v25, v27, v28
	s_or_b64 exec, exec, s[20:21]
	v_cmp_gt_u32_e64 s[14:15], 48, v4
	s_and_saveexec_b64 s[20:21], s[14:15]
	s_cbranch_execz .LBB8_368
.LBB8_1187:
	v_lshlrev_b32_e32 v27, 2, v19
	v_sub_u32_e32 v27, v26, v27
	v_lshl_add_u32 v27, v18, 2, v27
	ds_read_b32 v27, v27 offset:4704
	ds_read_b32 v28, v26 offset:4168
	s_waitcnt lgkmcnt(0)
	v_fmac_f32_e32 v25, v27, v28
	s_or_b64 exec, exec, s[20:21]
	v_cmp_gt_u32_e64 s[14:15], 40, v4
	s_and_saveexec_b64 s[20:21], s[14:15]
	s_cbranch_execz .LBB8_369
.LBB8_1188:
	v_lshlrev_b32_e32 v27, 2, v19
	v_sub_u32_e32 v27, v26, v27
	v_lshl_add_u32 v27, v18, 2, v27
	ds_read_b32 v27, v27 offset:4960
	ds_read_b32 v28, v26 offset:4172
	s_waitcnt lgkmcnt(0)
	v_fmac_f32_e32 v25, v27, v28
	s_or_b64 exec, exec, s[20:21]
	v_cmp_gt_u32_e64 s[14:15], 32, v4
	s_and_saveexec_b64 s[0:1], s[14:15]
	s_cbranch_execz .LBB8_370
.LBB8_1189:
	ds_read_b32 v27, v15 offset:5216
	ds_read_b32 v28, v26 offset:4176
	s_waitcnt lgkmcnt(0)
	v_fmac_f32_e32 v25, v27, v28
	s_or_b64 exec, exec, s[0:1]
	v_cmp_gt_u32_e64 s[14:15], 24, v4
	s_and_saveexec_b64 s[20:21], s[14:15]
	s_cbranch_execz .LBB8_371
.LBB8_1190:
	v_lshlrev_b32_e32 v27, 2, v19
	v_sub_u32_e32 v27, v26, v27
	v_lshl_add_u32 v27, v18, 2, v27
	ds_read_b32 v27, v27 offset:5472
	ds_read_b32 v28, v26 offset:4180
	s_waitcnt lgkmcnt(0)
	v_fmac_f32_e32 v25, v27, v28
	s_or_b64 exec, exec, s[20:21]
	v_cmp_gt_u32_e64 s[14:15], 16, v4
	s_and_saveexec_b64 s[0:1], s[14:15]
	s_cbranch_execz .LBB8_372
.LBB8_1191:
	ds_read_b32 v27, v15 offset:5728
	ds_read_b32 v26, v26 offset:4184
	s_waitcnt lgkmcnt(0)
	v_fmac_f32_e32 v25, v27, v26
	s_or_b64 exec, exec, s[0:1]
	v_cmp_gt_u32_e64 s[14:15], 8, v4
	s_and_saveexec_b64 s[20:21], s[14:15]
	s_cbranch_execnz .LBB8_373
	s_branch .LBB8_374
.LBB8_1192:
	v_lshlrev_b32_e32 v27, 2, v14
	v_sub_u32_e32 v27, v26, v27
	v_lshl_add_u32 v27, v13, 2, v27
	ds_read_b32 v27, v27 offset:6512
	ds_read_b32 v28, v26 offset:6244
	s_waitcnt lgkmcnt(0)
	v_fmac_f32_e32 v25, v27, v28
	s_or_b64 exec, exec, s[20:21]
	v_cmp_gt_u32_e64 s[14:15], 8, v4
	s_and_saveexec_b64 s[0:1], s[14:15]
	s_cbranch_execz .LBB8_430
.LBB8_1193:
	ds_read_b32 v27, v10 offset:6768
	ds_read_b32 v26, v26 offset:6248
	s_waitcnt lgkmcnt(0)
	v_fmac_f32_e32 v25, v27, v26
	s_or_b64 exec, exec, s[0:1]
	v_cmp_gt_u32_e64 s[14:15], 4, v4
	s_and_saveexec_b64 s[20:21], s[14:15]
	s_cbranch_execnz .LBB8_431
	s_branch .LBB8_432
.LBB8_1194:
	ds_read_b32 v31, v25 offset:7552
	ds_read_b32 v32, v30 offset:116
	s_waitcnt lgkmcnt(0)
	v_fmac_f32_e32 v28, v31, v32
	s_or_b64 exec, exec, s[0:1]
	v_cmp_gt_u32_e64 s[20:21], 64, v4
	s_and_saveexec_b64 s[0:1], s[20:21]
	s_cbranch_execz .LBB8_528
.LBB8_1195:
	ds_read_b32 v31, v25 offset:7808
	ds_read_b32 v30, v30 offset:120
	s_waitcnt lgkmcnt(0)
	v_fmac_f32_e32 v28, v31, v30
	s_or_b64 exec, exec, s[0:1]
	v_cmp_gt_u32_e64 s[20:21], 32, v4
	s_and_saveexec_b64 s[0:1], s[20:21]
	s_cbranch_execnz .LBB8_529
	s_branch .LBB8_530
.LBB8_1196:
	v_lshlrev_b32_e32 v27, 2, v14
	v_sub_u32_e32 v27, v26, v27
	v_lshl_add_u32 v27, v13, 2, v27
	ds_read_b32 v27, v27 offset:8592
	ds_read_b32 v28, v26 offset:8324
	s_waitcnt lgkmcnt(0)
	v_fmac_f32_e32 v25, v27, v28
	s_or_b64 exec, exec, s[16:17]
	v_cmp_gt_u32_e64 s[12:13], 8, v4
	s_and_saveexec_b64 s[0:1], s[12:13]
	s_cbranch_execz .LBB8_682
.LBB8_1197:
	ds_read_b32 v27, v10 offset:8848
	ds_read_b32 v26, v26 offset:8328
	s_waitcnt lgkmcnt(0)
	v_fmac_f32_e32 v25, v27, v26
	s_or_b64 exec, exec, s[0:1]
	v_cmp_gt_u32_e64 s[12:13], 4, v4
	s_and_saveexec_b64 s[0:1], s[12:13]
	s_cbranch_execnz .LBB8_683
	s_branch .LBB8_684
.LBB8_1198:
	v_lshlrev_b32_e32 v27, 2, v19
	v_sub_u32_e32 v27, v26, v27
	v_lshl_add_u32 v27, v18, 2, v27
	ds_read_b32 v27, v27 offset:8608
	ds_read_b32 v28, v26 offset:8324
	s_waitcnt lgkmcnt(0)
	v_fmac_f32_e32 v25, v27, v28
	s_or_b64 exec, exec, s[16:17]
	v_cmp_gt_u32_e64 s[12:13], 48, v4
	s_and_saveexec_b64 s[0:1], s[12:13]
	s_cbranch_execz .LBB8_724
.LBB8_1199:
	v_lshlrev_b32_e32 v27, 2, v19
	v_sub_u32_e32 v27, v26, v27
	v_lshl_add_u32 v27, v18, 2, v27
	ds_read_b32 v27, v27 offset:8864
	ds_read_b32 v28, v26 offset:8328
	s_waitcnt lgkmcnt(0)
	v_fmac_f32_e32 v25, v27, v28
	s_or_b64 exec, exec, s[0:1]
	v_cmp_gt_u32_e64 s[12:13], 40, v4
	s_and_saveexec_b64 s[0:1], s[12:13]
	s_cbranch_execz .LBB8_725
.LBB8_1200:
	v_lshlrev_b32_e32 v27, 2, v19
	v_sub_u32_e32 v27, v26, v27
	v_lshl_add_u32 v27, v18, 2, v27
	ds_read_b32 v27, v27 offset:9120
	ds_read_b32 v28, v26 offset:8332
	s_waitcnt lgkmcnt(0)
	v_fmac_f32_e32 v25, v27, v28
	s_or_b64 exec, exec, s[0:1]
	v_cmp_gt_u32_e64 s[12:13], 32, v4
	s_and_saveexec_b64 s[0:1], s[12:13]
	s_cbranch_execz .LBB8_726
.LBB8_1201:
	ds_read_b32 v27, v15 offset:9376
	ds_read_b32 v28, v26 offset:8336
	s_waitcnt lgkmcnt(0)
	v_fmac_f32_e32 v25, v27, v28
	s_or_b64 exec, exec, s[0:1]
	v_cmp_gt_u32_e64 s[12:13], 24, v4
	s_and_saveexec_b64 s[0:1], s[12:13]
	s_cbranch_execz .LBB8_727
.LBB8_1202:
	v_lshlrev_b32_e32 v27, 2, v19
	v_sub_u32_e32 v27, v26, v27
	v_lshl_add_u32 v27, v18, 2, v27
	ds_read_b32 v27, v27 offset:9632
	ds_read_b32 v28, v26 offset:8340
	s_waitcnt lgkmcnt(0)
	v_fmac_f32_e32 v25, v27, v28
	s_or_b64 exec, exec, s[0:1]
	v_cmp_gt_u32_e64 s[12:13], 16, v4
	s_and_saveexec_b64 s[0:1], s[12:13]
	s_cbranch_execz .LBB8_728
.LBB8_1203:
	ds_read_b32 v27, v15 offset:9888
	ds_read_b32 v26, v26 offset:8344
	s_waitcnt lgkmcnt(0)
	v_fmac_f32_e32 v25, v27, v26
	s_or_b64 exec, exec, s[0:1]
	v_cmp_gt_u32_e64 s[12:13], 8, v4
	s_and_saveexec_b64 s[0:1], s[12:13]
	s_cbranch_execnz .LBB8_729
	s_branch .LBB8_730
.LBB8_1204:
	v_lshlrev_b32_e32 v27, 2, v14
	v_sub_u32_e32 v27, v26, v27
	v_lshl_add_u32 v27, v13, 2, v27
	ds_read_b32 v27, v27 offset:10672
	ds_read_b32 v28, v26 offset:10404
	s_waitcnt lgkmcnt(0)
	v_fmac_f32_e32 v25, v27, v28
	s_or_b64 exec, exec, s[16:17]
	v_cmp_gt_u32_e64 s[12:13], 8, v4
	s_and_saveexec_b64 s[0:1], s[12:13]
	s_cbranch_execz .LBB8_786
.LBB8_1205:
	ds_read_b32 v27, v10 offset:10928
	ds_read_b32 v26, v26 offset:10408
	s_waitcnt lgkmcnt(0)
	v_fmac_f32_e32 v25, v27, v26
	s_or_b64 exec, exec, s[0:1]
	v_cmp_gt_u32_e64 s[12:13], 4, v4
	s_and_saveexec_b64 s[0:1], s[12:13]
	s_cbranch_execnz .LBB8_787
	s_branch .LBB8_788
.LBB8_1206:
	v_lshlrev_b32_e32 v24, 2, v21
	v_lshl_add_u32 v24, v23, 2, v24
	ds_read_b32 v24, v24 offset:11200
	ds_read_b32 v27, v26 offset:8364
	s_waitcnt lgkmcnt(0)
	v_fmac_f32_e32 v25, v24, v27
	s_or_b64 exec, exec, s[0:1]
	v_cmp_gt_u32_e64 s[12:13], 64, v4
	s_and_saveexec_b64 s[0:1], s[12:13]
	s_cbranch_execz .LBB8_848
.LBB8_1207:
	ds_read_b32 v24, v20 offset:11456
	ds_read_b32 v27, v26 offset:8368
	s_waitcnt lgkmcnt(0)
	v_fmac_f32_e32 v25, v24, v27
	s_or_b64 exec, exec, s[0:1]
	v_cmp_gt_u32_e64 s[12:13], 48, v4
	s_and_saveexec_b64 s[0:1], s[12:13]
	s_cbranch_execz .LBB8_849
.LBB8_1208:
	v_lshlrev_b32_e32 v24, 2, v21
	v_lshl_add_u32 v23, v23, 2, v24
	ds_read_b32 v23, v23 offset:11712
	ds_read_b32 v24, v26 offset:8372
	s_waitcnt lgkmcnt(0)
	v_fmac_f32_e32 v25, v23, v24
	s_or_b64 exec, exec, s[0:1]
	v_cmp_gt_u32_e64 s[12:13], 32, v4
	s_and_saveexec_b64 s[0:1], s[12:13]
	s_cbranch_execz .LBB8_850
.LBB8_1209:
	ds_read_b32 v23, v20 offset:11968
	ds_read_b32 v24, v26 offset:8376
	s_waitcnt lgkmcnt(0)
	v_fmac_f32_e32 v25, v23, v24
	s_or_b64 exec, exec, s[0:1]
	v_cmp_gt_u32_e64 s[12:13], 16, v4
	s_and_saveexec_b64 s[0:1], s[12:13]
	s_cbranch_execnz .LBB8_851
	s_branch .LBB8_852
.LBB8_1210:
	v_lshlrev_b32_e32 v22, 2, v14
	v_sub_u32_e32 v22, v21, v22
	v_lshl_add_u32 v22, v13, 2, v22
	ds_read_b32 v22, v22 offset:12752
	ds_read_b32 v23, v21 offset:12484
	s_waitcnt lgkmcnt(0)
	v_fmac_f32_e32 v20, v22, v23
	s_or_b64 exec, exec, s[12:13]
	v_cmp_gt_u32_e64 s[10:11], 8, v4
	s_and_saveexec_b64 s[12:13], s[10:11]
	s_cbranch_execz .LBB8_940
.LBB8_1211:
	ds_read_b32 v22, v10 offset:13008
	ds_read_b32 v21, v21 offset:12488
	s_waitcnt lgkmcnt(0)
	v_fmac_f32_e32 v20, v22, v21
	s_or_b64 exec, exec, s[12:13]
	v_cmp_gt_u32_e64 s[10:11], 4, v4
	s_and_saveexec_b64 s[12:13], s[10:11]
	s_cbranch_execnz .LBB8_941
	s_branch .LBB8_942
.LBB8_1212:
	v_lshlrev_b32_e32 v22, 2, v19
	v_sub_u32_e32 v22, v21, v22
	v_lshl_add_u32 v22, v18, 2, v22
	ds_read_b32 v22, v22 offset:12768
	ds_read_b32 v23, v21 offset:12484
	s_waitcnt lgkmcnt(0)
	v_fmac_f32_e32 v20, v22, v23
	s_or_b64 exec, exec, s[12:13]
	v_cmp_gt_u32_e64 s[10:11], 48, v4
	s_and_saveexec_b64 s[12:13], s[10:11]
	s_cbranch_execz .LBB8_982
.LBB8_1213:
	v_lshlrev_b32_e32 v22, 2, v19
	v_sub_u32_e32 v22, v21, v22
	v_lshl_add_u32 v22, v18, 2, v22
	ds_read_b32 v22, v22 offset:13024
	ds_read_b32 v23, v21 offset:12488
	s_waitcnt lgkmcnt(0)
	v_fmac_f32_e32 v20, v22, v23
	s_or_b64 exec, exec, s[12:13]
	v_cmp_gt_u32_e64 s[10:11], 40, v4
	s_and_saveexec_b64 s[12:13], s[10:11]
	s_cbranch_execz .LBB8_983
.LBB8_1214:
	v_lshlrev_b32_e32 v22, 2, v19
	v_sub_u32_e32 v22, v21, v22
	v_lshl_add_u32 v22, v18, 2, v22
	ds_read_b32 v22, v22 offset:13280
	ds_read_b32 v23, v21 offset:12492
	s_waitcnt lgkmcnt(0)
	v_fmac_f32_e32 v20, v22, v23
	s_or_b64 exec, exec, s[12:13]
	v_cmp_gt_u32_e64 s[10:11], 32, v4
	s_and_saveexec_b64 s[12:13], s[10:11]
	s_cbranch_execz .LBB8_984
.LBB8_1215:
	ds_read_b32 v22, v15 offset:13536
	ds_read_b32 v23, v21 offset:12496
	s_waitcnt lgkmcnt(0)
	v_fmac_f32_e32 v20, v22, v23
	s_or_b64 exec, exec, s[12:13]
	v_cmp_gt_u32_e64 s[10:11], 24, v4
	s_and_saveexec_b64 s[12:13], s[10:11]
	s_cbranch_execz .LBB8_985
.LBB8_1216:
	v_lshlrev_b32_e32 v19, 2, v19
	v_sub_u32_e32 v19, v21, v19
	v_lshl_add_u32 v18, v18, 2, v19
	ds_read_b32 v18, v18 offset:13792
	ds_read_b32 v19, v21 offset:12500
	s_waitcnt lgkmcnt(0)
	v_fmac_f32_e32 v20, v18, v19
	s_or_b64 exec, exec, s[12:13]
	v_cmp_gt_u32_e64 s[10:11], 16, v4
	s_and_saveexec_b64 s[12:13], s[10:11]
	s_cbranch_execz .LBB8_986
.LBB8_1217:
	ds_read_b32 v18, v15 offset:14048
	ds_read_b32 v19, v21 offset:12504
	s_waitcnt lgkmcnt(0)
	v_fmac_f32_e32 v20, v18, v19
	s_or_b64 exec, exec, s[12:13]
	v_cmp_gt_u32_e64 s[10:11], 8, v4
	s_and_saveexec_b64 s[12:13], s[10:11]
	s_cbranch_execnz .LBB8_987
	s_branch .LBB8_988
.LBB8_1218:
	v_lshlrev_b32_e32 v14, 2, v14
	v_sub_u32_e32 v14, v16, v14
	v_lshl_add_u32 v13, v13, 2, v14
	ds_read_b32 v13, v13 offset:14832
	ds_read_b32 v14, v16 offset:14564
	s_waitcnt lgkmcnt(0)
	v_fmac_f32_e32 v15, v13, v14
	s_or_b64 exec, exec, s[10:11]
	v_cmp_gt_u32_e64 s[8:9], 8, v4
	s_and_saveexec_b64 s[10:11], s[8:9]
	s_cbranch_execz .LBB8_1044
.LBB8_1219:
	ds_read_b32 v13, v10 offset:15088
	ds_read_b32 v14, v16 offset:14568
	s_waitcnt lgkmcnt(0)
	v_fmac_f32_e32 v15, v13, v14
	s_or_b64 exec, exec, s[10:11]
	v_cmp_gt_u32_e64 s[8:9], 4, v4
	s_and_saveexec_b64 s[10:11], s[8:9]
	s_cbranch_execnz .LBB8_1045
	s_branch .LBB8_1046
	.section	.rodata,"a",@progbits
	.p2align	6, 0x0
	.amdhsa_kernel _ZL19rocblas_trsv_deviceILi64ELi16ELb1ELb1ELb0ELb1EfPKfS1_PfEviT7_lllT6_T8_lllPii
		.amdhsa_group_segment_fixed_size 20740
		.amdhsa_private_segment_fixed_size 0
		.amdhsa_kernarg_size 352
		.amdhsa_user_sgpr_count 6
		.amdhsa_user_sgpr_private_segment_buffer 1
		.amdhsa_user_sgpr_dispatch_ptr 0
		.amdhsa_user_sgpr_queue_ptr 0
		.amdhsa_user_sgpr_kernarg_segment_ptr 1
		.amdhsa_user_sgpr_dispatch_id 0
		.amdhsa_user_sgpr_flat_scratch_init 0
		.amdhsa_user_sgpr_private_segment_size 0
		.amdhsa_uses_dynamic_stack 0
		.amdhsa_system_sgpr_private_segment_wavefront_offset 0
		.amdhsa_system_sgpr_workgroup_id_x 1
		.amdhsa_system_sgpr_workgroup_id_y 0
		.amdhsa_system_sgpr_workgroup_id_z 1
		.amdhsa_system_sgpr_workgroup_info 0
		.amdhsa_system_vgpr_workitem_id 1
		.amdhsa_next_free_vgpr 34
		.amdhsa_next_free_sgpr 96
		.amdhsa_reserve_vcc 1
		.amdhsa_reserve_flat_scratch 0
		.amdhsa_float_round_mode_32 0
		.amdhsa_float_round_mode_16_64 0
		.amdhsa_float_denorm_mode_32 3
		.amdhsa_float_denorm_mode_16_64 3
		.amdhsa_dx10_clamp 1
		.amdhsa_ieee_mode 1
		.amdhsa_fp16_overflow 0
		.amdhsa_exception_fp_ieee_invalid_op 0
		.amdhsa_exception_fp_denorm_src 0
		.amdhsa_exception_fp_ieee_div_zero 0
		.amdhsa_exception_fp_ieee_overflow 0
		.amdhsa_exception_fp_ieee_underflow 0
		.amdhsa_exception_fp_ieee_inexact 0
		.amdhsa_exception_int_div_zero 0
	.end_amdhsa_kernel
	.section	.text._ZL19rocblas_trsv_deviceILi64ELi16ELb1ELb1ELb0ELb1EfPKfS1_PfEviT7_lllT6_T8_lllPii,"axG",@progbits,_ZL19rocblas_trsv_deviceILi64ELi16ELb1ELb1ELb0ELb1EfPKfS1_PfEviT7_lllT6_T8_lllPii,comdat
.Lfunc_end8:
	.size	_ZL19rocblas_trsv_deviceILi64ELi16ELb1ELb1ELb0ELb1EfPKfS1_PfEviT7_lllT6_T8_lllPii, .Lfunc_end8-_ZL19rocblas_trsv_deviceILi64ELi16ELb1ELb1ELb0ELb1EfPKfS1_PfEviT7_lllT6_T8_lllPii
                                        ; -- End function
	.set _ZL19rocblas_trsv_deviceILi64ELi16ELb1ELb1ELb0ELb1EfPKfS1_PfEviT7_lllT6_T8_lllPii.num_vgpr, 34
	.set _ZL19rocblas_trsv_deviceILi64ELi16ELb1ELb1ELb0ELb1EfPKfS1_PfEviT7_lllT6_T8_lllPii.num_agpr, 0
	.set _ZL19rocblas_trsv_deviceILi64ELi16ELb1ELb1ELb0ELb1EfPKfS1_PfEviT7_lllT6_T8_lllPii.numbered_sgpr, 96
	.set _ZL19rocblas_trsv_deviceILi64ELi16ELb1ELb1ELb0ELb1EfPKfS1_PfEviT7_lllT6_T8_lllPii.num_named_barrier, 0
	.set _ZL19rocblas_trsv_deviceILi64ELi16ELb1ELb1ELb0ELb1EfPKfS1_PfEviT7_lllT6_T8_lllPii.private_seg_size, 0
	.set _ZL19rocblas_trsv_deviceILi64ELi16ELb1ELb1ELb0ELb1EfPKfS1_PfEviT7_lllT6_T8_lllPii.uses_vcc, 1
	.set _ZL19rocblas_trsv_deviceILi64ELi16ELb1ELb1ELb0ELb1EfPKfS1_PfEviT7_lllT6_T8_lllPii.uses_flat_scratch, 0
	.set _ZL19rocblas_trsv_deviceILi64ELi16ELb1ELb1ELb0ELb1EfPKfS1_PfEviT7_lllT6_T8_lllPii.has_dyn_sized_stack, 0
	.set _ZL19rocblas_trsv_deviceILi64ELi16ELb1ELb1ELb0ELb1EfPKfS1_PfEviT7_lllT6_T8_lllPii.has_recursion, 0
	.set _ZL19rocblas_trsv_deviceILi64ELi16ELb1ELb1ELb0ELb1EfPKfS1_PfEviT7_lllT6_T8_lllPii.has_indirect_call, 0
	.section	.AMDGPU.csdata,"",@progbits
; Kernel info:
; codeLenInByte = 33920
; TotalNumSgprs: 100
; NumVgprs: 34
; ScratchSize: 0
; MemoryBound: 0
; FloatMode: 240
; IeeeMode: 1
; LDSByteSize: 20740 bytes/workgroup (compile time only)
; SGPRBlocks: 12
; VGPRBlocks: 8
; NumSGPRsForWavesPerEU: 100
; NumVGPRsForWavesPerEU: 34
; Occupancy: 7
; WaveLimiterHint : 0
; COMPUTE_PGM_RSRC2:SCRATCH_EN: 0
; COMPUTE_PGM_RSRC2:USER_SGPR: 6
; COMPUTE_PGM_RSRC2:TRAP_HANDLER: 0
; COMPUTE_PGM_RSRC2:TGID_X_EN: 1
; COMPUTE_PGM_RSRC2:TGID_Y_EN: 0
; COMPUTE_PGM_RSRC2:TGID_Z_EN: 1
; COMPUTE_PGM_RSRC2:TIDIG_COMP_CNT: 1
	.section	.text._ZL19rocblas_trsv_deviceILi64ELi16ELb1ELb1ELb1ELb1EfPKfS1_PfEviT7_lllT6_T8_lllPii,"axG",@progbits,_ZL19rocblas_trsv_deviceILi64ELi16ELb1ELb1ELb1ELb1EfPKfS1_PfEviT7_lllT6_T8_lllPii,comdat
	.globl	_ZL19rocblas_trsv_deviceILi64ELi16ELb1ELb1ELb1ELb1EfPKfS1_PfEviT7_lllT6_T8_lllPii ; -- Begin function _ZL19rocblas_trsv_deviceILi64ELi16ELb1ELb1ELb1ELb1EfPKfS1_PfEviT7_lllT6_T8_lllPii
	.p2align	8
	.type	_ZL19rocblas_trsv_deviceILi64ELi16ELb1ELb1ELb1ELb1EfPKfS1_PfEviT7_lllT6_T8_lllPii,@function
_ZL19rocblas_trsv_deviceILi64ELi16ELb1ELb1ELb1ELb1EfPKfS1_PfEviT7_lllT6_T8_lllPii: ; @_ZL19rocblas_trsv_deviceILi64ELi16ELb1ELb1ELb1ELb1EfPKfS1_PfEviT7_lllT6_T8_lllPii
; %bb.0:
	s_load_dwordx16 s[36:51], s[4:5], 0x8
	s_load_dword s24, s[4:5], 0x0
	s_mov_b32 s22, s7
	s_mov_b32 s23, 0
	s_waitcnt lgkmcnt(0)
	s_mul_i32 s0, s43, s7
	s_mul_hi_u32 s1, s42, s7
	s_add_i32 s1, s1, s0
	s_mul_i32 s0, s42, s7
	s_load_dword s7, s[4:5], 0x60
	s_lshl_b64 s[0:1], s[0:1], 2
	s_add_u32 s2, s36, s0
	s_addc_u32 s3, s37, s1
	s_lshl_b64 s[0:1], s[38:39], 2
	s_load_dword s18, s[44:45], 0x0
	s_load_dword s93, s[4:5], 0x6c
	s_add_u32 s91, s2, s0
	s_addc_u32 s92, s3, s1
	s_waitcnt lgkmcnt(0)
	s_add_i32 s7, s7, -1
	s_sub_i32 s33, s7, s6
	s_cmp_eq_u32 s6, 0
	s_cbranch_scc1 .LBB9_10
; %bb.1:
	s_lshl_b32 s2, s33, 6
	v_add_u32_e32 v6, s2, v0
	v_ashrrev_i32_e32 v2, 31, v6
	v_mul_lo_u32 v7, s40, v2
	v_mul_lo_u32 v8, s41, v6
	v_mad_u64_u32 v[4:5], s[0:1], s40, v6, 0
	v_add3_u32 v2, v1, s2, 64
	v_ashrrev_i32_e32 v3, 31, v2
	v_add3_u32 v5, v5, v7, v8
	v_lshlrev_b64 v[4:5], 2, v[4:5]
	v_cmp_gt_i32_e32 vcc, s24, v6
	v_mov_b32_e32 v6, s92
	v_add_co_u32_e64 v7, s[0:1], s91, v4
	v_lshlrev_b64 v[3:4], 2, v[2:3]
	v_addc_co_u32_e64 v5, s[0:1], v6, v5, s[0:1]
	v_add_co_u32_e64 v3, s[0:1], v7, v3
	v_addc_co_u32_e64 v4, s[0:1], v5, v4, s[0:1]
	v_cmp_gt_i32_e64 s[0:1], s24, v2
	s_and_b64 s[2:3], s[0:1], vcc
	v_mov_b32_e32 v6, 0
	v_mov_b32_e32 v7, 0
	s_barrier
	s_and_saveexec_b64 s[0:1], s[2:3]
	s_cbranch_execz .LBB9_3
; %bb.2:
	global_load_dword v7, v[3:4], off
.LBB9_3:
	s_or_b64 exec, exec, s[0:1]
	v_add_u32_e32 v5, 16, v2
	v_cmp_gt_i32_e64 s[0:1], s24, v5
	s_and_b64 s[2:3], s[0:1], vcc
	s_waitcnt vmcnt(0)
	s_barrier
	s_and_saveexec_b64 s[0:1], s[2:3]
	s_cbranch_execz .LBB9_5
; %bb.4:
	global_load_dword v6, v[3:4], off offset:64
.LBB9_5:
	s_or_b64 exec, exec, s[0:1]
	v_add_u32_e32 v5, 32, v2
	v_cmp_gt_i32_e64 s[0:1], s24, v5
	s_and_b64 s[2:3], s[0:1], vcc
	v_mov_b32_e32 v8, 0
	v_mov_b32_e32 v9, 0
	s_waitcnt vmcnt(0)
	s_barrier
	s_and_saveexec_b64 s[0:1], s[2:3]
	s_cbranch_execz .LBB9_7
; %bb.6:
	global_load_dword v9, v[3:4], off offset:128
.LBB9_7:
	s_or_b64 exec, exec, s[0:1]
	v_add_u32_e32 v2, 48, v2
	v_cmp_gt_i32_e64 s[0:1], s24, v2
	s_and_b64 s[2:3], s[0:1], vcc
	s_waitcnt vmcnt(0)
	s_barrier
	s_and_saveexec_b64 s[0:1], s[2:3]
	s_cbranch_execz .LBB9_9
; %bb.8:
	global_load_dword v8, v[3:4], off offset:192
.LBB9_9:
	s_or_b64 exec, exec, s[0:1]
	s_branch .LBB9_11
.LBB9_10:
                                        ; implicit-def: $vgpr8
                                        ; implicit-def: $vgpr9
                                        ; implicit-def: $vgpr6
                                        ; implicit-def: $vgpr7
.LBB9_11:
	s_ashr_i32 s25, s24, 31
	s_lshr_b32 s0, s25, 26
	s_add_i32 s0, s24, s0
	s_andn2_b32 s0, s0, 63
	s_sub_i32 s90, s24, s0
	s_add_i32 s0, s24, -1
	s_ashr_i32 s1, s0, 31
	s_lshr_b32 s1, s1, 26
	s_add_i32 s0, s0, s1
	s_ashr_i32 s0, s0, 6
	s_cmp_eq_u32 s0, s33
	s_cselect_b64 s[0:1], -1, 0
	s_cmp_lg_u32 s90, 0
	s_cselect_b64 s[2:3], -1, 0
	s_and_b64 s[26:27], s[2:3], s[0:1]
	s_cmp_lt_i32 s6, 5
	s_cselect_b64 s[2:3], -1, 0
	s_mov_b64 s[12:13], -1
	s_or_b64 s[0:1], s[2:3], s[26:27]
	v_lshlrev_b32_e32 v4, 6, v0
	s_and_b64 vcc, exec, s[26:27]
	v_cmp_le_u32_e64 s[8:9], v0, v1
	s_cbranch_vccnz .LBB9_27
; %bb.12:
	s_add_u32 s10, s40, 1
	s_addc_u32 s11, s41, 0
	s_lshl_b32 s12, s33, 6
	s_ashr_i32 s13, s12, 31
	s_mul_hi_u32 s14, s10, s12
	s_mul_i32 s13, s10, s13
	s_add_i32 s13, s14, s13
	s_mul_i32 s11, s11, s12
	s_add_i32 s11, s13, s11
	s_mul_i32 s10, s10, s12
	s_lshl_b64 s[10:11], s[10:11], 2
	s_add_u32 s10, s91, s10
	s_addc_u32 s11, s92, s11
	v_lshlrev_b32_e32 v2, 2, v0
	v_mov_b32_e32 v3, s11
	v_add_co_u32_e32 v2, vcc, s10, v2
	v_mov_b32_e32 v5, 0
	v_addc_co_u32_e32 v3, vcc, 0, v3, vcc
	s_mov_b64 s[10:11], 0
	s_and_saveexec_b64 s[12:13], s[8:9]
	s_xor_b64 s[8:9], exec, s[12:13]
	s_cbranch_execnz .LBB9_1154
; %bb.13:
	s_andn2_saveexec_b64 s[8:9], s[8:9]
	s_cbranch_execnz .LBB9_1155
.LBB9_14:
	s_or_b64 exec, exec, s[8:9]
	s_and_saveexec_b64 s[8:9], s[10:11]
.LBB9_15:
	v_add_u32_e32 v10, v1, v4
	v_lshl_add_u32 v11, v1, 6, v0
	v_cndmask_b32_e64 v10, v11, v10, s[2:3]
	v_lshlrev_b32_e32 v10, 2, v10
	ds_write_b32 v10, v5
.LBB9_16:
	s_or_b64 exec, exec, s[8:9]
	v_add_u32_e32 v5, 16, v1
	v_cmp_le_u32_e32 vcc, v0, v5
	s_mov_b64 s[2:3], 0
	s_and_saveexec_b64 s[8:9], vcc
	s_xor_b64 s[8:9], exec, s[8:9]
	s_cbranch_execnz .LBB9_1156
; %bb.17:
	s_or_saveexec_b64 s[8:9], s[8:9]
	v_mov_b32_e32 v10, 0
	s_xor_b64 exec, exec, s[8:9]
	s_cbranch_execnz .LBB9_1157
.LBB9_18:
	s_or_b64 exec, exec, s[8:9]
	s_and_saveexec_b64 s[8:9], s[2:3]
.LBB9_19:
	v_add_u32_e32 v11, v5, v4
	v_lshl_add_u32 v5, v5, 6, v0
	v_cndmask_b32_e64 v5, v5, v11, s[0:1]
	v_lshlrev_b32_e32 v5, 2, v5
	ds_write_b32 v5, v10
.LBB9_20:
	s_or_b64 exec, exec, s[8:9]
	v_add_u32_e32 v5, 32, v1
	v_cmp_le_u32_e32 vcc, v0, v5
	s_mov_b64 s[2:3], 0
	s_and_saveexec_b64 s[8:9], vcc
	s_xor_b64 s[8:9], exec, s[8:9]
	s_cbranch_execnz .LBB9_1158
; %bb.21:
	s_or_saveexec_b64 s[8:9], s[8:9]
	v_mov_b32_e32 v10, 0
	s_xor_b64 exec, exec, s[8:9]
	s_cbranch_execnz .LBB9_1159
.LBB9_22:
	s_or_b64 exec, exec, s[8:9]
	s_and_saveexec_b64 s[8:9], s[2:3]
.LBB9_23:
	v_add_u32_e32 v11, v5, v4
	v_lshl_add_u32 v5, v5, 6, v0
	v_cndmask_b32_e64 v5, v5, v11, s[0:1]
	v_lshlrev_b32_e32 v5, 2, v5
	ds_write_b32 v5, v10
.LBB9_24:
	s_or_b64 exec, exec, s[8:9]
	v_add_u32_e32 v5, 48, v1
	v_add_u32_e32 v10, v5, v4
	v_lshl_add_u32 v11, v5, 6, v0
	v_cmp_le_u32_e32 vcc, v0, v5
	s_mov_b64 s[2:3], -1
	s_mov_b64 s[12:13], 0
	s_mov_b64 s[10:11], 0
	s_and_saveexec_b64 s[8:9], vcc
	s_xor_b64 s[8:9], exec, s[8:9]
; %bb.25:
	v_or_b32_e32 v12, v5, v0
	v_cmp_gt_u32_e32 vcc, 64, v12
	s_and_b64 s[10:11], vcc, exec
	s_xor_b64 s[2:3], exec, -1
; %bb.26:
	s_or_b64 exec, exec, s[8:9]
	v_cndmask_b32_e64 v10, v11, v10, s[0:1]
	s_and_b64 vcc, exec, s[12:13]
	s_cbranch_vccnz .LBB9_28
	s_branch .LBB9_43
.LBB9_27:
	s_mov_b64 s[2:3], 0
	s_mov_b64 s[10:11], 0
                                        ; implicit-def: $vgpr10
                                        ; implicit-def: $vgpr2_vgpr3
                                        ; implicit-def: $vgpr5
	s_and_b64 vcc, exec, s[12:13]
	s_cbranch_vccz .LBB9_43
.LBB9_28:
	s_add_u32 s2, s40, 1
	s_addc_u32 s3, s41, 0
	s_lshl_b32 s8, s33, 6
	s_ashr_i32 s9, s8, 31
	s_mul_hi_u32 s12, s2, s8
	s_mul_i32 s9, s2, s9
	s_add_i32 s9, s12, s9
	s_mul_i32 s3, s3, s8
	s_add_i32 s3, s9, s3
	s_mul_i32 s2, s2, s8
	s_lshl_b64 s[2:3], s[2:3], 2
	s_add_u32 s2, s91, s2
	s_addc_u32 s3, s92, s3
	v_lshlrev_b32_e32 v2, 2, v0
	v_mov_b32_e32 v3, s3
	v_add_co_u32_e64 v2, s[2:3], s2, v2
	v_addc_co_u32_e64 v3, s[2:3], 0, v3, s[2:3]
	v_max_i32_e32 v10, v1, v0
	v_cmp_le_u32_e64 s[2:3], v0, v1
	v_cmp_le_i32_e64 s[8:9], s90, v10
	v_cmp_gt_i32_e32 vcc, s90, v0
	v_mov_b32_e32 v5, 0
	s_or_b64 s[2:3], s[8:9], s[2:3]
	s_mov_b64 s[8:9], 0
	s_and_saveexec_b64 s[12:13], s[2:3]
	s_xor_b64 s[12:13], exec, s[12:13]
	s_cbranch_execnz .LBB9_1160
; %bb.29:
	s_andn2_saveexec_b64 s[12:13], s[12:13]
	s_cbranch_execnz .LBB9_1161
.LBB9_30:
	s_or_b64 exec, exec, s[12:13]
	s_and_saveexec_b64 s[2:3], s[8:9]
.LBB9_31:
	v_lshlrev_b32_e32 v10, 2, v4
	v_lshl_add_u32 v10, v1, 2, v10
	ds_write_b32 v10, v5
.LBB9_32:
	s_or_b64 exec, exec, s[2:3]
	v_add_u32_e32 v5, 16, v1
	v_cmp_gt_u32_e64 s[2:3], v0, v5
	v_cmp_gt_i32_e64 s[8:9], s90, v5
	s_and_b64 s[2:3], s[2:3], s[8:9]
	s_and_b64 s[2:3], s[2:3], vcc
	s_xor_b64 s[2:3], s[2:3], -1
	s_mov_b64 s[8:9], 0
	s_and_saveexec_b64 s[12:13], s[2:3]
	s_xor_b64 s[12:13], exec, s[12:13]
	s_cbranch_execnz .LBB9_1162
; %bb.33:
	s_or_saveexec_b64 s[12:13], s[12:13]
	v_mov_b32_e32 v10, 0
	s_xor_b64 exec, exec, s[12:13]
	s_cbranch_execnz .LBB9_1163
.LBB9_34:
	s_or_b64 exec, exec, s[12:13]
	s_and_saveexec_b64 s[2:3], s[8:9]
.LBB9_35:
	v_add_u32_e32 v11, v5, v4
	v_lshl_add_u32 v5, v5, 6, v0
	v_cndmask_b32_e64 v5, v5, v11, s[0:1]
	v_lshlrev_b32_e32 v5, 2, v5
	ds_write_b32 v5, v10
.LBB9_36:
	s_or_b64 exec, exec, s[2:3]
	v_add_u32_e32 v5, 32, v1
	v_cmp_gt_u32_e64 s[2:3], v0, v5
	v_cmp_gt_i32_e64 s[8:9], s90, v5
	s_and_b64 s[2:3], s[2:3], s[8:9]
	s_and_b64 s[2:3], s[2:3], vcc
	s_xor_b64 s[2:3], s[2:3], -1
	s_mov_b64 s[8:9], 0
	s_and_saveexec_b64 s[12:13], s[2:3]
	s_xor_b64 s[12:13], exec, s[12:13]
	s_cbranch_execnz .LBB9_1164
; %bb.37:
	s_or_saveexec_b64 s[12:13], s[12:13]
	v_mov_b32_e32 v10, 0
	s_xor_b64 exec, exec, s[12:13]
	s_cbranch_execnz .LBB9_1165
.LBB9_38:
	s_or_b64 exec, exec, s[12:13]
	s_and_saveexec_b64 s[2:3], s[8:9]
.LBB9_39:
	v_add_u32_e32 v11, v5, v4
	v_lshl_add_u32 v5, v5, 6, v0
	v_cndmask_b32_e64 v5, v5, v11, s[0:1]
	v_lshlrev_b32_e32 v5, 2, v5
	ds_write_b32 v5, v10
.LBB9_40:
	s_or_b64 exec, exec, s[2:3]
	v_add_u32_e32 v5, 48, v1
	v_cmp_gt_u32_e64 s[2:3], v0, v5
	v_cmp_gt_i32_e64 s[8:9], s90, v5
	s_and_b64 s[2:3], s[2:3], s[8:9]
	s_and_b64 s[8:9], s[2:3], vcc
	v_add_u32_e32 v4, v5, v4
	v_lshl_add_u32 v10, v5, 6, v0
	s_mov_b64 s[2:3], -1
	s_xor_b64 s[12:13], s[8:9], -1
	s_and_saveexec_b64 s[8:9], s[12:13]
; %bb.41:
	v_or_b32_e32 v11, v5, v0
	v_cmp_gt_u32_e32 vcc, 64, v11
	s_andn2_b64 s[2:3], s[10:11], exec
	s_and_b64 s[10:11], vcc, exec
	s_or_b64 s[10:11], s[2:3], s[10:11]
	s_xor_b64 s[2:3], exec, -1
; %bb.42:
	s_or_b64 exec, exec, s[8:9]
	v_cndmask_b32_e64 v10, v10, v4, s[0:1]
.LBB9_43:
	v_mov_b32_e32 v4, 0
	s_and_saveexec_b64 s[8:9], s[2:3]
	s_cbranch_execnz .LBB9_1127
; %bb.44:
	s_or_b64 exec, exec, s[8:9]
	s_xor_b64 s[0:1], s[0:1], -1
	s_and_saveexec_b64 s[2:3], s[10:11]
.LBB9_45:
	v_lshlrev_b32_e32 v2, 2, v10
	ds_write_b32 v2, v4
.LBB9_46:
	s_or_b64 exec, exec, s[2:3]
	v_cndmask_b32_e64 v2, 0, 1, s[0:1]
	v_cmp_ne_u32_e64 s[38:39], 1, v2
	s_andn2_b64 vcc, exec, s[0:1]
	s_waitcnt vmcnt(0) lgkmcnt(0)
	s_barrier
	s_cbranch_vccnz .LBB9_1084
; %bb.47:
	v_or_b32_e32 v2, v0, v1
	v_cmp_eq_u32_e32 vcc, 0, v2
	s_and_saveexec_b64 s[0:1], vcc
	s_cbranch_execz .LBB9_49
; %bb.48:
	v_mov_b32_e32 v4, 0
	ds_read_b32 v2, v4 offset:4
	v_mov_b32_e32 v3, 1.0
	ds_write_b32 v4, v3
	s_waitcnt lgkmcnt(1)
	ds_write_b64 v4, v[2:3] offset:256
.LBB9_49:
	s_or_b64 exec, exec, s[0:1]
	v_lshl_add_u32 v4, v1, 6, v0
	v_and_b32_e32 v11, 1, v0
	v_lshrrev_b32_e32 v5, 1, v4
	v_lshlrev_b32_e32 v2, 2, v11
	v_cmp_lt_u32_e64 s[8:9], 3, v4
	v_cmp_gt_u32_e64 s[2:3], 4, v4
	v_lshl_or_b32 v2, v5, 8, v2
	v_mov_b32_e32 v10, 0
	s_waitcnt lgkmcnt(0)
	s_barrier
	s_and_saveexec_b64 s[0:1], s[2:3]
	s_cbranch_execz .LBB9_53
; %bb.50:
	v_mul_u32_u24_e32 v3, 0x104, v5
	ds_read_b32 v12, v2 offset:8
	ds_read_b32 v3, v3
	v_mov_b32_e32 v10, 0
	v_cmp_gt_u32_e64 s[10:11], 2, v4
	s_waitcnt lgkmcnt(0)
	v_fma_f32 v3, v12, v3, 0
	s_and_saveexec_b64 s[12:13], s[10:11]
	s_cbranch_execz .LBB9_52
; %bb.51:
	v_lshlrev_b32_e32 v12, 2, v0
	ds_read_b32 v12, v12 offset:264
	ds_read_b32 v10, v10 offset:4
	s_waitcnt lgkmcnt(0)
	v_fmac_f32_e32 v3, v12, v10
.LBB9_52:
	s_or_b64 exec, exec, s[12:13]
	v_xor_b32_e32 v10, 0x80000000, v3
.LBB9_53:
                                        ; implicit-def: $vgpr33 : SGPR spill to VGPR lane
	v_writelane_b32 v33, s18, 0
	s_or_b64 exec, exec, s[0:1]
	v_mov_b32_e32 v3, 0x4000
	v_cmp_eq_u32_e64 s[10:11], 0, v11
	s_xor_b64 s[0:1], s[8:9], -1
	v_lshl_add_u32 v3, v5, 2, v3
	s_and_b64 s[30:31], s[10:11], s[0:1]
	s_and_saveexec_b64 s[8:9], s[30:31]
; %bb.54:
	ds_write_b32 v3, v10
; %bb.55:
	s_or_b64 exec, exec, s[8:9]
	v_cmp_ne_u32_e64 s[8:9], 0, v11
	s_and_b64 s[28:29], s[8:9], s[0:1]
	s_waitcnt lgkmcnt(0)
	s_barrier
	s_and_saveexec_b64 s[0:1], s[28:29]
	s_cbranch_execz .LBB9_57
; %bb.56:
	v_mov_b32_e32 v11, 0
	ds_read_b32 v11, v11 offset:524
	ds_read_b32 v12, v3
	s_waitcnt lgkmcnt(0)
	v_fmac_f32_e32 v10, v11, v12
.LBB9_57:
	s_or_b64 exec, exec, s[0:1]
	s_barrier
	s_and_saveexec_b64 s[0:1], s[28:29]
; %bb.58:
	ds_write_b32 v3, v10
; %bb.59:
	s_or_b64 exec, exec, s[0:1]
	s_waitcnt lgkmcnt(0)
	s_barrier
	s_barrier
	s_and_saveexec_b64 s[0:1], s[2:3]
; %bb.60:
	v_xor_b32_e32 v10, 0x80000000, v10
	ds_write_b32 v2, v10 offset:8
; %bb.61:
	s_or_b64 exec, exec, s[0:1]
	v_cmp_eq_u32_e64 s[12:13], 0, v1
	v_cmp_gt_u32_e64 s[8:9], 2, v0
	s_and_b64 s[34:35], s[12:13], s[8:9]
	s_waitcnt lgkmcnt(0)
	s_barrier
	s_barrier
	s_and_saveexec_b64 s[0:1], s[34:35]
	s_cbranch_execz .LBB9_63
; %bb.62:
	v_lshlrev_b32_e32 v10, 2, v0
	s_movk_i32 s8, 0xfc
	v_mad_u32_u24 v11, v0, s8, v10
	ds_read_b32 v12, v11 offset:8
	s_waitcnt lgkmcnt(0)
	ds_write_b32 v10, v12 offset:512
	ds_read_b32 v11, v11 offset:12
	s_waitcnt lgkmcnt(0)
	ds_write_b32 v10, v11 offset:768
.LBB9_63:
	s_or_b64 exec, exec, s[0:1]
	s_waitcnt lgkmcnt(0)
	s_barrier
	s_and_saveexec_b64 s[0:1], vcc
	s_cbranch_execz .LBB9_65
; %bb.64:
	v_mov_b32_e32 v12, 0
	ds_read_b32 v10, v12 offset:524
	v_mov_b32_e32 v11, 1.0
	ds_write_b32 v12, v11 offset:520
	s_waitcnt lgkmcnt(1)
	ds_write_b64 v12, v[10:11] offset:776
.LBB9_65:
	s_or_b64 exec, exec, s[0:1]
	v_and_b32_e32 v13, 3, v0
	v_lshrrev_b32_e32 v14, 2, v4
	v_lshlrev_b32_e32 v11, 2, v13
	v_cmp_lt_u32_e64 s[8:9], 15, v4
	v_cmp_gt_u32_e64 s[18:19], 16, v4
	v_lshl_or_b32 v10, v14, 8, v11
	v_mov_b32_e32 v15, 0
	s_waitcnt lgkmcnt(0)
	s_barrier
	s_and_saveexec_b64 s[0:1], s[18:19]
	s_cbranch_execz .LBB9_71
; %bb.66:
	v_mul_u32_u24_e32 v15, 0x104, v14
	ds_read_b32 v12, v10 offset:16
	ds_read_b32 v16, v15
	v_cmp_gt_u32_e64 s[10:11], 12, v4
	s_waitcnt lgkmcnt(0)
	v_fma_f32 v12, v12, v16, 0
	s_and_saveexec_b64 s[14:15], s[10:11]
	s_cbranch_execnz .LBB9_1170
; %bb.67:
	s_or_b64 exec, exec, s[14:15]
	v_cmp_gt_u32_e64 s[10:11], 8, v4
	s_and_saveexec_b64 s[14:15], s[10:11]
	s_cbranch_execnz .LBB9_1171
.LBB9_68:
	s_or_b64 exec, exec, s[14:15]
	v_cmp_gt_u32_e64 s[10:11], 4, v4
	s_and_saveexec_b64 s[14:15], s[10:11]
	s_cbranch_execz .LBB9_70
.LBB9_69:
	v_lshlrev_b32_e32 v15, 2, v0
	v_mov_b32_e32 v16, 0
	ds_read_b32 v15, v15 offset:784
	ds_read_b32 v16, v16 offset:12
	s_waitcnt lgkmcnt(0)
	v_fmac_f32_e32 v12, v15, v16
.LBB9_70:
	s_or_b64 exec, exec, s[14:15]
	v_xor_b32_e32 v15, 0x80000000, v12
.LBB9_71:
	v_writelane_b32 v33, s38, 1
	v_writelane_b32 v33, s39, 2
	s_or_b64 exec, exec, s[0:1]
	v_mov_b32_e32 v12, 0x4000
	v_cmp_eq_u32_e64 s[10:11], 0, v13
	s_xor_b64 s[0:1], s[8:9], -1
	v_lshl_add_u32 v12, v14, 2, v12
	s_and_b64 s[38:39], s[10:11], s[0:1]
	s_and_saveexec_b64 s[8:9], s[38:39]
; %bb.72:
	ds_write_b32 v12, v15
; %bb.73:
	s_or_b64 exec, exec, s[8:9]
	v_cmp_ne_u32_e64 s[8:9], 0, v13
	s_and_b64 s[42:43], s[8:9], s[0:1]
	s_waitcnt lgkmcnt(0)
	s_barrier
	s_and_saveexec_b64 s[8:9], s[42:43]
	s_cbranch_execz .LBB9_75
; %bb.74:
	ds_read_b32 v16, v11 offset:1040
	ds_read_b32 v17, v12
	s_waitcnt lgkmcnt(0)
	v_fmac_f32_e32 v15, v16, v17
.LBB9_75:
	s_or_b64 exec, exec, s[8:9]
	v_cmp_eq_u32_e64 s[8:9], 1, v13
	s_and_b64 s[44:45], s[8:9], s[0:1]
	s_barrier
	s_and_saveexec_b64 s[8:9], s[44:45]
; %bb.76:
	ds_write_b32 v12, v15
; %bb.77:
	s_or_b64 exec, exec, s[8:9]
	v_cmp_lt_u32_e64 s[8:9], 1, v13
	s_and_b64 s[52:53], s[8:9], s[0:1]
	s_waitcnt lgkmcnt(0)
	s_barrier
	s_and_saveexec_b64 s[8:9], s[52:53]
	s_cbranch_execz .LBB9_79
; %bb.78:
	ds_read_b32 v16, v11 offset:1296
	ds_read_b32 v17, v12
	s_waitcnt lgkmcnt(0)
	v_fmac_f32_e32 v15, v16, v17
.LBB9_79:
	s_or_b64 exec, exec, s[8:9]
	v_cmp_eq_u32_e64 s[8:9], 2, v13
	s_and_b64 s[54:55], s[8:9], s[0:1]
	s_barrier
	s_and_saveexec_b64 s[8:9], s[54:55]
; %bb.80:
	ds_write_b32 v12, v15
; %bb.81:
	s_or_b64 exec, exec, s[8:9]
	v_cmp_eq_u32_e64 s[8:9], 3, v13
	s_and_b64 s[36:37], s[8:9], s[0:1]
	s_waitcnt lgkmcnt(0)
	s_barrier
	s_and_saveexec_b64 s[0:1], s[36:37]
	s_cbranch_execz .LBB9_83
; %bb.82:
	v_mov_b32_e32 v16, 0
	ds_read_b32 v16, v16 offset:1564
	ds_read_b32 v17, v12
	s_waitcnt lgkmcnt(0)
	v_fmac_f32_e32 v15, v16, v17
.LBB9_83:
	s_or_b64 exec, exec, s[0:1]
	s_barrier
	s_and_saveexec_b64 s[0:1], s[36:37]
; %bb.84:
	ds_write_b32 v12, v15
; %bb.85:
	s_or_b64 exec, exec, s[0:1]
	s_waitcnt lgkmcnt(0)
	s_barrier
	s_barrier
	s_and_saveexec_b64 s[0:1], s[18:19]
; %bb.86:
	v_xor_b32_e32 v15, 0x80000000, v15
	ds_write_b32 v10, v15 offset:16
; %bb.87:
	s_or_b64 exec, exec, s[0:1]
	v_cmp_gt_u32_e64 s[8:9], 4, v0
	s_and_b64 s[56:57], s[12:13], s[8:9]
	s_waitcnt lgkmcnt(0)
	s_barrier
	s_barrier
	s_and_saveexec_b64 s[0:1], s[56:57]
	s_cbranch_execz .LBB9_89
; %bb.88:
	v_lshlrev_b32_e32 v15, 8, v0
	ds_read_b32 v16, v15 offset:16
	s_movk_i32 s8, 0xff04
	v_mad_i32_i24 v17, v0, s8, v15
	s_waitcnt lgkmcnt(0)
	ds_write_b32 v17, v16 offset:1024
	ds_read_b32 v16, v15 offset:20
	s_waitcnt lgkmcnt(0)
	ds_write_b32 v17, v16 offset:1280
	ds_read_b32 v16, v15 offset:24
	;; [unrolled: 3-line block ×3, first 2 shown]
	s_waitcnt lgkmcnt(0)
	ds_write_b32 v17, v15 offset:1792
.LBB9_89:
	s_or_b64 exec, exec, s[0:1]
	s_waitcnt lgkmcnt(0)
	s_barrier
	s_and_saveexec_b64 s[0:1], vcc
	s_cbranch_execz .LBB9_91
; %bb.90:
	v_mov_b32_e32 v17, 0
	ds_read_b32 v15, v17 offset:1044
	v_mov_b32_e32 v16, 1.0
	ds_write_b32 v17, v16 offset:1040
	s_waitcnt lgkmcnt(1)
	ds_write_b64 v17, v[15:16] offset:1296
.LBB9_91:
	s_or_b64 exec, exec, s[0:1]
	v_mov_b32_e32 v15, 0
	s_waitcnt lgkmcnt(0)
	s_barrier
	s_and_saveexec_b64 s[0:1], s[2:3]
	s_cbranch_execz .LBB9_95
; %bb.92:
	v_mul_u32_u24_e32 v15, 0x104, v5
	ds_read_b32 v17, v2 offset:1048
	ds_read_b32 v15, v15 offset:1040
	v_mov_b32_e32 v16, 0
	v_cmp_gt_u32_e64 s[8:9], 2, v4
	s_waitcnt lgkmcnt(0)
	v_fma_f32 v15, v17, v15, 0
	s_and_saveexec_b64 s[10:11], s[8:9]
	s_cbranch_execz .LBB9_94
; %bb.93:
	v_lshlrev_b32_e32 v17, 2, v0
	ds_read_b32 v17, v17 offset:1304
	ds_read_b32 v16, v16 offset:1044
	s_waitcnt lgkmcnt(0)
	v_fmac_f32_e32 v15, v17, v16
.LBB9_94:
	s_or_b64 exec, exec, s[10:11]
	v_xor_b32_e32 v15, 0x80000000, v15
.LBB9_95:
	s_or_b64 exec, exec, s[0:1]
	s_and_saveexec_b64 s[0:1], s[30:31]
; %bb.96:
	ds_write_b32 v3, v15
; %bb.97:
	s_or_b64 exec, exec, s[0:1]
	s_waitcnt lgkmcnt(0)
	s_barrier
	s_and_saveexec_b64 s[0:1], s[28:29]
	s_cbranch_execz .LBB9_99
; %bb.98:
	v_mov_b32_e32 v16, 0
	ds_read_b32 v16, v16 offset:1564
	ds_read_b32 v17, v3
	s_waitcnt lgkmcnt(0)
	v_fmac_f32_e32 v15, v16, v17
.LBB9_99:
	s_or_b64 exec, exec, s[0:1]
	s_barrier
	s_and_saveexec_b64 s[0:1], s[28:29]
; %bb.100:
	ds_write_b32 v3, v15
; %bb.101:
	s_or_b64 exec, exec, s[0:1]
	s_waitcnt lgkmcnt(0)
	s_barrier
	s_barrier
	s_and_saveexec_b64 s[0:1], s[2:3]
; %bb.102:
	v_xor_b32_e32 v15, 0x80000000, v15
	ds_write_b32 v2, v15 offset:1048
; %bb.103:
	s_or_b64 exec, exec, s[0:1]
	s_waitcnt lgkmcnt(0)
	s_barrier
	s_barrier
	s_and_saveexec_b64 s[0:1], s[34:35]
	s_cbranch_execz .LBB9_105
; %bb.104:
	v_lshlrev_b32_e32 v15, 2, v0
	s_movk_i32 s8, 0xfc
	v_mad_u32_u24 v16, v0, s8, v15
	ds_read_b32 v17, v16 offset:1048
	s_waitcnt lgkmcnt(0)
	ds_write_b32 v15, v17 offset:1552
	ds_read_b32 v16, v16 offset:1052
	s_waitcnt lgkmcnt(0)
	ds_write_b32 v15, v16 offset:1808
.LBB9_105:
	s_or_b64 exec, exec, s[0:1]
	s_waitcnt lgkmcnt(0)
	s_barrier
	s_and_saveexec_b64 s[0:1], vcc
	s_cbranch_execz .LBB9_107
; %bb.106:
	v_mov_b32_e32 v17, 0
	ds_read_b32 v15, v17 offset:1564
	v_mov_b32_e32 v16, 1.0
	ds_write_b32 v17, v16 offset:1560
	s_waitcnt lgkmcnt(1)
	ds_write_b64 v17, v[15:16] offset:1816
.LBB9_107:
	s_or_b64 exec, exec, s[0:1]
	v_and_b32_e32 v18, 7, v0
	v_lshrrev_b32_e32 v19, 3, v4
	v_lshlrev_b32_e32 v16, 2, v18
	v_cmp_lt_u32_e64 s[10:11], 63, v4
	v_cmp_gt_u32_e64 s[8:9], 64, v4
	v_lshl_or_b32 v15, v19, 8, v16
	v_mov_b32_e32 v20, 0
	s_waitcnt lgkmcnt(0)
	s_barrier
	s_and_saveexec_b64 s[0:1], s[8:9]
	s_cbranch_execz .LBB9_117
; %bb.108:
	v_mul_u32_u24_e32 v20, 0x104, v19
	ds_read_b32 v17, v15 offset:32
	ds_read_b32 v21, v20
	v_cmp_gt_u32_e64 s[14:15], 56, v4
	s_waitcnt lgkmcnt(0)
	v_fma_f32 v17, v17, v21, 0
	s_and_saveexec_b64 s[16:17], s[14:15]
	s_cbranch_execnz .LBB9_1172
; %bb.109:
	s_or_b64 exec, exec, s[16:17]
	v_cmp_gt_u32_e64 s[14:15], 48, v4
	s_and_saveexec_b64 s[16:17], s[14:15]
	s_cbranch_execnz .LBB9_1173
.LBB9_110:
	s_or_b64 exec, exec, s[16:17]
	v_cmp_gt_u32_e64 s[14:15], 40, v4
	s_and_saveexec_b64 s[16:17], s[14:15]
	s_cbranch_execnz .LBB9_1174
.LBB9_111:
	s_or_b64 exec, exec, s[16:17]
	v_cmp_gt_u32_e64 s[14:15], 32, v4
	s_and_saveexec_b64 s[16:17], s[14:15]
	s_cbranch_execnz .LBB9_1175
.LBB9_112:
	s_or_b64 exec, exec, s[16:17]
	v_cmp_gt_u32_e64 s[14:15], 24, v4
	s_and_saveexec_b64 s[16:17], s[14:15]
	s_cbranch_execnz .LBB9_1176
.LBB9_113:
	s_or_b64 exec, exec, s[16:17]
	v_cmp_gt_u32_e64 s[14:15], 16, v4
	s_and_saveexec_b64 s[16:17], s[14:15]
	s_cbranch_execnz .LBB9_1177
.LBB9_114:
	s_or_b64 exec, exec, s[16:17]
	v_cmp_gt_u32_e64 s[14:15], 8, v4
	s_and_saveexec_b64 s[16:17], s[14:15]
	s_cbranch_execz .LBB9_116
.LBB9_115:
	v_lshlrev_b32_e32 v20, 2, v0
	v_mov_b32_e32 v21, 0
	ds_read_b32 v20, v20 offset:1824
	ds_read_b32 v21, v21 offset:28
	s_waitcnt lgkmcnt(0)
	v_fmac_f32_e32 v17, v20, v21
.LBB9_116:
	s_or_b64 exec, exec, s[16:17]
	v_xor_b32_e32 v20, 0x80000000, v17
.LBB9_117:
	s_or_b64 exec, exec, s[0:1]
	v_mov_b32_e32 v17, 0x4000
	v_cmp_eq_u32_e64 s[14:15], 0, v18
	s_xor_b64 s[0:1], s[10:11], -1
	v_lshl_add_u32 v17, v19, 2, v17
	s_and_b64 s[58:59], s[14:15], s[0:1]
	s_and_saveexec_b64 s[10:11], s[58:59]
; %bb.118:
	ds_write_b32 v17, v20
; %bb.119:
	s_or_b64 exec, exec, s[10:11]
	v_cmp_ne_u32_e64 s[10:11], 0, v18
	s_and_b64 s[60:61], s[10:11], s[0:1]
	s_waitcnt lgkmcnt(0)
	s_barrier
	s_and_saveexec_b64 s[10:11], s[60:61]
	s_cbranch_execz .LBB9_121
; %bb.120:
	ds_read_b32 v21, v16 offset:2080
	ds_read_b32 v22, v17
	s_waitcnt lgkmcnt(0)
	v_fmac_f32_e32 v20, v21, v22
.LBB9_121:
	s_or_b64 exec, exec, s[10:11]
	v_cmp_eq_u32_e64 s[10:11], 1, v18
	s_and_b64 s[62:63], s[10:11], s[0:1]
	s_barrier
	s_and_saveexec_b64 s[10:11], s[62:63]
; %bb.122:
	ds_write_b32 v17, v20
; %bb.123:
	s_or_b64 exec, exec, s[10:11]
	v_cmp_lt_u32_e64 s[10:11], 1, v18
	s_and_b64 s[64:65], s[10:11], s[0:1]
	s_waitcnt lgkmcnt(0)
	s_barrier
	s_and_saveexec_b64 s[10:11], s[64:65]
	s_cbranch_execz .LBB9_125
; %bb.124:
	ds_read_b32 v21, v16 offset:2336
	ds_read_b32 v22, v17
	s_waitcnt lgkmcnt(0)
	v_fmac_f32_e32 v20, v21, v22
.LBB9_125:
	s_or_b64 exec, exec, s[10:11]
	v_cmp_eq_u32_e64 s[10:11], 2, v18
	s_and_b64 s[68:69], s[10:11], s[0:1]
	s_barrier
	s_and_saveexec_b64 s[10:11], s[68:69]
; %bb.126:
	ds_write_b32 v17, v20
; %bb.127:
	s_or_b64 exec, exec, s[10:11]
	v_cmp_lt_u32_e64 s[10:11], 2, v18
	;; [unrolled: 21-line block ×5, first 2 shown]
	s_and_b64 s[82:83], s[10:11], s[0:1]
	s_waitcnt lgkmcnt(0)
	s_barrier
	s_and_saveexec_b64 s[10:11], s[82:83]
	s_cbranch_execz .LBB9_141
; %bb.140:
	ds_read_b32 v21, v16 offset:3360
	ds_read_b32 v22, v17
	s_waitcnt lgkmcnt(0)
	v_fmac_f32_e32 v20, v21, v22
.LBB9_141:
	s_or_b64 exec, exec, s[10:11]
	v_cmp_eq_u32_e64 s[10:11], 6, v18
	s_and_b64 s[84:85], s[10:11], s[0:1]
	s_barrier
	s_and_saveexec_b64 s[10:11], s[84:85]
; %bb.142:
	ds_write_b32 v17, v20
; %bb.143:
	s_or_b64 exec, exec, s[10:11]
	v_cmp_eq_u32_e64 s[10:11], 7, v18
	s_and_b64 s[66:67], s[10:11], s[0:1]
	s_waitcnt lgkmcnt(0)
	s_barrier
	s_and_saveexec_b64 s[0:1], s[66:67]
	s_cbranch_execz .LBB9_145
; %bb.144:
	v_mov_b32_e32 v21, 0
	ds_read_b32 v21, v21 offset:3644
	ds_read_b32 v22, v17
	s_waitcnt lgkmcnt(0)
	v_fmac_f32_e32 v20, v21, v22
.LBB9_145:
	s_or_b64 exec, exec, s[0:1]
	s_barrier
	s_and_saveexec_b64 s[0:1], s[66:67]
; %bb.146:
	ds_write_b32 v17, v20
; %bb.147:
	s_or_b64 exec, exec, s[0:1]
	s_waitcnt lgkmcnt(0)
	s_barrier
	s_barrier
	s_and_saveexec_b64 s[0:1], s[8:9]
; %bb.148:
	v_xor_b32_e32 v20, 0x80000000, v20
	ds_write_b32 v15, v20 offset:32
; %bb.149:
	s_or_b64 exec, exec, s[0:1]
	v_cmp_gt_u32_e64 s[10:11], 8, v0
	s_and_b64 s[86:87], s[12:13], s[10:11]
	s_waitcnt lgkmcnt(0)
	s_barrier
	s_barrier
	s_and_saveexec_b64 s[0:1], s[86:87]
	s_cbranch_execz .LBB9_151
; %bb.150:
	v_lshlrev_b32_e32 v20, 8, v0
	ds_read_b32 v21, v20 offset:32
	s_movk_i32 s10, 0xff04
	v_mad_i32_i24 v22, v0, s10, v20
	s_waitcnt lgkmcnt(0)
	ds_write_b32 v22, v21 offset:2048
	ds_read_b32 v21, v20 offset:36
	s_waitcnt lgkmcnt(0)
	ds_write_b32 v22, v21 offset:2304
	ds_read_b32 v21, v20 offset:40
	;; [unrolled: 3-line block ×7, first 2 shown]
	s_waitcnt lgkmcnt(0)
	ds_write_b32 v22, v20 offset:3840
.LBB9_151:
	s_or_b64 exec, exec, s[0:1]
	s_waitcnt lgkmcnt(0)
	s_barrier
	s_and_saveexec_b64 s[0:1], vcc
	s_cbranch_execz .LBB9_153
; %bb.152:
	v_mov_b32_e32 v22, 0
	ds_read_b32 v20, v22 offset:2084
	v_mov_b32_e32 v21, 1.0
	ds_write_b32 v22, v21 offset:2080
	s_waitcnt lgkmcnt(1)
	ds_write_b64 v22, v[20:21] offset:2336
.LBB9_153:
	s_or_b64 exec, exec, s[0:1]
	v_mov_b32_e32 v20, 0
	s_waitcnt lgkmcnt(0)
	s_barrier
	s_and_saveexec_b64 s[0:1], s[2:3]
	s_cbranch_execz .LBB9_157
; %bb.154:
	v_mul_u32_u24_e32 v20, 0x104, v5
	ds_read_b32 v22, v2 offset:2088
	ds_read_b32 v20, v20 offset:2080
	v_mov_b32_e32 v21, 0
	v_cmp_gt_u32_e64 s[10:11], 2, v4
	s_waitcnt lgkmcnt(0)
	v_fma_f32 v20, v22, v20, 0
	s_and_saveexec_b64 s[14:15], s[10:11]
	s_cbranch_execz .LBB9_156
; %bb.155:
	v_lshlrev_b32_e32 v22, 2, v0
	ds_read_b32 v22, v22 offset:2344
	ds_read_b32 v21, v21 offset:2084
	s_waitcnt lgkmcnt(0)
	v_fmac_f32_e32 v20, v22, v21
.LBB9_156:
	s_or_b64 exec, exec, s[14:15]
	v_xor_b32_e32 v20, 0x80000000, v20
.LBB9_157:
	s_or_b64 exec, exec, s[0:1]
	s_and_saveexec_b64 s[0:1], s[30:31]
; %bb.158:
	ds_write_b32 v3, v20
; %bb.159:
	s_or_b64 exec, exec, s[0:1]
	s_waitcnt lgkmcnt(0)
	s_barrier
	s_and_saveexec_b64 s[0:1], s[28:29]
	s_cbranch_execz .LBB9_161
; %bb.160:
	v_mov_b32_e32 v21, 0
	ds_read_b32 v21, v21 offset:2604
	ds_read_b32 v22, v3
	s_waitcnt lgkmcnt(0)
	v_fmac_f32_e32 v20, v21, v22
.LBB9_161:
	s_or_b64 exec, exec, s[0:1]
	s_barrier
	s_and_saveexec_b64 s[0:1], s[28:29]
; %bb.162:
	ds_write_b32 v3, v20
; %bb.163:
	s_or_b64 exec, exec, s[0:1]
	s_waitcnt lgkmcnt(0)
	s_barrier
	s_barrier
	s_and_saveexec_b64 s[0:1], s[2:3]
; %bb.164:
	v_xor_b32_e32 v20, 0x80000000, v20
	ds_write_b32 v2, v20 offset:2088
; %bb.165:
	s_or_b64 exec, exec, s[0:1]
	s_waitcnt lgkmcnt(0)
	s_barrier
	s_barrier
	s_and_saveexec_b64 s[0:1], s[34:35]
	s_cbranch_execz .LBB9_167
; %bb.166:
	v_lshlrev_b32_e32 v20, 2, v0
	s_movk_i32 s10, 0xfc
	v_mad_u32_u24 v21, v0, s10, v20
	ds_read_b32 v22, v21 offset:2088
	s_waitcnt lgkmcnt(0)
	ds_write_b32 v20, v22 offset:2592
	ds_read_b32 v21, v21 offset:2092
	s_waitcnt lgkmcnt(0)
	ds_write_b32 v20, v21 offset:2848
.LBB9_167:
	s_or_b64 exec, exec, s[0:1]
	s_waitcnt lgkmcnt(0)
	s_barrier
	s_and_saveexec_b64 s[0:1], vcc
	s_cbranch_execz .LBB9_169
; %bb.168:
	v_mov_b32_e32 v22, 0
	ds_read_b32 v20, v22 offset:2604
	v_mov_b32_e32 v21, 1.0
	ds_write_b32 v22, v21 offset:2600
	s_waitcnt lgkmcnt(1)
	ds_write_b64 v22, v[20:21] offset:2856
.LBB9_169:
	s_or_b64 exec, exec, s[0:1]
	v_mov_b32_e32 v20, 0
	s_waitcnt lgkmcnt(0)
	s_barrier
	s_and_saveexec_b64 s[0:1], s[18:19]
	s_cbranch_execz .LBB9_175
; %bb.170:
	v_mul_u32_u24_e32 v21, 0x104, v14
	ds_read_b32 v20, v10 offset:2096
	ds_read_b32 v22, v21 offset:2080
	v_cmp_gt_u32_e64 s[10:11], 12, v4
	s_waitcnt lgkmcnt(0)
	v_fma_f32 v20, v20, v22, 0
	s_and_saveexec_b64 s[14:15], s[10:11]
	s_cbranch_execnz .LBB9_1178
; %bb.171:
	s_or_b64 exec, exec, s[14:15]
	v_cmp_gt_u32_e64 s[10:11], 8, v4
	s_and_saveexec_b64 s[14:15], s[10:11]
	s_cbranch_execnz .LBB9_1179
.LBB9_172:
	s_or_b64 exec, exec, s[14:15]
	v_cmp_gt_u32_e64 s[10:11], 4, v4
	s_and_saveexec_b64 s[14:15], s[10:11]
	s_cbranch_execz .LBB9_174
.LBB9_173:
	v_lshlrev_b32_e32 v21, 2, v0
	v_mov_b32_e32 v22, 0
	ds_read_b32 v21, v21 offset:2864
	ds_read_b32 v22, v22 offset:2092
	s_waitcnt lgkmcnt(0)
	v_fmac_f32_e32 v20, v21, v22
.LBB9_174:
	s_or_b64 exec, exec, s[14:15]
	v_xor_b32_e32 v20, 0x80000000, v20
.LBB9_175:
	s_or_b64 exec, exec, s[0:1]
	s_and_saveexec_b64 s[0:1], s[38:39]
; %bb.176:
	ds_write_b32 v12, v20
; %bb.177:
	s_or_b64 exec, exec, s[0:1]
	s_waitcnt lgkmcnt(0)
	s_barrier
	s_and_saveexec_b64 s[0:1], s[42:43]
	s_cbranch_execz .LBB9_179
; %bb.178:
	ds_read_b32 v21, v11 offset:3120
	ds_read_b32 v22, v12
	s_waitcnt lgkmcnt(0)
	v_fmac_f32_e32 v20, v21, v22
.LBB9_179:
	s_or_b64 exec, exec, s[0:1]
	s_barrier
	s_and_saveexec_b64 s[0:1], s[44:45]
; %bb.180:
	ds_write_b32 v12, v20
; %bb.181:
	s_or_b64 exec, exec, s[0:1]
	s_waitcnt lgkmcnt(0)
	s_barrier
	s_and_saveexec_b64 s[0:1], s[52:53]
	s_cbranch_execz .LBB9_183
; %bb.182:
	ds_read_b32 v21, v11 offset:3376
	ds_read_b32 v22, v12
	s_waitcnt lgkmcnt(0)
	v_fmac_f32_e32 v20, v21, v22
.LBB9_183:
	s_or_b64 exec, exec, s[0:1]
	s_barrier
	s_and_saveexec_b64 s[0:1], s[54:55]
; %bb.184:
	ds_write_b32 v12, v20
; %bb.185:
	s_or_b64 exec, exec, s[0:1]
	s_waitcnt lgkmcnt(0)
	s_barrier
	s_and_saveexec_b64 s[0:1], s[36:37]
	s_cbranch_execz .LBB9_187
; %bb.186:
	v_mov_b32_e32 v21, 0
	ds_read_b32 v21, v21 offset:3644
	ds_read_b32 v22, v12
	s_waitcnt lgkmcnt(0)
	v_fmac_f32_e32 v20, v21, v22
.LBB9_187:
	s_or_b64 exec, exec, s[0:1]
	s_barrier
	s_and_saveexec_b64 s[0:1], s[36:37]
; %bb.188:
	ds_write_b32 v12, v20
; %bb.189:
	s_or_b64 exec, exec, s[0:1]
	s_waitcnt lgkmcnt(0)
	s_barrier
	s_barrier
	s_and_saveexec_b64 s[0:1], s[18:19]
; %bb.190:
	v_xor_b32_e32 v20, 0x80000000, v20
	ds_write_b32 v10, v20 offset:2096
; %bb.191:
	s_or_b64 exec, exec, s[0:1]
	s_waitcnt lgkmcnt(0)
	s_barrier
	s_barrier
	s_and_saveexec_b64 s[0:1], s[56:57]
	s_cbranch_execz .LBB9_193
; %bb.192:
	v_lshlrev_b32_e32 v20, 8, v0
	ds_read_b32 v21, v20 offset:2096
	s_movk_i32 s10, 0xff04
	v_mad_i32_i24 v22, v0, s10, v20
	s_waitcnt lgkmcnt(0)
	ds_write_b32 v22, v21 offset:3104
	ds_read_b32 v21, v20 offset:2100
	s_waitcnt lgkmcnt(0)
	ds_write_b32 v22, v21 offset:3360
	ds_read_b32 v21, v20 offset:2104
	;; [unrolled: 3-line block ×3, first 2 shown]
	s_waitcnt lgkmcnt(0)
	ds_write_b32 v22, v20 offset:3872
.LBB9_193:
	s_or_b64 exec, exec, s[0:1]
	s_waitcnt lgkmcnt(0)
	s_barrier
	s_and_saveexec_b64 s[0:1], vcc
	s_cbranch_execz .LBB9_195
; %bb.194:
	v_mov_b32_e32 v22, 0
	ds_read_b32 v20, v22 offset:3124
	v_mov_b32_e32 v21, 1.0
	ds_write_b32 v22, v21 offset:3120
	s_waitcnt lgkmcnt(1)
	ds_write_b64 v22, v[20:21] offset:3376
.LBB9_195:
	s_or_b64 exec, exec, s[0:1]
	v_mov_b32_e32 v20, 0
	s_waitcnt lgkmcnt(0)
	s_barrier
	s_and_saveexec_b64 s[0:1], s[2:3]
	s_cbranch_execz .LBB9_199
; %bb.196:
	v_mul_u32_u24_e32 v20, 0x104, v5
	ds_read_b32 v22, v2 offset:3128
	ds_read_b32 v20, v20 offset:3120
	v_mov_b32_e32 v21, 0
	v_cmp_gt_u32_e64 s[10:11], 2, v4
	s_waitcnt lgkmcnt(0)
	v_fma_f32 v20, v22, v20, 0
	s_and_saveexec_b64 s[14:15], s[10:11]
	s_cbranch_execz .LBB9_198
; %bb.197:
	v_lshlrev_b32_e32 v22, 2, v0
	ds_read_b32 v22, v22 offset:3384
	ds_read_b32 v21, v21 offset:3124
	s_waitcnt lgkmcnt(0)
	v_fmac_f32_e32 v20, v22, v21
.LBB9_198:
	s_or_b64 exec, exec, s[14:15]
	v_xor_b32_e32 v20, 0x80000000, v20
.LBB9_199:
	s_or_b64 exec, exec, s[0:1]
	s_and_saveexec_b64 s[0:1], s[30:31]
; %bb.200:
	ds_write_b32 v3, v20
; %bb.201:
	s_or_b64 exec, exec, s[0:1]
	s_waitcnt lgkmcnt(0)
	s_barrier
	s_and_saveexec_b64 s[0:1], s[28:29]
	s_cbranch_execz .LBB9_203
; %bb.202:
	v_mov_b32_e32 v21, 0
	ds_read_b32 v21, v21 offset:3644
	ds_read_b32 v22, v3
	s_waitcnt lgkmcnt(0)
	v_fmac_f32_e32 v20, v21, v22
.LBB9_203:
	s_or_b64 exec, exec, s[0:1]
	s_barrier
	s_and_saveexec_b64 s[0:1], s[28:29]
; %bb.204:
	ds_write_b32 v3, v20
; %bb.205:
	s_or_b64 exec, exec, s[0:1]
	s_waitcnt lgkmcnt(0)
	s_barrier
	s_barrier
	s_and_saveexec_b64 s[0:1], s[2:3]
; %bb.206:
	v_xor_b32_e32 v20, 0x80000000, v20
	ds_write_b32 v2, v20 offset:3128
; %bb.207:
	s_or_b64 exec, exec, s[0:1]
	s_waitcnt lgkmcnt(0)
	s_barrier
	s_barrier
	s_and_saveexec_b64 s[0:1], s[34:35]
	s_cbranch_execz .LBB9_209
; %bb.208:
	v_lshlrev_b32_e32 v20, 2, v0
	s_movk_i32 s10, 0xfc
	v_mad_u32_u24 v21, v0, s10, v20
	ds_read_b32 v22, v21 offset:3128
	s_waitcnt lgkmcnt(0)
	ds_write_b32 v20, v22 offset:3632
	ds_read_b32 v21, v21 offset:3132
	s_waitcnt lgkmcnt(0)
	ds_write_b32 v20, v21 offset:3888
.LBB9_209:
	s_or_b64 exec, exec, s[0:1]
	s_waitcnt lgkmcnt(0)
	s_barrier
	s_and_saveexec_b64 s[0:1], vcc
	s_cbranch_execz .LBB9_211
; %bb.210:
	v_mov_b32_e32 v22, 0
	ds_read_b32 v20, v22 offset:3644
	v_mov_b32_e32 v21, 1.0
	ds_write_b32 v22, v21 offset:3640
	s_waitcnt lgkmcnt(1)
	ds_write_b64 v22, v[20:21] offset:3896
.LBB9_211:
	s_or_b64 exec, exec, s[0:1]
	v_lshrrev_b32_e32 v24, 4, v4
	v_and_b32_e32 v21, 15, v0
	s_movk_i32 s0, 0xff
	v_lshlrev_b32_e32 v23, 6, v24
	v_cmp_lt_u32_e64 s[14:15], s0, v4
	s_movk_i32 s0, 0x100
	v_or_b32_e32 v20, v23, v21
	v_cmp_gt_u32_e64 s[10:11], s0, v4
	v_lshlrev_b32_e32 v20, 2, v20
	v_mov_b32_e32 v25, 0
	s_waitcnt lgkmcnt(0)
	s_barrier
	s_and_saveexec_b64 s[0:1], s[10:11]
	s_cbranch_execz .LBB9_239
; %bb.212:
	v_mul_u32_u24_e32 v25, 0x104, v24
	ds_read_b32 v22, v20 offset:64
	ds_read_b32 v26, v25
	s_movk_i32 s16, 0xf0
	v_cmp_gt_u32_e64 s[16:17], s16, v4
	s_waitcnt lgkmcnt(0)
	v_fma_f32 v22, v22, v26, 0
	s_and_saveexec_b64 s[20:21], s[16:17]
	s_cbranch_execz .LBB9_214
; %bb.213:
	v_lshlrev_b32_e32 v26, 2, v24
	v_sub_u32_e32 v26, v25, v26
	v_lshl_add_u32 v26, v21, 2, v26
	ds_read_b32 v26, v26 offset:320
	ds_read_b32 v27, v25 offset:4
	s_waitcnt lgkmcnt(0)
	v_fmac_f32_e32 v22, v26, v27
.LBB9_214:
	s_or_b64 exec, exec, s[20:21]
	s_movk_i32 s16, 0xe0
	v_cmp_gt_u32_e64 s[16:17], s16, v4
	s_and_saveexec_b64 s[20:21], s[16:17]
	s_cbranch_execz .LBB9_216
; %bb.215:
	v_lshlrev_b32_e32 v26, 2, v24
	v_sub_u32_e32 v26, v25, v26
	v_lshl_add_u32 v26, v21, 2, v26
	ds_read_b32 v26, v26 offset:576
	ds_read_b32 v27, v25 offset:8
	s_waitcnt lgkmcnt(0)
	v_fmac_f32_e32 v22, v26, v27
.LBB9_216:
	s_or_b64 exec, exec, s[20:21]
	s_movk_i32 s16, 0xd0
	v_cmp_gt_u32_e64 s[16:17], s16, v4
	;; [unrolled: 14-line block ×7, first 2 shown]
	s_and_saveexec_b64 s[20:21], s[16:17]
	s_cbranch_execz .LBB9_228
; %bb.227:
	ds_read_b32 v26, v20 offset:2112
	ds_read_b32 v27, v25 offset:32
	s_waitcnt lgkmcnt(0)
	v_fmac_f32_e32 v22, v26, v27
.LBB9_228:
	s_or_b64 exec, exec, s[20:21]
	s_movk_i32 s16, 0x70
	v_cmp_gt_u32_e64 s[16:17], s16, v4
	s_and_saveexec_b64 s[20:21], s[16:17]
	s_cbranch_execz .LBB9_230
; %bb.229:
	v_lshlrev_b32_e32 v26, 2, v24
	v_sub_u32_e32 v26, v25, v26
	v_lshl_add_u32 v26, v21, 2, v26
	ds_read_b32 v26, v26 offset:2368
	ds_read_b32 v27, v25 offset:36
	s_waitcnt lgkmcnt(0)
	v_fmac_f32_e32 v22, v26, v27
.LBB9_230:
	s_or_b64 exec, exec, s[20:21]
	s_movk_i32 s16, 0x60
	v_cmp_gt_u32_e64 s[16:17], s16, v4
	s_and_saveexec_b64 s[20:21], s[16:17]
	s_cbranch_execz .LBB9_232
; %bb.231:
	v_lshlrev_b32_e32 v26, 2, v21
	v_lshl_add_u32 v26, v23, 2, v26
	ds_read_b32 v26, v26 offset:2624
	ds_read_b32 v27, v25 offset:40
	s_waitcnt lgkmcnt(0)
	v_fmac_f32_e32 v22, v26, v27
.LBB9_232:
	s_or_b64 exec, exec, s[20:21]
	s_movk_i32 s16, 0x50
	v_cmp_gt_u32_e64 s[16:17], s16, v4
	s_and_saveexec_b64 s[20:21], s[16:17]
	s_cbranch_execnz .LBB9_1180
; %bb.233:
	s_or_b64 exec, exec, s[20:21]
	v_cmp_gt_u32_e64 s[16:17], 64, v4
	s_and_saveexec_b64 s[20:21], s[16:17]
	s_cbranch_execnz .LBB9_1181
.LBB9_234:
	s_or_b64 exec, exec, s[20:21]
	v_cmp_gt_u32_e64 s[16:17], 48, v4
	s_and_saveexec_b64 s[20:21], s[16:17]
	s_cbranch_execnz .LBB9_1182
.LBB9_235:
	s_or_b64 exec, exec, s[20:21]
	v_cmp_gt_u32_e64 s[16:17], 32, v4
	s_and_saveexec_b64 s[20:21], s[16:17]
	s_cbranch_execnz .LBB9_1183
.LBB9_236:
	s_or_b64 exec, exec, s[20:21]
	v_cmp_gt_u32_e64 s[16:17], 16, v4
	s_and_saveexec_b64 s[20:21], s[16:17]
	s_cbranch_execz .LBB9_238
.LBB9_237:
	v_lshlrev_b32_e32 v25, 2, v0
	v_mov_b32_e32 v26, 0
	ds_read_b32 v25, v25 offset:3904
	ds_read_b32 v26, v26 offset:60
	s_waitcnt lgkmcnt(0)
	v_fmac_f32_e32 v22, v25, v26
.LBB9_238:
	s_or_b64 exec, exec, s[20:21]
	v_xor_b32_e32 v25, 0x80000000, v22
.LBB9_239:
	s_or_b64 exec, exec, s[0:1]
	v_mov_b32_e32 v22, 0x4000
	v_lshl_add_u32 v22, v24, 2, v22
	v_cmp_eq_u32_e64 s[16:17], 0, v21
	s_xor_b64 s[20:21], s[14:15], -1
	s_and_b64 s[14:15], s[16:17], s[20:21]
	s_mov_b64 s[0:1], exec
	v_writelane_b32 v33, s14, 3
	v_writelane_b32 v33, s15, 4
	s_and_b64 s[14:15], s[0:1], s[14:15]
	s_mov_b64 exec, s[14:15]
; %bb.240:
	ds_write_b32 v22, v25
; %bb.241:
	s_or_b64 exec, exec, s[0:1]
	v_cmp_ne_u32_e64 s[14:15], 0, v21
	s_waitcnt lgkmcnt(0)
	s_barrier
	s_and_b64 s[14:15], s[14:15], s[20:21]
	s_mov_b64 s[0:1], exec
	v_writelane_b32 v33, s14, 5
	v_writelane_b32 v33, s15, 6
	s_and_b64 s[14:15], s[0:1], s[14:15]
	s_mov_b64 exec, s[14:15]
	s_cbranch_execz .LBB9_243
; %bb.242:
	v_lshlrev_b32_e32 v26, 2, v21
	ds_read_b32 v26, v26 offset:4160
	ds_read_b32 v27, v22
	s_waitcnt lgkmcnt(0)
	v_fmac_f32_e32 v25, v26, v27
.LBB9_243:
	s_or_b64 exec, exec, s[0:1]
	v_cmp_eq_u32_e64 s[14:15], 1, v21
	s_barrier
	s_and_b64 s[14:15], s[14:15], s[20:21]
	s_mov_b64 s[0:1], exec
	v_writelane_b32 v33, s14, 7
	v_writelane_b32 v33, s15, 8
	s_and_b64 s[14:15], s[0:1], s[14:15]
	s_mov_b64 exec, s[14:15]
; %bb.244:
	ds_write_b32 v22, v25
; %bb.245:
	s_or_b64 exec, exec, s[0:1]
	v_cmp_lt_u32_e64 s[14:15], 1, v21
	s_waitcnt lgkmcnt(0)
	s_barrier
	s_and_b64 s[14:15], s[14:15], s[20:21]
	s_mov_b64 s[0:1], exec
	v_writelane_b32 v33, s14, 9
	v_writelane_b32 v33, s15, 10
	s_and_b64 s[14:15], s[0:1], s[14:15]
	s_mov_b64 exec, s[14:15]
	s_cbranch_execz .LBB9_247
; %bb.246:
	v_lshlrev_b32_e32 v26, 2, v21
	ds_read_b32 v26, v26 offset:4416
	ds_read_b32 v27, v22
	s_waitcnt lgkmcnt(0)
	v_fmac_f32_e32 v25, v26, v27
.LBB9_247:
	s_or_b64 exec, exec, s[0:1]
	v_cmp_eq_u32_e64 s[14:15], 2, v21
	s_barrier
	s_and_b64 s[14:15], s[14:15], s[20:21]
	s_mov_b64 s[0:1], exec
	v_writelane_b32 v33, s14, 11
	v_writelane_b32 v33, s15, 12
	s_and_b64 s[14:15], s[0:1], s[14:15]
	s_mov_b64 exec, s[14:15]
; %bb.248:
	ds_write_b32 v22, v25
; %bb.249:
	s_or_b64 exec, exec, s[0:1]
	v_cmp_lt_u32_e64 s[14:15], 2, v21
	;; [unrolled: 30-line block ×13, first 2 shown]
	s_waitcnt lgkmcnt(0)
	s_barrier
	s_and_b64 s[14:15], s[14:15], s[20:21]
	s_mov_b64 s[0:1], exec
	v_writelane_b32 v33, s14, 57
	v_writelane_b32 v33, s15, 58
	s_and_b64 s[14:15], s[0:1], s[14:15]
	s_mov_b64 exec, s[14:15]
	s_cbranch_execz .LBB9_295
; %bb.294:
	v_lshlrev_b32_e32 v26, 2, v21
	ds_read_b32 v26, v26 offset:7488
	ds_read_b32 v27, v22
	s_waitcnt lgkmcnt(0)
	v_fmac_f32_e32 v25, v26, v27
.LBB9_295:
	s_or_b64 exec, exec, s[0:1]
	v_cmp_eq_u32_e64 s[14:15], 14, v21
	s_barrier
	s_and_b64 s[14:15], s[14:15], s[20:21]
	s_mov_b64 s[0:1], exec
	v_writelane_b32 v33, s14, 59
	v_writelane_b32 v33, s15, 60
	s_and_b64 s[14:15], s[0:1], s[14:15]
	s_mov_b64 exec, s[14:15]
; %bb.296:
	ds_write_b32 v22, v25
; %bb.297:
	s_or_b64 exec, exec, s[0:1]
	v_cmp_eq_u32_e64 s[14:15], 15, v21
	s_and_b64 s[88:89], s[14:15], s[20:21]
	s_waitcnt lgkmcnt(0)
	s_barrier
	s_and_saveexec_b64 s[0:1], s[88:89]
	s_cbranch_execz .LBB9_299
; %bb.298:
	v_mov_b32_e32 v26, 0
	ds_read_b32 v26, v26 offset:7804
	ds_read_b32 v27, v22
	s_waitcnt lgkmcnt(0)
	v_fmac_f32_e32 v25, v26, v27
.LBB9_299:
	s_or_b64 exec, exec, s[0:1]
	s_barrier
	s_and_saveexec_b64 s[0:1], s[88:89]
; %bb.300:
	ds_write_b32 v22, v25
; %bb.301:
	s_or_b64 exec, exec, s[0:1]
	s_waitcnt lgkmcnt(0)
	s_barrier
	s_barrier
	s_and_saveexec_b64 s[0:1], s[10:11]
; %bb.302:
	v_xor_b32_e32 v25, 0x80000000, v25
	ds_write_b32 v20, v25 offset:64
; %bb.303:
	s_or_b64 exec, exec, s[0:1]
	v_cmp_gt_u32_e64 s[14:15], 16, v0
	s_waitcnt lgkmcnt(0)
	s_barrier
	s_barrier
	s_and_b64 s[0:1], s[12:13], s[14:15]
	s_mov_b64 s[14:15], exec
	v_writelane_b32 v33, s0, 61
	v_writelane_b32 v33, s1, 62
	s_and_b64 s[0:1], s[14:15], s[0:1]
	s_mov_b64 exec, s[0:1]
	s_cbranch_execz .LBB9_305
; %bb.304:
	v_lshlrev_b32_e32 v25, 8, v0
	ds_read_b32 v26, v25 offset:64
	s_movk_i32 s0, 0xff04
	v_mad_i32_i24 v27, v0, s0, v25
	s_waitcnt lgkmcnt(0)
	ds_write_b32 v27, v26 offset:4096
	ds_read_b32 v26, v25 offset:68
	s_waitcnt lgkmcnt(0)
	ds_write_b32 v27, v26 offset:4352
	ds_read_b32 v26, v25 offset:72
	;; [unrolled: 3-line block ×15, first 2 shown]
	s_waitcnt lgkmcnt(0)
	ds_write_b32 v27, v25 offset:7936
.LBB9_305:
	s_or_b64 exec, exec, s[14:15]
	s_waitcnt lgkmcnt(0)
	s_barrier
	s_and_saveexec_b64 s[14:15], vcc
	s_cbranch_execz .LBB9_307
; %bb.306:
	v_mov_b32_e32 v27, 0
	ds_read_b32 v25, v27 offset:4164
	v_mov_b32_e32 v26, 1.0
	ds_write_b32 v27, v26 offset:4160
	s_waitcnt lgkmcnt(1)
	ds_write_b64 v27, v[25:26] offset:4416
.LBB9_307:
	s_or_b64 exec, exec, s[14:15]
	v_mov_b32_e32 v25, 0
	s_waitcnt lgkmcnt(0)
	s_barrier
	s_and_saveexec_b64 s[16:17], s[2:3]
	s_cbranch_execz .LBB9_311
; %bb.308:
	v_mul_u32_u24_e32 v25, 0x104, v5
	ds_read_b32 v27, v2 offset:4168
	ds_read_b32 v25, v25 offset:4160
	v_mov_b32_e32 v26, 0
	v_cmp_gt_u32_e64 s[14:15], 2, v4
	s_waitcnt lgkmcnt(0)
	v_fma_f32 v25, v27, v25, 0
	s_and_saveexec_b64 s[0:1], s[14:15]
	s_cbranch_execz .LBB9_310
; %bb.309:
	v_lshlrev_b32_e32 v27, 2, v0
	ds_read_b32 v27, v27 offset:4424
	ds_read_b32 v26, v26 offset:4164
	s_waitcnt lgkmcnt(0)
	v_fmac_f32_e32 v25, v27, v26
.LBB9_310:
	s_or_b64 exec, exec, s[0:1]
	v_xor_b32_e32 v25, 0x80000000, v25
.LBB9_311:
	s_or_b64 exec, exec, s[16:17]
	s_and_saveexec_b64 s[0:1], s[30:31]
; %bb.312:
	ds_write_b32 v3, v25
; %bb.313:
	s_or_b64 exec, exec, s[0:1]
	s_waitcnt lgkmcnt(0)
	s_barrier
	s_and_saveexec_b64 s[0:1], s[28:29]
	s_cbranch_execz .LBB9_315
; %bb.314:
	v_mov_b32_e32 v26, 0
	ds_read_b32 v26, v26 offset:4684
	ds_read_b32 v27, v3
	s_waitcnt lgkmcnt(0)
	v_fmac_f32_e32 v25, v26, v27
.LBB9_315:
	s_or_b64 exec, exec, s[0:1]
	s_barrier
	s_and_saveexec_b64 s[0:1], s[28:29]
; %bb.316:
	ds_write_b32 v3, v25
; %bb.317:
	s_or_b64 exec, exec, s[0:1]
	s_waitcnt lgkmcnt(0)
	s_barrier
	s_barrier
	s_and_saveexec_b64 s[0:1], s[2:3]
; %bb.318:
	v_xor_b32_e32 v25, 0x80000000, v25
	ds_write_b32 v2, v25 offset:4168
; %bb.319:
	s_or_b64 exec, exec, s[0:1]
	s_waitcnt lgkmcnt(0)
	s_barrier
	s_barrier
	s_and_saveexec_b64 s[0:1], s[34:35]
	s_cbranch_execz .LBB9_321
; %bb.320:
	v_lshlrev_b32_e32 v25, 2, v0
	s_movk_i32 s14, 0xfc
	v_mad_u32_u24 v26, v0, s14, v25
	ds_read_b32 v27, v26 offset:4168
	s_waitcnt lgkmcnt(0)
	ds_write_b32 v25, v27 offset:4672
	ds_read_b32 v26, v26 offset:4172
	s_waitcnt lgkmcnt(0)
	ds_write_b32 v25, v26 offset:4928
.LBB9_321:
	s_or_b64 exec, exec, s[0:1]
	s_waitcnt lgkmcnt(0)
	s_barrier
	s_and_saveexec_b64 s[14:15], vcc
	s_cbranch_execz .LBB9_323
; %bb.322:
	v_mov_b32_e32 v27, 0
	ds_read_b32 v25, v27 offset:4684
	v_mov_b32_e32 v26, 1.0
	ds_write_b32 v27, v26 offset:4680
	s_waitcnt lgkmcnt(1)
	ds_write_b64 v27, v[25:26] offset:4936
.LBB9_323:
	s_or_b64 exec, exec, s[14:15]
	v_mov_b32_e32 v25, 0
	s_waitcnt lgkmcnt(0)
	s_barrier
	s_and_saveexec_b64 s[16:17], s[18:19]
	s_cbranch_execz .LBB9_329
; %bb.324:
	v_mul_u32_u24_e32 v26, 0x104, v14
	ds_read_b32 v25, v10 offset:4176
	ds_read_b32 v27, v26 offset:4160
	v_cmp_gt_u32_e64 s[14:15], 12, v4
	s_waitcnt lgkmcnt(0)
	v_fma_f32 v25, v25, v27, 0
	s_and_saveexec_b64 s[20:21], s[14:15]
	s_cbranch_execnz .LBB9_1184
; %bb.325:
	s_or_b64 exec, exec, s[20:21]
	v_cmp_gt_u32_e64 s[14:15], 8, v4
	s_and_saveexec_b64 s[0:1], s[14:15]
	s_cbranch_execnz .LBB9_1185
.LBB9_326:
	s_or_b64 exec, exec, s[0:1]
	v_cmp_gt_u32_e64 s[14:15], 4, v4
	s_and_saveexec_b64 s[20:21], s[14:15]
	s_cbranch_execz .LBB9_328
.LBB9_327:
	v_lshlrev_b32_e32 v26, 2, v0
	v_mov_b32_e32 v27, 0
	ds_read_b32 v26, v26 offset:4944
	ds_read_b32 v27, v27 offset:4172
	s_waitcnt lgkmcnt(0)
	v_fmac_f32_e32 v25, v26, v27
.LBB9_328:
	s_or_b64 exec, exec, s[20:21]
	v_xor_b32_e32 v25, 0x80000000, v25
.LBB9_329:
	s_or_b64 exec, exec, s[16:17]
	s_and_saveexec_b64 s[0:1], s[38:39]
; %bb.330:
	ds_write_b32 v12, v25
; %bb.331:
	s_or_b64 exec, exec, s[0:1]
	s_waitcnt lgkmcnt(0)
	s_barrier
	s_and_saveexec_b64 s[0:1], s[42:43]
	s_cbranch_execz .LBB9_333
; %bb.332:
	ds_read_b32 v26, v11 offset:5200
	ds_read_b32 v27, v12
	s_waitcnt lgkmcnt(0)
	v_fmac_f32_e32 v25, v26, v27
.LBB9_333:
	s_or_b64 exec, exec, s[0:1]
	s_barrier
	s_and_saveexec_b64 s[0:1], s[44:45]
; %bb.334:
	ds_write_b32 v12, v25
; %bb.335:
	s_or_b64 exec, exec, s[0:1]
	s_waitcnt lgkmcnt(0)
	s_barrier
	s_and_saveexec_b64 s[0:1], s[52:53]
	s_cbranch_execz .LBB9_337
; %bb.336:
	ds_read_b32 v26, v11 offset:5456
	ds_read_b32 v27, v12
	s_waitcnt lgkmcnt(0)
	v_fmac_f32_e32 v25, v26, v27
.LBB9_337:
	s_or_b64 exec, exec, s[0:1]
	s_barrier
	s_and_saveexec_b64 s[0:1], s[54:55]
; %bb.338:
	ds_write_b32 v12, v25
; %bb.339:
	s_or_b64 exec, exec, s[0:1]
	s_waitcnt lgkmcnt(0)
	s_barrier
	s_and_saveexec_b64 s[0:1], s[36:37]
	s_cbranch_execz .LBB9_341
; %bb.340:
	v_mov_b32_e32 v26, 0
	ds_read_b32 v26, v26 offset:5724
	ds_read_b32 v27, v12
	s_waitcnt lgkmcnt(0)
	v_fmac_f32_e32 v25, v26, v27
.LBB9_341:
	s_or_b64 exec, exec, s[0:1]
	s_barrier
	s_and_saveexec_b64 s[0:1], s[36:37]
; %bb.342:
	ds_write_b32 v12, v25
; %bb.343:
	s_or_b64 exec, exec, s[0:1]
	s_waitcnt lgkmcnt(0)
	s_barrier
	s_barrier
	s_and_saveexec_b64 s[0:1], s[18:19]
; %bb.344:
	v_xor_b32_e32 v25, 0x80000000, v25
	ds_write_b32 v10, v25 offset:4176
; %bb.345:
	s_or_b64 exec, exec, s[0:1]
	s_waitcnt lgkmcnt(0)
	s_barrier
	s_barrier
	s_and_saveexec_b64 s[14:15], s[56:57]
	s_cbranch_execz .LBB9_347
; %bb.346:
	v_lshlrev_b32_e32 v25, 8, v0
	ds_read_b32 v26, v25 offset:4176
	s_movk_i32 s0, 0xff04
	v_mad_i32_i24 v27, v0, s0, v25
	s_waitcnt lgkmcnt(0)
	ds_write_b32 v27, v26 offset:5184
	ds_read_b32 v26, v25 offset:4180
	s_waitcnt lgkmcnt(0)
	ds_write_b32 v27, v26 offset:5440
	ds_read_b32 v26, v25 offset:4184
	;; [unrolled: 3-line block ×3, first 2 shown]
	s_waitcnt lgkmcnt(0)
	ds_write_b32 v27, v25 offset:5952
.LBB9_347:
	s_or_b64 exec, exec, s[14:15]
	s_waitcnt lgkmcnt(0)
	s_barrier
	s_and_saveexec_b64 s[14:15], vcc
	s_cbranch_execz .LBB9_349
; %bb.348:
	v_mov_b32_e32 v27, 0
	ds_read_b32 v25, v27 offset:5204
	v_mov_b32_e32 v26, 1.0
	ds_write_b32 v27, v26 offset:5200
	s_waitcnt lgkmcnt(1)
	ds_write_b64 v27, v[25:26] offset:5456
.LBB9_349:
	s_or_b64 exec, exec, s[14:15]
	v_mov_b32_e32 v25, 0
	s_waitcnt lgkmcnt(0)
	s_barrier
	s_and_saveexec_b64 s[16:17], s[2:3]
	s_cbranch_execz .LBB9_353
; %bb.350:
	v_mul_u32_u24_e32 v25, 0x104, v5
	ds_read_b32 v27, v2 offset:5208
	ds_read_b32 v25, v25 offset:5200
	v_mov_b32_e32 v26, 0
	v_cmp_gt_u32_e64 s[14:15], 2, v4
	s_waitcnt lgkmcnt(0)
	v_fma_f32 v25, v27, v25, 0
	s_and_saveexec_b64 s[0:1], s[14:15]
	s_cbranch_execz .LBB9_352
; %bb.351:
	v_lshlrev_b32_e32 v27, 2, v0
	ds_read_b32 v27, v27 offset:5464
	ds_read_b32 v26, v26 offset:5204
	s_waitcnt lgkmcnt(0)
	v_fmac_f32_e32 v25, v27, v26
.LBB9_352:
	s_or_b64 exec, exec, s[0:1]
	v_xor_b32_e32 v25, 0x80000000, v25
.LBB9_353:
	s_or_b64 exec, exec, s[16:17]
	s_and_saveexec_b64 s[0:1], s[30:31]
; %bb.354:
	ds_write_b32 v3, v25
; %bb.355:
	s_or_b64 exec, exec, s[0:1]
	s_waitcnt lgkmcnt(0)
	s_barrier
	s_and_saveexec_b64 s[0:1], s[28:29]
	s_cbranch_execz .LBB9_357
; %bb.356:
	v_mov_b32_e32 v26, 0
	ds_read_b32 v26, v26 offset:5724
	ds_read_b32 v27, v3
	s_waitcnt lgkmcnt(0)
	v_fmac_f32_e32 v25, v26, v27
.LBB9_357:
	s_or_b64 exec, exec, s[0:1]
	s_barrier
	s_and_saveexec_b64 s[0:1], s[28:29]
; %bb.358:
	ds_write_b32 v3, v25
; %bb.359:
	s_or_b64 exec, exec, s[0:1]
	s_waitcnt lgkmcnt(0)
	s_barrier
	s_barrier
	s_and_saveexec_b64 s[0:1], s[2:3]
; %bb.360:
	v_xor_b32_e32 v25, 0x80000000, v25
	ds_write_b32 v2, v25 offset:5208
; %bb.361:
	s_or_b64 exec, exec, s[0:1]
	s_waitcnt lgkmcnt(0)
	s_barrier
	s_barrier
	s_and_saveexec_b64 s[0:1], s[34:35]
	s_cbranch_execz .LBB9_363
; %bb.362:
	v_lshlrev_b32_e32 v25, 2, v0
	s_movk_i32 s14, 0xfc
	v_mad_u32_u24 v26, v0, s14, v25
	ds_read_b32 v27, v26 offset:5208
	s_waitcnt lgkmcnt(0)
	ds_write_b32 v25, v27 offset:5712
	ds_read_b32 v26, v26 offset:5212
	s_waitcnt lgkmcnt(0)
	ds_write_b32 v25, v26 offset:5968
.LBB9_363:
	s_or_b64 exec, exec, s[0:1]
	s_waitcnt lgkmcnt(0)
	s_barrier
	s_and_saveexec_b64 s[14:15], vcc
	s_cbranch_execz .LBB9_365
; %bb.364:
	v_mov_b32_e32 v27, 0
	ds_read_b32 v25, v27 offset:5724
	v_mov_b32_e32 v26, 1.0
	ds_write_b32 v27, v26 offset:5720
	s_waitcnt lgkmcnt(1)
	ds_write_b64 v27, v[25:26] offset:5976
.LBB9_365:
	s_or_b64 exec, exec, s[14:15]
	v_mov_b32_e32 v25, 0
	s_waitcnt lgkmcnt(0)
	s_barrier
	s_and_saveexec_b64 s[16:17], s[8:9]
	s_cbranch_execz .LBB9_375
; %bb.366:
	v_mul_u32_u24_e32 v26, 0x104, v19
	ds_read_b32 v25, v15 offset:4192
	ds_read_b32 v27, v26 offset:4160
	v_cmp_gt_u32_e64 s[14:15], 56, v4
	s_waitcnt lgkmcnt(0)
	v_fma_f32 v25, v25, v27, 0
	s_and_saveexec_b64 s[20:21], s[14:15]
	s_cbranch_execnz .LBB9_1186
; %bb.367:
	s_or_b64 exec, exec, s[20:21]
	v_cmp_gt_u32_e64 s[14:15], 48, v4
	s_and_saveexec_b64 s[20:21], s[14:15]
	s_cbranch_execnz .LBB9_1187
.LBB9_368:
	s_or_b64 exec, exec, s[20:21]
	v_cmp_gt_u32_e64 s[14:15], 40, v4
	s_and_saveexec_b64 s[20:21], s[14:15]
	s_cbranch_execnz .LBB9_1188
.LBB9_369:
	s_or_b64 exec, exec, s[20:21]
	v_cmp_gt_u32_e64 s[14:15], 32, v4
	s_and_saveexec_b64 s[0:1], s[14:15]
	s_cbranch_execnz .LBB9_1189
.LBB9_370:
	s_or_b64 exec, exec, s[0:1]
	v_cmp_gt_u32_e64 s[14:15], 24, v4
	s_and_saveexec_b64 s[20:21], s[14:15]
	s_cbranch_execnz .LBB9_1190
.LBB9_371:
	s_or_b64 exec, exec, s[20:21]
	v_cmp_gt_u32_e64 s[14:15], 16, v4
	s_and_saveexec_b64 s[0:1], s[14:15]
	s_cbranch_execnz .LBB9_1191
.LBB9_372:
	s_or_b64 exec, exec, s[0:1]
	v_cmp_gt_u32_e64 s[14:15], 8, v4
	s_and_saveexec_b64 s[20:21], s[14:15]
	s_cbranch_execz .LBB9_374
.LBB9_373:
	v_lshlrev_b32_e32 v26, 2, v0
	v_mov_b32_e32 v27, 0
	ds_read_b32 v26, v26 offset:5984
	ds_read_b32 v27, v27 offset:4188
	s_waitcnt lgkmcnt(0)
	v_fmac_f32_e32 v25, v26, v27
.LBB9_374:
	s_or_b64 exec, exec, s[20:21]
	v_xor_b32_e32 v25, 0x80000000, v25
.LBB9_375:
	s_or_b64 exec, exec, s[16:17]
	s_and_saveexec_b64 s[0:1], s[58:59]
; %bb.376:
	ds_write_b32 v17, v25
; %bb.377:
	s_or_b64 exec, exec, s[0:1]
	s_waitcnt lgkmcnt(0)
	s_barrier
	s_and_saveexec_b64 s[0:1], s[60:61]
	s_cbranch_execz .LBB9_379
; %bb.378:
	ds_read_b32 v26, v16 offset:6240
	ds_read_b32 v27, v17
	s_waitcnt lgkmcnt(0)
	v_fmac_f32_e32 v25, v26, v27
.LBB9_379:
	s_or_b64 exec, exec, s[0:1]
	s_barrier
	s_and_saveexec_b64 s[0:1], s[62:63]
; %bb.380:
	ds_write_b32 v17, v25
; %bb.381:
	s_or_b64 exec, exec, s[0:1]
	s_waitcnt lgkmcnt(0)
	s_barrier
	s_and_saveexec_b64 s[0:1], s[64:65]
	s_cbranch_execz .LBB9_383
; %bb.382:
	ds_read_b32 v26, v16 offset:6496
	ds_read_b32 v27, v17
	s_waitcnt lgkmcnt(0)
	v_fmac_f32_e32 v25, v26, v27
.LBB9_383:
	s_or_b64 exec, exec, s[0:1]
	s_barrier
	;; [unrolled: 17-line block ×6, first 2 shown]
	s_and_saveexec_b64 s[0:1], s[84:85]
; %bb.400:
	ds_write_b32 v17, v25
; %bb.401:
	s_or_b64 exec, exec, s[0:1]
	s_waitcnt lgkmcnt(0)
	s_barrier
	s_and_saveexec_b64 s[0:1], s[66:67]
	s_cbranch_execz .LBB9_403
; %bb.402:
	v_mov_b32_e32 v26, 0
	ds_read_b32 v26, v26 offset:7804
	ds_read_b32 v27, v17
	s_waitcnt lgkmcnt(0)
	v_fmac_f32_e32 v25, v26, v27
.LBB9_403:
	s_or_b64 exec, exec, s[0:1]
	s_barrier
	s_and_saveexec_b64 s[0:1], s[66:67]
; %bb.404:
	ds_write_b32 v17, v25
; %bb.405:
	s_or_b64 exec, exec, s[0:1]
	s_waitcnt lgkmcnt(0)
	s_barrier
	s_barrier
	s_and_saveexec_b64 s[0:1], s[8:9]
; %bb.406:
	v_xor_b32_e32 v25, 0x80000000, v25
	ds_write_b32 v15, v25 offset:4192
; %bb.407:
	s_or_b64 exec, exec, s[0:1]
	s_waitcnt lgkmcnt(0)
	s_barrier
	s_barrier
	s_and_saveexec_b64 s[14:15], s[86:87]
	s_cbranch_execz .LBB9_409
; %bb.408:
	v_lshlrev_b32_e32 v25, 8, v0
	ds_read_b32 v26, v25 offset:4192
	s_movk_i32 s0, 0xff04
	v_mad_i32_i24 v27, v0, s0, v25
	s_waitcnt lgkmcnt(0)
	ds_write_b32 v27, v26 offset:6208
	ds_read_b32 v26, v25 offset:4196
	s_waitcnt lgkmcnt(0)
	ds_write_b32 v27, v26 offset:6464
	ds_read_b32 v26, v25 offset:4200
	;; [unrolled: 3-line block ×7, first 2 shown]
	s_waitcnt lgkmcnt(0)
	ds_write_b32 v27, v25 offset:8000
.LBB9_409:
	s_or_b64 exec, exec, s[14:15]
	s_waitcnt lgkmcnt(0)
	s_barrier
	s_and_saveexec_b64 s[14:15], vcc
	s_cbranch_execz .LBB9_411
; %bb.410:
	v_mov_b32_e32 v27, 0
	ds_read_b32 v25, v27 offset:6244
	v_mov_b32_e32 v26, 1.0
	ds_write_b32 v27, v26 offset:6240
	s_waitcnt lgkmcnt(1)
	ds_write_b64 v27, v[25:26] offset:6496
.LBB9_411:
	s_or_b64 exec, exec, s[14:15]
	v_mov_b32_e32 v25, 0
	s_waitcnt lgkmcnt(0)
	s_barrier
	s_and_saveexec_b64 s[16:17], s[2:3]
	s_cbranch_execz .LBB9_415
; %bb.412:
	v_mul_u32_u24_e32 v25, 0x104, v5
	ds_read_b32 v27, v2 offset:6248
	ds_read_b32 v25, v25 offset:6240
	v_mov_b32_e32 v26, 0
	v_cmp_gt_u32_e64 s[14:15], 2, v4
	s_waitcnt lgkmcnt(0)
	v_fma_f32 v25, v27, v25, 0
	s_and_saveexec_b64 s[0:1], s[14:15]
	s_cbranch_execz .LBB9_414
; %bb.413:
	v_lshlrev_b32_e32 v27, 2, v0
	ds_read_b32 v27, v27 offset:6504
	ds_read_b32 v26, v26 offset:6244
	s_waitcnt lgkmcnt(0)
	v_fmac_f32_e32 v25, v27, v26
.LBB9_414:
	s_or_b64 exec, exec, s[0:1]
	v_xor_b32_e32 v25, 0x80000000, v25
.LBB9_415:
	s_or_b64 exec, exec, s[16:17]
	s_and_saveexec_b64 s[0:1], s[30:31]
; %bb.416:
	ds_write_b32 v3, v25
; %bb.417:
	s_or_b64 exec, exec, s[0:1]
	s_waitcnt lgkmcnt(0)
	s_barrier
	s_and_saveexec_b64 s[0:1], s[28:29]
	s_cbranch_execz .LBB9_419
; %bb.418:
	v_mov_b32_e32 v26, 0
	ds_read_b32 v26, v26 offset:6764
	ds_read_b32 v27, v3
	s_waitcnt lgkmcnt(0)
	v_fmac_f32_e32 v25, v26, v27
.LBB9_419:
	s_or_b64 exec, exec, s[0:1]
	s_barrier
	s_and_saveexec_b64 s[0:1], s[28:29]
; %bb.420:
	ds_write_b32 v3, v25
; %bb.421:
	s_or_b64 exec, exec, s[0:1]
	s_waitcnt lgkmcnt(0)
	s_barrier
	s_barrier
	s_and_saveexec_b64 s[0:1], s[2:3]
; %bb.422:
	v_xor_b32_e32 v25, 0x80000000, v25
	ds_write_b32 v2, v25 offset:6248
; %bb.423:
	s_or_b64 exec, exec, s[0:1]
	s_waitcnt lgkmcnt(0)
	s_barrier
	s_barrier
	s_and_saveexec_b64 s[0:1], s[34:35]
	s_cbranch_execz .LBB9_425
; %bb.424:
	v_lshlrev_b32_e32 v25, 2, v0
	s_movk_i32 s14, 0xfc
	v_mad_u32_u24 v26, v0, s14, v25
	ds_read_b32 v27, v26 offset:6248
	s_waitcnt lgkmcnt(0)
	ds_write_b32 v25, v27 offset:6752
	ds_read_b32 v26, v26 offset:6252
	s_waitcnt lgkmcnt(0)
	ds_write_b32 v25, v26 offset:7008
.LBB9_425:
	s_or_b64 exec, exec, s[0:1]
	s_waitcnt lgkmcnt(0)
	s_barrier
	s_and_saveexec_b64 s[14:15], vcc
	s_cbranch_execz .LBB9_427
; %bb.426:
	v_mov_b32_e32 v27, 0
	ds_read_b32 v25, v27 offset:6764
	v_mov_b32_e32 v26, 1.0
	ds_write_b32 v27, v26 offset:6760
	s_waitcnt lgkmcnt(1)
	ds_write_b64 v27, v[25:26] offset:7016
.LBB9_427:
	s_or_b64 exec, exec, s[14:15]
	v_mov_b32_e32 v25, 0
	s_waitcnt lgkmcnt(0)
	s_barrier
	s_and_saveexec_b64 s[16:17], s[18:19]
	s_cbranch_execz .LBB9_433
; %bb.428:
	v_mul_u32_u24_e32 v26, 0x104, v14
	ds_read_b32 v25, v10 offset:6256
	ds_read_b32 v27, v26 offset:6240
	v_cmp_gt_u32_e64 s[14:15], 12, v4
	s_waitcnt lgkmcnt(0)
	v_fma_f32 v25, v25, v27, 0
	s_and_saveexec_b64 s[20:21], s[14:15]
	s_cbranch_execnz .LBB9_1192
; %bb.429:
	s_or_b64 exec, exec, s[20:21]
	v_cmp_gt_u32_e64 s[14:15], 8, v4
	s_and_saveexec_b64 s[0:1], s[14:15]
	s_cbranch_execnz .LBB9_1193
.LBB9_430:
	s_or_b64 exec, exec, s[0:1]
	v_cmp_gt_u32_e64 s[14:15], 4, v4
	s_and_saveexec_b64 s[20:21], s[14:15]
	s_cbranch_execz .LBB9_432
.LBB9_431:
	v_lshlrev_b32_e32 v26, 2, v0
	v_mov_b32_e32 v27, 0
	ds_read_b32 v26, v26 offset:7024
	ds_read_b32 v27, v27 offset:6252
	s_waitcnt lgkmcnt(0)
	v_fmac_f32_e32 v25, v26, v27
.LBB9_432:
	s_or_b64 exec, exec, s[20:21]
	v_xor_b32_e32 v25, 0x80000000, v25
.LBB9_433:
	s_or_b64 exec, exec, s[16:17]
	s_and_saveexec_b64 s[0:1], s[38:39]
; %bb.434:
	ds_write_b32 v12, v25
; %bb.435:
	s_or_b64 exec, exec, s[0:1]
	s_waitcnt lgkmcnt(0)
	s_barrier
	s_and_saveexec_b64 s[0:1], s[42:43]
	s_cbranch_execz .LBB9_437
; %bb.436:
	ds_read_b32 v26, v11 offset:7280
	ds_read_b32 v27, v12
	s_waitcnt lgkmcnt(0)
	v_fmac_f32_e32 v25, v26, v27
.LBB9_437:
	s_or_b64 exec, exec, s[0:1]
	s_barrier
	s_and_saveexec_b64 s[0:1], s[44:45]
; %bb.438:
	ds_write_b32 v12, v25
; %bb.439:
	s_or_b64 exec, exec, s[0:1]
	s_waitcnt lgkmcnt(0)
	s_barrier
	s_and_saveexec_b64 s[0:1], s[52:53]
	s_cbranch_execz .LBB9_441
; %bb.440:
	ds_read_b32 v26, v11 offset:7536
	ds_read_b32 v27, v12
	s_waitcnt lgkmcnt(0)
	v_fmac_f32_e32 v25, v26, v27
.LBB9_441:
	s_or_b64 exec, exec, s[0:1]
	s_barrier
	s_and_saveexec_b64 s[0:1], s[54:55]
; %bb.442:
	ds_write_b32 v12, v25
; %bb.443:
	s_or_b64 exec, exec, s[0:1]
	s_waitcnt lgkmcnt(0)
	s_barrier
	s_and_saveexec_b64 s[0:1], s[36:37]
	s_cbranch_execz .LBB9_445
; %bb.444:
	v_mov_b32_e32 v26, 0
	ds_read_b32 v26, v26 offset:7804
	ds_read_b32 v27, v12
	s_waitcnt lgkmcnt(0)
	v_fmac_f32_e32 v25, v26, v27
.LBB9_445:
	s_or_b64 exec, exec, s[0:1]
	s_barrier
	s_and_saveexec_b64 s[0:1], s[36:37]
; %bb.446:
	ds_write_b32 v12, v25
; %bb.447:
	s_or_b64 exec, exec, s[0:1]
	s_waitcnt lgkmcnt(0)
	s_barrier
	s_barrier
	s_and_saveexec_b64 s[0:1], s[18:19]
; %bb.448:
	v_xor_b32_e32 v25, 0x80000000, v25
	ds_write_b32 v10, v25 offset:6256
; %bb.449:
	s_or_b64 exec, exec, s[0:1]
	s_waitcnt lgkmcnt(0)
	s_barrier
	s_barrier
	s_and_saveexec_b64 s[14:15], s[56:57]
	s_cbranch_execz .LBB9_451
; %bb.450:
	v_lshlrev_b32_e32 v25, 8, v0
	ds_read_b32 v26, v25 offset:6256
	s_movk_i32 s0, 0xff04
	v_mad_i32_i24 v27, v0, s0, v25
	s_waitcnt lgkmcnt(0)
	ds_write_b32 v27, v26 offset:7264
	ds_read_b32 v26, v25 offset:6260
	s_waitcnt lgkmcnt(0)
	ds_write_b32 v27, v26 offset:7520
	ds_read_b32 v26, v25 offset:6264
	;; [unrolled: 3-line block ×3, first 2 shown]
	s_waitcnt lgkmcnt(0)
	ds_write_b32 v27, v25 offset:8032
.LBB9_451:
	s_or_b64 exec, exec, s[14:15]
	s_waitcnt lgkmcnt(0)
	s_barrier
	s_and_saveexec_b64 s[14:15], vcc
	s_cbranch_execz .LBB9_453
; %bb.452:
	v_mov_b32_e32 v27, 0
	ds_read_b32 v25, v27 offset:7284
	v_mov_b32_e32 v26, 1.0
	ds_write_b32 v27, v26 offset:7280
	s_waitcnt lgkmcnt(1)
	ds_write_b64 v27, v[25:26] offset:7536
.LBB9_453:
	s_or_b64 exec, exec, s[14:15]
	v_mov_b32_e32 v25, 0
	s_waitcnt lgkmcnt(0)
	s_barrier
	s_and_saveexec_b64 s[16:17], s[2:3]
	s_cbranch_execz .LBB9_457
; %bb.454:
	v_mul_u32_u24_e32 v25, 0x104, v5
	ds_read_b32 v27, v2 offset:7288
	ds_read_b32 v25, v25 offset:7280
	v_mov_b32_e32 v26, 0
	v_cmp_gt_u32_e64 s[14:15], 2, v4
	s_waitcnt lgkmcnt(0)
	v_fma_f32 v25, v27, v25, 0
	s_and_saveexec_b64 s[0:1], s[14:15]
	s_cbranch_execz .LBB9_456
; %bb.455:
	v_lshlrev_b32_e32 v27, 2, v0
	ds_read_b32 v27, v27 offset:7544
	ds_read_b32 v26, v26 offset:7284
	s_waitcnt lgkmcnt(0)
	v_fmac_f32_e32 v25, v27, v26
.LBB9_456:
	s_or_b64 exec, exec, s[0:1]
	v_xor_b32_e32 v25, 0x80000000, v25
.LBB9_457:
	s_or_b64 exec, exec, s[16:17]
	s_and_saveexec_b64 s[0:1], s[30:31]
; %bb.458:
	ds_write_b32 v3, v25
; %bb.459:
	s_or_b64 exec, exec, s[0:1]
	s_waitcnt lgkmcnt(0)
	s_barrier
	s_and_saveexec_b64 s[0:1], s[28:29]
	s_cbranch_execz .LBB9_461
; %bb.460:
	v_mov_b32_e32 v26, 0
	ds_read_b32 v26, v26 offset:7804
	ds_read_b32 v27, v3
	s_waitcnt lgkmcnt(0)
	v_fmac_f32_e32 v25, v26, v27
.LBB9_461:
	s_or_b64 exec, exec, s[0:1]
	s_barrier
	s_and_saveexec_b64 s[0:1], s[28:29]
; %bb.462:
	ds_write_b32 v3, v25
; %bb.463:
	s_or_b64 exec, exec, s[0:1]
	s_waitcnt lgkmcnt(0)
	s_barrier
	s_barrier
	s_and_saveexec_b64 s[0:1], s[2:3]
; %bb.464:
	v_xor_b32_e32 v25, 0x80000000, v25
	ds_write_b32 v2, v25 offset:7288
; %bb.465:
	s_or_b64 exec, exec, s[0:1]
	s_waitcnt lgkmcnt(0)
	s_barrier
	s_barrier
	s_and_saveexec_b64 s[0:1], s[34:35]
	s_cbranch_execz .LBB9_467
; %bb.466:
	v_lshlrev_b32_e32 v25, 2, v0
	s_movk_i32 s14, 0xfc
	v_mad_u32_u24 v26, v0, s14, v25
	ds_read_b32 v27, v26 offset:7288
	s_waitcnt lgkmcnt(0)
	ds_write_b32 v25, v27 offset:7792
	ds_read_b32 v26, v26 offset:7292
	s_waitcnt lgkmcnt(0)
	ds_write_b32 v25, v26 offset:8048
.LBB9_467:
	s_or_b64 exec, exec, s[0:1]
	s_waitcnt lgkmcnt(0)
	s_barrier
	s_and_saveexec_b64 s[14:15], vcc
	s_cbranch_execz .LBB9_469
; %bb.468:
	v_mov_b32_e32 v27, 0
	ds_read_b32 v25, v27 offset:7804
	v_mov_b32_e32 v26, 1.0
	ds_write_b32 v27, v26 offset:7800
	s_waitcnt lgkmcnt(1)
	ds_write_b64 v27, v[25:26] offset:8056
.LBB9_469:
	s_or_b64 exec, exec, s[14:15]
	v_and_b32_e32 v26, 31, v0
	s_movk_i32 s0, 0x3ff
	v_lshrrev_b32_e32 v29, 5, v4
	v_cmp_lt_u32_e64 s[16:17], s0, v4
	s_movk_i32 s0, 0x400
	v_lshlrev_b32_e32 v27, 2, v26
	v_cmp_gt_u32_e64 s[14:15], s0, v4
	v_lshl_or_b32 v25, v29, 8, v27
	v_mov_b32_e32 v28, 0
	s_waitcnt lgkmcnt(0)
	s_barrier
	s_and_saveexec_b64 s[94:95], s[14:15]
	s_cbranch_execz .LBB9_531
; %bb.470:
	v_mul_u32_u24_e32 v30, 0x104, v29
	ds_read_b32 v28, v25 offset:128
	ds_read_b32 v31, v30
	s_movk_i32 s0, 0x3e0
	v_cmp_gt_u32_e64 s[20:21], s0, v4
	s_waitcnt lgkmcnt(0)
	v_fma_f32 v28, v28, v31, 0
	s_and_saveexec_b64 s[0:1], s[20:21]
	s_cbranch_execz .LBB9_472
; %bb.471:
	ds_read_b32 v31, v25 offset:384
	ds_read_b32 v32, v30 offset:4
	s_waitcnt lgkmcnt(0)
	v_fmac_f32_e32 v28, v31, v32
.LBB9_472:
	s_or_b64 exec, exec, s[0:1]
	s_movk_i32 s0, 0x3c0
	v_cmp_gt_u32_e64 s[20:21], s0, v4
	s_and_saveexec_b64 s[0:1], s[20:21]
	s_cbranch_execz .LBB9_474
; %bb.473:
	ds_read_b32 v31, v25 offset:640
	ds_read_b32 v32, v30 offset:8
	s_waitcnt lgkmcnt(0)
	v_fmac_f32_e32 v28, v31, v32
.LBB9_474:
	s_or_b64 exec, exec, s[0:1]
	s_movk_i32 s0, 0x3a0
	v_cmp_gt_u32_e64 s[20:21], s0, v4
	s_and_saveexec_b64 s[0:1], s[20:21]
	s_cbranch_execz .LBB9_476
; %bb.475:
	ds_read_b32 v31, v25 offset:896
	ds_read_b32 v32, v30 offset:12
	s_waitcnt lgkmcnt(0)
	v_fmac_f32_e32 v28, v31, v32
.LBB9_476:
	s_or_b64 exec, exec, s[0:1]
	s_movk_i32 s0, 0x380
	v_cmp_gt_u32_e64 s[20:21], s0, v4
	s_and_saveexec_b64 s[0:1], s[20:21]
	s_cbranch_execz .LBB9_478
; %bb.477:
	ds_read_b32 v31, v25 offset:1152
	ds_read_b32 v32, v30 offset:16
	s_waitcnt lgkmcnt(0)
	v_fmac_f32_e32 v28, v31, v32
.LBB9_478:
	s_or_b64 exec, exec, s[0:1]
	s_movk_i32 s0, 0x360
	v_cmp_gt_u32_e64 s[20:21], s0, v4
	s_and_saveexec_b64 s[0:1], s[20:21]
	s_cbranch_execz .LBB9_480
; %bb.479:
	ds_read_b32 v31, v25 offset:1408
	ds_read_b32 v32, v30 offset:20
	s_waitcnt lgkmcnt(0)
	v_fmac_f32_e32 v28, v31, v32
.LBB9_480:
	s_or_b64 exec, exec, s[0:1]
	s_movk_i32 s0, 0x340
	v_cmp_gt_u32_e64 s[20:21], s0, v4
	s_and_saveexec_b64 s[0:1], s[20:21]
	s_cbranch_execz .LBB9_482
; %bb.481:
	ds_read_b32 v31, v25 offset:1664
	ds_read_b32 v32, v30 offset:24
	s_waitcnt lgkmcnt(0)
	v_fmac_f32_e32 v28, v31, v32
.LBB9_482:
	s_or_b64 exec, exec, s[0:1]
	s_movk_i32 s0, 0x320
	v_cmp_gt_u32_e64 s[20:21], s0, v4
	s_and_saveexec_b64 s[0:1], s[20:21]
	s_cbranch_execz .LBB9_484
; %bb.483:
	ds_read_b32 v31, v25 offset:1920
	ds_read_b32 v32, v30 offset:28
	s_waitcnt lgkmcnt(0)
	v_fmac_f32_e32 v28, v31, v32
.LBB9_484:
	s_or_b64 exec, exec, s[0:1]
	s_movk_i32 s0, 0x300
	v_cmp_gt_u32_e64 s[20:21], s0, v4
	s_and_saveexec_b64 s[0:1], s[20:21]
	s_cbranch_execz .LBB9_486
; %bb.485:
	ds_read_b32 v31, v25 offset:2176
	ds_read_b32 v32, v30 offset:32
	s_waitcnt lgkmcnt(0)
	v_fmac_f32_e32 v28, v31, v32
.LBB9_486:
	s_or_b64 exec, exec, s[0:1]
	s_movk_i32 s0, 0x2e0
	v_cmp_gt_u32_e64 s[20:21], s0, v4
	s_and_saveexec_b64 s[0:1], s[20:21]
	s_cbranch_execz .LBB9_488
; %bb.487:
	ds_read_b32 v31, v25 offset:2432
	ds_read_b32 v32, v30 offset:36
	s_waitcnt lgkmcnt(0)
	v_fmac_f32_e32 v28, v31, v32
.LBB9_488:
	s_or_b64 exec, exec, s[0:1]
	s_movk_i32 s0, 0x2c0
	v_cmp_gt_u32_e64 s[20:21], s0, v4
	s_and_saveexec_b64 s[0:1], s[20:21]
	s_cbranch_execz .LBB9_490
; %bb.489:
	ds_read_b32 v31, v25 offset:2688
	ds_read_b32 v32, v30 offset:40
	s_waitcnt lgkmcnt(0)
	v_fmac_f32_e32 v28, v31, v32
.LBB9_490:
	s_or_b64 exec, exec, s[0:1]
	s_movk_i32 s0, 0x2a0
	v_cmp_gt_u32_e64 s[20:21], s0, v4
	s_and_saveexec_b64 s[0:1], s[20:21]
	s_cbranch_execz .LBB9_492
; %bb.491:
	ds_read_b32 v31, v25 offset:2944
	ds_read_b32 v32, v30 offset:44
	s_waitcnt lgkmcnt(0)
	v_fmac_f32_e32 v28, v31, v32
.LBB9_492:
	s_or_b64 exec, exec, s[0:1]
	s_movk_i32 s0, 0x280
	v_cmp_gt_u32_e64 s[20:21], s0, v4
	s_and_saveexec_b64 s[0:1], s[20:21]
	s_cbranch_execz .LBB9_494
; %bb.493:
	ds_read_b32 v31, v25 offset:3200
	ds_read_b32 v32, v30 offset:48
	s_waitcnt lgkmcnt(0)
	v_fmac_f32_e32 v28, v31, v32
.LBB9_494:
	s_or_b64 exec, exec, s[0:1]
	s_movk_i32 s0, 0x260
	v_cmp_gt_u32_e64 s[20:21], s0, v4
	s_and_saveexec_b64 s[0:1], s[20:21]
	s_cbranch_execz .LBB9_496
; %bb.495:
	ds_read_b32 v31, v25 offset:3456
	ds_read_b32 v32, v30 offset:52
	s_waitcnt lgkmcnt(0)
	v_fmac_f32_e32 v28, v31, v32
.LBB9_496:
	s_or_b64 exec, exec, s[0:1]
	s_movk_i32 s0, 0x240
	v_cmp_gt_u32_e64 s[20:21], s0, v4
	s_and_saveexec_b64 s[0:1], s[20:21]
	s_cbranch_execz .LBB9_498
; %bb.497:
	ds_read_b32 v31, v25 offset:3712
	ds_read_b32 v32, v30 offset:56
	s_waitcnt lgkmcnt(0)
	v_fmac_f32_e32 v28, v31, v32
.LBB9_498:
	s_or_b64 exec, exec, s[0:1]
	s_movk_i32 s0, 0x220
	v_cmp_gt_u32_e64 s[20:21], s0, v4
	s_and_saveexec_b64 s[0:1], s[20:21]
	s_cbranch_execz .LBB9_500
; %bb.499:
	ds_read_b32 v31, v25 offset:3968
	ds_read_b32 v32, v30 offset:60
	s_waitcnt lgkmcnt(0)
	v_fmac_f32_e32 v28, v31, v32
.LBB9_500:
	s_or_b64 exec, exec, s[0:1]
	s_movk_i32 s0, 0x200
	v_cmp_gt_u32_e64 s[20:21], s0, v4
	s_and_saveexec_b64 s[0:1], s[20:21]
	s_cbranch_execz .LBB9_502
; %bb.501:
	ds_read_b32 v31, v25 offset:4224
	ds_read_b32 v32, v30 offset:64
	s_waitcnt lgkmcnt(0)
	v_fmac_f32_e32 v28, v31, v32
.LBB9_502:
	s_or_b64 exec, exec, s[0:1]
	s_movk_i32 s0, 0x1e0
	v_cmp_gt_u32_e64 s[20:21], s0, v4
	s_and_saveexec_b64 s[0:1], s[20:21]
	s_cbranch_execz .LBB9_504
; %bb.503:
	ds_read_b32 v31, v25 offset:4480
	ds_read_b32 v32, v30 offset:68
	s_waitcnt lgkmcnt(0)
	v_fmac_f32_e32 v28, v31, v32
.LBB9_504:
	s_or_b64 exec, exec, s[0:1]
	s_movk_i32 s0, 0x1c0
	v_cmp_gt_u32_e64 s[20:21], s0, v4
	s_and_saveexec_b64 s[0:1], s[20:21]
	s_cbranch_execz .LBB9_506
; %bb.505:
	ds_read_b32 v31, v25 offset:4736
	ds_read_b32 v32, v30 offset:72
	s_waitcnt lgkmcnt(0)
	v_fmac_f32_e32 v28, v31, v32
.LBB9_506:
	s_or_b64 exec, exec, s[0:1]
	s_movk_i32 s0, 0x1a0
	v_cmp_gt_u32_e64 s[20:21], s0, v4
	s_and_saveexec_b64 s[0:1], s[20:21]
	s_cbranch_execz .LBB9_508
; %bb.507:
	ds_read_b32 v31, v25 offset:4992
	ds_read_b32 v32, v30 offset:76
	s_waitcnt lgkmcnt(0)
	v_fmac_f32_e32 v28, v31, v32
.LBB9_508:
	s_or_b64 exec, exec, s[0:1]
	s_movk_i32 s0, 0x180
	v_cmp_gt_u32_e64 s[20:21], s0, v4
	s_and_saveexec_b64 s[0:1], s[20:21]
	s_cbranch_execz .LBB9_510
; %bb.509:
	ds_read_b32 v31, v25 offset:5248
	ds_read_b32 v32, v30 offset:80
	s_waitcnt lgkmcnt(0)
	v_fmac_f32_e32 v28, v31, v32
.LBB9_510:
	s_or_b64 exec, exec, s[0:1]
	s_movk_i32 s0, 0x160
	v_cmp_gt_u32_e64 s[20:21], s0, v4
	s_and_saveexec_b64 s[0:1], s[20:21]
	s_cbranch_execz .LBB9_512
; %bb.511:
	ds_read_b32 v31, v25 offset:5504
	ds_read_b32 v32, v30 offset:84
	s_waitcnt lgkmcnt(0)
	v_fmac_f32_e32 v28, v31, v32
.LBB9_512:
	s_or_b64 exec, exec, s[0:1]
	s_movk_i32 s0, 0x140
	v_cmp_gt_u32_e64 s[20:21], s0, v4
	s_and_saveexec_b64 s[0:1], s[20:21]
	s_cbranch_execz .LBB9_514
; %bb.513:
	ds_read_b32 v31, v25 offset:5760
	ds_read_b32 v32, v30 offset:88
	s_waitcnt lgkmcnt(0)
	v_fmac_f32_e32 v28, v31, v32
.LBB9_514:
	s_or_b64 exec, exec, s[0:1]
	s_movk_i32 s0, 0x120
	v_cmp_gt_u32_e64 s[20:21], s0, v4
	s_and_saveexec_b64 s[0:1], s[20:21]
	s_cbranch_execz .LBB9_516
; %bb.515:
	ds_read_b32 v31, v25 offset:6016
	ds_read_b32 v32, v30 offset:92
	s_waitcnt lgkmcnt(0)
	v_fmac_f32_e32 v28, v31, v32
.LBB9_516:
	s_or_b64 exec, exec, s[0:1]
	s_movk_i32 s0, 0x100
	v_cmp_gt_u32_e64 s[20:21], s0, v4
	s_and_saveexec_b64 s[0:1], s[20:21]
	s_cbranch_execz .LBB9_518
; %bb.517:
	ds_read_b32 v31, v25 offset:6272
	ds_read_b32 v32, v30 offset:96
	s_waitcnt lgkmcnt(0)
	v_fmac_f32_e32 v28, v31, v32
.LBB9_518:
	s_or_b64 exec, exec, s[0:1]
	s_movk_i32 s0, 0xe0
	v_cmp_gt_u32_e64 s[20:21], s0, v4
	s_and_saveexec_b64 s[0:1], s[20:21]
	s_cbranch_execz .LBB9_520
; %bb.519:
	ds_read_b32 v31, v25 offset:6528
	ds_read_b32 v32, v30 offset:100
	s_waitcnt lgkmcnt(0)
	v_fmac_f32_e32 v28, v31, v32
.LBB9_520:
	s_or_b64 exec, exec, s[0:1]
	s_movk_i32 s0, 0xc0
	v_cmp_gt_u32_e64 s[20:21], s0, v4
	s_and_saveexec_b64 s[0:1], s[20:21]
	s_cbranch_execz .LBB9_522
; %bb.521:
	ds_read_b32 v31, v25 offset:6784
	ds_read_b32 v32, v30 offset:104
	s_waitcnt lgkmcnt(0)
	v_fmac_f32_e32 v28, v31, v32
.LBB9_522:
	s_or_b64 exec, exec, s[0:1]
	s_movk_i32 s0, 0xa0
	v_cmp_gt_u32_e64 s[20:21], s0, v4
	s_and_saveexec_b64 s[0:1], s[20:21]
	s_cbranch_execz .LBB9_524
; %bb.523:
	ds_read_b32 v31, v25 offset:7040
	ds_read_b32 v32, v30 offset:108
	s_waitcnt lgkmcnt(0)
	v_fmac_f32_e32 v28, v31, v32
.LBB9_524:
	s_or_b64 exec, exec, s[0:1]
	s_movk_i32 s0, 0x80
	v_cmp_gt_u32_e64 s[20:21], s0, v4
	s_and_saveexec_b64 s[0:1], s[20:21]
	s_cbranch_execz .LBB9_526
; %bb.525:
	ds_read_b32 v31, v25 offset:7296
	ds_read_b32 v32, v30 offset:112
	s_waitcnt lgkmcnt(0)
	v_fmac_f32_e32 v28, v31, v32
.LBB9_526:
	s_or_b64 exec, exec, s[0:1]
	s_movk_i32 s0, 0x60
	v_cmp_gt_u32_e64 s[20:21], s0, v4
	s_and_saveexec_b64 s[0:1], s[20:21]
	s_cbranch_execnz .LBB9_1194
; %bb.527:
	s_or_b64 exec, exec, s[0:1]
	v_cmp_gt_u32_e64 s[20:21], 64, v4
	s_and_saveexec_b64 s[0:1], s[20:21]
	s_cbranch_execnz .LBB9_1195
.LBB9_528:
	s_or_b64 exec, exec, s[0:1]
	v_cmp_gt_u32_e64 s[20:21], 32, v4
	s_and_saveexec_b64 s[0:1], s[20:21]
	s_cbranch_execz .LBB9_530
.LBB9_529:
	v_lshlrev_b32_e32 v30, 2, v0
	v_mov_b32_e32 v31, 0
	ds_read_b32 v30, v30 offset:8064
	ds_read_b32 v31, v31 offset:124
	s_waitcnt lgkmcnt(0)
	v_fmac_f32_e32 v28, v30, v31
.LBB9_530:
	s_or_b64 exec, exec, s[0:1]
	v_xor_b32_e32 v28, 0x80000000, v28
.LBB9_531:
	s_or_b64 exec, exec, s[94:95]
	v_mov_b32_e32 v30, 0x4000
	v_cmp_eq_u32_e64 s[20:21], 0, v26
	s_xor_b64 s[94:95], s[16:17], -1
	v_lshl_or_b32 v29, v29, 2, v30
	s_and_b64 s[16:17], s[20:21], s[94:95]
	s_and_saveexec_b64 s[0:1], s[16:17]
; %bb.532:
	ds_write_b32 v29, v28
; %bb.533:
	s_or_b64 exec, exec, s[0:1]
	v_cmp_ne_u32_e64 s[16:17], 0, v26
	s_and_b64 s[16:17], s[16:17], s[94:95]
	s_waitcnt lgkmcnt(0)
	s_barrier
	s_and_saveexec_b64 s[0:1], s[16:17]
	s_cbranch_execz .LBB9_535
; %bb.534:
	ds_read_b32 v30, v27 offset:8320
	ds_read_b32 v31, v29
	s_waitcnt lgkmcnt(0)
	v_fmac_f32_e32 v28, v30, v31
.LBB9_535:
	s_or_b64 exec, exec, s[0:1]
	v_cmp_eq_u32_e64 s[16:17], 1, v26
	s_and_b64 s[16:17], s[16:17], s[94:95]
	s_barrier
	s_and_saveexec_b64 s[0:1], s[16:17]
; %bb.536:
	ds_write_b32 v29, v28
; %bb.537:
	s_or_b64 exec, exec, s[0:1]
	v_cmp_lt_u32_e64 s[16:17], 1, v26
	s_and_b64 s[16:17], s[16:17], s[94:95]
	s_waitcnt lgkmcnt(0)
	s_barrier
	s_and_saveexec_b64 s[0:1], s[16:17]
	s_cbranch_execz .LBB9_539
; %bb.538:
	ds_read_b32 v30, v27 offset:8576
	ds_read_b32 v31, v29
	s_waitcnt lgkmcnt(0)
	v_fmac_f32_e32 v28, v30, v31
.LBB9_539:
	s_or_b64 exec, exec, s[0:1]
	v_cmp_eq_u32_e64 s[16:17], 2, v26
	s_and_b64 s[16:17], s[16:17], s[94:95]
	s_barrier
	s_and_saveexec_b64 s[0:1], s[16:17]
; %bb.540:
	ds_write_b32 v29, v28
; %bb.541:
	s_or_b64 exec, exec, s[0:1]
	v_cmp_lt_u32_e64 s[16:17], 2, v26
	;; [unrolled: 21-line block ×29, first 2 shown]
	s_and_b64 s[16:17], s[16:17], s[94:95]
	s_waitcnt lgkmcnt(0)
	s_barrier
	s_and_saveexec_b64 s[0:1], s[16:17]
	s_cbranch_execz .LBB9_651
; %bb.650:
	ds_read_b32 v27, v27 offset:15744
	ds_read_b32 v30, v29
	s_waitcnt lgkmcnt(0)
	v_fmac_f32_e32 v28, v27, v30
.LBB9_651:
	s_or_b64 exec, exec, s[0:1]
	v_cmp_eq_u32_e64 s[16:17], 30, v26
	s_and_b64 s[16:17], s[16:17], s[94:95]
	s_barrier
	s_and_saveexec_b64 s[0:1], s[16:17]
; %bb.652:
	ds_write_b32 v29, v28
; %bb.653:
	s_or_b64 exec, exec, s[0:1]
	v_cmp_eq_u32_e64 s[16:17], 31, v26
	s_and_b64 s[16:17], s[16:17], s[94:95]
	s_waitcnt lgkmcnt(0)
	s_barrier
	s_and_saveexec_b64 s[0:1], s[16:17]
	s_cbranch_execz .LBB9_655
; %bb.654:
	v_mov_b32_e32 v26, 0
	ds_read_b32 v26, v26 offset:16124
	ds_read_b32 v27, v29
	s_waitcnt lgkmcnt(0)
	v_fmac_f32_e32 v28, v26, v27
.LBB9_655:
	s_or_b64 exec, exec, s[0:1]
	s_barrier
	s_and_saveexec_b64 s[0:1], s[16:17]
; %bb.656:
	ds_write_b32 v29, v28
; %bb.657:
	s_or_b64 exec, exec, s[0:1]
	s_waitcnt lgkmcnt(0)
	s_barrier
	s_barrier
	s_and_saveexec_b64 s[0:1], s[14:15]
; %bb.658:
	v_xor_b32_e32 v26, 0x80000000, v28
	ds_write_b32 v25, v26 offset:128
; %bb.659:
	s_or_b64 exec, exec, s[0:1]
	v_cmp_gt_u32_e64 s[14:15], 32, v0
	s_and_b64 s[0:1], s[12:13], s[14:15]
	s_waitcnt lgkmcnt(0)
	s_barrier
	s_barrier
	s_and_saveexec_b64 s[12:13], s[0:1]
	s_cbranch_execz .LBB9_661
; %bb.660:
	v_lshlrev_b32_e32 v25, 8, v0
	ds_read_b32 v26, v25 offset:128
	s_movk_i32 s0, 0xff04
	v_mad_i32_i24 v27, v0, s0, v25
	s_waitcnt lgkmcnt(0)
	ds_write_b32 v27, v26 offset:8192
	ds_read_b32 v26, v25 offset:132
	s_waitcnt lgkmcnt(0)
	ds_write_b32 v27, v26 offset:8448
	ds_read_b32 v26, v25 offset:136
	;; [unrolled: 3-line block ×31, first 2 shown]
	s_waitcnt lgkmcnt(0)
	ds_write_b32 v27, v25 offset:16128
.LBB9_661:
	s_or_b64 exec, exec, s[12:13]
	s_waitcnt lgkmcnt(0)
	s_barrier
	s_and_saveexec_b64 s[12:13], vcc
	s_cbranch_execz .LBB9_663
; %bb.662:
	v_mov_b32_e32 v27, 0
	ds_read_b32 v25, v27 offset:8324
	v_mov_b32_e32 v26, 1.0
	ds_write_b32 v27, v26 offset:8320
	s_waitcnt lgkmcnt(1)
	ds_write_b64 v27, v[25:26] offset:8576
.LBB9_663:
	s_or_b64 exec, exec, s[12:13]
	v_mov_b32_e32 v25, 0
	s_waitcnt lgkmcnt(0)
	s_barrier
	s_and_saveexec_b64 s[14:15], s[2:3]
	s_cbranch_execz .LBB9_667
; %bb.664:
	v_mul_u32_u24_e32 v25, 0x104, v5
	ds_read_b32 v27, v2 offset:8328
	ds_read_b32 v25, v25 offset:8320
	v_mov_b32_e32 v26, 0
	v_cmp_gt_u32_e64 s[12:13], 2, v4
	s_waitcnt lgkmcnt(0)
	v_fma_f32 v25, v27, v25, 0
	s_and_saveexec_b64 s[0:1], s[12:13]
	s_cbranch_execz .LBB9_666
; %bb.665:
	v_lshlrev_b32_e32 v27, 2, v0
	ds_read_b32 v27, v27 offset:8584
	ds_read_b32 v26, v26 offset:8324
	s_waitcnt lgkmcnt(0)
	v_fmac_f32_e32 v25, v27, v26
.LBB9_666:
	s_or_b64 exec, exec, s[0:1]
	v_xor_b32_e32 v25, 0x80000000, v25
.LBB9_667:
	s_or_b64 exec, exec, s[14:15]
	s_and_saveexec_b64 s[0:1], s[30:31]
; %bb.668:
	ds_write_b32 v3, v25
; %bb.669:
	s_or_b64 exec, exec, s[0:1]
	s_waitcnt lgkmcnt(0)
	s_barrier
	s_and_saveexec_b64 s[0:1], s[28:29]
	s_cbranch_execz .LBB9_671
; %bb.670:
	v_mov_b32_e32 v26, 0
	ds_read_b32 v26, v26 offset:8844
	ds_read_b32 v27, v3
	s_waitcnt lgkmcnt(0)
	v_fmac_f32_e32 v25, v26, v27
.LBB9_671:
	s_or_b64 exec, exec, s[0:1]
	s_barrier
	s_and_saveexec_b64 s[0:1], s[28:29]
; %bb.672:
	ds_write_b32 v3, v25
; %bb.673:
	s_or_b64 exec, exec, s[0:1]
	s_waitcnt lgkmcnt(0)
	s_barrier
	s_barrier
	s_and_saveexec_b64 s[0:1], s[2:3]
; %bb.674:
	v_xor_b32_e32 v25, 0x80000000, v25
	ds_write_b32 v2, v25 offset:8328
; %bb.675:
	s_or_b64 exec, exec, s[0:1]
	s_waitcnt lgkmcnt(0)
	s_barrier
	s_barrier
	s_and_saveexec_b64 s[0:1], s[34:35]
	s_cbranch_execz .LBB9_677
; %bb.676:
	v_lshlrev_b32_e32 v25, 2, v0
	s_movk_i32 s12, 0xfc
	v_mad_u32_u24 v26, v0, s12, v25
	ds_read_b32 v27, v26 offset:8328
	s_waitcnt lgkmcnt(0)
	ds_write_b32 v25, v27 offset:8832
	ds_read_b32 v26, v26 offset:8332
	s_waitcnt lgkmcnt(0)
	ds_write_b32 v25, v26 offset:9088
.LBB9_677:
	s_or_b64 exec, exec, s[0:1]
	s_waitcnt lgkmcnt(0)
	s_barrier
	s_and_saveexec_b64 s[12:13], vcc
	s_cbranch_execz .LBB9_679
; %bb.678:
	v_mov_b32_e32 v27, 0
	ds_read_b32 v25, v27 offset:8844
	v_mov_b32_e32 v26, 1.0
	ds_write_b32 v27, v26 offset:8840
	s_waitcnt lgkmcnt(1)
	ds_write_b64 v27, v[25:26] offset:9096
.LBB9_679:
	s_or_b64 exec, exec, s[12:13]
	v_mov_b32_e32 v25, 0
	s_waitcnt lgkmcnt(0)
	s_barrier
	s_and_saveexec_b64 s[14:15], s[18:19]
	s_cbranch_execz .LBB9_685
; %bb.680:
	v_mul_u32_u24_e32 v26, 0x104, v14
	ds_read_b32 v25, v10 offset:8336
	ds_read_b32 v27, v26 offset:8320
	v_cmp_gt_u32_e64 s[12:13], 12, v4
	s_waitcnt lgkmcnt(0)
	v_fma_f32 v25, v25, v27, 0
	s_and_saveexec_b64 s[16:17], s[12:13]
	s_cbranch_execnz .LBB9_1196
; %bb.681:
	s_or_b64 exec, exec, s[16:17]
	v_cmp_gt_u32_e64 s[12:13], 8, v4
	s_and_saveexec_b64 s[0:1], s[12:13]
	s_cbranch_execnz .LBB9_1197
.LBB9_682:
	s_or_b64 exec, exec, s[0:1]
	v_cmp_gt_u32_e64 s[12:13], 4, v4
	s_and_saveexec_b64 s[0:1], s[12:13]
	s_cbranch_execz .LBB9_684
.LBB9_683:
	v_lshlrev_b32_e32 v26, 2, v0
	v_mov_b32_e32 v27, 0
	ds_read_b32 v26, v26 offset:9104
	ds_read_b32 v27, v27 offset:8332
	s_waitcnt lgkmcnt(0)
	v_fmac_f32_e32 v25, v26, v27
.LBB9_684:
	s_or_b64 exec, exec, s[0:1]
	v_xor_b32_e32 v25, 0x80000000, v25
.LBB9_685:
	s_or_b64 exec, exec, s[14:15]
	s_and_saveexec_b64 s[0:1], s[38:39]
; %bb.686:
	ds_write_b32 v12, v25
; %bb.687:
	s_or_b64 exec, exec, s[0:1]
	s_waitcnt lgkmcnt(0)
	s_barrier
	s_and_saveexec_b64 s[0:1], s[42:43]
	s_cbranch_execz .LBB9_689
; %bb.688:
	ds_read_b32 v26, v11 offset:9360
	ds_read_b32 v27, v12
	s_waitcnt lgkmcnt(0)
	v_fmac_f32_e32 v25, v26, v27
.LBB9_689:
	s_or_b64 exec, exec, s[0:1]
	s_barrier
	s_and_saveexec_b64 s[0:1], s[44:45]
; %bb.690:
	ds_write_b32 v12, v25
; %bb.691:
	s_or_b64 exec, exec, s[0:1]
	s_waitcnt lgkmcnt(0)
	s_barrier
	s_and_saveexec_b64 s[0:1], s[52:53]
	s_cbranch_execz .LBB9_693
; %bb.692:
	ds_read_b32 v26, v11 offset:9616
	ds_read_b32 v27, v12
	s_waitcnt lgkmcnt(0)
	v_fmac_f32_e32 v25, v26, v27
.LBB9_693:
	s_or_b64 exec, exec, s[0:1]
	s_barrier
	s_and_saveexec_b64 s[0:1], s[54:55]
; %bb.694:
	ds_write_b32 v12, v25
; %bb.695:
	s_or_b64 exec, exec, s[0:1]
	s_waitcnt lgkmcnt(0)
	s_barrier
	s_and_saveexec_b64 s[0:1], s[36:37]
	s_cbranch_execz .LBB9_697
; %bb.696:
	v_mov_b32_e32 v26, 0
	ds_read_b32 v26, v26 offset:9884
	ds_read_b32 v27, v12
	s_waitcnt lgkmcnt(0)
	v_fmac_f32_e32 v25, v26, v27
.LBB9_697:
	s_or_b64 exec, exec, s[0:1]
	s_barrier
	s_and_saveexec_b64 s[0:1], s[36:37]
; %bb.698:
	ds_write_b32 v12, v25
; %bb.699:
	s_or_b64 exec, exec, s[0:1]
	s_waitcnt lgkmcnt(0)
	s_barrier
	s_barrier
	s_and_saveexec_b64 s[0:1], s[18:19]
; %bb.700:
	v_xor_b32_e32 v25, 0x80000000, v25
	ds_write_b32 v10, v25 offset:8336
; %bb.701:
	s_or_b64 exec, exec, s[0:1]
	s_waitcnt lgkmcnt(0)
	s_barrier
	s_barrier
	s_and_saveexec_b64 s[12:13], s[56:57]
	s_cbranch_execz .LBB9_703
; %bb.702:
	v_lshlrev_b32_e32 v25, 8, v0
	ds_read_b32 v26, v25 offset:8336
	s_movk_i32 s0, 0xff04
	v_mad_i32_i24 v27, v0, s0, v25
	s_waitcnt lgkmcnt(0)
	ds_write_b32 v27, v26 offset:9344
	ds_read_b32 v26, v25 offset:8340
	s_waitcnt lgkmcnt(0)
	ds_write_b32 v27, v26 offset:9600
	ds_read_b32 v26, v25 offset:8344
	;; [unrolled: 3-line block ×3, first 2 shown]
	s_waitcnt lgkmcnt(0)
	ds_write_b32 v27, v25 offset:10112
.LBB9_703:
	s_or_b64 exec, exec, s[12:13]
	s_waitcnt lgkmcnt(0)
	s_barrier
	s_and_saveexec_b64 s[12:13], vcc
	s_cbranch_execz .LBB9_705
; %bb.704:
	v_mov_b32_e32 v27, 0
	ds_read_b32 v25, v27 offset:9364
	v_mov_b32_e32 v26, 1.0
	ds_write_b32 v27, v26 offset:9360
	s_waitcnt lgkmcnt(1)
	ds_write_b64 v27, v[25:26] offset:9616
.LBB9_705:
	s_or_b64 exec, exec, s[12:13]
	v_mov_b32_e32 v25, 0
	s_waitcnt lgkmcnt(0)
	s_barrier
	s_and_saveexec_b64 s[14:15], s[2:3]
	s_cbranch_execz .LBB9_709
; %bb.706:
	v_mul_u32_u24_e32 v25, 0x104, v5
	ds_read_b32 v27, v2 offset:9368
	ds_read_b32 v25, v25 offset:9360
	v_mov_b32_e32 v26, 0
	v_cmp_gt_u32_e64 s[12:13], 2, v4
	s_waitcnt lgkmcnt(0)
	v_fma_f32 v25, v27, v25, 0
	s_and_saveexec_b64 s[0:1], s[12:13]
	s_cbranch_execz .LBB9_708
; %bb.707:
	v_lshlrev_b32_e32 v27, 2, v0
	ds_read_b32 v27, v27 offset:9624
	ds_read_b32 v26, v26 offset:9364
	s_waitcnt lgkmcnt(0)
	v_fmac_f32_e32 v25, v27, v26
.LBB9_708:
	s_or_b64 exec, exec, s[0:1]
	v_xor_b32_e32 v25, 0x80000000, v25
.LBB9_709:
	s_or_b64 exec, exec, s[14:15]
	s_and_saveexec_b64 s[0:1], s[30:31]
; %bb.710:
	ds_write_b32 v3, v25
; %bb.711:
	s_or_b64 exec, exec, s[0:1]
	s_waitcnt lgkmcnt(0)
	s_barrier
	s_and_saveexec_b64 s[0:1], s[28:29]
	s_cbranch_execz .LBB9_713
; %bb.712:
	v_mov_b32_e32 v26, 0
	ds_read_b32 v26, v26 offset:9884
	ds_read_b32 v27, v3
	s_waitcnt lgkmcnt(0)
	v_fmac_f32_e32 v25, v26, v27
.LBB9_713:
	s_or_b64 exec, exec, s[0:1]
	s_barrier
	s_and_saveexec_b64 s[0:1], s[28:29]
; %bb.714:
	ds_write_b32 v3, v25
; %bb.715:
	s_or_b64 exec, exec, s[0:1]
	s_waitcnt lgkmcnt(0)
	s_barrier
	s_barrier
	s_and_saveexec_b64 s[0:1], s[2:3]
; %bb.716:
	v_xor_b32_e32 v25, 0x80000000, v25
	ds_write_b32 v2, v25 offset:9368
; %bb.717:
	s_or_b64 exec, exec, s[0:1]
	s_waitcnt lgkmcnt(0)
	s_barrier
	s_barrier
	s_and_saveexec_b64 s[0:1], s[34:35]
	s_cbranch_execz .LBB9_719
; %bb.718:
	v_lshlrev_b32_e32 v25, 2, v0
	s_movk_i32 s12, 0xfc
	v_mad_u32_u24 v26, v0, s12, v25
	ds_read_b32 v27, v26 offset:9368
	s_waitcnt lgkmcnt(0)
	ds_write_b32 v25, v27 offset:9872
	ds_read_b32 v26, v26 offset:9372
	s_waitcnt lgkmcnt(0)
	ds_write_b32 v25, v26 offset:10128
.LBB9_719:
	s_or_b64 exec, exec, s[0:1]
	s_waitcnt lgkmcnt(0)
	s_barrier
	s_and_saveexec_b64 s[12:13], vcc
	s_cbranch_execz .LBB9_721
; %bb.720:
	v_mov_b32_e32 v27, 0
	ds_read_b32 v25, v27 offset:9884
	v_mov_b32_e32 v26, 1.0
	ds_write_b32 v27, v26 offset:9880
	s_waitcnt lgkmcnt(1)
	ds_write_b64 v27, v[25:26] offset:10136
.LBB9_721:
	s_or_b64 exec, exec, s[12:13]
	v_mov_b32_e32 v25, 0
	s_waitcnt lgkmcnt(0)
	s_barrier
	s_and_saveexec_b64 s[14:15], s[8:9]
	s_cbranch_execz .LBB9_731
; %bb.722:
	v_mul_u32_u24_e32 v26, 0x104, v19
	ds_read_b32 v25, v15 offset:8352
	ds_read_b32 v27, v26 offset:8320
	v_cmp_gt_u32_e64 s[12:13], 56, v4
	s_waitcnt lgkmcnt(0)
	v_fma_f32 v25, v25, v27, 0
	s_and_saveexec_b64 s[16:17], s[12:13]
	s_cbranch_execnz .LBB9_1198
; %bb.723:
	s_or_b64 exec, exec, s[16:17]
	v_cmp_gt_u32_e64 s[12:13], 48, v4
	s_and_saveexec_b64 s[0:1], s[12:13]
	s_cbranch_execnz .LBB9_1199
.LBB9_724:
	s_or_b64 exec, exec, s[0:1]
	v_cmp_gt_u32_e64 s[12:13], 40, v4
	s_and_saveexec_b64 s[0:1], s[12:13]
	s_cbranch_execnz .LBB9_1200
.LBB9_725:
	s_or_b64 exec, exec, s[0:1]
	v_cmp_gt_u32_e64 s[12:13], 32, v4
	s_and_saveexec_b64 s[0:1], s[12:13]
	s_cbranch_execnz .LBB9_1201
.LBB9_726:
	s_or_b64 exec, exec, s[0:1]
	v_cmp_gt_u32_e64 s[12:13], 24, v4
	s_and_saveexec_b64 s[0:1], s[12:13]
	s_cbranch_execnz .LBB9_1202
.LBB9_727:
	s_or_b64 exec, exec, s[0:1]
	v_cmp_gt_u32_e64 s[12:13], 16, v4
	s_and_saveexec_b64 s[0:1], s[12:13]
	s_cbranch_execnz .LBB9_1203
.LBB9_728:
	s_or_b64 exec, exec, s[0:1]
	v_cmp_gt_u32_e64 s[12:13], 8, v4
	s_and_saveexec_b64 s[0:1], s[12:13]
	s_cbranch_execz .LBB9_730
.LBB9_729:
	v_lshlrev_b32_e32 v26, 2, v0
	v_mov_b32_e32 v27, 0
	ds_read_b32 v26, v26 offset:10144
	ds_read_b32 v27, v27 offset:8348
	s_waitcnt lgkmcnt(0)
	v_fmac_f32_e32 v25, v26, v27
.LBB9_730:
	s_or_b64 exec, exec, s[0:1]
	v_xor_b32_e32 v25, 0x80000000, v25
.LBB9_731:
	s_or_b64 exec, exec, s[14:15]
	s_and_saveexec_b64 s[0:1], s[58:59]
; %bb.732:
	ds_write_b32 v17, v25
; %bb.733:
	s_or_b64 exec, exec, s[0:1]
	s_waitcnt lgkmcnt(0)
	s_barrier
	s_and_saveexec_b64 s[0:1], s[60:61]
	s_cbranch_execz .LBB9_735
; %bb.734:
	ds_read_b32 v26, v16 offset:10400
	ds_read_b32 v27, v17
	s_waitcnt lgkmcnt(0)
	v_fmac_f32_e32 v25, v26, v27
.LBB9_735:
	s_or_b64 exec, exec, s[0:1]
	s_barrier
	s_and_saveexec_b64 s[0:1], s[62:63]
; %bb.736:
	ds_write_b32 v17, v25
; %bb.737:
	s_or_b64 exec, exec, s[0:1]
	s_waitcnt lgkmcnt(0)
	s_barrier
	s_and_saveexec_b64 s[0:1], s[64:65]
	s_cbranch_execz .LBB9_739
; %bb.738:
	ds_read_b32 v26, v16 offset:10656
	ds_read_b32 v27, v17
	s_waitcnt lgkmcnt(0)
	v_fmac_f32_e32 v25, v26, v27
.LBB9_739:
	s_or_b64 exec, exec, s[0:1]
	s_barrier
	;; [unrolled: 17-line block ×6, first 2 shown]
	s_and_saveexec_b64 s[0:1], s[84:85]
; %bb.756:
	ds_write_b32 v17, v25
; %bb.757:
	s_or_b64 exec, exec, s[0:1]
	s_waitcnt lgkmcnt(0)
	s_barrier
	s_and_saveexec_b64 s[0:1], s[66:67]
	s_cbranch_execz .LBB9_759
; %bb.758:
	v_mov_b32_e32 v26, 0
	ds_read_b32 v26, v26 offset:11964
	ds_read_b32 v27, v17
	s_waitcnt lgkmcnt(0)
	v_fmac_f32_e32 v25, v26, v27
.LBB9_759:
	s_or_b64 exec, exec, s[0:1]
	s_barrier
	s_and_saveexec_b64 s[0:1], s[66:67]
; %bb.760:
	ds_write_b32 v17, v25
; %bb.761:
	s_or_b64 exec, exec, s[0:1]
	s_waitcnt lgkmcnt(0)
	s_barrier
	s_barrier
	s_and_saveexec_b64 s[0:1], s[8:9]
; %bb.762:
	v_xor_b32_e32 v25, 0x80000000, v25
	ds_write_b32 v15, v25 offset:8352
; %bb.763:
	s_or_b64 exec, exec, s[0:1]
	s_waitcnt lgkmcnt(0)
	s_barrier
	s_barrier
	s_and_saveexec_b64 s[12:13], s[86:87]
	s_cbranch_execz .LBB9_765
; %bb.764:
	v_lshlrev_b32_e32 v25, 8, v0
	ds_read_b32 v26, v25 offset:8352
	s_movk_i32 s0, 0xff04
	v_mad_i32_i24 v27, v0, s0, v25
	s_waitcnt lgkmcnt(0)
	ds_write_b32 v27, v26 offset:10368
	ds_read_b32 v26, v25 offset:8356
	s_waitcnt lgkmcnt(0)
	ds_write_b32 v27, v26 offset:10624
	ds_read_b32 v26, v25 offset:8360
	;; [unrolled: 3-line block ×7, first 2 shown]
	s_waitcnt lgkmcnt(0)
	ds_write_b32 v27, v25 offset:12160
.LBB9_765:
	s_or_b64 exec, exec, s[12:13]
	s_waitcnt lgkmcnt(0)
	s_barrier
	s_and_saveexec_b64 s[12:13], vcc
	s_cbranch_execz .LBB9_767
; %bb.766:
	v_mov_b32_e32 v27, 0
	ds_read_b32 v25, v27 offset:10404
	v_mov_b32_e32 v26, 1.0
	ds_write_b32 v27, v26 offset:10400
	s_waitcnt lgkmcnt(1)
	ds_write_b64 v27, v[25:26] offset:10656
.LBB9_767:
	s_or_b64 exec, exec, s[12:13]
	v_mov_b32_e32 v25, 0
	s_waitcnt lgkmcnt(0)
	s_barrier
	s_and_saveexec_b64 s[14:15], s[2:3]
	s_cbranch_execz .LBB9_771
; %bb.768:
	v_mul_u32_u24_e32 v25, 0x104, v5
	ds_read_b32 v27, v2 offset:10408
	ds_read_b32 v25, v25 offset:10400
	v_mov_b32_e32 v26, 0
	v_cmp_gt_u32_e64 s[12:13], 2, v4
	s_waitcnt lgkmcnt(0)
	v_fma_f32 v25, v27, v25, 0
	s_and_saveexec_b64 s[0:1], s[12:13]
	s_cbranch_execz .LBB9_770
; %bb.769:
	v_lshlrev_b32_e32 v27, 2, v0
	ds_read_b32 v27, v27 offset:10664
	ds_read_b32 v26, v26 offset:10404
	s_waitcnt lgkmcnt(0)
	v_fmac_f32_e32 v25, v27, v26
.LBB9_770:
	s_or_b64 exec, exec, s[0:1]
	v_xor_b32_e32 v25, 0x80000000, v25
.LBB9_771:
	s_or_b64 exec, exec, s[14:15]
	s_and_saveexec_b64 s[0:1], s[30:31]
; %bb.772:
	ds_write_b32 v3, v25
; %bb.773:
	s_or_b64 exec, exec, s[0:1]
	s_waitcnt lgkmcnt(0)
	s_barrier
	s_and_saveexec_b64 s[0:1], s[28:29]
	s_cbranch_execz .LBB9_775
; %bb.774:
	v_mov_b32_e32 v26, 0
	ds_read_b32 v26, v26 offset:10924
	ds_read_b32 v27, v3
	s_waitcnt lgkmcnt(0)
	v_fmac_f32_e32 v25, v26, v27
.LBB9_775:
	s_or_b64 exec, exec, s[0:1]
	s_barrier
	s_and_saveexec_b64 s[0:1], s[28:29]
; %bb.776:
	ds_write_b32 v3, v25
; %bb.777:
	s_or_b64 exec, exec, s[0:1]
	s_waitcnt lgkmcnt(0)
	s_barrier
	s_barrier
	s_and_saveexec_b64 s[0:1], s[2:3]
; %bb.778:
	v_xor_b32_e32 v25, 0x80000000, v25
	ds_write_b32 v2, v25 offset:10408
; %bb.779:
	s_or_b64 exec, exec, s[0:1]
	s_waitcnt lgkmcnt(0)
	s_barrier
	s_barrier
	s_and_saveexec_b64 s[0:1], s[34:35]
	s_cbranch_execz .LBB9_781
; %bb.780:
	v_lshlrev_b32_e32 v25, 2, v0
	s_movk_i32 s12, 0xfc
	v_mad_u32_u24 v26, v0, s12, v25
	ds_read_b32 v27, v26 offset:10408
	s_waitcnt lgkmcnt(0)
	ds_write_b32 v25, v27 offset:10912
	ds_read_b32 v26, v26 offset:10412
	s_waitcnt lgkmcnt(0)
	ds_write_b32 v25, v26 offset:11168
.LBB9_781:
	s_or_b64 exec, exec, s[0:1]
	s_waitcnt lgkmcnt(0)
	s_barrier
	s_and_saveexec_b64 s[12:13], vcc
	s_cbranch_execz .LBB9_783
; %bb.782:
	v_mov_b32_e32 v27, 0
	ds_read_b32 v25, v27 offset:10924
	v_mov_b32_e32 v26, 1.0
	ds_write_b32 v27, v26 offset:10920
	s_waitcnt lgkmcnt(1)
	ds_write_b64 v27, v[25:26] offset:11176
.LBB9_783:
	s_or_b64 exec, exec, s[12:13]
	v_mov_b32_e32 v25, 0
	s_waitcnt lgkmcnt(0)
	s_barrier
	s_and_saveexec_b64 s[14:15], s[18:19]
	s_cbranch_execz .LBB9_789
; %bb.784:
	v_mul_u32_u24_e32 v26, 0x104, v14
	ds_read_b32 v25, v10 offset:10416
	ds_read_b32 v27, v26 offset:10400
	v_cmp_gt_u32_e64 s[12:13], 12, v4
	s_waitcnt lgkmcnt(0)
	v_fma_f32 v25, v25, v27, 0
	s_and_saveexec_b64 s[16:17], s[12:13]
	s_cbranch_execnz .LBB9_1204
; %bb.785:
	s_or_b64 exec, exec, s[16:17]
	v_cmp_gt_u32_e64 s[12:13], 8, v4
	s_and_saveexec_b64 s[0:1], s[12:13]
	s_cbranch_execnz .LBB9_1205
.LBB9_786:
	s_or_b64 exec, exec, s[0:1]
	v_cmp_gt_u32_e64 s[12:13], 4, v4
	s_and_saveexec_b64 s[0:1], s[12:13]
	s_cbranch_execz .LBB9_788
.LBB9_787:
	v_lshlrev_b32_e32 v26, 2, v0
	v_mov_b32_e32 v27, 0
	ds_read_b32 v26, v26 offset:11184
	ds_read_b32 v27, v27 offset:10412
	s_waitcnt lgkmcnt(0)
	v_fmac_f32_e32 v25, v26, v27
.LBB9_788:
	s_or_b64 exec, exec, s[0:1]
	v_xor_b32_e32 v25, 0x80000000, v25
.LBB9_789:
	s_or_b64 exec, exec, s[14:15]
	s_and_saveexec_b64 s[0:1], s[38:39]
; %bb.790:
	ds_write_b32 v12, v25
; %bb.791:
	s_or_b64 exec, exec, s[0:1]
	s_waitcnt lgkmcnt(0)
	s_barrier
	s_and_saveexec_b64 s[0:1], s[42:43]
	s_cbranch_execz .LBB9_793
; %bb.792:
	ds_read_b32 v26, v11 offset:11440
	ds_read_b32 v27, v12
	s_waitcnt lgkmcnt(0)
	v_fmac_f32_e32 v25, v26, v27
.LBB9_793:
	s_or_b64 exec, exec, s[0:1]
	s_barrier
	s_and_saveexec_b64 s[0:1], s[44:45]
; %bb.794:
	ds_write_b32 v12, v25
; %bb.795:
	s_or_b64 exec, exec, s[0:1]
	s_waitcnt lgkmcnt(0)
	s_barrier
	s_and_saveexec_b64 s[0:1], s[52:53]
	s_cbranch_execz .LBB9_797
; %bb.796:
	ds_read_b32 v26, v11 offset:11696
	ds_read_b32 v27, v12
	s_waitcnt lgkmcnt(0)
	v_fmac_f32_e32 v25, v26, v27
.LBB9_797:
	s_or_b64 exec, exec, s[0:1]
	s_barrier
	s_and_saveexec_b64 s[0:1], s[54:55]
; %bb.798:
	ds_write_b32 v12, v25
; %bb.799:
	s_or_b64 exec, exec, s[0:1]
	s_waitcnt lgkmcnt(0)
	s_barrier
	s_and_saveexec_b64 s[0:1], s[36:37]
	s_cbranch_execz .LBB9_801
; %bb.800:
	v_mov_b32_e32 v26, 0
	ds_read_b32 v26, v26 offset:11964
	ds_read_b32 v27, v12
	s_waitcnt lgkmcnt(0)
	v_fmac_f32_e32 v25, v26, v27
.LBB9_801:
	s_or_b64 exec, exec, s[0:1]
	s_barrier
	s_and_saveexec_b64 s[0:1], s[36:37]
; %bb.802:
	ds_write_b32 v12, v25
; %bb.803:
	s_or_b64 exec, exec, s[0:1]
	s_waitcnt lgkmcnt(0)
	s_barrier
	s_barrier
	s_and_saveexec_b64 s[0:1], s[18:19]
; %bb.804:
	v_xor_b32_e32 v25, 0x80000000, v25
	ds_write_b32 v10, v25 offset:10416
; %bb.805:
	s_or_b64 exec, exec, s[0:1]
	s_waitcnt lgkmcnt(0)
	s_barrier
	s_barrier
	s_and_saveexec_b64 s[12:13], s[56:57]
	s_cbranch_execz .LBB9_807
; %bb.806:
	v_lshlrev_b32_e32 v25, 8, v0
	ds_read_b32 v26, v25 offset:10416
	s_movk_i32 s0, 0xff04
	v_mad_i32_i24 v27, v0, s0, v25
	s_waitcnt lgkmcnt(0)
	ds_write_b32 v27, v26 offset:11424
	ds_read_b32 v26, v25 offset:10420
	s_waitcnt lgkmcnt(0)
	ds_write_b32 v27, v26 offset:11680
	ds_read_b32 v26, v25 offset:10424
	;; [unrolled: 3-line block ×3, first 2 shown]
	s_waitcnt lgkmcnt(0)
	ds_write_b32 v27, v25 offset:12192
.LBB9_807:
	s_or_b64 exec, exec, s[12:13]
	s_waitcnt lgkmcnt(0)
	s_barrier
	s_and_saveexec_b64 s[12:13], vcc
	s_cbranch_execz .LBB9_809
; %bb.808:
	v_mov_b32_e32 v27, 0
	ds_read_b32 v25, v27 offset:11444
	v_mov_b32_e32 v26, 1.0
	ds_write_b32 v27, v26 offset:11440
	s_waitcnt lgkmcnt(1)
	ds_write_b64 v27, v[25:26] offset:11696
.LBB9_809:
	s_or_b64 exec, exec, s[12:13]
	v_mov_b32_e32 v25, 0
	s_waitcnt lgkmcnt(0)
	s_barrier
	s_and_saveexec_b64 s[14:15], s[2:3]
	s_cbranch_execz .LBB9_813
; %bb.810:
	v_mul_u32_u24_e32 v25, 0x104, v5
	ds_read_b32 v27, v2 offset:11448
	ds_read_b32 v25, v25 offset:11440
	v_mov_b32_e32 v26, 0
	v_cmp_gt_u32_e64 s[12:13], 2, v4
	s_waitcnt lgkmcnt(0)
	v_fma_f32 v25, v27, v25, 0
	s_and_saveexec_b64 s[0:1], s[12:13]
	s_cbranch_execz .LBB9_812
; %bb.811:
	v_lshlrev_b32_e32 v27, 2, v0
	ds_read_b32 v27, v27 offset:11704
	ds_read_b32 v26, v26 offset:11444
	s_waitcnt lgkmcnt(0)
	v_fmac_f32_e32 v25, v27, v26
.LBB9_812:
	s_or_b64 exec, exec, s[0:1]
	v_xor_b32_e32 v25, 0x80000000, v25
.LBB9_813:
	s_or_b64 exec, exec, s[14:15]
	s_and_saveexec_b64 s[0:1], s[30:31]
; %bb.814:
	ds_write_b32 v3, v25
; %bb.815:
	s_or_b64 exec, exec, s[0:1]
	s_waitcnt lgkmcnt(0)
	s_barrier
	s_and_saveexec_b64 s[0:1], s[28:29]
	s_cbranch_execz .LBB9_817
; %bb.816:
	v_mov_b32_e32 v26, 0
	ds_read_b32 v26, v26 offset:11964
	ds_read_b32 v27, v3
	s_waitcnt lgkmcnt(0)
	v_fmac_f32_e32 v25, v26, v27
.LBB9_817:
	s_or_b64 exec, exec, s[0:1]
	s_barrier
	s_and_saveexec_b64 s[0:1], s[28:29]
; %bb.818:
	ds_write_b32 v3, v25
; %bb.819:
	s_or_b64 exec, exec, s[0:1]
	s_waitcnt lgkmcnt(0)
	s_barrier
	s_barrier
	s_and_saveexec_b64 s[0:1], s[2:3]
; %bb.820:
	v_xor_b32_e32 v25, 0x80000000, v25
	ds_write_b32 v2, v25 offset:11448
; %bb.821:
	s_or_b64 exec, exec, s[0:1]
	s_waitcnt lgkmcnt(0)
	s_barrier
	s_barrier
	s_and_saveexec_b64 s[0:1], s[34:35]
	s_cbranch_execz .LBB9_823
; %bb.822:
	v_lshlrev_b32_e32 v25, 2, v0
	s_movk_i32 s12, 0xfc
	v_mad_u32_u24 v26, v0, s12, v25
	ds_read_b32 v27, v26 offset:11448
	s_waitcnt lgkmcnt(0)
	ds_write_b32 v25, v27 offset:11952
	ds_read_b32 v26, v26 offset:11452
	s_waitcnt lgkmcnt(0)
	ds_write_b32 v25, v26 offset:12208
.LBB9_823:
	s_or_b64 exec, exec, s[0:1]
	s_waitcnt lgkmcnt(0)
	s_barrier
	s_and_saveexec_b64 s[12:13], vcc
	s_cbranch_execz .LBB9_825
; %bb.824:
	v_mov_b32_e32 v27, 0
	ds_read_b32 v25, v27 offset:11964
	v_mov_b32_e32 v26, 1.0
	ds_write_b32 v27, v26 offset:11960
	s_waitcnt lgkmcnt(1)
	ds_write_b64 v27, v[25:26] offset:12216
.LBB9_825:
	s_or_b64 exec, exec, s[12:13]
	v_mov_b32_e32 v25, 0
	s_waitcnt lgkmcnt(0)
	s_barrier
	s_and_saveexec_b64 s[14:15], s[10:11]
	s_cbranch_execz .LBB9_853
; %bb.826:
	v_mul_u32_u24_e32 v26, 0x104, v24
	ds_read_b32 v25, v20 offset:8384
	ds_read_b32 v27, v26 offset:8320
	s_movk_i32 s0, 0xf0
	v_cmp_gt_u32_e64 s[12:13], s0, v4
	s_waitcnt lgkmcnt(0)
	v_fma_f32 v25, v25, v27, 0
	s_and_saveexec_b64 s[16:17], s[12:13]
	s_cbranch_execz .LBB9_828
; %bb.827:
	v_lshlrev_b32_e32 v27, 2, v24
	v_sub_u32_e32 v27, v26, v27
	v_lshl_add_u32 v27, v21, 2, v27
	ds_read_b32 v27, v27 offset:8640
	ds_read_b32 v28, v26 offset:8324
	s_waitcnt lgkmcnt(0)
	v_fmac_f32_e32 v25, v27, v28
.LBB9_828:
	s_or_b64 exec, exec, s[16:17]
	s_movk_i32 s0, 0xe0
	v_cmp_gt_u32_e64 s[12:13], s0, v4
	s_and_saveexec_b64 s[0:1], s[12:13]
	s_cbranch_execz .LBB9_830
; %bb.829:
	v_lshlrev_b32_e32 v27, 2, v24
	v_sub_u32_e32 v27, v26, v27
	v_lshl_add_u32 v27, v21, 2, v27
	ds_read_b32 v27, v27 offset:8896
	ds_read_b32 v28, v26 offset:8328
	s_waitcnt lgkmcnt(0)
	v_fmac_f32_e32 v25, v27, v28
.LBB9_830:
	s_or_b64 exec, exec, s[0:1]
	s_movk_i32 s0, 0xd0
	v_cmp_gt_u32_e64 s[12:13], s0, v4
	;; [unrolled: 14-line block ×7, first 2 shown]
	s_and_saveexec_b64 s[0:1], s[12:13]
	s_cbranch_execz .LBB9_842
; %bb.841:
	ds_read_b32 v24, v20 offset:10432
	ds_read_b32 v27, v26 offset:8352
	s_waitcnt lgkmcnt(0)
	v_fmac_f32_e32 v25, v24, v27
.LBB9_842:
	s_or_b64 exec, exec, s[0:1]
	s_movk_i32 s0, 0x70
	v_cmp_gt_u32_e64 s[12:13], s0, v4
	s_and_saveexec_b64 s[0:1], s[12:13]
	s_cbranch_execz .LBB9_844
; %bb.843:
	v_lshlrev_b32_e32 v24, 2, v21
	v_lshl_add_u32 v24, v23, 2, v24
	ds_read_b32 v24, v24 offset:10688
	ds_read_b32 v27, v26 offset:8356
	s_waitcnt lgkmcnt(0)
	v_fmac_f32_e32 v25, v24, v27
.LBB9_844:
	s_or_b64 exec, exec, s[0:1]
	s_movk_i32 s0, 0x60
	v_cmp_gt_u32_e64 s[12:13], s0, v4
	s_and_saveexec_b64 s[0:1], s[12:13]
	s_cbranch_execz .LBB9_846
; %bb.845:
	v_lshlrev_b32_e32 v24, 2, v21
	v_lshl_add_u32 v24, v23, 2, v24
	ds_read_b32 v24, v24 offset:10944
	ds_read_b32 v27, v26 offset:8360
	s_waitcnt lgkmcnt(0)
	v_fmac_f32_e32 v25, v24, v27
.LBB9_846:
	s_or_b64 exec, exec, s[0:1]
	s_movk_i32 s0, 0x50
	v_cmp_gt_u32_e64 s[12:13], s0, v4
	s_and_saveexec_b64 s[0:1], s[12:13]
	s_cbranch_execnz .LBB9_1206
; %bb.847:
	s_or_b64 exec, exec, s[0:1]
	v_cmp_gt_u32_e64 s[12:13], 64, v4
	s_and_saveexec_b64 s[0:1], s[12:13]
	s_cbranch_execnz .LBB9_1207
.LBB9_848:
	s_or_b64 exec, exec, s[0:1]
	v_cmp_gt_u32_e64 s[12:13], 48, v4
	s_and_saveexec_b64 s[0:1], s[12:13]
	s_cbranch_execnz .LBB9_1208
.LBB9_849:
	s_or_b64 exec, exec, s[0:1]
	v_cmp_gt_u32_e64 s[12:13], 32, v4
	s_and_saveexec_b64 s[0:1], s[12:13]
	s_cbranch_execnz .LBB9_1209
.LBB9_850:
	s_or_b64 exec, exec, s[0:1]
	v_cmp_gt_u32_e64 s[12:13], 16, v4
	s_and_saveexec_b64 s[0:1], s[12:13]
	s_cbranch_execz .LBB9_852
.LBB9_851:
	v_lshlrev_b32_e32 v23, 2, v0
	v_mov_b32_e32 v24, 0
	ds_read_b32 v23, v23 offset:12224
	ds_read_b32 v24, v24 offset:8380
	s_waitcnt lgkmcnt(0)
	v_fmac_f32_e32 v25, v23, v24
.LBB9_852:
	s_or_b64 exec, exec, s[0:1]
	v_xor_b32_e32 v25, 0x80000000, v25
.LBB9_853:
	s_or_b64 exec, exec, s[14:15]
	s_mov_b64 s[0:1], exec
	v_readlane_b32 s12, v33, 3
	v_readlane_b32 s13, v33, 4
	s_and_b64 s[12:13], s[0:1], s[12:13]
	s_mov_b64 exec, s[12:13]
; %bb.854:
	ds_write_b32 v22, v25
; %bb.855:
	s_or_b64 exec, exec, s[0:1]
	s_waitcnt lgkmcnt(0)
	s_barrier
	s_mov_b64 s[0:1], exec
	v_readlane_b32 s12, v33, 5
	v_readlane_b32 s13, v33, 6
	s_and_b64 s[12:13], s[0:1], s[12:13]
	s_mov_b64 exec, s[12:13]
	s_cbranch_execz .LBB9_857
; %bb.856:
	v_lshlrev_b32_e32 v23, 2, v21
	ds_read_b32 v23, v23 offset:12480
	ds_read_b32 v24, v22
	s_waitcnt lgkmcnt(0)
	v_fmac_f32_e32 v25, v23, v24
.LBB9_857:
	s_or_b64 exec, exec, s[0:1]
	s_barrier
	s_mov_b64 s[0:1], exec
	v_readlane_b32 s12, v33, 7
	v_readlane_b32 s13, v33, 8
	s_and_b64 s[12:13], s[0:1], s[12:13]
	s_mov_b64 exec, s[12:13]
; %bb.858:
	ds_write_b32 v22, v25
; %bb.859:
	s_or_b64 exec, exec, s[0:1]
	s_waitcnt lgkmcnt(0)
	s_barrier
	s_mov_b64 s[0:1], exec
	v_readlane_b32 s12, v33, 9
	v_readlane_b32 s13, v33, 10
	s_and_b64 s[12:13], s[0:1], s[12:13]
	s_mov_b64 exec, s[12:13]
	s_cbranch_execz .LBB9_861
; %bb.860:
	v_lshlrev_b32_e32 v23, 2, v21
	ds_read_b32 v23, v23 offset:12736
	ds_read_b32 v24, v22
	s_waitcnt lgkmcnt(0)
	v_fmac_f32_e32 v25, v23, v24
.LBB9_861:
	s_or_b64 exec, exec, s[0:1]
	s_barrier
	;; [unrolled: 26-line block ×14, first 2 shown]
	s_mov_b64 s[0:1], exec
	v_readlane_b32 s12, v33, 59
	v_readlane_b32 s13, v33, 60
	s_and_b64 s[12:13], s[0:1], s[12:13]
	s_mov_b64 exec, s[12:13]
; %bb.910:
	ds_write_b32 v22, v25
; %bb.911:
	s_or_b64 exec, exec, s[0:1]
	s_waitcnt lgkmcnt(0)
	s_barrier
	s_and_saveexec_b64 s[0:1], s[88:89]
	s_cbranch_execz .LBB9_913
; %bb.912:
	v_mov_b32_e32 v21, 0
	ds_read_b32 v21, v21 offset:16124
	ds_read_b32 v23, v22
	s_waitcnt lgkmcnt(0)
	v_fmac_f32_e32 v25, v21, v23
.LBB9_913:
	s_or_b64 exec, exec, s[0:1]
	s_barrier
	s_and_saveexec_b64 s[0:1], s[88:89]
; %bb.914:
	ds_write_b32 v22, v25
; %bb.915:
	s_or_b64 exec, exec, s[0:1]
	s_waitcnt lgkmcnt(0)
	s_barrier
	s_barrier
	s_and_saveexec_b64 s[0:1], s[10:11]
; %bb.916:
	v_xor_b32_e32 v21, 0x80000000, v25
	ds_write_b32 v20, v21 offset:8384
; %bb.917:
	s_or_b64 exec, exec, s[0:1]
	s_waitcnt lgkmcnt(0)
	s_barrier
	s_barrier
	s_mov_b64 s[0:1], exec
	v_readlane_b32 s10, v33, 61
	v_readlane_b32 s11, v33, 62
	s_and_b64 s[10:11], s[0:1], s[10:11]
	s_mov_b64 exec, s[10:11]
	s_cbranch_execz .LBB9_919
; %bb.918:
	v_lshlrev_b32_e32 v20, 8, v0
	ds_read_b32 v21, v20 offset:8384
	s_movk_i32 s10, 0xff04
	v_mad_i32_i24 v22, v0, s10, v20
	s_waitcnt lgkmcnt(0)
	ds_write_b32 v22, v21 offset:12416
	ds_read_b32 v21, v20 offset:8388
	s_waitcnt lgkmcnt(0)
	ds_write_b32 v22, v21 offset:12672
	ds_read_b32 v21, v20 offset:8392
	;; [unrolled: 3-line block ×15, first 2 shown]
	s_waitcnt lgkmcnt(0)
	ds_write_b32 v22, v20 offset:16256
.LBB9_919:
	s_or_b64 exec, exec, s[0:1]
	s_waitcnt lgkmcnt(0)
	s_barrier
	s_and_saveexec_b64 s[0:1], vcc
	s_cbranch_execz .LBB9_921
; %bb.920:
	v_mov_b32_e32 v22, 0
	ds_read_b32 v20, v22 offset:12484
	v_mov_b32_e32 v21, 1.0
	ds_write_b32 v22, v21 offset:12480
	s_waitcnt lgkmcnt(1)
	ds_write_b64 v22, v[20:21] offset:12736
.LBB9_921:
	s_or_b64 exec, exec, s[0:1]
	v_mov_b32_e32 v20, 0
	s_waitcnt lgkmcnt(0)
	s_barrier
	s_and_saveexec_b64 s[0:1], s[2:3]
	s_cbranch_execz .LBB9_925
; %bb.922:
	v_mul_u32_u24_e32 v20, 0x104, v5
	ds_read_b32 v22, v2 offset:12488
	ds_read_b32 v20, v20 offset:12480
	v_mov_b32_e32 v21, 0
	v_cmp_gt_u32_e64 s[10:11], 2, v4
	s_waitcnt lgkmcnt(0)
	v_fma_f32 v20, v22, v20, 0
	s_and_saveexec_b64 s[12:13], s[10:11]
	s_cbranch_execz .LBB9_924
; %bb.923:
	v_lshlrev_b32_e32 v22, 2, v0
	ds_read_b32 v22, v22 offset:12744
	ds_read_b32 v21, v21 offset:12484
	s_waitcnt lgkmcnt(0)
	v_fmac_f32_e32 v20, v22, v21
.LBB9_924:
	s_or_b64 exec, exec, s[12:13]
	v_xor_b32_e32 v20, 0x80000000, v20
.LBB9_925:
	s_or_b64 exec, exec, s[0:1]
	s_and_saveexec_b64 s[0:1], s[30:31]
; %bb.926:
	ds_write_b32 v3, v20
; %bb.927:
	s_or_b64 exec, exec, s[0:1]
	s_waitcnt lgkmcnt(0)
	s_barrier
	s_and_saveexec_b64 s[0:1], s[28:29]
	s_cbranch_execz .LBB9_929
; %bb.928:
	v_mov_b32_e32 v21, 0
	ds_read_b32 v21, v21 offset:13004
	ds_read_b32 v22, v3
	s_waitcnt lgkmcnt(0)
	v_fmac_f32_e32 v20, v21, v22
.LBB9_929:
	s_or_b64 exec, exec, s[0:1]
	s_barrier
	s_and_saveexec_b64 s[0:1], s[28:29]
; %bb.930:
	ds_write_b32 v3, v20
; %bb.931:
	s_or_b64 exec, exec, s[0:1]
	s_waitcnt lgkmcnt(0)
	s_barrier
	s_barrier
	s_and_saveexec_b64 s[0:1], s[2:3]
; %bb.932:
	v_xor_b32_e32 v20, 0x80000000, v20
	ds_write_b32 v2, v20 offset:12488
; %bb.933:
	s_or_b64 exec, exec, s[0:1]
	s_waitcnt lgkmcnt(0)
	s_barrier
	s_barrier
	s_and_saveexec_b64 s[0:1], s[34:35]
	s_cbranch_execz .LBB9_935
; %bb.934:
	v_lshlrev_b32_e32 v20, 2, v0
	s_movk_i32 s10, 0xfc
	v_mad_u32_u24 v21, v0, s10, v20
	ds_read_b32 v22, v21 offset:12488
	s_waitcnt lgkmcnt(0)
	ds_write_b32 v20, v22 offset:12992
	ds_read_b32 v21, v21 offset:12492
	s_waitcnt lgkmcnt(0)
	ds_write_b32 v20, v21 offset:13248
.LBB9_935:
	s_or_b64 exec, exec, s[0:1]
	s_waitcnt lgkmcnt(0)
	s_barrier
	s_and_saveexec_b64 s[0:1], vcc
	s_cbranch_execz .LBB9_937
; %bb.936:
	v_mov_b32_e32 v22, 0
	ds_read_b32 v20, v22 offset:13004
	v_mov_b32_e32 v21, 1.0
	ds_write_b32 v22, v21 offset:13000
	s_waitcnt lgkmcnt(1)
	ds_write_b64 v22, v[20:21] offset:13256
.LBB9_937:
	s_or_b64 exec, exec, s[0:1]
	v_mov_b32_e32 v20, 0
	s_waitcnt lgkmcnt(0)
	s_barrier
	s_and_saveexec_b64 s[0:1], s[18:19]
	s_cbranch_execz .LBB9_943
; %bb.938:
	v_mul_u32_u24_e32 v21, 0x104, v14
	ds_read_b32 v20, v10 offset:12496
	ds_read_b32 v22, v21 offset:12480
	v_cmp_gt_u32_e64 s[10:11], 12, v4
	s_waitcnt lgkmcnt(0)
	v_fma_f32 v20, v20, v22, 0
	s_and_saveexec_b64 s[12:13], s[10:11]
	s_cbranch_execnz .LBB9_1210
; %bb.939:
	s_or_b64 exec, exec, s[12:13]
	v_cmp_gt_u32_e64 s[10:11], 8, v4
	s_and_saveexec_b64 s[12:13], s[10:11]
	s_cbranch_execnz .LBB9_1211
.LBB9_940:
	s_or_b64 exec, exec, s[12:13]
	v_cmp_gt_u32_e64 s[10:11], 4, v4
	s_and_saveexec_b64 s[12:13], s[10:11]
	s_cbranch_execz .LBB9_942
.LBB9_941:
	v_lshlrev_b32_e32 v21, 2, v0
	v_mov_b32_e32 v22, 0
	ds_read_b32 v21, v21 offset:13264
	ds_read_b32 v22, v22 offset:12492
	s_waitcnt lgkmcnt(0)
	v_fmac_f32_e32 v20, v21, v22
.LBB9_942:
	s_or_b64 exec, exec, s[12:13]
	v_xor_b32_e32 v20, 0x80000000, v20
.LBB9_943:
	s_or_b64 exec, exec, s[0:1]
	s_and_saveexec_b64 s[0:1], s[38:39]
; %bb.944:
	ds_write_b32 v12, v20
; %bb.945:
	s_or_b64 exec, exec, s[0:1]
	s_waitcnt lgkmcnt(0)
	s_barrier
	s_and_saveexec_b64 s[0:1], s[42:43]
	s_cbranch_execz .LBB9_947
; %bb.946:
	ds_read_b32 v21, v11 offset:13520
	ds_read_b32 v22, v12
	s_waitcnt lgkmcnt(0)
	v_fmac_f32_e32 v20, v21, v22
.LBB9_947:
	s_or_b64 exec, exec, s[0:1]
	s_barrier
	s_and_saveexec_b64 s[0:1], s[44:45]
; %bb.948:
	ds_write_b32 v12, v20
; %bb.949:
	s_or_b64 exec, exec, s[0:1]
	s_waitcnt lgkmcnt(0)
	s_barrier
	s_and_saveexec_b64 s[0:1], s[52:53]
	s_cbranch_execz .LBB9_951
; %bb.950:
	ds_read_b32 v21, v11 offset:13776
	ds_read_b32 v22, v12
	s_waitcnt lgkmcnt(0)
	v_fmac_f32_e32 v20, v21, v22
.LBB9_951:
	s_or_b64 exec, exec, s[0:1]
	s_barrier
	s_and_saveexec_b64 s[0:1], s[54:55]
; %bb.952:
	ds_write_b32 v12, v20
; %bb.953:
	s_or_b64 exec, exec, s[0:1]
	s_waitcnt lgkmcnt(0)
	s_barrier
	s_and_saveexec_b64 s[0:1], s[36:37]
	s_cbranch_execz .LBB9_955
; %bb.954:
	v_mov_b32_e32 v21, 0
	ds_read_b32 v21, v21 offset:14044
	ds_read_b32 v22, v12
	s_waitcnt lgkmcnt(0)
	v_fmac_f32_e32 v20, v21, v22
.LBB9_955:
	s_or_b64 exec, exec, s[0:1]
	s_barrier
	s_and_saveexec_b64 s[0:1], s[36:37]
; %bb.956:
	ds_write_b32 v12, v20
; %bb.957:
	s_or_b64 exec, exec, s[0:1]
	s_waitcnt lgkmcnt(0)
	s_barrier
	s_barrier
	s_and_saveexec_b64 s[0:1], s[18:19]
; %bb.958:
	v_xor_b32_e32 v20, 0x80000000, v20
	ds_write_b32 v10, v20 offset:12496
; %bb.959:
	s_or_b64 exec, exec, s[0:1]
	s_waitcnt lgkmcnt(0)
	s_barrier
	s_barrier
	s_and_saveexec_b64 s[0:1], s[56:57]
	s_cbranch_execz .LBB9_961
; %bb.960:
	v_lshlrev_b32_e32 v20, 8, v0
	ds_read_b32 v21, v20 offset:12496
	s_movk_i32 s10, 0xff04
	v_mad_i32_i24 v22, v0, s10, v20
	s_waitcnt lgkmcnt(0)
	ds_write_b32 v22, v21 offset:13504
	ds_read_b32 v21, v20 offset:12500
	s_waitcnt lgkmcnt(0)
	ds_write_b32 v22, v21 offset:13760
	ds_read_b32 v21, v20 offset:12504
	;; [unrolled: 3-line block ×3, first 2 shown]
	s_waitcnt lgkmcnt(0)
	ds_write_b32 v22, v20 offset:14272
.LBB9_961:
	s_or_b64 exec, exec, s[0:1]
	s_waitcnt lgkmcnt(0)
	s_barrier
	s_and_saveexec_b64 s[0:1], vcc
	s_cbranch_execz .LBB9_963
; %bb.962:
	v_mov_b32_e32 v22, 0
	ds_read_b32 v20, v22 offset:13524
	v_mov_b32_e32 v21, 1.0
	ds_write_b32 v22, v21 offset:13520
	s_waitcnt lgkmcnt(1)
	ds_write_b64 v22, v[20:21] offset:13776
.LBB9_963:
	s_or_b64 exec, exec, s[0:1]
	v_mov_b32_e32 v20, 0
	s_waitcnt lgkmcnt(0)
	s_barrier
	s_and_saveexec_b64 s[0:1], s[2:3]
	s_cbranch_execz .LBB9_967
; %bb.964:
	v_mul_u32_u24_e32 v20, 0x104, v5
	ds_read_b32 v22, v2 offset:13528
	ds_read_b32 v20, v20 offset:13520
	v_mov_b32_e32 v21, 0
	v_cmp_gt_u32_e64 s[10:11], 2, v4
	s_waitcnt lgkmcnt(0)
	v_fma_f32 v20, v22, v20, 0
	s_and_saveexec_b64 s[12:13], s[10:11]
	s_cbranch_execz .LBB9_966
; %bb.965:
	v_lshlrev_b32_e32 v22, 2, v0
	ds_read_b32 v22, v22 offset:13784
	ds_read_b32 v21, v21 offset:13524
	s_waitcnt lgkmcnt(0)
	v_fmac_f32_e32 v20, v22, v21
.LBB9_966:
	s_or_b64 exec, exec, s[12:13]
	v_xor_b32_e32 v20, 0x80000000, v20
.LBB9_967:
	s_or_b64 exec, exec, s[0:1]
	s_and_saveexec_b64 s[0:1], s[30:31]
; %bb.968:
	ds_write_b32 v3, v20
; %bb.969:
	s_or_b64 exec, exec, s[0:1]
	s_waitcnt lgkmcnt(0)
	s_barrier
	s_and_saveexec_b64 s[0:1], s[28:29]
	s_cbranch_execz .LBB9_971
; %bb.970:
	v_mov_b32_e32 v21, 0
	ds_read_b32 v21, v21 offset:14044
	ds_read_b32 v22, v3
	s_waitcnt lgkmcnt(0)
	v_fmac_f32_e32 v20, v21, v22
.LBB9_971:
	s_or_b64 exec, exec, s[0:1]
	s_barrier
	s_and_saveexec_b64 s[0:1], s[28:29]
; %bb.972:
	ds_write_b32 v3, v20
; %bb.973:
	s_or_b64 exec, exec, s[0:1]
	s_waitcnt lgkmcnt(0)
	s_barrier
	s_barrier
	s_and_saveexec_b64 s[0:1], s[2:3]
; %bb.974:
	v_xor_b32_e32 v20, 0x80000000, v20
	ds_write_b32 v2, v20 offset:13528
; %bb.975:
	s_or_b64 exec, exec, s[0:1]
	s_waitcnt lgkmcnt(0)
	s_barrier
	s_barrier
	s_and_saveexec_b64 s[0:1], s[34:35]
	s_cbranch_execz .LBB9_977
; %bb.976:
	v_lshlrev_b32_e32 v20, 2, v0
	s_movk_i32 s10, 0xfc
	v_mad_u32_u24 v21, v0, s10, v20
	ds_read_b32 v22, v21 offset:13528
	s_waitcnt lgkmcnt(0)
	ds_write_b32 v20, v22 offset:14032
	ds_read_b32 v21, v21 offset:13532
	s_waitcnt lgkmcnt(0)
	ds_write_b32 v20, v21 offset:14288
.LBB9_977:
	s_or_b64 exec, exec, s[0:1]
	s_waitcnt lgkmcnt(0)
	s_barrier
	s_and_saveexec_b64 s[0:1], vcc
	s_cbranch_execz .LBB9_979
; %bb.978:
	v_mov_b32_e32 v22, 0
	ds_read_b32 v20, v22 offset:14044
	v_mov_b32_e32 v21, 1.0
	ds_write_b32 v22, v21 offset:14040
	s_waitcnt lgkmcnt(1)
	ds_write_b64 v22, v[20:21] offset:14296
.LBB9_979:
	s_or_b64 exec, exec, s[0:1]
	v_mov_b32_e32 v20, 0
	s_waitcnt lgkmcnt(0)
	s_barrier
	s_and_saveexec_b64 s[0:1], s[8:9]
	s_cbranch_execz .LBB9_989
; %bb.980:
	v_mul_u32_u24_e32 v21, 0x104, v19
	ds_read_b32 v20, v15 offset:12512
	ds_read_b32 v22, v21 offset:12480
	v_cmp_gt_u32_e64 s[10:11], 56, v4
	s_waitcnt lgkmcnt(0)
	v_fma_f32 v20, v20, v22, 0
	s_and_saveexec_b64 s[12:13], s[10:11]
	s_cbranch_execnz .LBB9_1212
; %bb.981:
	s_or_b64 exec, exec, s[12:13]
	v_cmp_gt_u32_e64 s[10:11], 48, v4
	s_and_saveexec_b64 s[12:13], s[10:11]
	s_cbranch_execnz .LBB9_1213
.LBB9_982:
	s_or_b64 exec, exec, s[12:13]
	v_cmp_gt_u32_e64 s[10:11], 40, v4
	s_and_saveexec_b64 s[12:13], s[10:11]
	s_cbranch_execnz .LBB9_1214
.LBB9_983:
	s_or_b64 exec, exec, s[12:13]
	v_cmp_gt_u32_e64 s[10:11], 32, v4
	s_and_saveexec_b64 s[12:13], s[10:11]
	s_cbranch_execnz .LBB9_1215
.LBB9_984:
	s_or_b64 exec, exec, s[12:13]
	v_cmp_gt_u32_e64 s[10:11], 24, v4
	s_and_saveexec_b64 s[12:13], s[10:11]
	s_cbranch_execnz .LBB9_1216
.LBB9_985:
	s_or_b64 exec, exec, s[12:13]
	v_cmp_gt_u32_e64 s[10:11], 16, v4
	s_and_saveexec_b64 s[12:13], s[10:11]
	s_cbranch_execnz .LBB9_1217
.LBB9_986:
	s_or_b64 exec, exec, s[12:13]
	v_cmp_gt_u32_e64 s[10:11], 8, v4
	s_and_saveexec_b64 s[12:13], s[10:11]
	s_cbranch_execz .LBB9_988
.LBB9_987:
	v_lshlrev_b32_e32 v18, 2, v0
	v_mov_b32_e32 v19, 0
	ds_read_b32 v18, v18 offset:14304
	ds_read_b32 v19, v19 offset:12508
	s_waitcnt lgkmcnt(0)
	v_fmac_f32_e32 v20, v18, v19
.LBB9_988:
	s_or_b64 exec, exec, s[12:13]
	v_xor_b32_e32 v20, 0x80000000, v20
.LBB9_989:
	s_or_b64 exec, exec, s[0:1]
	s_and_saveexec_b64 s[0:1], s[58:59]
; %bb.990:
	ds_write_b32 v17, v20
; %bb.991:
	s_or_b64 exec, exec, s[0:1]
	s_waitcnt lgkmcnt(0)
	s_barrier
	s_and_saveexec_b64 s[0:1], s[60:61]
	s_cbranch_execz .LBB9_993
; %bb.992:
	ds_read_b32 v18, v16 offset:14560
	ds_read_b32 v19, v17
	s_waitcnt lgkmcnt(0)
	v_fmac_f32_e32 v20, v18, v19
.LBB9_993:
	s_or_b64 exec, exec, s[0:1]
	s_barrier
	s_and_saveexec_b64 s[0:1], s[62:63]
; %bb.994:
	ds_write_b32 v17, v20
; %bb.995:
	s_or_b64 exec, exec, s[0:1]
	s_waitcnt lgkmcnt(0)
	s_barrier
	s_and_saveexec_b64 s[0:1], s[64:65]
	s_cbranch_execz .LBB9_997
; %bb.996:
	ds_read_b32 v18, v16 offset:14816
	ds_read_b32 v19, v17
	s_waitcnt lgkmcnt(0)
	v_fmac_f32_e32 v20, v18, v19
.LBB9_997:
	s_or_b64 exec, exec, s[0:1]
	s_barrier
	;; [unrolled: 17-line block ×6, first 2 shown]
	s_and_saveexec_b64 s[0:1], s[84:85]
; %bb.1014:
	ds_write_b32 v17, v20
; %bb.1015:
	s_or_b64 exec, exec, s[0:1]
	s_waitcnt lgkmcnt(0)
	s_barrier
	s_and_saveexec_b64 s[0:1], s[66:67]
	s_cbranch_execz .LBB9_1017
; %bb.1016:
	v_mov_b32_e32 v16, 0
	ds_read_b32 v16, v16 offset:16124
	ds_read_b32 v18, v17
	s_waitcnt lgkmcnt(0)
	v_fmac_f32_e32 v20, v16, v18
.LBB9_1017:
	s_or_b64 exec, exec, s[0:1]
	s_barrier
	s_and_saveexec_b64 s[0:1], s[66:67]
; %bb.1018:
	ds_write_b32 v17, v20
; %bb.1019:
	s_or_b64 exec, exec, s[0:1]
	s_waitcnt lgkmcnt(0)
	s_barrier
	s_barrier
	s_and_saveexec_b64 s[0:1], s[8:9]
; %bb.1020:
	v_xor_b32_e32 v16, 0x80000000, v20
	ds_write_b32 v15, v16 offset:12512
; %bb.1021:
	s_or_b64 exec, exec, s[0:1]
	s_waitcnt lgkmcnt(0)
	s_barrier
	s_barrier
	s_and_saveexec_b64 s[0:1], s[86:87]
	s_cbranch_execz .LBB9_1023
; %bb.1022:
	v_lshlrev_b32_e32 v15, 8, v0
	ds_read_b32 v16, v15 offset:12512
	s_movk_i32 s8, 0xff04
	v_mad_i32_i24 v17, v0, s8, v15
	s_waitcnt lgkmcnt(0)
	ds_write_b32 v17, v16 offset:14528
	ds_read_b32 v16, v15 offset:12516
	s_waitcnt lgkmcnt(0)
	ds_write_b32 v17, v16 offset:14784
	ds_read_b32 v16, v15 offset:12520
	;; [unrolled: 3-line block ×7, first 2 shown]
	s_waitcnt lgkmcnt(0)
	ds_write_b32 v17, v15 offset:16320
.LBB9_1023:
	s_or_b64 exec, exec, s[0:1]
	s_waitcnt lgkmcnt(0)
	s_barrier
	s_and_saveexec_b64 s[0:1], vcc
	s_cbranch_execz .LBB9_1025
; %bb.1024:
	v_mov_b32_e32 v17, 0
	ds_read_b32 v15, v17 offset:14564
	v_mov_b32_e32 v16, 1.0
	ds_write_b32 v17, v16 offset:14560
	s_waitcnt lgkmcnt(1)
	ds_write_b64 v17, v[15:16] offset:14816
.LBB9_1025:
	s_or_b64 exec, exec, s[0:1]
	v_mov_b32_e32 v15, 0
	s_waitcnt lgkmcnt(0)
	s_barrier
	s_and_saveexec_b64 s[0:1], s[2:3]
	s_cbranch_execz .LBB9_1029
; %bb.1026:
	v_mul_u32_u24_e32 v15, 0x104, v5
	ds_read_b32 v17, v2 offset:14568
	ds_read_b32 v15, v15 offset:14560
	v_mov_b32_e32 v16, 0
	v_cmp_gt_u32_e64 s[8:9], 2, v4
	s_waitcnt lgkmcnt(0)
	v_fma_f32 v15, v17, v15, 0
	s_and_saveexec_b64 s[10:11], s[8:9]
	s_cbranch_execz .LBB9_1028
; %bb.1027:
	v_lshlrev_b32_e32 v17, 2, v0
	ds_read_b32 v17, v17 offset:14824
	ds_read_b32 v16, v16 offset:14564
	s_waitcnt lgkmcnt(0)
	v_fmac_f32_e32 v15, v17, v16
.LBB9_1028:
	s_or_b64 exec, exec, s[10:11]
	v_xor_b32_e32 v15, 0x80000000, v15
.LBB9_1029:
	s_or_b64 exec, exec, s[0:1]
	s_and_saveexec_b64 s[0:1], s[30:31]
; %bb.1030:
	ds_write_b32 v3, v15
; %bb.1031:
	s_or_b64 exec, exec, s[0:1]
	s_waitcnt lgkmcnt(0)
	s_barrier
	s_and_saveexec_b64 s[0:1], s[28:29]
	s_cbranch_execz .LBB9_1033
; %bb.1032:
	v_mov_b32_e32 v16, 0
	ds_read_b32 v16, v16 offset:15084
	ds_read_b32 v17, v3
	s_waitcnt lgkmcnt(0)
	v_fmac_f32_e32 v15, v16, v17
.LBB9_1033:
	s_or_b64 exec, exec, s[0:1]
	s_barrier
	s_and_saveexec_b64 s[0:1], s[28:29]
; %bb.1034:
	ds_write_b32 v3, v15
; %bb.1035:
	s_or_b64 exec, exec, s[0:1]
	s_waitcnt lgkmcnt(0)
	s_barrier
	s_barrier
	s_and_saveexec_b64 s[0:1], s[2:3]
; %bb.1036:
	v_xor_b32_e32 v15, 0x80000000, v15
	ds_write_b32 v2, v15 offset:14568
; %bb.1037:
	s_or_b64 exec, exec, s[0:1]
	s_waitcnt lgkmcnt(0)
	s_barrier
	s_barrier
	s_and_saveexec_b64 s[0:1], s[34:35]
	s_cbranch_execz .LBB9_1039
; %bb.1038:
	v_lshlrev_b32_e32 v15, 2, v0
	s_movk_i32 s8, 0xfc
	v_mad_u32_u24 v16, v0, s8, v15
	ds_read_b32 v17, v16 offset:14568
	s_waitcnt lgkmcnt(0)
	ds_write_b32 v15, v17 offset:15072
	ds_read_b32 v16, v16 offset:14572
	s_waitcnt lgkmcnt(0)
	ds_write_b32 v15, v16 offset:15328
.LBB9_1039:
	s_or_b64 exec, exec, s[0:1]
	s_waitcnt lgkmcnt(0)
	s_barrier
	s_and_saveexec_b64 s[0:1], vcc
	s_cbranch_execz .LBB9_1041
; %bb.1040:
	v_mov_b32_e32 v17, 0
	ds_read_b32 v15, v17 offset:15084
	v_mov_b32_e32 v16, 1.0
	ds_write_b32 v17, v16 offset:15080
	s_waitcnt lgkmcnt(1)
	ds_write_b64 v17, v[15:16] offset:15336
.LBB9_1041:
	s_or_b64 exec, exec, s[0:1]
	v_mov_b32_e32 v15, 0
	s_waitcnt lgkmcnt(0)
	s_barrier
	s_and_saveexec_b64 s[0:1], s[18:19]
	s_cbranch_execz .LBB9_1047
; %bb.1042:
	v_mul_u32_u24_e32 v16, 0x104, v14
	ds_read_b32 v15, v10 offset:14576
	ds_read_b32 v17, v16 offset:14560
	v_cmp_gt_u32_e64 s[8:9], 12, v4
	s_waitcnt lgkmcnt(0)
	v_fma_f32 v15, v15, v17, 0
	s_and_saveexec_b64 s[10:11], s[8:9]
	s_cbranch_execnz .LBB9_1218
; %bb.1043:
	s_or_b64 exec, exec, s[10:11]
	v_cmp_gt_u32_e64 s[8:9], 8, v4
	s_and_saveexec_b64 s[10:11], s[8:9]
	s_cbranch_execnz .LBB9_1219
.LBB9_1044:
	s_or_b64 exec, exec, s[10:11]
	v_cmp_gt_u32_e64 s[8:9], 4, v4
	s_and_saveexec_b64 s[10:11], s[8:9]
	s_cbranch_execz .LBB9_1046
.LBB9_1045:
	v_lshlrev_b32_e32 v13, 2, v0
	v_mov_b32_e32 v14, 0
	ds_read_b32 v13, v13 offset:15344
	ds_read_b32 v14, v14 offset:14572
	s_waitcnt lgkmcnt(0)
	v_fmac_f32_e32 v15, v13, v14
.LBB9_1046:
	s_or_b64 exec, exec, s[10:11]
	v_xor_b32_e32 v15, 0x80000000, v15
.LBB9_1047:
	s_or_b64 exec, exec, s[0:1]
	s_and_saveexec_b64 s[0:1], s[38:39]
; %bb.1048:
	ds_write_b32 v12, v15
; %bb.1049:
	s_or_b64 exec, exec, s[0:1]
	s_waitcnt lgkmcnt(0)
	s_barrier
	s_and_saveexec_b64 s[0:1], s[42:43]
	v_readlane_b32 s38, v33, 1
	v_readlane_b32 s39, v33, 2
	s_cbranch_execz .LBB9_1051
; %bb.1050:
	ds_read_b32 v13, v11 offset:15600
	ds_read_b32 v14, v12
	s_waitcnt lgkmcnt(0)
	v_fmac_f32_e32 v15, v13, v14
.LBB9_1051:
	s_or_b64 exec, exec, s[0:1]
	s_barrier
	s_and_saveexec_b64 s[0:1], s[44:45]
; %bb.1052:
	ds_write_b32 v12, v15
; %bb.1053:
	s_or_b64 exec, exec, s[0:1]
	s_waitcnt lgkmcnt(0)
	s_barrier
	s_and_saveexec_b64 s[0:1], s[52:53]
	s_cbranch_execz .LBB9_1055
; %bb.1054:
	ds_read_b32 v11, v11 offset:15856
	ds_read_b32 v13, v12
	s_waitcnt lgkmcnt(0)
	v_fmac_f32_e32 v15, v11, v13
.LBB9_1055:
	s_or_b64 exec, exec, s[0:1]
	s_barrier
	s_and_saveexec_b64 s[0:1], s[54:55]
; %bb.1056:
	ds_write_b32 v12, v15
; %bb.1057:
	s_or_b64 exec, exec, s[0:1]
	s_waitcnt lgkmcnt(0)
	s_barrier
	s_and_saveexec_b64 s[0:1], s[36:37]
	s_cbranch_execz .LBB9_1059
; %bb.1058:
	v_mov_b32_e32 v11, 0
	ds_read_b32 v11, v11 offset:16124
	ds_read_b32 v13, v12
	s_waitcnt lgkmcnt(0)
	v_fmac_f32_e32 v15, v11, v13
.LBB9_1059:
	s_or_b64 exec, exec, s[0:1]
	s_barrier
	s_and_saveexec_b64 s[0:1], s[36:37]
; %bb.1060:
	ds_write_b32 v12, v15
; %bb.1061:
	s_or_b64 exec, exec, s[0:1]
	s_waitcnt lgkmcnt(0)
	s_barrier
	s_barrier
	s_and_saveexec_b64 s[0:1], s[18:19]
; %bb.1062:
	v_xor_b32_e32 v11, 0x80000000, v15
	ds_write_b32 v10, v11 offset:14576
; %bb.1063:
	s_or_b64 exec, exec, s[0:1]
	s_waitcnt lgkmcnt(0)
	s_barrier
	s_barrier
	s_and_saveexec_b64 s[0:1], s[56:57]
	s_cbranch_execz .LBB9_1065
; %bb.1064:
	v_lshlrev_b32_e32 v10, 8, v0
	ds_read_b32 v11, v10 offset:14576
	s_movk_i32 s8, 0xff04
	v_mad_i32_i24 v12, v0, s8, v10
	s_waitcnt lgkmcnt(0)
	ds_write_b32 v12, v11 offset:15584
	ds_read_b32 v11, v10 offset:14580
	s_waitcnt lgkmcnt(0)
	ds_write_b32 v12, v11 offset:15840
	ds_read_b32 v11, v10 offset:14584
	;; [unrolled: 3-line block ×3, first 2 shown]
	s_waitcnt lgkmcnt(0)
	ds_write_b32 v12, v10 offset:16352
.LBB9_1065:
	s_or_b64 exec, exec, s[0:1]
	s_waitcnt lgkmcnt(0)
	s_barrier
	s_and_saveexec_b64 s[0:1], vcc
	s_cbranch_execz .LBB9_1067
; %bb.1066:
	v_mov_b32_e32 v12, 0
	ds_read_b32 v10, v12 offset:15604
	v_mov_b32_e32 v11, 1.0
	ds_write_b32 v12, v11 offset:15600
	s_waitcnt lgkmcnt(1)
	ds_write_b64 v12, v[10:11] offset:15856
.LBB9_1067:
	s_or_b64 exec, exec, s[0:1]
	v_mov_b32_e32 v10, 0
	s_waitcnt lgkmcnt(0)
	s_barrier
	s_and_saveexec_b64 s[0:1], s[2:3]
	s_cbranch_execz .LBB9_1071
; %bb.1068:
	v_mul_u32_u24_e32 v5, 0x104, v5
	ds_read_b32 v11, v2 offset:15608
	ds_read_b32 v5, v5 offset:15600
	v_mov_b32_e32 v10, 0
	v_cmp_gt_u32_e64 s[8:9], 2, v4
	s_waitcnt lgkmcnt(0)
	v_fma_f32 v5, v11, v5, 0
	s_and_saveexec_b64 s[10:11], s[8:9]
	s_cbranch_execz .LBB9_1070
; %bb.1069:
	v_lshlrev_b32_e32 v4, 2, v0
	ds_read_b32 v4, v4 offset:15864
	ds_read_b32 v10, v10 offset:15604
	s_waitcnt lgkmcnt(0)
	v_fmac_f32_e32 v5, v4, v10
.LBB9_1070:
	s_or_b64 exec, exec, s[10:11]
	v_xor_b32_e32 v10, 0x80000000, v5
.LBB9_1071:
	s_or_b64 exec, exec, s[0:1]
	s_and_saveexec_b64 s[0:1], s[30:31]
; %bb.1072:
	ds_write_b32 v3, v10
; %bb.1073:
	s_or_b64 exec, exec, s[0:1]
	s_waitcnt lgkmcnt(0)
	s_barrier
	s_and_saveexec_b64 s[0:1], s[28:29]
	v_readlane_b32 s18, v33, 0
	s_cbranch_execz .LBB9_1075
; %bb.1074:
	v_mov_b32_e32 v4, 0
	ds_read_b32 v4, v4 offset:16124
	ds_read_b32 v5, v3
	s_waitcnt lgkmcnt(0)
	v_fmac_f32_e32 v10, v4, v5
.LBB9_1075:
	s_or_b64 exec, exec, s[0:1]
	s_barrier
	s_and_saveexec_b64 s[0:1], s[28:29]
; %bb.1076:
	ds_write_b32 v3, v10
; %bb.1077:
	s_or_b64 exec, exec, s[0:1]
	s_waitcnt lgkmcnt(0)
	s_barrier
	s_barrier
	s_and_saveexec_b64 s[0:1], s[2:3]
; %bb.1078:
	v_xor_b32_e32 v3, 0x80000000, v10
	ds_write_b32 v2, v3 offset:15608
; %bb.1079:
	s_or_b64 exec, exec, s[0:1]
	s_waitcnt lgkmcnt(0)
	s_barrier
	s_barrier
	s_and_saveexec_b64 s[0:1], s[34:35]
	s_cbranch_execz .LBB9_1081
; %bb.1080:
	v_lshlrev_b32_e32 v2, 2, v0
	s_movk_i32 s2, 0xfc
	v_mad_u32_u24 v3, v0, s2, v2
	ds_read_b32 v4, v3 offset:15608
	s_waitcnt lgkmcnt(0)
	ds_write_b32 v2, v4 offset:16112
	ds_read_b32 v3, v3 offset:15612
	s_waitcnt lgkmcnt(0)
	ds_write_b32 v2, v3 offset:16368
.LBB9_1081:
	s_or_b64 exec, exec, s[0:1]
	s_waitcnt lgkmcnt(0)
	s_barrier
	s_and_saveexec_b64 s[0:1], vcc
	s_cbranch_execz .LBB9_1083
; %bb.1082:
	v_mov_b32_e32 v4, 0
	ds_read_b32 v2, v4 offset:16124
	v_mov_b32_e32 v3, 1.0
	ds_write_b32 v4, v3 offset:16120
	s_waitcnt lgkmcnt(1)
	ds_write_b64 v4, v[2:3] offset:16376
.LBB9_1083:
	s_or_b64 exec, exec, s[0:1]
.LBB9_1084:
	s_load_dwordx4 s[12:15], s[4:5], 0x48
	v_cmp_le_i32_e32 vcc, s90, v0
	v_mov_b32_e32 v11, 0
	v_lshl_add_u32 v2, s33, 6, v0
	s_waitcnt lgkmcnt(0)
	s_mul_i32 s1, s13, s22
	s_mul_hi_u32 s2, s12, s22
	s_mul_i32 s0, s12, s22
	s_add_i32 s1, s2, s1
	s_lshl_b64 s[0:1], s[0:1], 2
	s_add_u32 s2, s46, s0
	s_addc_u32 s3, s47, s1
	s_lshl_b64 s[0:1], s[48:49], 2
	s_add_u32 s20, s2, s0
	s_addc_u32 s21, s3, s1
	s_and_b64 s[16:17], vcc, s[26:27]
	v_cmp_eq_u32_e64 s[2:3], 0, v1
	s_xor_b64 s[0:1], s[16:17], -1
	s_and_b64 s[4:5], s[2:3], s[0:1]
	s_barrier
	s_and_saveexec_b64 s[0:1], s[4:5]
	s_cbranch_execz .LBB9_1086
; %bb.1085:
	v_ashrrev_i32_e32 v5, 31, v2
	v_mul_lo_u32 v10, s51, v2
	v_mad_u64_u32 v[3:4], s[4:5], s50, v2, 0
	v_mul_lo_u32 v5, s50, v5
	v_add3_u32 v4, v4, v5, v10
	v_lshlrev_b64 v[3:4], 2, v[3:4]
	v_mov_b32_e32 v5, s21
	v_add_co_u32_e32 v3, vcc, s20, v3
	v_addc_co_u32_e32 v4, vcc, v5, v4, vcc
	global_load_dword v3, v[3:4], off
	s_waitcnt vmcnt(0)
	v_mul_f32_e64 v11, v3, -s18
.LBB9_1086:
	s_or_b64 exec, exec, s[0:1]
	s_and_b32 s0, 0xffff, s93
	v_mad_u32_u24 v10, v1, s0, v0
	s_cmp_lt_i32 s6, 1
	v_cmp_eq_u32_e64 s[4:5], 0, v10
	s_cbranch_scc1 .LBB9_1112
; %bb.1087:
	v_ashrrev_i32_e32 v5, 31, v2
	v_mul_lo_u32 v12, s41, v2
	v_mad_u64_u32 v[3:4], s[0:1], s40, v2, 0
	v_mul_lo_u32 v5, s40, v5
	v_cmp_gt_i32_e64 s[8:9], s24, v2
	s_lshl_b64 s[0:1], s[22:23], 2
	s_add_u32 s0, s14, s0
	v_add3_u32 v4, v4, v5, v12
	v_lshlrev_b64 v[2:3], 2, v[3:4]
	v_mov_b32_e32 v5, 0x5000
	v_mov_b32_e32 v4, s92
	v_add_co_u32_e32 v14, vcc, s91, v2
	s_mov_b32 s28, 0
	s_addc_u32 s1, s15, s1
	v_cmp_gt_u32_e64 s[12:13], 64, v10
	v_lshl_add_u32 v12, v10, 2, v5
	v_lshl_or_b32 v13, v1, 2, v5
	s_add_i32 s29, s33, 1
	v_addc_co_u32_e32 v15, vcc, v4, v3, vcc
	v_mov_b32_e32 v17, -1
	v_mov_b32_e32 v16, 0
	s_branch .LBB9_1090
.LBB9_1088:                             ;   in Loop: Header=BB9_1090 Depth=1
	ds_read_b32 v2, v13 offset:192
	s_waitcnt vmcnt(0) lgkmcnt(0)
	v_fmac_f32_e32 v11, v4, v2
.LBB9_1089:                             ;   in Loop: Header=BB9_1090 Depth=1
	s_or_b64 exec, exec, s[18:19]
	s_add_i32 s28, s28, 1
	s_cmp_eq_u32 s28, s6
	s_cbranch_scc1 .LBB9_1112
.LBB9_1090:                             ; =>This Loop Header: Depth=1
                                        ;     Child Loop BB9_1092 Depth 2
	v_cmp_gt_i32_e32 vcc, s28, v17
	s_and_b64 s[18:19], s[4:5], vcc
	s_and_saveexec_b64 s[10:11], s[18:19]
	s_cbranch_execz .LBB9_1093
; %bb.1091:                             ;   in Loop: Header=BB9_1090 Depth=1
	global_load_dword v17, v16, s[0:1]
	s_waitcnt vmcnt(0)
	v_cmp_le_i32_e32 vcc, s28, v17
	s_cbranch_vccnz .LBB9_1093
.LBB9_1092:                             ;   Parent Loop BB9_1090 Depth=1
                                        ; =>  This Inner Loop Header: Depth=2
	buffer_wbinvl1_vol
	global_load_dword v17, v16, s[0:1]
	s_waitcnt vmcnt(0)
	v_cmp_gt_i32_e32 vcc, s28, v17
	s_cbranch_vccnz .LBB9_1092
.LBB9_1093:                             ;   in Loop: Header=BB9_1090 Depth=1
	s_or_b64 exec, exec, s[10:11]
	s_sub_i32 s30, s7, s28
	s_lshl_b32 s31, s30, 6
	buffer_wbinvl1_vol
	s_barrier
	s_and_saveexec_b64 s[10:11], s[12:13]
	s_cbranch_execz .LBB9_1097
; %bb.1094:                             ;   in Loop: Header=BB9_1090 Depth=1
	s_ashr_i32 s18, s31, 31
	v_mov_b32_e32 v3, s18
	v_or_b32_e32 v2, s31, v10
	v_cmp_gt_i64_e32 vcc, s[24:25], v[2:3]
	v_mov_b32_e32 v4, 0
	s_and_saveexec_b64 s[18:19], vcc
	s_cbranch_execz .LBB9_1096
; %bb.1095:                             ;   in Loop: Header=BB9_1090 Depth=1
	v_mul_lo_u32 v4, v3, s50
	v_mul_lo_u32 v5, v2, s51
	v_mad_u64_u32 v[2:3], s[34:35], v2, s50, 0
	v_add3_u32 v3, v3, v5, v4
	v_lshlrev_b64 v[2:3], 2, v[2:3]
	v_mov_b32_e32 v4, s21
	v_add_co_u32_e32 v2, vcc, s20, v2
	v_addc_co_u32_e32 v3, vcc, v4, v3, vcc
	global_load_dword v4, v[2:3], off
.LBB9_1096:                             ;   in Loop: Header=BB9_1090 Depth=1
	s_or_b64 exec, exec, s[18:19]
	s_waitcnt vmcnt(0)
	ds_write_b32 v12, v4
.LBB9_1097:                             ;   in Loop: Header=BB9_1090 Depth=1
	s_or_b64 exec, exec, s[10:11]
	v_add_u32_e32 v4, s31, v1
	v_ashrrev_i32_e32 v5, 31, v4
	v_lshlrev_b64 v[2:3], 2, v[4:5]
	s_cmp_lg_u32 s30, s29
	v_add_co_u32_e32 v2, vcc, v14, v2
	s_cselect_b64 s[10:11], -1, 0
	v_addc_co_u32_e32 v3, vcc, v15, v3, vcc
	v_cmp_gt_i32_e32 vcc, s24, v4
	v_cndmask_b32_e64 v5, 0, 1, s[10:11]
	s_and_b64 s[30:31], vcc, s[8:9]
	v_cmp_ne_u32_e64 s[10:11], 1, v5
	s_waitcnt lgkmcnt(0)
	s_barrier
	s_and_saveexec_b64 s[18:19], s[30:31]
	s_cbranch_execz .LBB9_1101
; %bb.1098:                             ;   in Loop: Header=BB9_1090 Depth=1
	s_and_b64 vcc, exec, s[10:11]
	v_mov_b32_e32 v5, v7
	s_cbranch_vccnz .LBB9_1100
; %bb.1099:                             ;   in Loop: Header=BB9_1090 Depth=1
	global_load_dword v5, v[2:3], off
.LBB9_1100:                             ;   in Loop: Header=BB9_1090 Depth=1
	ds_read_b32 v18, v13
	s_waitcnt vmcnt(0) lgkmcnt(0)
	v_fmac_f32_e32 v11, v5, v18
.LBB9_1101:                             ;   in Loop: Header=BB9_1090 Depth=1
	s_or_b64 exec, exec, s[18:19]
	v_add_u32_e32 v5, 16, v4
	v_cmp_gt_i32_e32 vcc, s24, v5
	s_and_b64 s[30:31], vcc, s[8:9]
	s_and_saveexec_b64 s[18:19], s[30:31]
	s_cbranch_execz .LBB9_1105
; %bb.1102:                             ;   in Loop: Header=BB9_1090 Depth=1
	s_and_b64 vcc, exec, s[10:11]
	v_mov_b32_e32 v5, v6
	s_cbranch_vccnz .LBB9_1104
; %bb.1103:                             ;   in Loop: Header=BB9_1090 Depth=1
	global_load_dword v5, v[2:3], off offset:64
.LBB9_1104:                             ;   in Loop: Header=BB9_1090 Depth=1
	ds_read_b32 v18, v13 offset:64
	s_waitcnt vmcnt(0) lgkmcnt(0)
	v_fmac_f32_e32 v11, v5, v18
.LBB9_1105:                             ;   in Loop: Header=BB9_1090 Depth=1
	s_or_b64 exec, exec, s[18:19]
	v_add_u32_e32 v5, 32, v4
	v_cmp_gt_i32_e32 vcc, s24, v5
	s_and_b64 s[30:31], vcc, s[8:9]
	s_and_saveexec_b64 s[18:19], s[30:31]
	s_cbranch_execz .LBB9_1109
; %bb.1106:                             ;   in Loop: Header=BB9_1090 Depth=1
	s_and_b64 vcc, exec, s[10:11]
	v_mov_b32_e32 v5, v9
	s_cbranch_vccnz .LBB9_1108
; %bb.1107:                             ;   in Loop: Header=BB9_1090 Depth=1
	global_load_dword v5, v[2:3], off offset:128
.LBB9_1108:                             ;   in Loop: Header=BB9_1090 Depth=1
	ds_read_b32 v18, v13 offset:128
	s_waitcnt vmcnt(0) lgkmcnt(0)
	v_fmac_f32_e32 v11, v5, v18
.LBB9_1109:                             ;   in Loop: Header=BB9_1090 Depth=1
	s_or_b64 exec, exec, s[18:19]
	v_add_u32_e32 v4, 48, v4
	v_cmp_gt_i32_e32 vcc, s24, v4
	s_and_b64 s[30:31], vcc, s[8:9]
	s_and_saveexec_b64 s[18:19], s[30:31]
	s_cbranch_execz .LBB9_1089
; %bb.1110:                             ;   in Loop: Header=BB9_1090 Depth=1
	s_and_b64 vcc, exec, s[10:11]
	v_mov_b32_e32 v4, v8
	s_cbranch_vccnz .LBB9_1088
; %bb.1111:                             ;   in Loop: Header=BB9_1090 Depth=1
	global_load_dword v4, v[2:3], off offset:192
	s_branch .LBB9_1088
.LBB9_1112:
	v_lshl_add_u32 v2, v1, 6, v0
	s_xor_b64 s[0:1], s[26:27], -1
	v_lshlrev_b32_e32 v2, 2, v2
	ds_write_b32 v2, v11 offset:16384
	s_waitcnt lgkmcnt(0)
	s_barrier
	s_and_saveexec_b64 s[4:5], s[2:3]
	s_cbranch_execz .LBB9_1114
; %bb.1113:
	v_lshlrev_b32_e32 v9, 2, v0
	ds_read2st64_b32 v[3:4], v9 offset0:65 offset1:66
	ds_read2st64_b32 v[5:6], v9 offset0:67 offset1:68
	;; [unrolled: 1-line block ×5, first 2 shown]
	s_waitcnt lgkmcnt(4)
	v_add_f32_e32 v3, v11, v3
	v_add_f32_e32 v3, v3, v4
	s_waitcnt lgkmcnt(3)
	v_add_f32_e32 v3, v3, v5
	v_add_f32_e32 v3, v3, v6
	;; [unrolled: 3-line block ×4, first 2 shown]
	ds_read2st64_b32 v[3:4], v9 offset0:75 offset1:76
	ds_read2st64_b32 v[5:6], v9 offset0:77 offset1:78
	ds_read_b32 v8, v9 offset:20224
	s_waitcnt lgkmcnt(3)
	v_add_f32_e32 v7, v7, v14
	v_add_f32_e32 v7, v7, v15
	s_waitcnt lgkmcnt(2)
	v_add_f32_e32 v3, v7, v3
	v_add_f32_e32 v3, v3, v4
	s_waitcnt lgkmcnt(1)
	v_add_f32_e32 v3, v3, v5
	v_add_f32_e32 v3, v3, v6
	s_waitcnt lgkmcnt(0)
	v_add_f32_e32 v3, v3, v8
	v_cndmask_b32_e64 v11, -v3, 0, s[16:17]
.LBB9_1114:
	s_or_b64 exec, exec, s[4:5]
	s_and_b64 vcc, exec, s[38:39]
	s_cbranch_vccnz .LBB9_1128
; %bb.1115:
	v_mov_b32_e32 v3, 0x5000
	v_lshl_or_b32 v4, v1, 2, v3
	s_and_saveexec_b64 s[4:5], s[2:3]
; %bb.1116:
	v_lshl_add_u32 v3, v0, 2, v4
	ds_write_b32 v3, v11
; %bb.1117:
	s_or_b64 exec, exec, s[4:5]
	v_cmp_le_u32_e32 vcc, v0, v1
	v_mov_b32_e32 v3, 0
	s_waitcnt lgkmcnt(0)
	s_barrier
	s_and_saveexec_b64 s[4:5], vcc
	s_cbranch_execz .LBB9_1119
; %bb.1118:
	ds_read_b32 v3, v2
	ds_read_b32 v5, v4
	s_waitcnt lgkmcnt(0)
	v_fma_f32 v3, v3, v5, 0
.LBB9_1119:
	s_or_b64 exec, exec, s[4:5]
	v_add_u32_e32 v5, 16, v1
	v_cmp_le_u32_e32 vcc, v0, v5
	s_and_saveexec_b64 s[4:5], vcc
	s_cbranch_execz .LBB9_1121
; %bb.1120:
	ds_read_b32 v5, v2 offset:4096
	ds_read_b32 v6, v4 offset:64
	s_waitcnt lgkmcnt(0)
	v_fmac_f32_e32 v3, v5, v6
.LBB9_1121:
	s_or_b64 exec, exec, s[4:5]
	v_add_u32_e32 v5, 32, v1
	v_cmp_le_u32_e32 vcc, v0, v5
	s_and_saveexec_b64 s[4:5], vcc
	s_cbranch_execz .LBB9_1123
; %bb.1122:
	ds_read_b32 v5, v2 offset:8192
	ds_read_b32 v6, v4 offset:128
	s_waitcnt lgkmcnt(0)
	v_fmac_f32_e32 v3, v5, v6
.LBB9_1123:
	s_or_b64 exec, exec, s[4:5]
	v_add_u32_e32 v1, 48, v1
	v_add_u32_e32 v5, 0x4000, v2
	v_cmp_le_u32_e32 vcc, v0, v1
	s_and_saveexec_b64 s[4:5], vcc
	s_cbranch_execz .LBB9_1125
; %bb.1124:
	ds_read_b32 v1, v2 offset:12288
	ds_read_b32 v2, v4 offset:192
	s_waitcnt lgkmcnt(0)
	v_fmac_f32_e32 v3, v1, v2
.LBB9_1125:
	s_or_b64 exec, exec, s[4:5]
	s_mov_b64 s[6:7], 0
	s_mov_b64 s[4:5], 0
	ds_write_b32 v5, v3
	s_waitcnt lgkmcnt(0)
	s_barrier
                                        ; implicit-def: $vgpr1
	s_and_saveexec_b64 s[8:9], s[2:3]
	s_cbranch_execz .LBB9_1166
; %bb.1126:
	v_lshlrev_b32_e32 v12, 2, v0
	ds_read2st64_b32 v[1:2], v12 offset0:65 offset1:66
	ds_read2st64_b32 v[4:5], v12 offset0:67 offset1:68
	;; [unrolled: 1-line block ×4, first 2 shown]
	s_mov_b64 s[4:5], exec
	s_waitcnt lgkmcnt(3)
	v_add_f32_e32 v1, v3, v1
	v_add_f32_e32 v1, v2, v1
	s_waitcnt lgkmcnt(2)
	v_add_f32_e32 v1, v4, v1
	v_add_f32_e32 v1, v5, v1
	;; [unrolled: 3-line block ×3, first 2 shown]
	s_waitcnt lgkmcnt(0)
	v_add_f32_e32 v3, v8, v1
	ds_read2st64_b32 v[1:2], v12 offset0:73 offset1:74
	v_add_f32_e32 v7, v9, v3
	ds_read2st64_b32 v[3:4], v12 offset0:75 offset1:76
	ds_read2st64_b32 v[5:6], v12 offset0:77 offset1:78
	ds_read_b32 v8, v12 offset:20224
	s_waitcnt lgkmcnt(3)
	v_add_f32_e32 v1, v1, v7
	v_add_f32_e32 v1, v2, v1
	s_waitcnt lgkmcnt(2)
	v_add_f32_e32 v1, v3, v1
	v_add_f32_e32 v1, v4, v1
	;; [unrolled: 3-line block ×3, first 2 shown]
	s_waitcnt lgkmcnt(0)
	v_add_f32_e32 v1, v8, v1
	s_or_b64 exec, exec, s[8:9]
	s_and_b64 vcc, exec, s[6:7]
	s_cbranch_vccnz .LBB9_1129
	s_branch .LBB9_1167
.LBB9_1127:
	v_mad_u64_u32 v[11:12], s[2:3], s40, v5, 0
	s_or_b64 s[10:11], s[10:11], exec
	v_mov_b32_e32 v4, v12
	v_mad_u64_u32 v[4:5], s[2:3], s41, v5, v[4:5]
	v_mov_b32_e32 v12, v4
	v_lshlrev_b64 v[4:5], 2, v[11:12]
	v_add_co_u32_e32 v2, vcc, v2, v4
	v_addc_co_u32_e32 v3, vcc, v3, v5, vcc
	global_load_dword v2, v[2:3], off
	s_waitcnt vmcnt(0)
	v_xor_b32_e32 v4, 0x80000000, v2
	s_or_b64 exec, exec, s[8:9]
	s_xor_b64 s[0:1], s[0:1], -1
	s_and_saveexec_b64 s[2:3], s[10:11]
	s_cbranch_execnz .LBB9_45
	s_branch .LBB9_46
.LBB9_1128:
	s_mov_b64 s[4:5], 0
                                        ; implicit-def: $vgpr1
	s_cbranch_execz .LBB9_1167
.LBB9_1129:
	v_mov_b32_e32 v1, 0x3c00
	v_lshl_add_u32 v1, v0, 2, v1
	v_mov_b32_e32 v3, 63
	v_mov_b32_e32 v2, 0
	s_branch .LBB9_1131
.LBB9_1130:                             ;   in Loop: Header=BB9_1131 Depth=1
	s_or_b64 exec, exec, s[6:7]
	v_subrev_co_u32_e32 v3, vcc, 1, v3
	s_andn2_b64 vcc, exec, vcc
	v_add_u32_e32 v1, 0xfffffc00, v1
	s_barrier
	s_cbranch_vccz .LBB9_1147
.LBB9_1131:                             ; =>This Inner Loop Header: Depth=1
	v_cmp_eq_u32_e32 vcc, v0, v3
	s_and_b64 s[8:9], s[2:3], vcc
	s_and_saveexec_b64 s[6:7], s[8:9]
; %bb.1132:                             ;   in Loop: Header=BB9_1131 Depth=1
	ds_write_b32 v2, v11 offset:20736
; %bb.1133:                             ;   in Loop: Header=BB9_1131 Depth=1
	s_or_b64 exec, exec, s[6:7]
	v_cmp_lt_u32_e32 vcc, v0, v3
	s_and_b64 s[8:9], s[2:3], vcc
	s_waitcnt lgkmcnt(0)
	s_barrier
	s_and_saveexec_b64 s[6:7], s[8:9]
	s_cbranch_execz .LBB9_1135
; %bb.1134:                             ;   in Loop: Header=BB9_1131 Depth=1
	ds_read_b32 v4, v1 offset:768
	ds_read_b32 v5, v2 offset:20736
	s_waitcnt lgkmcnt(0)
	v_fmac_f32_e32 v11, v4, v5
.LBB9_1135:                             ;   in Loop: Header=BB9_1131 Depth=1
	s_or_b64 exec, exec, s[6:7]
	v_add_u32_e32 v3, -1, v3
	v_cmp_eq_u32_e32 vcc, v0, v3
	s_and_b64 s[8:9], s[2:3], vcc
	s_barrier
	s_and_saveexec_b64 s[6:7], s[8:9]
; %bb.1136:                             ;   in Loop: Header=BB9_1131 Depth=1
	ds_write_b32 v2, v11 offset:20736
; %bb.1137:                             ;   in Loop: Header=BB9_1131 Depth=1
	s_or_b64 exec, exec, s[6:7]
	v_cmp_lt_u32_e32 vcc, v0, v3
	s_and_b64 s[8:9], s[2:3], vcc
	s_waitcnt lgkmcnt(0)
	s_barrier
	s_and_saveexec_b64 s[6:7], s[8:9]
	s_cbranch_execz .LBB9_1139
; %bb.1138:                             ;   in Loop: Header=BB9_1131 Depth=1
	ds_read_b32 v4, v1 offset:512
	ds_read_b32 v5, v2 offset:20736
	s_waitcnt lgkmcnt(0)
	v_fmac_f32_e32 v11, v4, v5
.LBB9_1139:                             ;   in Loop: Header=BB9_1131 Depth=1
	s_or_b64 exec, exec, s[6:7]
	v_add_u32_e32 v3, -1, v3
	v_cmp_eq_u32_e32 vcc, v0, v3
	s_and_b64 s[8:9], s[2:3], vcc
	s_barrier
	;; [unrolled: 22-line block ×3, first 2 shown]
	s_and_saveexec_b64 s[6:7], s[8:9]
; %bb.1144:                             ;   in Loop: Header=BB9_1131 Depth=1
	ds_write_b32 v2, v11 offset:20736
; %bb.1145:                             ;   in Loop: Header=BB9_1131 Depth=1
	s_or_b64 exec, exec, s[6:7]
	v_cmp_lt_u32_e32 vcc, v0, v3
	s_and_b64 s[8:9], s[2:3], vcc
	s_waitcnt lgkmcnt(0)
	s_barrier
	s_and_saveexec_b64 s[6:7], s[8:9]
	s_cbranch_execz .LBB9_1130
; %bb.1146:                             ;   in Loop: Header=BB9_1131 Depth=1
	ds_read_b32 v4, v1
	ds_read_b32 v5, v2 offset:20736
	s_waitcnt lgkmcnt(0)
	v_fmac_f32_e32 v11, v4, v5
	s_branch .LBB9_1130
.LBB9_1147:
	s_mov_b64 s[6:7], -1
	s_and_b64 vcc, exec, s[0:1]
	s_cbranch_vccnz .LBB9_1168
; %bb.1148:
	s_andn2_b64 vcc, exec, s[6:7]
	s_cbranch_vccz .LBB9_1169
.LBB9_1149:
	s_and_saveexec_b64 s[0:1], s[4:5]
	s_cbranch_execz .LBB9_1151
.LBB9_1150:
	s_lshl_b32 s2, s33, 6
	s_ashr_i32 s3, s2, 31
	v_mov_b32_e32 v0, s3
	v_add_co_u32_e32 v1, vcc, s2, v10
	v_addc_co_u32_e32 v0, vcc, 0, v0, vcc
	v_mul_lo_u32 v2, v0, s50
	v_mul_lo_u32 v3, v1, s51
	v_mad_u64_u32 v[0:1], s[2:3], v1, s50, 0
	v_add3_u32 v1, v1, v3, v2
	v_lshlrev_b64 v[0:1], 2, v[0:1]
	v_mov_b32_e32 v2, s21
	v_add_co_u32_e32 v0, vcc, s20, v0
	v_addc_co_u32_e32 v1, vcc, v2, v1, vcc
	global_store_dword v[0:1], v11, off
.LBB9_1151:
	s_or_b64 exec, exec, s[0:1]
	v_cmp_eq_u32_e32 vcc, 0, v10
	s_waitcnt vmcnt(0)
	buffer_wbinvl1_vol
	s_barrier
	s_and_saveexec_b64 s[0:1], vcc
	s_cbranch_execz .LBB9_1153
; %bb.1152:
	s_lshl_b64 s[2:3], s[22:23], 2
	s_add_u32 s2, s14, s2
	s_addc_u32 s3, s15, s3
	v_mov_b32_e32 v0, 0
	global_load_dword v1, v0, s[2:3]
	s_waitcnt vmcnt(0)
	v_add_u32_e32 v1, 1, v1
	global_store_dword v0, v1, s[2:3]
.LBB9_1153:
	s_or_b64 exec, exec, s[0:1]
	s_waitcnt vmcnt(0)
	buffer_wbinvl1_vol
	s_endpgm
.LBB9_1154:
	v_or_b32_e32 v10, v1, v0
	v_cmp_gt_u32_e32 vcc, 64, v10
	s_and_b64 s[10:11], vcc, exec
	s_andn2_saveexec_b64 s[8:9], s[8:9]
	s_cbranch_execz .LBB9_14
.LBB9_1155:
	v_mad_u64_u32 v[10:11], s[12:13], s40, v1, 0
	s_or_b64 s[10:11], s[10:11], exec
	v_mov_b32_e32 v5, v11
	v_mad_u64_u32 v[11:12], s[12:13], s41, v1, v[5:6]
	v_lshlrev_b64 v[10:11], 2, v[10:11]
	v_add_co_u32_e32 v10, vcc, v2, v10
	v_addc_co_u32_e32 v11, vcc, v3, v11, vcc
	global_load_dword v5, v[10:11], off
	s_waitcnt vmcnt(0)
	v_xor_b32_e32 v5, 0x80000000, v5
	s_or_b64 exec, exec, s[8:9]
	s_and_saveexec_b64 s[8:9], s[10:11]
	s_cbranch_execnz .LBB9_15
	s_branch .LBB9_16
.LBB9_1156:
	v_or_b32_e32 v10, v5, v0
	v_cmp_gt_u32_e32 vcc, 64, v10
	s_and_b64 s[2:3], vcc, exec
	s_or_saveexec_b64 s[8:9], s[8:9]
	v_mov_b32_e32 v10, 0
	s_xor_b64 exec, exec, s[8:9]
	s_cbranch_execz .LBB9_18
.LBB9_1157:
	v_mad_u64_u32 v[10:11], s[10:11], s40, v5, 0
	s_or_b64 s[2:3], s[2:3], exec
	v_mad_u64_u32 v[11:12], s[10:11], s41, v5, v[11:12]
	v_lshlrev_b64 v[10:11], 2, v[10:11]
	v_add_co_u32_e32 v10, vcc, v2, v10
	v_addc_co_u32_e32 v11, vcc, v3, v11, vcc
	global_load_dword v10, v[10:11], off
	s_waitcnt vmcnt(0)
	v_xor_b32_e32 v10, 0x80000000, v10
	s_or_b64 exec, exec, s[8:9]
	s_and_saveexec_b64 s[8:9], s[2:3]
	s_cbranch_execnz .LBB9_19
	s_branch .LBB9_20
.LBB9_1158:
	v_or_b32_e32 v10, v5, v0
	v_cmp_gt_u32_e32 vcc, 64, v10
	s_and_b64 s[2:3], vcc, exec
	s_or_saveexec_b64 s[8:9], s[8:9]
	v_mov_b32_e32 v10, 0
	s_xor_b64 exec, exec, s[8:9]
	s_cbranch_execz .LBB9_22
.LBB9_1159:
	v_mad_u64_u32 v[10:11], s[10:11], s40, v5, 0
	s_or_b64 s[2:3], s[2:3], exec
	v_mad_u64_u32 v[11:12], s[10:11], s41, v5, v[11:12]
	v_lshlrev_b64 v[10:11], 2, v[10:11]
	v_add_co_u32_e32 v10, vcc, v2, v10
	v_addc_co_u32_e32 v11, vcc, v3, v11, vcc
	global_load_dword v10, v[10:11], off
	s_waitcnt vmcnt(0)
	v_xor_b32_e32 v10, 0x80000000, v10
	s_or_b64 exec, exec, s[8:9]
	s_and_saveexec_b64 s[8:9], s[2:3]
	s_cbranch_execnz .LBB9_23
	s_branch .LBB9_24
.LBB9_1160:
	v_or_b32_e32 v10, v1, v0
	v_cmp_gt_u32_e64 s[2:3], 64, v10
	s_and_b64 s[8:9], s[2:3], exec
	s_andn2_saveexec_b64 s[12:13], s[12:13]
	s_cbranch_execz .LBB9_30
.LBB9_1161:
	v_mad_u64_u32 v[10:11], s[2:3], s40, v1, 0
	s_or_b64 s[8:9], s[8:9], exec
	v_mov_b32_e32 v5, v11
	v_mad_u64_u32 v[11:12], s[2:3], s41, v1, v[5:6]
	v_lshlrev_b64 v[10:11], 2, v[10:11]
	v_add_co_u32_e64 v10, s[2:3], v2, v10
	v_addc_co_u32_e64 v11, s[2:3], v3, v11, s[2:3]
	global_load_dword v5, v[10:11], off
	s_waitcnt vmcnt(0)
	v_xor_b32_e32 v5, 0x80000000, v5
	s_or_b64 exec, exec, s[12:13]
	s_and_saveexec_b64 s[2:3], s[8:9]
	s_cbranch_execnz .LBB9_31
	s_branch .LBB9_32
.LBB9_1162:
	v_or_b32_e32 v10, v5, v0
	v_cmp_gt_u32_e64 s[2:3], 64, v10
	s_and_b64 s[8:9], s[2:3], exec
	s_or_saveexec_b64 s[12:13], s[12:13]
	v_mov_b32_e32 v10, 0
	s_xor_b64 exec, exec, s[12:13]
	s_cbranch_execz .LBB9_34
.LBB9_1163:
	v_mad_u64_u32 v[10:11], s[2:3], s40, v5, 0
	s_or_b64 s[8:9], s[8:9], exec
	v_mad_u64_u32 v[11:12], s[2:3], s41, v5, v[11:12]
	v_lshlrev_b64 v[10:11], 2, v[10:11]
	v_add_co_u32_e64 v10, s[2:3], v2, v10
	v_addc_co_u32_e64 v11, s[2:3], v3, v11, s[2:3]
	global_load_dword v10, v[10:11], off
	s_waitcnt vmcnt(0)
	v_xor_b32_e32 v10, 0x80000000, v10
	s_or_b64 exec, exec, s[12:13]
	s_and_saveexec_b64 s[2:3], s[8:9]
	s_cbranch_execnz .LBB9_35
	s_branch .LBB9_36
.LBB9_1164:
	v_or_b32_e32 v10, v5, v0
	v_cmp_gt_u32_e64 s[2:3], 64, v10
	s_and_b64 s[8:9], s[2:3], exec
	s_or_saveexec_b64 s[12:13], s[12:13]
	v_mov_b32_e32 v10, 0
	s_xor_b64 exec, exec, s[12:13]
	s_cbranch_execz .LBB9_38
.LBB9_1165:
	v_mad_u64_u32 v[10:11], s[2:3], s40, v5, 0
	s_or_b64 s[8:9], s[8:9], exec
	v_mad_u64_u32 v[11:12], s[2:3], s41, v5, v[11:12]
	v_lshlrev_b64 v[10:11], 2, v[10:11]
	v_add_co_u32_e64 v10, s[2:3], v2, v10
	v_addc_co_u32_e64 v11, s[2:3], v3, v11, s[2:3]
	global_load_dword v10, v[10:11], off
	s_waitcnt vmcnt(0)
	v_xor_b32_e32 v10, 0x80000000, v10
	s_or_b64 exec, exec, s[12:13]
	s_and_saveexec_b64 s[2:3], s[8:9]
	s_cbranch_execnz .LBB9_39
	s_branch .LBB9_40
.LBB9_1166:
	s_or_b64 exec, exec, s[8:9]
	s_and_b64 vcc, exec, s[6:7]
	s_cbranch_vccnz .LBB9_1129
.LBB9_1167:
	v_mov_b32_e32 v11, v1
	s_and_saveexec_b64 s[0:1], s[4:5]
	s_cbranch_execnz .LBB9_1150
	s_branch .LBB9_1151
.LBB9_1168:
	s_andn2_b64 s[0:1], s[4:5], exec
	s_and_b64 s[4:5], s[2:3], exec
	s_or_b64 s[4:5], s[0:1], s[4:5]
	s_cbranch_execnz .LBB9_1149
.LBB9_1169:
	v_cmp_gt_i32_e32 vcc, s90, v0
	s_and_b64 s[0:1], s[2:3], vcc
	s_andn2_b64 s[2:3], s[4:5], exec
	s_and_b64 s[0:1], s[0:1], exec
	s_or_b64 s[4:5], s[2:3], s[0:1]
	s_and_saveexec_b64 s[0:1], s[4:5]
	s_cbranch_execnz .LBB9_1150
	s_branch .LBB9_1151
.LBB9_1170:
	v_lshlrev_b32_e32 v16, 2, v14
	v_sub_u32_e32 v16, v15, v16
	v_lshl_add_u32 v16, v13, 2, v16
	ds_read_b32 v16, v16 offset:272
	ds_read_b32 v17, v15 offset:4
	s_waitcnt lgkmcnt(0)
	v_fmac_f32_e32 v12, v16, v17
	s_or_b64 exec, exec, s[14:15]
	v_cmp_gt_u32_e64 s[10:11], 8, v4
	s_and_saveexec_b64 s[14:15], s[10:11]
	s_cbranch_execz .LBB9_68
.LBB9_1171:
	ds_read_b32 v16, v10 offset:528
	ds_read_b32 v15, v15 offset:8
	s_waitcnt lgkmcnt(0)
	v_fmac_f32_e32 v12, v16, v15
	s_or_b64 exec, exec, s[14:15]
	v_cmp_gt_u32_e64 s[10:11], 4, v4
	s_and_saveexec_b64 s[14:15], s[10:11]
	s_cbranch_execnz .LBB9_69
	s_branch .LBB9_70
.LBB9_1172:
	v_lshlrev_b32_e32 v21, 2, v19
	v_sub_u32_e32 v21, v20, v21
	v_lshl_add_u32 v21, v18, 2, v21
	ds_read_b32 v21, v21 offset:288
	ds_read_b32 v22, v20 offset:4
	s_waitcnt lgkmcnt(0)
	v_fmac_f32_e32 v17, v21, v22
	s_or_b64 exec, exec, s[16:17]
	v_cmp_gt_u32_e64 s[14:15], 48, v4
	s_and_saveexec_b64 s[16:17], s[14:15]
	s_cbranch_execz .LBB9_110
.LBB9_1173:
	v_lshlrev_b32_e32 v21, 2, v19
	v_sub_u32_e32 v21, v20, v21
	v_lshl_add_u32 v21, v18, 2, v21
	ds_read_b32 v21, v21 offset:544
	ds_read_b32 v22, v20 offset:8
	s_waitcnt lgkmcnt(0)
	v_fmac_f32_e32 v17, v21, v22
	s_or_b64 exec, exec, s[16:17]
	v_cmp_gt_u32_e64 s[14:15], 40, v4
	s_and_saveexec_b64 s[16:17], s[14:15]
	s_cbranch_execz .LBB9_111
.LBB9_1174:
	v_lshlrev_b32_e32 v21, 2, v19
	v_sub_u32_e32 v21, v20, v21
	v_lshl_add_u32 v21, v18, 2, v21
	ds_read_b32 v21, v21 offset:800
	ds_read_b32 v22, v20 offset:12
	s_waitcnt lgkmcnt(0)
	v_fmac_f32_e32 v17, v21, v22
	s_or_b64 exec, exec, s[16:17]
	v_cmp_gt_u32_e64 s[14:15], 32, v4
	s_and_saveexec_b64 s[16:17], s[14:15]
	s_cbranch_execz .LBB9_112
.LBB9_1175:
	ds_read_b32 v21, v15 offset:1056
	ds_read_b32 v22, v20 offset:16
	s_waitcnt lgkmcnt(0)
	v_fmac_f32_e32 v17, v21, v22
	s_or_b64 exec, exec, s[16:17]
	v_cmp_gt_u32_e64 s[14:15], 24, v4
	s_and_saveexec_b64 s[16:17], s[14:15]
	s_cbranch_execz .LBB9_113
.LBB9_1176:
	v_lshlrev_b32_e32 v21, 2, v19
	v_sub_u32_e32 v21, v20, v21
	v_lshl_add_u32 v21, v18, 2, v21
	ds_read_b32 v21, v21 offset:1312
	ds_read_b32 v22, v20 offset:20
	s_waitcnt lgkmcnt(0)
	v_fmac_f32_e32 v17, v21, v22
	s_or_b64 exec, exec, s[16:17]
	v_cmp_gt_u32_e64 s[14:15], 16, v4
	s_and_saveexec_b64 s[16:17], s[14:15]
	s_cbranch_execz .LBB9_114
.LBB9_1177:
	ds_read_b32 v21, v15 offset:1568
	ds_read_b32 v20, v20 offset:24
	s_waitcnt lgkmcnt(0)
	v_fmac_f32_e32 v17, v21, v20
	s_or_b64 exec, exec, s[16:17]
	v_cmp_gt_u32_e64 s[14:15], 8, v4
	s_and_saveexec_b64 s[16:17], s[14:15]
	s_cbranch_execnz .LBB9_115
	s_branch .LBB9_116
.LBB9_1178:
	v_lshlrev_b32_e32 v22, 2, v14
	v_sub_u32_e32 v22, v21, v22
	v_lshl_add_u32 v22, v13, 2, v22
	ds_read_b32 v22, v22 offset:2352
	ds_read_b32 v23, v21 offset:2084
	s_waitcnt lgkmcnt(0)
	v_fmac_f32_e32 v20, v22, v23
	s_or_b64 exec, exec, s[14:15]
	v_cmp_gt_u32_e64 s[10:11], 8, v4
	s_and_saveexec_b64 s[14:15], s[10:11]
	s_cbranch_execz .LBB9_172
.LBB9_1179:
	ds_read_b32 v22, v10 offset:2608
	ds_read_b32 v21, v21 offset:2088
	s_waitcnt lgkmcnt(0)
	v_fmac_f32_e32 v20, v22, v21
	s_or_b64 exec, exec, s[14:15]
	v_cmp_gt_u32_e64 s[10:11], 4, v4
	s_and_saveexec_b64 s[14:15], s[10:11]
	s_cbranch_execnz .LBB9_173
	s_branch .LBB9_174
.LBB9_1180:
	v_lshlrev_b32_e32 v26, 2, v21
	v_lshl_add_u32 v26, v23, 2, v26
	ds_read_b32 v26, v26 offset:2880
	ds_read_b32 v27, v25 offset:44
	s_waitcnt lgkmcnt(0)
	v_fmac_f32_e32 v22, v26, v27
	s_or_b64 exec, exec, s[20:21]
	v_cmp_gt_u32_e64 s[16:17], 64, v4
	s_and_saveexec_b64 s[20:21], s[16:17]
	s_cbranch_execz .LBB9_234
.LBB9_1181:
	ds_read_b32 v26, v20 offset:3136
	ds_read_b32 v27, v25 offset:48
	s_waitcnt lgkmcnt(0)
	v_fmac_f32_e32 v22, v26, v27
	s_or_b64 exec, exec, s[20:21]
	v_cmp_gt_u32_e64 s[16:17], 48, v4
	s_and_saveexec_b64 s[20:21], s[16:17]
	s_cbranch_execz .LBB9_235
.LBB9_1182:
	v_lshlrev_b32_e32 v26, 2, v21
	v_lshl_add_u32 v26, v23, 2, v26
	ds_read_b32 v26, v26 offset:3392
	ds_read_b32 v27, v25 offset:52
	s_waitcnt lgkmcnt(0)
	v_fmac_f32_e32 v22, v26, v27
	s_or_b64 exec, exec, s[20:21]
	v_cmp_gt_u32_e64 s[16:17], 32, v4
	s_and_saveexec_b64 s[20:21], s[16:17]
	s_cbranch_execz .LBB9_236
.LBB9_1183:
	ds_read_b32 v26, v20 offset:3648
	ds_read_b32 v25, v25 offset:56
	s_waitcnt lgkmcnt(0)
	v_fmac_f32_e32 v22, v26, v25
	s_or_b64 exec, exec, s[20:21]
	v_cmp_gt_u32_e64 s[16:17], 16, v4
	s_and_saveexec_b64 s[20:21], s[16:17]
	s_cbranch_execnz .LBB9_237
	s_branch .LBB9_238
.LBB9_1184:
	v_lshlrev_b32_e32 v27, 2, v14
	v_sub_u32_e32 v27, v26, v27
	v_lshl_add_u32 v27, v13, 2, v27
	ds_read_b32 v27, v27 offset:4432
	ds_read_b32 v28, v26 offset:4164
	s_waitcnt lgkmcnt(0)
	v_fmac_f32_e32 v25, v27, v28
	s_or_b64 exec, exec, s[20:21]
	v_cmp_gt_u32_e64 s[14:15], 8, v4
	s_and_saveexec_b64 s[0:1], s[14:15]
	s_cbranch_execz .LBB9_326
.LBB9_1185:
	ds_read_b32 v27, v10 offset:4688
	ds_read_b32 v26, v26 offset:4168
	s_waitcnt lgkmcnt(0)
	v_fmac_f32_e32 v25, v27, v26
	s_or_b64 exec, exec, s[0:1]
	v_cmp_gt_u32_e64 s[14:15], 4, v4
	s_and_saveexec_b64 s[20:21], s[14:15]
	s_cbranch_execnz .LBB9_327
	s_branch .LBB9_328
.LBB9_1186:
	v_lshlrev_b32_e32 v27, 2, v19
	v_sub_u32_e32 v27, v26, v27
	v_lshl_add_u32 v27, v18, 2, v27
	ds_read_b32 v27, v27 offset:4448
	ds_read_b32 v28, v26 offset:4164
	s_waitcnt lgkmcnt(0)
	v_fmac_f32_e32 v25, v27, v28
	s_or_b64 exec, exec, s[20:21]
	v_cmp_gt_u32_e64 s[14:15], 48, v4
	s_and_saveexec_b64 s[20:21], s[14:15]
	s_cbranch_execz .LBB9_368
.LBB9_1187:
	v_lshlrev_b32_e32 v27, 2, v19
	v_sub_u32_e32 v27, v26, v27
	v_lshl_add_u32 v27, v18, 2, v27
	ds_read_b32 v27, v27 offset:4704
	ds_read_b32 v28, v26 offset:4168
	s_waitcnt lgkmcnt(0)
	v_fmac_f32_e32 v25, v27, v28
	s_or_b64 exec, exec, s[20:21]
	v_cmp_gt_u32_e64 s[14:15], 40, v4
	s_and_saveexec_b64 s[20:21], s[14:15]
	s_cbranch_execz .LBB9_369
.LBB9_1188:
	v_lshlrev_b32_e32 v27, 2, v19
	v_sub_u32_e32 v27, v26, v27
	v_lshl_add_u32 v27, v18, 2, v27
	ds_read_b32 v27, v27 offset:4960
	ds_read_b32 v28, v26 offset:4172
	s_waitcnt lgkmcnt(0)
	v_fmac_f32_e32 v25, v27, v28
	s_or_b64 exec, exec, s[20:21]
	v_cmp_gt_u32_e64 s[14:15], 32, v4
	s_and_saveexec_b64 s[0:1], s[14:15]
	s_cbranch_execz .LBB9_370
.LBB9_1189:
	ds_read_b32 v27, v15 offset:5216
	ds_read_b32 v28, v26 offset:4176
	s_waitcnt lgkmcnt(0)
	v_fmac_f32_e32 v25, v27, v28
	s_or_b64 exec, exec, s[0:1]
	v_cmp_gt_u32_e64 s[14:15], 24, v4
	s_and_saveexec_b64 s[20:21], s[14:15]
	s_cbranch_execz .LBB9_371
.LBB9_1190:
	v_lshlrev_b32_e32 v27, 2, v19
	v_sub_u32_e32 v27, v26, v27
	v_lshl_add_u32 v27, v18, 2, v27
	ds_read_b32 v27, v27 offset:5472
	ds_read_b32 v28, v26 offset:4180
	s_waitcnt lgkmcnt(0)
	v_fmac_f32_e32 v25, v27, v28
	s_or_b64 exec, exec, s[20:21]
	v_cmp_gt_u32_e64 s[14:15], 16, v4
	s_and_saveexec_b64 s[0:1], s[14:15]
	s_cbranch_execz .LBB9_372
.LBB9_1191:
	ds_read_b32 v27, v15 offset:5728
	ds_read_b32 v26, v26 offset:4184
	s_waitcnt lgkmcnt(0)
	v_fmac_f32_e32 v25, v27, v26
	s_or_b64 exec, exec, s[0:1]
	v_cmp_gt_u32_e64 s[14:15], 8, v4
	s_and_saveexec_b64 s[20:21], s[14:15]
	s_cbranch_execnz .LBB9_373
	s_branch .LBB9_374
.LBB9_1192:
	v_lshlrev_b32_e32 v27, 2, v14
	v_sub_u32_e32 v27, v26, v27
	v_lshl_add_u32 v27, v13, 2, v27
	ds_read_b32 v27, v27 offset:6512
	ds_read_b32 v28, v26 offset:6244
	s_waitcnt lgkmcnt(0)
	v_fmac_f32_e32 v25, v27, v28
	s_or_b64 exec, exec, s[20:21]
	v_cmp_gt_u32_e64 s[14:15], 8, v4
	s_and_saveexec_b64 s[0:1], s[14:15]
	s_cbranch_execz .LBB9_430
.LBB9_1193:
	ds_read_b32 v27, v10 offset:6768
	ds_read_b32 v26, v26 offset:6248
	s_waitcnt lgkmcnt(0)
	v_fmac_f32_e32 v25, v27, v26
	s_or_b64 exec, exec, s[0:1]
	v_cmp_gt_u32_e64 s[14:15], 4, v4
	s_and_saveexec_b64 s[20:21], s[14:15]
	s_cbranch_execnz .LBB9_431
	s_branch .LBB9_432
.LBB9_1194:
	ds_read_b32 v31, v25 offset:7552
	ds_read_b32 v32, v30 offset:116
	s_waitcnt lgkmcnt(0)
	v_fmac_f32_e32 v28, v31, v32
	s_or_b64 exec, exec, s[0:1]
	v_cmp_gt_u32_e64 s[20:21], 64, v4
	s_and_saveexec_b64 s[0:1], s[20:21]
	s_cbranch_execz .LBB9_528
.LBB9_1195:
	ds_read_b32 v31, v25 offset:7808
	ds_read_b32 v30, v30 offset:120
	s_waitcnt lgkmcnt(0)
	v_fmac_f32_e32 v28, v31, v30
	s_or_b64 exec, exec, s[0:1]
	v_cmp_gt_u32_e64 s[20:21], 32, v4
	s_and_saveexec_b64 s[0:1], s[20:21]
	s_cbranch_execnz .LBB9_529
	s_branch .LBB9_530
.LBB9_1196:
	v_lshlrev_b32_e32 v27, 2, v14
	v_sub_u32_e32 v27, v26, v27
	v_lshl_add_u32 v27, v13, 2, v27
	ds_read_b32 v27, v27 offset:8592
	ds_read_b32 v28, v26 offset:8324
	s_waitcnt lgkmcnt(0)
	v_fmac_f32_e32 v25, v27, v28
	s_or_b64 exec, exec, s[16:17]
	v_cmp_gt_u32_e64 s[12:13], 8, v4
	s_and_saveexec_b64 s[0:1], s[12:13]
	s_cbranch_execz .LBB9_682
.LBB9_1197:
	ds_read_b32 v27, v10 offset:8848
	ds_read_b32 v26, v26 offset:8328
	s_waitcnt lgkmcnt(0)
	v_fmac_f32_e32 v25, v27, v26
	s_or_b64 exec, exec, s[0:1]
	v_cmp_gt_u32_e64 s[12:13], 4, v4
	s_and_saveexec_b64 s[0:1], s[12:13]
	s_cbranch_execnz .LBB9_683
	s_branch .LBB9_684
.LBB9_1198:
	v_lshlrev_b32_e32 v27, 2, v19
	v_sub_u32_e32 v27, v26, v27
	v_lshl_add_u32 v27, v18, 2, v27
	ds_read_b32 v27, v27 offset:8608
	ds_read_b32 v28, v26 offset:8324
	s_waitcnt lgkmcnt(0)
	v_fmac_f32_e32 v25, v27, v28
	s_or_b64 exec, exec, s[16:17]
	v_cmp_gt_u32_e64 s[12:13], 48, v4
	s_and_saveexec_b64 s[0:1], s[12:13]
	s_cbranch_execz .LBB9_724
.LBB9_1199:
	v_lshlrev_b32_e32 v27, 2, v19
	v_sub_u32_e32 v27, v26, v27
	v_lshl_add_u32 v27, v18, 2, v27
	ds_read_b32 v27, v27 offset:8864
	ds_read_b32 v28, v26 offset:8328
	s_waitcnt lgkmcnt(0)
	v_fmac_f32_e32 v25, v27, v28
	s_or_b64 exec, exec, s[0:1]
	v_cmp_gt_u32_e64 s[12:13], 40, v4
	s_and_saveexec_b64 s[0:1], s[12:13]
	s_cbranch_execz .LBB9_725
.LBB9_1200:
	v_lshlrev_b32_e32 v27, 2, v19
	v_sub_u32_e32 v27, v26, v27
	v_lshl_add_u32 v27, v18, 2, v27
	ds_read_b32 v27, v27 offset:9120
	ds_read_b32 v28, v26 offset:8332
	s_waitcnt lgkmcnt(0)
	v_fmac_f32_e32 v25, v27, v28
	s_or_b64 exec, exec, s[0:1]
	v_cmp_gt_u32_e64 s[12:13], 32, v4
	s_and_saveexec_b64 s[0:1], s[12:13]
	s_cbranch_execz .LBB9_726
.LBB9_1201:
	ds_read_b32 v27, v15 offset:9376
	ds_read_b32 v28, v26 offset:8336
	s_waitcnt lgkmcnt(0)
	v_fmac_f32_e32 v25, v27, v28
	s_or_b64 exec, exec, s[0:1]
	v_cmp_gt_u32_e64 s[12:13], 24, v4
	s_and_saveexec_b64 s[0:1], s[12:13]
	s_cbranch_execz .LBB9_727
.LBB9_1202:
	v_lshlrev_b32_e32 v27, 2, v19
	v_sub_u32_e32 v27, v26, v27
	v_lshl_add_u32 v27, v18, 2, v27
	ds_read_b32 v27, v27 offset:9632
	ds_read_b32 v28, v26 offset:8340
	s_waitcnt lgkmcnt(0)
	v_fmac_f32_e32 v25, v27, v28
	s_or_b64 exec, exec, s[0:1]
	v_cmp_gt_u32_e64 s[12:13], 16, v4
	s_and_saveexec_b64 s[0:1], s[12:13]
	s_cbranch_execz .LBB9_728
.LBB9_1203:
	ds_read_b32 v27, v15 offset:9888
	ds_read_b32 v26, v26 offset:8344
	s_waitcnt lgkmcnt(0)
	v_fmac_f32_e32 v25, v27, v26
	s_or_b64 exec, exec, s[0:1]
	v_cmp_gt_u32_e64 s[12:13], 8, v4
	s_and_saveexec_b64 s[0:1], s[12:13]
	s_cbranch_execnz .LBB9_729
	s_branch .LBB9_730
.LBB9_1204:
	v_lshlrev_b32_e32 v27, 2, v14
	v_sub_u32_e32 v27, v26, v27
	v_lshl_add_u32 v27, v13, 2, v27
	ds_read_b32 v27, v27 offset:10672
	ds_read_b32 v28, v26 offset:10404
	s_waitcnt lgkmcnt(0)
	v_fmac_f32_e32 v25, v27, v28
	s_or_b64 exec, exec, s[16:17]
	v_cmp_gt_u32_e64 s[12:13], 8, v4
	s_and_saveexec_b64 s[0:1], s[12:13]
	s_cbranch_execz .LBB9_786
.LBB9_1205:
	ds_read_b32 v27, v10 offset:10928
	ds_read_b32 v26, v26 offset:10408
	s_waitcnt lgkmcnt(0)
	v_fmac_f32_e32 v25, v27, v26
	s_or_b64 exec, exec, s[0:1]
	v_cmp_gt_u32_e64 s[12:13], 4, v4
	s_and_saveexec_b64 s[0:1], s[12:13]
	s_cbranch_execnz .LBB9_787
	s_branch .LBB9_788
.LBB9_1206:
	v_lshlrev_b32_e32 v24, 2, v21
	v_lshl_add_u32 v24, v23, 2, v24
	ds_read_b32 v24, v24 offset:11200
	ds_read_b32 v27, v26 offset:8364
	s_waitcnt lgkmcnt(0)
	v_fmac_f32_e32 v25, v24, v27
	s_or_b64 exec, exec, s[0:1]
	v_cmp_gt_u32_e64 s[12:13], 64, v4
	s_and_saveexec_b64 s[0:1], s[12:13]
	s_cbranch_execz .LBB9_848
.LBB9_1207:
	ds_read_b32 v24, v20 offset:11456
	ds_read_b32 v27, v26 offset:8368
	s_waitcnt lgkmcnt(0)
	v_fmac_f32_e32 v25, v24, v27
	s_or_b64 exec, exec, s[0:1]
	v_cmp_gt_u32_e64 s[12:13], 48, v4
	s_and_saveexec_b64 s[0:1], s[12:13]
	s_cbranch_execz .LBB9_849
.LBB9_1208:
	v_lshlrev_b32_e32 v24, 2, v21
	v_lshl_add_u32 v23, v23, 2, v24
	ds_read_b32 v23, v23 offset:11712
	ds_read_b32 v24, v26 offset:8372
	s_waitcnt lgkmcnt(0)
	v_fmac_f32_e32 v25, v23, v24
	s_or_b64 exec, exec, s[0:1]
	v_cmp_gt_u32_e64 s[12:13], 32, v4
	s_and_saveexec_b64 s[0:1], s[12:13]
	s_cbranch_execz .LBB9_850
.LBB9_1209:
	ds_read_b32 v23, v20 offset:11968
	ds_read_b32 v24, v26 offset:8376
	s_waitcnt lgkmcnt(0)
	v_fmac_f32_e32 v25, v23, v24
	s_or_b64 exec, exec, s[0:1]
	v_cmp_gt_u32_e64 s[12:13], 16, v4
	s_and_saveexec_b64 s[0:1], s[12:13]
	s_cbranch_execnz .LBB9_851
	s_branch .LBB9_852
.LBB9_1210:
	v_lshlrev_b32_e32 v22, 2, v14
	v_sub_u32_e32 v22, v21, v22
	v_lshl_add_u32 v22, v13, 2, v22
	ds_read_b32 v22, v22 offset:12752
	ds_read_b32 v23, v21 offset:12484
	s_waitcnt lgkmcnt(0)
	v_fmac_f32_e32 v20, v22, v23
	s_or_b64 exec, exec, s[12:13]
	v_cmp_gt_u32_e64 s[10:11], 8, v4
	s_and_saveexec_b64 s[12:13], s[10:11]
	s_cbranch_execz .LBB9_940
.LBB9_1211:
	ds_read_b32 v22, v10 offset:13008
	ds_read_b32 v21, v21 offset:12488
	s_waitcnt lgkmcnt(0)
	v_fmac_f32_e32 v20, v22, v21
	s_or_b64 exec, exec, s[12:13]
	v_cmp_gt_u32_e64 s[10:11], 4, v4
	s_and_saveexec_b64 s[12:13], s[10:11]
	s_cbranch_execnz .LBB9_941
	s_branch .LBB9_942
.LBB9_1212:
	v_lshlrev_b32_e32 v22, 2, v19
	v_sub_u32_e32 v22, v21, v22
	v_lshl_add_u32 v22, v18, 2, v22
	ds_read_b32 v22, v22 offset:12768
	ds_read_b32 v23, v21 offset:12484
	s_waitcnt lgkmcnt(0)
	v_fmac_f32_e32 v20, v22, v23
	s_or_b64 exec, exec, s[12:13]
	v_cmp_gt_u32_e64 s[10:11], 48, v4
	s_and_saveexec_b64 s[12:13], s[10:11]
	s_cbranch_execz .LBB9_982
.LBB9_1213:
	v_lshlrev_b32_e32 v22, 2, v19
	v_sub_u32_e32 v22, v21, v22
	v_lshl_add_u32 v22, v18, 2, v22
	ds_read_b32 v22, v22 offset:13024
	ds_read_b32 v23, v21 offset:12488
	s_waitcnt lgkmcnt(0)
	v_fmac_f32_e32 v20, v22, v23
	s_or_b64 exec, exec, s[12:13]
	v_cmp_gt_u32_e64 s[10:11], 40, v4
	s_and_saveexec_b64 s[12:13], s[10:11]
	s_cbranch_execz .LBB9_983
.LBB9_1214:
	v_lshlrev_b32_e32 v22, 2, v19
	v_sub_u32_e32 v22, v21, v22
	v_lshl_add_u32 v22, v18, 2, v22
	ds_read_b32 v22, v22 offset:13280
	ds_read_b32 v23, v21 offset:12492
	s_waitcnt lgkmcnt(0)
	v_fmac_f32_e32 v20, v22, v23
	s_or_b64 exec, exec, s[12:13]
	v_cmp_gt_u32_e64 s[10:11], 32, v4
	s_and_saveexec_b64 s[12:13], s[10:11]
	s_cbranch_execz .LBB9_984
.LBB9_1215:
	ds_read_b32 v22, v15 offset:13536
	ds_read_b32 v23, v21 offset:12496
	s_waitcnt lgkmcnt(0)
	v_fmac_f32_e32 v20, v22, v23
	s_or_b64 exec, exec, s[12:13]
	v_cmp_gt_u32_e64 s[10:11], 24, v4
	s_and_saveexec_b64 s[12:13], s[10:11]
	s_cbranch_execz .LBB9_985
.LBB9_1216:
	v_lshlrev_b32_e32 v19, 2, v19
	v_sub_u32_e32 v19, v21, v19
	v_lshl_add_u32 v18, v18, 2, v19
	ds_read_b32 v18, v18 offset:13792
	ds_read_b32 v19, v21 offset:12500
	s_waitcnt lgkmcnt(0)
	v_fmac_f32_e32 v20, v18, v19
	s_or_b64 exec, exec, s[12:13]
	v_cmp_gt_u32_e64 s[10:11], 16, v4
	s_and_saveexec_b64 s[12:13], s[10:11]
	s_cbranch_execz .LBB9_986
.LBB9_1217:
	ds_read_b32 v18, v15 offset:14048
	ds_read_b32 v19, v21 offset:12504
	s_waitcnt lgkmcnt(0)
	v_fmac_f32_e32 v20, v18, v19
	s_or_b64 exec, exec, s[12:13]
	v_cmp_gt_u32_e64 s[10:11], 8, v4
	s_and_saveexec_b64 s[12:13], s[10:11]
	s_cbranch_execnz .LBB9_987
	s_branch .LBB9_988
.LBB9_1218:
	v_lshlrev_b32_e32 v14, 2, v14
	v_sub_u32_e32 v14, v16, v14
	v_lshl_add_u32 v13, v13, 2, v14
	ds_read_b32 v13, v13 offset:14832
	ds_read_b32 v14, v16 offset:14564
	s_waitcnt lgkmcnt(0)
	v_fmac_f32_e32 v15, v13, v14
	s_or_b64 exec, exec, s[10:11]
	v_cmp_gt_u32_e64 s[8:9], 8, v4
	s_and_saveexec_b64 s[10:11], s[8:9]
	s_cbranch_execz .LBB9_1044
.LBB9_1219:
	ds_read_b32 v13, v10 offset:15088
	ds_read_b32 v14, v16 offset:14568
	s_waitcnt lgkmcnt(0)
	v_fmac_f32_e32 v15, v13, v14
	s_or_b64 exec, exec, s[10:11]
	v_cmp_gt_u32_e64 s[8:9], 4, v4
	s_and_saveexec_b64 s[10:11], s[8:9]
	s_cbranch_execnz .LBB9_1045
	s_branch .LBB9_1046
	.section	.rodata,"a",@progbits
	.p2align	6, 0x0
	.amdhsa_kernel _ZL19rocblas_trsv_deviceILi64ELi16ELb1ELb1ELb1ELb1EfPKfS1_PfEviT7_lllT6_T8_lllPii
		.amdhsa_group_segment_fixed_size 20740
		.amdhsa_private_segment_fixed_size 0
		.amdhsa_kernarg_size 352
		.amdhsa_user_sgpr_count 6
		.amdhsa_user_sgpr_private_segment_buffer 1
		.amdhsa_user_sgpr_dispatch_ptr 0
		.amdhsa_user_sgpr_queue_ptr 0
		.amdhsa_user_sgpr_kernarg_segment_ptr 1
		.amdhsa_user_sgpr_dispatch_id 0
		.amdhsa_user_sgpr_flat_scratch_init 0
		.amdhsa_user_sgpr_private_segment_size 0
		.amdhsa_uses_dynamic_stack 0
		.amdhsa_system_sgpr_private_segment_wavefront_offset 0
		.amdhsa_system_sgpr_workgroup_id_x 1
		.amdhsa_system_sgpr_workgroup_id_y 0
		.amdhsa_system_sgpr_workgroup_id_z 1
		.amdhsa_system_sgpr_workgroup_info 0
		.amdhsa_system_vgpr_workitem_id 1
		.amdhsa_next_free_vgpr 34
		.amdhsa_next_free_sgpr 96
		.amdhsa_reserve_vcc 1
		.amdhsa_reserve_flat_scratch 0
		.amdhsa_float_round_mode_32 0
		.amdhsa_float_round_mode_16_64 0
		.amdhsa_float_denorm_mode_32 3
		.amdhsa_float_denorm_mode_16_64 3
		.amdhsa_dx10_clamp 1
		.amdhsa_ieee_mode 1
		.amdhsa_fp16_overflow 0
		.amdhsa_exception_fp_ieee_invalid_op 0
		.amdhsa_exception_fp_denorm_src 0
		.amdhsa_exception_fp_ieee_div_zero 0
		.amdhsa_exception_fp_ieee_overflow 0
		.amdhsa_exception_fp_ieee_underflow 0
		.amdhsa_exception_fp_ieee_inexact 0
		.amdhsa_exception_int_div_zero 0
	.end_amdhsa_kernel
	.section	.text._ZL19rocblas_trsv_deviceILi64ELi16ELb1ELb1ELb1ELb1EfPKfS1_PfEviT7_lllT6_T8_lllPii,"axG",@progbits,_ZL19rocblas_trsv_deviceILi64ELi16ELb1ELb1ELb1ELb1EfPKfS1_PfEviT7_lllT6_T8_lllPii,comdat
.Lfunc_end9:
	.size	_ZL19rocblas_trsv_deviceILi64ELi16ELb1ELb1ELb1ELb1EfPKfS1_PfEviT7_lllT6_T8_lllPii, .Lfunc_end9-_ZL19rocblas_trsv_deviceILi64ELi16ELb1ELb1ELb1ELb1EfPKfS1_PfEviT7_lllT6_T8_lllPii
                                        ; -- End function
	.set _ZL19rocblas_trsv_deviceILi64ELi16ELb1ELb1ELb1ELb1EfPKfS1_PfEviT7_lllT6_T8_lllPii.num_vgpr, 34
	.set _ZL19rocblas_trsv_deviceILi64ELi16ELb1ELb1ELb1ELb1EfPKfS1_PfEviT7_lllT6_T8_lllPii.num_agpr, 0
	.set _ZL19rocblas_trsv_deviceILi64ELi16ELb1ELb1ELb1ELb1EfPKfS1_PfEviT7_lllT6_T8_lllPii.numbered_sgpr, 96
	.set _ZL19rocblas_trsv_deviceILi64ELi16ELb1ELb1ELb1ELb1EfPKfS1_PfEviT7_lllT6_T8_lllPii.num_named_barrier, 0
	.set _ZL19rocblas_trsv_deviceILi64ELi16ELb1ELb1ELb1ELb1EfPKfS1_PfEviT7_lllT6_T8_lllPii.private_seg_size, 0
	.set _ZL19rocblas_trsv_deviceILi64ELi16ELb1ELb1ELb1ELb1EfPKfS1_PfEviT7_lllT6_T8_lllPii.uses_vcc, 1
	.set _ZL19rocblas_trsv_deviceILi64ELi16ELb1ELb1ELb1ELb1EfPKfS1_PfEviT7_lllT6_T8_lllPii.uses_flat_scratch, 0
	.set _ZL19rocblas_trsv_deviceILi64ELi16ELb1ELb1ELb1ELb1EfPKfS1_PfEviT7_lllT6_T8_lllPii.has_dyn_sized_stack, 0
	.set _ZL19rocblas_trsv_deviceILi64ELi16ELb1ELb1ELb1ELb1EfPKfS1_PfEviT7_lllT6_T8_lllPii.has_recursion, 0
	.set _ZL19rocblas_trsv_deviceILi64ELi16ELb1ELb1ELb1ELb1EfPKfS1_PfEviT7_lllT6_T8_lllPii.has_indirect_call, 0
	.section	.AMDGPU.csdata,"",@progbits
; Kernel info:
; codeLenInByte = 33920
; TotalNumSgprs: 100
; NumVgprs: 34
; ScratchSize: 0
; MemoryBound: 0
; FloatMode: 240
; IeeeMode: 1
; LDSByteSize: 20740 bytes/workgroup (compile time only)
; SGPRBlocks: 12
; VGPRBlocks: 8
; NumSGPRsForWavesPerEU: 100
; NumVGPRsForWavesPerEU: 34
; Occupancy: 7
; WaveLimiterHint : 0
; COMPUTE_PGM_RSRC2:SCRATCH_EN: 0
; COMPUTE_PGM_RSRC2:USER_SGPR: 6
; COMPUTE_PGM_RSRC2:TRAP_HANDLER: 0
; COMPUTE_PGM_RSRC2:TGID_X_EN: 1
; COMPUTE_PGM_RSRC2:TGID_Y_EN: 0
; COMPUTE_PGM_RSRC2:TGID_Z_EN: 1
; COMPUTE_PGM_RSRC2:TIDIG_COMP_CNT: 1
	.section	.text._ZL19rocblas_trsv_deviceILi64ELi16ELb1ELb0ELb0ELb0EfPKfS1_PfEviT7_lllT6_T8_lllPii,"axG",@progbits,_ZL19rocblas_trsv_deviceILi64ELi16ELb1ELb0ELb0ELb0EfPKfS1_PfEviT7_lllT6_T8_lllPii,comdat
	.globl	_ZL19rocblas_trsv_deviceILi64ELi16ELb1ELb0ELb0ELb0EfPKfS1_PfEviT7_lllT6_T8_lllPii ; -- Begin function _ZL19rocblas_trsv_deviceILi64ELi16ELb1ELb0ELb0ELb0EfPKfS1_PfEviT7_lllT6_T8_lllPii
	.p2align	8
	.type	_ZL19rocblas_trsv_deviceILi64ELi16ELb1ELb0ELb0ELb0EfPKfS1_PfEviT7_lllT6_T8_lllPii,@function
_ZL19rocblas_trsv_deviceILi64ELi16ELb1ELb0ELb0ELb0EfPKfS1_PfEviT7_lllT6_T8_lllPii: ; @_ZL19rocblas_trsv_deviceILi64ELi16ELb1ELb0ELb0ELb0EfPKfS1_PfEviT7_lllT6_T8_lllPii
; %bb.0:
	s_mov_b32 s34, s7
	s_load_dwordx16 s[16:31], s[4:5], 0x8
	s_load_dword s7, s[4:5], 0x0
	v_mov_b32_e32 v2, v1
	s_mov_b32 s35, 0
	s_waitcnt lgkmcnt(0)
	s_load_dword s40, s[24:25], 0x0
	s_load_dword s93, s[4:5], 0x6c
	s_mul_i32 s0, s23, s34
	s_mul_hi_u32 s1, s22, s34
	s_add_i32 s1, s1, s0
	s_mul_i32 s0, s22, s34
	s_lshl_b64 s[0:1], s[0:1], 2
	s_add_u32 s2, s16, s0
	s_addc_u32 s3, s17, s1
	s_lshl_b64 s[0:1], s[18:19], 2
	s_add_u32 s91, s2, s0
	s_addc_u32 s92, s3, s1
	s_cmp_eq_u32 s6, 0
	s_cbranch_scc1 .LBB10_10
; %bb.1:
	s_lshl_b32 s33, s6, 6
	v_add_u32_e32 v1, s33, v2
	v_subrev_u32_e32 v1, 64, v1
	v_ashrrev_i32_e32 v3, 31, v1
	v_mul_lo_u32 v7, s20, v3
	v_mul_lo_u32 v8, s21, v1
	v_mad_u64_u32 v[3:4], s[0:1], s20, v1, 0
	v_add_u32_e32 v5, s33, v0
	v_ashrrev_i32_e32 v6, 31, v5
	v_add3_u32 v4, v4, v7, v8
	v_lshlrev_b64 v[3:4], 2, v[3:4]
	v_mov_b32_e32 v7, s92
	v_add_co_u32_e64 v8, s[0:1], s91, v3
	v_addc_co_u32_e64 v7, s[0:1], v7, v4, s[0:1]
	v_lshlrev_b64 v[3:4], 2, v[5:6]
	v_cmp_gt_i32_e32 vcc, s7, v5
	v_add_co_u32_e64 v3, s[0:1], v8, v3
	v_addc_co_u32_e64 v4, s[0:1], v7, v4, s[0:1]
	v_cmp_gt_i32_e64 s[0:1], s7, v1
	s_and_b64 s[2:3], vcc, s[0:1]
	v_mov_b32_e32 v8, 0
	v_mov_b32_e32 v7, 0
	s_waitcnt lgkmcnt(0)
	s_barrier
	s_and_saveexec_b64 s[0:1], s[2:3]
	s_cbranch_execz .LBB10_3
; %bb.2:
	global_load_dword v7, v[3:4], off
.LBB10_3:
	s_or_b64 exec, exec, s[0:1]
	v_add_u32_e32 v5, 16, v1
	v_cmp_gt_i32_e64 s[0:1], s7, v5
	s_and_b64 s[0:1], vcc, s[0:1]
	s_waitcnt vmcnt(0)
	s_barrier
	s_and_saveexec_b64 s[2:3], s[0:1]
	s_cbranch_execz .LBB10_5
; %bb.4:
	s_lshl_b64 s[0:1], s[20:21], 6
	v_mov_b32_e32 v6, s1
	v_add_co_u32_e64 v5, s[0:1], s0, v3
	v_addc_co_u32_e64 v6, s[0:1], v4, v6, s[0:1]
	global_load_dword v8, v[5:6], off
.LBB10_5:
	s_or_b64 exec, exec, s[2:3]
	v_add_u32_e32 v5, 32, v1
	v_cmp_gt_i32_e64 s[0:1], s7, v5
	s_and_b64 s[0:1], vcc, s[0:1]
	v_mov_b32_e32 v9, 0
	v_mov_b32_e32 v10, 0
	s_waitcnt vmcnt(0)
	s_barrier
	s_and_saveexec_b64 s[2:3], s[0:1]
	s_cbranch_execz .LBB10_7
; %bb.6:
	s_lshl_b64 s[0:1], s[20:21], 7
	v_mov_b32_e32 v6, s1
	v_add_co_u32_e64 v5, s[0:1], s0, v3
	v_addc_co_u32_e64 v6, s[0:1], v4, v6, s[0:1]
	global_load_dword v10, v[5:6], off
.LBB10_7:
	s_or_b64 exec, exec, s[2:3]
	v_add_u32_e32 v1, 48, v1
	v_cmp_gt_i32_e64 s[0:1], s7, v1
	s_and_b64 s[2:3], vcc, s[0:1]
	s_waitcnt vmcnt(0)
	s_barrier
	s_and_saveexec_b64 s[0:1], s[2:3]
	s_cbranch_execz .LBB10_9
; %bb.8:
	v_mov_b32_e32 v1, 0xc0
	v_mad_u64_u32 v[3:4], s[2:3], s20, v1, v[3:4]
	s_mul_i32 s2, s21, 0xc0
	v_add_u32_e32 v4, s2, v4
	global_load_dword v9, v[3:4], off
.LBB10_9:
	s_or_b64 exec, exec, s[0:1]
	s_branch .LBB10_11
.LBB10_10:
                                        ; implicit-def: $vgpr9
                                        ; implicit-def: $vgpr10
                                        ; implicit-def: $vgpr8
                                        ; implicit-def: $vgpr7
	s_mov_b32 s33, s35
.LBB10_11:
	s_ashr_i32 s0, s7, 31
	s_lshr_b32 s0, s0, 26
	s_add_i32 s0, s7, s0
	s_andn2_b32 s0, s0, 63
	s_sub_i32 s90, s7, s0
	s_add_i32 s0, s7, -1
	s_ashr_i32 s1, s0, 31
	s_lshr_b32 s1, s1, 26
	s_add_i32 s0, s0, s1
	s_ashr_i32 s0, s0, 6
	s_cmp_eq_u32 s0, s6
	s_cselect_b64 s[0:1], -1, 0
	s_cmp_lg_u32 s90, 0
	s_cselect_b64 s[2:3], -1, 0
	s_and_b64 s[18:19], s[2:3], s[0:1]
	s_ashr_i32 s50, s33, 31
	s_add_u32 s8, s20, 1
	v_mov_b32_e32 v1, 0
	v_mov_b32_e32 v3, s33
	v_mad_u64_u32 v[3:4], s[0:1], s8, v3, v[0:1]
	s_addc_u32 s9, s21, 0
	s_mul_i32 s0, s8, s50
	s_mul_i32 s9, s9, s33
	s_add_i32 s0, s0, s9
	s_mov_b64 s[2:3], -1
	v_add_u32_e32 v4, s0, v4
	s_and_b64 vcc, exec, s[18:19]
	v_cmp_le_u32_e64 s[0:1], v0, v2
	s_cbranch_vccnz .LBB10_33
; %bb.12:
	v_mad_u64_u32 v[5:6], s[2:3], s20, v2, v[3:4]
	v_mov_b32_e32 v1, v6
	v_mad_u64_u32 v[11:12], s[2:3], s21, v2, v[1:2]
	s_mov_b64 s[2:3], 0
                                        ; implicit-def: $vgpr1
	v_mov_b32_e32 v6, v11
	s_and_saveexec_b64 s[8:9], s[0:1]
	s_xor_b64 s[0:1], exec, s[8:9]
	s_cbranch_execnz .LBB10_1097
; %bb.13:
	s_andn2_saveexec_b64 s[0:1], s[0:1]
	s_cbranch_execnz .LBB10_1102
.LBB10_14:
	s_or_b64 exec, exec, s[0:1]
	s_and_saveexec_b64 s[0:1], s[2:3]
.LBB10_15:
	v_lshlrev_b32_e32 v5, 2, v0
	v_lshl_add_u32 v5, v2, 8, v5
	ds_write_b32 v5, v1
.LBB10_16:
	s_or_b64 exec, exec, s[0:1]
	v_add_u32_e32 v1, 16, v2
	v_mad_u64_u32 v[5:6], s[0:1], s20, v1, v[3:4]
	v_cmp_le_u32_e32 vcc, v0, v1
	s_mov_b64 s[2:3], 0
	v_mad_u64_u32 v[11:12], s[0:1], s21, v1, v[6:7]
	v_mov_b32_e32 v6, v11
                                        ; implicit-def: $vgpr11
	s_and_saveexec_b64 s[0:1], vcc
	s_xor_b64 s[0:1], exec, s[0:1]
	s_cbranch_execnz .LBB10_1103
; %bb.17:
	s_andn2_saveexec_b64 s[0:1], s[0:1]
	s_cbranch_execnz .LBB10_1108
.LBB10_18:
	s_or_b64 exec, exec, s[0:1]
	s_and_saveexec_b64 s[0:1], s[2:3]
.LBB10_19:
	v_lshlrev_b32_e32 v5, 2, v0
	v_lshl_add_u32 v1, v1, 8, v5
	ds_write_b32 v1, v11
.LBB10_20:
	s_or_b64 exec, exec, s[0:1]
	v_add_u32_e32 v1, 32, v2
	v_mad_u64_u32 v[5:6], s[0:1], s20, v1, v[3:4]
	v_cmp_le_u32_e32 vcc, v0, v1
	s_mov_b64 s[2:3], 0
	v_mad_u64_u32 v[11:12], s[0:1], s21, v1, v[6:7]
	v_mov_b32_e32 v6, v11
                                        ; implicit-def: $vgpr11
	s_and_saveexec_b64 s[0:1], vcc
	s_xor_b64 s[0:1], exec, s[0:1]
	s_cbranch_execnz .LBB10_1109
; %bb.21:
	s_andn2_saveexec_b64 s[0:1], s[0:1]
	s_cbranch_execnz .LBB10_1114
.LBB10_22:
	s_or_b64 exec, exec, s[0:1]
	s_and_saveexec_b64 s[0:1], s[2:3]
.LBB10_23:
	v_lshlrev_b32_e32 v5, 2, v0
	v_lshl_add_u32 v1, v1, 8, v5
	ds_write_b32 v1, v11
.LBB10_24:
	s_or_b64 exec, exec, s[0:1]
	v_add_u32_e32 v1, 48, v2
	v_mad_u64_u32 v[5:6], s[0:1], s20, v1, v[3:4]
	v_cmp_le_u32_e32 vcc, v0, v1
	s_mov_b64 s[8:9], 0
	v_mad_u64_u32 v[11:12], s[0:1], s21, v1, v[6:7]
	v_mov_b32_e32 v6, v11
                                        ; implicit-def: $vgpr11
	s_and_saveexec_b64 s[0:1], vcc
	s_xor_b64 s[0:1], exec, s[0:1]
	s_cbranch_execz .LBB10_30
; %bb.25:
	v_cmp_ne_u32_e32 vcc, v0, v1
	s_mov_b64 s[2:3], 0
	s_and_saveexec_b64 s[8:9], vcc
	s_xor_b64 s[8:9], exec, s[8:9]
; %bb.26:
	v_or_b32_e32 v5, v1, v0
	v_cmp_gt_u32_e32 vcc, 64, v5
	s_and_b64 s[2:3], vcc, exec
                                        ; implicit-def: $vgpr5_vgpr6
; %bb.27:
	s_or_saveexec_b64 s[8:9], s[8:9]
	v_mov_b32_e32 v11, 0
	s_xor_b64 exec, exec, s[8:9]
	s_cbranch_execz .LBB10_29
; %bb.28:
	v_lshlrev_b64 v[5:6], 2, v[5:6]
	v_mov_b32_e32 v1, s92
	v_add_co_u32_e32 v5, vcc, s91, v5
	v_addc_co_u32_e32 v6, vcc, v1, v6, vcc
	global_load_dword v1, v[5:6], off
	s_or_b64 s[2:3], s[2:3], exec
	s_waitcnt vmcnt(0)
	v_div_scale_f32 v5, s[10:11], v1, v1, 1.0
	v_div_scale_f32 v6, vcc, 1.0, v1, 1.0
	v_rcp_f32_e32 v11, v5
	v_fma_f32 v12, -v5, v11, 1.0
	v_fmac_f32_e32 v11, v12, v11
	v_mul_f32_e32 v12, v6, v11
	v_fma_f32 v13, -v5, v12, v6
	v_fmac_f32_e32 v12, v13, v11
	v_fma_f32 v5, -v5, v12, v6
	v_div_fmas_f32 v5, v5, v11, v12
	v_div_fixup_f32 v11, v5, v1, 1.0
	v_mov_b32_e32 v1, v0
.LBB10_29:
	s_or_b64 exec, exec, s[8:9]
	s_and_b64 s[8:9], s[2:3], exec
                                        ; implicit-def: $vgpr5_vgpr6
.LBB10_30:
	s_andn2_saveexec_b64 s[0:1], s[0:1]
	s_cbranch_execz .LBB10_32
; %bb.31:
	v_lshlrev_b64 v[5:6], 2, v[5:6]
	v_mov_b32_e32 v11, s92
	v_add_co_u32_e32 v5, vcc, s91, v5
	v_addc_co_u32_e32 v6, vcc, v11, v6, vcc
	global_load_dword v5, v[5:6], off
	s_or_b64 s[8:9], s[8:9], exec
	s_waitcnt vmcnt(0)
	v_xor_b32_e32 v11, 0x80000000, v5
.LBB10_32:
	s_or_b64 exec, exec, s[0:1]
	s_branch .LBB10_55
.LBB10_33:
	s_mov_b64 s[8:9], 0
                                        ; implicit-def: $vgpr11
                                        ; implicit-def: $vgpr1
	s_and_b64 vcc, exec, s[2:3]
	s_cbranch_vccz .LBB10_55
; %bb.34:
	v_mad_u64_u32 v[5:6], s[0:1], s20, v2, v[3:4]
	v_cmp_le_u32_e32 vcc, v0, v2
	v_cmp_gt_i32_e64 s[0:1], s90, v0
	v_mov_b32_e32 v1, v6
	v_mad_u64_u32 v[11:12], s[2:3], s21, v2, v[1:2]
	v_max_i32_e32 v1, v2, v0
	v_cmp_le_i32_e64 s[2:3], s90, v1
	v_mov_b32_e32 v6, v11
	s_or_b64 s[2:3], s[2:3], vcc
	s_mov_b64 s[10:11], 0
                                        ; implicit-def: $vgpr1
	s_and_saveexec_b64 s[12:13], s[2:3]
	s_xor_b64 s[2:3], exec, s[12:13]
	s_cbranch_execnz .LBB10_1115
; %bb.35:
	s_andn2_saveexec_b64 s[2:3], s[2:3]
	s_cbranch_execnz .LBB10_1120
.LBB10_36:
	s_or_b64 exec, exec, s[2:3]
	s_and_saveexec_b64 s[2:3], s[10:11]
.LBB10_37:
	v_lshlrev_b32_e32 v5, 2, v0
	v_lshl_add_u32 v5, v2, 8, v5
	ds_write_b32 v5, v1
.LBB10_38:
	s_or_b64 exec, exec, s[2:3]
	v_add_u32_e32 v1, 16, v2
	v_mad_u64_u32 v[5:6], s[2:3], s20, v1, v[3:4]
	v_cmp_gt_u32_e32 vcc, v0, v1
	s_mov_b64 s[10:11], 0
	v_mad_u64_u32 v[11:12], s[2:3], s21, v1, v[6:7]
	v_cmp_gt_i32_e64 s[2:3], s90, v1
	s_and_b64 s[2:3], vcc, s[2:3]
	s_and_b64 s[2:3], s[0:1], s[2:3]
	v_mov_b32_e32 v6, v11
	s_xor_b64 s[2:3], s[2:3], -1
                                        ; implicit-def: $vgpr11
	s_and_saveexec_b64 s[12:13], s[2:3]
	s_xor_b64 s[2:3], exec, s[12:13]
	s_cbranch_execnz .LBB10_1121
; %bb.39:
	s_andn2_saveexec_b64 s[2:3], s[2:3]
	s_cbranch_execnz .LBB10_1126
.LBB10_40:
	s_or_b64 exec, exec, s[2:3]
	s_and_saveexec_b64 s[2:3], s[10:11]
.LBB10_41:
	v_lshlrev_b32_e32 v5, 2, v0
	v_lshl_add_u32 v1, v1, 8, v5
	ds_write_b32 v1, v11
.LBB10_42:
	s_or_b64 exec, exec, s[2:3]
	v_add_u32_e32 v1, 32, v2
	v_mad_u64_u32 v[5:6], s[2:3], s20, v1, v[3:4]
	v_cmp_gt_u32_e32 vcc, v0, v1
	s_mov_b64 s[10:11], 0
	v_mad_u64_u32 v[11:12], s[2:3], s21, v1, v[6:7]
	v_cmp_gt_i32_e64 s[2:3], s90, v1
	s_and_b64 s[2:3], vcc, s[2:3]
	s_and_b64 s[2:3], s[0:1], s[2:3]
	v_mov_b32_e32 v6, v11
	s_xor_b64 s[2:3], s[2:3], -1
                                        ; implicit-def: $vgpr11
	s_and_saveexec_b64 s[12:13], s[2:3]
	s_xor_b64 s[2:3], exec, s[12:13]
	s_cbranch_execnz .LBB10_1127
; %bb.43:
	s_andn2_saveexec_b64 s[2:3], s[2:3]
	s_cbranch_execnz .LBB10_1132
.LBB10_44:
	s_or_b64 exec, exec, s[2:3]
	s_and_saveexec_b64 s[2:3], s[10:11]
.LBB10_45:
	v_lshlrev_b32_e32 v5, 2, v0
	v_lshl_add_u32 v1, v1, 8, v5
	ds_write_b32 v1, v11
.LBB10_46:
	s_or_b64 exec, exec, s[2:3]
	v_add_u32_e32 v1, 48, v2
	v_mad_u64_u32 v[3:4], s[2:3], s20, v1, v[3:4]
	v_cmp_gt_u32_e32 vcc, v0, v1
                                        ; implicit-def: $vgpr11
	v_mad_u64_u32 v[4:5], s[2:3], s21, v1, v[4:5]
	v_cmp_gt_i32_e64 s[2:3], s90, v1
	s_and_b64 s[2:3], vcc, s[2:3]
	s_and_b64 s[2:3], s[0:1], s[2:3]
	s_xor_b64 s[2:3], s[2:3], -1
	s_and_saveexec_b64 s[10:11], s[2:3]
	s_xor_b64 s[2:3], exec, s[10:11]
	s_cbranch_execz .LBB10_52
; %bb.47:
	v_cmp_ne_u32_e32 vcc, v0, v1
	s_xor_b64 s[0:1], s[0:1], -1
	s_or_b64 s[10:11], s[0:1], vcc
	s_mov_b64 s[0:1], s[8:9]
	s_and_saveexec_b64 s[12:13], s[10:11]
	s_xor_b64 s[10:11], exec, s[12:13]
; %bb.48:
	v_or_b32_e32 v3, v1, v0
	v_cmp_gt_u32_e32 vcc, 64, v3
	s_andn2_b64 s[0:1], s[8:9], exec
	s_and_b64 s[12:13], vcc, exec
	s_or_b64 s[0:1], s[0:1], s[12:13]
                                        ; implicit-def: $vgpr3_vgpr4
; %bb.49:
	s_or_saveexec_b64 s[10:11], s[10:11]
	v_mov_b32_e32 v11, 0
	s_xor_b64 exec, exec, s[10:11]
	s_cbranch_execz .LBB10_51
; %bb.50:
	v_lshlrev_b64 v[3:4], 2, v[3:4]
	v_mov_b32_e32 v1, s92
	v_add_co_u32_e32 v3, vcc, s91, v3
	v_addc_co_u32_e32 v4, vcc, v1, v4, vcc
	global_load_dword v1, v[3:4], off
	s_or_b64 s[0:1], s[0:1], exec
	s_waitcnt vmcnt(0)
	v_div_scale_f32 v3, s[12:13], v1, v1, 1.0
	v_div_scale_f32 v4, vcc, 1.0, v1, 1.0
	v_rcp_f32_e32 v5, v3
	v_fma_f32 v6, -v3, v5, 1.0
	v_fmac_f32_e32 v5, v6, v5
	v_mul_f32_e32 v6, v4, v5
	v_fma_f32 v11, -v3, v6, v4
	v_fmac_f32_e32 v6, v11, v5
	v_fma_f32 v3, -v3, v6, v4
	v_div_fmas_f32 v3, v3, v5, v6
	v_div_fixup_f32 v11, v3, v1, 1.0
	v_mov_b32_e32 v1, v0
.LBB10_51:
	s_or_b64 exec, exec, s[10:11]
	s_andn2_b64 s[8:9], s[8:9], exec
	s_and_b64 s[0:1], s[0:1], exec
	s_or_b64 s[8:9], s[8:9], s[0:1]
                                        ; implicit-def: $vgpr3_vgpr4
.LBB10_52:
	s_andn2_saveexec_b64 s[0:1], s[2:3]
	s_cbranch_execz .LBB10_54
; %bb.53:
	v_lshlrev_b64 v[3:4], 2, v[3:4]
	v_mov_b32_e32 v5, s92
	v_add_co_u32_e32 v3, vcc, s91, v3
	v_addc_co_u32_e32 v4, vcc, v5, v4, vcc
	global_load_dword v3, v[3:4], off
	s_or_b64 s[8:9], s[8:9], exec
	s_waitcnt vmcnt(0)
	v_xor_b32_e32 v11, 0x80000000, v3
.LBB10_54:
	s_or_b64 exec, exec, s[0:1]
.LBB10_55:
	s_and_saveexec_b64 s[0:1], s[8:9]
; %bb.56:
	v_lshlrev_b32_e32 v3, 2, v0
	v_lshl_add_u32 v1, v1, 8, v3
	ds_write_b32 v1, v11
; %bb.57:
	s_or_b64 exec, exec, s[0:1]
	s_cmp_lt_i32 s6, 5
	s_cselect_b64 s[0:1], -1, 0
	s_or_b64 s[22:23], s[0:1], s[18:19]
	s_and_b64 vcc, exec, s[22:23]
	s_waitcnt vmcnt(0) lgkmcnt(0)
	s_barrier
	s_cbranch_vccnz .LBB10_1033
; %bb.58:
	v_or_b32_e32 v1, v0, v2
	v_cmp_eq_u32_e32 vcc, 0, v1
	s_and_saveexec_b64 s[0:1], vcc
	s_cbranch_execz .LBB10_60
; %bb.59:
	v_mov_b32_e32 v1, 0
	ds_read_b64 v[3:4], v1
	ds_read_b32 v5, v1 offset:260
	s_waitcnt lgkmcnt(0)
	v_mul_f32_e32 v3, v3, v5
	v_mul_f32_e32 v3, v4, v3
	ds_write_b32 v1, v3 offset:4
.LBB10_60:
	s_or_b64 exec, exec, s[0:1]
	v_lshl_add_u32 v4, v2, 6, v0
	v_and_b32_e32 v11, 1, v0
	v_lshrrev_b32_e32 v5, 1, v4
	v_lshlrev_b32_e32 v1, 2, v11
	v_cmp_lt_u32_e64 s[2:3], 3, v4
	v_cmp_gt_u32_e64 s[0:1], 4, v4
	v_lshl_or_b32 v1, v5, 8, v1
	v_mov_b32_e32 v6, 0
	s_waitcnt lgkmcnt(0)
	s_barrier
	s_and_saveexec_b64 s[10:11], s[0:1]
	s_cbranch_execz .LBB10_64
; %bb.61:
	v_mul_u32_u24_e32 v3, 0x104, v5
	ds_read_b32 v12, v1 offset:8
	ds_read_b32 v3, v3
	v_mov_b32_e32 v6, 0
	v_cmp_gt_u32_e64 s[8:9], 2, v4
	s_waitcnt lgkmcnt(0)
	v_fma_f32 v3, v12, v3, 0
	s_and_saveexec_b64 s[12:13], s[8:9]
	s_cbranch_execz .LBB10_63
; %bb.62:
	v_lshlrev_b32_e32 v12, 2, v0
	ds_read_b32 v12, v12 offset:264
	ds_read_b32 v6, v6 offset:4
	s_waitcnt lgkmcnt(0)
	v_fmac_f32_e32 v3, v12, v6
.LBB10_63:
	s_or_b64 exec, exec, s[12:13]
	v_xor_b32_e32 v6, 0x80000000, v3
.LBB10_64:
	s_or_b64 exec, exec, s[10:11]
	v_mov_b32_e32 v3, 0x4000
	v_cmp_eq_u32_e64 s[8:9], 0, v11
	s_xor_b64 s[10:11], s[2:3], -1
	v_lshl_add_u32 v3, v5, 2, v3
	s_and_b64 s[36:37], s[8:9], s[10:11]
	s_and_saveexec_b64 s[2:3], s[36:37]
	s_cbranch_execz .LBB10_66
; %bb.65:
	v_mov_b32_e32 v12, 0
	ds_read_b32 v12, v12 offset:520
	s_waitcnt lgkmcnt(0)
	v_mul_f32_e32 v6, v6, v12
	ds_write_b32 v3, v6
.LBB10_66:
	s_or_b64 exec, exec, s[2:3]
	v_cmp_ne_u32_e64 s[2:3], 0, v11
	s_and_b64 s[24:25], s[2:3], s[10:11]
	s_waitcnt lgkmcnt(0)
	s_barrier
	s_and_saveexec_b64 s[2:3], s[24:25]
	s_cbranch_execz .LBB10_68
; %bb.67:
	v_mov_b32_e32 v11, 0
	ds_read_b32 v11, v11 offset:524
	ds_read_b32 v12, v3
	s_waitcnt lgkmcnt(0)
	v_fmac_f32_e32 v6, v11, v12
.LBB10_68:
	s_or_b64 exec, exec, s[2:3]
	s_barrier
	s_and_saveexec_b64 s[2:3], s[24:25]
	s_cbranch_execz .LBB10_70
; %bb.69:
	v_mov_b32_e32 v11, 0
	ds_read_b32 v11, v11 offset:780
	s_waitcnt lgkmcnt(0)
	v_mul_f32_e32 v6, v6, v11
	ds_write_b32 v3, v6
.LBB10_70:
	s_or_b64 exec, exec, s[2:3]
	s_waitcnt lgkmcnt(0)
	s_barrier
	s_barrier
	s_and_saveexec_b64 s[2:3], s[0:1]
; %bb.71:
	v_xor_b32_e32 v6, 0x80000000, v6
	ds_write_b32 v1, v6 offset:8
; %bb.72:
	s_or_b64 exec, exec, s[2:3]
	s_waitcnt lgkmcnt(0)
	s_barrier
	s_barrier
	s_and_saveexec_b64 s[2:3], vcc
	s_cbranch_execz .LBB10_74
; %bb.73:
	v_mov_b32_e32 v6, 0
	ds_read_b64 v[11:12], v6 offset:520
	ds_read_b32 v13, v6 offset:780
	s_waitcnt lgkmcnt(0)
	v_mul_f32_e32 v11, v11, v13
	v_mul_f32_e32 v11, v12, v11
	ds_write_b32 v6, v11 offset:524
.LBB10_74:
	s_or_b64 exec, exec, s[2:3]
	v_and_b32_e32 v13, 3, v0
	v_lshrrev_b32_e32 v14, 2, v4
	v_lshlrev_b32_e32 v11, 2, v13
	v_cmp_lt_u32_e64 s[8:9], 15, v4
	v_cmp_gt_u32_e64 s[2:3], 16, v4
	v_lshl_or_b32 v6, v14, 8, v11
	v_mov_b32_e32 v15, 0
	s_waitcnt lgkmcnt(0)
	s_barrier
	s_and_saveexec_b64 s[12:13], s[2:3]
	s_cbranch_execz .LBB10_80
; %bb.75:
	v_mul_u32_u24_e32 v15, 0x104, v14
	ds_read_b32 v12, v6 offset:16
	ds_read_b32 v16, v15
	v_cmp_gt_u32_e64 s[10:11], 12, v4
	s_waitcnt lgkmcnt(0)
	v_fma_f32 v12, v12, v16, 0
	s_and_saveexec_b64 s[14:15], s[10:11]
	s_cbranch_execnz .LBB10_1144
; %bb.76:
	s_or_b64 exec, exec, s[14:15]
	v_cmp_gt_u32_e64 s[10:11], 8, v4
	s_and_saveexec_b64 s[14:15], s[10:11]
	s_cbranch_execnz .LBB10_1145
.LBB10_77:
	s_or_b64 exec, exec, s[14:15]
	v_cmp_gt_u32_e64 s[10:11], 4, v4
	s_and_saveexec_b64 s[14:15], s[10:11]
	s_cbranch_execz .LBB10_79
.LBB10_78:
	v_lshlrev_b32_e32 v15, 2, v0
	v_mov_b32_e32 v16, 0
	ds_read_b32 v15, v15 offset:784
	ds_read_b32 v16, v16 offset:12
	s_waitcnt lgkmcnt(0)
	v_fmac_f32_e32 v12, v15, v16
.LBB10_79:
	s_or_b64 exec, exec, s[14:15]
	v_xor_b32_e32 v15, 0x80000000, v12
.LBB10_80:
                                        ; implicit-def: $vgpr33 : SGPR spill to VGPR lane
	v_writelane_b32 v33, s40, 0
	s_or_b64 exec, exec, s[12:13]
	v_mov_b32_e32 v12, 0x4000
	v_cmp_eq_u32_e64 s[10:11], 0, v13
	s_xor_b64 s[12:13], s[8:9], -1
	v_lshl_add_u32 v12, v14, 2, v12
	s_and_b64 s[40:41], s[10:11], s[12:13]
	s_and_saveexec_b64 s[8:9], s[40:41]
	s_cbranch_execz .LBB10_82
; %bb.81:
	v_mov_b32_e32 v16, 0
	ds_read_b32 v16, v16 offset:1040
	s_waitcnt lgkmcnt(0)
	v_mul_f32_e32 v15, v15, v16
	ds_write_b32 v12, v15
.LBB10_82:
	s_or_b64 exec, exec, s[8:9]
	v_cmp_ne_u32_e64 s[8:9], 0, v13
	s_and_b64 s[42:43], s[8:9], s[12:13]
	s_waitcnt lgkmcnt(0)
	s_barrier
	s_and_saveexec_b64 s[8:9], s[42:43]
	s_cbranch_execz .LBB10_84
; %bb.83:
	ds_read_b32 v16, v11 offset:1040
	ds_read_b32 v17, v12
	s_waitcnt lgkmcnt(0)
	v_fmac_f32_e32 v15, v16, v17
.LBB10_84:
	s_or_b64 exec, exec, s[8:9]
	v_cmp_eq_u32_e64 s[8:9], 1, v13
	s_and_b64 s[44:45], s[8:9], s[12:13]
	s_barrier
	s_and_saveexec_b64 s[8:9], s[44:45]
	s_cbranch_execz .LBB10_86
; %bb.85:
	v_mov_b32_e32 v16, 0
	ds_read_b32 v16, v16 offset:1300
	s_waitcnt lgkmcnt(0)
	v_mul_f32_e32 v15, v15, v16
	ds_write_b32 v12, v15
.LBB10_86:
	s_or_b64 exec, exec, s[8:9]
	v_cmp_lt_u32_e64 s[8:9], 1, v13
	s_and_b64 s[46:47], s[8:9], s[12:13]
	s_waitcnt lgkmcnt(0)
	s_barrier
	s_and_saveexec_b64 s[8:9], s[46:47]
	s_cbranch_execz .LBB10_88
; %bb.87:
	ds_read_b32 v16, v11 offset:1296
	ds_read_b32 v17, v12
	s_waitcnt lgkmcnt(0)
	v_fmac_f32_e32 v15, v16, v17
.LBB10_88:
	s_or_b64 exec, exec, s[8:9]
	v_cmp_eq_u32_e64 s[8:9], 2, v13
	s_and_b64 s[48:49], s[8:9], s[12:13]
	s_barrier
	s_and_saveexec_b64 s[8:9], s[48:49]
	s_cbranch_execz .LBB10_90
; %bb.89:
	v_mov_b32_e32 v16, 0
	ds_read_b32 v16, v16 offset:1560
	s_waitcnt lgkmcnt(0)
	v_mul_f32_e32 v15, v15, v16
	ds_write_b32 v12, v15
.LBB10_90:
	s_or_b64 exec, exec, s[8:9]
	v_cmp_eq_u32_e64 s[8:9], 3, v13
	s_and_b64 s[38:39], s[8:9], s[12:13]
	s_waitcnt lgkmcnt(0)
	s_barrier
	s_and_saveexec_b64 s[8:9], s[38:39]
	s_cbranch_execz .LBB10_92
; %bb.91:
	v_mov_b32_e32 v16, 0
	ds_read_b32 v16, v16 offset:1564
	ds_read_b32 v17, v12
	s_waitcnt lgkmcnt(0)
	v_fmac_f32_e32 v15, v16, v17
.LBB10_92:
	s_or_b64 exec, exec, s[8:9]
	s_barrier
	s_and_saveexec_b64 s[8:9], s[38:39]
	s_cbranch_execz .LBB10_94
; %bb.93:
	v_mov_b32_e32 v16, 0
	ds_read_b32 v16, v16 offset:1820
	s_waitcnt lgkmcnt(0)
	v_mul_f32_e32 v15, v15, v16
	ds_write_b32 v12, v15
.LBB10_94:
	s_or_b64 exec, exec, s[8:9]
	s_waitcnt lgkmcnt(0)
	s_barrier
	s_barrier
	s_and_saveexec_b64 s[8:9], s[2:3]
; %bb.95:
	v_xor_b32_e32 v15, 0x80000000, v15
	ds_write_b32 v6, v15 offset:16
; %bb.96:
	s_or_b64 exec, exec, s[8:9]
	s_waitcnt lgkmcnt(0)
	s_barrier
	s_barrier
	s_and_saveexec_b64 s[8:9], vcc
	s_cbranch_execz .LBB10_98
; %bb.97:
	v_mov_b32_e32 v17, 0
	ds_read_b64 v[15:16], v17 offset:1040
	ds_read_b32 v18, v17 offset:1300
	s_waitcnt lgkmcnt(0)
	v_mul_f32_e32 v15, v15, v18
	v_mul_f32_e32 v15, v16, v15
	ds_write_b32 v17, v15 offset:1044
.LBB10_98:
	s_or_b64 exec, exec, s[8:9]
	v_mov_b32_e32 v15, 0
	s_waitcnt lgkmcnt(0)
	s_barrier
	s_and_saveexec_b64 s[10:11], s[0:1]
	s_cbranch_execz .LBB10_102
; %bb.99:
	v_mul_u32_u24_e32 v15, 0x104, v5
	ds_read_b32 v17, v1 offset:1048
	ds_read_b32 v15, v15 offset:1040
	v_mov_b32_e32 v16, 0
	v_cmp_gt_u32_e64 s[8:9], 2, v4
	s_waitcnt lgkmcnt(0)
	v_fma_f32 v15, v17, v15, 0
	s_and_saveexec_b64 s[12:13], s[8:9]
	s_cbranch_execz .LBB10_101
; %bb.100:
	v_lshlrev_b32_e32 v17, 2, v0
	ds_read_b32 v17, v17 offset:1304
	ds_read_b32 v16, v16 offset:1044
	s_waitcnt lgkmcnt(0)
	v_fmac_f32_e32 v15, v17, v16
.LBB10_101:
	s_or_b64 exec, exec, s[12:13]
	v_xor_b32_e32 v15, 0x80000000, v15
.LBB10_102:
	s_or_b64 exec, exec, s[10:11]
	s_and_saveexec_b64 s[8:9], s[36:37]
	s_cbranch_execz .LBB10_104
; %bb.103:
	v_mov_b32_e32 v16, 0
	ds_read_b32 v16, v16 offset:1560
	s_waitcnt lgkmcnt(0)
	v_mul_f32_e32 v15, v15, v16
	ds_write_b32 v3, v15
.LBB10_104:
	s_or_b64 exec, exec, s[8:9]
	s_waitcnt lgkmcnt(0)
	s_barrier
	s_and_saveexec_b64 s[8:9], s[24:25]
	s_cbranch_execz .LBB10_106
; %bb.105:
	v_mov_b32_e32 v16, 0
	ds_read_b32 v16, v16 offset:1564
	ds_read_b32 v17, v3
	s_waitcnt lgkmcnt(0)
	v_fmac_f32_e32 v15, v16, v17
.LBB10_106:
	s_or_b64 exec, exec, s[8:9]
	s_barrier
	s_and_saveexec_b64 s[8:9], s[24:25]
	s_cbranch_execz .LBB10_108
; %bb.107:
	v_mov_b32_e32 v16, 0
	ds_read_b32 v16, v16 offset:1820
	s_waitcnt lgkmcnt(0)
	v_mul_f32_e32 v15, v15, v16
	ds_write_b32 v3, v15
.LBB10_108:
	s_or_b64 exec, exec, s[8:9]
	s_waitcnt lgkmcnt(0)
	s_barrier
	s_barrier
	s_and_saveexec_b64 s[8:9], s[0:1]
; %bb.109:
	v_xor_b32_e32 v15, 0x80000000, v15
	ds_write_b32 v1, v15 offset:1048
; %bb.110:
	s_or_b64 exec, exec, s[8:9]
	s_waitcnt lgkmcnt(0)
	s_barrier
	s_barrier
	s_and_saveexec_b64 s[8:9], vcc
	s_cbranch_execz .LBB10_112
; %bb.111:
	v_mov_b32_e32 v17, 0
	ds_read_b64 v[15:16], v17 offset:1560
	ds_read_b32 v18, v17 offset:1820
	s_waitcnt lgkmcnt(0)
	v_mul_f32_e32 v15, v15, v18
	v_mul_f32_e32 v15, v16, v15
	ds_write_b32 v17, v15 offset:1564
.LBB10_112:
	s_or_b64 exec, exec, s[8:9]
	v_and_b32_e32 v18, 7, v0
	v_lshrrev_b32_e32 v19, 3, v4
	v_lshlrev_b32_e32 v16, 2, v18
	v_cmp_lt_u32_e64 s[8:9], 63, v4
	v_cmp_gt_u32_e64 s[14:15], 64, v4
	v_lshl_or_b32 v15, v19, 8, v16
	v_mov_b32_e32 v20, 0
	s_waitcnt lgkmcnt(0)
	s_barrier
	s_and_saveexec_b64 s[12:13], s[14:15]
	s_cbranch_execz .LBB10_122
; %bb.113:
	v_mul_u32_u24_e32 v20, 0x104, v19
	ds_read_b32 v17, v15 offset:32
	ds_read_b32 v21, v20
	v_cmp_gt_u32_e64 s[10:11], 56, v4
	s_waitcnt lgkmcnt(0)
	v_fma_f32 v17, v17, v21, 0
	s_and_saveexec_b64 s[16:17], s[10:11]
	s_cbranch_execnz .LBB10_1146
; %bb.114:
	s_or_b64 exec, exec, s[16:17]
	v_cmp_gt_u32_e64 s[10:11], 48, v4
	s_and_saveexec_b64 s[16:17], s[10:11]
	s_cbranch_execnz .LBB10_1147
.LBB10_115:
	s_or_b64 exec, exec, s[16:17]
	v_cmp_gt_u32_e64 s[10:11], 40, v4
	s_and_saveexec_b64 s[16:17], s[10:11]
	s_cbranch_execnz .LBB10_1148
.LBB10_116:
	s_or_b64 exec, exec, s[16:17]
	v_cmp_gt_u32_e64 s[10:11], 32, v4
	s_and_saveexec_b64 s[16:17], s[10:11]
	s_cbranch_execnz .LBB10_1149
.LBB10_117:
	s_or_b64 exec, exec, s[16:17]
	v_cmp_gt_u32_e64 s[10:11], 24, v4
	s_and_saveexec_b64 s[16:17], s[10:11]
	s_cbranch_execnz .LBB10_1150
.LBB10_118:
	s_or_b64 exec, exec, s[16:17]
	v_cmp_gt_u32_e64 s[10:11], 16, v4
	s_and_saveexec_b64 s[16:17], s[10:11]
	s_cbranch_execnz .LBB10_1151
.LBB10_119:
	s_or_b64 exec, exec, s[16:17]
	v_cmp_gt_u32_e64 s[10:11], 8, v4
	s_and_saveexec_b64 s[16:17], s[10:11]
	s_cbranch_execz .LBB10_121
.LBB10_120:
	v_lshlrev_b32_e32 v20, 2, v0
	v_mov_b32_e32 v21, 0
	ds_read_b32 v20, v20 offset:1824
	ds_read_b32 v21, v21 offset:28
	s_waitcnt lgkmcnt(0)
	v_fmac_f32_e32 v17, v20, v21
.LBB10_121:
	s_or_b64 exec, exec, s[16:17]
	v_xor_b32_e32 v20, 0x80000000, v17
.LBB10_122:
	v_writelane_b32 v33, s50, 1
	s_or_b64 exec, exec, s[12:13]
	v_mov_b32_e32 v17, 0x4000
	v_cmp_eq_u32_e64 s[10:11], 0, v18
	s_xor_b64 s[12:13], s[8:9], -1
	v_lshl_add_u32 v17, v19, 2, v17
	s_and_b64 s[50:51], s[10:11], s[12:13]
	s_and_saveexec_b64 s[8:9], s[50:51]
	s_cbranch_execz .LBB10_124
; %bb.123:
	v_mov_b32_e32 v21, 0
	ds_read_b32 v21, v21 offset:2080
	s_waitcnt lgkmcnt(0)
	v_mul_f32_e32 v20, v20, v21
	ds_write_b32 v17, v20
.LBB10_124:
	s_or_b64 exec, exec, s[8:9]
	v_cmp_ne_u32_e64 s[8:9], 0, v18
	s_and_b64 s[52:53], s[8:9], s[12:13]
	s_waitcnt lgkmcnt(0)
	s_barrier
	s_and_saveexec_b64 s[8:9], s[52:53]
	s_cbranch_execz .LBB10_126
; %bb.125:
	ds_read_b32 v21, v16 offset:2080
	ds_read_b32 v22, v17
	s_waitcnt lgkmcnt(0)
	v_fmac_f32_e32 v20, v21, v22
.LBB10_126:
	s_or_b64 exec, exec, s[8:9]
	v_cmp_eq_u32_e64 s[8:9], 1, v18
	s_and_b64 s[54:55], s[8:9], s[12:13]
	s_barrier
	s_and_saveexec_b64 s[8:9], s[54:55]
	s_cbranch_execz .LBB10_128
; %bb.127:
	v_mov_b32_e32 v21, 0
	ds_read_b32 v21, v21 offset:2340
	s_waitcnt lgkmcnt(0)
	v_mul_f32_e32 v20, v20, v21
	ds_write_b32 v17, v20
.LBB10_128:
	s_or_b64 exec, exec, s[8:9]
	v_cmp_lt_u32_e64 s[8:9], 1, v18
	s_and_b64 s[56:57], s[8:9], s[12:13]
	s_waitcnt lgkmcnt(0)
	s_barrier
	s_and_saveexec_b64 s[8:9], s[56:57]
	s_cbranch_execz .LBB10_130
; %bb.129:
	ds_read_b32 v21, v16 offset:2336
	ds_read_b32 v22, v17
	s_waitcnt lgkmcnt(0)
	v_fmac_f32_e32 v20, v21, v22
.LBB10_130:
	s_or_b64 exec, exec, s[8:9]
	v_cmp_eq_u32_e64 s[8:9], 2, v18
	s_and_b64 s[60:61], s[8:9], s[12:13]
	s_barrier
	s_and_saveexec_b64 s[8:9], s[60:61]
	s_cbranch_execz .LBB10_132
; %bb.131:
	v_mov_b32_e32 v21, 0
	ds_read_b32 v21, v21 offset:2600
	s_waitcnt lgkmcnt(0)
	v_mul_f32_e32 v20, v20, v21
	ds_write_b32 v17, v20
.LBB10_132:
	s_or_b64 exec, exec, s[8:9]
	v_cmp_lt_u32_e64 s[8:9], 2, v18
	;; [unrolled: 26-line block ×5, first 2 shown]
	s_and_b64 s[74:75], s[8:9], s[12:13]
	s_waitcnt lgkmcnt(0)
	s_barrier
	s_and_saveexec_b64 s[8:9], s[74:75]
	s_cbranch_execz .LBB10_146
; %bb.145:
	ds_read_b32 v21, v16 offset:3360
	ds_read_b32 v22, v17
	s_waitcnt lgkmcnt(0)
	v_fmac_f32_e32 v20, v21, v22
.LBB10_146:
	s_or_b64 exec, exec, s[8:9]
	v_cmp_eq_u32_e64 s[8:9], 6, v18
	s_and_b64 s[76:77], s[8:9], s[12:13]
	s_barrier
	s_and_saveexec_b64 s[8:9], s[76:77]
	s_cbranch_execz .LBB10_148
; %bb.147:
	v_mov_b32_e32 v21, 0
	ds_read_b32 v21, v21 offset:3640
	s_waitcnt lgkmcnt(0)
	v_mul_f32_e32 v20, v20, v21
	ds_write_b32 v17, v20
.LBB10_148:
	s_or_b64 exec, exec, s[8:9]
	v_cmp_eq_u32_e64 s[8:9], 7, v18
	s_and_b64 s[58:59], s[8:9], s[12:13]
	s_waitcnt lgkmcnt(0)
	s_barrier
	s_and_saveexec_b64 s[8:9], s[58:59]
	s_cbranch_execz .LBB10_150
; %bb.149:
	v_mov_b32_e32 v21, 0
	ds_read_b32 v21, v21 offset:3644
	ds_read_b32 v22, v17
	s_waitcnt lgkmcnt(0)
	v_fmac_f32_e32 v20, v21, v22
.LBB10_150:
	s_or_b64 exec, exec, s[8:9]
	s_barrier
	s_and_saveexec_b64 s[8:9], s[58:59]
	s_cbranch_execz .LBB10_152
; %bb.151:
	v_mov_b32_e32 v21, 0
	ds_read_b32 v21, v21 offset:3900
	s_waitcnt lgkmcnt(0)
	v_mul_f32_e32 v20, v20, v21
	ds_write_b32 v17, v20
.LBB10_152:
	s_or_b64 exec, exec, s[8:9]
	s_waitcnt lgkmcnt(0)
	s_barrier
	s_barrier
	s_and_saveexec_b64 s[8:9], s[14:15]
; %bb.153:
	v_xor_b32_e32 v20, 0x80000000, v20
	ds_write_b32 v15, v20 offset:32
; %bb.154:
	s_or_b64 exec, exec, s[8:9]
	s_waitcnt lgkmcnt(0)
	s_barrier
	s_barrier
	s_and_saveexec_b64 s[8:9], vcc
	s_cbranch_execz .LBB10_156
; %bb.155:
	v_mov_b32_e32 v22, 0
	ds_read_b64 v[20:21], v22 offset:2080
	ds_read_b32 v23, v22 offset:2340
	s_waitcnt lgkmcnt(0)
	v_mul_f32_e32 v20, v20, v23
	v_mul_f32_e32 v20, v21, v20
	ds_write_b32 v22, v20 offset:2084
.LBB10_156:
	s_or_b64 exec, exec, s[8:9]
	v_mov_b32_e32 v20, 0
	s_waitcnt lgkmcnt(0)
	s_barrier
	s_and_saveexec_b64 s[10:11], s[0:1]
	s_cbranch_execz .LBB10_160
; %bb.157:
	v_mul_u32_u24_e32 v20, 0x104, v5
	ds_read_b32 v22, v1 offset:2088
	ds_read_b32 v20, v20 offset:2080
	v_mov_b32_e32 v21, 0
	v_cmp_gt_u32_e64 s[8:9], 2, v4
	s_waitcnt lgkmcnt(0)
	v_fma_f32 v20, v22, v20, 0
	s_and_saveexec_b64 s[12:13], s[8:9]
	s_cbranch_execz .LBB10_159
; %bb.158:
	v_lshlrev_b32_e32 v22, 2, v0
	ds_read_b32 v22, v22 offset:2344
	ds_read_b32 v21, v21 offset:2084
	s_waitcnt lgkmcnt(0)
	v_fmac_f32_e32 v20, v22, v21
.LBB10_159:
	s_or_b64 exec, exec, s[12:13]
	v_xor_b32_e32 v20, 0x80000000, v20
.LBB10_160:
	s_or_b64 exec, exec, s[10:11]
	s_and_saveexec_b64 s[8:9], s[36:37]
	s_cbranch_execz .LBB10_162
; %bb.161:
	v_mov_b32_e32 v21, 0
	ds_read_b32 v21, v21 offset:2600
	s_waitcnt lgkmcnt(0)
	v_mul_f32_e32 v20, v20, v21
	ds_write_b32 v3, v20
.LBB10_162:
	s_or_b64 exec, exec, s[8:9]
	s_waitcnt lgkmcnt(0)
	s_barrier
	s_and_saveexec_b64 s[8:9], s[24:25]
	s_cbranch_execz .LBB10_164
; %bb.163:
	v_mov_b32_e32 v21, 0
	ds_read_b32 v21, v21 offset:2604
	ds_read_b32 v22, v3
	s_waitcnt lgkmcnt(0)
	v_fmac_f32_e32 v20, v21, v22
.LBB10_164:
	s_or_b64 exec, exec, s[8:9]
	s_barrier
	s_and_saveexec_b64 s[8:9], s[24:25]
	s_cbranch_execz .LBB10_166
; %bb.165:
	v_mov_b32_e32 v21, 0
	ds_read_b32 v21, v21 offset:2860
	s_waitcnt lgkmcnt(0)
	v_mul_f32_e32 v20, v20, v21
	ds_write_b32 v3, v20
.LBB10_166:
	s_or_b64 exec, exec, s[8:9]
	s_waitcnt lgkmcnt(0)
	s_barrier
	s_barrier
	s_and_saveexec_b64 s[8:9], s[0:1]
; %bb.167:
	v_xor_b32_e32 v20, 0x80000000, v20
	ds_write_b32 v1, v20 offset:2088
; %bb.168:
	s_or_b64 exec, exec, s[8:9]
	s_waitcnt lgkmcnt(0)
	s_barrier
	s_barrier
	s_and_saveexec_b64 s[8:9], vcc
	s_cbranch_execz .LBB10_170
; %bb.169:
	v_mov_b32_e32 v22, 0
	ds_read_b64 v[20:21], v22 offset:2600
	ds_read_b32 v23, v22 offset:2860
	s_waitcnt lgkmcnt(0)
	v_mul_f32_e32 v20, v20, v23
	v_mul_f32_e32 v20, v21, v20
	ds_write_b32 v22, v20 offset:2604
.LBB10_170:
	s_or_b64 exec, exec, s[8:9]
	v_mov_b32_e32 v20, 0
	s_waitcnt lgkmcnt(0)
	s_barrier
	s_and_saveexec_b64 s[10:11], s[2:3]
	s_cbranch_execz .LBB10_176
; %bb.171:
	v_mul_u32_u24_e32 v21, 0x104, v14
	ds_read_b32 v20, v6 offset:2096
	ds_read_b32 v22, v21 offset:2080
	v_cmp_gt_u32_e64 s[8:9], 12, v4
	s_waitcnt lgkmcnt(0)
	v_fma_f32 v20, v20, v22, 0
	s_and_saveexec_b64 s[12:13], s[8:9]
	s_cbranch_execnz .LBB10_1152
; %bb.172:
	s_or_b64 exec, exec, s[12:13]
	v_cmp_gt_u32_e64 s[8:9], 8, v4
	s_and_saveexec_b64 s[12:13], s[8:9]
	s_cbranch_execnz .LBB10_1153
.LBB10_173:
	s_or_b64 exec, exec, s[12:13]
	v_cmp_gt_u32_e64 s[8:9], 4, v4
	s_and_saveexec_b64 s[12:13], s[8:9]
	s_cbranch_execz .LBB10_175
.LBB10_174:
	v_lshlrev_b32_e32 v21, 2, v0
	v_mov_b32_e32 v22, 0
	ds_read_b32 v21, v21 offset:2864
	ds_read_b32 v22, v22 offset:2092
	s_waitcnt lgkmcnt(0)
	v_fmac_f32_e32 v20, v21, v22
.LBB10_175:
	s_or_b64 exec, exec, s[12:13]
	v_xor_b32_e32 v20, 0x80000000, v20
.LBB10_176:
	s_or_b64 exec, exec, s[10:11]
	s_and_saveexec_b64 s[8:9], s[40:41]
	s_cbranch_execz .LBB10_178
; %bb.177:
	v_mov_b32_e32 v21, 0
	ds_read_b32 v21, v21 offset:3120
	s_waitcnt lgkmcnt(0)
	v_mul_f32_e32 v20, v20, v21
	ds_write_b32 v12, v20
.LBB10_178:
	s_or_b64 exec, exec, s[8:9]
	s_waitcnt lgkmcnt(0)
	s_barrier
	s_and_saveexec_b64 s[8:9], s[42:43]
	s_cbranch_execz .LBB10_180
; %bb.179:
	ds_read_b32 v21, v11 offset:3120
	ds_read_b32 v22, v12
	s_waitcnt lgkmcnt(0)
	v_fmac_f32_e32 v20, v21, v22
.LBB10_180:
	s_or_b64 exec, exec, s[8:9]
	s_barrier
	s_and_saveexec_b64 s[8:9], s[44:45]
	s_cbranch_execz .LBB10_182
; %bb.181:
	v_mov_b32_e32 v21, 0
	ds_read_b32 v21, v21 offset:3380
	s_waitcnt lgkmcnt(0)
	v_mul_f32_e32 v20, v20, v21
	ds_write_b32 v12, v20
.LBB10_182:
	s_or_b64 exec, exec, s[8:9]
	s_waitcnt lgkmcnt(0)
	s_barrier
	s_and_saveexec_b64 s[8:9], s[46:47]
	s_cbranch_execz .LBB10_184
; %bb.183:
	ds_read_b32 v21, v11 offset:3376
	ds_read_b32 v22, v12
	s_waitcnt lgkmcnt(0)
	v_fmac_f32_e32 v20, v21, v22
.LBB10_184:
	s_or_b64 exec, exec, s[8:9]
	s_barrier
	s_and_saveexec_b64 s[8:9], s[48:49]
	s_cbranch_execz .LBB10_186
; %bb.185:
	v_mov_b32_e32 v21, 0
	ds_read_b32 v21, v21 offset:3640
	s_waitcnt lgkmcnt(0)
	v_mul_f32_e32 v20, v20, v21
	ds_write_b32 v12, v20
.LBB10_186:
	s_or_b64 exec, exec, s[8:9]
	s_waitcnt lgkmcnt(0)
	s_barrier
	s_and_saveexec_b64 s[8:9], s[38:39]
	s_cbranch_execz .LBB10_188
; %bb.187:
	v_mov_b32_e32 v21, 0
	ds_read_b32 v21, v21 offset:3644
	ds_read_b32 v22, v12
	s_waitcnt lgkmcnt(0)
	v_fmac_f32_e32 v20, v21, v22
.LBB10_188:
	s_or_b64 exec, exec, s[8:9]
	s_barrier
	s_and_saveexec_b64 s[8:9], s[38:39]
	s_cbranch_execz .LBB10_190
; %bb.189:
	v_mov_b32_e32 v21, 0
	ds_read_b32 v21, v21 offset:3900
	s_waitcnt lgkmcnt(0)
	v_mul_f32_e32 v20, v20, v21
	ds_write_b32 v12, v20
.LBB10_190:
	s_or_b64 exec, exec, s[8:9]
	s_waitcnt lgkmcnt(0)
	s_barrier
	s_barrier
	s_and_saveexec_b64 s[8:9], s[2:3]
; %bb.191:
	v_xor_b32_e32 v20, 0x80000000, v20
	ds_write_b32 v6, v20 offset:2096
; %bb.192:
	s_or_b64 exec, exec, s[8:9]
	s_waitcnt lgkmcnt(0)
	s_barrier
	s_barrier
	s_and_saveexec_b64 s[8:9], vcc
	s_cbranch_execz .LBB10_194
; %bb.193:
	v_mov_b32_e32 v22, 0
	ds_read_b64 v[20:21], v22 offset:3120
	ds_read_b32 v23, v22 offset:3380
	s_waitcnt lgkmcnt(0)
	v_mul_f32_e32 v20, v20, v23
	v_mul_f32_e32 v20, v21, v20
	ds_write_b32 v22, v20 offset:3124
.LBB10_194:
	s_or_b64 exec, exec, s[8:9]
	v_mov_b32_e32 v20, 0
	s_waitcnt lgkmcnt(0)
	s_barrier
	s_and_saveexec_b64 s[10:11], s[0:1]
	s_cbranch_execz .LBB10_198
; %bb.195:
	v_mul_u32_u24_e32 v20, 0x104, v5
	ds_read_b32 v22, v1 offset:3128
	ds_read_b32 v20, v20 offset:3120
	v_mov_b32_e32 v21, 0
	v_cmp_gt_u32_e64 s[8:9], 2, v4
	s_waitcnt lgkmcnt(0)
	v_fma_f32 v20, v22, v20, 0
	s_and_saveexec_b64 s[12:13], s[8:9]
	s_cbranch_execz .LBB10_197
; %bb.196:
	v_lshlrev_b32_e32 v22, 2, v0
	ds_read_b32 v22, v22 offset:3384
	ds_read_b32 v21, v21 offset:3124
	s_waitcnt lgkmcnt(0)
	v_fmac_f32_e32 v20, v22, v21
.LBB10_197:
	s_or_b64 exec, exec, s[12:13]
	v_xor_b32_e32 v20, 0x80000000, v20
.LBB10_198:
	s_or_b64 exec, exec, s[10:11]
	s_and_saveexec_b64 s[8:9], s[36:37]
	s_cbranch_execz .LBB10_200
; %bb.199:
	v_mov_b32_e32 v21, 0
	ds_read_b32 v21, v21 offset:3640
	s_waitcnt lgkmcnt(0)
	v_mul_f32_e32 v20, v20, v21
	ds_write_b32 v3, v20
.LBB10_200:
	s_or_b64 exec, exec, s[8:9]
	s_waitcnt lgkmcnt(0)
	s_barrier
	s_and_saveexec_b64 s[8:9], s[24:25]
	s_cbranch_execz .LBB10_202
; %bb.201:
	v_mov_b32_e32 v21, 0
	ds_read_b32 v21, v21 offset:3644
	ds_read_b32 v22, v3
	s_waitcnt lgkmcnt(0)
	v_fmac_f32_e32 v20, v21, v22
.LBB10_202:
	s_or_b64 exec, exec, s[8:9]
	s_barrier
	s_and_saveexec_b64 s[8:9], s[24:25]
	s_cbranch_execz .LBB10_204
; %bb.203:
	v_mov_b32_e32 v21, 0
	ds_read_b32 v21, v21 offset:3900
	s_waitcnt lgkmcnt(0)
	v_mul_f32_e32 v20, v20, v21
	ds_write_b32 v3, v20
.LBB10_204:
	s_or_b64 exec, exec, s[8:9]
	s_waitcnt lgkmcnt(0)
	s_barrier
	s_barrier
	s_and_saveexec_b64 s[8:9], s[0:1]
; %bb.205:
	v_xor_b32_e32 v20, 0x80000000, v20
	ds_write_b32 v1, v20 offset:3128
; %bb.206:
	s_or_b64 exec, exec, s[8:9]
	s_waitcnt lgkmcnt(0)
	s_barrier
	s_barrier
	s_and_saveexec_b64 s[8:9], vcc
	s_cbranch_execz .LBB10_208
; %bb.207:
	v_mov_b32_e32 v22, 0
	ds_read_b64 v[20:21], v22 offset:3640
	ds_read_b32 v23, v22 offset:3900
	s_waitcnt lgkmcnt(0)
	v_mul_f32_e32 v20, v20, v23
	v_mul_f32_e32 v20, v21, v20
	ds_write_b32 v22, v20 offset:3644
.LBB10_208:
	s_or_b64 exec, exec, s[8:9]
	v_lshrrev_b32_e32 v24, 4, v4
	v_and_b32_e32 v21, 15, v0
	s_movk_i32 s8, 0xff
	v_lshlrev_b32_e32 v23, 6, v24
	v_cmp_lt_u32_e64 s[10:11], s8, v4
	s_movk_i32 s8, 0x100
	v_or_b32_e32 v20, v23, v21
	v_cmp_gt_u32_e64 s[8:9], s8, v4
	v_lshlrev_b32_e32 v20, 2, v20
	v_mov_b32_e32 v25, 0
	s_waitcnt lgkmcnt(0)
	s_barrier
	s_and_saveexec_b64 s[16:17], s[8:9]
	s_cbranch_execz .LBB10_236
; %bb.209:
	v_mul_u32_u24_e32 v25, 0x104, v24
	ds_read_b32 v22, v20 offset:64
	ds_read_b32 v26, v25
	s_movk_i32 s12, 0xf0
	v_cmp_gt_u32_e64 s[12:13], s12, v4
	s_waitcnt lgkmcnt(0)
	v_fma_f32 v22, v22, v26, 0
	s_and_saveexec_b64 s[78:79], s[12:13]
	s_cbranch_execz .LBB10_211
; %bb.210:
	v_lshlrev_b32_e32 v26, 2, v24
	v_sub_u32_e32 v26, v25, v26
	v_lshl_add_u32 v26, v21, 2, v26
	ds_read_b32 v26, v26 offset:320
	ds_read_b32 v27, v25 offset:4
	s_waitcnt lgkmcnt(0)
	v_fmac_f32_e32 v22, v26, v27
.LBB10_211:
	s_or_b64 exec, exec, s[78:79]
	s_movk_i32 s12, 0xe0
	v_cmp_gt_u32_e64 s[12:13], s12, v4
	s_and_saveexec_b64 s[78:79], s[12:13]
	s_cbranch_execz .LBB10_213
; %bb.212:
	v_lshlrev_b32_e32 v26, 2, v24
	v_sub_u32_e32 v26, v25, v26
	v_lshl_add_u32 v26, v21, 2, v26
	ds_read_b32 v26, v26 offset:576
	ds_read_b32 v27, v25 offset:8
	s_waitcnt lgkmcnt(0)
	v_fmac_f32_e32 v22, v26, v27
.LBB10_213:
	s_or_b64 exec, exec, s[78:79]
	s_movk_i32 s12, 0xd0
	v_cmp_gt_u32_e64 s[12:13], s12, v4
	;; [unrolled: 14-line block ×7, first 2 shown]
	s_and_saveexec_b64 s[78:79], s[12:13]
	s_cbranch_execz .LBB10_225
; %bb.224:
	ds_read_b32 v26, v20 offset:2112
	ds_read_b32 v27, v25 offset:32
	s_waitcnt lgkmcnt(0)
	v_fmac_f32_e32 v22, v26, v27
.LBB10_225:
	s_or_b64 exec, exec, s[78:79]
	s_movk_i32 s12, 0x70
	v_cmp_gt_u32_e64 s[12:13], s12, v4
	s_and_saveexec_b64 s[78:79], s[12:13]
	s_cbranch_execz .LBB10_227
; %bb.226:
	v_lshlrev_b32_e32 v26, 2, v24
	v_sub_u32_e32 v26, v25, v26
	v_lshl_add_u32 v26, v21, 2, v26
	ds_read_b32 v26, v26 offset:2368
	ds_read_b32 v27, v25 offset:36
	s_waitcnt lgkmcnt(0)
	v_fmac_f32_e32 v22, v26, v27
.LBB10_227:
	s_or_b64 exec, exec, s[78:79]
	s_movk_i32 s12, 0x60
	v_cmp_gt_u32_e64 s[12:13], s12, v4
	s_and_saveexec_b64 s[78:79], s[12:13]
	s_cbranch_execz .LBB10_229
; %bb.228:
	v_lshlrev_b32_e32 v26, 2, v21
	v_lshl_add_u32 v26, v23, 2, v26
	ds_read_b32 v26, v26 offset:2624
	ds_read_b32 v27, v25 offset:40
	s_waitcnt lgkmcnt(0)
	v_fmac_f32_e32 v22, v26, v27
.LBB10_229:
	s_or_b64 exec, exec, s[78:79]
	s_movk_i32 s12, 0x50
	v_cmp_gt_u32_e64 s[12:13], s12, v4
	s_and_saveexec_b64 s[78:79], s[12:13]
	s_cbranch_execnz .LBB10_1154
; %bb.230:
	s_or_b64 exec, exec, s[78:79]
	v_cmp_gt_u32_e64 s[12:13], 64, v4
	s_and_saveexec_b64 s[78:79], s[12:13]
	s_cbranch_execnz .LBB10_1155
.LBB10_231:
	s_or_b64 exec, exec, s[78:79]
	v_cmp_gt_u32_e64 s[12:13], 48, v4
	s_and_saveexec_b64 s[78:79], s[12:13]
	s_cbranch_execnz .LBB10_1156
.LBB10_232:
	s_or_b64 exec, exec, s[78:79]
	v_cmp_gt_u32_e64 s[12:13], 32, v4
	s_and_saveexec_b64 s[78:79], s[12:13]
	s_cbranch_execnz .LBB10_1157
.LBB10_233:
	s_or_b64 exec, exec, s[78:79]
	v_cmp_gt_u32_e64 s[12:13], 16, v4
	s_and_saveexec_b64 s[78:79], s[12:13]
	s_cbranch_execz .LBB10_235
.LBB10_234:
	v_lshlrev_b32_e32 v25, 2, v0
	v_mov_b32_e32 v26, 0
	ds_read_b32 v25, v25 offset:3904
	ds_read_b32 v26, v26 offset:60
	s_waitcnt lgkmcnt(0)
	v_fmac_f32_e32 v22, v25, v26
.LBB10_235:
	s_or_b64 exec, exec, s[78:79]
	v_xor_b32_e32 v25, 0x80000000, v22
.LBB10_236:
	s_or_b64 exec, exec, s[16:17]
	v_mov_b32_e32 v22, 0x4000
	v_lshl_add_u32 v22, v24, 2, v22
	v_cmp_eq_u32_e64 s[12:13], 0, v21
	s_xor_b64 s[16:17], s[10:11], -1
	s_and_b64 s[12:13], s[12:13], s[16:17]
	s_mov_b64 s[10:11], exec
	v_writelane_b32 v33, s12, 2
	v_writelane_b32 v33, s13, 3
	s_and_b64 s[12:13], s[10:11], s[12:13]
	s_mov_b64 exec, s[12:13]
	s_cbranch_execz .LBB10_238
; %bb.237:
	v_mov_b32_e32 v26, 0
	ds_read_b32 v26, v26 offset:4160
	s_waitcnt lgkmcnt(0)
	v_mul_f32_e32 v25, v25, v26
	ds_write_b32 v22, v25
.LBB10_238:
	s_or_b64 exec, exec, s[10:11]
	v_cmp_ne_u32_e64 s[10:11], 0, v21
	s_waitcnt lgkmcnt(0)
	s_barrier
	s_and_b64 s[12:13], s[10:11], s[16:17]
	s_mov_b64 s[10:11], exec
	v_writelane_b32 v33, s12, 4
	v_writelane_b32 v33, s13, 5
	s_and_b64 s[12:13], s[10:11], s[12:13]
	s_mov_b64 exec, s[12:13]
	s_cbranch_execz .LBB10_240
; %bb.239:
	v_lshlrev_b32_e32 v26, 2, v21
	ds_read_b32 v26, v26 offset:4160
	ds_read_b32 v27, v22
	s_waitcnt lgkmcnt(0)
	v_fmac_f32_e32 v25, v26, v27
.LBB10_240:
	s_or_b64 exec, exec, s[10:11]
	v_cmp_eq_u32_e64 s[10:11], 1, v21
	s_barrier
	s_and_b64 s[12:13], s[10:11], s[16:17]
	s_mov_b64 s[10:11], exec
	v_writelane_b32 v33, s12, 6
	v_writelane_b32 v33, s13, 7
	s_and_b64 s[12:13], s[10:11], s[12:13]
	s_mov_b64 exec, s[12:13]
	s_cbranch_execz .LBB10_242
; %bb.241:
	v_mov_b32_e32 v26, 0
	ds_read_b32 v26, v26 offset:4420
	s_waitcnt lgkmcnt(0)
	v_mul_f32_e32 v25, v25, v26
	ds_write_b32 v22, v25
.LBB10_242:
	s_or_b64 exec, exec, s[10:11]
	v_cmp_lt_u32_e64 s[10:11], 1, v21
	s_waitcnt lgkmcnt(0)
	s_barrier
	s_and_b64 s[12:13], s[10:11], s[16:17]
	s_mov_b64 s[10:11], exec
	v_writelane_b32 v33, s12, 8
	v_writelane_b32 v33, s13, 9
	s_and_b64 s[12:13], s[10:11], s[12:13]
	s_mov_b64 exec, s[12:13]
	s_cbranch_execz .LBB10_244
; %bb.243:
	v_lshlrev_b32_e32 v26, 2, v21
	ds_read_b32 v26, v26 offset:4416
	ds_read_b32 v27, v22
	s_waitcnt lgkmcnt(0)
	v_fmac_f32_e32 v25, v26, v27
.LBB10_244:
	s_or_b64 exec, exec, s[10:11]
	v_cmp_eq_u32_e64 s[10:11], 2, v21
	s_barrier
	s_and_b64 s[12:13], s[10:11], s[16:17]
	s_mov_b64 s[10:11], exec
	v_writelane_b32 v33, s12, 10
	v_writelane_b32 v33, s13, 11
	s_and_b64 s[12:13], s[10:11], s[12:13]
	s_mov_b64 exec, s[12:13]
	s_cbranch_execz .LBB10_246
; %bb.245:
	v_mov_b32_e32 v26, 0
	ds_read_b32 v26, v26 offset:4680
	s_waitcnt lgkmcnt(0)
	v_mul_f32_e32 v25, v25, v26
	ds_write_b32 v22, v25
.LBB10_246:
	s_or_b64 exec, exec, s[10:11]
	v_cmp_lt_u32_e64 s[10:11], 2, v21
	;; [unrolled: 35-line block ×12, first 2 shown]
	s_and_b64 s[94:95], s[10:11], s[16:17]
	s_waitcnt lgkmcnt(0)
	s_barrier
	s_and_saveexec_b64 s[10:11], s[94:95]
	s_cbranch_execz .LBB10_288
; %bb.287:
	v_lshlrev_b32_e32 v26, 2, v21
	ds_read_b32 v26, v26 offset:7232
	ds_read_b32 v27, v22
	s_waitcnt lgkmcnt(0)
	v_fmac_f32_e32 v25, v26, v27
.LBB10_288:
	s_or_b64 exec, exec, s[10:11]
	v_cmp_eq_u32_e64 s[10:11], 13, v21
	s_and_b64 s[78:79], s[10:11], s[16:17]
	s_barrier
	s_and_saveexec_b64 s[10:11], s[78:79]
	s_cbranch_execz .LBB10_290
; %bb.289:
	v_mov_b32_e32 v26, 0
	ds_read_b32 v26, v26 offset:7540
	s_waitcnt lgkmcnt(0)
	v_mul_f32_e32 v25, v25, v26
	ds_write_b32 v22, v25
.LBB10_290:
	s_or_b64 exec, exec, s[10:11]
	v_cmp_lt_u32_e64 s[10:11], 13, v21
	s_and_b64 s[80:81], s[10:11], s[16:17]
	s_waitcnt lgkmcnt(0)
	s_barrier
	s_and_saveexec_b64 s[10:11], s[80:81]
	s_cbranch_execz .LBB10_292
; %bb.291:
	v_lshlrev_b32_e32 v26, 2, v21
	ds_read_b32 v26, v26 offset:7488
	ds_read_b32 v27, v22
	s_waitcnt lgkmcnt(0)
	v_fmac_f32_e32 v25, v26, v27
.LBB10_292:
	s_or_b64 exec, exec, s[10:11]
	v_cmp_eq_u32_e64 s[10:11], 14, v21
	s_and_b64 s[84:85], s[10:11], s[16:17]
	s_barrier
	s_and_saveexec_b64 s[10:11], s[84:85]
	s_cbranch_execz .LBB10_294
; %bb.293:
	v_mov_b32_e32 v26, 0
	ds_read_b32 v26, v26 offset:7800
	s_waitcnt lgkmcnt(0)
	v_mul_f32_e32 v25, v25, v26
	ds_write_b32 v22, v25
.LBB10_294:
	s_or_b64 exec, exec, s[10:11]
	v_cmp_eq_u32_e64 s[10:11], 15, v21
	s_and_b64 s[82:83], s[10:11], s[16:17]
	s_waitcnt lgkmcnt(0)
	s_barrier
	s_and_saveexec_b64 s[10:11], s[82:83]
	s_cbranch_execz .LBB10_296
; %bb.295:
	v_mov_b32_e32 v26, 0
	ds_read_b32 v26, v26 offset:7804
	ds_read_b32 v27, v22
	s_waitcnt lgkmcnt(0)
	v_fmac_f32_e32 v25, v26, v27
.LBB10_296:
	s_or_b64 exec, exec, s[10:11]
	s_barrier
	s_and_saveexec_b64 s[10:11], s[82:83]
	s_cbranch_execz .LBB10_298
; %bb.297:
	v_mov_b32_e32 v26, 0
	ds_read_b32 v26, v26 offset:8060
	s_waitcnt lgkmcnt(0)
	v_mul_f32_e32 v25, v25, v26
	ds_write_b32 v22, v25
.LBB10_298:
	s_or_b64 exec, exec, s[10:11]
	s_waitcnt lgkmcnt(0)
	s_barrier
	s_barrier
	s_and_saveexec_b64 s[10:11], s[8:9]
; %bb.299:
	v_xor_b32_e32 v25, 0x80000000, v25
	ds_write_b32 v20, v25 offset:64
; %bb.300:
	s_or_b64 exec, exec, s[10:11]
	s_waitcnt lgkmcnt(0)
	s_barrier
	s_barrier
	s_and_saveexec_b64 s[10:11], vcc
	s_cbranch_execz .LBB10_302
; %bb.301:
	v_mov_b32_e32 v27, 0
	ds_read_b64 v[25:26], v27 offset:4160
	ds_read_b32 v28, v27 offset:4420
	s_waitcnt lgkmcnt(0)
	v_mul_f32_e32 v25, v25, v28
	v_mul_f32_e32 v25, v26, v25
	ds_write_b32 v27, v25 offset:4164
.LBB10_302:
	s_or_b64 exec, exec, s[10:11]
	v_mov_b32_e32 v25, 0
	s_waitcnt lgkmcnt(0)
	s_barrier
	s_and_saveexec_b64 s[12:13], s[0:1]
	s_cbranch_execz .LBB10_306
; %bb.303:
	v_mul_u32_u24_e32 v25, 0x104, v5
	ds_read_b32 v27, v1 offset:4168
	ds_read_b32 v25, v25 offset:4160
	v_mov_b32_e32 v26, 0
	v_cmp_gt_u32_e64 s[10:11], 2, v4
	s_waitcnt lgkmcnt(0)
	v_fma_f32 v25, v27, v25, 0
	s_and_saveexec_b64 s[16:17], s[10:11]
	s_cbranch_execz .LBB10_305
; %bb.304:
	v_lshlrev_b32_e32 v27, 2, v0
	ds_read_b32 v27, v27 offset:4424
	ds_read_b32 v26, v26 offset:4164
	s_waitcnt lgkmcnt(0)
	v_fmac_f32_e32 v25, v27, v26
.LBB10_305:
	s_or_b64 exec, exec, s[16:17]
	v_xor_b32_e32 v25, 0x80000000, v25
.LBB10_306:
	s_or_b64 exec, exec, s[12:13]
	s_and_saveexec_b64 s[10:11], s[36:37]
	s_cbranch_execz .LBB10_308
; %bb.307:
	v_mov_b32_e32 v26, 0
	ds_read_b32 v26, v26 offset:4680
	s_waitcnt lgkmcnt(0)
	v_mul_f32_e32 v25, v25, v26
	ds_write_b32 v3, v25
.LBB10_308:
	s_or_b64 exec, exec, s[10:11]
	s_waitcnt lgkmcnt(0)
	s_barrier
	s_and_saveexec_b64 s[10:11], s[24:25]
	s_cbranch_execz .LBB10_310
; %bb.309:
	v_mov_b32_e32 v26, 0
	ds_read_b32 v26, v26 offset:4684
	ds_read_b32 v27, v3
	s_waitcnt lgkmcnt(0)
	v_fmac_f32_e32 v25, v26, v27
.LBB10_310:
	s_or_b64 exec, exec, s[10:11]
	s_barrier
	s_and_saveexec_b64 s[10:11], s[24:25]
	s_cbranch_execz .LBB10_312
; %bb.311:
	v_mov_b32_e32 v26, 0
	ds_read_b32 v26, v26 offset:4940
	s_waitcnt lgkmcnt(0)
	v_mul_f32_e32 v25, v25, v26
	ds_write_b32 v3, v25
.LBB10_312:
	s_or_b64 exec, exec, s[10:11]
	s_waitcnt lgkmcnt(0)
	s_barrier
	s_barrier
	s_and_saveexec_b64 s[10:11], s[0:1]
; %bb.313:
	v_xor_b32_e32 v25, 0x80000000, v25
	ds_write_b32 v1, v25 offset:4168
; %bb.314:
	s_or_b64 exec, exec, s[10:11]
	s_waitcnt lgkmcnt(0)
	s_barrier
	s_barrier
	s_and_saveexec_b64 s[10:11], vcc
	s_cbranch_execz .LBB10_316
; %bb.315:
	v_mov_b32_e32 v27, 0
	ds_read_b64 v[25:26], v27 offset:4680
	ds_read_b32 v28, v27 offset:4940
	s_waitcnt lgkmcnt(0)
	v_mul_f32_e32 v25, v25, v28
	v_mul_f32_e32 v25, v26, v25
	ds_write_b32 v27, v25 offset:4684
.LBB10_316:
	s_or_b64 exec, exec, s[10:11]
	v_mov_b32_e32 v25, 0
	s_waitcnt lgkmcnt(0)
	s_barrier
	s_and_saveexec_b64 s[12:13], s[2:3]
	s_cbranch_execz .LBB10_322
; %bb.317:
	v_mul_u32_u24_e32 v26, 0x104, v14
	ds_read_b32 v25, v6 offset:4176
	ds_read_b32 v27, v26 offset:4160
	v_cmp_gt_u32_e64 s[10:11], 12, v4
	s_waitcnt lgkmcnt(0)
	v_fma_f32 v25, v25, v27, 0
	s_and_saveexec_b64 s[16:17], s[10:11]
	s_cbranch_execnz .LBB10_1158
; %bb.318:
	s_or_b64 exec, exec, s[16:17]
	v_cmp_gt_u32_e64 s[10:11], 8, v4
	s_and_saveexec_b64 s[16:17], s[10:11]
	s_cbranch_execnz .LBB10_1159
.LBB10_319:
	s_or_b64 exec, exec, s[16:17]
	v_cmp_gt_u32_e64 s[10:11], 4, v4
	s_and_saveexec_b64 s[16:17], s[10:11]
	s_cbranch_execz .LBB10_321
.LBB10_320:
	v_lshlrev_b32_e32 v26, 2, v0
	v_mov_b32_e32 v27, 0
	ds_read_b32 v26, v26 offset:4944
	ds_read_b32 v27, v27 offset:4172
	s_waitcnt lgkmcnt(0)
	v_fmac_f32_e32 v25, v26, v27
.LBB10_321:
	s_or_b64 exec, exec, s[16:17]
	v_xor_b32_e32 v25, 0x80000000, v25
.LBB10_322:
	s_or_b64 exec, exec, s[12:13]
	s_and_saveexec_b64 s[10:11], s[40:41]
	s_cbranch_execz .LBB10_324
; %bb.323:
	v_mov_b32_e32 v26, 0
	ds_read_b32 v26, v26 offset:5200
	s_waitcnt lgkmcnt(0)
	v_mul_f32_e32 v25, v25, v26
	ds_write_b32 v12, v25
.LBB10_324:
	s_or_b64 exec, exec, s[10:11]
	s_waitcnt lgkmcnt(0)
	s_barrier
	s_and_saveexec_b64 s[10:11], s[42:43]
	s_cbranch_execz .LBB10_326
; %bb.325:
	ds_read_b32 v26, v11 offset:5200
	ds_read_b32 v27, v12
	s_waitcnt lgkmcnt(0)
	v_fmac_f32_e32 v25, v26, v27
.LBB10_326:
	s_or_b64 exec, exec, s[10:11]
	s_barrier
	s_and_saveexec_b64 s[10:11], s[44:45]
	s_cbranch_execz .LBB10_328
; %bb.327:
	v_mov_b32_e32 v26, 0
	ds_read_b32 v26, v26 offset:5460
	s_waitcnt lgkmcnt(0)
	v_mul_f32_e32 v25, v25, v26
	ds_write_b32 v12, v25
.LBB10_328:
	s_or_b64 exec, exec, s[10:11]
	s_waitcnt lgkmcnt(0)
	s_barrier
	s_and_saveexec_b64 s[10:11], s[46:47]
	s_cbranch_execz .LBB10_330
; %bb.329:
	ds_read_b32 v26, v11 offset:5456
	ds_read_b32 v27, v12
	s_waitcnt lgkmcnt(0)
	v_fmac_f32_e32 v25, v26, v27
.LBB10_330:
	s_or_b64 exec, exec, s[10:11]
	s_barrier
	s_and_saveexec_b64 s[10:11], s[48:49]
	s_cbranch_execz .LBB10_332
; %bb.331:
	v_mov_b32_e32 v26, 0
	ds_read_b32 v26, v26 offset:5720
	s_waitcnt lgkmcnt(0)
	v_mul_f32_e32 v25, v25, v26
	ds_write_b32 v12, v25
.LBB10_332:
	s_or_b64 exec, exec, s[10:11]
	s_waitcnt lgkmcnt(0)
	s_barrier
	s_and_saveexec_b64 s[10:11], s[38:39]
	s_cbranch_execz .LBB10_334
; %bb.333:
	v_mov_b32_e32 v26, 0
	ds_read_b32 v26, v26 offset:5724
	ds_read_b32 v27, v12
	s_waitcnt lgkmcnt(0)
	v_fmac_f32_e32 v25, v26, v27
.LBB10_334:
	s_or_b64 exec, exec, s[10:11]
	s_barrier
	s_and_saveexec_b64 s[10:11], s[38:39]
	s_cbranch_execz .LBB10_336
; %bb.335:
	v_mov_b32_e32 v26, 0
	ds_read_b32 v26, v26 offset:5980
	s_waitcnt lgkmcnt(0)
	v_mul_f32_e32 v25, v25, v26
	ds_write_b32 v12, v25
.LBB10_336:
	s_or_b64 exec, exec, s[10:11]
	s_waitcnt lgkmcnt(0)
	s_barrier
	s_barrier
	s_and_saveexec_b64 s[10:11], s[2:3]
; %bb.337:
	v_xor_b32_e32 v25, 0x80000000, v25
	ds_write_b32 v6, v25 offset:4176
; %bb.338:
	s_or_b64 exec, exec, s[10:11]
	s_waitcnt lgkmcnt(0)
	s_barrier
	s_barrier
	s_and_saveexec_b64 s[10:11], vcc
	s_cbranch_execz .LBB10_340
; %bb.339:
	v_mov_b32_e32 v27, 0
	ds_read_b64 v[25:26], v27 offset:5200
	ds_read_b32 v28, v27 offset:5460
	s_waitcnt lgkmcnt(0)
	v_mul_f32_e32 v25, v25, v28
	v_mul_f32_e32 v25, v26, v25
	ds_write_b32 v27, v25 offset:5204
.LBB10_340:
	s_or_b64 exec, exec, s[10:11]
	v_mov_b32_e32 v25, 0
	s_waitcnt lgkmcnt(0)
	s_barrier
	s_and_saveexec_b64 s[12:13], s[0:1]
	s_cbranch_execz .LBB10_344
; %bb.341:
	v_mul_u32_u24_e32 v25, 0x104, v5
	ds_read_b32 v27, v1 offset:5208
	ds_read_b32 v25, v25 offset:5200
	v_mov_b32_e32 v26, 0
	v_cmp_gt_u32_e64 s[10:11], 2, v4
	s_waitcnt lgkmcnt(0)
	v_fma_f32 v25, v27, v25, 0
	s_and_saveexec_b64 s[16:17], s[10:11]
	s_cbranch_execz .LBB10_343
; %bb.342:
	v_lshlrev_b32_e32 v27, 2, v0
	ds_read_b32 v27, v27 offset:5464
	ds_read_b32 v26, v26 offset:5204
	s_waitcnt lgkmcnt(0)
	v_fmac_f32_e32 v25, v27, v26
.LBB10_343:
	s_or_b64 exec, exec, s[16:17]
	v_xor_b32_e32 v25, 0x80000000, v25
.LBB10_344:
	s_or_b64 exec, exec, s[12:13]
	s_and_saveexec_b64 s[10:11], s[36:37]
	s_cbranch_execz .LBB10_346
; %bb.345:
	v_mov_b32_e32 v26, 0
	ds_read_b32 v26, v26 offset:5720
	s_waitcnt lgkmcnt(0)
	v_mul_f32_e32 v25, v25, v26
	ds_write_b32 v3, v25
.LBB10_346:
	s_or_b64 exec, exec, s[10:11]
	s_waitcnt lgkmcnt(0)
	s_barrier
	s_and_saveexec_b64 s[10:11], s[24:25]
	s_cbranch_execz .LBB10_348
; %bb.347:
	v_mov_b32_e32 v26, 0
	ds_read_b32 v26, v26 offset:5724
	ds_read_b32 v27, v3
	s_waitcnt lgkmcnt(0)
	v_fmac_f32_e32 v25, v26, v27
.LBB10_348:
	s_or_b64 exec, exec, s[10:11]
	s_barrier
	s_and_saveexec_b64 s[10:11], s[24:25]
	s_cbranch_execz .LBB10_350
; %bb.349:
	v_mov_b32_e32 v26, 0
	ds_read_b32 v26, v26 offset:5980
	s_waitcnt lgkmcnt(0)
	v_mul_f32_e32 v25, v25, v26
	ds_write_b32 v3, v25
.LBB10_350:
	s_or_b64 exec, exec, s[10:11]
	s_waitcnt lgkmcnt(0)
	s_barrier
	s_barrier
	s_and_saveexec_b64 s[10:11], s[0:1]
; %bb.351:
	v_xor_b32_e32 v25, 0x80000000, v25
	ds_write_b32 v1, v25 offset:5208
; %bb.352:
	s_or_b64 exec, exec, s[10:11]
	s_waitcnt lgkmcnt(0)
	s_barrier
	s_barrier
	s_and_saveexec_b64 s[10:11], vcc
	s_cbranch_execz .LBB10_354
; %bb.353:
	v_mov_b32_e32 v27, 0
	ds_read_b64 v[25:26], v27 offset:5720
	ds_read_b32 v28, v27 offset:5980
	s_waitcnt lgkmcnt(0)
	v_mul_f32_e32 v25, v25, v28
	v_mul_f32_e32 v25, v26, v25
	ds_write_b32 v27, v25 offset:5724
.LBB10_354:
	s_or_b64 exec, exec, s[10:11]
	v_mov_b32_e32 v25, 0
	s_waitcnt lgkmcnt(0)
	s_barrier
	s_and_saveexec_b64 s[12:13], s[14:15]
	s_cbranch_execz .LBB10_364
; %bb.355:
	v_mul_u32_u24_e32 v26, 0x104, v19
	ds_read_b32 v25, v15 offset:4192
	ds_read_b32 v27, v26 offset:4160
	v_cmp_gt_u32_e64 s[10:11], 56, v4
	s_waitcnt lgkmcnt(0)
	v_fma_f32 v25, v25, v27, 0
	s_and_saveexec_b64 s[16:17], s[10:11]
	s_cbranch_execnz .LBB10_1160
; %bb.356:
	s_or_b64 exec, exec, s[16:17]
	v_cmp_gt_u32_e64 s[10:11], 48, v4
	s_and_saveexec_b64 s[16:17], s[10:11]
	s_cbranch_execnz .LBB10_1161
.LBB10_357:
	s_or_b64 exec, exec, s[16:17]
	v_cmp_gt_u32_e64 s[10:11], 40, v4
	s_and_saveexec_b64 s[16:17], s[10:11]
	s_cbranch_execnz .LBB10_1162
.LBB10_358:
	s_or_b64 exec, exec, s[16:17]
	v_cmp_gt_u32_e64 s[10:11], 32, v4
	s_and_saveexec_b64 s[16:17], s[10:11]
	s_cbranch_execnz .LBB10_1163
.LBB10_359:
	s_or_b64 exec, exec, s[16:17]
	v_cmp_gt_u32_e64 s[10:11], 24, v4
	s_and_saveexec_b64 s[16:17], s[10:11]
	s_cbranch_execnz .LBB10_1164
.LBB10_360:
	s_or_b64 exec, exec, s[16:17]
	v_cmp_gt_u32_e64 s[10:11], 16, v4
	s_and_saveexec_b64 s[16:17], s[10:11]
	s_cbranch_execnz .LBB10_1165
.LBB10_361:
	s_or_b64 exec, exec, s[16:17]
	v_cmp_gt_u32_e64 s[10:11], 8, v4
	s_and_saveexec_b64 s[16:17], s[10:11]
	s_cbranch_execz .LBB10_363
.LBB10_362:
	v_lshlrev_b32_e32 v26, 2, v0
	v_mov_b32_e32 v27, 0
	ds_read_b32 v26, v26 offset:5984
	ds_read_b32 v27, v27 offset:4188
	s_waitcnt lgkmcnt(0)
	v_fmac_f32_e32 v25, v26, v27
.LBB10_363:
	s_or_b64 exec, exec, s[16:17]
	v_xor_b32_e32 v25, 0x80000000, v25
.LBB10_364:
	s_or_b64 exec, exec, s[12:13]
	s_and_saveexec_b64 s[10:11], s[50:51]
	s_cbranch_execz .LBB10_366
; %bb.365:
	v_mov_b32_e32 v26, 0
	ds_read_b32 v26, v26 offset:6240
	s_waitcnt lgkmcnt(0)
	v_mul_f32_e32 v25, v25, v26
	ds_write_b32 v17, v25
.LBB10_366:
	s_or_b64 exec, exec, s[10:11]
	s_waitcnt lgkmcnt(0)
	s_barrier
	s_and_saveexec_b64 s[10:11], s[52:53]
	s_cbranch_execz .LBB10_368
; %bb.367:
	ds_read_b32 v26, v16 offset:6240
	ds_read_b32 v27, v17
	s_waitcnt lgkmcnt(0)
	v_fmac_f32_e32 v25, v26, v27
.LBB10_368:
	s_or_b64 exec, exec, s[10:11]
	s_barrier
	s_and_saveexec_b64 s[10:11], s[54:55]
	s_cbranch_execz .LBB10_370
; %bb.369:
	v_mov_b32_e32 v26, 0
	ds_read_b32 v26, v26 offset:6500
	s_waitcnt lgkmcnt(0)
	v_mul_f32_e32 v25, v25, v26
	ds_write_b32 v17, v25
.LBB10_370:
	s_or_b64 exec, exec, s[10:11]
	s_waitcnt lgkmcnt(0)
	s_barrier
	s_and_saveexec_b64 s[10:11], s[56:57]
	s_cbranch_execz .LBB10_372
; %bb.371:
	ds_read_b32 v26, v16 offset:6496
	ds_read_b32 v27, v17
	s_waitcnt lgkmcnt(0)
	v_fmac_f32_e32 v25, v26, v27
.LBB10_372:
	s_or_b64 exec, exec, s[10:11]
	s_barrier
	;; [unrolled: 22-line block ×6, first 2 shown]
	s_and_saveexec_b64 s[10:11], s[76:77]
	s_cbranch_execz .LBB10_390
; %bb.389:
	v_mov_b32_e32 v26, 0
	ds_read_b32 v26, v26 offset:7800
	s_waitcnt lgkmcnt(0)
	v_mul_f32_e32 v25, v25, v26
	ds_write_b32 v17, v25
.LBB10_390:
	s_or_b64 exec, exec, s[10:11]
	s_waitcnt lgkmcnt(0)
	s_barrier
	s_and_saveexec_b64 s[10:11], s[58:59]
	s_cbranch_execz .LBB10_392
; %bb.391:
	v_mov_b32_e32 v26, 0
	ds_read_b32 v26, v26 offset:7804
	ds_read_b32 v27, v17
	s_waitcnt lgkmcnt(0)
	v_fmac_f32_e32 v25, v26, v27
.LBB10_392:
	s_or_b64 exec, exec, s[10:11]
	s_barrier
	s_and_saveexec_b64 s[10:11], s[58:59]
	s_cbranch_execz .LBB10_394
; %bb.393:
	v_mov_b32_e32 v26, 0
	ds_read_b32 v26, v26 offset:8060
	s_waitcnt lgkmcnt(0)
	v_mul_f32_e32 v25, v25, v26
	ds_write_b32 v17, v25
.LBB10_394:
	s_or_b64 exec, exec, s[10:11]
	s_waitcnt lgkmcnt(0)
	s_barrier
	s_barrier
	s_and_saveexec_b64 s[10:11], s[14:15]
; %bb.395:
	v_xor_b32_e32 v25, 0x80000000, v25
	ds_write_b32 v15, v25 offset:4192
; %bb.396:
	s_or_b64 exec, exec, s[10:11]
	s_waitcnt lgkmcnt(0)
	s_barrier
	s_barrier
	s_and_saveexec_b64 s[10:11], vcc
	s_cbranch_execz .LBB10_398
; %bb.397:
	v_mov_b32_e32 v27, 0
	ds_read_b64 v[25:26], v27 offset:6240
	ds_read_b32 v28, v27 offset:6500
	s_waitcnt lgkmcnt(0)
	v_mul_f32_e32 v25, v25, v28
	v_mul_f32_e32 v25, v26, v25
	ds_write_b32 v27, v25 offset:6244
.LBB10_398:
	s_or_b64 exec, exec, s[10:11]
	v_mov_b32_e32 v25, 0
	s_waitcnt lgkmcnt(0)
	s_barrier
	s_and_saveexec_b64 s[12:13], s[0:1]
	s_cbranch_execz .LBB10_402
; %bb.399:
	v_mul_u32_u24_e32 v25, 0x104, v5
	ds_read_b32 v27, v1 offset:6248
	ds_read_b32 v25, v25 offset:6240
	v_mov_b32_e32 v26, 0
	v_cmp_gt_u32_e64 s[10:11], 2, v4
	s_waitcnt lgkmcnt(0)
	v_fma_f32 v25, v27, v25, 0
	s_and_saveexec_b64 s[16:17], s[10:11]
	s_cbranch_execz .LBB10_401
; %bb.400:
	v_lshlrev_b32_e32 v27, 2, v0
	ds_read_b32 v27, v27 offset:6504
	ds_read_b32 v26, v26 offset:6244
	s_waitcnt lgkmcnt(0)
	v_fmac_f32_e32 v25, v27, v26
.LBB10_401:
	s_or_b64 exec, exec, s[16:17]
	v_xor_b32_e32 v25, 0x80000000, v25
.LBB10_402:
	s_or_b64 exec, exec, s[12:13]
	s_and_saveexec_b64 s[10:11], s[36:37]
	s_cbranch_execz .LBB10_404
; %bb.403:
	v_mov_b32_e32 v26, 0
	ds_read_b32 v26, v26 offset:6760
	s_waitcnt lgkmcnt(0)
	v_mul_f32_e32 v25, v25, v26
	ds_write_b32 v3, v25
.LBB10_404:
	s_or_b64 exec, exec, s[10:11]
	s_waitcnt lgkmcnt(0)
	s_barrier
	s_and_saveexec_b64 s[10:11], s[24:25]
	s_cbranch_execz .LBB10_406
; %bb.405:
	v_mov_b32_e32 v26, 0
	ds_read_b32 v26, v26 offset:6764
	ds_read_b32 v27, v3
	s_waitcnt lgkmcnt(0)
	v_fmac_f32_e32 v25, v26, v27
.LBB10_406:
	s_or_b64 exec, exec, s[10:11]
	s_barrier
	s_and_saveexec_b64 s[10:11], s[24:25]
	s_cbranch_execz .LBB10_408
; %bb.407:
	v_mov_b32_e32 v26, 0
	ds_read_b32 v26, v26 offset:7020
	s_waitcnt lgkmcnt(0)
	v_mul_f32_e32 v25, v25, v26
	ds_write_b32 v3, v25
.LBB10_408:
	s_or_b64 exec, exec, s[10:11]
	s_waitcnt lgkmcnt(0)
	s_barrier
	s_barrier
	s_and_saveexec_b64 s[10:11], s[0:1]
; %bb.409:
	v_xor_b32_e32 v25, 0x80000000, v25
	ds_write_b32 v1, v25 offset:6248
; %bb.410:
	s_or_b64 exec, exec, s[10:11]
	s_waitcnt lgkmcnt(0)
	s_barrier
	s_barrier
	s_and_saveexec_b64 s[10:11], vcc
	s_cbranch_execz .LBB10_412
; %bb.411:
	v_mov_b32_e32 v27, 0
	ds_read_b64 v[25:26], v27 offset:6760
	ds_read_b32 v28, v27 offset:7020
	s_waitcnt lgkmcnt(0)
	v_mul_f32_e32 v25, v25, v28
	v_mul_f32_e32 v25, v26, v25
	ds_write_b32 v27, v25 offset:6764
.LBB10_412:
	s_or_b64 exec, exec, s[10:11]
	v_mov_b32_e32 v25, 0
	s_waitcnt lgkmcnt(0)
	s_barrier
	s_and_saveexec_b64 s[12:13], s[2:3]
	s_cbranch_execz .LBB10_418
; %bb.413:
	v_mul_u32_u24_e32 v26, 0x104, v14
	ds_read_b32 v25, v6 offset:6256
	ds_read_b32 v27, v26 offset:6240
	v_cmp_gt_u32_e64 s[10:11], 12, v4
	s_waitcnt lgkmcnt(0)
	v_fma_f32 v25, v25, v27, 0
	s_and_saveexec_b64 s[16:17], s[10:11]
	s_cbranch_execnz .LBB10_1166
; %bb.414:
	s_or_b64 exec, exec, s[16:17]
	v_cmp_gt_u32_e64 s[10:11], 8, v4
	s_and_saveexec_b64 s[16:17], s[10:11]
	s_cbranch_execnz .LBB10_1167
.LBB10_415:
	s_or_b64 exec, exec, s[16:17]
	v_cmp_gt_u32_e64 s[10:11], 4, v4
	s_and_saveexec_b64 s[16:17], s[10:11]
	s_cbranch_execz .LBB10_417
.LBB10_416:
	v_lshlrev_b32_e32 v26, 2, v0
	v_mov_b32_e32 v27, 0
	ds_read_b32 v26, v26 offset:7024
	ds_read_b32 v27, v27 offset:6252
	s_waitcnt lgkmcnt(0)
	v_fmac_f32_e32 v25, v26, v27
.LBB10_417:
	s_or_b64 exec, exec, s[16:17]
	v_xor_b32_e32 v25, 0x80000000, v25
.LBB10_418:
	s_or_b64 exec, exec, s[12:13]
	s_and_saveexec_b64 s[10:11], s[40:41]
	s_cbranch_execz .LBB10_420
; %bb.419:
	v_mov_b32_e32 v26, 0
	ds_read_b32 v26, v26 offset:7280
	s_waitcnt lgkmcnt(0)
	v_mul_f32_e32 v25, v25, v26
	ds_write_b32 v12, v25
.LBB10_420:
	s_or_b64 exec, exec, s[10:11]
	s_waitcnt lgkmcnt(0)
	s_barrier
	s_and_saveexec_b64 s[10:11], s[42:43]
	s_cbranch_execz .LBB10_422
; %bb.421:
	ds_read_b32 v26, v11 offset:7280
	ds_read_b32 v27, v12
	s_waitcnt lgkmcnt(0)
	v_fmac_f32_e32 v25, v26, v27
.LBB10_422:
	s_or_b64 exec, exec, s[10:11]
	s_barrier
	s_and_saveexec_b64 s[10:11], s[44:45]
	s_cbranch_execz .LBB10_424
; %bb.423:
	v_mov_b32_e32 v26, 0
	ds_read_b32 v26, v26 offset:7540
	s_waitcnt lgkmcnt(0)
	v_mul_f32_e32 v25, v25, v26
	ds_write_b32 v12, v25
.LBB10_424:
	s_or_b64 exec, exec, s[10:11]
	s_waitcnt lgkmcnt(0)
	s_barrier
	s_and_saveexec_b64 s[10:11], s[46:47]
	s_cbranch_execz .LBB10_426
; %bb.425:
	ds_read_b32 v26, v11 offset:7536
	ds_read_b32 v27, v12
	s_waitcnt lgkmcnt(0)
	v_fmac_f32_e32 v25, v26, v27
.LBB10_426:
	s_or_b64 exec, exec, s[10:11]
	s_barrier
	s_and_saveexec_b64 s[10:11], s[48:49]
	s_cbranch_execz .LBB10_428
; %bb.427:
	v_mov_b32_e32 v26, 0
	ds_read_b32 v26, v26 offset:7800
	s_waitcnt lgkmcnt(0)
	v_mul_f32_e32 v25, v25, v26
	ds_write_b32 v12, v25
.LBB10_428:
	s_or_b64 exec, exec, s[10:11]
	s_waitcnt lgkmcnt(0)
	s_barrier
	s_and_saveexec_b64 s[10:11], s[38:39]
	s_cbranch_execz .LBB10_430
; %bb.429:
	v_mov_b32_e32 v26, 0
	ds_read_b32 v26, v26 offset:7804
	ds_read_b32 v27, v12
	s_waitcnt lgkmcnt(0)
	v_fmac_f32_e32 v25, v26, v27
.LBB10_430:
	s_or_b64 exec, exec, s[10:11]
	s_barrier
	s_and_saveexec_b64 s[10:11], s[38:39]
	s_cbranch_execz .LBB10_432
; %bb.431:
	v_mov_b32_e32 v26, 0
	ds_read_b32 v26, v26 offset:8060
	s_waitcnt lgkmcnt(0)
	v_mul_f32_e32 v25, v25, v26
	ds_write_b32 v12, v25
.LBB10_432:
	s_or_b64 exec, exec, s[10:11]
	s_waitcnt lgkmcnt(0)
	s_barrier
	s_barrier
	s_and_saveexec_b64 s[10:11], s[2:3]
; %bb.433:
	v_xor_b32_e32 v25, 0x80000000, v25
	ds_write_b32 v6, v25 offset:6256
; %bb.434:
	s_or_b64 exec, exec, s[10:11]
	s_waitcnt lgkmcnt(0)
	s_barrier
	s_barrier
	s_and_saveexec_b64 s[10:11], vcc
	s_cbranch_execz .LBB10_436
; %bb.435:
	v_mov_b32_e32 v27, 0
	ds_read_b64 v[25:26], v27 offset:7280
	ds_read_b32 v28, v27 offset:7540
	s_waitcnt lgkmcnt(0)
	v_mul_f32_e32 v25, v25, v28
	v_mul_f32_e32 v25, v26, v25
	ds_write_b32 v27, v25 offset:7284
.LBB10_436:
	s_or_b64 exec, exec, s[10:11]
	v_mov_b32_e32 v25, 0
	s_waitcnt lgkmcnt(0)
	s_barrier
	s_and_saveexec_b64 s[12:13], s[0:1]
	s_cbranch_execz .LBB10_440
; %bb.437:
	v_mul_u32_u24_e32 v25, 0x104, v5
	ds_read_b32 v27, v1 offset:7288
	ds_read_b32 v25, v25 offset:7280
	v_mov_b32_e32 v26, 0
	v_cmp_gt_u32_e64 s[10:11], 2, v4
	s_waitcnt lgkmcnt(0)
	v_fma_f32 v25, v27, v25, 0
	s_and_saveexec_b64 s[16:17], s[10:11]
	s_cbranch_execz .LBB10_439
; %bb.438:
	v_lshlrev_b32_e32 v27, 2, v0
	ds_read_b32 v27, v27 offset:7544
	ds_read_b32 v26, v26 offset:7284
	s_waitcnt lgkmcnt(0)
	v_fmac_f32_e32 v25, v27, v26
.LBB10_439:
	s_or_b64 exec, exec, s[16:17]
	v_xor_b32_e32 v25, 0x80000000, v25
.LBB10_440:
	s_or_b64 exec, exec, s[12:13]
	s_and_saveexec_b64 s[10:11], s[36:37]
	s_cbranch_execz .LBB10_442
; %bb.441:
	v_mov_b32_e32 v26, 0
	ds_read_b32 v26, v26 offset:7800
	s_waitcnt lgkmcnt(0)
	v_mul_f32_e32 v25, v25, v26
	ds_write_b32 v3, v25
.LBB10_442:
	s_or_b64 exec, exec, s[10:11]
	s_waitcnt lgkmcnt(0)
	s_barrier
	s_and_saveexec_b64 s[10:11], s[24:25]
	s_cbranch_execz .LBB10_444
; %bb.443:
	v_mov_b32_e32 v26, 0
	ds_read_b32 v26, v26 offset:7804
	ds_read_b32 v27, v3
	s_waitcnt lgkmcnt(0)
	v_fmac_f32_e32 v25, v26, v27
.LBB10_444:
	s_or_b64 exec, exec, s[10:11]
	s_barrier
	s_and_saveexec_b64 s[10:11], s[24:25]
	s_cbranch_execz .LBB10_446
; %bb.445:
	v_mov_b32_e32 v26, 0
	ds_read_b32 v26, v26 offset:8060
	s_waitcnt lgkmcnt(0)
	v_mul_f32_e32 v25, v25, v26
	ds_write_b32 v3, v25
.LBB10_446:
	s_or_b64 exec, exec, s[10:11]
	s_waitcnt lgkmcnt(0)
	s_barrier
	s_barrier
	s_and_saveexec_b64 s[10:11], s[0:1]
; %bb.447:
	v_xor_b32_e32 v25, 0x80000000, v25
	ds_write_b32 v1, v25 offset:7288
; %bb.448:
	s_or_b64 exec, exec, s[10:11]
	s_waitcnt lgkmcnt(0)
	s_barrier
	s_barrier
	s_and_saveexec_b64 s[10:11], vcc
	s_cbranch_execz .LBB10_450
; %bb.449:
	v_mov_b32_e32 v27, 0
	ds_read_b64 v[25:26], v27 offset:7800
	ds_read_b32 v28, v27 offset:8060
	s_waitcnt lgkmcnt(0)
	v_mul_f32_e32 v25, v25, v28
	v_mul_f32_e32 v25, v26, v25
	ds_write_b32 v27, v25 offset:7804
.LBB10_450:
	s_or_b64 exec, exec, s[10:11]
	v_and_b32_e32 v26, 31, v0
	s_movk_i32 s10, 0x3ff
	v_lshrrev_b32_e32 v29, 5, v4
	v_cmp_lt_u32_e64 s[12:13], s10, v4
	s_movk_i32 s10, 0x400
	v_lshlrev_b32_e32 v27, 2, v26
	v_cmp_gt_u32_e64 s[10:11], s10, v4
	v_lshl_or_b32 v25, v29, 8, v27
	v_mov_b32_e32 v28, 0
	s_waitcnt lgkmcnt(0)
	s_barrier
	s_and_saveexec_b64 s[86:87], s[10:11]
	s_cbranch_execz .LBB10_512
; %bb.451:
	v_mul_u32_u24_e32 v30, 0x104, v29
	ds_read_b32 v28, v25 offset:128
	ds_read_b32 v31, v30
	s_movk_i32 s16, 0x3e0
	v_cmp_gt_u32_e64 s[16:17], s16, v4
	s_waitcnt lgkmcnt(0)
	v_fma_f32 v28, v28, v31, 0
	s_and_saveexec_b64 s[88:89], s[16:17]
	s_cbranch_execz .LBB10_453
; %bb.452:
	ds_read_b32 v31, v25 offset:384
	ds_read_b32 v32, v30 offset:4
	s_waitcnt lgkmcnt(0)
	v_fmac_f32_e32 v28, v31, v32
.LBB10_453:
	s_or_b64 exec, exec, s[88:89]
	s_movk_i32 s16, 0x3c0
	v_cmp_gt_u32_e64 s[16:17], s16, v4
	s_and_saveexec_b64 s[88:89], s[16:17]
	s_cbranch_execz .LBB10_455
; %bb.454:
	ds_read_b32 v31, v25 offset:640
	ds_read_b32 v32, v30 offset:8
	s_waitcnt lgkmcnt(0)
	v_fmac_f32_e32 v28, v31, v32
.LBB10_455:
	s_or_b64 exec, exec, s[88:89]
	s_movk_i32 s16, 0x3a0
	v_cmp_gt_u32_e64 s[16:17], s16, v4
	;; [unrolled: 11-line block ×28, first 2 shown]
	s_and_saveexec_b64 s[88:89], s[16:17]
	s_cbranch_execnz .LBB10_1168
; %bb.508:
	s_or_b64 exec, exec, s[88:89]
	v_cmp_gt_u32_e64 s[16:17], 64, v4
	s_and_saveexec_b64 s[88:89], s[16:17]
	s_cbranch_execnz .LBB10_1169
.LBB10_509:
	s_or_b64 exec, exec, s[88:89]
	v_cmp_gt_u32_e64 s[16:17], 32, v4
	s_and_saveexec_b64 s[88:89], s[16:17]
	s_cbranch_execz .LBB10_511
.LBB10_510:
	v_lshlrev_b32_e32 v30, 2, v0
	v_mov_b32_e32 v31, 0
	ds_read_b32 v30, v30 offset:8064
	ds_read_b32 v31, v31 offset:124
	s_waitcnt lgkmcnt(0)
	v_fmac_f32_e32 v28, v30, v31
.LBB10_511:
	s_or_b64 exec, exec, s[88:89]
	v_xor_b32_e32 v28, 0x80000000, v28
.LBB10_512:
	s_or_b64 exec, exec, s[86:87]
	v_mov_b32_e32 v30, 0x4000
	v_cmp_eq_u32_e64 s[16:17], 0, v26
	s_xor_b64 s[86:87], s[12:13], -1
	v_lshl_or_b32 v29, v29, 2, v30
	s_and_b64 s[16:17], s[16:17], s[86:87]
	s_and_saveexec_b64 s[12:13], s[16:17]
	s_cbranch_execz .LBB10_514
; %bb.513:
	v_mov_b32_e32 v30, 0
	ds_read_b32 v30, v30 offset:8320
	s_waitcnt lgkmcnt(0)
	v_mul_f32_e32 v28, v28, v30
	ds_write_b32 v29, v28
.LBB10_514:
	s_or_b64 exec, exec, s[12:13]
	v_cmp_ne_u32_e64 s[12:13], 0, v26
	s_and_b64 s[16:17], s[12:13], s[86:87]
	s_waitcnt lgkmcnt(0)
	s_barrier
	s_and_saveexec_b64 s[12:13], s[16:17]
	s_cbranch_execz .LBB10_516
; %bb.515:
	ds_read_b32 v30, v27 offset:8320
	ds_read_b32 v31, v29
	s_waitcnt lgkmcnt(0)
	v_fmac_f32_e32 v28, v30, v31
.LBB10_516:
	s_or_b64 exec, exec, s[12:13]
	v_cmp_eq_u32_e64 s[12:13], 1, v26
	s_and_b64 s[16:17], s[12:13], s[86:87]
	s_barrier
	s_and_saveexec_b64 s[12:13], s[16:17]
	s_cbranch_execz .LBB10_518
; %bb.517:
	v_mov_b32_e32 v30, 0
	ds_read_b32 v30, v30 offset:8580
	s_waitcnt lgkmcnt(0)
	v_mul_f32_e32 v28, v28, v30
	ds_write_b32 v29, v28
.LBB10_518:
	s_or_b64 exec, exec, s[12:13]
	v_cmp_lt_u32_e64 s[12:13], 1, v26
	s_and_b64 s[16:17], s[12:13], s[86:87]
	s_waitcnt lgkmcnt(0)
	s_barrier
	s_and_saveexec_b64 s[12:13], s[16:17]
	s_cbranch_execz .LBB10_520
; %bb.519:
	ds_read_b32 v30, v27 offset:8576
	ds_read_b32 v31, v29
	s_waitcnt lgkmcnt(0)
	v_fmac_f32_e32 v28, v30, v31
.LBB10_520:
	s_or_b64 exec, exec, s[12:13]
	v_cmp_eq_u32_e64 s[12:13], 2, v26
	s_and_b64 s[16:17], s[12:13], s[86:87]
	s_barrier
	s_and_saveexec_b64 s[12:13], s[16:17]
	s_cbranch_execz .LBB10_522
; %bb.521:
	v_mov_b32_e32 v30, 0
	ds_read_b32 v30, v30 offset:8840
	s_waitcnt lgkmcnt(0)
	v_mul_f32_e32 v28, v28, v30
	ds_write_b32 v29, v28
.LBB10_522:
	s_or_b64 exec, exec, s[12:13]
	v_cmp_lt_u32_e64 s[12:13], 2, v26
	;; [unrolled: 26-line block ×29, first 2 shown]
	s_and_b64 s[16:17], s[12:13], s[86:87]
	s_waitcnt lgkmcnt(0)
	s_barrier
	s_and_saveexec_b64 s[12:13], s[16:17]
	s_cbranch_execz .LBB10_632
; %bb.631:
	ds_read_b32 v27, v27 offset:15744
	ds_read_b32 v30, v29
	s_waitcnt lgkmcnt(0)
	v_fmac_f32_e32 v28, v27, v30
.LBB10_632:
	s_or_b64 exec, exec, s[12:13]
	v_cmp_eq_u32_e64 s[12:13], 30, v26
	s_and_b64 s[16:17], s[12:13], s[86:87]
	s_barrier
	s_and_saveexec_b64 s[12:13], s[16:17]
	s_cbranch_execz .LBB10_634
; %bb.633:
	v_mov_b32_e32 v27, 0
	ds_read_b32 v27, v27 offset:16120
	s_waitcnt lgkmcnt(0)
	v_mul_f32_e32 v28, v28, v27
	ds_write_b32 v29, v28
.LBB10_634:
	s_or_b64 exec, exec, s[12:13]
	v_cmp_eq_u32_e64 s[12:13], 31, v26
	s_and_b64 s[12:13], s[12:13], s[86:87]
	s_waitcnt lgkmcnt(0)
	s_barrier
	s_and_saveexec_b64 s[16:17], s[12:13]
	s_cbranch_execz .LBB10_636
; %bb.635:
	v_mov_b32_e32 v26, 0
	ds_read_b32 v26, v26 offset:16124
	ds_read_b32 v27, v29
	s_waitcnt lgkmcnt(0)
	v_fmac_f32_e32 v28, v26, v27
.LBB10_636:
	s_or_b64 exec, exec, s[16:17]
	s_barrier
	s_and_saveexec_b64 s[16:17], s[12:13]
	s_cbranch_execz .LBB10_638
; %bb.637:
	v_mov_b32_e32 v26, 0
	ds_read_b32 v26, v26 offset:16380
	s_waitcnt lgkmcnt(0)
	v_mul_f32_e32 v28, v28, v26
	ds_write_b32 v29, v28
.LBB10_638:
	s_or_b64 exec, exec, s[16:17]
	s_waitcnt lgkmcnt(0)
	s_barrier
	s_barrier
	s_and_saveexec_b64 s[12:13], s[10:11]
; %bb.639:
	v_xor_b32_e32 v26, 0x80000000, v28
	ds_write_b32 v25, v26 offset:128
; %bb.640:
	s_or_b64 exec, exec, s[12:13]
	s_waitcnt lgkmcnt(0)
	s_barrier
	s_barrier
	s_and_saveexec_b64 s[10:11], vcc
	s_cbranch_execz .LBB10_642
; %bb.641:
	v_mov_b32_e32 v27, 0
	ds_read_b64 v[25:26], v27 offset:8320
	ds_read_b32 v28, v27 offset:8580
	s_waitcnt lgkmcnt(0)
	v_mul_f32_e32 v25, v25, v28
	v_mul_f32_e32 v25, v26, v25
	ds_write_b32 v27, v25 offset:8324
.LBB10_642:
	s_or_b64 exec, exec, s[10:11]
	v_mov_b32_e32 v25, 0
	s_waitcnt lgkmcnt(0)
	s_barrier
	s_and_saveexec_b64 s[12:13], s[0:1]
	s_cbranch_execz .LBB10_646
; %bb.643:
	v_mul_u32_u24_e32 v25, 0x104, v5
	ds_read_b32 v27, v1 offset:8328
	ds_read_b32 v25, v25 offset:8320
	v_mov_b32_e32 v26, 0
	v_cmp_gt_u32_e64 s[10:11], 2, v4
	s_waitcnt lgkmcnt(0)
	v_fma_f32 v25, v27, v25, 0
	s_and_saveexec_b64 s[16:17], s[10:11]
	s_cbranch_execz .LBB10_645
; %bb.644:
	v_lshlrev_b32_e32 v27, 2, v0
	ds_read_b32 v27, v27 offset:8584
	ds_read_b32 v26, v26 offset:8324
	s_waitcnt lgkmcnt(0)
	v_fmac_f32_e32 v25, v27, v26
.LBB10_645:
	s_or_b64 exec, exec, s[16:17]
	v_xor_b32_e32 v25, 0x80000000, v25
.LBB10_646:
	s_or_b64 exec, exec, s[12:13]
	s_and_saveexec_b64 s[10:11], s[36:37]
	s_cbranch_execz .LBB10_648
; %bb.647:
	v_mov_b32_e32 v26, 0
	ds_read_b32 v26, v26 offset:8840
	s_waitcnt lgkmcnt(0)
	v_mul_f32_e32 v25, v25, v26
	ds_write_b32 v3, v25
.LBB10_648:
	s_or_b64 exec, exec, s[10:11]
	s_waitcnt lgkmcnt(0)
	s_barrier
	s_and_saveexec_b64 s[10:11], s[24:25]
	s_cbranch_execz .LBB10_650
; %bb.649:
	v_mov_b32_e32 v26, 0
	ds_read_b32 v26, v26 offset:8844
	ds_read_b32 v27, v3
	s_waitcnt lgkmcnt(0)
	v_fmac_f32_e32 v25, v26, v27
.LBB10_650:
	s_or_b64 exec, exec, s[10:11]
	s_barrier
	s_and_saveexec_b64 s[10:11], s[24:25]
	s_cbranch_execz .LBB10_652
; %bb.651:
	v_mov_b32_e32 v26, 0
	ds_read_b32 v26, v26 offset:9100
	s_waitcnt lgkmcnt(0)
	v_mul_f32_e32 v25, v25, v26
	ds_write_b32 v3, v25
.LBB10_652:
	s_or_b64 exec, exec, s[10:11]
	s_waitcnt lgkmcnt(0)
	s_barrier
	s_barrier
	s_and_saveexec_b64 s[10:11], s[0:1]
; %bb.653:
	v_xor_b32_e32 v25, 0x80000000, v25
	ds_write_b32 v1, v25 offset:8328
; %bb.654:
	s_or_b64 exec, exec, s[10:11]
	s_waitcnt lgkmcnt(0)
	s_barrier
	s_barrier
	s_and_saveexec_b64 s[10:11], vcc
	s_cbranch_execz .LBB10_656
; %bb.655:
	v_mov_b32_e32 v27, 0
	ds_read_b64 v[25:26], v27 offset:8840
	ds_read_b32 v28, v27 offset:9100
	s_waitcnt lgkmcnt(0)
	v_mul_f32_e32 v25, v25, v28
	v_mul_f32_e32 v25, v26, v25
	ds_write_b32 v27, v25 offset:8844
.LBB10_656:
	s_or_b64 exec, exec, s[10:11]
	v_mov_b32_e32 v25, 0
	s_waitcnt lgkmcnt(0)
	s_barrier
	s_and_saveexec_b64 s[12:13], s[2:3]
	s_cbranch_execz .LBB10_662
; %bb.657:
	v_mul_u32_u24_e32 v26, 0x104, v14
	ds_read_b32 v25, v6 offset:8336
	ds_read_b32 v27, v26 offset:8320
	v_cmp_gt_u32_e64 s[10:11], 12, v4
	s_waitcnt lgkmcnt(0)
	v_fma_f32 v25, v25, v27, 0
	s_and_saveexec_b64 s[16:17], s[10:11]
	s_cbranch_execnz .LBB10_1170
; %bb.658:
	s_or_b64 exec, exec, s[16:17]
	v_cmp_gt_u32_e64 s[10:11], 8, v4
	s_and_saveexec_b64 s[16:17], s[10:11]
	s_cbranch_execnz .LBB10_1171
.LBB10_659:
	s_or_b64 exec, exec, s[16:17]
	v_cmp_gt_u32_e64 s[10:11], 4, v4
	s_and_saveexec_b64 s[16:17], s[10:11]
	s_cbranch_execz .LBB10_661
.LBB10_660:
	v_lshlrev_b32_e32 v26, 2, v0
	v_mov_b32_e32 v27, 0
	ds_read_b32 v26, v26 offset:9104
	ds_read_b32 v27, v27 offset:8332
	s_waitcnt lgkmcnt(0)
	v_fmac_f32_e32 v25, v26, v27
.LBB10_661:
	s_or_b64 exec, exec, s[16:17]
	v_xor_b32_e32 v25, 0x80000000, v25
.LBB10_662:
	s_or_b64 exec, exec, s[12:13]
	s_and_saveexec_b64 s[10:11], s[40:41]
	s_cbranch_execz .LBB10_664
; %bb.663:
	v_mov_b32_e32 v26, 0
	ds_read_b32 v26, v26 offset:9360
	s_waitcnt lgkmcnt(0)
	v_mul_f32_e32 v25, v25, v26
	ds_write_b32 v12, v25
.LBB10_664:
	s_or_b64 exec, exec, s[10:11]
	s_waitcnt lgkmcnt(0)
	s_barrier
	s_and_saveexec_b64 s[10:11], s[42:43]
	s_cbranch_execz .LBB10_666
; %bb.665:
	ds_read_b32 v26, v11 offset:9360
	ds_read_b32 v27, v12
	s_waitcnt lgkmcnt(0)
	v_fmac_f32_e32 v25, v26, v27
.LBB10_666:
	s_or_b64 exec, exec, s[10:11]
	s_barrier
	s_and_saveexec_b64 s[10:11], s[44:45]
	s_cbranch_execz .LBB10_668
; %bb.667:
	v_mov_b32_e32 v26, 0
	ds_read_b32 v26, v26 offset:9620
	s_waitcnt lgkmcnt(0)
	v_mul_f32_e32 v25, v25, v26
	ds_write_b32 v12, v25
.LBB10_668:
	s_or_b64 exec, exec, s[10:11]
	s_waitcnt lgkmcnt(0)
	s_barrier
	s_and_saveexec_b64 s[10:11], s[46:47]
	s_cbranch_execz .LBB10_670
; %bb.669:
	ds_read_b32 v26, v11 offset:9616
	ds_read_b32 v27, v12
	s_waitcnt lgkmcnt(0)
	v_fmac_f32_e32 v25, v26, v27
.LBB10_670:
	s_or_b64 exec, exec, s[10:11]
	s_barrier
	s_and_saveexec_b64 s[10:11], s[48:49]
	s_cbranch_execz .LBB10_672
; %bb.671:
	v_mov_b32_e32 v26, 0
	ds_read_b32 v26, v26 offset:9880
	s_waitcnt lgkmcnt(0)
	v_mul_f32_e32 v25, v25, v26
	ds_write_b32 v12, v25
.LBB10_672:
	s_or_b64 exec, exec, s[10:11]
	s_waitcnt lgkmcnt(0)
	s_barrier
	s_and_saveexec_b64 s[10:11], s[38:39]
	s_cbranch_execz .LBB10_674
; %bb.673:
	v_mov_b32_e32 v26, 0
	ds_read_b32 v26, v26 offset:9884
	ds_read_b32 v27, v12
	s_waitcnt lgkmcnt(0)
	v_fmac_f32_e32 v25, v26, v27
.LBB10_674:
	s_or_b64 exec, exec, s[10:11]
	s_barrier
	s_and_saveexec_b64 s[10:11], s[38:39]
	s_cbranch_execz .LBB10_676
; %bb.675:
	v_mov_b32_e32 v26, 0
	ds_read_b32 v26, v26 offset:10140
	s_waitcnt lgkmcnt(0)
	v_mul_f32_e32 v25, v25, v26
	ds_write_b32 v12, v25
.LBB10_676:
	s_or_b64 exec, exec, s[10:11]
	s_waitcnt lgkmcnt(0)
	s_barrier
	s_barrier
	s_and_saveexec_b64 s[10:11], s[2:3]
; %bb.677:
	v_xor_b32_e32 v25, 0x80000000, v25
	ds_write_b32 v6, v25 offset:8336
; %bb.678:
	s_or_b64 exec, exec, s[10:11]
	s_waitcnt lgkmcnt(0)
	s_barrier
	s_barrier
	s_and_saveexec_b64 s[10:11], vcc
	s_cbranch_execz .LBB10_680
; %bb.679:
	v_mov_b32_e32 v27, 0
	ds_read_b64 v[25:26], v27 offset:9360
	ds_read_b32 v28, v27 offset:9620
	s_waitcnt lgkmcnt(0)
	v_mul_f32_e32 v25, v25, v28
	v_mul_f32_e32 v25, v26, v25
	ds_write_b32 v27, v25 offset:9364
.LBB10_680:
	s_or_b64 exec, exec, s[10:11]
	v_mov_b32_e32 v25, 0
	s_waitcnt lgkmcnt(0)
	s_barrier
	s_and_saveexec_b64 s[12:13], s[0:1]
	s_cbranch_execz .LBB10_684
; %bb.681:
	v_mul_u32_u24_e32 v25, 0x104, v5
	ds_read_b32 v27, v1 offset:9368
	ds_read_b32 v25, v25 offset:9360
	v_mov_b32_e32 v26, 0
	v_cmp_gt_u32_e64 s[10:11], 2, v4
	s_waitcnt lgkmcnt(0)
	v_fma_f32 v25, v27, v25, 0
	s_and_saveexec_b64 s[16:17], s[10:11]
	s_cbranch_execz .LBB10_683
; %bb.682:
	v_lshlrev_b32_e32 v27, 2, v0
	ds_read_b32 v27, v27 offset:9624
	ds_read_b32 v26, v26 offset:9364
	s_waitcnt lgkmcnt(0)
	v_fmac_f32_e32 v25, v27, v26
.LBB10_683:
	s_or_b64 exec, exec, s[16:17]
	v_xor_b32_e32 v25, 0x80000000, v25
.LBB10_684:
	s_or_b64 exec, exec, s[12:13]
	s_and_saveexec_b64 s[10:11], s[36:37]
	s_cbranch_execz .LBB10_686
; %bb.685:
	v_mov_b32_e32 v26, 0
	ds_read_b32 v26, v26 offset:9880
	s_waitcnt lgkmcnt(0)
	v_mul_f32_e32 v25, v25, v26
	ds_write_b32 v3, v25
.LBB10_686:
	s_or_b64 exec, exec, s[10:11]
	s_waitcnt lgkmcnt(0)
	s_barrier
	s_and_saveexec_b64 s[10:11], s[24:25]
	s_cbranch_execz .LBB10_688
; %bb.687:
	v_mov_b32_e32 v26, 0
	ds_read_b32 v26, v26 offset:9884
	ds_read_b32 v27, v3
	s_waitcnt lgkmcnt(0)
	v_fmac_f32_e32 v25, v26, v27
.LBB10_688:
	s_or_b64 exec, exec, s[10:11]
	s_barrier
	s_and_saveexec_b64 s[10:11], s[24:25]
	s_cbranch_execz .LBB10_690
; %bb.689:
	v_mov_b32_e32 v26, 0
	ds_read_b32 v26, v26 offset:10140
	s_waitcnt lgkmcnt(0)
	v_mul_f32_e32 v25, v25, v26
	ds_write_b32 v3, v25
.LBB10_690:
	s_or_b64 exec, exec, s[10:11]
	s_waitcnt lgkmcnt(0)
	s_barrier
	s_barrier
	s_and_saveexec_b64 s[10:11], s[0:1]
; %bb.691:
	v_xor_b32_e32 v25, 0x80000000, v25
	ds_write_b32 v1, v25 offset:9368
; %bb.692:
	s_or_b64 exec, exec, s[10:11]
	s_waitcnt lgkmcnt(0)
	s_barrier
	s_barrier
	s_and_saveexec_b64 s[10:11], vcc
	s_cbranch_execz .LBB10_694
; %bb.693:
	v_mov_b32_e32 v27, 0
	ds_read_b64 v[25:26], v27 offset:9880
	ds_read_b32 v28, v27 offset:10140
	s_waitcnt lgkmcnt(0)
	v_mul_f32_e32 v25, v25, v28
	v_mul_f32_e32 v25, v26, v25
	ds_write_b32 v27, v25 offset:9884
.LBB10_694:
	s_or_b64 exec, exec, s[10:11]
	v_mov_b32_e32 v25, 0
	s_waitcnt lgkmcnt(0)
	s_barrier
	s_and_saveexec_b64 s[12:13], s[14:15]
	s_cbranch_execz .LBB10_704
; %bb.695:
	v_mul_u32_u24_e32 v26, 0x104, v19
	ds_read_b32 v25, v15 offset:8352
	ds_read_b32 v27, v26 offset:8320
	v_cmp_gt_u32_e64 s[10:11], 56, v4
	s_waitcnt lgkmcnt(0)
	v_fma_f32 v25, v25, v27, 0
	s_and_saveexec_b64 s[16:17], s[10:11]
	s_cbranch_execnz .LBB10_1172
; %bb.696:
	s_or_b64 exec, exec, s[16:17]
	v_cmp_gt_u32_e64 s[10:11], 48, v4
	s_and_saveexec_b64 s[16:17], s[10:11]
	s_cbranch_execnz .LBB10_1173
.LBB10_697:
	s_or_b64 exec, exec, s[16:17]
	v_cmp_gt_u32_e64 s[10:11], 40, v4
	s_and_saveexec_b64 s[16:17], s[10:11]
	s_cbranch_execnz .LBB10_1174
.LBB10_698:
	s_or_b64 exec, exec, s[16:17]
	v_cmp_gt_u32_e64 s[10:11], 32, v4
	s_and_saveexec_b64 s[16:17], s[10:11]
	s_cbranch_execnz .LBB10_1175
.LBB10_699:
	s_or_b64 exec, exec, s[16:17]
	v_cmp_gt_u32_e64 s[10:11], 24, v4
	s_and_saveexec_b64 s[16:17], s[10:11]
	s_cbranch_execnz .LBB10_1176
.LBB10_700:
	s_or_b64 exec, exec, s[16:17]
	v_cmp_gt_u32_e64 s[10:11], 16, v4
	s_and_saveexec_b64 s[16:17], s[10:11]
	s_cbranch_execnz .LBB10_1177
.LBB10_701:
	s_or_b64 exec, exec, s[16:17]
	v_cmp_gt_u32_e64 s[10:11], 8, v4
	s_and_saveexec_b64 s[16:17], s[10:11]
	s_cbranch_execz .LBB10_703
.LBB10_702:
	v_lshlrev_b32_e32 v26, 2, v0
	v_mov_b32_e32 v27, 0
	ds_read_b32 v26, v26 offset:10144
	ds_read_b32 v27, v27 offset:8348
	s_waitcnt lgkmcnt(0)
	v_fmac_f32_e32 v25, v26, v27
.LBB10_703:
	s_or_b64 exec, exec, s[16:17]
	v_xor_b32_e32 v25, 0x80000000, v25
.LBB10_704:
	s_or_b64 exec, exec, s[12:13]
	s_and_saveexec_b64 s[10:11], s[50:51]
	s_cbranch_execz .LBB10_706
; %bb.705:
	v_mov_b32_e32 v26, 0
	ds_read_b32 v26, v26 offset:10400
	s_waitcnt lgkmcnt(0)
	v_mul_f32_e32 v25, v25, v26
	ds_write_b32 v17, v25
.LBB10_706:
	s_or_b64 exec, exec, s[10:11]
	s_waitcnt lgkmcnt(0)
	s_barrier
	s_and_saveexec_b64 s[10:11], s[52:53]
	s_cbranch_execz .LBB10_708
; %bb.707:
	ds_read_b32 v26, v16 offset:10400
	ds_read_b32 v27, v17
	s_waitcnt lgkmcnt(0)
	v_fmac_f32_e32 v25, v26, v27
.LBB10_708:
	s_or_b64 exec, exec, s[10:11]
	s_barrier
	s_and_saveexec_b64 s[10:11], s[54:55]
	s_cbranch_execz .LBB10_710
; %bb.709:
	v_mov_b32_e32 v26, 0
	ds_read_b32 v26, v26 offset:10660
	s_waitcnt lgkmcnt(0)
	v_mul_f32_e32 v25, v25, v26
	ds_write_b32 v17, v25
.LBB10_710:
	s_or_b64 exec, exec, s[10:11]
	s_waitcnt lgkmcnt(0)
	s_barrier
	s_and_saveexec_b64 s[10:11], s[56:57]
	s_cbranch_execz .LBB10_712
; %bb.711:
	ds_read_b32 v26, v16 offset:10656
	ds_read_b32 v27, v17
	s_waitcnt lgkmcnt(0)
	v_fmac_f32_e32 v25, v26, v27
.LBB10_712:
	s_or_b64 exec, exec, s[10:11]
	s_barrier
	;; [unrolled: 22-line block ×6, first 2 shown]
	s_and_saveexec_b64 s[10:11], s[76:77]
	s_cbranch_execz .LBB10_730
; %bb.729:
	v_mov_b32_e32 v26, 0
	ds_read_b32 v26, v26 offset:11960
	s_waitcnt lgkmcnt(0)
	v_mul_f32_e32 v25, v25, v26
	ds_write_b32 v17, v25
.LBB10_730:
	s_or_b64 exec, exec, s[10:11]
	s_waitcnt lgkmcnt(0)
	s_barrier
	s_and_saveexec_b64 s[10:11], s[58:59]
	s_cbranch_execz .LBB10_732
; %bb.731:
	v_mov_b32_e32 v26, 0
	ds_read_b32 v26, v26 offset:11964
	ds_read_b32 v27, v17
	s_waitcnt lgkmcnt(0)
	v_fmac_f32_e32 v25, v26, v27
.LBB10_732:
	s_or_b64 exec, exec, s[10:11]
	s_barrier
	s_and_saveexec_b64 s[10:11], s[58:59]
	s_cbranch_execz .LBB10_734
; %bb.733:
	v_mov_b32_e32 v26, 0
	ds_read_b32 v26, v26 offset:12220
	s_waitcnt lgkmcnt(0)
	v_mul_f32_e32 v25, v25, v26
	ds_write_b32 v17, v25
.LBB10_734:
	s_or_b64 exec, exec, s[10:11]
	s_waitcnt lgkmcnt(0)
	s_barrier
	s_barrier
	s_and_saveexec_b64 s[10:11], s[14:15]
; %bb.735:
	v_xor_b32_e32 v25, 0x80000000, v25
	ds_write_b32 v15, v25 offset:8352
; %bb.736:
	s_or_b64 exec, exec, s[10:11]
	s_waitcnt lgkmcnt(0)
	s_barrier
	s_barrier
	s_and_saveexec_b64 s[10:11], vcc
	s_cbranch_execz .LBB10_738
; %bb.737:
	v_mov_b32_e32 v27, 0
	ds_read_b64 v[25:26], v27 offset:10400
	ds_read_b32 v28, v27 offset:10660
	s_waitcnt lgkmcnt(0)
	v_mul_f32_e32 v25, v25, v28
	v_mul_f32_e32 v25, v26, v25
	ds_write_b32 v27, v25 offset:10404
.LBB10_738:
	s_or_b64 exec, exec, s[10:11]
	v_mov_b32_e32 v25, 0
	s_waitcnt lgkmcnt(0)
	s_barrier
	s_and_saveexec_b64 s[12:13], s[0:1]
	s_cbranch_execz .LBB10_742
; %bb.739:
	v_mul_u32_u24_e32 v25, 0x104, v5
	ds_read_b32 v27, v1 offset:10408
	ds_read_b32 v25, v25 offset:10400
	v_mov_b32_e32 v26, 0
	v_cmp_gt_u32_e64 s[10:11], 2, v4
	s_waitcnt lgkmcnt(0)
	v_fma_f32 v25, v27, v25, 0
	s_and_saveexec_b64 s[16:17], s[10:11]
	s_cbranch_execz .LBB10_741
; %bb.740:
	v_lshlrev_b32_e32 v27, 2, v0
	ds_read_b32 v27, v27 offset:10664
	ds_read_b32 v26, v26 offset:10404
	s_waitcnt lgkmcnt(0)
	v_fmac_f32_e32 v25, v27, v26
.LBB10_741:
	s_or_b64 exec, exec, s[16:17]
	v_xor_b32_e32 v25, 0x80000000, v25
.LBB10_742:
	s_or_b64 exec, exec, s[12:13]
	s_and_saveexec_b64 s[10:11], s[36:37]
	s_cbranch_execz .LBB10_744
; %bb.743:
	v_mov_b32_e32 v26, 0
	ds_read_b32 v26, v26 offset:10920
	s_waitcnt lgkmcnt(0)
	v_mul_f32_e32 v25, v25, v26
	ds_write_b32 v3, v25
.LBB10_744:
	s_or_b64 exec, exec, s[10:11]
	s_waitcnt lgkmcnt(0)
	s_barrier
	s_and_saveexec_b64 s[10:11], s[24:25]
	s_cbranch_execz .LBB10_746
; %bb.745:
	v_mov_b32_e32 v26, 0
	ds_read_b32 v26, v26 offset:10924
	ds_read_b32 v27, v3
	s_waitcnt lgkmcnt(0)
	v_fmac_f32_e32 v25, v26, v27
.LBB10_746:
	s_or_b64 exec, exec, s[10:11]
	s_barrier
	s_and_saveexec_b64 s[10:11], s[24:25]
	s_cbranch_execz .LBB10_748
; %bb.747:
	v_mov_b32_e32 v26, 0
	ds_read_b32 v26, v26 offset:11180
	s_waitcnt lgkmcnt(0)
	v_mul_f32_e32 v25, v25, v26
	ds_write_b32 v3, v25
.LBB10_748:
	s_or_b64 exec, exec, s[10:11]
	s_waitcnt lgkmcnt(0)
	s_barrier
	s_barrier
	s_and_saveexec_b64 s[10:11], s[0:1]
; %bb.749:
	v_xor_b32_e32 v25, 0x80000000, v25
	ds_write_b32 v1, v25 offset:10408
; %bb.750:
	s_or_b64 exec, exec, s[10:11]
	s_waitcnt lgkmcnt(0)
	s_barrier
	s_barrier
	s_and_saveexec_b64 s[10:11], vcc
	s_cbranch_execz .LBB10_752
; %bb.751:
	v_mov_b32_e32 v27, 0
	ds_read_b64 v[25:26], v27 offset:10920
	ds_read_b32 v28, v27 offset:11180
	s_waitcnt lgkmcnt(0)
	v_mul_f32_e32 v25, v25, v28
	v_mul_f32_e32 v25, v26, v25
	ds_write_b32 v27, v25 offset:10924
.LBB10_752:
	s_or_b64 exec, exec, s[10:11]
	v_mov_b32_e32 v25, 0
	s_waitcnt lgkmcnt(0)
	s_barrier
	s_and_saveexec_b64 s[12:13], s[2:3]
	s_cbranch_execz .LBB10_758
; %bb.753:
	v_mul_u32_u24_e32 v26, 0x104, v14
	ds_read_b32 v25, v6 offset:10416
	ds_read_b32 v27, v26 offset:10400
	v_cmp_gt_u32_e64 s[10:11], 12, v4
	s_waitcnt lgkmcnt(0)
	v_fma_f32 v25, v25, v27, 0
	s_and_saveexec_b64 s[16:17], s[10:11]
	s_cbranch_execnz .LBB10_1178
; %bb.754:
	s_or_b64 exec, exec, s[16:17]
	v_cmp_gt_u32_e64 s[10:11], 8, v4
	s_and_saveexec_b64 s[16:17], s[10:11]
	s_cbranch_execnz .LBB10_1179
.LBB10_755:
	s_or_b64 exec, exec, s[16:17]
	v_cmp_gt_u32_e64 s[10:11], 4, v4
	s_and_saveexec_b64 s[16:17], s[10:11]
	s_cbranch_execz .LBB10_757
.LBB10_756:
	v_lshlrev_b32_e32 v26, 2, v0
	v_mov_b32_e32 v27, 0
	ds_read_b32 v26, v26 offset:11184
	ds_read_b32 v27, v27 offset:10412
	s_waitcnt lgkmcnt(0)
	v_fmac_f32_e32 v25, v26, v27
.LBB10_757:
	s_or_b64 exec, exec, s[16:17]
	v_xor_b32_e32 v25, 0x80000000, v25
.LBB10_758:
	s_or_b64 exec, exec, s[12:13]
	s_and_saveexec_b64 s[10:11], s[40:41]
	s_cbranch_execz .LBB10_760
; %bb.759:
	v_mov_b32_e32 v26, 0
	ds_read_b32 v26, v26 offset:11440
	s_waitcnt lgkmcnt(0)
	v_mul_f32_e32 v25, v25, v26
	ds_write_b32 v12, v25
.LBB10_760:
	s_or_b64 exec, exec, s[10:11]
	s_waitcnt lgkmcnt(0)
	s_barrier
	s_and_saveexec_b64 s[10:11], s[42:43]
	s_cbranch_execz .LBB10_762
; %bb.761:
	ds_read_b32 v26, v11 offset:11440
	ds_read_b32 v27, v12
	s_waitcnt lgkmcnt(0)
	v_fmac_f32_e32 v25, v26, v27
.LBB10_762:
	s_or_b64 exec, exec, s[10:11]
	s_barrier
	s_and_saveexec_b64 s[10:11], s[44:45]
	s_cbranch_execz .LBB10_764
; %bb.763:
	v_mov_b32_e32 v26, 0
	ds_read_b32 v26, v26 offset:11700
	s_waitcnt lgkmcnt(0)
	v_mul_f32_e32 v25, v25, v26
	ds_write_b32 v12, v25
.LBB10_764:
	s_or_b64 exec, exec, s[10:11]
	s_waitcnt lgkmcnt(0)
	s_barrier
	s_and_saveexec_b64 s[10:11], s[46:47]
	s_cbranch_execz .LBB10_766
; %bb.765:
	ds_read_b32 v26, v11 offset:11696
	ds_read_b32 v27, v12
	s_waitcnt lgkmcnt(0)
	v_fmac_f32_e32 v25, v26, v27
.LBB10_766:
	s_or_b64 exec, exec, s[10:11]
	s_barrier
	s_and_saveexec_b64 s[10:11], s[48:49]
	s_cbranch_execz .LBB10_768
; %bb.767:
	v_mov_b32_e32 v26, 0
	ds_read_b32 v26, v26 offset:11960
	s_waitcnt lgkmcnt(0)
	v_mul_f32_e32 v25, v25, v26
	ds_write_b32 v12, v25
.LBB10_768:
	s_or_b64 exec, exec, s[10:11]
	s_waitcnt lgkmcnt(0)
	s_barrier
	s_and_saveexec_b64 s[10:11], s[38:39]
	s_cbranch_execz .LBB10_770
; %bb.769:
	v_mov_b32_e32 v26, 0
	ds_read_b32 v26, v26 offset:11964
	ds_read_b32 v27, v12
	s_waitcnt lgkmcnt(0)
	v_fmac_f32_e32 v25, v26, v27
.LBB10_770:
	s_or_b64 exec, exec, s[10:11]
	s_barrier
	s_and_saveexec_b64 s[10:11], s[38:39]
	s_cbranch_execz .LBB10_772
; %bb.771:
	v_mov_b32_e32 v26, 0
	ds_read_b32 v26, v26 offset:12220
	s_waitcnt lgkmcnt(0)
	v_mul_f32_e32 v25, v25, v26
	ds_write_b32 v12, v25
.LBB10_772:
	s_or_b64 exec, exec, s[10:11]
	s_waitcnt lgkmcnt(0)
	s_barrier
	s_barrier
	s_and_saveexec_b64 s[10:11], s[2:3]
; %bb.773:
	v_xor_b32_e32 v25, 0x80000000, v25
	ds_write_b32 v6, v25 offset:10416
; %bb.774:
	s_or_b64 exec, exec, s[10:11]
	s_waitcnt lgkmcnt(0)
	s_barrier
	s_barrier
	s_and_saveexec_b64 s[10:11], vcc
	s_cbranch_execz .LBB10_776
; %bb.775:
	v_mov_b32_e32 v27, 0
	ds_read_b64 v[25:26], v27 offset:11440
	ds_read_b32 v28, v27 offset:11700
	s_waitcnt lgkmcnt(0)
	v_mul_f32_e32 v25, v25, v28
	v_mul_f32_e32 v25, v26, v25
	ds_write_b32 v27, v25 offset:11444
.LBB10_776:
	s_or_b64 exec, exec, s[10:11]
	v_mov_b32_e32 v25, 0
	s_waitcnt lgkmcnt(0)
	s_barrier
	s_and_saveexec_b64 s[12:13], s[0:1]
	s_cbranch_execz .LBB10_780
; %bb.777:
	v_mul_u32_u24_e32 v25, 0x104, v5
	ds_read_b32 v27, v1 offset:11448
	ds_read_b32 v25, v25 offset:11440
	v_mov_b32_e32 v26, 0
	v_cmp_gt_u32_e64 s[10:11], 2, v4
	s_waitcnt lgkmcnt(0)
	v_fma_f32 v25, v27, v25, 0
	s_and_saveexec_b64 s[16:17], s[10:11]
	s_cbranch_execz .LBB10_779
; %bb.778:
	v_lshlrev_b32_e32 v27, 2, v0
	ds_read_b32 v27, v27 offset:11704
	ds_read_b32 v26, v26 offset:11444
	s_waitcnt lgkmcnt(0)
	v_fmac_f32_e32 v25, v27, v26
.LBB10_779:
	s_or_b64 exec, exec, s[16:17]
	v_xor_b32_e32 v25, 0x80000000, v25
.LBB10_780:
	s_or_b64 exec, exec, s[12:13]
	s_and_saveexec_b64 s[10:11], s[36:37]
	s_cbranch_execz .LBB10_782
; %bb.781:
	v_mov_b32_e32 v26, 0
	ds_read_b32 v26, v26 offset:11960
	s_waitcnt lgkmcnt(0)
	v_mul_f32_e32 v25, v25, v26
	ds_write_b32 v3, v25
.LBB10_782:
	s_or_b64 exec, exec, s[10:11]
	s_waitcnt lgkmcnt(0)
	s_barrier
	s_and_saveexec_b64 s[10:11], s[24:25]
	s_cbranch_execz .LBB10_784
; %bb.783:
	v_mov_b32_e32 v26, 0
	ds_read_b32 v26, v26 offset:11964
	ds_read_b32 v27, v3
	s_waitcnt lgkmcnt(0)
	v_fmac_f32_e32 v25, v26, v27
.LBB10_784:
	s_or_b64 exec, exec, s[10:11]
	s_barrier
	s_and_saveexec_b64 s[10:11], s[24:25]
	s_cbranch_execz .LBB10_786
; %bb.785:
	v_mov_b32_e32 v26, 0
	ds_read_b32 v26, v26 offset:12220
	s_waitcnt lgkmcnt(0)
	v_mul_f32_e32 v25, v25, v26
	ds_write_b32 v3, v25
.LBB10_786:
	s_or_b64 exec, exec, s[10:11]
	s_waitcnt lgkmcnt(0)
	s_barrier
	s_barrier
	s_and_saveexec_b64 s[10:11], s[0:1]
; %bb.787:
	v_xor_b32_e32 v25, 0x80000000, v25
	ds_write_b32 v1, v25 offset:11448
; %bb.788:
	s_or_b64 exec, exec, s[10:11]
	s_waitcnt lgkmcnt(0)
	s_barrier
	s_barrier
	s_and_saveexec_b64 s[10:11], vcc
	s_cbranch_execz .LBB10_790
; %bb.789:
	v_mov_b32_e32 v27, 0
	ds_read_b64 v[25:26], v27 offset:11960
	ds_read_b32 v28, v27 offset:12220
	s_waitcnt lgkmcnt(0)
	v_mul_f32_e32 v25, v25, v28
	v_mul_f32_e32 v25, v26, v25
	ds_write_b32 v27, v25 offset:11964
.LBB10_790:
	s_or_b64 exec, exec, s[10:11]
	v_mov_b32_e32 v25, 0
	s_waitcnt lgkmcnt(0)
	s_barrier
	s_and_saveexec_b64 s[12:13], s[8:9]
	s_cbranch_execz .LBB10_818
; %bb.791:
	v_mul_u32_u24_e32 v26, 0x104, v24
	ds_read_b32 v25, v20 offset:8384
	ds_read_b32 v27, v26 offset:8320
	s_movk_i32 s10, 0xf0
	v_cmp_gt_u32_e64 s[10:11], s10, v4
	s_waitcnt lgkmcnt(0)
	v_fma_f32 v25, v25, v27, 0
	s_and_saveexec_b64 s[16:17], s[10:11]
	s_cbranch_execz .LBB10_793
; %bb.792:
	v_lshlrev_b32_e32 v27, 2, v24
	v_sub_u32_e32 v27, v26, v27
	v_lshl_add_u32 v27, v21, 2, v27
	ds_read_b32 v27, v27 offset:8640
	ds_read_b32 v28, v26 offset:8324
	s_waitcnt lgkmcnt(0)
	v_fmac_f32_e32 v25, v27, v28
.LBB10_793:
	s_or_b64 exec, exec, s[16:17]
	s_movk_i32 s10, 0xe0
	v_cmp_gt_u32_e64 s[10:11], s10, v4
	s_and_saveexec_b64 s[16:17], s[10:11]
	s_cbranch_execz .LBB10_795
; %bb.794:
	v_lshlrev_b32_e32 v27, 2, v24
	v_sub_u32_e32 v27, v26, v27
	v_lshl_add_u32 v27, v21, 2, v27
	ds_read_b32 v27, v27 offset:8896
	ds_read_b32 v28, v26 offset:8328
	s_waitcnt lgkmcnt(0)
	v_fmac_f32_e32 v25, v27, v28
.LBB10_795:
	s_or_b64 exec, exec, s[16:17]
	s_movk_i32 s10, 0xd0
	v_cmp_gt_u32_e64 s[10:11], s10, v4
	;; [unrolled: 14-line block ×7, first 2 shown]
	s_and_saveexec_b64 s[16:17], s[10:11]
	s_cbranch_execz .LBB10_807
; %bb.806:
	ds_read_b32 v24, v20 offset:10432
	ds_read_b32 v27, v26 offset:8352
	s_waitcnt lgkmcnt(0)
	v_fmac_f32_e32 v25, v24, v27
.LBB10_807:
	s_or_b64 exec, exec, s[16:17]
	s_movk_i32 s10, 0x70
	v_cmp_gt_u32_e64 s[10:11], s10, v4
	s_and_saveexec_b64 s[16:17], s[10:11]
	s_cbranch_execz .LBB10_809
; %bb.808:
	v_lshlrev_b32_e32 v24, 2, v21
	v_lshl_add_u32 v24, v23, 2, v24
	ds_read_b32 v24, v24 offset:10688
	ds_read_b32 v27, v26 offset:8356
	s_waitcnt lgkmcnt(0)
	v_fmac_f32_e32 v25, v24, v27
.LBB10_809:
	s_or_b64 exec, exec, s[16:17]
	s_movk_i32 s10, 0x60
	v_cmp_gt_u32_e64 s[10:11], s10, v4
	s_and_saveexec_b64 s[16:17], s[10:11]
	s_cbranch_execz .LBB10_811
; %bb.810:
	v_lshlrev_b32_e32 v24, 2, v21
	v_lshl_add_u32 v24, v23, 2, v24
	ds_read_b32 v24, v24 offset:10944
	ds_read_b32 v27, v26 offset:8360
	s_waitcnt lgkmcnt(0)
	v_fmac_f32_e32 v25, v24, v27
.LBB10_811:
	s_or_b64 exec, exec, s[16:17]
	s_movk_i32 s10, 0x50
	v_cmp_gt_u32_e64 s[10:11], s10, v4
	s_and_saveexec_b64 s[16:17], s[10:11]
	s_cbranch_execnz .LBB10_1180
; %bb.812:
	s_or_b64 exec, exec, s[16:17]
	v_cmp_gt_u32_e64 s[10:11], 64, v4
	s_and_saveexec_b64 s[16:17], s[10:11]
	s_cbranch_execnz .LBB10_1181
.LBB10_813:
	s_or_b64 exec, exec, s[16:17]
	v_cmp_gt_u32_e64 s[10:11], 48, v4
	s_and_saveexec_b64 s[16:17], s[10:11]
	s_cbranch_execnz .LBB10_1182
.LBB10_814:
	s_or_b64 exec, exec, s[16:17]
	v_cmp_gt_u32_e64 s[10:11], 32, v4
	s_and_saveexec_b64 s[16:17], s[10:11]
	s_cbranch_execnz .LBB10_1183
.LBB10_815:
	s_or_b64 exec, exec, s[16:17]
	v_cmp_gt_u32_e64 s[10:11], 16, v4
	s_and_saveexec_b64 s[16:17], s[10:11]
	s_cbranch_execz .LBB10_817
.LBB10_816:
	v_lshlrev_b32_e32 v23, 2, v0
	v_mov_b32_e32 v24, 0
	ds_read_b32 v23, v23 offset:12224
	ds_read_b32 v24, v24 offset:8380
	s_waitcnt lgkmcnt(0)
	v_fmac_f32_e32 v25, v23, v24
.LBB10_817:
	s_or_b64 exec, exec, s[16:17]
	v_xor_b32_e32 v25, 0x80000000, v25
.LBB10_818:
	s_or_b64 exec, exec, s[12:13]
	s_mov_b64 s[10:11], exec
	v_readlane_b32 s12, v33, 2
	v_readlane_b32 s13, v33, 3
	s_and_b64 s[12:13], s[10:11], s[12:13]
	s_mov_b64 exec, s[12:13]
	s_cbranch_execz .LBB10_820
; %bb.819:
	v_mov_b32_e32 v23, 0
	ds_read_b32 v23, v23 offset:12480
	s_waitcnt lgkmcnt(0)
	v_mul_f32_e32 v25, v25, v23
	ds_write_b32 v22, v25
.LBB10_820:
	s_or_b64 exec, exec, s[10:11]
	s_waitcnt lgkmcnt(0)
	s_barrier
	s_mov_b64 s[10:11], exec
	v_readlane_b32 s12, v33, 4
	v_readlane_b32 s13, v33, 5
	s_and_b64 s[12:13], s[10:11], s[12:13]
	s_mov_b64 exec, s[12:13]
	s_cbranch_execz .LBB10_822
; %bb.821:
	v_lshlrev_b32_e32 v23, 2, v21
	ds_read_b32 v23, v23 offset:12480
	ds_read_b32 v24, v22
	s_waitcnt lgkmcnt(0)
	v_fmac_f32_e32 v25, v23, v24
.LBB10_822:
	s_or_b64 exec, exec, s[10:11]
	s_barrier
	s_mov_b64 s[10:11], exec
	v_readlane_b32 s12, v33, 6
	v_readlane_b32 s13, v33, 7
	s_and_b64 s[12:13], s[10:11], s[12:13]
	s_mov_b64 exec, s[12:13]
	s_cbranch_execz .LBB10_824
; %bb.823:
	v_mov_b32_e32 v23, 0
	ds_read_b32 v23, v23 offset:12740
	s_waitcnt lgkmcnt(0)
	v_mul_f32_e32 v25, v25, v23
	ds_write_b32 v22, v25
.LBB10_824:
	s_or_b64 exec, exec, s[10:11]
	s_waitcnt lgkmcnt(0)
	s_barrier
	s_mov_b64 s[10:11], exec
	v_readlane_b32 s12, v33, 8
	v_readlane_b32 s13, v33, 9
	s_and_b64 s[12:13], s[10:11], s[12:13]
	s_mov_b64 exec, s[12:13]
	s_cbranch_execz .LBB10_826
; %bb.825:
	v_lshlrev_b32_e32 v23, 2, v21
	ds_read_b32 v23, v23 offset:12736
	ds_read_b32 v24, v22
	s_waitcnt lgkmcnt(0)
	v_fmac_f32_e32 v25, v23, v24
.LBB10_826:
	s_or_b64 exec, exec, s[10:11]
	s_barrier
	;; [unrolled: 31-line block ×12, first 2 shown]
	s_mov_b64 s[10:11], exec
	v_readlane_b32 s12, v33, 50
	v_readlane_b32 s13, v33, 51
	s_and_b64 s[12:13], s[10:11], s[12:13]
	s_mov_b64 exec, s[12:13]
	s_cbranch_execz .LBB10_868
; %bb.867:
	v_mov_b32_e32 v23, 0
	ds_read_b32 v23, v23 offset:15600
	s_waitcnt lgkmcnt(0)
	v_mul_f32_e32 v25, v25, v23
	ds_write_b32 v22, v25
.LBB10_868:
	s_or_b64 exec, exec, s[10:11]
	s_waitcnt lgkmcnt(0)
	s_barrier
	s_and_saveexec_b64 s[10:11], s[94:95]
	s_cbranch_execz .LBB10_870
; %bb.869:
	v_lshlrev_b32_e32 v23, 2, v21
	ds_read_b32 v23, v23 offset:15552
	ds_read_b32 v24, v22
	s_waitcnt lgkmcnt(0)
	v_fmac_f32_e32 v25, v23, v24
.LBB10_870:
	s_or_b64 exec, exec, s[10:11]
	s_barrier
	s_and_saveexec_b64 s[10:11], s[78:79]
	s_cbranch_execz .LBB10_872
; %bb.871:
	v_mov_b32_e32 v23, 0
	ds_read_b32 v23, v23 offset:15860
	s_waitcnt lgkmcnt(0)
	v_mul_f32_e32 v25, v25, v23
	ds_write_b32 v22, v25
.LBB10_872:
	s_or_b64 exec, exec, s[10:11]
	s_waitcnt lgkmcnt(0)
	s_barrier
	s_and_saveexec_b64 s[10:11], s[80:81]
	s_cbranch_execz .LBB10_874
; %bb.873:
	v_lshlrev_b32_e32 v21, 2, v21
	ds_read_b32 v21, v21 offset:15808
	ds_read_b32 v23, v22
	s_waitcnt lgkmcnt(0)
	v_fmac_f32_e32 v25, v21, v23
.LBB10_874:
	s_or_b64 exec, exec, s[10:11]
	s_barrier
	s_and_saveexec_b64 s[10:11], s[84:85]
	s_cbranch_execz .LBB10_876
; %bb.875:
	v_mov_b32_e32 v21, 0
	ds_read_b32 v21, v21 offset:16120
	s_waitcnt lgkmcnt(0)
	v_mul_f32_e32 v25, v25, v21
	ds_write_b32 v22, v25
.LBB10_876:
	s_or_b64 exec, exec, s[10:11]
	s_waitcnt lgkmcnt(0)
	s_barrier
	s_and_saveexec_b64 s[10:11], s[82:83]
	s_cbranch_execz .LBB10_878
; %bb.877:
	v_mov_b32_e32 v21, 0
	ds_read_b32 v21, v21 offset:16124
	ds_read_b32 v23, v22
	s_waitcnt lgkmcnt(0)
	v_fmac_f32_e32 v25, v21, v23
.LBB10_878:
	s_or_b64 exec, exec, s[10:11]
	s_barrier
	s_and_saveexec_b64 s[10:11], s[82:83]
	s_cbranch_execz .LBB10_880
; %bb.879:
	v_mov_b32_e32 v21, 0
	ds_read_b32 v21, v21 offset:16380
	s_waitcnt lgkmcnt(0)
	v_mul_f32_e32 v25, v25, v21
	ds_write_b32 v22, v25
.LBB10_880:
	s_or_b64 exec, exec, s[10:11]
	s_waitcnt lgkmcnt(0)
	s_barrier
	s_barrier
	s_and_saveexec_b64 s[10:11], s[8:9]
; %bb.881:
	v_xor_b32_e32 v21, 0x80000000, v25
	ds_write_b32 v20, v21 offset:8384
; %bb.882:
	s_or_b64 exec, exec, s[10:11]
	s_waitcnt lgkmcnt(0)
	s_barrier
	s_barrier
	s_and_saveexec_b64 s[8:9], vcc
	s_cbranch_execz .LBB10_884
; %bb.883:
	v_mov_b32_e32 v22, 0
	ds_read_b64 v[20:21], v22 offset:12480
	ds_read_b32 v23, v22 offset:12740
	s_waitcnt lgkmcnt(0)
	v_mul_f32_e32 v20, v20, v23
	v_mul_f32_e32 v20, v21, v20
	ds_write_b32 v22, v20 offset:12484
.LBB10_884:
	s_or_b64 exec, exec, s[8:9]
	v_mov_b32_e32 v20, 0
	s_waitcnt lgkmcnt(0)
	s_barrier
	s_and_saveexec_b64 s[10:11], s[0:1]
	s_cbranch_execz .LBB10_888
; %bb.885:
	v_mul_u32_u24_e32 v20, 0x104, v5
	ds_read_b32 v22, v1 offset:12488
	ds_read_b32 v20, v20 offset:12480
	v_mov_b32_e32 v21, 0
	v_cmp_gt_u32_e64 s[8:9], 2, v4
	s_waitcnt lgkmcnt(0)
	v_fma_f32 v20, v22, v20, 0
	s_and_saveexec_b64 s[12:13], s[8:9]
	s_cbranch_execz .LBB10_887
; %bb.886:
	v_lshlrev_b32_e32 v22, 2, v0
	ds_read_b32 v22, v22 offset:12744
	ds_read_b32 v21, v21 offset:12484
	s_waitcnt lgkmcnt(0)
	v_fmac_f32_e32 v20, v22, v21
.LBB10_887:
	s_or_b64 exec, exec, s[12:13]
	v_xor_b32_e32 v20, 0x80000000, v20
.LBB10_888:
	s_or_b64 exec, exec, s[10:11]
	s_and_saveexec_b64 s[8:9], s[36:37]
	s_cbranch_execz .LBB10_890
; %bb.889:
	v_mov_b32_e32 v21, 0
	ds_read_b32 v21, v21 offset:13000
	s_waitcnt lgkmcnt(0)
	v_mul_f32_e32 v20, v20, v21
	ds_write_b32 v3, v20
.LBB10_890:
	s_or_b64 exec, exec, s[8:9]
	s_waitcnt lgkmcnt(0)
	s_barrier
	s_and_saveexec_b64 s[8:9], s[24:25]
	s_cbranch_execz .LBB10_892
; %bb.891:
	v_mov_b32_e32 v21, 0
	ds_read_b32 v21, v21 offset:13004
	ds_read_b32 v22, v3
	s_waitcnt lgkmcnt(0)
	v_fmac_f32_e32 v20, v21, v22
.LBB10_892:
	s_or_b64 exec, exec, s[8:9]
	s_barrier
	s_and_saveexec_b64 s[8:9], s[24:25]
	s_cbranch_execz .LBB10_894
; %bb.893:
	v_mov_b32_e32 v21, 0
	ds_read_b32 v21, v21 offset:13260
	s_waitcnt lgkmcnt(0)
	v_mul_f32_e32 v20, v20, v21
	ds_write_b32 v3, v20
.LBB10_894:
	s_or_b64 exec, exec, s[8:9]
	s_waitcnt lgkmcnt(0)
	s_barrier
	s_barrier
	s_and_saveexec_b64 s[8:9], s[0:1]
; %bb.895:
	v_xor_b32_e32 v20, 0x80000000, v20
	ds_write_b32 v1, v20 offset:12488
; %bb.896:
	s_or_b64 exec, exec, s[8:9]
	s_waitcnt lgkmcnt(0)
	s_barrier
	s_barrier
	s_and_saveexec_b64 s[8:9], vcc
	s_cbranch_execz .LBB10_898
; %bb.897:
	v_mov_b32_e32 v22, 0
	ds_read_b64 v[20:21], v22 offset:13000
	ds_read_b32 v23, v22 offset:13260
	s_waitcnt lgkmcnt(0)
	v_mul_f32_e32 v20, v20, v23
	v_mul_f32_e32 v20, v21, v20
	ds_write_b32 v22, v20 offset:13004
.LBB10_898:
	s_or_b64 exec, exec, s[8:9]
	v_mov_b32_e32 v20, 0
	s_waitcnt lgkmcnt(0)
	s_barrier
	s_and_saveexec_b64 s[10:11], s[2:3]
	s_cbranch_execz .LBB10_904
; %bb.899:
	v_mul_u32_u24_e32 v21, 0x104, v14
	ds_read_b32 v20, v6 offset:12496
	ds_read_b32 v22, v21 offset:12480
	v_cmp_gt_u32_e64 s[8:9], 12, v4
	s_waitcnt lgkmcnt(0)
	v_fma_f32 v20, v20, v22, 0
	s_and_saveexec_b64 s[12:13], s[8:9]
	s_cbranch_execnz .LBB10_1184
; %bb.900:
	s_or_b64 exec, exec, s[12:13]
	v_cmp_gt_u32_e64 s[8:9], 8, v4
	s_and_saveexec_b64 s[12:13], s[8:9]
	s_cbranch_execnz .LBB10_1185
.LBB10_901:
	s_or_b64 exec, exec, s[12:13]
	v_cmp_gt_u32_e64 s[8:9], 4, v4
	s_and_saveexec_b64 s[12:13], s[8:9]
	s_cbranch_execz .LBB10_903
.LBB10_902:
	v_lshlrev_b32_e32 v21, 2, v0
	v_mov_b32_e32 v22, 0
	ds_read_b32 v21, v21 offset:13264
	ds_read_b32 v22, v22 offset:12492
	s_waitcnt lgkmcnt(0)
	v_fmac_f32_e32 v20, v21, v22
.LBB10_903:
	s_or_b64 exec, exec, s[12:13]
	v_xor_b32_e32 v20, 0x80000000, v20
.LBB10_904:
	s_or_b64 exec, exec, s[10:11]
	s_and_saveexec_b64 s[8:9], s[40:41]
	s_cbranch_execz .LBB10_906
; %bb.905:
	v_mov_b32_e32 v21, 0
	ds_read_b32 v21, v21 offset:13520
	s_waitcnt lgkmcnt(0)
	v_mul_f32_e32 v20, v20, v21
	ds_write_b32 v12, v20
.LBB10_906:
	s_or_b64 exec, exec, s[8:9]
	s_waitcnt lgkmcnt(0)
	s_barrier
	s_and_saveexec_b64 s[8:9], s[42:43]
	s_cbranch_execz .LBB10_908
; %bb.907:
	ds_read_b32 v21, v11 offset:13520
	ds_read_b32 v22, v12
	s_waitcnt lgkmcnt(0)
	v_fmac_f32_e32 v20, v21, v22
.LBB10_908:
	s_or_b64 exec, exec, s[8:9]
	s_barrier
	s_and_saveexec_b64 s[8:9], s[44:45]
	s_cbranch_execz .LBB10_910
; %bb.909:
	v_mov_b32_e32 v21, 0
	ds_read_b32 v21, v21 offset:13780
	s_waitcnt lgkmcnt(0)
	v_mul_f32_e32 v20, v20, v21
	ds_write_b32 v12, v20
.LBB10_910:
	s_or_b64 exec, exec, s[8:9]
	s_waitcnt lgkmcnt(0)
	s_barrier
	s_and_saveexec_b64 s[8:9], s[46:47]
	s_cbranch_execz .LBB10_912
; %bb.911:
	ds_read_b32 v21, v11 offset:13776
	ds_read_b32 v22, v12
	s_waitcnt lgkmcnt(0)
	v_fmac_f32_e32 v20, v21, v22
.LBB10_912:
	s_or_b64 exec, exec, s[8:9]
	s_barrier
	s_and_saveexec_b64 s[8:9], s[48:49]
	s_cbranch_execz .LBB10_914
; %bb.913:
	v_mov_b32_e32 v21, 0
	ds_read_b32 v21, v21 offset:14040
	s_waitcnt lgkmcnt(0)
	v_mul_f32_e32 v20, v20, v21
	ds_write_b32 v12, v20
.LBB10_914:
	s_or_b64 exec, exec, s[8:9]
	s_waitcnt lgkmcnt(0)
	s_barrier
	s_and_saveexec_b64 s[8:9], s[38:39]
	s_cbranch_execz .LBB10_916
; %bb.915:
	v_mov_b32_e32 v21, 0
	ds_read_b32 v21, v21 offset:14044
	ds_read_b32 v22, v12
	s_waitcnt lgkmcnt(0)
	v_fmac_f32_e32 v20, v21, v22
.LBB10_916:
	s_or_b64 exec, exec, s[8:9]
	s_barrier
	s_and_saveexec_b64 s[8:9], s[38:39]
	s_cbranch_execz .LBB10_918
; %bb.917:
	v_mov_b32_e32 v21, 0
	ds_read_b32 v21, v21 offset:14300
	s_waitcnt lgkmcnt(0)
	v_mul_f32_e32 v20, v20, v21
	ds_write_b32 v12, v20
.LBB10_918:
	s_or_b64 exec, exec, s[8:9]
	s_waitcnt lgkmcnt(0)
	s_barrier
	s_barrier
	s_and_saveexec_b64 s[8:9], s[2:3]
; %bb.919:
	v_xor_b32_e32 v20, 0x80000000, v20
	ds_write_b32 v6, v20 offset:12496
; %bb.920:
	s_or_b64 exec, exec, s[8:9]
	s_waitcnt lgkmcnt(0)
	s_barrier
	s_barrier
	s_and_saveexec_b64 s[8:9], vcc
	s_cbranch_execz .LBB10_922
; %bb.921:
	v_mov_b32_e32 v22, 0
	ds_read_b64 v[20:21], v22 offset:13520
	ds_read_b32 v23, v22 offset:13780
	s_waitcnt lgkmcnt(0)
	v_mul_f32_e32 v20, v20, v23
	v_mul_f32_e32 v20, v21, v20
	ds_write_b32 v22, v20 offset:13524
.LBB10_922:
	s_or_b64 exec, exec, s[8:9]
	v_mov_b32_e32 v20, 0
	s_waitcnt lgkmcnt(0)
	s_barrier
	s_and_saveexec_b64 s[10:11], s[0:1]
	s_cbranch_execz .LBB10_926
; %bb.923:
	v_mul_u32_u24_e32 v20, 0x104, v5
	ds_read_b32 v22, v1 offset:13528
	ds_read_b32 v20, v20 offset:13520
	v_mov_b32_e32 v21, 0
	v_cmp_gt_u32_e64 s[8:9], 2, v4
	s_waitcnt lgkmcnt(0)
	v_fma_f32 v20, v22, v20, 0
	s_and_saveexec_b64 s[12:13], s[8:9]
	s_cbranch_execz .LBB10_925
; %bb.924:
	v_lshlrev_b32_e32 v22, 2, v0
	ds_read_b32 v22, v22 offset:13784
	ds_read_b32 v21, v21 offset:13524
	s_waitcnt lgkmcnt(0)
	v_fmac_f32_e32 v20, v22, v21
.LBB10_925:
	s_or_b64 exec, exec, s[12:13]
	v_xor_b32_e32 v20, 0x80000000, v20
.LBB10_926:
	s_or_b64 exec, exec, s[10:11]
	s_and_saveexec_b64 s[8:9], s[36:37]
	s_cbranch_execz .LBB10_928
; %bb.927:
	v_mov_b32_e32 v21, 0
	ds_read_b32 v21, v21 offset:14040
	s_waitcnt lgkmcnt(0)
	v_mul_f32_e32 v20, v20, v21
	ds_write_b32 v3, v20
.LBB10_928:
	s_or_b64 exec, exec, s[8:9]
	s_waitcnt lgkmcnt(0)
	s_barrier
	s_and_saveexec_b64 s[8:9], s[24:25]
	s_cbranch_execz .LBB10_930
; %bb.929:
	v_mov_b32_e32 v21, 0
	ds_read_b32 v21, v21 offset:14044
	ds_read_b32 v22, v3
	s_waitcnt lgkmcnt(0)
	v_fmac_f32_e32 v20, v21, v22
.LBB10_930:
	s_or_b64 exec, exec, s[8:9]
	s_barrier
	s_and_saveexec_b64 s[8:9], s[24:25]
	s_cbranch_execz .LBB10_932
; %bb.931:
	v_mov_b32_e32 v21, 0
	ds_read_b32 v21, v21 offset:14300
	s_waitcnt lgkmcnt(0)
	v_mul_f32_e32 v20, v20, v21
	ds_write_b32 v3, v20
.LBB10_932:
	s_or_b64 exec, exec, s[8:9]
	s_waitcnt lgkmcnt(0)
	s_barrier
	s_barrier
	s_and_saveexec_b64 s[8:9], s[0:1]
; %bb.933:
	v_xor_b32_e32 v20, 0x80000000, v20
	ds_write_b32 v1, v20 offset:13528
; %bb.934:
	s_or_b64 exec, exec, s[8:9]
	s_waitcnt lgkmcnt(0)
	s_barrier
	s_barrier
	s_and_saveexec_b64 s[8:9], vcc
	s_cbranch_execz .LBB10_936
; %bb.935:
	v_mov_b32_e32 v22, 0
	ds_read_b64 v[20:21], v22 offset:14040
	ds_read_b32 v23, v22 offset:14300
	s_waitcnt lgkmcnt(0)
	v_mul_f32_e32 v20, v20, v23
	v_mul_f32_e32 v20, v21, v20
	ds_write_b32 v22, v20 offset:14044
.LBB10_936:
	s_or_b64 exec, exec, s[8:9]
	v_mov_b32_e32 v20, 0
	s_waitcnt lgkmcnt(0)
	s_barrier
	s_and_saveexec_b64 s[10:11], s[14:15]
	s_cbranch_execz .LBB10_946
; %bb.937:
	v_mul_u32_u24_e32 v21, 0x104, v19
	ds_read_b32 v20, v15 offset:12512
	ds_read_b32 v22, v21 offset:12480
	v_cmp_gt_u32_e64 s[8:9], 56, v4
	s_waitcnt lgkmcnt(0)
	v_fma_f32 v20, v20, v22, 0
	s_and_saveexec_b64 s[12:13], s[8:9]
	s_cbranch_execnz .LBB10_1186
; %bb.938:
	s_or_b64 exec, exec, s[12:13]
	v_cmp_gt_u32_e64 s[8:9], 48, v4
	s_and_saveexec_b64 s[12:13], s[8:9]
	s_cbranch_execnz .LBB10_1187
.LBB10_939:
	s_or_b64 exec, exec, s[12:13]
	v_cmp_gt_u32_e64 s[8:9], 40, v4
	s_and_saveexec_b64 s[12:13], s[8:9]
	s_cbranch_execnz .LBB10_1188
.LBB10_940:
	s_or_b64 exec, exec, s[12:13]
	v_cmp_gt_u32_e64 s[8:9], 32, v4
	s_and_saveexec_b64 s[12:13], s[8:9]
	s_cbranch_execnz .LBB10_1189
.LBB10_941:
	s_or_b64 exec, exec, s[12:13]
	v_cmp_gt_u32_e64 s[8:9], 24, v4
	s_and_saveexec_b64 s[12:13], s[8:9]
	s_cbranch_execnz .LBB10_1190
.LBB10_942:
	s_or_b64 exec, exec, s[12:13]
	v_cmp_gt_u32_e64 s[8:9], 16, v4
	s_and_saveexec_b64 s[12:13], s[8:9]
	s_cbranch_execnz .LBB10_1191
.LBB10_943:
	s_or_b64 exec, exec, s[12:13]
	v_cmp_gt_u32_e64 s[8:9], 8, v4
	s_and_saveexec_b64 s[12:13], s[8:9]
	s_cbranch_execz .LBB10_945
.LBB10_944:
	v_lshlrev_b32_e32 v18, 2, v0
	v_mov_b32_e32 v19, 0
	ds_read_b32 v18, v18 offset:14304
	ds_read_b32 v19, v19 offset:12508
	s_waitcnt lgkmcnt(0)
	v_fmac_f32_e32 v20, v18, v19
.LBB10_945:
	s_or_b64 exec, exec, s[12:13]
	v_xor_b32_e32 v20, 0x80000000, v20
.LBB10_946:
	s_or_b64 exec, exec, s[10:11]
	s_and_saveexec_b64 s[8:9], s[50:51]
	s_cbranch_execz .LBB10_948
; %bb.947:
	v_mov_b32_e32 v18, 0
	ds_read_b32 v18, v18 offset:14560
	s_waitcnt lgkmcnt(0)
	v_mul_f32_e32 v20, v20, v18
	ds_write_b32 v17, v20
.LBB10_948:
	s_or_b64 exec, exec, s[8:9]
	s_waitcnt lgkmcnt(0)
	s_barrier
	s_and_saveexec_b64 s[8:9], s[52:53]
	v_readlane_b32 s50, v33, 1
	s_cbranch_execz .LBB10_950
; %bb.949:
	ds_read_b32 v18, v16 offset:14560
	ds_read_b32 v19, v17
	s_waitcnt lgkmcnt(0)
	v_fmac_f32_e32 v20, v18, v19
.LBB10_950:
	s_or_b64 exec, exec, s[8:9]
	s_barrier
	s_and_saveexec_b64 s[8:9], s[54:55]
	s_cbranch_execz .LBB10_952
; %bb.951:
	v_mov_b32_e32 v18, 0
	ds_read_b32 v18, v18 offset:14820
	s_waitcnt lgkmcnt(0)
	v_mul_f32_e32 v20, v20, v18
	ds_write_b32 v17, v20
.LBB10_952:
	s_or_b64 exec, exec, s[8:9]
	s_waitcnt lgkmcnt(0)
	s_barrier
	s_and_saveexec_b64 s[8:9], s[56:57]
	s_cbranch_execz .LBB10_954
; %bb.953:
	ds_read_b32 v18, v16 offset:14816
	ds_read_b32 v19, v17
	s_waitcnt lgkmcnt(0)
	v_fmac_f32_e32 v20, v18, v19
.LBB10_954:
	s_or_b64 exec, exec, s[8:9]
	s_barrier
	s_and_saveexec_b64 s[8:9], s[60:61]
	s_cbranch_execz .LBB10_956
; %bb.955:
	v_mov_b32_e32 v18, 0
	ds_read_b32 v18, v18 offset:15080
	s_waitcnt lgkmcnt(0)
	v_mul_f32_e32 v20, v20, v18
	ds_write_b32 v17, v20
.LBB10_956:
	s_or_b64 exec, exec, s[8:9]
	s_waitcnt lgkmcnt(0)
	s_barrier
	s_and_saveexec_b64 s[8:9], s[62:63]
	;; [unrolled: 22-line block ×6, first 2 shown]
	s_cbranch_execz .LBB10_974
; %bb.973:
	v_mov_b32_e32 v16, 0
	ds_read_b32 v16, v16 offset:16124
	ds_read_b32 v18, v17
	s_waitcnt lgkmcnt(0)
	v_fmac_f32_e32 v20, v16, v18
.LBB10_974:
	s_or_b64 exec, exec, s[8:9]
	s_barrier
	s_and_saveexec_b64 s[8:9], s[58:59]
	s_cbranch_execz .LBB10_976
; %bb.975:
	v_mov_b32_e32 v16, 0
	ds_read_b32 v16, v16 offset:16380
	s_waitcnt lgkmcnt(0)
	v_mul_f32_e32 v20, v20, v16
	ds_write_b32 v17, v20
.LBB10_976:
	s_or_b64 exec, exec, s[8:9]
	s_waitcnt lgkmcnt(0)
	s_barrier
	s_barrier
	s_and_saveexec_b64 s[8:9], s[14:15]
; %bb.977:
	v_xor_b32_e32 v16, 0x80000000, v20
	ds_write_b32 v15, v16 offset:12512
; %bb.978:
	s_or_b64 exec, exec, s[8:9]
	s_waitcnt lgkmcnt(0)
	s_barrier
	s_barrier
	s_and_saveexec_b64 s[8:9], vcc
	s_cbranch_execz .LBB10_980
; %bb.979:
	v_mov_b32_e32 v17, 0
	ds_read_b64 v[15:16], v17 offset:14560
	ds_read_b32 v18, v17 offset:14820
	s_waitcnt lgkmcnt(0)
	v_mul_f32_e32 v15, v15, v18
	v_mul_f32_e32 v15, v16, v15
	ds_write_b32 v17, v15 offset:14564
.LBB10_980:
	s_or_b64 exec, exec, s[8:9]
	v_mov_b32_e32 v15, 0
	s_waitcnt lgkmcnt(0)
	s_barrier
	s_and_saveexec_b64 s[10:11], s[0:1]
	s_cbranch_execz .LBB10_984
; %bb.981:
	v_mul_u32_u24_e32 v15, 0x104, v5
	ds_read_b32 v17, v1 offset:14568
	ds_read_b32 v15, v15 offset:14560
	v_mov_b32_e32 v16, 0
	v_cmp_gt_u32_e64 s[8:9], 2, v4
	s_waitcnt lgkmcnt(0)
	v_fma_f32 v15, v17, v15, 0
	s_and_saveexec_b64 s[12:13], s[8:9]
	s_cbranch_execz .LBB10_983
; %bb.982:
	v_lshlrev_b32_e32 v17, 2, v0
	ds_read_b32 v17, v17 offset:14824
	ds_read_b32 v16, v16 offset:14564
	s_waitcnt lgkmcnt(0)
	v_fmac_f32_e32 v15, v17, v16
.LBB10_983:
	s_or_b64 exec, exec, s[12:13]
	v_xor_b32_e32 v15, 0x80000000, v15
.LBB10_984:
	s_or_b64 exec, exec, s[10:11]
	s_and_saveexec_b64 s[8:9], s[36:37]
	s_cbranch_execz .LBB10_986
; %bb.985:
	v_mov_b32_e32 v16, 0
	ds_read_b32 v16, v16 offset:15080
	s_waitcnt lgkmcnt(0)
	v_mul_f32_e32 v15, v15, v16
	ds_write_b32 v3, v15
.LBB10_986:
	s_or_b64 exec, exec, s[8:9]
	s_waitcnt lgkmcnt(0)
	s_barrier
	s_and_saveexec_b64 s[8:9], s[24:25]
	s_cbranch_execz .LBB10_988
; %bb.987:
	v_mov_b32_e32 v16, 0
	ds_read_b32 v16, v16 offset:15084
	ds_read_b32 v17, v3
	s_waitcnt lgkmcnt(0)
	v_fmac_f32_e32 v15, v16, v17
.LBB10_988:
	s_or_b64 exec, exec, s[8:9]
	s_barrier
	s_and_saveexec_b64 s[8:9], s[24:25]
	s_cbranch_execz .LBB10_990
; %bb.989:
	v_mov_b32_e32 v16, 0
	ds_read_b32 v16, v16 offset:15340
	s_waitcnt lgkmcnt(0)
	v_mul_f32_e32 v15, v15, v16
	ds_write_b32 v3, v15
.LBB10_990:
	s_or_b64 exec, exec, s[8:9]
	s_waitcnt lgkmcnt(0)
	s_barrier
	s_barrier
	s_and_saveexec_b64 s[8:9], s[0:1]
; %bb.991:
	v_xor_b32_e32 v15, 0x80000000, v15
	ds_write_b32 v1, v15 offset:14568
; %bb.992:
	s_or_b64 exec, exec, s[8:9]
	s_waitcnt lgkmcnt(0)
	s_barrier
	s_barrier
	s_and_saveexec_b64 s[8:9], vcc
	s_cbranch_execz .LBB10_994
; %bb.993:
	v_mov_b32_e32 v17, 0
	ds_read_b64 v[15:16], v17 offset:15080
	ds_read_b32 v18, v17 offset:15340
	s_waitcnt lgkmcnt(0)
	v_mul_f32_e32 v15, v15, v18
	v_mul_f32_e32 v15, v16, v15
	ds_write_b32 v17, v15 offset:15084
.LBB10_994:
	s_or_b64 exec, exec, s[8:9]
	v_mov_b32_e32 v15, 0
	s_waitcnt lgkmcnt(0)
	s_barrier
	s_and_saveexec_b64 s[10:11], s[2:3]
	s_cbranch_execz .LBB10_1000
; %bb.995:
	v_mul_u32_u24_e32 v16, 0x104, v14
	ds_read_b32 v15, v6 offset:14576
	ds_read_b32 v17, v16 offset:14560
	v_cmp_gt_u32_e64 s[8:9], 12, v4
	s_waitcnt lgkmcnt(0)
	v_fma_f32 v15, v15, v17, 0
	s_and_saveexec_b64 s[12:13], s[8:9]
	s_cbranch_execnz .LBB10_1192
; %bb.996:
	s_or_b64 exec, exec, s[12:13]
	v_cmp_gt_u32_e64 s[8:9], 8, v4
	s_and_saveexec_b64 s[12:13], s[8:9]
	s_cbranch_execnz .LBB10_1193
.LBB10_997:
	s_or_b64 exec, exec, s[12:13]
	v_cmp_gt_u32_e64 s[8:9], 4, v4
	s_and_saveexec_b64 s[12:13], s[8:9]
	s_cbranch_execz .LBB10_999
.LBB10_998:
	v_lshlrev_b32_e32 v13, 2, v0
	v_mov_b32_e32 v14, 0
	ds_read_b32 v13, v13 offset:15344
	ds_read_b32 v14, v14 offset:14572
	s_waitcnt lgkmcnt(0)
	v_fmac_f32_e32 v15, v13, v14
.LBB10_999:
	s_or_b64 exec, exec, s[12:13]
	v_xor_b32_e32 v15, 0x80000000, v15
.LBB10_1000:
	s_or_b64 exec, exec, s[10:11]
	s_and_saveexec_b64 s[8:9], s[40:41]
	s_cbranch_execz .LBB10_1002
; %bb.1001:
	v_mov_b32_e32 v13, 0
	ds_read_b32 v13, v13 offset:15600
	s_waitcnt lgkmcnt(0)
	v_mul_f32_e32 v15, v15, v13
	ds_write_b32 v12, v15
.LBB10_1002:
	s_or_b64 exec, exec, s[8:9]
	s_waitcnt lgkmcnt(0)
	s_barrier
	s_and_saveexec_b64 s[8:9], s[42:43]
	v_readlane_b32 s40, v33, 0
	s_cbranch_execz .LBB10_1004
; %bb.1003:
	ds_read_b32 v13, v11 offset:15600
	ds_read_b32 v14, v12
	s_waitcnt lgkmcnt(0)
	v_fmac_f32_e32 v15, v13, v14
.LBB10_1004:
	s_or_b64 exec, exec, s[8:9]
	s_barrier
	s_and_saveexec_b64 s[8:9], s[44:45]
	s_cbranch_execz .LBB10_1006
; %bb.1005:
	v_mov_b32_e32 v13, 0
	ds_read_b32 v13, v13 offset:15860
	s_waitcnt lgkmcnt(0)
	v_mul_f32_e32 v15, v15, v13
	ds_write_b32 v12, v15
.LBB10_1006:
	s_or_b64 exec, exec, s[8:9]
	s_waitcnt lgkmcnt(0)
	s_barrier
	s_and_saveexec_b64 s[8:9], s[46:47]
	s_cbranch_execz .LBB10_1008
; %bb.1007:
	ds_read_b32 v11, v11 offset:15856
	ds_read_b32 v13, v12
	s_waitcnt lgkmcnt(0)
	v_fmac_f32_e32 v15, v11, v13
.LBB10_1008:
	s_or_b64 exec, exec, s[8:9]
	s_barrier
	s_and_saveexec_b64 s[8:9], s[48:49]
	s_cbranch_execz .LBB10_1010
; %bb.1009:
	v_mov_b32_e32 v11, 0
	ds_read_b32 v11, v11 offset:16120
	s_waitcnt lgkmcnt(0)
	v_mul_f32_e32 v15, v15, v11
	ds_write_b32 v12, v15
.LBB10_1010:
	s_or_b64 exec, exec, s[8:9]
	s_waitcnt lgkmcnt(0)
	s_barrier
	s_and_saveexec_b64 s[8:9], s[38:39]
	s_cbranch_execz .LBB10_1012
; %bb.1011:
	v_mov_b32_e32 v11, 0
	ds_read_b32 v11, v11 offset:16124
	ds_read_b32 v13, v12
	s_waitcnt lgkmcnt(0)
	v_fmac_f32_e32 v15, v11, v13
.LBB10_1012:
	s_or_b64 exec, exec, s[8:9]
	s_barrier
	s_and_saveexec_b64 s[8:9], s[38:39]
	s_cbranch_execz .LBB10_1014
; %bb.1013:
	v_mov_b32_e32 v11, 0
	ds_read_b32 v11, v11 offset:16380
	s_waitcnt lgkmcnt(0)
	v_mul_f32_e32 v15, v15, v11
	ds_write_b32 v12, v15
.LBB10_1014:
	s_or_b64 exec, exec, s[8:9]
	s_waitcnt lgkmcnt(0)
	s_barrier
	s_barrier
	s_and_saveexec_b64 s[8:9], s[2:3]
; %bb.1015:
	v_xor_b32_e32 v11, 0x80000000, v15
	ds_write_b32 v6, v11 offset:14576
; %bb.1016:
	s_or_b64 exec, exec, s[8:9]
	s_waitcnt lgkmcnt(0)
	s_barrier
	s_barrier
	s_and_saveexec_b64 s[2:3], vcc
	s_cbranch_execz .LBB10_1018
; %bb.1017:
	v_mov_b32_e32 v6, 0
	ds_read_b64 v[11:12], v6 offset:15600
	ds_read_b32 v13, v6 offset:15860
	s_waitcnt lgkmcnt(0)
	v_mul_f32_e32 v11, v11, v13
	v_mul_f32_e32 v11, v12, v11
	ds_write_b32 v6, v11 offset:15604
.LBB10_1018:
	s_or_b64 exec, exec, s[2:3]
	v_mov_b32_e32 v6, 0
	s_waitcnt lgkmcnt(0)
	s_barrier
	s_and_saveexec_b64 s[8:9], s[0:1]
	s_cbranch_execz .LBB10_1022
; %bb.1019:
	v_mul_u32_u24_e32 v5, 0x104, v5
	ds_read_b32 v11, v1 offset:15608
	ds_read_b32 v5, v5 offset:15600
	v_mov_b32_e32 v6, 0
	v_cmp_gt_u32_e64 s[2:3], 2, v4
	s_waitcnt lgkmcnt(0)
	v_fma_f32 v5, v11, v5, 0
	s_and_saveexec_b64 s[10:11], s[2:3]
	s_cbranch_execz .LBB10_1021
; %bb.1020:
	v_lshlrev_b32_e32 v4, 2, v0
	ds_read_b32 v4, v4 offset:15864
	ds_read_b32 v6, v6 offset:15604
	s_waitcnt lgkmcnt(0)
	v_fmac_f32_e32 v5, v4, v6
.LBB10_1021:
	s_or_b64 exec, exec, s[10:11]
	v_xor_b32_e32 v6, 0x80000000, v5
.LBB10_1022:
	s_or_b64 exec, exec, s[8:9]
	s_and_saveexec_b64 s[2:3], s[36:37]
	s_cbranch_execz .LBB10_1024
; %bb.1023:
	v_mov_b32_e32 v4, 0
	ds_read_b32 v4, v4 offset:16120
	s_waitcnt lgkmcnt(0)
	v_mul_f32_e32 v6, v6, v4
	ds_write_b32 v3, v6
.LBB10_1024:
	s_or_b64 exec, exec, s[2:3]
	s_waitcnt lgkmcnt(0)
	s_barrier
	s_and_saveexec_b64 s[2:3], s[24:25]
	s_cbranch_execz .LBB10_1026
; %bb.1025:
	v_mov_b32_e32 v4, 0
	ds_read_b32 v4, v4 offset:16124
	ds_read_b32 v5, v3
	s_waitcnt lgkmcnt(0)
	v_fmac_f32_e32 v6, v4, v5
.LBB10_1026:
	s_or_b64 exec, exec, s[2:3]
	s_barrier
	s_and_saveexec_b64 s[2:3], s[24:25]
	s_cbranch_execz .LBB10_1028
; %bb.1027:
	v_mov_b32_e32 v4, 0
	ds_read_b32 v4, v4 offset:16380
	s_waitcnt lgkmcnt(0)
	v_mul_f32_e32 v6, v6, v4
	ds_write_b32 v3, v6
.LBB10_1028:
	s_or_b64 exec, exec, s[2:3]
	s_waitcnt lgkmcnt(0)
	s_barrier
	s_barrier
	s_and_saveexec_b64 s[2:3], s[0:1]
; %bb.1029:
	v_xor_b32_e32 v3, 0x80000000, v6
	ds_write_b32 v1, v3 offset:15608
; %bb.1030:
	s_or_b64 exec, exec, s[2:3]
	s_waitcnt lgkmcnt(0)
	s_barrier
	s_barrier
	s_and_saveexec_b64 s[0:1], vcc
	s_cbranch_execz .LBB10_1032
; %bb.1031:
	v_mov_b32_e32 v1, 0
	ds_read_b64 v[3:4], v1 offset:16120
	ds_read_b32 v5, v1 offset:16380
	s_waitcnt lgkmcnt(0)
	v_mul_f32_e32 v3, v3, v5
	v_mul_f32_e32 v3, v4, v3
	ds_write_b32 v1, v3 offset:16124
.LBB10_1032:
	s_or_b64 exec, exec, s[0:1]
.LBB10_1033:
	s_load_dwordx4 s[12:15], s[4:5], 0x48
	v_cmp_le_i32_e32 vcc, s90, v0
	v_mov_b32_e32 v12, 0
	v_add_u32_e32 v3, s33, v0
	s_waitcnt lgkmcnt(0)
	s_mul_i32 s1, s13, s34
	s_mul_hi_u32 s2, s12, s34
	s_mul_i32 s0, s12, s34
	s_add_i32 s1, s2, s1
	s_lshl_b64 s[0:1], s[0:1], 2
	s_add_u32 s2, s26, s0
	s_addc_u32 s3, s27, s1
	s_lshl_b64 s[0:1], s[28:29], 2
	s_add_u32 s36, s2, s0
	s_addc_u32 s37, s3, s1
	s_and_b64 s[12:13], vcc, s[18:19]
	v_cmp_eq_u32_e64 s[0:1], 0, v2
	s_xor_b64 s[2:3], s[12:13], -1
	s_and_b64 s[4:5], s[0:1], s[2:3]
	s_barrier
	s_and_saveexec_b64 s[2:3], s[4:5]
	s_cbranch_execz .LBB10_1035
; %bb.1034:
	v_ashrrev_i32_e32 v1, 31, v3
	v_mul_lo_u32 v6, s31, v3
	v_mad_u64_u32 v[4:5], s[4:5], s30, v3, 0
	v_mul_lo_u32 v1, s30, v1
	v_add3_u32 v5, v5, v1, v6
	v_lshlrev_b64 v[4:5], 2, v[4:5]
	v_mov_b32_e32 v1, s37
	v_add_co_u32_e32 v4, vcc, s36, v4
	v_addc_co_u32_e32 v5, vcc, v1, v5, vcc
	global_load_dword v1, v[4:5], off
	s_waitcnt vmcnt(0)
	v_mul_f32_e64 v12, v1, -s40
.LBB10_1035:
	s_or_b64 exec, exec, s[2:3]
	s_and_b32 s2, 0xffff, s93
	v_mad_u32_u24 v11, v2, s2, v0
	s_cmp_lt_i32 s6, 1
	v_cmp_eq_u32_e64 s[2:3], 0, v11
	s_cbranch_scc1 .LBB10_1061
; %bb.1036:
	v_mov_b32_e32 v4, 0
	v_mov_b32_e32 v5, 0x5000
	v_lshl_add_u32 v1, v11, 2, v5
	v_lshl_or_b32 v13, v2, 2, v5
	v_lshlrev_b64 v[5:6], 2, v[3:4]
	s_lshl_b64 s[4:5], s[34:35], 2
	s_add_u32 s16, s14, s4
	v_cmp_gt_i32_e64 s[10:11], s7, v3
	v_mov_b32_e32 v14, s92
	v_add_co_u32_e32 v3, vcc, s91, v5
	s_mul_i32 s8, s21, 0xc0
	s_mul_hi_u32 s9, s20, 0xc0
	s_mov_b32 s38, 0
	s_addc_u32 s17, s15, s5
	v_cmp_gt_u32_e64 s[4:5], 64, v11
	s_add_i32 s39, s6, -1
	v_addc_co_u32_e32 v14, vcc, v14, v6, vcc
	s_lshl_b64 s[24:25], s[20:21], 6
	s_lshl_b64 s[26:27], s[20:21], 7
	s_add_i32 s40, s9, s8
	s_mul_i32 s41, s20, 0xc0
	v_mov_b32_e32 v15, -1
	s_branch .LBB10_1039
.LBB10_1037:                            ;   in Loop: Header=BB10_1039 Depth=1
	ds_read_b32 v5, v13 offset:192
	s_waitcnt vmcnt(0) lgkmcnt(0)
	v_fmac_f32_e32 v12, v16, v5
.LBB10_1038:                            ;   in Loop: Header=BB10_1039 Depth=1
	s_or_b64 exec, exec, s[28:29]
	s_add_i32 s38, s38, 1
	s_cmp_eq_u32 s38, s6
	s_cbranch_scc1 .LBB10_1061
.LBB10_1039:                            ; =>This Loop Header: Depth=1
                                        ;     Child Loop BB10_1041 Depth 2
	v_cmp_gt_i32_e32 vcc, s38, v15
	s_and_b64 s[28:29], s[2:3], vcc
	s_and_saveexec_b64 s[8:9], s[28:29]
	s_cbranch_execz .LBB10_1042
; %bb.1040:                             ;   in Loop: Header=BB10_1039 Depth=1
	global_load_dword v15, v4, s[16:17]
	s_waitcnt vmcnt(0)
	v_cmp_le_i32_e32 vcc, s38, v15
	s_cbranch_vccnz .LBB10_1042
.LBB10_1041:                            ;   Parent Loop BB10_1039 Depth=1
                                        ; =>  This Inner Loop Header: Depth=2
	buffer_wbinvl1_vol
	global_load_dword v15, v4, s[16:17]
	s_waitcnt vmcnt(0)
	v_cmp_gt_i32_e32 vcc, s38, v15
	s_cbranch_vccnz .LBB10_1041
.LBB10_1042:                            ;   in Loop: Header=BB10_1039 Depth=1
	s_or_b64 exec, exec, s[8:9]
	s_lshl_b32 s42, s38, 6
	buffer_wbinvl1_vol
	s_barrier
	s_and_saveexec_b64 s[8:9], s[4:5]
	s_cbranch_execz .LBB10_1046
; %bb.1043:                             ;   in Loop: Header=BB10_1039 Depth=1
	v_or_b32_e32 v6, s42, v11
	v_cmp_gt_i32_e32 vcc, s7, v6
	v_mov_b32_e32 v5, 0
	s_and_saveexec_b64 s[28:29], vcc
	s_cbranch_execz .LBB10_1045
; %bb.1044:                             ;   in Loop: Header=BB10_1039 Depth=1
	v_mad_u64_u32 v[16:17], s[44:45], s30, v6, 0
	v_mov_b32_e32 v18, s37
	v_mov_b32_e32 v5, v17
	v_mad_u64_u32 v[5:6], s[44:45], s31, v6, v[5:6]
	v_mov_b32_e32 v17, v5
	v_lshlrev_b64 v[5:6], 2, v[16:17]
	v_add_co_u32_e32 v5, vcc, s36, v5
	v_addc_co_u32_e32 v6, vcc, v18, v6, vcc
	global_load_dword v5, v[5:6], off
.LBB10_1045:                            ;   in Loop: Header=BB10_1039 Depth=1
	s_or_b64 exec, exec, s[28:29]
	s_waitcnt vmcnt(0)
	ds_write_b32 v1, v5
.LBB10_1046:                            ;   in Loop: Header=BB10_1039 Depth=1
	s_or_b64 exec, exec, s[8:9]
	v_add_u32_e32 v16, s42, v2
	v_mad_u64_u32 v[5:6], s[8:9], s20, v16, 0
	s_cmp_lg_u32 s38, s39
	s_waitcnt lgkmcnt(0)
	v_mad_u64_u32 v[17:18], s[8:9], s21, v16, v[6:7]
	s_cselect_b64 s[8:9], -1, 0
	s_barrier
	v_mov_b32_e32 v6, v17
	v_lshlrev_b64 v[5:6], 2, v[5:6]
	v_cndmask_b32_e64 v17, 0, 1, s[8:9]
	v_add_co_u32_e32 v5, vcc, v3, v5
	v_addc_co_u32_e32 v6, vcc, v14, v6, vcc
	v_cmp_gt_i32_e32 vcc, s7, v16
	s_and_b64 s[42:43], s[10:11], vcc
	v_cmp_ne_u32_e64 s[8:9], 1, v17
	s_and_saveexec_b64 s[28:29], s[42:43]
	s_cbranch_execz .LBB10_1050
; %bb.1047:                             ;   in Loop: Header=BB10_1039 Depth=1
	s_and_b64 vcc, exec, s[8:9]
	v_mov_b32_e32 v17, v7
	s_cbranch_vccnz .LBB10_1049
; %bb.1048:                             ;   in Loop: Header=BB10_1039 Depth=1
	global_load_dword v17, v[5:6], off
.LBB10_1049:                            ;   in Loop: Header=BB10_1039 Depth=1
	ds_read_b32 v18, v13
	s_waitcnt vmcnt(0) lgkmcnt(0)
	v_fmac_f32_e32 v12, v17, v18
.LBB10_1050:                            ;   in Loop: Header=BB10_1039 Depth=1
	s_or_b64 exec, exec, s[28:29]
	v_add_u32_e32 v17, 16, v16
	v_cmp_gt_i32_e32 vcc, s7, v17
	s_and_b64 s[42:43], s[10:11], vcc
	s_and_saveexec_b64 s[28:29], s[42:43]
	s_cbranch_execz .LBB10_1054
; %bb.1051:                             ;   in Loop: Header=BB10_1039 Depth=1
	s_and_b64 vcc, exec, s[8:9]
	v_mov_b32_e32 v17, v8
	s_cbranch_vccnz .LBB10_1053
; %bb.1052:                             ;   in Loop: Header=BB10_1039 Depth=1
	v_mov_b32_e32 v18, s25
	v_add_co_u32_e32 v17, vcc, s24, v5
	v_addc_co_u32_e32 v18, vcc, v6, v18, vcc
	global_load_dword v17, v[17:18], off
.LBB10_1053:                            ;   in Loop: Header=BB10_1039 Depth=1
	ds_read_b32 v18, v13 offset:64
	s_waitcnt vmcnt(0) lgkmcnt(0)
	v_fmac_f32_e32 v12, v17, v18
.LBB10_1054:                            ;   in Loop: Header=BB10_1039 Depth=1
	s_or_b64 exec, exec, s[28:29]
	v_add_u32_e32 v17, 32, v16
	v_cmp_gt_i32_e32 vcc, s7, v17
	s_and_b64 s[42:43], s[10:11], vcc
	s_and_saveexec_b64 s[28:29], s[42:43]
	s_cbranch_execz .LBB10_1058
; %bb.1055:                             ;   in Loop: Header=BB10_1039 Depth=1
	s_and_b64 vcc, exec, s[8:9]
	v_mov_b32_e32 v17, v10
	s_cbranch_vccnz .LBB10_1057
; %bb.1056:                             ;   in Loop: Header=BB10_1039 Depth=1
	v_mov_b32_e32 v18, s27
	v_add_co_u32_e32 v17, vcc, s26, v5
	v_addc_co_u32_e32 v18, vcc, v6, v18, vcc
	global_load_dword v17, v[17:18], off
.LBB10_1057:                            ;   in Loop: Header=BB10_1039 Depth=1
	ds_read_b32 v18, v13 offset:128
	s_waitcnt vmcnt(0) lgkmcnt(0)
	v_fmac_f32_e32 v12, v17, v18
.LBB10_1058:                            ;   in Loop: Header=BB10_1039 Depth=1
	s_or_b64 exec, exec, s[28:29]
	v_add_u32_e32 v16, 48, v16
	v_cmp_gt_i32_e32 vcc, s7, v16
	s_and_b64 s[42:43], s[10:11], vcc
	s_and_saveexec_b64 s[28:29], s[42:43]
	s_cbranch_execz .LBB10_1038
; %bb.1059:                             ;   in Loop: Header=BB10_1039 Depth=1
	s_and_b64 vcc, exec, s[8:9]
	v_mov_b32_e32 v16, v9
	s_cbranch_vccnz .LBB10_1037
; %bb.1060:                             ;   in Loop: Header=BB10_1039 Depth=1
	v_mov_b32_e32 v16, s40
	v_add_co_u32_e32 v5, vcc, s41, v5
	v_addc_co_u32_e32 v6, vcc, v6, v16, vcc
	global_load_dword v16, v[5:6], off
	s_branch .LBB10_1037
.LBB10_1061:
	v_lshl_add_u32 v1, v2, 6, v0
	s_xor_b64 s[2:3], s[18:19], -1
	s_xor_b64 s[4:5], s[22:23], -1
	v_lshlrev_b32_e32 v1, 2, v1
	ds_write_b32 v1, v12 offset:16384
	s_waitcnt lgkmcnt(0)
	s_barrier
	s_and_saveexec_b64 s[6:7], s[0:1]
	s_cbranch_execz .LBB10_1063
; %bb.1062:
	v_lshlrev_b32_e32 v15, 2, v0
	ds_read2st64_b32 v[3:4], v15 offset0:65 offset1:66
	ds_read2st64_b32 v[5:6], v15 offset0:67 offset1:68
	;; [unrolled: 1-line block ×5, first 2 shown]
	s_waitcnt lgkmcnt(4)
	v_add_f32_e32 v3, v12, v3
	v_add_f32_e32 v3, v3, v4
	s_waitcnt lgkmcnt(3)
	v_add_f32_e32 v3, v3, v5
	v_add_f32_e32 v3, v3, v6
	;; [unrolled: 3-line block ×4, first 2 shown]
	ds_read2st64_b32 v[3:4], v15 offset0:75 offset1:76
	ds_read2st64_b32 v[5:6], v15 offset0:77 offset1:78
	ds_read_b32 v8, v15 offset:20224
	s_waitcnt lgkmcnt(3)
	v_add_f32_e32 v7, v7, v13
	v_add_f32_e32 v7, v7, v14
	s_waitcnt lgkmcnt(2)
	v_add_f32_e32 v3, v7, v3
	v_add_f32_e32 v3, v3, v4
	;; [unrolled: 3-line block ×3, first 2 shown]
	s_waitcnt lgkmcnt(0)
	v_add_f32_e32 v3, v3, v8
	v_cndmask_b32_e64 v12, -v3, 0, s[12:13]
.LBB10_1063:
	s_or_b64 exec, exec, s[6:7]
	s_andn2_b64 vcc, exec, s[4:5]
	s_cbranch_vccnz .LBB10_1076
; %bb.1064:
	v_mov_b32_e32 v3, 0x5000
	v_lshl_or_b32 v4, v2, 2, v3
	s_and_saveexec_b64 s[4:5], s[0:1]
; %bb.1065:
	v_lshl_add_u32 v3, v0, 2, v4
	ds_write_b32 v3, v12
; %bb.1066:
	s_or_b64 exec, exec, s[4:5]
	v_cmp_ge_u32_e32 vcc, v0, v2
	v_mov_b32_e32 v3, 0
	s_waitcnt lgkmcnt(0)
	s_barrier
	s_and_saveexec_b64 s[4:5], vcc
	s_cbranch_execz .LBB10_1068
; %bb.1067:
	ds_read_b32 v3, v1
	ds_read_b32 v5, v4
	s_waitcnt lgkmcnt(0)
	v_fma_f32 v3, v3, v5, 0
.LBB10_1068:
	s_or_b64 exec, exec, s[4:5]
	v_add_u32_e32 v5, 16, v2
	v_cmp_ge_u32_e32 vcc, v0, v5
	s_and_saveexec_b64 s[4:5], vcc
	s_cbranch_execz .LBB10_1070
; %bb.1069:
	ds_read_b32 v5, v1 offset:4096
	ds_read_b32 v6, v4 offset:64
	s_waitcnt lgkmcnt(0)
	v_fmac_f32_e32 v3, v5, v6
.LBB10_1070:
	s_or_b64 exec, exec, s[4:5]
	v_add_u32_e32 v5, 32, v2
	v_cmp_ge_u32_e32 vcc, v0, v5
	s_and_saveexec_b64 s[4:5], vcc
	s_cbranch_execz .LBB10_1072
; %bb.1071:
	ds_read_b32 v5, v1 offset:8192
	ds_read_b32 v6, v4 offset:128
	s_waitcnt lgkmcnt(0)
	v_fmac_f32_e32 v3, v5, v6
.LBB10_1072:
	s_or_b64 exec, exec, s[4:5]
	v_add_u32_e32 v2, 48, v2
	v_add_u32_e32 v5, 0x4000, v1
	v_cmp_ge_u32_e32 vcc, v0, v2
	s_and_saveexec_b64 s[4:5], vcc
	s_cbranch_execz .LBB10_1074
; %bb.1073:
	ds_read_b32 v1, v1 offset:12288
	ds_read_b32 v2, v4 offset:192
	s_waitcnt lgkmcnt(0)
	v_fmac_f32_e32 v3, v1, v2
.LBB10_1074:
	s_or_b64 exec, exec, s[4:5]
	s_mov_b64 s[6:7], 0
	s_mov_b64 s[4:5], 0
	ds_write_b32 v5, v3
	s_waitcnt lgkmcnt(0)
	s_barrier
                                        ; implicit-def: $vgpr4
                                        ; implicit-def: $vgpr1_vgpr2
	s_and_saveexec_b64 s[8:9], s[0:1]
	s_cbranch_execz .LBB10_1133
; %bb.1075:
	v_lshlrev_b32_e32 v10, 2, v0
	ds_read2st64_b32 v[1:2], v10 offset0:65 offset1:66
	ds_read2st64_b32 v[4:5], v10 offset0:67 offset1:68
	;; [unrolled: 1-line block ×4, first 2 shown]
	s_mov_b64 s[4:5], exec
	s_waitcnt lgkmcnt(3)
	v_add_f32_e32 v1, v3, v1
	v_add_f32_e32 v1, v2, v1
	s_waitcnt lgkmcnt(2)
	v_add_f32_e32 v1, v4, v1
	v_add_f32_e32 v1, v5, v1
	ds_read2st64_b32 v[2:3], v10 offset0:73 offset1:74
	s_waitcnt lgkmcnt(2)
	v_add_f32_e32 v1, v6, v1
	v_add_f32_e32 v1, v7, v1
	s_waitcnt lgkmcnt(1)
	v_add_f32_e32 v1, v8, v1
	v_add_f32_e32 v1, v9, v1
	ds_read2st64_b32 v[4:5], v10 offset0:75 offset1:76
	ds_read2st64_b32 v[6:7], v10 offset0:77 offset1:78
	ds_read_b32 v8, v10 offset:20224
	v_add_u32_e32 v10, s33, v11
	s_waitcnt lgkmcnt(3)
	v_add_f32_e32 v9, v2, v1
	v_mad_u64_u32 v[1:2], s[10:11], s30, v10, 0
	v_add_f32_e32 v3, v3, v9
	s_waitcnt lgkmcnt(2)
	v_add_f32_e32 v3, v4, v3
	v_add_f32_e32 v4, v5, v3
	v_mad_u64_u32 v[2:3], s[10:11], s31, v10, v[2:3]
	s_waitcnt lgkmcnt(1)
	v_add_f32_e32 v3, v6, v4
	v_add_f32_e32 v3, v7, v3
	s_waitcnt lgkmcnt(0)
	v_add_f32_e32 v4, v8, v3
	s_or_b64 exec, exec, s[8:9]
	s_and_b64 vcc, exec, s[6:7]
	s_cbranch_vccnz .LBB10_1077
	s_branch .LBB10_1134
.LBB10_1076:
	s_mov_b64 s[4:5], 0
                                        ; implicit-def: $vgpr4
                                        ; implicit-def: $vgpr1_vgpr2
	s_cbranch_execz .LBB10_1134
.LBB10_1077:
	v_mul_u32_u24_e32 v1, 0x104, v0
	v_lshlrev_b32_e32 v2, 8, v0
	v_sub_u32_e32 v2, v1, v2
	s_mov_b32 s8, 0
	v_mov_b32_e32 v3, 0
	v_mov_b32_e32 v4, v0
	s_branch .LBB10_1079
.LBB10_1078:                            ;   in Loop: Header=BB10_1079 Depth=1
	s_or_b64 exec, exec, s[6:7]
	s_add_i32 s8, s8, 4
	v_add_u32_e32 v2, 0x400, v2
	s_cmp_lg_u32 s8, 64
	v_add_u32_e32 v4, -4, v4
	s_barrier
	s_cbranch_scc0 .LBB10_1095
.LBB10_1079:                            ; =>This Inner Loop Header: Depth=1
	v_cmp_eq_u32_e32 vcc, 0, v4
	s_and_b64 s[10:11], s[0:1], vcc
	s_and_saveexec_b64 s[6:7], s[10:11]
	s_cbranch_execz .LBB10_1081
; %bb.1080:                             ;   in Loop: Header=BB10_1079 Depth=1
	ds_read_b32 v5, v1
	s_waitcnt lgkmcnt(0)
	v_mul_f32_e32 v12, v12, v5
	ds_write_b32 v3, v12 offset:20736
.LBB10_1081:                            ;   in Loop: Header=BB10_1079 Depth=1
	s_or_b64 exec, exec, s[6:7]
	v_cmp_lt_u32_e32 vcc, s8, v0
	s_and_b64 s[10:11], s[0:1], vcc
	s_waitcnt lgkmcnt(0)
	s_barrier
	s_and_saveexec_b64 s[6:7], s[10:11]
	s_cbranch_execz .LBB10_1083
; %bb.1082:                             ;   in Loop: Header=BB10_1079 Depth=1
	ds_read_b32 v5, v2
	ds_read_b32 v6, v3 offset:20736
	s_waitcnt lgkmcnt(0)
	v_fmac_f32_e32 v12, v5, v6
.LBB10_1083:                            ;   in Loop: Header=BB10_1079 Depth=1
	s_or_b64 exec, exec, s[6:7]
	s_or_b32 s9, s8, 1
	v_cmp_eq_u32_e32 vcc, s9, v0
	s_and_b64 s[10:11], s[0:1], vcc
	s_barrier
	s_and_saveexec_b64 s[6:7], s[10:11]
	s_cbranch_execz .LBB10_1085
; %bb.1084:                             ;   in Loop: Header=BB10_1079 Depth=1
	ds_read_b32 v5, v1
	s_waitcnt lgkmcnt(0)
	v_mul_f32_e32 v12, v12, v5
	ds_write_b32 v3, v12 offset:20736
.LBB10_1085:                            ;   in Loop: Header=BB10_1079 Depth=1
	s_or_b64 exec, exec, s[6:7]
	v_cmp_lt_u32_e32 vcc, s9, v0
	s_and_b64 s[10:11], s[0:1], vcc
	s_waitcnt lgkmcnt(0)
	s_barrier
	s_and_saveexec_b64 s[6:7], s[10:11]
	s_cbranch_execz .LBB10_1087
; %bb.1086:                             ;   in Loop: Header=BB10_1079 Depth=1
	ds_read_b32 v5, v2 offset:256
	ds_read_b32 v6, v3 offset:20736
	s_waitcnt lgkmcnt(0)
	v_fmac_f32_e32 v12, v5, v6
.LBB10_1087:                            ;   in Loop: Header=BB10_1079 Depth=1
	s_or_b64 exec, exec, s[6:7]
	s_or_b32 s9, s8, 2
	v_cmp_eq_u32_e32 vcc, s9, v0
	s_and_b64 s[10:11], s[0:1], vcc
	s_barrier
	s_and_saveexec_b64 s[6:7], s[10:11]
	s_cbranch_execz .LBB10_1089
; %bb.1088:                             ;   in Loop: Header=BB10_1079 Depth=1
	ds_read_b32 v5, v1
	s_waitcnt lgkmcnt(0)
	v_mul_f32_e32 v12, v12, v5
	ds_write_b32 v3, v12 offset:20736
.LBB10_1089:                            ;   in Loop: Header=BB10_1079 Depth=1
	s_or_b64 exec, exec, s[6:7]
	v_cmp_lt_u32_e32 vcc, s9, v0
	s_and_b64 s[10:11], s[0:1], vcc
	s_waitcnt lgkmcnt(0)
	s_barrier
	s_and_saveexec_b64 s[6:7], s[10:11]
	s_cbranch_execz .LBB10_1091
; %bb.1090:                             ;   in Loop: Header=BB10_1079 Depth=1
	ds_read_b32 v5, v2 offset:512
	ds_read_b32 v6, v3 offset:20736
	s_waitcnt lgkmcnt(0)
	v_fmac_f32_e32 v12, v5, v6
.LBB10_1091:                            ;   in Loop: Header=BB10_1079 Depth=1
	s_or_b64 exec, exec, s[6:7]
	s_or_b32 s9, s8, 3
	v_cmp_eq_u32_e32 vcc, s9, v0
	s_and_b64 s[10:11], s[0:1], vcc
	s_barrier
	s_and_saveexec_b64 s[6:7], s[10:11]
	s_cbranch_execz .LBB10_1093
; %bb.1092:                             ;   in Loop: Header=BB10_1079 Depth=1
	ds_read_b32 v5, v1
	s_waitcnt lgkmcnt(0)
	v_mul_f32_e32 v12, v12, v5
	ds_write_b32 v3, v12 offset:20736
.LBB10_1093:                            ;   in Loop: Header=BB10_1079 Depth=1
	s_or_b64 exec, exec, s[6:7]
	v_cmp_lt_u32_e32 vcc, s9, v0
	s_and_b64 s[10:11], s[0:1], vcc
	s_waitcnt lgkmcnt(0)
	s_barrier
	s_and_saveexec_b64 s[6:7], s[10:11]
	s_cbranch_execz .LBB10_1078
; %bb.1094:                             ;   in Loop: Header=BB10_1079 Depth=1
	ds_read_b32 v5, v2 offset:768
	ds_read_b32 v6, v3 offset:20736
	s_waitcnt lgkmcnt(0)
	v_fmac_f32_e32 v12, v5, v6
	s_branch .LBB10_1078
.LBB10_1095:
	s_and_b64 vcc, exec, s[2:3]
	s_cbranch_vccz .LBB10_1135
; %bb.1096:
	s_and_b64 s[2:3], s[0:1], exec
	s_cbranch_execz .LBB10_1136
	s_branch .LBB10_1137
.LBB10_1097:
	v_cmp_ne_u32_e32 vcc, v0, v2
	s_and_saveexec_b64 s[8:9], vcc
	s_xor_b64 s[8:9], exec, s[8:9]
; %bb.1098:
	v_or_b32_e32 v1, v2, v0
	v_cmp_gt_u32_e32 vcc, 64, v1
	s_and_b64 s[2:3], vcc, exec
                                        ; implicit-def: $vgpr5_vgpr6
; %bb.1099:
	s_or_saveexec_b64 s[8:9], s[8:9]
	v_mov_b32_e32 v1, 0
	s_xor_b64 exec, exec, s[8:9]
	s_cbranch_execz .LBB10_1101
; %bb.1100:
	v_lshlrev_b64 v[5:6], 2, v[5:6]
	v_mov_b32_e32 v1, s92
	v_add_co_u32_e32 v5, vcc, s91, v5
	v_addc_co_u32_e32 v6, vcc, v1, v6, vcc
	global_load_dword v1, v[5:6], off
	s_or_b64 s[2:3], s[2:3], exec
	s_waitcnt vmcnt(0)
	v_div_scale_f32 v5, s[10:11], v1, v1, 1.0
	v_div_scale_f32 v6, vcc, 1.0, v1, 1.0
	v_rcp_f32_e32 v11, v5
	v_fma_f32 v12, -v5, v11, 1.0
	v_fmac_f32_e32 v11, v12, v11
	v_mul_f32_e32 v12, v6, v11
	v_fma_f32 v13, -v5, v12, v6
	v_fmac_f32_e32 v12, v13, v11
	v_fma_f32 v5, -v5, v12, v6
	v_div_fmas_f32 v5, v5, v11, v12
	v_div_fixup_f32 v1, v5, v1, 1.0
.LBB10_1101:
	s_or_b64 exec, exec, s[8:9]
	s_and_b64 s[2:3], s[2:3], exec
                                        ; implicit-def: $vgpr5_vgpr6
	s_andn2_saveexec_b64 s[0:1], s[0:1]
	s_cbranch_execz .LBB10_14
.LBB10_1102:
	v_lshlrev_b64 v[5:6], 2, v[5:6]
	v_mov_b32_e32 v1, s92
	v_add_co_u32_e32 v5, vcc, s91, v5
	v_addc_co_u32_e32 v6, vcc, v1, v6, vcc
	global_load_dword v1, v[5:6], off
	s_or_b64 s[2:3], s[2:3], exec
	s_waitcnt vmcnt(0)
	v_xor_b32_e32 v1, 0x80000000, v1
	s_or_b64 exec, exec, s[0:1]
	s_and_saveexec_b64 s[0:1], s[2:3]
	s_cbranch_execnz .LBB10_15
	s_branch .LBB10_16
.LBB10_1103:
	v_cmp_ne_u32_e32 vcc, v0, v1
	s_and_saveexec_b64 s[8:9], vcc
	s_xor_b64 s[8:9], exec, s[8:9]
; %bb.1104:
	v_or_b32_e32 v5, v1, v0
	v_cmp_gt_u32_e32 vcc, 64, v5
	s_and_b64 s[2:3], vcc, exec
                                        ; implicit-def: $vgpr5_vgpr6
; %bb.1105:
	s_or_saveexec_b64 s[8:9], s[8:9]
	v_mov_b32_e32 v11, 0
	s_xor_b64 exec, exec, s[8:9]
	s_cbranch_execz .LBB10_1107
; %bb.1106:
	v_lshlrev_b64 v[5:6], 2, v[5:6]
	v_mov_b32_e32 v11, s92
	v_add_co_u32_e32 v5, vcc, s91, v5
	v_addc_co_u32_e32 v6, vcc, v11, v6, vcc
	global_load_dword v5, v[5:6], off
	s_or_b64 s[2:3], s[2:3], exec
	s_waitcnt vmcnt(0)
	v_div_scale_f32 v6, s[10:11], v5, v5, 1.0
	v_div_scale_f32 v11, vcc, 1.0, v5, 1.0
	v_rcp_f32_e32 v12, v6
	v_fma_f32 v13, -v6, v12, 1.0
	v_fmac_f32_e32 v12, v13, v12
	v_mul_f32_e32 v13, v11, v12
	v_fma_f32 v14, -v6, v13, v11
	v_fmac_f32_e32 v13, v14, v12
	v_fma_f32 v6, -v6, v13, v11
	v_div_fmas_f32 v6, v6, v12, v13
	v_div_fixup_f32 v11, v6, v5, 1.0
.LBB10_1107:
	s_or_b64 exec, exec, s[8:9]
	s_and_b64 s[2:3], s[2:3], exec
                                        ; implicit-def: $vgpr5_vgpr6
	s_andn2_saveexec_b64 s[0:1], s[0:1]
	s_cbranch_execz .LBB10_18
.LBB10_1108:
	v_lshlrev_b64 v[5:6], 2, v[5:6]
	v_mov_b32_e32 v11, s92
	v_add_co_u32_e32 v5, vcc, s91, v5
	v_addc_co_u32_e32 v6, vcc, v11, v6, vcc
	global_load_dword v5, v[5:6], off
	s_or_b64 s[2:3], s[2:3], exec
	s_waitcnt vmcnt(0)
	v_xor_b32_e32 v11, 0x80000000, v5
	s_or_b64 exec, exec, s[0:1]
	s_and_saveexec_b64 s[0:1], s[2:3]
	s_cbranch_execnz .LBB10_19
	s_branch .LBB10_20
.LBB10_1109:
	v_cmp_ne_u32_e32 vcc, v0, v1
	s_and_saveexec_b64 s[8:9], vcc
	s_xor_b64 s[8:9], exec, s[8:9]
; %bb.1110:
	v_or_b32_e32 v5, v1, v0
	v_cmp_gt_u32_e32 vcc, 64, v5
	s_and_b64 s[2:3], vcc, exec
                                        ; implicit-def: $vgpr5_vgpr6
; %bb.1111:
	s_or_saveexec_b64 s[8:9], s[8:9]
	v_mov_b32_e32 v11, 0
	s_xor_b64 exec, exec, s[8:9]
	s_cbranch_execz .LBB10_1113
; %bb.1112:
	v_lshlrev_b64 v[5:6], 2, v[5:6]
	v_mov_b32_e32 v11, s92
	v_add_co_u32_e32 v5, vcc, s91, v5
	v_addc_co_u32_e32 v6, vcc, v11, v6, vcc
	global_load_dword v5, v[5:6], off
	s_or_b64 s[2:3], s[2:3], exec
	s_waitcnt vmcnt(0)
	v_div_scale_f32 v6, s[10:11], v5, v5, 1.0
	v_div_scale_f32 v11, vcc, 1.0, v5, 1.0
	v_rcp_f32_e32 v12, v6
	v_fma_f32 v13, -v6, v12, 1.0
	v_fmac_f32_e32 v12, v13, v12
	v_mul_f32_e32 v13, v11, v12
	v_fma_f32 v14, -v6, v13, v11
	v_fmac_f32_e32 v13, v14, v12
	v_fma_f32 v6, -v6, v13, v11
	v_div_fmas_f32 v6, v6, v12, v13
	v_div_fixup_f32 v11, v6, v5, 1.0
.LBB10_1113:
	s_or_b64 exec, exec, s[8:9]
	s_and_b64 s[2:3], s[2:3], exec
                                        ; implicit-def: $vgpr5_vgpr6
	s_andn2_saveexec_b64 s[0:1], s[0:1]
	s_cbranch_execz .LBB10_22
.LBB10_1114:
	v_lshlrev_b64 v[5:6], 2, v[5:6]
	v_mov_b32_e32 v11, s92
	v_add_co_u32_e32 v5, vcc, s91, v5
	v_addc_co_u32_e32 v6, vcc, v11, v6, vcc
	global_load_dword v5, v[5:6], off
	s_or_b64 s[2:3], s[2:3], exec
	s_waitcnt vmcnt(0)
	v_xor_b32_e32 v11, 0x80000000, v5
	s_or_b64 exec, exec, s[0:1]
	s_and_saveexec_b64 s[0:1], s[2:3]
	s_cbranch_execnz .LBB10_23
	s_branch .LBB10_24
.LBB10_1115:
	v_cmp_ne_u32_e32 vcc, v0, v2
	s_xor_b64 s[10:11], s[0:1], -1
	s_or_b64 s[12:13], s[10:11], vcc
	s_mov_b64 s[10:11], 0
	s_and_saveexec_b64 s[14:15], s[12:13]
	s_xor_b64 s[12:13], exec, s[14:15]
; %bb.1116:
	v_or_b32_e32 v1, v2, v0
	v_cmp_gt_u32_e32 vcc, 64, v1
	s_and_b64 s[10:11], vcc, exec
                                        ; implicit-def: $vgpr5_vgpr6
; %bb.1117:
	s_or_saveexec_b64 s[12:13], s[12:13]
	v_mov_b32_e32 v1, 0
	s_xor_b64 exec, exec, s[12:13]
	s_cbranch_execz .LBB10_1119
; %bb.1118:
	v_lshlrev_b64 v[5:6], 2, v[5:6]
	v_mov_b32_e32 v1, s92
	v_add_co_u32_e32 v5, vcc, s91, v5
	v_addc_co_u32_e32 v6, vcc, v1, v6, vcc
	global_load_dword v1, v[5:6], off
	s_or_b64 s[10:11], s[10:11], exec
	s_waitcnt vmcnt(0)
	v_div_scale_f32 v5, s[14:15], v1, v1, 1.0
	v_div_scale_f32 v6, vcc, 1.0, v1, 1.0
	v_rcp_f32_e32 v11, v5
	v_fma_f32 v12, -v5, v11, 1.0
	v_fmac_f32_e32 v11, v12, v11
	v_mul_f32_e32 v12, v6, v11
	v_fma_f32 v13, -v5, v12, v6
	v_fmac_f32_e32 v12, v13, v11
	v_fma_f32 v5, -v5, v12, v6
	v_div_fmas_f32 v5, v5, v11, v12
	v_div_fixup_f32 v1, v5, v1, 1.0
.LBB10_1119:
	s_or_b64 exec, exec, s[12:13]
	s_and_b64 s[10:11], s[10:11], exec
                                        ; implicit-def: $vgpr5_vgpr6
	s_andn2_saveexec_b64 s[2:3], s[2:3]
	s_cbranch_execz .LBB10_36
.LBB10_1120:
	v_lshlrev_b64 v[5:6], 2, v[5:6]
	v_mov_b32_e32 v1, s92
	v_add_co_u32_e32 v5, vcc, s91, v5
	v_addc_co_u32_e32 v6, vcc, v1, v6, vcc
	global_load_dword v1, v[5:6], off
	s_or_b64 s[10:11], s[10:11], exec
	s_waitcnt vmcnt(0)
	v_xor_b32_e32 v1, 0x80000000, v1
	s_or_b64 exec, exec, s[2:3]
	s_and_saveexec_b64 s[2:3], s[10:11]
	s_cbranch_execnz .LBB10_37
	s_branch .LBB10_38
.LBB10_1121:
	v_cmp_ne_u32_e32 vcc, v0, v1
	s_xor_b64 s[10:11], s[0:1], -1
	s_or_b64 s[12:13], s[10:11], vcc
	s_mov_b64 s[10:11], 0
	s_and_saveexec_b64 s[14:15], s[12:13]
	s_xor_b64 s[12:13], exec, s[14:15]
; %bb.1122:
	v_or_b32_e32 v5, v1, v0
	v_cmp_gt_u32_e32 vcc, 64, v5
	s_and_b64 s[10:11], vcc, exec
                                        ; implicit-def: $vgpr5_vgpr6
; %bb.1123:
	s_or_saveexec_b64 s[12:13], s[12:13]
	v_mov_b32_e32 v11, 0
	s_xor_b64 exec, exec, s[12:13]
	s_cbranch_execz .LBB10_1125
; %bb.1124:
	v_lshlrev_b64 v[5:6], 2, v[5:6]
	v_mov_b32_e32 v11, s92
	v_add_co_u32_e32 v5, vcc, s91, v5
	v_addc_co_u32_e32 v6, vcc, v11, v6, vcc
	global_load_dword v5, v[5:6], off
	s_or_b64 s[10:11], s[10:11], exec
	s_waitcnt vmcnt(0)
	v_div_scale_f32 v6, s[14:15], v5, v5, 1.0
	v_div_scale_f32 v11, vcc, 1.0, v5, 1.0
	v_rcp_f32_e32 v12, v6
	v_fma_f32 v13, -v6, v12, 1.0
	v_fmac_f32_e32 v12, v13, v12
	v_mul_f32_e32 v13, v11, v12
	v_fma_f32 v14, -v6, v13, v11
	v_fmac_f32_e32 v13, v14, v12
	v_fma_f32 v6, -v6, v13, v11
	v_div_fmas_f32 v6, v6, v12, v13
	v_div_fixup_f32 v11, v6, v5, 1.0
.LBB10_1125:
	s_or_b64 exec, exec, s[12:13]
	s_and_b64 s[10:11], s[10:11], exec
                                        ; implicit-def: $vgpr5_vgpr6
	s_andn2_saveexec_b64 s[2:3], s[2:3]
	s_cbranch_execz .LBB10_40
.LBB10_1126:
	v_lshlrev_b64 v[5:6], 2, v[5:6]
	v_mov_b32_e32 v11, s92
	v_add_co_u32_e32 v5, vcc, s91, v5
	v_addc_co_u32_e32 v6, vcc, v11, v6, vcc
	global_load_dword v5, v[5:6], off
	s_or_b64 s[10:11], s[10:11], exec
	s_waitcnt vmcnt(0)
	v_xor_b32_e32 v11, 0x80000000, v5
	s_or_b64 exec, exec, s[2:3]
	s_and_saveexec_b64 s[2:3], s[10:11]
	s_cbranch_execnz .LBB10_41
	s_branch .LBB10_42
.LBB10_1127:
	v_cmp_ne_u32_e32 vcc, v0, v1
	s_xor_b64 s[10:11], s[0:1], -1
	s_or_b64 s[12:13], s[10:11], vcc
	s_mov_b64 s[10:11], 0
	s_and_saveexec_b64 s[14:15], s[12:13]
	s_xor_b64 s[12:13], exec, s[14:15]
; %bb.1128:
	v_or_b32_e32 v5, v1, v0
	v_cmp_gt_u32_e32 vcc, 64, v5
	s_and_b64 s[10:11], vcc, exec
                                        ; implicit-def: $vgpr5_vgpr6
; %bb.1129:
	s_or_saveexec_b64 s[12:13], s[12:13]
	v_mov_b32_e32 v11, 0
	s_xor_b64 exec, exec, s[12:13]
	s_cbranch_execz .LBB10_1131
; %bb.1130:
	v_lshlrev_b64 v[5:6], 2, v[5:6]
	v_mov_b32_e32 v11, s92
	v_add_co_u32_e32 v5, vcc, s91, v5
	v_addc_co_u32_e32 v6, vcc, v11, v6, vcc
	global_load_dword v5, v[5:6], off
	s_or_b64 s[10:11], s[10:11], exec
	s_waitcnt vmcnt(0)
	v_div_scale_f32 v6, s[14:15], v5, v5, 1.0
	v_div_scale_f32 v11, vcc, 1.0, v5, 1.0
	v_rcp_f32_e32 v12, v6
	v_fma_f32 v13, -v6, v12, 1.0
	v_fmac_f32_e32 v12, v13, v12
	v_mul_f32_e32 v13, v11, v12
	v_fma_f32 v14, -v6, v13, v11
	v_fmac_f32_e32 v13, v14, v12
	v_fma_f32 v6, -v6, v13, v11
	v_div_fmas_f32 v6, v6, v12, v13
	v_div_fixup_f32 v11, v6, v5, 1.0
.LBB10_1131:
	s_or_b64 exec, exec, s[12:13]
	s_and_b64 s[10:11], s[10:11], exec
                                        ; implicit-def: $vgpr5_vgpr6
	s_andn2_saveexec_b64 s[2:3], s[2:3]
	s_cbranch_execz .LBB10_44
.LBB10_1132:
	v_lshlrev_b64 v[5:6], 2, v[5:6]
	v_mov_b32_e32 v11, s92
	v_add_co_u32_e32 v5, vcc, s91, v5
	v_addc_co_u32_e32 v6, vcc, v11, v6, vcc
	global_load_dword v5, v[5:6], off
	s_or_b64 s[10:11], s[10:11], exec
	s_waitcnt vmcnt(0)
	v_xor_b32_e32 v11, 0x80000000, v5
	s_or_b64 exec, exec, s[2:3]
	s_and_saveexec_b64 s[2:3], s[10:11]
	s_cbranch_execnz .LBB10_45
	s_branch .LBB10_46
.LBB10_1133:
	s_or_b64 exec, exec, s[8:9]
	s_and_b64 vcc, exec, s[6:7]
	s_cbranch_vccnz .LBB10_1077
.LBB10_1134:
	v_mov_b32_e32 v12, v4
	s_and_saveexec_b64 s[0:1], s[4:5]
	s_cbranch_execnz .LBB10_1140
	s_branch .LBB10_1141
.LBB10_1135:
	s_mov_b64 s[2:3], 0
.LBB10_1136:
	v_cmp_gt_i32_e32 vcc, s90, v0
	s_and_b64 s[0:1], s[0:1], vcc
	s_andn2_b64 s[2:3], s[2:3], exec
	s_and_b64 s[0:1], s[0:1], exec
	s_or_b64 s[2:3], s[2:3], s[0:1]
.LBB10_1137:
                                        ; implicit-def: $vgpr1_vgpr2
	s_and_saveexec_b64 s[0:1], s[2:3]
	s_cbranch_execz .LBB10_1139
; %bb.1138:
	v_mov_b32_e32 v0, s50
	v_add_co_u32_e32 v1, vcc, s33, v11
	v_addc_co_u32_e32 v0, vcc, 0, v0, vcc
	v_mul_lo_u32 v0, v0, s30
	v_mul_lo_u32 v3, v1, s31
	v_mad_u64_u32 v[1:2], s[2:3], v1, s30, 0
	s_or_b64 s[4:5], s[4:5], exec
	v_add3_u32 v2, v2, v3, v0
.LBB10_1139:
	s_or_b64 exec, exec, s[0:1]
	s_and_saveexec_b64 s[0:1], s[4:5]
	s_cbranch_execz .LBB10_1141
.LBB10_1140:
	v_lshlrev_b64 v[0:1], 2, v[1:2]
	v_mov_b32_e32 v2, s37
	v_add_co_u32_e32 v0, vcc, s36, v0
	v_addc_co_u32_e32 v1, vcc, v2, v1, vcc
	global_store_dword v[0:1], v12, off
.LBB10_1141:
	s_or_b64 exec, exec, s[0:1]
	v_cmp_eq_u32_e32 vcc, 0, v11
	s_waitcnt vmcnt(0)
	buffer_wbinvl1_vol
	s_barrier
	s_and_saveexec_b64 s[0:1], vcc
	s_cbranch_execz .LBB10_1143
; %bb.1142:
	s_lshl_b64 s[2:3], s[34:35], 2
	s_add_u32 s2, s14, s2
	s_addc_u32 s3, s15, s3
	v_mov_b32_e32 v0, 0
	global_load_dword v1, v0, s[2:3]
	s_waitcnt vmcnt(0)
	v_add_u32_e32 v1, 1, v1
	global_store_dword v0, v1, s[2:3]
.LBB10_1143:
	s_or_b64 exec, exec, s[0:1]
	s_waitcnt vmcnt(0)
	buffer_wbinvl1_vol
	s_endpgm
.LBB10_1144:
	v_lshlrev_b32_e32 v16, 2, v14
	v_sub_u32_e32 v16, v15, v16
	v_lshl_add_u32 v16, v13, 2, v16
	ds_read_b32 v16, v16 offset:272
	ds_read_b32 v17, v15 offset:4
	s_waitcnt lgkmcnt(0)
	v_fmac_f32_e32 v12, v16, v17
	s_or_b64 exec, exec, s[14:15]
	v_cmp_gt_u32_e64 s[10:11], 8, v4
	s_and_saveexec_b64 s[14:15], s[10:11]
	s_cbranch_execz .LBB10_77
.LBB10_1145:
	ds_read_b32 v16, v6 offset:528
	ds_read_b32 v15, v15 offset:8
	s_waitcnt lgkmcnt(0)
	v_fmac_f32_e32 v12, v16, v15
	s_or_b64 exec, exec, s[14:15]
	v_cmp_gt_u32_e64 s[10:11], 4, v4
	s_and_saveexec_b64 s[14:15], s[10:11]
	s_cbranch_execnz .LBB10_78
	s_branch .LBB10_79
.LBB10_1146:
	v_lshlrev_b32_e32 v21, 2, v19
	v_sub_u32_e32 v21, v20, v21
	v_lshl_add_u32 v21, v18, 2, v21
	ds_read_b32 v21, v21 offset:288
	ds_read_b32 v22, v20 offset:4
	s_waitcnt lgkmcnt(0)
	v_fmac_f32_e32 v17, v21, v22
	s_or_b64 exec, exec, s[16:17]
	v_cmp_gt_u32_e64 s[10:11], 48, v4
	s_and_saveexec_b64 s[16:17], s[10:11]
	s_cbranch_execz .LBB10_115
.LBB10_1147:
	v_lshlrev_b32_e32 v21, 2, v19
	v_sub_u32_e32 v21, v20, v21
	v_lshl_add_u32 v21, v18, 2, v21
	ds_read_b32 v21, v21 offset:544
	ds_read_b32 v22, v20 offset:8
	s_waitcnt lgkmcnt(0)
	v_fmac_f32_e32 v17, v21, v22
	s_or_b64 exec, exec, s[16:17]
	v_cmp_gt_u32_e64 s[10:11], 40, v4
	s_and_saveexec_b64 s[16:17], s[10:11]
	s_cbranch_execz .LBB10_116
.LBB10_1148:
	v_lshlrev_b32_e32 v21, 2, v19
	v_sub_u32_e32 v21, v20, v21
	v_lshl_add_u32 v21, v18, 2, v21
	ds_read_b32 v21, v21 offset:800
	ds_read_b32 v22, v20 offset:12
	s_waitcnt lgkmcnt(0)
	v_fmac_f32_e32 v17, v21, v22
	s_or_b64 exec, exec, s[16:17]
	v_cmp_gt_u32_e64 s[10:11], 32, v4
	s_and_saveexec_b64 s[16:17], s[10:11]
	s_cbranch_execz .LBB10_117
.LBB10_1149:
	ds_read_b32 v21, v15 offset:1056
	ds_read_b32 v22, v20 offset:16
	s_waitcnt lgkmcnt(0)
	v_fmac_f32_e32 v17, v21, v22
	s_or_b64 exec, exec, s[16:17]
	v_cmp_gt_u32_e64 s[10:11], 24, v4
	s_and_saveexec_b64 s[16:17], s[10:11]
	s_cbranch_execz .LBB10_118
.LBB10_1150:
	v_lshlrev_b32_e32 v21, 2, v19
	v_sub_u32_e32 v21, v20, v21
	v_lshl_add_u32 v21, v18, 2, v21
	ds_read_b32 v21, v21 offset:1312
	ds_read_b32 v22, v20 offset:20
	s_waitcnt lgkmcnt(0)
	v_fmac_f32_e32 v17, v21, v22
	s_or_b64 exec, exec, s[16:17]
	v_cmp_gt_u32_e64 s[10:11], 16, v4
	s_and_saveexec_b64 s[16:17], s[10:11]
	s_cbranch_execz .LBB10_119
.LBB10_1151:
	ds_read_b32 v21, v15 offset:1568
	ds_read_b32 v20, v20 offset:24
	s_waitcnt lgkmcnt(0)
	v_fmac_f32_e32 v17, v21, v20
	s_or_b64 exec, exec, s[16:17]
	v_cmp_gt_u32_e64 s[10:11], 8, v4
	s_and_saveexec_b64 s[16:17], s[10:11]
	s_cbranch_execnz .LBB10_120
	s_branch .LBB10_121
.LBB10_1152:
	v_lshlrev_b32_e32 v22, 2, v14
	v_sub_u32_e32 v22, v21, v22
	v_lshl_add_u32 v22, v13, 2, v22
	ds_read_b32 v22, v22 offset:2352
	ds_read_b32 v23, v21 offset:2084
	s_waitcnt lgkmcnt(0)
	v_fmac_f32_e32 v20, v22, v23
	s_or_b64 exec, exec, s[12:13]
	v_cmp_gt_u32_e64 s[8:9], 8, v4
	s_and_saveexec_b64 s[12:13], s[8:9]
	s_cbranch_execz .LBB10_173
.LBB10_1153:
	ds_read_b32 v22, v6 offset:2608
	ds_read_b32 v21, v21 offset:2088
	s_waitcnt lgkmcnt(0)
	v_fmac_f32_e32 v20, v22, v21
	s_or_b64 exec, exec, s[12:13]
	v_cmp_gt_u32_e64 s[8:9], 4, v4
	s_and_saveexec_b64 s[12:13], s[8:9]
	s_cbranch_execnz .LBB10_174
	s_branch .LBB10_175
.LBB10_1154:
	v_lshlrev_b32_e32 v26, 2, v21
	v_lshl_add_u32 v26, v23, 2, v26
	ds_read_b32 v26, v26 offset:2880
	ds_read_b32 v27, v25 offset:44
	s_waitcnt lgkmcnt(0)
	v_fmac_f32_e32 v22, v26, v27
	s_or_b64 exec, exec, s[78:79]
	v_cmp_gt_u32_e64 s[12:13], 64, v4
	s_and_saveexec_b64 s[78:79], s[12:13]
	s_cbranch_execz .LBB10_231
.LBB10_1155:
	ds_read_b32 v26, v20 offset:3136
	ds_read_b32 v27, v25 offset:48
	s_waitcnt lgkmcnt(0)
	v_fmac_f32_e32 v22, v26, v27
	s_or_b64 exec, exec, s[78:79]
	v_cmp_gt_u32_e64 s[12:13], 48, v4
	s_and_saveexec_b64 s[78:79], s[12:13]
	s_cbranch_execz .LBB10_232
.LBB10_1156:
	v_lshlrev_b32_e32 v26, 2, v21
	v_lshl_add_u32 v26, v23, 2, v26
	ds_read_b32 v26, v26 offset:3392
	ds_read_b32 v27, v25 offset:52
	s_waitcnt lgkmcnt(0)
	v_fmac_f32_e32 v22, v26, v27
	s_or_b64 exec, exec, s[78:79]
	v_cmp_gt_u32_e64 s[12:13], 32, v4
	s_and_saveexec_b64 s[78:79], s[12:13]
	s_cbranch_execz .LBB10_233
.LBB10_1157:
	ds_read_b32 v26, v20 offset:3648
	ds_read_b32 v25, v25 offset:56
	s_waitcnt lgkmcnt(0)
	v_fmac_f32_e32 v22, v26, v25
	s_or_b64 exec, exec, s[78:79]
	v_cmp_gt_u32_e64 s[12:13], 16, v4
	s_and_saveexec_b64 s[78:79], s[12:13]
	s_cbranch_execnz .LBB10_234
	s_branch .LBB10_235
.LBB10_1158:
	v_lshlrev_b32_e32 v27, 2, v14
	v_sub_u32_e32 v27, v26, v27
	v_lshl_add_u32 v27, v13, 2, v27
	ds_read_b32 v27, v27 offset:4432
	ds_read_b32 v28, v26 offset:4164
	s_waitcnt lgkmcnt(0)
	v_fmac_f32_e32 v25, v27, v28
	s_or_b64 exec, exec, s[16:17]
	v_cmp_gt_u32_e64 s[10:11], 8, v4
	s_and_saveexec_b64 s[16:17], s[10:11]
	s_cbranch_execz .LBB10_319
.LBB10_1159:
	ds_read_b32 v27, v6 offset:4688
	ds_read_b32 v26, v26 offset:4168
	s_waitcnt lgkmcnt(0)
	v_fmac_f32_e32 v25, v27, v26
	s_or_b64 exec, exec, s[16:17]
	v_cmp_gt_u32_e64 s[10:11], 4, v4
	s_and_saveexec_b64 s[16:17], s[10:11]
	s_cbranch_execnz .LBB10_320
	s_branch .LBB10_321
.LBB10_1160:
	v_lshlrev_b32_e32 v27, 2, v19
	v_sub_u32_e32 v27, v26, v27
	v_lshl_add_u32 v27, v18, 2, v27
	ds_read_b32 v27, v27 offset:4448
	ds_read_b32 v28, v26 offset:4164
	s_waitcnt lgkmcnt(0)
	v_fmac_f32_e32 v25, v27, v28
	s_or_b64 exec, exec, s[16:17]
	v_cmp_gt_u32_e64 s[10:11], 48, v4
	s_and_saveexec_b64 s[16:17], s[10:11]
	s_cbranch_execz .LBB10_357
.LBB10_1161:
	v_lshlrev_b32_e32 v27, 2, v19
	v_sub_u32_e32 v27, v26, v27
	v_lshl_add_u32 v27, v18, 2, v27
	ds_read_b32 v27, v27 offset:4704
	ds_read_b32 v28, v26 offset:4168
	s_waitcnt lgkmcnt(0)
	v_fmac_f32_e32 v25, v27, v28
	s_or_b64 exec, exec, s[16:17]
	v_cmp_gt_u32_e64 s[10:11], 40, v4
	s_and_saveexec_b64 s[16:17], s[10:11]
	s_cbranch_execz .LBB10_358
.LBB10_1162:
	v_lshlrev_b32_e32 v27, 2, v19
	v_sub_u32_e32 v27, v26, v27
	v_lshl_add_u32 v27, v18, 2, v27
	ds_read_b32 v27, v27 offset:4960
	ds_read_b32 v28, v26 offset:4172
	s_waitcnt lgkmcnt(0)
	v_fmac_f32_e32 v25, v27, v28
	s_or_b64 exec, exec, s[16:17]
	v_cmp_gt_u32_e64 s[10:11], 32, v4
	s_and_saveexec_b64 s[16:17], s[10:11]
	s_cbranch_execz .LBB10_359
.LBB10_1163:
	ds_read_b32 v27, v15 offset:5216
	ds_read_b32 v28, v26 offset:4176
	s_waitcnt lgkmcnt(0)
	v_fmac_f32_e32 v25, v27, v28
	s_or_b64 exec, exec, s[16:17]
	v_cmp_gt_u32_e64 s[10:11], 24, v4
	s_and_saveexec_b64 s[16:17], s[10:11]
	s_cbranch_execz .LBB10_360
.LBB10_1164:
	v_lshlrev_b32_e32 v27, 2, v19
	v_sub_u32_e32 v27, v26, v27
	v_lshl_add_u32 v27, v18, 2, v27
	ds_read_b32 v27, v27 offset:5472
	ds_read_b32 v28, v26 offset:4180
	s_waitcnt lgkmcnt(0)
	v_fmac_f32_e32 v25, v27, v28
	s_or_b64 exec, exec, s[16:17]
	v_cmp_gt_u32_e64 s[10:11], 16, v4
	s_and_saveexec_b64 s[16:17], s[10:11]
	s_cbranch_execz .LBB10_361
.LBB10_1165:
	ds_read_b32 v27, v15 offset:5728
	ds_read_b32 v26, v26 offset:4184
	s_waitcnt lgkmcnt(0)
	v_fmac_f32_e32 v25, v27, v26
	s_or_b64 exec, exec, s[16:17]
	v_cmp_gt_u32_e64 s[10:11], 8, v4
	s_and_saveexec_b64 s[16:17], s[10:11]
	s_cbranch_execnz .LBB10_362
	s_branch .LBB10_363
.LBB10_1166:
	v_lshlrev_b32_e32 v27, 2, v14
	v_sub_u32_e32 v27, v26, v27
	v_lshl_add_u32 v27, v13, 2, v27
	ds_read_b32 v27, v27 offset:6512
	ds_read_b32 v28, v26 offset:6244
	s_waitcnt lgkmcnt(0)
	v_fmac_f32_e32 v25, v27, v28
	s_or_b64 exec, exec, s[16:17]
	v_cmp_gt_u32_e64 s[10:11], 8, v4
	s_and_saveexec_b64 s[16:17], s[10:11]
	s_cbranch_execz .LBB10_415
.LBB10_1167:
	ds_read_b32 v27, v6 offset:6768
	ds_read_b32 v26, v26 offset:6248
	s_waitcnt lgkmcnt(0)
	v_fmac_f32_e32 v25, v27, v26
	s_or_b64 exec, exec, s[16:17]
	v_cmp_gt_u32_e64 s[10:11], 4, v4
	s_and_saveexec_b64 s[16:17], s[10:11]
	s_cbranch_execnz .LBB10_416
	s_branch .LBB10_417
.LBB10_1168:
	ds_read_b32 v31, v25 offset:7552
	ds_read_b32 v32, v30 offset:116
	s_waitcnt lgkmcnt(0)
	v_fmac_f32_e32 v28, v31, v32
	s_or_b64 exec, exec, s[88:89]
	v_cmp_gt_u32_e64 s[16:17], 64, v4
	s_and_saveexec_b64 s[88:89], s[16:17]
	s_cbranch_execz .LBB10_509
.LBB10_1169:
	ds_read_b32 v31, v25 offset:7808
	ds_read_b32 v30, v30 offset:120
	s_waitcnt lgkmcnt(0)
	v_fmac_f32_e32 v28, v31, v30
	s_or_b64 exec, exec, s[88:89]
	v_cmp_gt_u32_e64 s[16:17], 32, v4
	s_and_saveexec_b64 s[88:89], s[16:17]
	s_cbranch_execnz .LBB10_510
	s_branch .LBB10_511
.LBB10_1170:
	v_lshlrev_b32_e32 v27, 2, v14
	v_sub_u32_e32 v27, v26, v27
	v_lshl_add_u32 v27, v13, 2, v27
	ds_read_b32 v27, v27 offset:8592
	ds_read_b32 v28, v26 offset:8324
	s_waitcnt lgkmcnt(0)
	v_fmac_f32_e32 v25, v27, v28
	s_or_b64 exec, exec, s[16:17]
	v_cmp_gt_u32_e64 s[10:11], 8, v4
	s_and_saveexec_b64 s[16:17], s[10:11]
	s_cbranch_execz .LBB10_659
.LBB10_1171:
	ds_read_b32 v27, v6 offset:8848
	ds_read_b32 v26, v26 offset:8328
	s_waitcnt lgkmcnt(0)
	v_fmac_f32_e32 v25, v27, v26
	s_or_b64 exec, exec, s[16:17]
	v_cmp_gt_u32_e64 s[10:11], 4, v4
	s_and_saveexec_b64 s[16:17], s[10:11]
	s_cbranch_execnz .LBB10_660
	s_branch .LBB10_661
.LBB10_1172:
	v_lshlrev_b32_e32 v27, 2, v19
	v_sub_u32_e32 v27, v26, v27
	v_lshl_add_u32 v27, v18, 2, v27
	ds_read_b32 v27, v27 offset:8608
	ds_read_b32 v28, v26 offset:8324
	s_waitcnt lgkmcnt(0)
	v_fmac_f32_e32 v25, v27, v28
	s_or_b64 exec, exec, s[16:17]
	v_cmp_gt_u32_e64 s[10:11], 48, v4
	s_and_saveexec_b64 s[16:17], s[10:11]
	s_cbranch_execz .LBB10_697
.LBB10_1173:
	v_lshlrev_b32_e32 v27, 2, v19
	v_sub_u32_e32 v27, v26, v27
	v_lshl_add_u32 v27, v18, 2, v27
	ds_read_b32 v27, v27 offset:8864
	ds_read_b32 v28, v26 offset:8328
	s_waitcnt lgkmcnt(0)
	v_fmac_f32_e32 v25, v27, v28
	s_or_b64 exec, exec, s[16:17]
	v_cmp_gt_u32_e64 s[10:11], 40, v4
	s_and_saveexec_b64 s[16:17], s[10:11]
	s_cbranch_execz .LBB10_698
.LBB10_1174:
	v_lshlrev_b32_e32 v27, 2, v19
	v_sub_u32_e32 v27, v26, v27
	v_lshl_add_u32 v27, v18, 2, v27
	ds_read_b32 v27, v27 offset:9120
	ds_read_b32 v28, v26 offset:8332
	s_waitcnt lgkmcnt(0)
	v_fmac_f32_e32 v25, v27, v28
	s_or_b64 exec, exec, s[16:17]
	v_cmp_gt_u32_e64 s[10:11], 32, v4
	s_and_saveexec_b64 s[16:17], s[10:11]
	s_cbranch_execz .LBB10_699
.LBB10_1175:
	ds_read_b32 v27, v15 offset:9376
	ds_read_b32 v28, v26 offset:8336
	s_waitcnt lgkmcnt(0)
	v_fmac_f32_e32 v25, v27, v28
	s_or_b64 exec, exec, s[16:17]
	v_cmp_gt_u32_e64 s[10:11], 24, v4
	s_and_saveexec_b64 s[16:17], s[10:11]
	s_cbranch_execz .LBB10_700
.LBB10_1176:
	v_lshlrev_b32_e32 v27, 2, v19
	v_sub_u32_e32 v27, v26, v27
	v_lshl_add_u32 v27, v18, 2, v27
	ds_read_b32 v27, v27 offset:9632
	ds_read_b32 v28, v26 offset:8340
	s_waitcnt lgkmcnt(0)
	v_fmac_f32_e32 v25, v27, v28
	s_or_b64 exec, exec, s[16:17]
	v_cmp_gt_u32_e64 s[10:11], 16, v4
	s_and_saveexec_b64 s[16:17], s[10:11]
	s_cbranch_execz .LBB10_701
.LBB10_1177:
	ds_read_b32 v27, v15 offset:9888
	ds_read_b32 v26, v26 offset:8344
	s_waitcnt lgkmcnt(0)
	v_fmac_f32_e32 v25, v27, v26
	s_or_b64 exec, exec, s[16:17]
	v_cmp_gt_u32_e64 s[10:11], 8, v4
	s_and_saveexec_b64 s[16:17], s[10:11]
	s_cbranch_execnz .LBB10_702
	s_branch .LBB10_703
.LBB10_1178:
	v_lshlrev_b32_e32 v27, 2, v14
	v_sub_u32_e32 v27, v26, v27
	v_lshl_add_u32 v27, v13, 2, v27
	ds_read_b32 v27, v27 offset:10672
	ds_read_b32 v28, v26 offset:10404
	s_waitcnt lgkmcnt(0)
	v_fmac_f32_e32 v25, v27, v28
	s_or_b64 exec, exec, s[16:17]
	v_cmp_gt_u32_e64 s[10:11], 8, v4
	s_and_saveexec_b64 s[16:17], s[10:11]
	s_cbranch_execz .LBB10_755
.LBB10_1179:
	ds_read_b32 v27, v6 offset:10928
	ds_read_b32 v26, v26 offset:10408
	s_waitcnt lgkmcnt(0)
	v_fmac_f32_e32 v25, v27, v26
	s_or_b64 exec, exec, s[16:17]
	v_cmp_gt_u32_e64 s[10:11], 4, v4
	s_and_saveexec_b64 s[16:17], s[10:11]
	s_cbranch_execnz .LBB10_756
	s_branch .LBB10_757
.LBB10_1180:
	v_lshlrev_b32_e32 v24, 2, v21
	v_lshl_add_u32 v24, v23, 2, v24
	ds_read_b32 v24, v24 offset:11200
	ds_read_b32 v27, v26 offset:8364
	s_waitcnt lgkmcnt(0)
	v_fmac_f32_e32 v25, v24, v27
	s_or_b64 exec, exec, s[16:17]
	v_cmp_gt_u32_e64 s[10:11], 64, v4
	s_and_saveexec_b64 s[16:17], s[10:11]
	s_cbranch_execz .LBB10_813
.LBB10_1181:
	ds_read_b32 v24, v20 offset:11456
	ds_read_b32 v27, v26 offset:8368
	s_waitcnt lgkmcnt(0)
	v_fmac_f32_e32 v25, v24, v27
	s_or_b64 exec, exec, s[16:17]
	v_cmp_gt_u32_e64 s[10:11], 48, v4
	s_and_saveexec_b64 s[16:17], s[10:11]
	s_cbranch_execz .LBB10_814
.LBB10_1182:
	v_lshlrev_b32_e32 v24, 2, v21
	v_lshl_add_u32 v23, v23, 2, v24
	ds_read_b32 v23, v23 offset:11712
	ds_read_b32 v24, v26 offset:8372
	s_waitcnt lgkmcnt(0)
	v_fmac_f32_e32 v25, v23, v24
	s_or_b64 exec, exec, s[16:17]
	v_cmp_gt_u32_e64 s[10:11], 32, v4
	s_and_saveexec_b64 s[16:17], s[10:11]
	s_cbranch_execz .LBB10_815
.LBB10_1183:
	ds_read_b32 v23, v20 offset:11968
	ds_read_b32 v24, v26 offset:8376
	s_waitcnt lgkmcnt(0)
	v_fmac_f32_e32 v25, v23, v24
	s_or_b64 exec, exec, s[16:17]
	v_cmp_gt_u32_e64 s[10:11], 16, v4
	s_and_saveexec_b64 s[16:17], s[10:11]
	s_cbranch_execnz .LBB10_816
	s_branch .LBB10_817
.LBB10_1184:
	v_lshlrev_b32_e32 v22, 2, v14
	v_sub_u32_e32 v22, v21, v22
	v_lshl_add_u32 v22, v13, 2, v22
	ds_read_b32 v22, v22 offset:12752
	ds_read_b32 v23, v21 offset:12484
	s_waitcnt lgkmcnt(0)
	v_fmac_f32_e32 v20, v22, v23
	s_or_b64 exec, exec, s[12:13]
	v_cmp_gt_u32_e64 s[8:9], 8, v4
	s_and_saveexec_b64 s[12:13], s[8:9]
	s_cbranch_execz .LBB10_901
.LBB10_1185:
	ds_read_b32 v22, v6 offset:13008
	ds_read_b32 v21, v21 offset:12488
	s_waitcnt lgkmcnt(0)
	v_fmac_f32_e32 v20, v22, v21
	s_or_b64 exec, exec, s[12:13]
	v_cmp_gt_u32_e64 s[8:9], 4, v4
	s_and_saveexec_b64 s[12:13], s[8:9]
	s_cbranch_execnz .LBB10_902
	s_branch .LBB10_903
.LBB10_1186:
	v_lshlrev_b32_e32 v22, 2, v19
	v_sub_u32_e32 v22, v21, v22
	v_lshl_add_u32 v22, v18, 2, v22
	ds_read_b32 v22, v22 offset:12768
	ds_read_b32 v23, v21 offset:12484
	s_waitcnt lgkmcnt(0)
	v_fmac_f32_e32 v20, v22, v23
	s_or_b64 exec, exec, s[12:13]
	v_cmp_gt_u32_e64 s[8:9], 48, v4
	s_and_saveexec_b64 s[12:13], s[8:9]
	s_cbranch_execz .LBB10_939
.LBB10_1187:
	v_lshlrev_b32_e32 v22, 2, v19
	v_sub_u32_e32 v22, v21, v22
	v_lshl_add_u32 v22, v18, 2, v22
	ds_read_b32 v22, v22 offset:13024
	ds_read_b32 v23, v21 offset:12488
	s_waitcnt lgkmcnt(0)
	v_fmac_f32_e32 v20, v22, v23
	s_or_b64 exec, exec, s[12:13]
	v_cmp_gt_u32_e64 s[8:9], 40, v4
	s_and_saveexec_b64 s[12:13], s[8:9]
	s_cbranch_execz .LBB10_940
.LBB10_1188:
	v_lshlrev_b32_e32 v22, 2, v19
	v_sub_u32_e32 v22, v21, v22
	v_lshl_add_u32 v22, v18, 2, v22
	ds_read_b32 v22, v22 offset:13280
	ds_read_b32 v23, v21 offset:12492
	s_waitcnt lgkmcnt(0)
	v_fmac_f32_e32 v20, v22, v23
	s_or_b64 exec, exec, s[12:13]
	v_cmp_gt_u32_e64 s[8:9], 32, v4
	s_and_saveexec_b64 s[12:13], s[8:9]
	s_cbranch_execz .LBB10_941
.LBB10_1189:
	ds_read_b32 v22, v15 offset:13536
	ds_read_b32 v23, v21 offset:12496
	s_waitcnt lgkmcnt(0)
	v_fmac_f32_e32 v20, v22, v23
	s_or_b64 exec, exec, s[12:13]
	v_cmp_gt_u32_e64 s[8:9], 24, v4
	s_and_saveexec_b64 s[12:13], s[8:9]
	s_cbranch_execz .LBB10_942
.LBB10_1190:
	v_lshlrev_b32_e32 v19, 2, v19
	v_sub_u32_e32 v19, v21, v19
	v_lshl_add_u32 v18, v18, 2, v19
	ds_read_b32 v18, v18 offset:13792
	ds_read_b32 v19, v21 offset:12500
	s_waitcnt lgkmcnt(0)
	v_fmac_f32_e32 v20, v18, v19
	s_or_b64 exec, exec, s[12:13]
	v_cmp_gt_u32_e64 s[8:9], 16, v4
	s_and_saveexec_b64 s[12:13], s[8:9]
	s_cbranch_execz .LBB10_943
.LBB10_1191:
	ds_read_b32 v18, v15 offset:14048
	ds_read_b32 v19, v21 offset:12504
	s_waitcnt lgkmcnt(0)
	v_fmac_f32_e32 v20, v18, v19
	s_or_b64 exec, exec, s[12:13]
	v_cmp_gt_u32_e64 s[8:9], 8, v4
	s_and_saveexec_b64 s[12:13], s[8:9]
	s_cbranch_execnz .LBB10_944
	s_branch .LBB10_945
.LBB10_1192:
	v_lshlrev_b32_e32 v14, 2, v14
	v_sub_u32_e32 v14, v16, v14
	v_lshl_add_u32 v13, v13, 2, v14
	ds_read_b32 v13, v13 offset:14832
	ds_read_b32 v14, v16 offset:14564
	s_waitcnt lgkmcnt(0)
	v_fmac_f32_e32 v15, v13, v14
	s_or_b64 exec, exec, s[12:13]
	v_cmp_gt_u32_e64 s[8:9], 8, v4
	s_and_saveexec_b64 s[12:13], s[8:9]
	s_cbranch_execz .LBB10_997
.LBB10_1193:
	ds_read_b32 v13, v6 offset:15088
	ds_read_b32 v14, v16 offset:14568
	s_waitcnt lgkmcnt(0)
	v_fmac_f32_e32 v15, v13, v14
	s_or_b64 exec, exec, s[12:13]
	v_cmp_gt_u32_e64 s[8:9], 4, v4
	s_and_saveexec_b64 s[12:13], s[8:9]
	s_cbranch_execnz .LBB10_998
	s_branch .LBB10_999
	.section	.rodata,"a",@progbits
	.p2align	6, 0x0
	.amdhsa_kernel _ZL19rocblas_trsv_deviceILi64ELi16ELb1ELb0ELb0ELb0EfPKfS1_PfEviT7_lllT6_T8_lllPii
		.amdhsa_group_segment_fixed_size 20740
		.amdhsa_private_segment_fixed_size 0
		.amdhsa_kernarg_size 352
		.amdhsa_user_sgpr_count 6
		.amdhsa_user_sgpr_private_segment_buffer 1
		.amdhsa_user_sgpr_dispatch_ptr 0
		.amdhsa_user_sgpr_queue_ptr 0
		.amdhsa_user_sgpr_kernarg_segment_ptr 1
		.amdhsa_user_sgpr_dispatch_id 0
		.amdhsa_user_sgpr_flat_scratch_init 0
		.amdhsa_user_sgpr_private_segment_size 0
		.amdhsa_uses_dynamic_stack 0
		.amdhsa_system_sgpr_private_segment_wavefront_offset 0
		.amdhsa_system_sgpr_workgroup_id_x 1
		.amdhsa_system_sgpr_workgroup_id_y 0
		.amdhsa_system_sgpr_workgroup_id_z 1
		.amdhsa_system_sgpr_workgroup_info 0
		.amdhsa_system_vgpr_workitem_id 1
		.amdhsa_next_free_vgpr 34
		.amdhsa_next_free_sgpr 96
		.amdhsa_reserve_vcc 1
		.amdhsa_reserve_flat_scratch 0
		.amdhsa_float_round_mode_32 0
		.amdhsa_float_round_mode_16_64 0
		.amdhsa_float_denorm_mode_32 3
		.amdhsa_float_denorm_mode_16_64 3
		.amdhsa_dx10_clamp 1
		.amdhsa_ieee_mode 1
		.amdhsa_fp16_overflow 0
		.amdhsa_exception_fp_ieee_invalid_op 0
		.amdhsa_exception_fp_denorm_src 0
		.amdhsa_exception_fp_ieee_div_zero 0
		.amdhsa_exception_fp_ieee_overflow 0
		.amdhsa_exception_fp_ieee_underflow 0
		.amdhsa_exception_fp_ieee_inexact 0
		.amdhsa_exception_int_div_zero 0
	.end_amdhsa_kernel
	.section	.text._ZL19rocblas_trsv_deviceILi64ELi16ELb1ELb0ELb0ELb0EfPKfS1_PfEviT7_lllT6_T8_lllPii,"axG",@progbits,_ZL19rocblas_trsv_deviceILi64ELi16ELb1ELb0ELb0ELb0EfPKfS1_PfEviT7_lllT6_T8_lllPii,comdat
.Lfunc_end10:
	.size	_ZL19rocblas_trsv_deviceILi64ELi16ELb1ELb0ELb0ELb0EfPKfS1_PfEviT7_lllT6_T8_lllPii, .Lfunc_end10-_ZL19rocblas_trsv_deviceILi64ELi16ELb1ELb0ELb0ELb0EfPKfS1_PfEviT7_lllT6_T8_lllPii
                                        ; -- End function
	.set _ZL19rocblas_trsv_deviceILi64ELi16ELb1ELb0ELb0ELb0EfPKfS1_PfEviT7_lllT6_T8_lllPii.num_vgpr, 34
	.set _ZL19rocblas_trsv_deviceILi64ELi16ELb1ELb0ELb0ELb0EfPKfS1_PfEviT7_lllT6_T8_lllPii.num_agpr, 0
	.set _ZL19rocblas_trsv_deviceILi64ELi16ELb1ELb0ELb0ELb0EfPKfS1_PfEviT7_lllT6_T8_lllPii.numbered_sgpr, 96
	.set _ZL19rocblas_trsv_deviceILi64ELi16ELb1ELb0ELb0ELb0EfPKfS1_PfEviT7_lllT6_T8_lllPii.num_named_barrier, 0
	.set _ZL19rocblas_trsv_deviceILi64ELi16ELb1ELb0ELb0ELb0EfPKfS1_PfEviT7_lllT6_T8_lllPii.private_seg_size, 0
	.set _ZL19rocblas_trsv_deviceILi64ELi16ELb1ELb0ELb0ELb0EfPKfS1_PfEviT7_lllT6_T8_lllPii.uses_vcc, 1
	.set _ZL19rocblas_trsv_deviceILi64ELi16ELb1ELb0ELb0ELb0EfPKfS1_PfEviT7_lllT6_T8_lllPii.uses_flat_scratch, 0
	.set _ZL19rocblas_trsv_deviceILi64ELi16ELb1ELb0ELb0ELb0EfPKfS1_PfEviT7_lllT6_T8_lllPii.has_dyn_sized_stack, 0
	.set _ZL19rocblas_trsv_deviceILi64ELi16ELb1ELb0ELb0ELb0EfPKfS1_PfEviT7_lllT6_T8_lllPii.has_recursion, 0
	.set _ZL19rocblas_trsv_deviceILi64ELi16ELb1ELb0ELb0ELb0EfPKfS1_PfEviT7_lllT6_T8_lllPii.has_indirect_call, 0
	.section	.AMDGPU.csdata,"",@progbits
; Kernel info:
; codeLenInByte = 34392
; TotalNumSgprs: 100
; NumVgprs: 34
; ScratchSize: 0
; MemoryBound: 0
; FloatMode: 240
; IeeeMode: 1
; LDSByteSize: 20740 bytes/workgroup (compile time only)
; SGPRBlocks: 12
; VGPRBlocks: 8
; NumSGPRsForWavesPerEU: 100
; NumVGPRsForWavesPerEU: 34
; Occupancy: 7
; WaveLimiterHint : 0
; COMPUTE_PGM_RSRC2:SCRATCH_EN: 0
; COMPUTE_PGM_RSRC2:USER_SGPR: 6
; COMPUTE_PGM_RSRC2:TRAP_HANDLER: 0
; COMPUTE_PGM_RSRC2:TGID_X_EN: 1
; COMPUTE_PGM_RSRC2:TGID_Y_EN: 0
; COMPUTE_PGM_RSRC2:TGID_Z_EN: 1
; COMPUTE_PGM_RSRC2:TIDIG_COMP_CNT: 1
	.section	.text._ZL19rocblas_trsv_deviceILi64ELi16ELb1ELb1ELb0ELb0EfPKfS1_PfEviT7_lllT6_T8_lllPii,"axG",@progbits,_ZL19rocblas_trsv_deviceILi64ELi16ELb1ELb1ELb0ELb0EfPKfS1_PfEviT7_lllT6_T8_lllPii,comdat
	.globl	_ZL19rocblas_trsv_deviceILi64ELi16ELb1ELb1ELb0ELb0EfPKfS1_PfEviT7_lllT6_T8_lllPii ; -- Begin function _ZL19rocblas_trsv_deviceILi64ELi16ELb1ELb1ELb0ELb0EfPKfS1_PfEviT7_lllT6_T8_lllPii
	.p2align	8
	.type	_ZL19rocblas_trsv_deviceILi64ELi16ELb1ELb1ELb0ELb0EfPKfS1_PfEviT7_lllT6_T8_lllPii,@function
_ZL19rocblas_trsv_deviceILi64ELi16ELb1ELb1ELb0ELb0EfPKfS1_PfEviT7_lllT6_T8_lllPii: ; @_ZL19rocblas_trsv_deviceILi64ELi16ELb1ELb1ELb0ELb0EfPKfS1_PfEviT7_lllT6_T8_lllPii
; %bb.0:
	s_load_dwordx16 s[36:51], s[4:5], 0x8
	s_load_dword s24, s[4:5], 0x0
	s_mov_b32 s22, s7
	v_mov_b32_e32 v2, v1
	s_mov_b32 s23, 0
	s_waitcnt lgkmcnt(0)
	s_mul_i32 s0, s43, s7
	s_mul_hi_u32 s1, s42, s7
	s_add_i32 s1, s1, s0
	s_mul_i32 s0, s42, s7
	s_load_dword s7, s[4:5], 0x60
	s_lshl_b64 s[0:1], s[0:1], 2
	s_add_u32 s2, s36, s0
	s_addc_u32 s3, s37, s1
	s_lshl_b64 s[0:1], s[38:39], 2
	s_load_dword s31, s[44:45], 0x0
	s_load_dword s30, s[4:5], 0x6c
	s_add_u32 s91, s2, s0
	s_addc_u32 s92, s3, s1
	s_waitcnt lgkmcnt(0)
	s_add_i32 s7, s7, -1
	s_sub_i32 s93, s7, s6
	s_cmp_lg_u32 s6, 0
	s_cbranch_scc0 .LBB11_1164
; %bb.1:
	s_lshl_b32 s33, s93, 6
	v_add_u32_e32 v1, s33, v0
	v_ashrrev_i32_e32 v3, 31, v1
	v_mul_lo_u32 v7, s40, v3
	v_mul_lo_u32 v8, s41, v1
	v_mad_u64_u32 v[5:6], s[0:1], s40, v1, 0
	v_add3_u32 v3, v2, s33, 64
	v_ashrrev_i32_e32 v4, 31, v3
	v_add3_u32 v6, v6, v7, v8
	v_lshlrev_b64 v[5:6], 2, v[5:6]
	v_cmp_gt_i32_e32 vcc, s24, v1
	v_mov_b32_e32 v1, s92
	v_add_co_u32_e64 v7, s[0:1], s91, v5
	v_lshlrev_b64 v[4:5], 2, v[3:4]
	v_addc_co_u32_e64 v1, s[0:1], v1, v6, s[0:1]
	v_add_co_u32_e64 v4, s[0:1], v7, v4
	v_addc_co_u32_e64 v5, s[0:1], v1, v5, s[0:1]
	v_cmp_gt_i32_e64 s[0:1], s24, v3
	s_and_b64 s[2:3], s[0:1], vcc
	v_mov_b32_e32 v7, 0
	v_mov_b32_e32 v8, 0
	s_barrier
	s_and_saveexec_b64 s[0:1], s[2:3]
	s_cbranch_execz .LBB11_3
; %bb.2:
	global_load_dword v8, v[4:5], off
.LBB11_3:
	s_or_b64 exec, exec, s[0:1]
	v_add_u32_e32 v1, 16, v3
	v_cmp_gt_i32_e64 s[0:1], s24, v1
	s_and_b64 s[2:3], s[0:1], vcc
	s_waitcnt vmcnt(0)
	s_barrier
	s_and_saveexec_b64 s[0:1], s[2:3]
	s_cbranch_execz .LBB11_5
; %bb.4:
	global_load_dword v7, v[4:5], off offset:64
.LBB11_5:
	s_or_b64 exec, exec, s[0:1]
	v_add_u32_e32 v1, 32, v3
	v_cmp_gt_i32_e64 s[0:1], s24, v1
	s_and_b64 s[2:3], s[0:1], vcc
	v_mov_b32_e32 v9, 0
	v_mov_b32_e32 v10, 0
	s_waitcnt vmcnt(0)
	s_barrier
	s_and_saveexec_b64 s[0:1], s[2:3]
	s_cbranch_execz .LBB11_7
; %bb.6:
	global_load_dword v10, v[4:5], off offset:128
.LBB11_7:
	s_or_b64 exec, exec, s[0:1]
	v_add_u32_e32 v1, 48, v3
	v_cmp_gt_i32_e64 s[0:1], s24, v1
	s_and_b64 s[2:3], s[0:1], vcc
	s_waitcnt vmcnt(0)
	s_barrier
	s_and_saveexec_b64 s[0:1], s[2:3]
	s_cbranch_execz .LBB11_9
; %bb.8:
	global_load_dword v9, v[4:5], off offset:192
.LBB11_9:
	s_or_b64 exec, exec, s[0:1]
	s_branch .LBB11_11
.LBB11_10:
	s_lshl_b32 s33, s93, 6
                                        ; implicit-def: $vgpr8
                                        ; implicit-def: $vgpr7
                                        ; implicit-def: $vgpr10
                                        ; implicit-def: $vgpr9
.LBB11_11:
	s_ashr_i32 s25, s24, 31
	s_lshr_b32 s0, s25, 26
	s_add_i32 s0, s24, s0
	s_andn2_b32 s0, s0, 63
	s_sub_i32 s90, s24, s0
	s_add_i32 s0, s24, -1
	s_ashr_i32 s1, s0, 31
	s_lshr_b32 s1, s1, 26
	s_add_i32 s0, s0, s1
	s_ashr_i32 s0, s0, 6
	s_cmp_eq_u32 s0, s93
	s_cselect_b64 s[0:1], -1, 0
	s_cmp_lg_u32 s90, 0
	s_cselect_b64 s[2:3], -1, 0
	s_and_b64 s[26:27], s[2:3], s[0:1]
	s_cmp_lt_i32 s6, 5
	s_cselect_b64 s[2:3], -1, 0
	s_or_b64 s[0:1], s[2:3], s[26:27]
	s_ashr_i32 s38, s33, 31
	s_add_u32 s10, s40, 1
	v_mov_b32_e32 v1, 0
	v_mov_b32_e32 v3, s33
	v_mad_u64_u32 v[3:4], s[8:9], s10, v3, v[0:1]
	s_addc_u32 s11, s41, 0
	s_mul_i32 s8, s10, s38
	s_mul_i32 s11, s11, s33
	s_add_i32 s8, s8, s11
	s_mov_b64 s[12:13], -1
	v_lshlrev_b32_e32 v11, 6, v0
	v_add_u32_e32 v4, s8, v4
	s_and_b64 vcc, exec, s[26:27]
	v_cmp_le_u32_e64 s[8:9], v0, v2
	s_cbranch_vccnz .LBB11_33
; %bb.12:
	v_mad_u64_u32 v[5:6], s[10:11], s40, v2, v[3:4]
	v_mov_b32_e32 v1, v6
	v_mad_u64_u32 v[12:13], s[10:11], s41, v2, v[1:2]
	s_mov_b64 s[10:11], 0
                                        ; implicit-def: $vgpr1
	v_mov_b32_e32 v6, v12
	s_and_saveexec_b64 s[12:13], s[8:9]
	s_xor_b64 s[8:9], exec, s[12:13]
	s_cbranch_execnz .LBB11_1165
; %bb.13:
	s_andn2_saveexec_b64 s[8:9], s[8:9]
	s_cbranch_execnz .LBB11_1170
.LBB11_14:
	s_or_b64 exec, exec, s[8:9]
	s_and_saveexec_b64 s[8:9], s[10:11]
.LBB11_15:
	v_add_u32_e32 v5, v2, v11
	v_lshl_add_u32 v6, v2, 6, v0
	v_cndmask_b32_e64 v5, v6, v5, s[2:3]
	v_lshlrev_b32_e32 v5, 2, v5
	ds_write_b32 v5, v1
.LBB11_16:
	s_or_b64 exec, exec, s[8:9]
	v_add_u32_e32 v1, 16, v2
	v_mad_u64_u32 v[5:6], s[2:3], s40, v1, v[3:4]
	v_cmp_le_u32_e32 vcc, v0, v1
	s_mov_b64 s[8:9], 0
	v_mad_u64_u32 v[12:13], s[2:3], s41, v1, v[6:7]
	v_mov_b32_e32 v6, v12
                                        ; implicit-def: $vgpr12
	s_and_saveexec_b64 s[2:3], vcc
	s_xor_b64 s[2:3], exec, s[2:3]
	s_cbranch_execnz .LBB11_1171
; %bb.17:
	s_andn2_saveexec_b64 s[2:3], s[2:3]
	s_cbranch_execnz .LBB11_1176
.LBB11_18:
	s_or_b64 exec, exec, s[2:3]
	s_and_saveexec_b64 s[2:3], s[8:9]
.LBB11_19:
	v_add_u32_e32 v5, v1, v11
	v_lshl_add_u32 v1, v1, 6, v0
	v_cndmask_b32_e64 v1, v1, v5, s[0:1]
	v_lshlrev_b32_e32 v1, 2, v1
	ds_write_b32 v1, v12
.LBB11_20:
	s_or_b64 exec, exec, s[2:3]
	v_add_u32_e32 v1, 32, v2
	v_mad_u64_u32 v[5:6], s[2:3], s40, v1, v[3:4]
	v_cmp_le_u32_e32 vcc, v0, v1
	s_mov_b64 s[8:9], 0
	v_mad_u64_u32 v[12:13], s[2:3], s41, v1, v[6:7]
	v_mov_b32_e32 v6, v12
                                        ; implicit-def: $vgpr12
	s_and_saveexec_b64 s[2:3], vcc
	s_xor_b64 s[2:3], exec, s[2:3]
	s_cbranch_execnz .LBB11_1177
; %bb.21:
	s_andn2_saveexec_b64 s[2:3], s[2:3]
	s_cbranch_execnz .LBB11_1182
.LBB11_22:
	s_or_b64 exec, exec, s[2:3]
	s_and_saveexec_b64 s[2:3], s[8:9]
.LBB11_23:
	v_add_u32_e32 v5, v1, v11
	v_lshl_add_u32 v1, v1, 6, v0
	v_cndmask_b32_e64 v1, v1, v5, s[0:1]
	v_lshlrev_b32_e32 v1, 2, v1
	ds_write_b32 v1, v12
.LBB11_24:
	s_or_b64 exec, exec, s[2:3]
	v_add_u32_e32 v12, 48, v2
	v_mad_u64_u32 v[5:6], s[2:3], s40, v12, v[3:4]
	v_cmp_le_u32_e32 vcc, v0, v12
	s_mov_b64 s[10:11], 0
	v_mov_b32_e32 v1, v6
	v_mad_u64_u32 v[13:14], s[2:3], s41, v12, v[1:2]
                                        ; implicit-def: $vgpr1
	v_mov_b32_e32 v6, v13
	s_and_saveexec_b64 s[2:3], vcc
	s_xor_b64 s[2:3], exec, s[2:3]
	s_cbranch_execz .LBB11_30
; %bb.25:
	v_cmp_ne_u32_e32 vcc, v0, v12
	s_mov_b64 s[8:9], 0
	s_and_saveexec_b64 s[10:11], vcc
	s_xor_b64 s[10:11], exec, s[10:11]
; %bb.26:
	v_or_b32_e32 v1, v12, v0
	v_cmp_gt_u32_e32 vcc, 64, v1
	s_and_b64 s[8:9], vcc, exec
                                        ; implicit-def: $vgpr5_vgpr6
; %bb.27:
	s_or_saveexec_b64 s[10:11], s[10:11]
	v_mov_b32_e32 v1, 0
	s_xor_b64 exec, exec, s[10:11]
	s_cbranch_execz .LBB11_29
; %bb.28:
	v_lshlrev_b64 v[5:6], 2, v[5:6]
	v_mov_b32_e32 v1, s92
	v_add_co_u32_e32 v5, vcc, s91, v5
	v_addc_co_u32_e32 v6, vcc, v1, v6, vcc
	global_load_dword v1, v[5:6], off
	s_or_b64 s[8:9], s[8:9], exec
	s_waitcnt vmcnt(0)
	v_div_scale_f32 v5, s[12:13], v1, v1, 1.0
	v_div_scale_f32 v6, vcc, 1.0, v1, 1.0
	v_rcp_f32_e32 v13, v5
	v_fma_f32 v14, -v5, v13, 1.0
	v_fmac_f32_e32 v13, v14, v13
	v_mul_f32_e32 v14, v6, v13
	v_fma_f32 v15, -v5, v14, v6
	v_fmac_f32_e32 v14, v15, v13
	v_fma_f32 v5, -v5, v14, v6
	v_div_fmas_f32 v5, v5, v13, v14
	v_div_fixup_f32 v1, v5, v1, 1.0
.LBB11_29:
	s_or_b64 exec, exec, s[10:11]
	s_and_b64 s[10:11], s[8:9], exec
                                        ; implicit-def: $vgpr5_vgpr6
.LBB11_30:
	s_or_saveexec_b64 s[2:3], s[2:3]
	v_add_u32_e32 v13, v12, v11
	v_lshl_add_u32 v12, v12, 6, v0
	s_xor_b64 exec, exec, s[2:3]
	s_cbranch_execz .LBB11_32
; %bb.31:
	v_lshlrev_b64 v[5:6], 2, v[5:6]
	v_mov_b32_e32 v1, s92
	v_add_co_u32_e32 v5, vcc, s91, v5
	v_addc_co_u32_e32 v6, vcc, v1, v6, vcc
	global_load_dword v1, v[5:6], off
	s_or_b64 s[10:11], s[10:11], exec
	s_waitcnt vmcnt(0)
	v_xor_b32_e32 v1, 0x80000000, v1
.LBB11_32:
	s_or_b64 exec, exec, s[2:3]
	v_cndmask_b32_e64 v5, v12, v13, s[0:1]
	s_branch .LBB11_55
.LBB11_33:
	s_mov_b64 s[10:11], 0
                                        ; implicit-def: $vgpr1
                                        ; implicit-def: $vgpr5
	s_and_b64 vcc, exec, s[12:13]
	s_cbranch_vccz .LBB11_55
; %bb.34:
	v_mad_u64_u32 v[5:6], s[2:3], s40, v2, v[3:4]
	v_cmp_le_u32_e32 vcc, v0, v2
	v_cmp_gt_i32_e64 s[2:3], s90, v0
	v_mov_b32_e32 v1, v6
	v_mad_u64_u32 v[12:13], s[8:9], s41, v2, v[1:2]
	v_max_i32_e32 v1, v2, v0
	v_cmp_le_i32_e64 s[8:9], s90, v1
	v_mov_b32_e32 v6, v12
	s_or_b64 s[8:9], s[8:9], vcc
	s_mov_b64 s[12:13], 0
                                        ; implicit-def: $vgpr1
	s_and_saveexec_b64 s[14:15], s[8:9]
	s_xor_b64 s[8:9], exec, s[14:15]
	s_cbranch_execnz .LBB11_1183
; %bb.35:
	s_andn2_saveexec_b64 s[8:9], s[8:9]
	s_cbranch_execnz .LBB11_1188
.LBB11_36:
	s_or_b64 exec, exec, s[8:9]
	s_and_saveexec_b64 s[8:9], s[12:13]
.LBB11_37:
	v_lshlrev_b32_e32 v5, 2, v11
	v_lshl_add_u32 v5, v2, 2, v5
	ds_write_b32 v5, v1
.LBB11_38:
	s_or_b64 exec, exec, s[8:9]
	v_add_u32_e32 v1, 16, v2
	v_mad_u64_u32 v[5:6], s[8:9], s40, v1, v[3:4]
	v_cmp_gt_u32_e32 vcc, v0, v1
	s_mov_b64 s[12:13], 0
	v_mad_u64_u32 v[12:13], s[8:9], s41, v1, v[6:7]
	v_cmp_gt_i32_e64 s[8:9], s90, v1
	s_and_b64 s[8:9], vcc, s[8:9]
	s_and_b64 s[8:9], s[2:3], s[8:9]
	v_mov_b32_e32 v6, v12
	s_xor_b64 s[8:9], s[8:9], -1
                                        ; implicit-def: $vgpr12
	s_and_saveexec_b64 s[14:15], s[8:9]
	s_xor_b64 s[8:9], exec, s[14:15]
	s_cbranch_execnz .LBB11_1189
; %bb.39:
	s_andn2_saveexec_b64 s[8:9], s[8:9]
	s_cbranch_execnz .LBB11_1194
.LBB11_40:
	s_or_b64 exec, exec, s[8:9]
	s_and_saveexec_b64 s[8:9], s[12:13]
.LBB11_41:
	v_add_u32_e32 v5, v1, v11
	v_lshl_add_u32 v1, v1, 6, v0
	v_cndmask_b32_e64 v1, v1, v5, s[0:1]
	v_lshlrev_b32_e32 v1, 2, v1
	ds_write_b32 v1, v12
.LBB11_42:
	s_or_b64 exec, exec, s[8:9]
	v_add_u32_e32 v1, 32, v2
	v_mad_u64_u32 v[5:6], s[8:9], s40, v1, v[3:4]
	v_cmp_gt_u32_e32 vcc, v0, v1
	s_mov_b64 s[12:13], 0
	v_mad_u64_u32 v[12:13], s[8:9], s41, v1, v[6:7]
	v_cmp_gt_i32_e64 s[8:9], s90, v1
	s_and_b64 s[8:9], vcc, s[8:9]
	s_and_b64 s[8:9], s[2:3], s[8:9]
	v_mov_b32_e32 v6, v12
	s_xor_b64 s[8:9], s[8:9], -1
                                        ; implicit-def: $vgpr12
	s_and_saveexec_b64 s[14:15], s[8:9]
	s_xor_b64 s[8:9], exec, s[14:15]
	s_cbranch_execnz .LBB11_1195
; %bb.43:
	s_andn2_saveexec_b64 s[8:9], s[8:9]
	s_cbranch_execnz .LBB11_1200
.LBB11_44:
	s_or_b64 exec, exec, s[8:9]
	s_and_saveexec_b64 s[8:9], s[12:13]
.LBB11_45:
	v_add_u32_e32 v5, v1, v11
	v_lshl_add_u32 v1, v1, 6, v0
	v_cndmask_b32_e64 v1, v1, v5, s[0:1]
	v_lshlrev_b32_e32 v1, 2, v1
	ds_write_b32 v1, v12
.LBB11_46:
	s_or_b64 exec, exec, s[8:9]
	v_add_u32_e32 v5, 48, v2
	v_mad_u64_u32 v[3:4], s[8:9], s40, v5, v[3:4]
	v_cmp_gt_u32_e32 vcc, v0, v5
	v_mov_b32_e32 v1, v4
	v_mad_u64_u32 v[12:13], s[8:9], s41, v5, v[1:2]
	v_cmp_gt_i32_e64 s[8:9], s90, v5
	s_and_b64 s[8:9], vcc, s[8:9]
	s_and_b64 s[8:9], s[2:3], s[8:9]
	v_mov_b32_e32 v4, v12
	s_xor_b64 s[8:9], s[8:9], -1
                                        ; implicit-def: $vgpr1
	s_and_saveexec_b64 s[12:13], s[8:9]
	s_xor_b64 s[8:9], exec, s[12:13]
	s_cbranch_execz .LBB11_52
; %bb.47:
	v_cmp_ne_u32_e32 vcc, v0, v5
	s_xor_b64 s[2:3], s[2:3], -1
	s_or_b64 s[12:13], s[2:3], vcc
	s_mov_b64 s[2:3], s[10:11]
	s_and_saveexec_b64 s[14:15], s[12:13]
	s_xor_b64 s[12:13], exec, s[14:15]
; %bb.48:
	v_or_b32_e32 v1, v5, v0
	v_cmp_gt_u32_e32 vcc, 64, v1
	s_andn2_b64 s[2:3], s[10:11], exec
	s_and_b64 s[14:15], vcc, exec
	s_or_b64 s[2:3], s[2:3], s[14:15]
                                        ; implicit-def: $vgpr3_vgpr4
; %bb.49:
	s_or_saveexec_b64 s[12:13], s[12:13]
	v_mov_b32_e32 v1, 0
	s_xor_b64 exec, exec, s[12:13]
	s_cbranch_execz .LBB11_51
; %bb.50:
	v_lshlrev_b64 v[3:4], 2, v[3:4]
	v_mov_b32_e32 v1, s92
	v_add_co_u32_e32 v3, vcc, s91, v3
	v_addc_co_u32_e32 v4, vcc, v1, v4, vcc
	global_load_dword v1, v[3:4], off
	s_or_b64 s[2:3], s[2:3], exec
	s_waitcnt vmcnt(0)
	v_div_scale_f32 v3, s[14:15], v1, v1, 1.0
	v_div_scale_f32 v4, vcc, 1.0, v1, 1.0
	v_rcp_f32_e32 v6, v3
	v_fma_f32 v12, -v3, v6, 1.0
	v_fmac_f32_e32 v6, v12, v6
	v_mul_f32_e32 v12, v4, v6
	v_fma_f32 v13, -v3, v12, v4
	v_fmac_f32_e32 v12, v13, v6
	v_fma_f32 v3, -v3, v12, v4
	v_div_fmas_f32 v3, v3, v6, v12
	v_div_fixup_f32 v1, v3, v1, 1.0
.LBB11_51:
	s_or_b64 exec, exec, s[12:13]
	s_andn2_b64 s[10:11], s[10:11], exec
	s_and_b64 s[2:3], s[2:3], exec
	s_or_b64 s[10:11], s[10:11], s[2:3]
                                        ; implicit-def: $vgpr3_vgpr4
.LBB11_52:
	s_or_saveexec_b64 s[2:3], s[8:9]
	v_add_u32_e32 v6, v5, v11
	v_lshl_add_u32 v5, v5, 6, v0
	s_xor_b64 exec, exec, s[2:3]
	s_cbranch_execz .LBB11_54
; %bb.53:
	v_lshlrev_b64 v[3:4], 2, v[3:4]
	v_mov_b32_e32 v1, s92
	v_add_co_u32_e32 v3, vcc, s91, v3
	v_addc_co_u32_e32 v4, vcc, v1, v4, vcc
	global_load_dword v1, v[3:4], off
	s_or_b64 s[10:11], s[10:11], exec
	s_waitcnt vmcnt(0)
	v_xor_b32_e32 v1, 0x80000000, v1
.LBB11_54:
	s_or_b64 exec, exec, s[2:3]
	v_cndmask_b32_e64 v5, v5, v6, s[0:1]
.LBB11_55:
	s_xor_b64 s[0:1], s[0:1], -1
	s_and_saveexec_b64 s[2:3], s[10:11]
; %bb.56:
	v_lshlrev_b32_e32 v3, 2, v5
	ds_write_b32 v3, v1
; %bb.57:
	s_or_b64 exec, exec, s[2:3]
	v_cndmask_b32_e64 v1, 0, 1, s[0:1]
	v_cmp_ne_u32_e64 s[58:59], 1, v1
	s_andn2_b64 vcc, exec, s[0:1]
	s_waitcnt vmcnt(0) lgkmcnt(0)
	s_barrier
	s_cbranch_vccnz .LBB11_1095
; %bb.58:
	v_or_b32_e32 v1, v0, v2
	v_cmp_eq_u32_e32 vcc, 0, v1
	s_and_saveexec_b64 s[0:1], vcc
	s_cbranch_execz .LBB11_60
; %bb.59:
	v_mov_b32_e32 v1, 0
	ds_read_b64 v[3:4], v1
	ds_read_b32 v5, v1 offset:260
	s_waitcnt lgkmcnt(0)
	v_mul_f32_e32 v3, v3, v5
	v_mul_f32_e32 v3, v4, v3
	ds_write2_b32 v1, v3, v3 offset0:1 offset1:64
.LBB11_60:
	s_or_b64 exec, exec, s[0:1]
	v_lshl_add_u32 v4, v2, 6, v0
	v_and_b32_e32 v11, 1, v0
	v_lshrrev_b32_e32 v5, 1, v4
	v_lshlrev_b32_e32 v1, 2, v11
	v_cmp_lt_u32_e64 s[8:9], 3, v4
	v_cmp_gt_u32_e64 s[2:3], 4, v4
	v_lshl_or_b32 v1, v5, 8, v1
	v_mov_b32_e32 v6, 0
	s_waitcnt lgkmcnt(0)
	s_barrier
	s_and_saveexec_b64 s[0:1], s[2:3]
	s_cbranch_execz .LBB11_64
; %bb.61:
	v_mul_u32_u24_e32 v3, 0x104, v5
	ds_read_b32 v12, v1 offset:8
	ds_read_b32 v3, v3
	v_mov_b32_e32 v6, 0
	v_cmp_gt_u32_e64 s[10:11], 2, v4
	s_waitcnt lgkmcnt(0)
	v_fma_f32 v3, v12, v3, 0
	s_and_saveexec_b64 s[12:13], s[10:11]
	s_cbranch_execz .LBB11_63
; %bb.62:
	v_lshlrev_b32_e32 v12, 2, v0
	ds_read_b32 v12, v12 offset:264
	ds_read_b32 v6, v6 offset:4
	s_waitcnt lgkmcnt(0)
	v_fmac_f32_e32 v3, v12, v6
.LBB11_63:
	s_or_b64 exec, exec, s[12:13]
	v_xor_b32_e32 v6, 0x80000000, v3
.LBB11_64:
                                        ; implicit-def: $vgpr33 : SGPR spill to VGPR lane
	v_writelane_b32 v33, s31, 0
	s_or_b64 exec, exec, s[0:1]
	v_mov_b32_e32 v3, 0x4000
	v_cmp_eq_u32_e64 s[10:11], 0, v11
	s_xor_b64 s[0:1], s[8:9], -1
	v_lshl_add_u32 v3, v5, 2, v3
	s_and_b64 s[30:31], s[10:11], s[0:1]
	s_and_saveexec_b64 s[8:9], s[30:31]
	s_cbranch_execz .LBB11_66
; %bb.65:
	v_mov_b32_e32 v12, 0
	ds_read_b32 v12, v12 offset:520
	s_waitcnt lgkmcnt(0)
	v_mul_f32_e32 v6, v6, v12
	ds_write_b32 v3, v6
.LBB11_66:
	s_or_b64 exec, exec, s[8:9]
	v_cmp_ne_u32_e64 s[8:9], 0, v11
	s_and_b64 s[28:29], s[8:9], s[0:1]
	s_waitcnt lgkmcnt(0)
	s_barrier
	s_and_saveexec_b64 s[0:1], s[28:29]
	s_cbranch_execz .LBB11_68
; %bb.67:
	v_mov_b32_e32 v11, 0
	ds_read_b32 v11, v11 offset:524
	ds_read_b32 v12, v3
	s_waitcnt lgkmcnt(0)
	v_fmac_f32_e32 v6, v11, v12
.LBB11_68:
	s_or_b64 exec, exec, s[0:1]
	s_barrier
	s_and_saveexec_b64 s[0:1], s[28:29]
	s_cbranch_execz .LBB11_70
; %bb.69:
	v_mov_b32_e32 v11, 0
	ds_read_b32 v11, v11 offset:780
	s_waitcnt lgkmcnt(0)
	v_mul_f32_e32 v6, v6, v11
	ds_write_b32 v3, v6
.LBB11_70:
	s_or_b64 exec, exec, s[0:1]
	s_waitcnt lgkmcnt(0)
	s_barrier
	s_barrier
	s_and_saveexec_b64 s[0:1], s[2:3]
; %bb.71:
	v_xor_b32_e32 v6, 0x80000000, v6
	ds_write_b32 v1, v6 offset:8
; %bb.72:
	s_or_b64 exec, exec, s[0:1]
	v_cmp_eq_u32_e64 s[12:13], 0, v2
	v_cmp_gt_u32_e64 s[8:9], 2, v0
	s_and_b64 s[34:35], s[12:13], s[8:9]
	s_waitcnt lgkmcnt(0)
	s_barrier
	s_barrier
	s_and_saveexec_b64 s[0:1], s[34:35]
	s_cbranch_execz .LBB11_74
; %bb.73:
	v_lshlrev_b32_e32 v6, 2, v0
	s_movk_i32 s8, 0xfc
	v_mad_u32_u24 v11, v0, s8, v6
	ds_read_b32 v12, v11 offset:8
	s_waitcnt lgkmcnt(0)
	ds_write_b32 v6, v12 offset:512
	ds_read_b32 v11, v11 offset:12
	s_waitcnt lgkmcnt(0)
	ds_write_b32 v6, v11 offset:768
.LBB11_74:
	s_or_b64 exec, exec, s[0:1]
	s_waitcnt lgkmcnt(0)
	s_barrier
	s_and_saveexec_b64 s[0:1], vcc
	s_cbranch_execz .LBB11_76
; %bb.75:
	v_mov_b32_e32 v6, 0
	ds_read_b64 v[11:12], v6 offset:520
	ds_read_b32 v13, v6 offset:780
	s_waitcnt lgkmcnt(0)
	v_mul_f32_e32 v11, v11, v13
	v_mul_f32_e32 v11, v12, v11
	ds_write2_b32 v6, v11, v11 offset0:131 offset1:194
.LBB11_76:
	s_or_b64 exec, exec, s[0:1]
	v_and_b32_e32 v13, 3, v0
	v_lshrrev_b32_e32 v14, 2, v4
	v_lshlrev_b32_e32 v11, 2, v13
	v_cmp_lt_u32_e64 s[8:9], 15, v4
	v_cmp_gt_u32_e64 s[18:19], 16, v4
	v_lshl_or_b32 v6, v14, 8, v11
	v_mov_b32_e32 v15, 0
	s_waitcnt lgkmcnt(0)
	s_barrier
	s_and_saveexec_b64 s[0:1], s[18:19]
	s_cbranch_execz .LBB11_82
; %bb.77:
	v_mul_u32_u24_e32 v15, 0x104, v14
	ds_read_b32 v12, v6 offset:16
	ds_read_b32 v16, v15
	v_cmp_gt_u32_e64 s[10:11], 12, v4
	s_waitcnt lgkmcnt(0)
	v_fma_f32 v12, v12, v16, 0
	s_and_saveexec_b64 s[14:15], s[10:11]
	s_cbranch_execnz .LBB11_1205
; %bb.78:
	s_or_b64 exec, exec, s[14:15]
	v_cmp_gt_u32_e64 s[10:11], 8, v4
	s_and_saveexec_b64 s[14:15], s[10:11]
	s_cbranch_execnz .LBB11_1206
.LBB11_79:
	s_or_b64 exec, exec, s[14:15]
	v_cmp_gt_u32_e64 s[10:11], 4, v4
	s_and_saveexec_b64 s[14:15], s[10:11]
	s_cbranch_execz .LBB11_81
.LBB11_80:
	v_lshlrev_b32_e32 v15, 2, v0
	v_mov_b32_e32 v16, 0
	ds_read_b32 v15, v15 offset:784
	ds_read_b32 v16, v16 offset:12
	s_waitcnt lgkmcnt(0)
	v_fmac_f32_e32 v12, v15, v16
.LBB11_81:
	s_or_b64 exec, exec, s[14:15]
	v_xor_b32_e32 v15, 0x80000000, v12
.LBB11_82:
	v_writelane_b32 v33, s38, 1
	s_or_b64 exec, exec, s[0:1]
	v_mov_b32_e32 v12, 0x4000
	v_cmp_eq_u32_e64 s[10:11], 0, v13
	s_xor_b64 s[0:1], s[8:9], -1
	v_lshl_add_u32 v12, v14, 2, v12
	s_and_b64 s[38:39], s[10:11], s[0:1]
	s_and_saveexec_b64 s[8:9], s[38:39]
	s_cbranch_execz .LBB11_84
; %bb.83:
	v_mov_b32_e32 v16, 0
	ds_read_b32 v16, v16 offset:1040
	s_waitcnt lgkmcnt(0)
	v_mul_f32_e32 v15, v15, v16
	ds_write_b32 v12, v15
.LBB11_84:
	s_or_b64 exec, exec, s[8:9]
	v_cmp_ne_u32_e64 s[8:9], 0, v13
	s_and_b64 s[42:43], s[8:9], s[0:1]
	s_waitcnt lgkmcnt(0)
	s_barrier
	s_and_saveexec_b64 s[8:9], s[42:43]
	s_cbranch_execz .LBB11_86
; %bb.85:
	ds_read_b32 v16, v11 offset:1040
	ds_read_b32 v17, v12
	s_waitcnt lgkmcnt(0)
	v_fmac_f32_e32 v15, v16, v17
.LBB11_86:
	s_or_b64 exec, exec, s[8:9]
	v_cmp_eq_u32_e64 s[8:9], 1, v13
	s_and_b64 s[44:45], s[8:9], s[0:1]
	s_barrier
	s_and_saveexec_b64 s[8:9], s[44:45]
	s_cbranch_execz .LBB11_88
; %bb.87:
	v_mov_b32_e32 v16, 0
	ds_read_b32 v16, v16 offset:1300
	s_waitcnt lgkmcnt(0)
	v_mul_f32_e32 v15, v15, v16
	ds_write_b32 v12, v15
.LBB11_88:
	s_or_b64 exec, exec, s[8:9]
	v_cmp_lt_u32_e64 s[8:9], 1, v13
	s_and_b64 s[52:53], s[8:9], s[0:1]
	s_waitcnt lgkmcnt(0)
	s_barrier
	s_and_saveexec_b64 s[8:9], s[52:53]
	s_cbranch_execz .LBB11_90
; %bb.89:
	ds_read_b32 v16, v11 offset:1296
	ds_read_b32 v17, v12
	s_waitcnt lgkmcnt(0)
	v_fmac_f32_e32 v15, v16, v17
.LBB11_90:
	s_or_b64 exec, exec, s[8:9]
	v_cmp_eq_u32_e64 s[8:9], 2, v13
	s_and_b64 s[54:55], s[8:9], s[0:1]
	s_barrier
	s_and_saveexec_b64 s[8:9], s[54:55]
	s_cbranch_execz .LBB11_92
; %bb.91:
	v_mov_b32_e32 v16, 0
	ds_read_b32 v16, v16 offset:1560
	s_waitcnt lgkmcnt(0)
	v_mul_f32_e32 v15, v15, v16
	ds_write_b32 v12, v15
.LBB11_92:
	s_or_b64 exec, exec, s[8:9]
	v_cmp_eq_u32_e64 s[8:9], 3, v13
	s_and_b64 s[36:37], s[8:9], s[0:1]
	s_waitcnt lgkmcnt(0)
	s_barrier
	s_and_saveexec_b64 s[0:1], s[36:37]
	s_cbranch_execz .LBB11_94
; %bb.93:
	v_mov_b32_e32 v16, 0
	ds_read_b32 v16, v16 offset:1564
	ds_read_b32 v17, v12
	s_waitcnt lgkmcnt(0)
	v_fmac_f32_e32 v15, v16, v17
.LBB11_94:
	s_or_b64 exec, exec, s[0:1]
	s_barrier
	s_and_saveexec_b64 s[0:1], s[36:37]
	s_cbranch_execz .LBB11_96
; %bb.95:
	v_mov_b32_e32 v16, 0
	ds_read_b32 v16, v16 offset:1820
	s_waitcnt lgkmcnt(0)
	v_mul_f32_e32 v15, v15, v16
	ds_write_b32 v12, v15
.LBB11_96:
	s_or_b64 exec, exec, s[0:1]
	s_waitcnt lgkmcnt(0)
	s_barrier
	s_barrier
	s_and_saveexec_b64 s[0:1], s[18:19]
; %bb.97:
	v_xor_b32_e32 v15, 0x80000000, v15
	ds_write_b32 v6, v15 offset:16
; %bb.98:
	s_or_b64 exec, exec, s[0:1]
	v_cmp_gt_u32_e64 s[8:9], 4, v0
	s_and_b64 s[56:57], s[12:13], s[8:9]
	s_waitcnt lgkmcnt(0)
	s_barrier
	s_barrier
	s_and_saveexec_b64 s[0:1], s[56:57]
	s_cbranch_execz .LBB11_100
; %bb.99:
	v_lshlrev_b32_e32 v15, 8, v0
	ds_read_b32 v16, v15 offset:16
	s_movk_i32 s8, 0xff04
	v_mad_i32_i24 v17, v0, s8, v15
	s_waitcnt lgkmcnt(0)
	ds_write_b32 v17, v16 offset:1024
	ds_read_b32 v16, v15 offset:20
	s_waitcnt lgkmcnt(0)
	ds_write_b32 v17, v16 offset:1280
	ds_read_b32 v16, v15 offset:24
	;; [unrolled: 3-line block ×3, first 2 shown]
	s_waitcnt lgkmcnt(0)
	ds_write_b32 v17, v15 offset:1792
.LBB11_100:
	s_or_b64 exec, exec, s[0:1]
	s_waitcnt lgkmcnt(0)
	s_barrier
	s_and_saveexec_b64 s[0:1], vcc
	s_cbranch_execz .LBB11_102
; %bb.101:
	v_mov_b32_e32 v17, 0
	ds_read_b64 v[15:16], v17 offset:1040
	ds_read_b32 v17, v17 offset:1300
	s_movk_i32 s8, 0x400
	s_waitcnt lgkmcnt(0)
	v_mul_f32_e32 v15, v15, v17
	v_mul_f32_e32 v15, v16, v15
	v_add_u32_e64 v16, s8, 0
	ds_write2_b32 v16, v15, v15 offset0:5 offset1:68
.LBB11_102:
	s_or_b64 exec, exec, s[0:1]
	v_mov_b32_e32 v15, 0
	s_waitcnt lgkmcnt(0)
	s_barrier
	s_and_saveexec_b64 s[0:1], s[2:3]
	s_cbranch_execz .LBB11_106
; %bb.103:
	v_mul_u32_u24_e32 v15, 0x104, v5
	ds_read_b32 v17, v1 offset:1048
	ds_read_b32 v15, v15 offset:1040
	v_mov_b32_e32 v16, 0
	v_cmp_gt_u32_e64 s[8:9], 2, v4
	s_waitcnt lgkmcnt(0)
	v_fma_f32 v15, v17, v15, 0
	s_and_saveexec_b64 s[10:11], s[8:9]
	s_cbranch_execz .LBB11_105
; %bb.104:
	v_lshlrev_b32_e32 v17, 2, v0
	ds_read_b32 v17, v17 offset:1304
	ds_read_b32 v16, v16 offset:1044
	s_waitcnt lgkmcnt(0)
	v_fmac_f32_e32 v15, v17, v16
.LBB11_105:
	s_or_b64 exec, exec, s[10:11]
	v_xor_b32_e32 v15, 0x80000000, v15
.LBB11_106:
	s_or_b64 exec, exec, s[0:1]
	s_and_saveexec_b64 s[0:1], s[30:31]
	s_cbranch_execz .LBB11_108
; %bb.107:
	v_mov_b32_e32 v16, 0
	ds_read_b32 v16, v16 offset:1560
	s_waitcnt lgkmcnt(0)
	v_mul_f32_e32 v15, v15, v16
	ds_write_b32 v3, v15
.LBB11_108:
	s_or_b64 exec, exec, s[0:1]
	s_waitcnt lgkmcnt(0)
	s_barrier
	s_and_saveexec_b64 s[0:1], s[28:29]
	s_cbranch_execz .LBB11_110
; %bb.109:
	v_mov_b32_e32 v16, 0
	ds_read_b32 v16, v16 offset:1564
	ds_read_b32 v17, v3
	s_waitcnt lgkmcnt(0)
	v_fmac_f32_e32 v15, v16, v17
.LBB11_110:
	s_or_b64 exec, exec, s[0:1]
	s_barrier
	s_and_saveexec_b64 s[0:1], s[28:29]
	s_cbranch_execz .LBB11_112
; %bb.111:
	v_mov_b32_e32 v16, 0
	ds_read_b32 v16, v16 offset:1820
	s_waitcnt lgkmcnt(0)
	v_mul_f32_e32 v15, v15, v16
	ds_write_b32 v3, v15
.LBB11_112:
	s_or_b64 exec, exec, s[0:1]
	s_waitcnt lgkmcnt(0)
	s_barrier
	s_barrier
	s_and_saveexec_b64 s[0:1], s[2:3]
; %bb.113:
	v_xor_b32_e32 v15, 0x80000000, v15
	ds_write_b32 v1, v15 offset:1048
; %bb.114:
	s_or_b64 exec, exec, s[0:1]
	s_waitcnt lgkmcnt(0)
	s_barrier
	s_barrier
	s_and_saveexec_b64 s[0:1], s[34:35]
	s_cbranch_execz .LBB11_116
; %bb.115:
	v_lshlrev_b32_e32 v15, 2, v0
	s_movk_i32 s8, 0xfc
	v_mad_u32_u24 v16, v0, s8, v15
	ds_read_b32 v17, v16 offset:1048
	s_waitcnt lgkmcnt(0)
	ds_write_b32 v15, v17 offset:1552
	ds_read_b32 v16, v16 offset:1052
	s_waitcnt lgkmcnt(0)
	ds_write_b32 v15, v16 offset:1808
.LBB11_116:
	s_or_b64 exec, exec, s[0:1]
	s_waitcnt lgkmcnt(0)
	s_barrier
	s_and_saveexec_b64 s[0:1], vcc
	s_cbranch_execz .LBB11_118
; %bb.117:
	v_mov_b32_e32 v17, 0
	ds_read_b64 v[15:16], v17 offset:1560
	ds_read_b32 v17, v17 offset:1820
	s_movk_i32 s8, 0x400
	s_waitcnt lgkmcnt(0)
	v_mul_f32_e32 v15, v15, v17
	v_mul_f32_e32 v15, v16, v15
	v_add_u32_e64 v16, s8, 0
	ds_write2_b32 v16, v15, v15 offset0:135 offset1:198
.LBB11_118:
	s_or_b64 exec, exec, s[0:1]
	v_and_b32_e32 v18, 7, v0
	v_lshrrev_b32_e32 v19, 3, v4
	v_lshlrev_b32_e32 v16, 2, v18
	v_cmp_lt_u32_e64 s[10:11], 63, v4
	v_cmp_gt_u32_e64 s[8:9], 64, v4
	v_lshl_or_b32 v15, v19, 8, v16
	v_mov_b32_e32 v20, 0
	s_waitcnt lgkmcnt(0)
	s_barrier
	s_and_saveexec_b64 s[0:1], s[8:9]
	s_cbranch_execz .LBB11_128
; %bb.119:
	v_mul_u32_u24_e32 v20, 0x104, v19
	ds_read_b32 v17, v15 offset:32
	ds_read_b32 v21, v20
	v_cmp_gt_u32_e64 s[14:15], 56, v4
	s_waitcnt lgkmcnt(0)
	v_fma_f32 v17, v17, v21, 0
	s_and_saveexec_b64 s[16:17], s[14:15]
	s_cbranch_execnz .LBB11_1207
; %bb.120:
	s_or_b64 exec, exec, s[16:17]
	v_cmp_gt_u32_e64 s[14:15], 48, v4
	s_and_saveexec_b64 s[16:17], s[14:15]
	s_cbranch_execnz .LBB11_1208
.LBB11_121:
	s_or_b64 exec, exec, s[16:17]
	v_cmp_gt_u32_e64 s[14:15], 40, v4
	s_and_saveexec_b64 s[16:17], s[14:15]
	s_cbranch_execnz .LBB11_1209
.LBB11_122:
	s_or_b64 exec, exec, s[16:17]
	v_cmp_gt_u32_e64 s[14:15], 32, v4
	s_and_saveexec_b64 s[16:17], s[14:15]
	s_cbranch_execnz .LBB11_1210
.LBB11_123:
	s_or_b64 exec, exec, s[16:17]
	v_cmp_gt_u32_e64 s[14:15], 24, v4
	s_and_saveexec_b64 s[16:17], s[14:15]
	s_cbranch_execnz .LBB11_1211
.LBB11_124:
	s_or_b64 exec, exec, s[16:17]
	v_cmp_gt_u32_e64 s[14:15], 16, v4
	s_and_saveexec_b64 s[16:17], s[14:15]
	s_cbranch_execnz .LBB11_1212
.LBB11_125:
	s_or_b64 exec, exec, s[16:17]
	v_cmp_gt_u32_e64 s[14:15], 8, v4
	s_and_saveexec_b64 s[16:17], s[14:15]
	s_cbranch_execz .LBB11_127
.LBB11_126:
	v_lshlrev_b32_e32 v20, 2, v0
	v_mov_b32_e32 v21, 0
	ds_read_b32 v20, v20 offset:1824
	ds_read_b32 v21, v21 offset:28
	s_waitcnt lgkmcnt(0)
	v_fmac_f32_e32 v17, v20, v21
.LBB11_127:
	s_or_b64 exec, exec, s[16:17]
	v_xor_b32_e32 v20, 0x80000000, v17
.LBB11_128:
	v_writelane_b32 v33, s58, 2
	v_writelane_b32 v33, s59, 3
	s_or_b64 exec, exec, s[0:1]
	v_mov_b32_e32 v17, 0x4000
	v_cmp_eq_u32_e64 s[14:15], 0, v18
	s_xor_b64 s[0:1], s[10:11], -1
	v_lshl_add_u32 v17, v19, 2, v17
	s_and_b64 s[58:59], s[14:15], s[0:1]
	s_and_saveexec_b64 s[10:11], s[58:59]
	s_cbranch_execz .LBB11_130
; %bb.129:
	v_mov_b32_e32 v21, 0
	ds_read_b32 v21, v21 offset:2080
	s_waitcnt lgkmcnt(0)
	v_mul_f32_e32 v20, v20, v21
	ds_write_b32 v17, v20
.LBB11_130:
	s_or_b64 exec, exec, s[10:11]
	v_cmp_ne_u32_e64 s[10:11], 0, v18
	s_and_b64 s[60:61], s[10:11], s[0:1]
	s_waitcnt lgkmcnt(0)
	s_barrier
	s_and_saveexec_b64 s[10:11], s[60:61]
	s_cbranch_execz .LBB11_132
; %bb.131:
	ds_read_b32 v21, v16 offset:2080
	ds_read_b32 v22, v17
	s_waitcnt lgkmcnt(0)
	v_fmac_f32_e32 v20, v21, v22
.LBB11_132:
	s_or_b64 exec, exec, s[10:11]
	v_cmp_eq_u32_e64 s[10:11], 1, v18
	s_and_b64 s[62:63], s[10:11], s[0:1]
	s_barrier
	s_and_saveexec_b64 s[10:11], s[62:63]
	s_cbranch_execz .LBB11_134
; %bb.133:
	v_mov_b32_e32 v21, 0
	ds_read_b32 v21, v21 offset:2340
	s_waitcnt lgkmcnt(0)
	v_mul_f32_e32 v20, v20, v21
	ds_write_b32 v17, v20
.LBB11_134:
	s_or_b64 exec, exec, s[10:11]
	v_cmp_lt_u32_e64 s[10:11], 1, v18
	s_and_b64 s[64:65], s[10:11], s[0:1]
	s_waitcnt lgkmcnt(0)
	s_barrier
	s_and_saveexec_b64 s[10:11], s[64:65]
	s_cbranch_execz .LBB11_136
; %bb.135:
	ds_read_b32 v21, v16 offset:2336
	ds_read_b32 v22, v17
	s_waitcnt lgkmcnt(0)
	v_fmac_f32_e32 v20, v21, v22
.LBB11_136:
	s_or_b64 exec, exec, s[10:11]
	v_cmp_eq_u32_e64 s[10:11], 2, v18
	s_and_b64 s[68:69], s[10:11], s[0:1]
	s_barrier
	s_and_saveexec_b64 s[10:11], s[68:69]
	s_cbranch_execz .LBB11_138
; %bb.137:
	v_mov_b32_e32 v21, 0
	ds_read_b32 v21, v21 offset:2600
	s_waitcnt lgkmcnt(0)
	v_mul_f32_e32 v20, v20, v21
	ds_write_b32 v17, v20
.LBB11_138:
	s_or_b64 exec, exec, s[10:11]
	v_cmp_lt_u32_e64 s[10:11], 2, v18
	;; [unrolled: 26-line block ×5, first 2 shown]
	s_and_b64 s[82:83], s[10:11], s[0:1]
	s_waitcnt lgkmcnt(0)
	s_barrier
	s_and_saveexec_b64 s[10:11], s[82:83]
	s_cbranch_execz .LBB11_152
; %bb.151:
	ds_read_b32 v21, v16 offset:3360
	ds_read_b32 v22, v17
	s_waitcnt lgkmcnt(0)
	v_fmac_f32_e32 v20, v21, v22
.LBB11_152:
	s_or_b64 exec, exec, s[10:11]
	v_cmp_eq_u32_e64 s[10:11], 6, v18
	s_and_b64 s[84:85], s[10:11], s[0:1]
	s_barrier
	s_and_saveexec_b64 s[10:11], s[84:85]
	s_cbranch_execz .LBB11_154
; %bb.153:
	v_mov_b32_e32 v21, 0
	ds_read_b32 v21, v21 offset:3640
	s_waitcnt lgkmcnt(0)
	v_mul_f32_e32 v20, v20, v21
	ds_write_b32 v17, v20
.LBB11_154:
	s_or_b64 exec, exec, s[10:11]
	v_cmp_eq_u32_e64 s[10:11], 7, v18
	s_and_b64 s[66:67], s[10:11], s[0:1]
	s_waitcnt lgkmcnt(0)
	s_barrier
	s_and_saveexec_b64 s[0:1], s[66:67]
	s_cbranch_execz .LBB11_156
; %bb.155:
	v_mov_b32_e32 v21, 0
	ds_read_b32 v21, v21 offset:3644
	ds_read_b32 v22, v17
	s_waitcnt lgkmcnt(0)
	v_fmac_f32_e32 v20, v21, v22
.LBB11_156:
	s_or_b64 exec, exec, s[0:1]
	s_barrier
	s_and_saveexec_b64 s[0:1], s[66:67]
	s_cbranch_execz .LBB11_158
; %bb.157:
	v_mov_b32_e32 v21, 0
	ds_read_b32 v21, v21 offset:3900
	s_waitcnt lgkmcnt(0)
	v_mul_f32_e32 v20, v20, v21
	ds_write_b32 v17, v20
.LBB11_158:
	s_or_b64 exec, exec, s[0:1]
	s_waitcnt lgkmcnt(0)
	s_barrier
	s_barrier
	s_and_saveexec_b64 s[0:1], s[8:9]
; %bb.159:
	v_xor_b32_e32 v20, 0x80000000, v20
	ds_write_b32 v15, v20 offset:32
; %bb.160:
	s_or_b64 exec, exec, s[0:1]
	v_cmp_gt_u32_e64 s[10:11], 8, v0
	s_and_b64 s[86:87], s[12:13], s[10:11]
	s_waitcnt lgkmcnt(0)
	s_barrier
	s_barrier
	s_and_saveexec_b64 s[0:1], s[86:87]
	s_cbranch_execz .LBB11_162
; %bb.161:
	v_lshlrev_b32_e32 v20, 8, v0
	ds_read_b32 v21, v20 offset:32
	s_movk_i32 s10, 0xff04
	v_mad_i32_i24 v22, v0, s10, v20
	s_waitcnt lgkmcnt(0)
	ds_write_b32 v22, v21 offset:2048
	ds_read_b32 v21, v20 offset:36
	s_waitcnt lgkmcnt(0)
	ds_write_b32 v22, v21 offset:2304
	ds_read_b32 v21, v20 offset:40
	;; [unrolled: 3-line block ×7, first 2 shown]
	s_waitcnt lgkmcnt(0)
	ds_write_b32 v22, v20 offset:3840
.LBB11_162:
	s_or_b64 exec, exec, s[0:1]
	s_waitcnt lgkmcnt(0)
	s_barrier
	s_and_saveexec_b64 s[0:1], vcc
	s_cbranch_execz .LBB11_164
; %bb.163:
	v_mov_b32_e32 v22, 0
	ds_read_b64 v[20:21], v22 offset:2080
	ds_read_b32 v22, v22 offset:2340
	s_movk_i32 s10, 0x800
	s_waitcnt lgkmcnt(0)
	v_mul_f32_e32 v20, v20, v22
	v_mul_f32_e32 v20, v21, v20
	v_add_u32_e64 v21, s10, 0
	ds_write2_b32 v21, v20, v20 offset0:9 offset1:72
.LBB11_164:
	s_or_b64 exec, exec, s[0:1]
	v_mov_b32_e32 v20, 0
	s_waitcnt lgkmcnt(0)
	s_barrier
	s_and_saveexec_b64 s[0:1], s[2:3]
	s_cbranch_execz .LBB11_168
; %bb.165:
	v_mul_u32_u24_e32 v20, 0x104, v5
	ds_read_b32 v22, v1 offset:2088
	ds_read_b32 v20, v20 offset:2080
	v_mov_b32_e32 v21, 0
	v_cmp_gt_u32_e64 s[10:11], 2, v4
	s_waitcnt lgkmcnt(0)
	v_fma_f32 v20, v22, v20, 0
	s_and_saveexec_b64 s[14:15], s[10:11]
	s_cbranch_execz .LBB11_167
; %bb.166:
	v_lshlrev_b32_e32 v22, 2, v0
	ds_read_b32 v22, v22 offset:2344
	ds_read_b32 v21, v21 offset:2084
	s_waitcnt lgkmcnt(0)
	v_fmac_f32_e32 v20, v22, v21
.LBB11_167:
	s_or_b64 exec, exec, s[14:15]
	v_xor_b32_e32 v20, 0x80000000, v20
.LBB11_168:
	s_or_b64 exec, exec, s[0:1]
	s_and_saveexec_b64 s[0:1], s[30:31]
	s_cbranch_execz .LBB11_170
; %bb.169:
	v_mov_b32_e32 v21, 0
	ds_read_b32 v21, v21 offset:2600
	s_waitcnt lgkmcnt(0)
	v_mul_f32_e32 v20, v20, v21
	ds_write_b32 v3, v20
.LBB11_170:
	s_or_b64 exec, exec, s[0:1]
	s_waitcnt lgkmcnt(0)
	s_barrier
	s_and_saveexec_b64 s[0:1], s[28:29]
	s_cbranch_execz .LBB11_172
; %bb.171:
	v_mov_b32_e32 v21, 0
	ds_read_b32 v21, v21 offset:2604
	ds_read_b32 v22, v3
	s_waitcnt lgkmcnt(0)
	v_fmac_f32_e32 v20, v21, v22
.LBB11_172:
	s_or_b64 exec, exec, s[0:1]
	s_barrier
	s_and_saveexec_b64 s[0:1], s[28:29]
	s_cbranch_execz .LBB11_174
; %bb.173:
	v_mov_b32_e32 v21, 0
	ds_read_b32 v21, v21 offset:2860
	s_waitcnt lgkmcnt(0)
	v_mul_f32_e32 v20, v20, v21
	ds_write_b32 v3, v20
.LBB11_174:
	s_or_b64 exec, exec, s[0:1]
	s_waitcnt lgkmcnt(0)
	s_barrier
	s_barrier
	s_and_saveexec_b64 s[0:1], s[2:3]
; %bb.175:
	v_xor_b32_e32 v20, 0x80000000, v20
	ds_write_b32 v1, v20 offset:2088
; %bb.176:
	s_or_b64 exec, exec, s[0:1]
	s_waitcnt lgkmcnt(0)
	s_barrier
	s_barrier
	s_and_saveexec_b64 s[0:1], s[34:35]
	s_cbranch_execz .LBB11_178
; %bb.177:
	v_lshlrev_b32_e32 v20, 2, v0
	s_movk_i32 s10, 0xfc
	v_mad_u32_u24 v21, v0, s10, v20
	ds_read_b32 v22, v21 offset:2088
	s_waitcnt lgkmcnt(0)
	ds_write_b32 v20, v22 offset:2592
	ds_read_b32 v21, v21 offset:2092
	s_waitcnt lgkmcnt(0)
	ds_write_b32 v20, v21 offset:2848
.LBB11_178:
	s_or_b64 exec, exec, s[0:1]
	s_waitcnt lgkmcnt(0)
	s_barrier
	s_and_saveexec_b64 s[0:1], vcc
	s_cbranch_execz .LBB11_180
; %bb.179:
	v_mov_b32_e32 v22, 0
	ds_read_b64 v[20:21], v22 offset:2600
	ds_read_b32 v22, v22 offset:2860
	s_movk_i32 s10, 0x800
	s_waitcnt lgkmcnt(0)
	v_mul_f32_e32 v20, v20, v22
	v_mul_f32_e32 v20, v21, v20
	v_add_u32_e64 v21, s10, 0
	ds_write2_b32 v21, v20, v20 offset0:139 offset1:202
.LBB11_180:
	s_or_b64 exec, exec, s[0:1]
	v_mov_b32_e32 v20, 0
	s_waitcnt lgkmcnt(0)
	s_barrier
	s_and_saveexec_b64 s[0:1], s[18:19]
	s_cbranch_execz .LBB11_186
; %bb.181:
	v_mul_u32_u24_e32 v21, 0x104, v14
	ds_read_b32 v20, v6 offset:2096
	ds_read_b32 v22, v21 offset:2080
	v_cmp_gt_u32_e64 s[10:11], 12, v4
	s_waitcnt lgkmcnt(0)
	v_fma_f32 v20, v20, v22, 0
	s_and_saveexec_b64 s[14:15], s[10:11]
	s_cbranch_execnz .LBB11_1213
; %bb.182:
	s_or_b64 exec, exec, s[14:15]
	v_cmp_gt_u32_e64 s[10:11], 8, v4
	s_and_saveexec_b64 s[14:15], s[10:11]
	s_cbranch_execnz .LBB11_1214
.LBB11_183:
	s_or_b64 exec, exec, s[14:15]
	v_cmp_gt_u32_e64 s[10:11], 4, v4
	s_and_saveexec_b64 s[14:15], s[10:11]
	s_cbranch_execz .LBB11_185
.LBB11_184:
	v_lshlrev_b32_e32 v21, 2, v0
	v_mov_b32_e32 v22, 0
	ds_read_b32 v21, v21 offset:2864
	ds_read_b32 v22, v22 offset:2092
	s_waitcnt lgkmcnt(0)
	v_fmac_f32_e32 v20, v21, v22
.LBB11_185:
	s_or_b64 exec, exec, s[14:15]
	v_xor_b32_e32 v20, 0x80000000, v20
.LBB11_186:
	s_or_b64 exec, exec, s[0:1]
	s_and_saveexec_b64 s[0:1], s[38:39]
	s_cbranch_execz .LBB11_188
; %bb.187:
	v_mov_b32_e32 v21, 0
	ds_read_b32 v21, v21 offset:3120
	s_waitcnt lgkmcnt(0)
	v_mul_f32_e32 v20, v20, v21
	ds_write_b32 v12, v20
.LBB11_188:
	s_or_b64 exec, exec, s[0:1]
	s_waitcnt lgkmcnt(0)
	s_barrier
	s_and_saveexec_b64 s[0:1], s[42:43]
	s_cbranch_execz .LBB11_190
; %bb.189:
	ds_read_b32 v21, v11 offset:3120
	ds_read_b32 v22, v12
	s_waitcnt lgkmcnt(0)
	v_fmac_f32_e32 v20, v21, v22
.LBB11_190:
	s_or_b64 exec, exec, s[0:1]
	s_barrier
	s_and_saveexec_b64 s[0:1], s[44:45]
	s_cbranch_execz .LBB11_192
; %bb.191:
	v_mov_b32_e32 v21, 0
	ds_read_b32 v21, v21 offset:3380
	s_waitcnt lgkmcnt(0)
	v_mul_f32_e32 v20, v20, v21
	ds_write_b32 v12, v20
.LBB11_192:
	s_or_b64 exec, exec, s[0:1]
	s_waitcnt lgkmcnt(0)
	s_barrier
	s_and_saveexec_b64 s[0:1], s[52:53]
	s_cbranch_execz .LBB11_194
; %bb.193:
	ds_read_b32 v21, v11 offset:3376
	ds_read_b32 v22, v12
	s_waitcnt lgkmcnt(0)
	v_fmac_f32_e32 v20, v21, v22
.LBB11_194:
	s_or_b64 exec, exec, s[0:1]
	s_barrier
	s_and_saveexec_b64 s[0:1], s[54:55]
	s_cbranch_execz .LBB11_196
; %bb.195:
	v_mov_b32_e32 v21, 0
	ds_read_b32 v21, v21 offset:3640
	s_waitcnt lgkmcnt(0)
	v_mul_f32_e32 v20, v20, v21
	ds_write_b32 v12, v20
.LBB11_196:
	s_or_b64 exec, exec, s[0:1]
	s_waitcnt lgkmcnt(0)
	s_barrier
	s_and_saveexec_b64 s[0:1], s[36:37]
	s_cbranch_execz .LBB11_198
; %bb.197:
	v_mov_b32_e32 v21, 0
	ds_read_b32 v21, v21 offset:3644
	ds_read_b32 v22, v12
	s_waitcnt lgkmcnt(0)
	v_fmac_f32_e32 v20, v21, v22
.LBB11_198:
	s_or_b64 exec, exec, s[0:1]
	s_barrier
	s_and_saveexec_b64 s[0:1], s[36:37]
	s_cbranch_execz .LBB11_200
; %bb.199:
	v_mov_b32_e32 v21, 0
	ds_read_b32 v21, v21 offset:3900
	s_waitcnt lgkmcnt(0)
	v_mul_f32_e32 v20, v20, v21
	ds_write_b32 v12, v20
.LBB11_200:
	s_or_b64 exec, exec, s[0:1]
	s_waitcnt lgkmcnt(0)
	s_barrier
	s_barrier
	s_and_saveexec_b64 s[0:1], s[18:19]
; %bb.201:
	v_xor_b32_e32 v20, 0x80000000, v20
	ds_write_b32 v6, v20 offset:2096
; %bb.202:
	s_or_b64 exec, exec, s[0:1]
	s_waitcnt lgkmcnt(0)
	s_barrier
	s_barrier
	s_and_saveexec_b64 s[0:1], s[56:57]
	s_cbranch_execz .LBB11_204
; %bb.203:
	v_lshlrev_b32_e32 v20, 8, v0
	ds_read_b32 v21, v20 offset:2096
	s_movk_i32 s10, 0xff04
	v_mad_i32_i24 v22, v0, s10, v20
	s_waitcnt lgkmcnt(0)
	ds_write_b32 v22, v21 offset:3104
	ds_read_b32 v21, v20 offset:2100
	s_waitcnt lgkmcnt(0)
	ds_write_b32 v22, v21 offset:3360
	ds_read_b32 v21, v20 offset:2104
	;; [unrolled: 3-line block ×3, first 2 shown]
	s_waitcnt lgkmcnt(0)
	ds_write_b32 v22, v20 offset:3872
.LBB11_204:
	s_or_b64 exec, exec, s[0:1]
	s_waitcnt lgkmcnt(0)
	s_barrier
	s_and_saveexec_b64 s[0:1], vcc
	s_cbranch_execz .LBB11_206
; %bb.205:
	v_mov_b32_e32 v22, 0
	ds_read_b64 v[20:21], v22 offset:3120
	ds_read_b32 v22, v22 offset:3380
	s_movk_i32 s10, 0xc00
	s_waitcnt lgkmcnt(0)
	v_mul_f32_e32 v20, v20, v22
	v_mul_f32_e32 v20, v21, v20
	v_add_u32_e64 v21, s10, 0
	ds_write2_b32 v21, v20, v20 offset0:13 offset1:76
.LBB11_206:
	s_or_b64 exec, exec, s[0:1]
	v_mov_b32_e32 v20, 0
	s_waitcnt lgkmcnt(0)
	s_barrier
	s_and_saveexec_b64 s[0:1], s[2:3]
	s_cbranch_execz .LBB11_210
; %bb.207:
	v_mul_u32_u24_e32 v20, 0x104, v5
	ds_read_b32 v22, v1 offset:3128
	ds_read_b32 v20, v20 offset:3120
	v_mov_b32_e32 v21, 0
	v_cmp_gt_u32_e64 s[10:11], 2, v4
	s_waitcnt lgkmcnt(0)
	v_fma_f32 v20, v22, v20, 0
	s_and_saveexec_b64 s[14:15], s[10:11]
	s_cbranch_execz .LBB11_209
; %bb.208:
	v_lshlrev_b32_e32 v22, 2, v0
	ds_read_b32 v22, v22 offset:3384
	ds_read_b32 v21, v21 offset:3124
	s_waitcnt lgkmcnt(0)
	v_fmac_f32_e32 v20, v22, v21
.LBB11_209:
	s_or_b64 exec, exec, s[14:15]
	v_xor_b32_e32 v20, 0x80000000, v20
.LBB11_210:
	s_or_b64 exec, exec, s[0:1]
	s_and_saveexec_b64 s[0:1], s[30:31]
	s_cbranch_execz .LBB11_212
; %bb.211:
	v_mov_b32_e32 v21, 0
	ds_read_b32 v21, v21 offset:3640
	s_waitcnt lgkmcnt(0)
	v_mul_f32_e32 v20, v20, v21
	ds_write_b32 v3, v20
.LBB11_212:
	s_or_b64 exec, exec, s[0:1]
	s_waitcnt lgkmcnt(0)
	s_barrier
	s_and_saveexec_b64 s[0:1], s[28:29]
	s_cbranch_execz .LBB11_214
; %bb.213:
	v_mov_b32_e32 v21, 0
	ds_read_b32 v21, v21 offset:3644
	ds_read_b32 v22, v3
	s_waitcnt lgkmcnt(0)
	v_fmac_f32_e32 v20, v21, v22
.LBB11_214:
	s_or_b64 exec, exec, s[0:1]
	s_barrier
	s_and_saveexec_b64 s[0:1], s[28:29]
	s_cbranch_execz .LBB11_216
; %bb.215:
	v_mov_b32_e32 v21, 0
	ds_read_b32 v21, v21 offset:3900
	s_waitcnt lgkmcnt(0)
	v_mul_f32_e32 v20, v20, v21
	ds_write_b32 v3, v20
.LBB11_216:
	s_or_b64 exec, exec, s[0:1]
	s_waitcnt lgkmcnt(0)
	s_barrier
	s_barrier
	s_and_saveexec_b64 s[0:1], s[2:3]
; %bb.217:
	v_xor_b32_e32 v20, 0x80000000, v20
	ds_write_b32 v1, v20 offset:3128
; %bb.218:
	s_or_b64 exec, exec, s[0:1]
	s_waitcnt lgkmcnt(0)
	s_barrier
	s_barrier
	s_and_saveexec_b64 s[0:1], s[34:35]
	s_cbranch_execz .LBB11_220
; %bb.219:
	v_lshlrev_b32_e32 v20, 2, v0
	s_movk_i32 s10, 0xfc
	v_mad_u32_u24 v21, v0, s10, v20
	ds_read_b32 v22, v21 offset:3128
	s_waitcnt lgkmcnt(0)
	ds_write_b32 v20, v22 offset:3632
	ds_read_b32 v21, v21 offset:3132
	s_waitcnt lgkmcnt(0)
	ds_write_b32 v20, v21 offset:3888
.LBB11_220:
	s_or_b64 exec, exec, s[0:1]
	s_waitcnt lgkmcnt(0)
	s_barrier
	s_and_saveexec_b64 s[0:1], vcc
	s_cbranch_execz .LBB11_222
; %bb.221:
	v_mov_b32_e32 v22, 0
	ds_read_b64 v[20:21], v22 offset:3640
	ds_read_b32 v22, v22 offset:3900
	s_movk_i32 s10, 0xc00
	s_waitcnt lgkmcnt(0)
	v_mul_f32_e32 v20, v20, v22
	v_mul_f32_e32 v20, v21, v20
	v_add_u32_e64 v21, s10, 0
	ds_write2_b32 v21, v20, v20 offset0:143 offset1:206
.LBB11_222:
	s_or_b64 exec, exec, s[0:1]
	v_lshrrev_b32_e32 v24, 4, v4
	v_and_b32_e32 v21, 15, v0
	s_movk_i32 s0, 0xff
	v_lshlrev_b32_e32 v23, 6, v24
	v_cmp_lt_u32_e64 s[14:15], s0, v4
	s_movk_i32 s0, 0x100
	v_or_b32_e32 v20, v23, v21
	v_cmp_gt_u32_e64 s[10:11], s0, v4
	v_lshlrev_b32_e32 v20, 2, v20
	v_mov_b32_e32 v25, 0
	s_waitcnt lgkmcnt(0)
	s_barrier
	s_and_saveexec_b64 s[0:1], s[10:11]
	s_cbranch_execz .LBB11_250
; %bb.223:
	v_mul_u32_u24_e32 v25, 0x104, v24
	ds_read_b32 v22, v20 offset:64
	ds_read_b32 v26, v25
	s_movk_i32 s16, 0xf0
	v_cmp_gt_u32_e64 s[16:17], s16, v4
	s_waitcnt lgkmcnt(0)
	v_fma_f32 v22, v22, v26, 0
	s_and_saveexec_b64 s[20:21], s[16:17]
	s_cbranch_execz .LBB11_225
; %bb.224:
	v_lshlrev_b32_e32 v26, 2, v24
	v_sub_u32_e32 v26, v25, v26
	v_lshl_add_u32 v26, v21, 2, v26
	ds_read_b32 v26, v26 offset:320
	ds_read_b32 v27, v25 offset:4
	s_waitcnt lgkmcnt(0)
	v_fmac_f32_e32 v22, v26, v27
.LBB11_225:
	s_or_b64 exec, exec, s[20:21]
	s_movk_i32 s16, 0xe0
	v_cmp_gt_u32_e64 s[16:17], s16, v4
	s_and_saveexec_b64 s[20:21], s[16:17]
	s_cbranch_execz .LBB11_227
; %bb.226:
	v_lshlrev_b32_e32 v26, 2, v24
	v_sub_u32_e32 v26, v25, v26
	v_lshl_add_u32 v26, v21, 2, v26
	ds_read_b32 v26, v26 offset:576
	ds_read_b32 v27, v25 offset:8
	s_waitcnt lgkmcnt(0)
	v_fmac_f32_e32 v22, v26, v27
.LBB11_227:
	s_or_b64 exec, exec, s[20:21]
	s_movk_i32 s16, 0xd0
	v_cmp_gt_u32_e64 s[16:17], s16, v4
	;; [unrolled: 14-line block ×7, first 2 shown]
	s_and_saveexec_b64 s[20:21], s[16:17]
	s_cbranch_execz .LBB11_239
; %bb.238:
	ds_read_b32 v26, v20 offset:2112
	ds_read_b32 v27, v25 offset:32
	s_waitcnt lgkmcnt(0)
	v_fmac_f32_e32 v22, v26, v27
.LBB11_239:
	s_or_b64 exec, exec, s[20:21]
	s_movk_i32 s16, 0x70
	v_cmp_gt_u32_e64 s[16:17], s16, v4
	s_and_saveexec_b64 s[20:21], s[16:17]
	s_cbranch_execz .LBB11_241
; %bb.240:
	v_lshlrev_b32_e32 v26, 2, v24
	v_sub_u32_e32 v26, v25, v26
	v_lshl_add_u32 v26, v21, 2, v26
	ds_read_b32 v26, v26 offset:2368
	ds_read_b32 v27, v25 offset:36
	s_waitcnt lgkmcnt(0)
	v_fmac_f32_e32 v22, v26, v27
.LBB11_241:
	s_or_b64 exec, exec, s[20:21]
	s_movk_i32 s16, 0x60
	v_cmp_gt_u32_e64 s[16:17], s16, v4
	s_and_saveexec_b64 s[20:21], s[16:17]
	s_cbranch_execz .LBB11_243
; %bb.242:
	v_lshlrev_b32_e32 v26, 2, v21
	v_lshl_add_u32 v26, v23, 2, v26
	ds_read_b32 v26, v26 offset:2624
	ds_read_b32 v27, v25 offset:40
	s_waitcnt lgkmcnt(0)
	v_fmac_f32_e32 v22, v26, v27
.LBB11_243:
	s_or_b64 exec, exec, s[20:21]
	s_movk_i32 s16, 0x50
	v_cmp_gt_u32_e64 s[16:17], s16, v4
	s_and_saveexec_b64 s[20:21], s[16:17]
	s_cbranch_execnz .LBB11_1215
; %bb.244:
	s_or_b64 exec, exec, s[20:21]
	v_cmp_gt_u32_e64 s[16:17], 64, v4
	s_and_saveexec_b64 s[20:21], s[16:17]
	s_cbranch_execnz .LBB11_1216
.LBB11_245:
	s_or_b64 exec, exec, s[20:21]
	v_cmp_gt_u32_e64 s[16:17], 48, v4
	s_and_saveexec_b64 s[20:21], s[16:17]
	s_cbranch_execnz .LBB11_1217
.LBB11_246:
	s_or_b64 exec, exec, s[20:21]
	v_cmp_gt_u32_e64 s[16:17], 32, v4
	s_and_saveexec_b64 s[20:21], s[16:17]
	s_cbranch_execnz .LBB11_1218
.LBB11_247:
	s_or_b64 exec, exec, s[20:21]
	v_cmp_gt_u32_e64 s[16:17], 16, v4
	s_and_saveexec_b64 s[20:21], s[16:17]
	s_cbranch_execz .LBB11_249
.LBB11_248:
	v_lshlrev_b32_e32 v25, 2, v0
	v_mov_b32_e32 v26, 0
	ds_read_b32 v25, v25 offset:3904
	ds_read_b32 v26, v26 offset:60
	s_waitcnt lgkmcnt(0)
	v_fmac_f32_e32 v22, v25, v26
.LBB11_249:
	s_or_b64 exec, exec, s[20:21]
	v_xor_b32_e32 v25, 0x80000000, v22
.LBB11_250:
	s_or_b64 exec, exec, s[0:1]
	v_mov_b32_e32 v22, 0x4000
	v_lshl_add_u32 v22, v24, 2, v22
	v_cmp_eq_u32_e64 s[16:17], 0, v21
	s_xor_b64 s[20:21], s[14:15], -1
	s_and_b64 s[14:15], s[16:17], s[20:21]
	s_mov_b64 s[0:1], exec
	v_writelane_b32 v33, s14, 4
	v_writelane_b32 v33, s15, 5
	s_and_b64 s[14:15], s[0:1], s[14:15]
	s_mov_b64 exec, s[14:15]
	s_cbranch_execz .LBB11_252
; %bb.251:
	v_mov_b32_e32 v26, 0
	ds_read_b32 v26, v26 offset:4160
	s_waitcnt lgkmcnt(0)
	v_mul_f32_e32 v25, v25, v26
	ds_write_b32 v22, v25
.LBB11_252:
	s_or_b64 exec, exec, s[0:1]
	v_cmp_ne_u32_e64 s[14:15], 0, v21
	s_waitcnt lgkmcnt(0)
	s_barrier
	s_and_b64 s[14:15], s[14:15], s[20:21]
	s_mov_b64 s[0:1], exec
	v_writelane_b32 v33, s14, 6
	v_writelane_b32 v33, s15, 7
	s_and_b64 s[14:15], s[0:1], s[14:15]
	s_mov_b64 exec, s[14:15]
	s_cbranch_execz .LBB11_254
; %bb.253:
	v_lshlrev_b32_e32 v26, 2, v21
	ds_read_b32 v26, v26 offset:4160
	ds_read_b32 v27, v22
	s_waitcnt lgkmcnt(0)
	v_fmac_f32_e32 v25, v26, v27
.LBB11_254:
	s_or_b64 exec, exec, s[0:1]
	v_cmp_eq_u32_e64 s[14:15], 1, v21
	s_barrier
	s_and_b64 s[14:15], s[14:15], s[20:21]
	s_mov_b64 s[0:1], exec
	v_writelane_b32 v33, s14, 8
	v_writelane_b32 v33, s15, 9
	s_and_b64 s[14:15], s[0:1], s[14:15]
	s_mov_b64 exec, s[14:15]
	s_cbranch_execz .LBB11_256
; %bb.255:
	v_mov_b32_e32 v26, 0
	ds_read_b32 v26, v26 offset:4420
	s_waitcnt lgkmcnt(0)
	v_mul_f32_e32 v25, v25, v26
	ds_write_b32 v22, v25
.LBB11_256:
	s_or_b64 exec, exec, s[0:1]
	v_cmp_lt_u32_e64 s[14:15], 1, v21
	s_waitcnt lgkmcnt(0)
	s_barrier
	s_and_b64 s[14:15], s[14:15], s[20:21]
	s_mov_b64 s[0:1], exec
	v_writelane_b32 v33, s14, 10
	v_writelane_b32 v33, s15, 11
	s_and_b64 s[14:15], s[0:1], s[14:15]
	s_mov_b64 exec, s[14:15]
	s_cbranch_execz .LBB11_258
; %bb.257:
	v_lshlrev_b32_e32 v26, 2, v21
	ds_read_b32 v26, v26 offset:4416
	ds_read_b32 v27, v22
	s_waitcnt lgkmcnt(0)
	v_fmac_f32_e32 v25, v26, v27
.LBB11_258:
	s_or_b64 exec, exec, s[0:1]
	v_cmp_eq_u32_e64 s[14:15], 2, v21
	s_barrier
	s_and_b64 s[14:15], s[14:15], s[20:21]
	s_mov_b64 s[0:1], exec
	v_writelane_b32 v33, s14, 12
	v_writelane_b32 v33, s15, 13
	s_and_b64 s[14:15], s[0:1], s[14:15]
	s_mov_b64 exec, s[14:15]
	s_cbranch_execz .LBB11_260
; %bb.259:
	v_mov_b32_e32 v26, 0
	ds_read_b32 v26, v26 offset:4680
	s_waitcnt lgkmcnt(0)
	v_mul_f32_e32 v25, v25, v26
	ds_write_b32 v22, v25
.LBB11_260:
	s_or_b64 exec, exec, s[0:1]
	v_cmp_lt_u32_e64 s[14:15], 2, v21
	;; [unrolled: 35-line block ×13, first 2 shown]
	s_waitcnt lgkmcnt(0)
	s_barrier
	s_and_b64 s[14:15], s[14:15], s[20:21]
	s_mov_b64 s[0:1], exec
	v_writelane_b32 v33, s14, 58
	v_writelane_b32 v33, s15, 59
	s_and_b64 s[14:15], s[0:1], s[14:15]
	s_mov_b64 exec, s[14:15]
	s_cbranch_execz .LBB11_306
; %bb.305:
	v_lshlrev_b32_e32 v26, 2, v21
	ds_read_b32 v26, v26 offset:7488
	ds_read_b32 v27, v22
	s_waitcnt lgkmcnt(0)
	v_fmac_f32_e32 v25, v26, v27
.LBB11_306:
	s_or_b64 exec, exec, s[0:1]
	v_cmp_eq_u32_e64 s[14:15], 14, v21
	s_barrier
	s_and_b64 s[14:15], s[14:15], s[20:21]
	s_mov_b64 s[0:1], exec
	v_writelane_b32 v33, s14, 60
	v_writelane_b32 v33, s15, 61
	s_and_b64 s[14:15], s[0:1], s[14:15]
	s_mov_b64 exec, s[14:15]
	s_cbranch_execz .LBB11_308
; %bb.307:
	v_mov_b32_e32 v26, 0
	ds_read_b32 v26, v26 offset:7800
	s_waitcnt lgkmcnt(0)
	v_mul_f32_e32 v25, v25, v26
	ds_write_b32 v22, v25
.LBB11_308:
	s_or_b64 exec, exec, s[0:1]
	v_cmp_eq_u32_e64 s[14:15], 15, v21
	s_and_b64 s[88:89], s[14:15], s[20:21]
	s_waitcnt lgkmcnt(0)
	s_barrier
	s_and_saveexec_b64 s[0:1], s[88:89]
	s_cbranch_execz .LBB11_310
; %bb.309:
	v_mov_b32_e32 v26, 0
	ds_read_b32 v26, v26 offset:7804
	ds_read_b32 v27, v22
	s_waitcnt lgkmcnt(0)
	v_fmac_f32_e32 v25, v26, v27
.LBB11_310:
	s_or_b64 exec, exec, s[0:1]
	s_barrier
	s_and_saveexec_b64 s[0:1], s[88:89]
	s_cbranch_execz .LBB11_312
; %bb.311:
	v_mov_b32_e32 v26, 0
	ds_read_b32 v26, v26 offset:8060
	s_waitcnt lgkmcnt(0)
	v_mul_f32_e32 v25, v25, v26
	ds_write_b32 v22, v25
.LBB11_312:
	s_or_b64 exec, exec, s[0:1]
	s_waitcnt lgkmcnt(0)
	s_barrier
	s_barrier
	s_and_saveexec_b64 s[0:1], s[10:11]
; %bb.313:
	v_xor_b32_e32 v25, 0x80000000, v25
	ds_write_b32 v20, v25 offset:64
; %bb.314:
	s_or_b64 exec, exec, s[0:1]
	v_cmp_gt_u32_e64 s[14:15], 16, v0
	s_waitcnt lgkmcnt(0)
	s_barrier
	s_barrier
	s_and_b64 s[0:1], s[12:13], s[14:15]
	s_mov_b64 s[14:15], exec
	v_writelane_b32 v33, s0, 62
	v_writelane_b32 v33, s1, 63
	s_and_b64 s[0:1], s[14:15], s[0:1]
	s_mov_b64 exec, s[0:1]
	s_cbranch_execz .LBB11_316
; %bb.315:
	v_lshlrev_b32_e32 v25, 8, v0
	ds_read_b32 v26, v25 offset:64
	s_movk_i32 s0, 0xff04
	v_mad_i32_i24 v27, v0, s0, v25
	s_waitcnt lgkmcnt(0)
	ds_write_b32 v27, v26 offset:4096
	ds_read_b32 v26, v25 offset:68
	s_waitcnt lgkmcnt(0)
	ds_write_b32 v27, v26 offset:4352
	ds_read_b32 v26, v25 offset:72
	;; [unrolled: 3-line block ×15, first 2 shown]
	s_waitcnt lgkmcnt(0)
	ds_write_b32 v27, v25 offset:7936
.LBB11_316:
	s_or_b64 exec, exec, s[14:15]
	s_waitcnt lgkmcnt(0)
	s_barrier
	s_and_saveexec_b64 s[14:15], vcc
	s_cbranch_execz .LBB11_318
; %bb.317:
	v_mov_b32_e32 v27, 0
	ds_read_b64 v[25:26], v27 offset:4160
	ds_read_b32 v27, v27 offset:4420
	s_movk_i32 s0, 0x1000
	s_waitcnt lgkmcnt(0)
	v_mul_f32_e32 v25, v25, v27
	v_mul_f32_e32 v25, v26, v25
	v_add_u32_e64 v26, s0, 0
	ds_write2_b32 v26, v25, v25 offset0:17 offset1:80
.LBB11_318:
	s_or_b64 exec, exec, s[14:15]
	v_mov_b32_e32 v25, 0
	s_waitcnt lgkmcnt(0)
	s_barrier
	s_and_saveexec_b64 s[16:17], s[2:3]
	s_cbranch_execz .LBB11_322
; %bb.319:
	v_mul_u32_u24_e32 v25, 0x104, v5
	ds_read_b32 v27, v1 offset:4168
	ds_read_b32 v25, v25 offset:4160
	v_mov_b32_e32 v26, 0
	v_cmp_gt_u32_e64 s[14:15], 2, v4
	s_waitcnt lgkmcnt(0)
	v_fma_f32 v25, v27, v25, 0
	s_and_saveexec_b64 s[0:1], s[14:15]
	s_cbranch_execz .LBB11_321
; %bb.320:
	v_lshlrev_b32_e32 v27, 2, v0
	ds_read_b32 v27, v27 offset:4424
	ds_read_b32 v26, v26 offset:4164
	s_waitcnt lgkmcnt(0)
	v_fmac_f32_e32 v25, v27, v26
.LBB11_321:
	s_or_b64 exec, exec, s[0:1]
	v_xor_b32_e32 v25, 0x80000000, v25
.LBB11_322:
	s_or_b64 exec, exec, s[16:17]
	s_and_saveexec_b64 s[0:1], s[30:31]
	s_cbranch_execz .LBB11_324
; %bb.323:
	v_mov_b32_e32 v26, 0
	ds_read_b32 v26, v26 offset:4680
	s_waitcnt lgkmcnt(0)
	v_mul_f32_e32 v25, v25, v26
	ds_write_b32 v3, v25
.LBB11_324:
	s_or_b64 exec, exec, s[0:1]
	s_waitcnt lgkmcnt(0)
	s_barrier
	s_and_saveexec_b64 s[0:1], s[28:29]
	s_cbranch_execz .LBB11_326
; %bb.325:
	v_mov_b32_e32 v26, 0
	ds_read_b32 v26, v26 offset:4684
	ds_read_b32 v27, v3
	s_waitcnt lgkmcnt(0)
	v_fmac_f32_e32 v25, v26, v27
.LBB11_326:
	s_or_b64 exec, exec, s[0:1]
	s_barrier
	s_and_saveexec_b64 s[0:1], s[28:29]
	s_cbranch_execz .LBB11_328
; %bb.327:
	v_mov_b32_e32 v26, 0
	ds_read_b32 v26, v26 offset:4940
	s_waitcnt lgkmcnt(0)
	v_mul_f32_e32 v25, v25, v26
	ds_write_b32 v3, v25
.LBB11_328:
	s_or_b64 exec, exec, s[0:1]
	s_waitcnt lgkmcnt(0)
	s_barrier
	s_barrier
	s_and_saveexec_b64 s[0:1], s[2:3]
; %bb.329:
	v_xor_b32_e32 v25, 0x80000000, v25
	ds_write_b32 v1, v25 offset:4168
; %bb.330:
	s_or_b64 exec, exec, s[0:1]
	s_waitcnt lgkmcnt(0)
	s_barrier
	s_barrier
	s_and_saveexec_b64 s[0:1], s[34:35]
	s_cbranch_execz .LBB11_332
; %bb.331:
	v_lshlrev_b32_e32 v25, 2, v0
	s_movk_i32 s14, 0xfc
	v_mad_u32_u24 v26, v0, s14, v25
	ds_read_b32 v27, v26 offset:4168
	s_waitcnt lgkmcnt(0)
	ds_write_b32 v25, v27 offset:4672
	ds_read_b32 v26, v26 offset:4172
	s_waitcnt lgkmcnt(0)
	ds_write_b32 v25, v26 offset:4928
.LBB11_332:
	s_or_b64 exec, exec, s[0:1]
	s_waitcnt lgkmcnt(0)
	s_barrier
	s_and_saveexec_b64 s[14:15], vcc
	s_cbranch_execz .LBB11_334
; %bb.333:
	v_mov_b32_e32 v27, 0
	ds_read_b64 v[25:26], v27 offset:4680
	ds_read_b32 v27, v27 offset:4940
	s_movk_i32 s0, 0x1000
	s_waitcnt lgkmcnt(0)
	v_mul_f32_e32 v25, v25, v27
	v_mul_f32_e32 v25, v26, v25
	v_add_u32_e64 v26, s0, 0
	ds_write2_b32 v26, v25, v25 offset0:147 offset1:210
.LBB11_334:
	s_or_b64 exec, exec, s[14:15]
	v_mov_b32_e32 v25, 0
	s_waitcnt lgkmcnt(0)
	s_barrier
	s_and_saveexec_b64 s[16:17], s[18:19]
	s_cbranch_execz .LBB11_340
; %bb.335:
	v_mul_u32_u24_e32 v26, 0x104, v14
	ds_read_b32 v25, v6 offset:4176
	ds_read_b32 v27, v26 offset:4160
	v_cmp_gt_u32_e64 s[14:15], 12, v4
	s_waitcnt lgkmcnt(0)
	v_fma_f32 v25, v25, v27, 0
	s_and_saveexec_b64 s[20:21], s[14:15]
	s_cbranch_execnz .LBB11_1219
; %bb.336:
	s_or_b64 exec, exec, s[20:21]
	v_cmp_gt_u32_e64 s[14:15], 8, v4
	s_and_saveexec_b64 s[0:1], s[14:15]
	s_cbranch_execnz .LBB11_1220
.LBB11_337:
	s_or_b64 exec, exec, s[0:1]
	v_cmp_gt_u32_e64 s[14:15], 4, v4
	s_and_saveexec_b64 s[20:21], s[14:15]
	s_cbranch_execz .LBB11_339
.LBB11_338:
	v_lshlrev_b32_e32 v26, 2, v0
	v_mov_b32_e32 v27, 0
	ds_read_b32 v26, v26 offset:4944
	ds_read_b32 v27, v27 offset:4172
	s_waitcnt lgkmcnt(0)
	v_fmac_f32_e32 v25, v26, v27
.LBB11_339:
	s_or_b64 exec, exec, s[20:21]
	v_xor_b32_e32 v25, 0x80000000, v25
.LBB11_340:
	s_or_b64 exec, exec, s[16:17]
	s_and_saveexec_b64 s[0:1], s[38:39]
	s_cbranch_execz .LBB11_342
; %bb.341:
	v_mov_b32_e32 v26, 0
	ds_read_b32 v26, v26 offset:5200
	s_waitcnt lgkmcnt(0)
	v_mul_f32_e32 v25, v25, v26
	ds_write_b32 v12, v25
.LBB11_342:
	s_or_b64 exec, exec, s[0:1]
	s_waitcnt lgkmcnt(0)
	s_barrier
	s_and_saveexec_b64 s[0:1], s[42:43]
	s_cbranch_execz .LBB11_344
; %bb.343:
	ds_read_b32 v26, v11 offset:5200
	ds_read_b32 v27, v12
	s_waitcnt lgkmcnt(0)
	v_fmac_f32_e32 v25, v26, v27
.LBB11_344:
	s_or_b64 exec, exec, s[0:1]
	s_barrier
	s_and_saveexec_b64 s[0:1], s[44:45]
	s_cbranch_execz .LBB11_346
; %bb.345:
	v_mov_b32_e32 v26, 0
	ds_read_b32 v26, v26 offset:5460
	s_waitcnt lgkmcnt(0)
	v_mul_f32_e32 v25, v25, v26
	ds_write_b32 v12, v25
.LBB11_346:
	s_or_b64 exec, exec, s[0:1]
	s_waitcnt lgkmcnt(0)
	s_barrier
	s_and_saveexec_b64 s[0:1], s[52:53]
	s_cbranch_execz .LBB11_348
; %bb.347:
	ds_read_b32 v26, v11 offset:5456
	ds_read_b32 v27, v12
	s_waitcnt lgkmcnt(0)
	v_fmac_f32_e32 v25, v26, v27
.LBB11_348:
	s_or_b64 exec, exec, s[0:1]
	s_barrier
	s_and_saveexec_b64 s[0:1], s[54:55]
	s_cbranch_execz .LBB11_350
; %bb.349:
	v_mov_b32_e32 v26, 0
	ds_read_b32 v26, v26 offset:5720
	s_waitcnt lgkmcnt(0)
	v_mul_f32_e32 v25, v25, v26
	ds_write_b32 v12, v25
.LBB11_350:
	s_or_b64 exec, exec, s[0:1]
	s_waitcnt lgkmcnt(0)
	s_barrier
	s_and_saveexec_b64 s[0:1], s[36:37]
	s_cbranch_execz .LBB11_352
; %bb.351:
	v_mov_b32_e32 v26, 0
	ds_read_b32 v26, v26 offset:5724
	ds_read_b32 v27, v12
	s_waitcnt lgkmcnt(0)
	v_fmac_f32_e32 v25, v26, v27
.LBB11_352:
	s_or_b64 exec, exec, s[0:1]
	s_barrier
	s_and_saveexec_b64 s[0:1], s[36:37]
	s_cbranch_execz .LBB11_354
; %bb.353:
	v_mov_b32_e32 v26, 0
	ds_read_b32 v26, v26 offset:5980
	s_waitcnt lgkmcnt(0)
	v_mul_f32_e32 v25, v25, v26
	ds_write_b32 v12, v25
.LBB11_354:
	s_or_b64 exec, exec, s[0:1]
	s_waitcnt lgkmcnt(0)
	s_barrier
	s_barrier
	s_and_saveexec_b64 s[0:1], s[18:19]
; %bb.355:
	v_xor_b32_e32 v25, 0x80000000, v25
	ds_write_b32 v6, v25 offset:4176
; %bb.356:
	s_or_b64 exec, exec, s[0:1]
	s_waitcnt lgkmcnt(0)
	s_barrier
	s_barrier
	s_and_saveexec_b64 s[14:15], s[56:57]
	s_cbranch_execz .LBB11_358
; %bb.357:
	v_lshlrev_b32_e32 v25, 8, v0
	ds_read_b32 v26, v25 offset:4176
	s_movk_i32 s0, 0xff04
	v_mad_i32_i24 v27, v0, s0, v25
	s_waitcnt lgkmcnt(0)
	ds_write_b32 v27, v26 offset:5184
	ds_read_b32 v26, v25 offset:4180
	s_waitcnt lgkmcnt(0)
	ds_write_b32 v27, v26 offset:5440
	ds_read_b32 v26, v25 offset:4184
	;; [unrolled: 3-line block ×3, first 2 shown]
	s_waitcnt lgkmcnt(0)
	ds_write_b32 v27, v25 offset:5952
.LBB11_358:
	s_or_b64 exec, exec, s[14:15]
	s_waitcnt lgkmcnt(0)
	s_barrier
	s_and_saveexec_b64 s[14:15], vcc
	s_cbranch_execz .LBB11_360
; %bb.359:
	v_mov_b32_e32 v27, 0
	ds_read_b64 v[25:26], v27 offset:5200
	ds_read_b32 v27, v27 offset:5460
	s_movk_i32 s0, 0x1400
	s_waitcnt lgkmcnt(0)
	v_mul_f32_e32 v25, v25, v27
	v_mul_f32_e32 v25, v26, v25
	v_add_u32_e64 v26, s0, 0
	ds_write2_b32 v26, v25, v25 offset0:21 offset1:84
.LBB11_360:
	s_or_b64 exec, exec, s[14:15]
	v_mov_b32_e32 v25, 0
	s_waitcnt lgkmcnt(0)
	s_barrier
	s_and_saveexec_b64 s[16:17], s[2:3]
	s_cbranch_execz .LBB11_364
; %bb.361:
	v_mul_u32_u24_e32 v25, 0x104, v5
	ds_read_b32 v27, v1 offset:5208
	ds_read_b32 v25, v25 offset:5200
	v_mov_b32_e32 v26, 0
	v_cmp_gt_u32_e64 s[14:15], 2, v4
	s_waitcnt lgkmcnt(0)
	v_fma_f32 v25, v27, v25, 0
	s_and_saveexec_b64 s[0:1], s[14:15]
	s_cbranch_execz .LBB11_363
; %bb.362:
	v_lshlrev_b32_e32 v27, 2, v0
	ds_read_b32 v27, v27 offset:5464
	ds_read_b32 v26, v26 offset:5204
	s_waitcnt lgkmcnt(0)
	v_fmac_f32_e32 v25, v27, v26
.LBB11_363:
	s_or_b64 exec, exec, s[0:1]
	v_xor_b32_e32 v25, 0x80000000, v25
.LBB11_364:
	s_or_b64 exec, exec, s[16:17]
	s_and_saveexec_b64 s[0:1], s[30:31]
	s_cbranch_execz .LBB11_366
; %bb.365:
	v_mov_b32_e32 v26, 0
	ds_read_b32 v26, v26 offset:5720
	s_waitcnt lgkmcnt(0)
	v_mul_f32_e32 v25, v25, v26
	ds_write_b32 v3, v25
.LBB11_366:
	s_or_b64 exec, exec, s[0:1]
	s_waitcnt lgkmcnt(0)
	s_barrier
	s_and_saveexec_b64 s[0:1], s[28:29]
	s_cbranch_execz .LBB11_368
; %bb.367:
	v_mov_b32_e32 v26, 0
	ds_read_b32 v26, v26 offset:5724
	ds_read_b32 v27, v3
	s_waitcnt lgkmcnt(0)
	v_fmac_f32_e32 v25, v26, v27
.LBB11_368:
	s_or_b64 exec, exec, s[0:1]
	s_barrier
	s_and_saveexec_b64 s[0:1], s[28:29]
	s_cbranch_execz .LBB11_370
; %bb.369:
	v_mov_b32_e32 v26, 0
	ds_read_b32 v26, v26 offset:5980
	s_waitcnt lgkmcnt(0)
	v_mul_f32_e32 v25, v25, v26
	ds_write_b32 v3, v25
.LBB11_370:
	s_or_b64 exec, exec, s[0:1]
	s_waitcnt lgkmcnt(0)
	s_barrier
	s_barrier
	s_and_saveexec_b64 s[0:1], s[2:3]
; %bb.371:
	v_xor_b32_e32 v25, 0x80000000, v25
	ds_write_b32 v1, v25 offset:5208
; %bb.372:
	s_or_b64 exec, exec, s[0:1]
	s_waitcnt lgkmcnt(0)
	s_barrier
	s_barrier
	s_and_saveexec_b64 s[0:1], s[34:35]
	s_cbranch_execz .LBB11_374
; %bb.373:
	v_lshlrev_b32_e32 v25, 2, v0
	s_movk_i32 s14, 0xfc
	v_mad_u32_u24 v26, v0, s14, v25
	ds_read_b32 v27, v26 offset:5208
	s_waitcnt lgkmcnt(0)
	ds_write_b32 v25, v27 offset:5712
	ds_read_b32 v26, v26 offset:5212
	s_waitcnt lgkmcnt(0)
	ds_write_b32 v25, v26 offset:5968
.LBB11_374:
	s_or_b64 exec, exec, s[0:1]
	s_waitcnt lgkmcnt(0)
	s_barrier
	s_and_saveexec_b64 s[14:15], vcc
	s_cbranch_execz .LBB11_376
; %bb.375:
	v_mov_b32_e32 v27, 0
	ds_read_b64 v[25:26], v27 offset:5720
	ds_read_b32 v27, v27 offset:5980
	s_movk_i32 s0, 0x1400
	s_waitcnt lgkmcnt(0)
	v_mul_f32_e32 v25, v25, v27
	v_mul_f32_e32 v25, v26, v25
	v_add_u32_e64 v26, s0, 0
	ds_write2_b32 v26, v25, v25 offset0:151 offset1:214
.LBB11_376:
	s_or_b64 exec, exec, s[14:15]
	v_mov_b32_e32 v25, 0
	s_waitcnt lgkmcnt(0)
	s_barrier
	s_and_saveexec_b64 s[16:17], s[8:9]
	s_cbranch_execz .LBB11_386
; %bb.377:
	v_mul_u32_u24_e32 v26, 0x104, v19
	ds_read_b32 v25, v15 offset:4192
	ds_read_b32 v27, v26 offset:4160
	v_cmp_gt_u32_e64 s[14:15], 56, v4
	s_waitcnt lgkmcnt(0)
	v_fma_f32 v25, v25, v27, 0
	s_and_saveexec_b64 s[20:21], s[14:15]
	s_cbranch_execnz .LBB11_1221
; %bb.378:
	s_or_b64 exec, exec, s[20:21]
	v_cmp_gt_u32_e64 s[14:15], 48, v4
	s_and_saveexec_b64 s[20:21], s[14:15]
	s_cbranch_execnz .LBB11_1222
.LBB11_379:
	s_or_b64 exec, exec, s[20:21]
	v_cmp_gt_u32_e64 s[14:15], 40, v4
	s_and_saveexec_b64 s[20:21], s[14:15]
	s_cbranch_execnz .LBB11_1223
.LBB11_380:
	s_or_b64 exec, exec, s[20:21]
	v_cmp_gt_u32_e64 s[14:15], 32, v4
	s_and_saveexec_b64 s[0:1], s[14:15]
	s_cbranch_execnz .LBB11_1224
.LBB11_381:
	s_or_b64 exec, exec, s[0:1]
	v_cmp_gt_u32_e64 s[14:15], 24, v4
	s_and_saveexec_b64 s[20:21], s[14:15]
	s_cbranch_execnz .LBB11_1225
.LBB11_382:
	s_or_b64 exec, exec, s[20:21]
	v_cmp_gt_u32_e64 s[14:15], 16, v4
	s_and_saveexec_b64 s[0:1], s[14:15]
	s_cbranch_execnz .LBB11_1226
.LBB11_383:
	s_or_b64 exec, exec, s[0:1]
	v_cmp_gt_u32_e64 s[14:15], 8, v4
	s_and_saveexec_b64 s[20:21], s[14:15]
	s_cbranch_execz .LBB11_385
.LBB11_384:
	v_lshlrev_b32_e32 v26, 2, v0
	v_mov_b32_e32 v27, 0
	ds_read_b32 v26, v26 offset:5984
	ds_read_b32 v27, v27 offset:4188
	s_waitcnt lgkmcnt(0)
	v_fmac_f32_e32 v25, v26, v27
.LBB11_385:
	s_or_b64 exec, exec, s[20:21]
	v_xor_b32_e32 v25, 0x80000000, v25
.LBB11_386:
	s_or_b64 exec, exec, s[16:17]
	s_and_saveexec_b64 s[0:1], s[58:59]
	s_cbranch_execz .LBB11_388
; %bb.387:
	v_mov_b32_e32 v26, 0
	ds_read_b32 v26, v26 offset:6240
	s_waitcnt lgkmcnt(0)
	v_mul_f32_e32 v25, v25, v26
	ds_write_b32 v17, v25
.LBB11_388:
	s_or_b64 exec, exec, s[0:1]
	s_waitcnt lgkmcnt(0)
	s_barrier
	s_and_saveexec_b64 s[0:1], s[60:61]
	s_cbranch_execz .LBB11_390
; %bb.389:
	ds_read_b32 v26, v16 offset:6240
	ds_read_b32 v27, v17
	s_waitcnt lgkmcnt(0)
	v_fmac_f32_e32 v25, v26, v27
.LBB11_390:
	s_or_b64 exec, exec, s[0:1]
	s_barrier
	s_and_saveexec_b64 s[0:1], s[62:63]
	s_cbranch_execz .LBB11_392
; %bb.391:
	v_mov_b32_e32 v26, 0
	ds_read_b32 v26, v26 offset:6500
	s_waitcnt lgkmcnt(0)
	v_mul_f32_e32 v25, v25, v26
	ds_write_b32 v17, v25
.LBB11_392:
	s_or_b64 exec, exec, s[0:1]
	s_waitcnt lgkmcnt(0)
	s_barrier
	s_and_saveexec_b64 s[0:1], s[64:65]
	s_cbranch_execz .LBB11_394
; %bb.393:
	ds_read_b32 v26, v16 offset:6496
	ds_read_b32 v27, v17
	s_waitcnt lgkmcnt(0)
	v_fmac_f32_e32 v25, v26, v27
.LBB11_394:
	s_or_b64 exec, exec, s[0:1]
	s_barrier
	;; [unrolled: 22-line block ×6, first 2 shown]
	s_and_saveexec_b64 s[0:1], s[84:85]
	s_cbranch_execz .LBB11_412
; %bb.411:
	v_mov_b32_e32 v26, 0
	ds_read_b32 v26, v26 offset:7800
	s_waitcnt lgkmcnt(0)
	v_mul_f32_e32 v25, v25, v26
	ds_write_b32 v17, v25
.LBB11_412:
	s_or_b64 exec, exec, s[0:1]
	s_waitcnt lgkmcnt(0)
	s_barrier
	s_and_saveexec_b64 s[0:1], s[66:67]
	s_cbranch_execz .LBB11_414
; %bb.413:
	v_mov_b32_e32 v26, 0
	ds_read_b32 v26, v26 offset:7804
	ds_read_b32 v27, v17
	s_waitcnt lgkmcnt(0)
	v_fmac_f32_e32 v25, v26, v27
.LBB11_414:
	s_or_b64 exec, exec, s[0:1]
	s_barrier
	s_and_saveexec_b64 s[0:1], s[66:67]
	s_cbranch_execz .LBB11_416
; %bb.415:
	v_mov_b32_e32 v26, 0
	ds_read_b32 v26, v26 offset:8060
	s_waitcnt lgkmcnt(0)
	v_mul_f32_e32 v25, v25, v26
	ds_write_b32 v17, v25
.LBB11_416:
	s_or_b64 exec, exec, s[0:1]
	s_waitcnt lgkmcnt(0)
	s_barrier
	s_barrier
	s_and_saveexec_b64 s[0:1], s[8:9]
; %bb.417:
	v_xor_b32_e32 v25, 0x80000000, v25
	ds_write_b32 v15, v25 offset:4192
; %bb.418:
	s_or_b64 exec, exec, s[0:1]
	s_waitcnt lgkmcnt(0)
	s_barrier
	s_barrier
	s_and_saveexec_b64 s[14:15], s[86:87]
	s_cbranch_execz .LBB11_420
; %bb.419:
	v_lshlrev_b32_e32 v25, 8, v0
	ds_read_b32 v26, v25 offset:4192
	s_movk_i32 s0, 0xff04
	v_mad_i32_i24 v27, v0, s0, v25
	s_waitcnt lgkmcnt(0)
	ds_write_b32 v27, v26 offset:6208
	ds_read_b32 v26, v25 offset:4196
	s_waitcnt lgkmcnt(0)
	ds_write_b32 v27, v26 offset:6464
	ds_read_b32 v26, v25 offset:4200
	;; [unrolled: 3-line block ×7, first 2 shown]
	s_waitcnt lgkmcnt(0)
	ds_write_b32 v27, v25 offset:8000
.LBB11_420:
	s_or_b64 exec, exec, s[14:15]
	s_waitcnt lgkmcnt(0)
	s_barrier
	s_and_saveexec_b64 s[14:15], vcc
	s_cbranch_execz .LBB11_422
; %bb.421:
	v_mov_b32_e32 v27, 0
	ds_read_b64 v[25:26], v27 offset:6240
	ds_read_b32 v27, v27 offset:6500
	s_movk_i32 s0, 0x1800
	s_waitcnt lgkmcnt(0)
	v_mul_f32_e32 v25, v25, v27
	v_mul_f32_e32 v25, v26, v25
	v_add_u32_e64 v26, s0, 0
	ds_write2_b32 v26, v25, v25 offset0:25 offset1:88
.LBB11_422:
	s_or_b64 exec, exec, s[14:15]
	v_mov_b32_e32 v25, 0
	s_waitcnt lgkmcnt(0)
	s_barrier
	s_and_saveexec_b64 s[16:17], s[2:3]
	s_cbranch_execz .LBB11_426
; %bb.423:
	v_mul_u32_u24_e32 v25, 0x104, v5
	ds_read_b32 v27, v1 offset:6248
	ds_read_b32 v25, v25 offset:6240
	v_mov_b32_e32 v26, 0
	v_cmp_gt_u32_e64 s[14:15], 2, v4
	s_waitcnt lgkmcnt(0)
	v_fma_f32 v25, v27, v25, 0
	s_and_saveexec_b64 s[0:1], s[14:15]
	s_cbranch_execz .LBB11_425
; %bb.424:
	v_lshlrev_b32_e32 v27, 2, v0
	ds_read_b32 v27, v27 offset:6504
	ds_read_b32 v26, v26 offset:6244
	s_waitcnt lgkmcnt(0)
	v_fmac_f32_e32 v25, v27, v26
.LBB11_425:
	s_or_b64 exec, exec, s[0:1]
	v_xor_b32_e32 v25, 0x80000000, v25
.LBB11_426:
	s_or_b64 exec, exec, s[16:17]
	s_and_saveexec_b64 s[0:1], s[30:31]
	s_cbranch_execz .LBB11_428
; %bb.427:
	v_mov_b32_e32 v26, 0
	ds_read_b32 v26, v26 offset:6760
	s_waitcnt lgkmcnt(0)
	v_mul_f32_e32 v25, v25, v26
	ds_write_b32 v3, v25
.LBB11_428:
	s_or_b64 exec, exec, s[0:1]
	s_waitcnt lgkmcnt(0)
	s_barrier
	s_and_saveexec_b64 s[0:1], s[28:29]
	s_cbranch_execz .LBB11_430
; %bb.429:
	v_mov_b32_e32 v26, 0
	ds_read_b32 v26, v26 offset:6764
	ds_read_b32 v27, v3
	s_waitcnt lgkmcnt(0)
	v_fmac_f32_e32 v25, v26, v27
.LBB11_430:
	s_or_b64 exec, exec, s[0:1]
	s_barrier
	s_and_saveexec_b64 s[0:1], s[28:29]
	s_cbranch_execz .LBB11_432
; %bb.431:
	v_mov_b32_e32 v26, 0
	ds_read_b32 v26, v26 offset:7020
	s_waitcnt lgkmcnt(0)
	v_mul_f32_e32 v25, v25, v26
	ds_write_b32 v3, v25
.LBB11_432:
	s_or_b64 exec, exec, s[0:1]
	s_waitcnt lgkmcnt(0)
	s_barrier
	s_barrier
	s_and_saveexec_b64 s[0:1], s[2:3]
; %bb.433:
	v_xor_b32_e32 v25, 0x80000000, v25
	ds_write_b32 v1, v25 offset:6248
; %bb.434:
	s_or_b64 exec, exec, s[0:1]
	s_waitcnt lgkmcnt(0)
	s_barrier
	s_barrier
	s_and_saveexec_b64 s[0:1], s[34:35]
	s_cbranch_execz .LBB11_436
; %bb.435:
	v_lshlrev_b32_e32 v25, 2, v0
	s_movk_i32 s14, 0xfc
	v_mad_u32_u24 v26, v0, s14, v25
	ds_read_b32 v27, v26 offset:6248
	s_waitcnt lgkmcnt(0)
	ds_write_b32 v25, v27 offset:6752
	ds_read_b32 v26, v26 offset:6252
	s_waitcnt lgkmcnt(0)
	ds_write_b32 v25, v26 offset:7008
.LBB11_436:
	s_or_b64 exec, exec, s[0:1]
	s_waitcnt lgkmcnt(0)
	s_barrier
	s_and_saveexec_b64 s[14:15], vcc
	s_cbranch_execz .LBB11_438
; %bb.437:
	v_mov_b32_e32 v27, 0
	ds_read_b64 v[25:26], v27 offset:6760
	ds_read_b32 v27, v27 offset:7020
	s_movk_i32 s0, 0x1800
	s_waitcnt lgkmcnt(0)
	v_mul_f32_e32 v25, v25, v27
	v_mul_f32_e32 v25, v26, v25
	v_add_u32_e64 v26, s0, 0
	ds_write2_b32 v26, v25, v25 offset0:155 offset1:218
.LBB11_438:
	s_or_b64 exec, exec, s[14:15]
	v_mov_b32_e32 v25, 0
	s_waitcnt lgkmcnt(0)
	s_barrier
	s_and_saveexec_b64 s[16:17], s[18:19]
	s_cbranch_execz .LBB11_444
; %bb.439:
	v_mul_u32_u24_e32 v26, 0x104, v14
	ds_read_b32 v25, v6 offset:6256
	ds_read_b32 v27, v26 offset:6240
	v_cmp_gt_u32_e64 s[14:15], 12, v4
	s_waitcnt lgkmcnt(0)
	v_fma_f32 v25, v25, v27, 0
	s_and_saveexec_b64 s[20:21], s[14:15]
	s_cbranch_execnz .LBB11_1227
; %bb.440:
	s_or_b64 exec, exec, s[20:21]
	v_cmp_gt_u32_e64 s[14:15], 8, v4
	s_and_saveexec_b64 s[0:1], s[14:15]
	s_cbranch_execnz .LBB11_1228
.LBB11_441:
	s_or_b64 exec, exec, s[0:1]
	v_cmp_gt_u32_e64 s[14:15], 4, v4
	s_and_saveexec_b64 s[20:21], s[14:15]
	s_cbranch_execz .LBB11_443
.LBB11_442:
	v_lshlrev_b32_e32 v26, 2, v0
	v_mov_b32_e32 v27, 0
	ds_read_b32 v26, v26 offset:7024
	ds_read_b32 v27, v27 offset:6252
	s_waitcnt lgkmcnt(0)
	v_fmac_f32_e32 v25, v26, v27
.LBB11_443:
	s_or_b64 exec, exec, s[20:21]
	v_xor_b32_e32 v25, 0x80000000, v25
.LBB11_444:
	s_or_b64 exec, exec, s[16:17]
	s_and_saveexec_b64 s[0:1], s[38:39]
	s_cbranch_execz .LBB11_446
; %bb.445:
	v_mov_b32_e32 v26, 0
	ds_read_b32 v26, v26 offset:7280
	s_waitcnt lgkmcnt(0)
	v_mul_f32_e32 v25, v25, v26
	ds_write_b32 v12, v25
.LBB11_446:
	s_or_b64 exec, exec, s[0:1]
	s_waitcnt lgkmcnt(0)
	s_barrier
	s_and_saveexec_b64 s[0:1], s[42:43]
	s_cbranch_execz .LBB11_448
; %bb.447:
	ds_read_b32 v26, v11 offset:7280
	ds_read_b32 v27, v12
	s_waitcnt lgkmcnt(0)
	v_fmac_f32_e32 v25, v26, v27
.LBB11_448:
	s_or_b64 exec, exec, s[0:1]
	s_barrier
	s_and_saveexec_b64 s[0:1], s[44:45]
	s_cbranch_execz .LBB11_450
; %bb.449:
	v_mov_b32_e32 v26, 0
	ds_read_b32 v26, v26 offset:7540
	s_waitcnt lgkmcnt(0)
	v_mul_f32_e32 v25, v25, v26
	ds_write_b32 v12, v25
.LBB11_450:
	s_or_b64 exec, exec, s[0:1]
	s_waitcnt lgkmcnt(0)
	s_barrier
	s_and_saveexec_b64 s[0:1], s[52:53]
	s_cbranch_execz .LBB11_452
; %bb.451:
	ds_read_b32 v26, v11 offset:7536
	ds_read_b32 v27, v12
	s_waitcnt lgkmcnt(0)
	v_fmac_f32_e32 v25, v26, v27
.LBB11_452:
	s_or_b64 exec, exec, s[0:1]
	s_barrier
	s_and_saveexec_b64 s[0:1], s[54:55]
	s_cbranch_execz .LBB11_454
; %bb.453:
	v_mov_b32_e32 v26, 0
	ds_read_b32 v26, v26 offset:7800
	s_waitcnt lgkmcnt(0)
	v_mul_f32_e32 v25, v25, v26
	ds_write_b32 v12, v25
.LBB11_454:
	s_or_b64 exec, exec, s[0:1]
	s_waitcnt lgkmcnt(0)
	s_barrier
	s_and_saveexec_b64 s[0:1], s[36:37]
	s_cbranch_execz .LBB11_456
; %bb.455:
	v_mov_b32_e32 v26, 0
	ds_read_b32 v26, v26 offset:7804
	ds_read_b32 v27, v12
	s_waitcnt lgkmcnt(0)
	v_fmac_f32_e32 v25, v26, v27
.LBB11_456:
	s_or_b64 exec, exec, s[0:1]
	s_barrier
	s_and_saveexec_b64 s[0:1], s[36:37]
	s_cbranch_execz .LBB11_458
; %bb.457:
	v_mov_b32_e32 v26, 0
	ds_read_b32 v26, v26 offset:8060
	s_waitcnt lgkmcnt(0)
	v_mul_f32_e32 v25, v25, v26
	ds_write_b32 v12, v25
.LBB11_458:
	s_or_b64 exec, exec, s[0:1]
	s_waitcnt lgkmcnt(0)
	s_barrier
	s_barrier
	s_and_saveexec_b64 s[0:1], s[18:19]
; %bb.459:
	v_xor_b32_e32 v25, 0x80000000, v25
	ds_write_b32 v6, v25 offset:6256
; %bb.460:
	s_or_b64 exec, exec, s[0:1]
	s_waitcnt lgkmcnt(0)
	s_barrier
	s_barrier
	s_and_saveexec_b64 s[14:15], s[56:57]
	s_cbranch_execz .LBB11_462
; %bb.461:
	v_lshlrev_b32_e32 v25, 8, v0
	ds_read_b32 v26, v25 offset:6256
	s_movk_i32 s0, 0xff04
	v_mad_i32_i24 v27, v0, s0, v25
	s_waitcnt lgkmcnt(0)
	ds_write_b32 v27, v26 offset:7264
	ds_read_b32 v26, v25 offset:6260
	s_waitcnt lgkmcnt(0)
	ds_write_b32 v27, v26 offset:7520
	ds_read_b32 v26, v25 offset:6264
	;; [unrolled: 3-line block ×3, first 2 shown]
	s_waitcnt lgkmcnt(0)
	ds_write_b32 v27, v25 offset:8032
.LBB11_462:
	s_or_b64 exec, exec, s[14:15]
	s_waitcnt lgkmcnt(0)
	s_barrier
	s_and_saveexec_b64 s[14:15], vcc
	s_cbranch_execz .LBB11_464
; %bb.463:
	v_mov_b32_e32 v27, 0
	ds_read_b64 v[25:26], v27 offset:7280
	ds_read_b32 v27, v27 offset:7540
	s_movk_i32 s0, 0x1c00
	s_waitcnt lgkmcnt(0)
	v_mul_f32_e32 v25, v25, v27
	v_mul_f32_e32 v25, v26, v25
	v_add_u32_e64 v26, s0, 0
	ds_write2_b32 v26, v25, v25 offset0:29 offset1:92
.LBB11_464:
	s_or_b64 exec, exec, s[14:15]
	v_mov_b32_e32 v25, 0
	s_waitcnt lgkmcnt(0)
	s_barrier
	s_and_saveexec_b64 s[16:17], s[2:3]
	s_cbranch_execz .LBB11_468
; %bb.465:
	v_mul_u32_u24_e32 v25, 0x104, v5
	ds_read_b32 v27, v1 offset:7288
	ds_read_b32 v25, v25 offset:7280
	v_mov_b32_e32 v26, 0
	v_cmp_gt_u32_e64 s[14:15], 2, v4
	s_waitcnt lgkmcnt(0)
	v_fma_f32 v25, v27, v25, 0
	s_and_saveexec_b64 s[0:1], s[14:15]
	s_cbranch_execz .LBB11_467
; %bb.466:
	v_lshlrev_b32_e32 v27, 2, v0
	ds_read_b32 v27, v27 offset:7544
	ds_read_b32 v26, v26 offset:7284
	s_waitcnt lgkmcnt(0)
	v_fmac_f32_e32 v25, v27, v26
.LBB11_467:
	s_or_b64 exec, exec, s[0:1]
	v_xor_b32_e32 v25, 0x80000000, v25
.LBB11_468:
	s_or_b64 exec, exec, s[16:17]
	s_and_saveexec_b64 s[0:1], s[30:31]
	s_cbranch_execz .LBB11_470
; %bb.469:
	v_mov_b32_e32 v26, 0
	ds_read_b32 v26, v26 offset:7800
	s_waitcnt lgkmcnt(0)
	v_mul_f32_e32 v25, v25, v26
	ds_write_b32 v3, v25
.LBB11_470:
	s_or_b64 exec, exec, s[0:1]
	s_waitcnt lgkmcnt(0)
	s_barrier
	s_and_saveexec_b64 s[0:1], s[28:29]
	s_cbranch_execz .LBB11_472
; %bb.471:
	v_mov_b32_e32 v26, 0
	ds_read_b32 v26, v26 offset:7804
	ds_read_b32 v27, v3
	s_waitcnt lgkmcnt(0)
	v_fmac_f32_e32 v25, v26, v27
.LBB11_472:
	s_or_b64 exec, exec, s[0:1]
	s_barrier
	s_and_saveexec_b64 s[0:1], s[28:29]
	s_cbranch_execz .LBB11_474
; %bb.473:
	v_mov_b32_e32 v26, 0
	ds_read_b32 v26, v26 offset:8060
	s_waitcnt lgkmcnt(0)
	v_mul_f32_e32 v25, v25, v26
	ds_write_b32 v3, v25
.LBB11_474:
	s_or_b64 exec, exec, s[0:1]
	s_waitcnt lgkmcnt(0)
	s_barrier
	s_barrier
	s_and_saveexec_b64 s[0:1], s[2:3]
; %bb.475:
	v_xor_b32_e32 v25, 0x80000000, v25
	ds_write_b32 v1, v25 offset:7288
; %bb.476:
	s_or_b64 exec, exec, s[0:1]
	s_waitcnt lgkmcnt(0)
	s_barrier
	s_barrier
	s_and_saveexec_b64 s[0:1], s[34:35]
	s_cbranch_execz .LBB11_478
; %bb.477:
	v_lshlrev_b32_e32 v25, 2, v0
	s_movk_i32 s14, 0xfc
	v_mad_u32_u24 v26, v0, s14, v25
	ds_read_b32 v27, v26 offset:7288
	s_waitcnt lgkmcnt(0)
	ds_write_b32 v25, v27 offset:7792
	ds_read_b32 v26, v26 offset:7292
	s_waitcnt lgkmcnt(0)
	ds_write_b32 v25, v26 offset:8048
.LBB11_478:
	s_or_b64 exec, exec, s[0:1]
	s_waitcnt lgkmcnt(0)
	s_barrier
	s_and_saveexec_b64 s[14:15], vcc
	s_cbranch_execz .LBB11_480
; %bb.479:
	v_mov_b32_e32 v27, 0
	ds_read_b64 v[25:26], v27 offset:7800
	ds_read_b32 v27, v27 offset:8060
	s_movk_i32 s0, 0x1c00
	s_waitcnt lgkmcnt(0)
	v_mul_f32_e32 v25, v25, v27
	v_mul_f32_e32 v25, v26, v25
	v_add_u32_e64 v26, s0, 0
	ds_write2_b32 v26, v25, v25 offset0:159 offset1:222
.LBB11_480:
	s_or_b64 exec, exec, s[14:15]
	v_and_b32_e32 v26, 31, v0
	s_movk_i32 s0, 0x3ff
	v_lshrrev_b32_e32 v29, 5, v4
	v_cmp_lt_u32_e64 s[16:17], s0, v4
	s_movk_i32 s0, 0x400
	v_lshlrev_b32_e32 v27, 2, v26
	v_cmp_gt_u32_e64 s[14:15], s0, v4
	v_lshl_or_b32 v25, v29, 8, v27
	v_mov_b32_e32 v28, 0
	s_waitcnt lgkmcnt(0)
	s_barrier
	s_and_saveexec_b64 s[94:95], s[14:15]
	s_cbranch_execz .LBB11_542
; %bb.481:
	v_mul_u32_u24_e32 v30, 0x104, v29
	ds_read_b32 v28, v25 offset:128
	ds_read_b32 v31, v30
	s_movk_i32 s0, 0x3e0
	v_cmp_gt_u32_e64 s[20:21], s0, v4
	s_waitcnt lgkmcnt(0)
	v_fma_f32 v28, v28, v31, 0
	s_and_saveexec_b64 s[0:1], s[20:21]
	s_cbranch_execz .LBB11_483
; %bb.482:
	ds_read_b32 v31, v25 offset:384
	ds_read_b32 v32, v30 offset:4
	s_waitcnt lgkmcnt(0)
	v_fmac_f32_e32 v28, v31, v32
.LBB11_483:
	s_or_b64 exec, exec, s[0:1]
	s_movk_i32 s0, 0x3c0
	v_cmp_gt_u32_e64 s[20:21], s0, v4
	s_and_saveexec_b64 s[0:1], s[20:21]
	s_cbranch_execz .LBB11_485
; %bb.484:
	ds_read_b32 v31, v25 offset:640
	ds_read_b32 v32, v30 offset:8
	s_waitcnt lgkmcnt(0)
	v_fmac_f32_e32 v28, v31, v32
.LBB11_485:
	s_or_b64 exec, exec, s[0:1]
	s_movk_i32 s0, 0x3a0
	v_cmp_gt_u32_e64 s[20:21], s0, v4
	;; [unrolled: 11-line block ×28, first 2 shown]
	s_and_saveexec_b64 s[0:1], s[20:21]
	s_cbranch_execnz .LBB11_1229
; %bb.538:
	s_or_b64 exec, exec, s[0:1]
	v_cmp_gt_u32_e64 s[20:21], 64, v4
	s_and_saveexec_b64 s[0:1], s[20:21]
	s_cbranch_execnz .LBB11_1230
.LBB11_539:
	s_or_b64 exec, exec, s[0:1]
	v_cmp_gt_u32_e64 s[20:21], 32, v4
	s_and_saveexec_b64 s[0:1], s[20:21]
	s_cbranch_execz .LBB11_541
.LBB11_540:
	v_lshlrev_b32_e32 v30, 2, v0
	v_mov_b32_e32 v31, 0
	ds_read_b32 v30, v30 offset:8064
	ds_read_b32 v31, v31 offset:124
	s_waitcnt lgkmcnt(0)
	v_fmac_f32_e32 v28, v30, v31
.LBB11_541:
	s_or_b64 exec, exec, s[0:1]
	v_xor_b32_e32 v28, 0x80000000, v28
.LBB11_542:
	s_or_b64 exec, exec, s[94:95]
	v_mov_b32_e32 v30, 0x4000
	v_cmp_eq_u32_e64 s[20:21], 0, v26
	s_xor_b64 s[94:95], s[16:17], -1
	v_lshl_or_b32 v29, v29, 2, v30
	s_and_b64 s[16:17], s[20:21], s[94:95]
	s_and_saveexec_b64 s[0:1], s[16:17]
	s_cbranch_execz .LBB11_544
; %bb.543:
	v_mov_b32_e32 v30, 0
	ds_read_b32 v30, v30 offset:8320
	s_waitcnt lgkmcnt(0)
	v_mul_f32_e32 v28, v28, v30
	ds_write_b32 v29, v28
.LBB11_544:
	s_or_b64 exec, exec, s[0:1]
	v_cmp_ne_u32_e64 s[16:17], 0, v26
	s_and_b64 s[16:17], s[16:17], s[94:95]
	s_waitcnt lgkmcnt(0)
	s_barrier
	s_and_saveexec_b64 s[0:1], s[16:17]
	s_cbranch_execz .LBB11_546
; %bb.545:
	ds_read_b32 v30, v27 offset:8320
	ds_read_b32 v31, v29
	s_waitcnt lgkmcnt(0)
	v_fmac_f32_e32 v28, v30, v31
.LBB11_546:
	s_or_b64 exec, exec, s[0:1]
	v_cmp_eq_u32_e64 s[16:17], 1, v26
	s_and_b64 s[16:17], s[16:17], s[94:95]
	s_barrier
	s_and_saveexec_b64 s[0:1], s[16:17]
	s_cbranch_execz .LBB11_548
; %bb.547:
	v_mov_b32_e32 v30, 0
	ds_read_b32 v30, v30 offset:8580
	s_waitcnt lgkmcnt(0)
	v_mul_f32_e32 v28, v28, v30
	ds_write_b32 v29, v28
.LBB11_548:
	s_or_b64 exec, exec, s[0:1]
	v_cmp_lt_u32_e64 s[16:17], 1, v26
	s_and_b64 s[16:17], s[16:17], s[94:95]
	s_waitcnt lgkmcnt(0)
	s_barrier
	s_and_saveexec_b64 s[0:1], s[16:17]
	s_cbranch_execz .LBB11_550
; %bb.549:
	ds_read_b32 v30, v27 offset:8576
	ds_read_b32 v31, v29
	s_waitcnt lgkmcnt(0)
	v_fmac_f32_e32 v28, v30, v31
.LBB11_550:
	s_or_b64 exec, exec, s[0:1]
	v_cmp_eq_u32_e64 s[16:17], 2, v26
	s_and_b64 s[16:17], s[16:17], s[94:95]
	s_barrier
	s_and_saveexec_b64 s[0:1], s[16:17]
	s_cbranch_execz .LBB11_552
; %bb.551:
	v_mov_b32_e32 v30, 0
	ds_read_b32 v30, v30 offset:8840
	s_waitcnt lgkmcnt(0)
	v_mul_f32_e32 v28, v28, v30
	ds_write_b32 v29, v28
.LBB11_552:
	s_or_b64 exec, exec, s[0:1]
	v_cmp_lt_u32_e64 s[16:17], 2, v26
	;; [unrolled: 26-line block ×29, first 2 shown]
	s_and_b64 s[16:17], s[16:17], s[94:95]
	s_waitcnt lgkmcnt(0)
	s_barrier
	s_and_saveexec_b64 s[0:1], s[16:17]
	s_cbranch_execz .LBB11_662
; %bb.661:
	ds_read_b32 v27, v27 offset:15744
	ds_read_b32 v30, v29
	s_waitcnt lgkmcnt(0)
	v_fmac_f32_e32 v28, v27, v30
.LBB11_662:
	s_or_b64 exec, exec, s[0:1]
	v_cmp_eq_u32_e64 s[16:17], 30, v26
	s_and_b64 s[16:17], s[16:17], s[94:95]
	s_barrier
	s_and_saveexec_b64 s[0:1], s[16:17]
	s_cbranch_execz .LBB11_664
; %bb.663:
	v_mov_b32_e32 v27, 0
	ds_read_b32 v27, v27 offset:16120
	s_waitcnt lgkmcnt(0)
	v_mul_f32_e32 v28, v28, v27
	ds_write_b32 v29, v28
.LBB11_664:
	s_or_b64 exec, exec, s[0:1]
	v_cmp_eq_u32_e64 s[16:17], 31, v26
	s_and_b64 s[16:17], s[16:17], s[94:95]
	s_waitcnt lgkmcnt(0)
	s_barrier
	s_and_saveexec_b64 s[0:1], s[16:17]
	s_cbranch_execz .LBB11_666
; %bb.665:
	v_mov_b32_e32 v26, 0
	ds_read_b32 v26, v26 offset:16124
	ds_read_b32 v27, v29
	s_waitcnt lgkmcnt(0)
	v_fmac_f32_e32 v28, v26, v27
.LBB11_666:
	s_or_b64 exec, exec, s[0:1]
	s_barrier
	s_and_saveexec_b64 s[0:1], s[16:17]
	s_cbranch_execz .LBB11_668
; %bb.667:
	v_mov_b32_e32 v26, 0
	ds_read_b32 v26, v26 offset:16380
	s_waitcnt lgkmcnt(0)
	v_mul_f32_e32 v28, v28, v26
	ds_write_b32 v29, v28
.LBB11_668:
	s_or_b64 exec, exec, s[0:1]
	s_waitcnt lgkmcnt(0)
	s_barrier
	s_barrier
	s_and_saveexec_b64 s[0:1], s[14:15]
; %bb.669:
	v_xor_b32_e32 v26, 0x80000000, v28
	ds_write_b32 v25, v26 offset:128
; %bb.670:
	s_or_b64 exec, exec, s[0:1]
	v_cmp_gt_u32_e64 s[14:15], 32, v0
	s_and_b64 s[0:1], s[12:13], s[14:15]
	s_waitcnt lgkmcnt(0)
	s_barrier
	s_barrier
	s_and_saveexec_b64 s[12:13], s[0:1]
	s_cbranch_execz .LBB11_672
; %bb.671:
	v_lshlrev_b32_e32 v25, 8, v0
	ds_read_b32 v26, v25 offset:128
	s_movk_i32 s0, 0xff04
	v_mad_i32_i24 v27, v0, s0, v25
	s_waitcnt lgkmcnt(0)
	ds_write_b32 v27, v26 offset:8192
	ds_read_b32 v26, v25 offset:132
	s_waitcnt lgkmcnt(0)
	ds_write_b32 v27, v26 offset:8448
	ds_read_b32 v26, v25 offset:136
	;; [unrolled: 3-line block ×31, first 2 shown]
	s_waitcnt lgkmcnt(0)
	ds_write_b32 v27, v25 offset:16128
.LBB11_672:
	s_or_b64 exec, exec, s[12:13]
	s_waitcnt lgkmcnt(0)
	s_barrier
	s_and_saveexec_b64 s[12:13], vcc
	s_cbranch_execz .LBB11_674
; %bb.673:
	v_mov_b32_e32 v27, 0
	ds_read_b64 v[25:26], v27 offset:8320
	ds_read_b32 v27, v27 offset:8580
	s_movk_i32 s0, 0x2000
	s_waitcnt lgkmcnt(0)
	v_mul_f32_e32 v25, v25, v27
	v_mul_f32_e32 v25, v26, v25
	v_add_u32_e64 v26, s0, 0
	ds_write2_b32 v26, v25, v25 offset0:33 offset1:96
.LBB11_674:
	s_or_b64 exec, exec, s[12:13]
	v_mov_b32_e32 v25, 0
	s_waitcnt lgkmcnt(0)
	s_barrier
	s_and_saveexec_b64 s[14:15], s[2:3]
	s_cbranch_execz .LBB11_678
; %bb.675:
	v_mul_u32_u24_e32 v25, 0x104, v5
	ds_read_b32 v27, v1 offset:8328
	ds_read_b32 v25, v25 offset:8320
	v_mov_b32_e32 v26, 0
	v_cmp_gt_u32_e64 s[12:13], 2, v4
	s_waitcnt lgkmcnt(0)
	v_fma_f32 v25, v27, v25, 0
	s_and_saveexec_b64 s[0:1], s[12:13]
	s_cbranch_execz .LBB11_677
; %bb.676:
	v_lshlrev_b32_e32 v27, 2, v0
	ds_read_b32 v27, v27 offset:8584
	ds_read_b32 v26, v26 offset:8324
	s_waitcnt lgkmcnt(0)
	v_fmac_f32_e32 v25, v27, v26
.LBB11_677:
	s_or_b64 exec, exec, s[0:1]
	v_xor_b32_e32 v25, 0x80000000, v25
.LBB11_678:
	s_or_b64 exec, exec, s[14:15]
	s_and_saveexec_b64 s[0:1], s[30:31]
	s_cbranch_execz .LBB11_680
; %bb.679:
	v_mov_b32_e32 v26, 0
	ds_read_b32 v26, v26 offset:8840
	s_waitcnt lgkmcnt(0)
	v_mul_f32_e32 v25, v25, v26
	ds_write_b32 v3, v25
.LBB11_680:
	s_or_b64 exec, exec, s[0:1]
	s_waitcnt lgkmcnt(0)
	s_barrier
	s_and_saveexec_b64 s[0:1], s[28:29]
	s_cbranch_execz .LBB11_682
; %bb.681:
	v_mov_b32_e32 v26, 0
	ds_read_b32 v26, v26 offset:8844
	ds_read_b32 v27, v3
	s_waitcnt lgkmcnt(0)
	v_fmac_f32_e32 v25, v26, v27
.LBB11_682:
	s_or_b64 exec, exec, s[0:1]
	s_barrier
	s_and_saveexec_b64 s[0:1], s[28:29]
	s_cbranch_execz .LBB11_684
; %bb.683:
	v_mov_b32_e32 v26, 0
	ds_read_b32 v26, v26 offset:9100
	s_waitcnt lgkmcnt(0)
	v_mul_f32_e32 v25, v25, v26
	ds_write_b32 v3, v25
.LBB11_684:
	s_or_b64 exec, exec, s[0:1]
	s_waitcnt lgkmcnt(0)
	s_barrier
	s_barrier
	s_and_saveexec_b64 s[0:1], s[2:3]
; %bb.685:
	v_xor_b32_e32 v25, 0x80000000, v25
	ds_write_b32 v1, v25 offset:8328
; %bb.686:
	s_or_b64 exec, exec, s[0:1]
	s_waitcnt lgkmcnt(0)
	s_barrier
	s_barrier
	s_and_saveexec_b64 s[0:1], s[34:35]
	s_cbranch_execz .LBB11_688
; %bb.687:
	v_lshlrev_b32_e32 v25, 2, v0
	s_movk_i32 s12, 0xfc
	v_mad_u32_u24 v26, v0, s12, v25
	ds_read_b32 v27, v26 offset:8328
	s_waitcnt lgkmcnt(0)
	ds_write_b32 v25, v27 offset:8832
	ds_read_b32 v26, v26 offset:8332
	s_waitcnt lgkmcnt(0)
	ds_write_b32 v25, v26 offset:9088
.LBB11_688:
	s_or_b64 exec, exec, s[0:1]
	s_waitcnt lgkmcnt(0)
	s_barrier
	s_and_saveexec_b64 s[12:13], vcc
	s_cbranch_execz .LBB11_690
; %bb.689:
	v_mov_b32_e32 v27, 0
	ds_read_b64 v[25:26], v27 offset:8840
	ds_read_b32 v27, v27 offset:9100
	s_movk_i32 s0, 0x2000
	s_waitcnt lgkmcnt(0)
	v_mul_f32_e32 v25, v25, v27
	v_mul_f32_e32 v25, v26, v25
	v_add_u32_e64 v26, s0, 0
	ds_write2_b32 v26, v25, v25 offset0:163 offset1:226
.LBB11_690:
	s_or_b64 exec, exec, s[12:13]
	v_mov_b32_e32 v25, 0
	s_waitcnt lgkmcnt(0)
	s_barrier
	s_and_saveexec_b64 s[14:15], s[18:19]
	s_cbranch_execz .LBB11_696
; %bb.691:
	v_mul_u32_u24_e32 v26, 0x104, v14
	ds_read_b32 v25, v6 offset:8336
	ds_read_b32 v27, v26 offset:8320
	v_cmp_gt_u32_e64 s[12:13], 12, v4
	s_waitcnt lgkmcnt(0)
	v_fma_f32 v25, v25, v27, 0
	s_and_saveexec_b64 s[16:17], s[12:13]
	s_cbranch_execnz .LBB11_1231
; %bb.692:
	s_or_b64 exec, exec, s[16:17]
	v_cmp_gt_u32_e64 s[12:13], 8, v4
	s_and_saveexec_b64 s[0:1], s[12:13]
	s_cbranch_execnz .LBB11_1232
.LBB11_693:
	s_or_b64 exec, exec, s[0:1]
	v_cmp_gt_u32_e64 s[12:13], 4, v4
	s_and_saveexec_b64 s[0:1], s[12:13]
	s_cbranch_execz .LBB11_695
.LBB11_694:
	v_lshlrev_b32_e32 v26, 2, v0
	v_mov_b32_e32 v27, 0
	ds_read_b32 v26, v26 offset:9104
	ds_read_b32 v27, v27 offset:8332
	s_waitcnt lgkmcnt(0)
	v_fmac_f32_e32 v25, v26, v27
.LBB11_695:
	s_or_b64 exec, exec, s[0:1]
	v_xor_b32_e32 v25, 0x80000000, v25
.LBB11_696:
	s_or_b64 exec, exec, s[14:15]
	s_and_saveexec_b64 s[0:1], s[38:39]
	s_cbranch_execz .LBB11_698
; %bb.697:
	v_mov_b32_e32 v26, 0
	ds_read_b32 v26, v26 offset:9360
	s_waitcnt lgkmcnt(0)
	v_mul_f32_e32 v25, v25, v26
	ds_write_b32 v12, v25
.LBB11_698:
	s_or_b64 exec, exec, s[0:1]
	s_waitcnt lgkmcnt(0)
	s_barrier
	s_and_saveexec_b64 s[0:1], s[42:43]
	s_cbranch_execz .LBB11_700
; %bb.699:
	ds_read_b32 v26, v11 offset:9360
	ds_read_b32 v27, v12
	s_waitcnt lgkmcnt(0)
	v_fmac_f32_e32 v25, v26, v27
.LBB11_700:
	s_or_b64 exec, exec, s[0:1]
	s_barrier
	s_and_saveexec_b64 s[0:1], s[44:45]
	s_cbranch_execz .LBB11_702
; %bb.701:
	v_mov_b32_e32 v26, 0
	ds_read_b32 v26, v26 offset:9620
	s_waitcnt lgkmcnt(0)
	v_mul_f32_e32 v25, v25, v26
	ds_write_b32 v12, v25
.LBB11_702:
	s_or_b64 exec, exec, s[0:1]
	s_waitcnt lgkmcnt(0)
	s_barrier
	s_and_saveexec_b64 s[0:1], s[52:53]
	s_cbranch_execz .LBB11_704
; %bb.703:
	ds_read_b32 v26, v11 offset:9616
	ds_read_b32 v27, v12
	s_waitcnt lgkmcnt(0)
	v_fmac_f32_e32 v25, v26, v27
.LBB11_704:
	s_or_b64 exec, exec, s[0:1]
	s_barrier
	s_and_saveexec_b64 s[0:1], s[54:55]
	s_cbranch_execz .LBB11_706
; %bb.705:
	v_mov_b32_e32 v26, 0
	ds_read_b32 v26, v26 offset:9880
	s_waitcnt lgkmcnt(0)
	v_mul_f32_e32 v25, v25, v26
	ds_write_b32 v12, v25
.LBB11_706:
	s_or_b64 exec, exec, s[0:1]
	s_waitcnt lgkmcnt(0)
	s_barrier
	s_and_saveexec_b64 s[0:1], s[36:37]
	s_cbranch_execz .LBB11_708
; %bb.707:
	v_mov_b32_e32 v26, 0
	ds_read_b32 v26, v26 offset:9884
	ds_read_b32 v27, v12
	s_waitcnt lgkmcnt(0)
	v_fmac_f32_e32 v25, v26, v27
.LBB11_708:
	s_or_b64 exec, exec, s[0:1]
	s_barrier
	s_and_saveexec_b64 s[0:1], s[36:37]
	s_cbranch_execz .LBB11_710
; %bb.709:
	v_mov_b32_e32 v26, 0
	ds_read_b32 v26, v26 offset:10140
	s_waitcnt lgkmcnt(0)
	v_mul_f32_e32 v25, v25, v26
	ds_write_b32 v12, v25
.LBB11_710:
	s_or_b64 exec, exec, s[0:1]
	s_waitcnt lgkmcnt(0)
	s_barrier
	s_barrier
	s_and_saveexec_b64 s[0:1], s[18:19]
; %bb.711:
	v_xor_b32_e32 v25, 0x80000000, v25
	ds_write_b32 v6, v25 offset:8336
; %bb.712:
	s_or_b64 exec, exec, s[0:1]
	s_waitcnt lgkmcnt(0)
	s_barrier
	s_barrier
	s_and_saveexec_b64 s[12:13], s[56:57]
	s_cbranch_execz .LBB11_714
; %bb.713:
	v_lshlrev_b32_e32 v25, 8, v0
	ds_read_b32 v26, v25 offset:8336
	s_movk_i32 s0, 0xff04
	v_mad_i32_i24 v27, v0, s0, v25
	s_waitcnt lgkmcnt(0)
	ds_write_b32 v27, v26 offset:9344
	ds_read_b32 v26, v25 offset:8340
	s_waitcnt lgkmcnt(0)
	ds_write_b32 v27, v26 offset:9600
	ds_read_b32 v26, v25 offset:8344
	;; [unrolled: 3-line block ×3, first 2 shown]
	s_waitcnt lgkmcnt(0)
	ds_write_b32 v27, v25 offset:10112
.LBB11_714:
	s_or_b64 exec, exec, s[12:13]
	s_waitcnt lgkmcnt(0)
	s_barrier
	s_and_saveexec_b64 s[12:13], vcc
	s_cbranch_execz .LBB11_716
; %bb.715:
	v_mov_b32_e32 v27, 0
	ds_read_b64 v[25:26], v27 offset:9360
	ds_read_b32 v27, v27 offset:9620
	s_movk_i32 s0, 0x2400
	s_waitcnt lgkmcnt(0)
	v_mul_f32_e32 v25, v25, v27
	v_mul_f32_e32 v25, v26, v25
	v_add_u32_e64 v26, s0, 0
	ds_write2_b32 v26, v25, v25 offset0:37 offset1:100
.LBB11_716:
	s_or_b64 exec, exec, s[12:13]
	v_mov_b32_e32 v25, 0
	s_waitcnt lgkmcnt(0)
	s_barrier
	s_and_saveexec_b64 s[14:15], s[2:3]
	s_cbranch_execz .LBB11_720
; %bb.717:
	v_mul_u32_u24_e32 v25, 0x104, v5
	ds_read_b32 v27, v1 offset:9368
	ds_read_b32 v25, v25 offset:9360
	v_mov_b32_e32 v26, 0
	v_cmp_gt_u32_e64 s[12:13], 2, v4
	s_waitcnt lgkmcnt(0)
	v_fma_f32 v25, v27, v25, 0
	s_and_saveexec_b64 s[0:1], s[12:13]
	s_cbranch_execz .LBB11_719
; %bb.718:
	v_lshlrev_b32_e32 v27, 2, v0
	ds_read_b32 v27, v27 offset:9624
	ds_read_b32 v26, v26 offset:9364
	s_waitcnt lgkmcnt(0)
	v_fmac_f32_e32 v25, v27, v26
.LBB11_719:
	s_or_b64 exec, exec, s[0:1]
	v_xor_b32_e32 v25, 0x80000000, v25
.LBB11_720:
	s_or_b64 exec, exec, s[14:15]
	s_and_saveexec_b64 s[0:1], s[30:31]
	s_cbranch_execz .LBB11_722
; %bb.721:
	v_mov_b32_e32 v26, 0
	ds_read_b32 v26, v26 offset:9880
	s_waitcnt lgkmcnt(0)
	v_mul_f32_e32 v25, v25, v26
	ds_write_b32 v3, v25
.LBB11_722:
	s_or_b64 exec, exec, s[0:1]
	s_waitcnt lgkmcnt(0)
	s_barrier
	s_and_saveexec_b64 s[0:1], s[28:29]
	s_cbranch_execz .LBB11_724
; %bb.723:
	v_mov_b32_e32 v26, 0
	ds_read_b32 v26, v26 offset:9884
	ds_read_b32 v27, v3
	s_waitcnt lgkmcnt(0)
	v_fmac_f32_e32 v25, v26, v27
.LBB11_724:
	s_or_b64 exec, exec, s[0:1]
	s_barrier
	s_and_saveexec_b64 s[0:1], s[28:29]
	s_cbranch_execz .LBB11_726
; %bb.725:
	v_mov_b32_e32 v26, 0
	ds_read_b32 v26, v26 offset:10140
	s_waitcnt lgkmcnt(0)
	v_mul_f32_e32 v25, v25, v26
	ds_write_b32 v3, v25
.LBB11_726:
	s_or_b64 exec, exec, s[0:1]
	s_waitcnt lgkmcnt(0)
	s_barrier
	s_barrier
	s_and_saveexec_b64 s[0:1], s[2:3]
; %bb.727:
	v_xor_b32_e32 v25, 0x80000000, v25
	ds_write_b32 v1, v25 offset:9368
; %bb.728:
	s_or_b64 exec, exec, s[0:1]
	s_waitcnt lgkmcnt(0)
	s_barrier
	s_barrier
	s_and_saveexec_b64 s[0:1], s[34:35]
	s_cbranch_execz .LBB11_730
; %bb.729:
	v_lshlrev_b32_e32 v25, 2, v0
	s_movk_i32 s12, 0xfc
	v_mad_u32_u24 v26, v0, s12, v25
	ds_read_b32 v27, v26 offset:9368
	s_waitcnt lgkmcnt(0)
	ds_write_b32 v25, v27 offset:9872
	ds_read_b32 v26, v26 offset:9372
	s_waitcnt lgkmcnt(0)
	ds_write_b32 v25, v26 offset:10128
.LBB11_730:
	s_or_b64 exec, exec, s[0:1]
	s_waitcnt lgkmcnt(0)
	s_barrier
	s_and_saveexec_b64 s[12:13], vcc
	s_cbranch_execz .LBB11_732
; %bb.731:
	v_mov_b32_e32 v27, 0
	ds_read_b64 v[25:26], v27 offset:9880
	ds_read_b32 v27, v27 offset:10140
	s_movk_i32 s0, 0x2400
	s_waitcnt lgkmcnt(0)
	v_mul_f32_e32 v25, v25, v27
	v_mul_f32_e32 v25, v26, v25
	v_add_u32_e64 v26, s0, 0
	ds_write2_b32 v26, v25, v25 offset0:167 offset1:230
.LBB11_732:
	s_or_b64 exec, exec, s[12:13]
	v_mov_b32_e32 v25, 0
	s_waitcnt lgkmcnt(0)
	s_barrier
	s_and_saveexec_b64 s[14:15], s[8:9]
	s_cbranch_execz .LBB11_742
; %bb.733:
	v_mul_u32_u24_e32 v26, 0x104, v19
	ds_read_b32 v25, v15 offset:8352
	ds_read_b32 v27, v26 offset:8320
	v_cmp_gt_u32_e64 s[12:13], 56, v4
	s_waitcnt lgkmcnt(0)
	v_fma_f32 v25, v25, v27, 0
	s_and_saveexec_b64 s[16:17], s[12:13]
	s_cbranch_execnz .LBB11_1233
; %bb.734:
	s_or_b64 exec, exec, s[16:17]
	v_cmp_gt_u32_e64 s[12:13], 48, v4
	s_and_saveexec_b64 s[0:1], s[12:13]
	s_cbranch_execnz .LBB11_1234
.LBB11_735:
	s_or_b64 exec, exec, s[0:1]
	v_cmp_gt_u32_e64 s[12:13], 40, v4
	s_and_saveexec_b64 s[0:1], s[12:13]
	s_cbranch_execnz .LBB11_1235
.LBB11_736:
	s_or_b64 exec, exec, s[0:1]
	v_cmp_gt_u32_e64 s[12:13], 32, v4
	s_and_saveexec_b64 s[0:1], s[12:13]
	s_cbranch_execnz .LBB11_1236
.LBB11_737:
	s_or_b64 exec, exec, s[0:1]
	v_cmp_gt_u32_e64 s[12:13], 24, v4
	s_and_saveexec_b64 s[0:1], s[12:13]
	s_cbranch_execnz .LBB11_1237
.LBB11_738:
	s_or_b64 exec, exec, s[0:1]
	v_cmp_gt_u32_e64 s[12:13], 16, v4
	s_and_saveexec_b64 s[0:1], s[12:13]
	s_cbranch_execnz .LBB11_1238
.LBB11_739:
	s_or_b64 exec, exec, s[0:1]
	v_cmp_gt_u32_e64 s[12:13], 8, v4
	s_and_saveexec_b64 s[0:1], s[12:13]
	s_cbranch_execz .LBB11_741
.LBB11_740:
	v_lshlrev_b32_e32 v26, 2, v0
	v_mov_b32_e32 v27, 0
	ds_read_b32 v26, v26 offset:10144
	ds_read_b32 v27, v27 offset:8348
	s_waitcnt lgkmcnt(0)
	v_fmac_f32_e32 v25, v26, v27
.LBB11_741:
	s_or_b64 exec, exec, s[0:1]
	v_xor_b32_e32 v25, 0x80000000, v25
.LBB11_742:
	s_or_b64 exec, exec, s[14:15]
	s_and_saveexec_b64 s[0:1], s[58:59]
	s_cbranch_execz .LBB11_744
; %bb.743:
	v_mov_b32_e32 v26, 0
	ds_read_b32 v26, v26 offset:10400
	s_waitcnt lgkmcnt(0)
	v_mul_f32_e32 v25, v25, v26
	ds_write_b32 v17, v25
.LBB11_744:
	s_or_b64 exec, exec, s[0:1]
	s_waitcnt lgkmcnt(0)
	s_barrier
	s_and_saveexec_b64 s[0:1], s[60:61]
	s_cbranch_execz .LBB11_746
; %bb.745:
	ds_read_b32 v26, v16 offset:10400
	ds_read_b32 v27, v17
	s_waitcnt lgkmcnt(0)
	v_fmac_f32_e32 v25, v26, v27
.LBB11_746:
	s_or_b64 exec, exec, s[0:1]
	s_barrier
	s_and_saveexec_b64 s[0:1], s[62:63]
	s_cbranch_execz .LBB11_748
; %bb.747:
	v_mov_b32_e32 v26, 0
	ds_read_b32 v26, v26 offset:10660
	s_waitcnt lgkmcnt(0)
	v_mul_f32_e32 v25, v25, v26
	ds_write_b32 v17, v25
.LBB11_748:
	s_or_b64 exec, exec, s[0:1]
	s_waitcnt lgkmcnt(0)
	s_barrier
	s_and_saveexec_b64 s[0:1], s[64:65]
	s_cbranch_execz .LBB11_750
; %bb.749:
	ds_read_b32 v26, v16 offset:10656
	ds_read_b32 v27, v17
	s_waitcnt lgkmcnt(0)
	v_fmac_f32_e32 v25, v26, v27
.LBB11_750:
	s_or_b64 exec, exec, s[0:1]
	s_barrier
	;; [unrolled: 22-line block ×6, first 2 shown]
	s_and_saveexec_b64 s[0:1], s[84:85]
	s_cbranch_execz .LBB11_768
; %bb.767:
	v_mov_b32_e32 v26, 0
	ds_read_b32 v26, v26 offset:11960
	s_waitcnt lgkmcnt(0)
	v_mul_f32_e32 v25, v25, v26
	ds_write_b32 v17, v25
.LBB11_768:
	s_or_b64 exec, exec, s[0:1]
	s_waitcnt lgkmcnt(0)
	s_barrier
	s_and_saveexec_b64 s[0:1], s[66:67]
	s_cbranch_execz .LBB11_770
; %bb.769:
	v_mov_b32_e32 v26, 0
	ds_read_b32 v26, v26 offset:11964
	ds_read_b32 v27, v17
	s_waitcnt lgkmcnt(0)
	v_fmac_f32_e32 v25, v26, v27
.LBB11_770:
	s_or_b64 exec, exec, s[0:1]
	s_barrier
	s_and_saveexec_b64 s[0:1], s[66:67]
	s_cbranch_execz .LBB11_772
; %bb.771:
	v_mov_b32_e32 v26, 0
	ds_read_b32 v26, v26 offset:12220
	s_waitcnt lgkmcnt(0)
	v_mul_f32_e32 v25, v25, v26
	ds_write_b32 v17, v25
.LBB11_772:
	s_or_b64 exec, exec, s[0:1]
	s_waitcnt lgkmcnt(0)
	s_barrier
	s_barrier
	s_and_saveexec_b64 s[0:1], s[8:9]
; %bb.773:
	v_xor_b32_e32 v25, 0x80000000, v25
	ds_write_b32 v15, v25 offset:8352
; %bb.774:
	s_or_b64 exec, exec, s[0:1]
	s_waitcnt lgkmcnt(0)
	s_barrier
	s_barrier
	s_and_saveexec_b64 s[12:13], s[86:87]
	s_cbranch_execz .LBB11_776
; %bb.775:
	v_lshlrev_b32_e32 v25, 8, v0
	ds_read_b32 v26, v25 offset:8352
	s_movk_i32 s0, 0xff04
	v_mad_i32_i24 v27, v0, s0, v25
	s_waitcnt lgkmcnt(0)
	ds_write_b32 v27, v26 offset:10368
	ds_read_b32 v26, v25 offset:8356
	s_waitcnt lgkmcnt(0)
	ds_write_b32 v27, v26 offset:10624
	ds_read_b32 v26, v25 offset:8360
	;; [unrolled: 3-line block ×7, first 2 shown]
	s_waitcnt lgkmcnt(0)
	ds_write_b32 v27, v25 offset:12160
.LBB11_776:
	s_or_b64 exec, exec, s[12:13]
	s_waitcnt lgkmcnt(0)
	s_barrier
	s_and_saveexec_b64 s[12:13], vcc
	s_cbranch_execz .LBB11_778
; %bb.777:
	v_mov_b32_e32 v27, 0
	ds_read_b64 v[25:26], v27 offset:10400
	ds_read_b32 v27, v27 offset:10660
	s_movk_i32 s0, 0x2800
	s_waitcnt lgkmcnt(0)
	v_mul_f32_e32 v25, v25, v27
	v_mul_f32_e32 v25, v26, v25
	v_add_u32_e64 v26, s0, 0
	ds_write2_b32 v26, v25, v25 offset0:41 offset1:104
.LBB11_778:
	s_or_b64 exec, exec, s[12:13]
	v_mov_b32_e32 v25, 0
	s_waitcnt lgkmcnt(0)
	s_barrier
	s_and_saveexec_b64 s[14:15], s[2:3]
	s_cbranch_execz .LBB11_782
; %bb.779:
	v_mul_u32_u24_e32 v25, 0x104, v5
	ds_read_b32 v27, v1 offset:10408
	ds_read_b32 v25, v25 offset:10400
	v_mov_b32_e32 v26, 0
	v_cmp_gt_u32_e64 s[12:13], 2, v4
	s_waitcnt lgkmcnt(0)
	v_fma_f32 v25, v27, v25, 0
	s_and_saveexec_b64 s[0:1], s[12:13]
	s_cbranch_execz .LBB11_781
; %bb.780:
	v_lshlrev_b32_e32 v27, 2, v0
	ds_read_b32 v27, v27 offset:10664
	ds_read_b32 v26, v26 offset:10404
	s_waitcnt lgkmcnt(0)
	v_fmac_f32_e32 v25, v27, v26
.LBB11_781:
	s_or_b64 exec, exec, s[0:1]
	v_xor_b32_e32 v25, 0x80000000, v25
.LBB11_782:
	s_or_b64 exec, exec, s[14:15]
	s_and_saveexec_b64 s[0:1], s[30:31]
	s_cbranch_execz .LBB11_784
; %bb.783:
	v_mov_b32_e32 v26, 0
	ds_read_b32 v26, v26 offset:10920
	s_waitcnt lgkmcnt(0)
	v_mul_f32_e32 v25, v25, v26
	ds_write_b32 v3, v25
.LBB11_784:
	s_or_b64 exec, exec, s[0:1]
	s_waitcnt lgkmcnt(0)
	s_barrier
	s_and_saveexec_b64 s[0:1], s[28:29]
	s_cbranch_execz .LBB11_786
; %bb.785:
	v_mov_b32_e32 v26, 0
	ds_read_b32 v26, v26 offset:10924
	ds_read_b32 v27, v3
	s_waitcnt lgkmcnt(0)
	v_fmac_f32_e32 v25, v26, v27
.LBB11_786:
	s_or_b64 exec, exec, s[0:1]
	s_barrier
	s_and_saveexec_b64 s[0:1], s[28:29]
	s_cbranch_execz .LBB11_788
; %bb.787:
	v_mov_b32_e32 v26, 0
	ds_read_b32 v26, v26 offset:11180
	s_waitcnt lgkmcnt(0)
	v_mul_f32_e32 v25, v25, v26
	ds_write_b32 v3, v25
.LBB11_788:
	s_or_b64 exec, exec, s[0:1]
	s_waitcnt lgkmcnt(0)
	s_barrier
	s_barrier
	s_and_saveexec_b64 s[0:1], s[2:3]
; %bb.789:
	v_xor_b32_e32 v25, 0x80000000, v25
	ds_write_b32 v1, v25 offset:10408
; %bb.790:
	s_or_b64 exec, exec, s[0:1]
	s_waitcnt lgkmcnt(0)
	s_barrier
	s_barrier
	s_and_saveexec_b64 s[0:1], s[34:35]
	s_cbranch_execz .LBB11_792
; %bb.791:
	v_lshlrev_b32_e32 v25, 2, v0
	s_movk_i32 s12, 0xfc
	v_mad_u32_u24 v26, v0, s12, v25
	ds_read_b32 v27, v26 offset:10408
	s_waitcnt lgkmcnt(0)
	ds_write_b32 v25, v27 offset:10912
	ds_read_b32 v26, v26 offset:10412
	s_waitcnt lgkmcnt(0)
	ds_write_b32 v25, v26 offset:11168
.LBB11_792:
	s_or_b64 exec, exec, s[0:1]
	s_waitcnt lgkmcnt(0)
	s_barrier
	s_and_saveexec_b64 s[12:13], vcc
	s_cbranch_execz .LBB11_794
; %bb.793:
	v_mov_b32_e32 v27, 0
	ds_read_b64 v[25:26], v27 offset:10920
	ds_read_b32 v27, v27 offset:11180
	s_movk_i32 s0, 0x2800
	s_waitcnt lgkmcnt(0)
	v_mul_f32_e32 v25, v25, v27
	v_mul_f32_e32 v25, v26, v25
	v_add_u32_e64 v26, s0, 0
	ds_write2_b32 v26, v25, v25 offset0:171 offset1:234
.LBB11_794:
	s_or_b64 exec, exec, s[12:13]
	v_mov_b32_e32 v25, 0
	s_waitcnt lgkmcnt(0)
	s_barrier
	s_and_saveexec_b64 s[14:15], s[18:19]
	s_cbranch_execz .LBB11_800
; %bb.795:
	v_mul_u32_u24_e32 v26, 0x104, v14
	ds_read_b32 v25, v6 offset:10416
	ds_read_b32 v27, v26 offset:10400
	v_cmp_gt_u32_e64 s[12:13], 12, v4
	s_waitcnt lgkmcnt(0)
	v_fma_f32 v25, v25, v27, 0
	s_and_saveexec_b64 s[16:17], s[12:13]
	s_cbranch_execnz .LBB11_1239
; %bb.796:
	s_or_b64 exec, exec, s[16:17]
	v_cmp_gt_u32_e64 s[12:13], 8, v4
	s_and_saveexec_b64 s[0:1], s[12:13]
	s_cbranch_execnz .LBB11_1240
.LBB11_797:
	s_or_b64 exec, exec, s[0:1]
	v_cmp_gt_u32_e64 s[12:13], 4, v4
	s_and_saveexec_b64 s[0:1], s[12:13]
	s_cbranch_execz .LBB11_799
.LBB11_798:
	v_lshlrev_b32_e32 v26, 2, v0
	v_mov_b32_e32 v27, 0
	ds_read_b32 v26, v26 offset:11184
	ds_read_b32 v27, v27 offset:10412
	s_waitcnt lgkmcnt(0)
	v_fmac_f32_e32 v25, v26, v27
.LBB11_799:
	s_or_b64 exec, exec, s[0:1]
	v_xor_b32_e32 v25, 0x80000000, v25
.LBB11_800:
	s_or_b64 exec, exec, s[14:15]
	s_and_saveexec_b64 s[0:1], s[38:39]
	s_cbranch_execz .LBB11_802
; %bb.801:
	v_mov_b32_e32 v26, 0
	ds_read_b32 v26, v26 offset:11440
	s_waitcnt lgkmcnt(0)
	v_mul_f32_e32 v25, v25, v26
	ds_write_b32 v12, v25
.LBB11_802:
	s_or_b64 exec, exec, s[0:1]
	s_waitcnt lgkmcnt(0)
	s_barrier
	s_and_saveexec_b64 s[0:1], s[42:43]
	s_cbranch_execz .LBB11_804
; %bb.803:
	ds_read_b32 v26, v11 offset:11440
	ds_read_b32 v27, v12
	s_waitcnt lgkmcnt(0)
	v_fmac_f32_e32 v25, v26, v27
.LBB11_804:
	s_or_b64 exec, exec, s[0:1]
	s_barrier
	s_and_saveexec_b64 s[0:1], s[44:45]
	s_cbranch_execz .LBB11_806
; %bb.805:
	v_mov_b32_e32 v26, 0
	ds_read_b32 v26, v26 offset:11700
	s_waitcnt lgkmcnt(0)
	v_mul_f32_e32 v25, v25, v26
	ds_write_b32 v12, v25
.LBB11_806:
	s_or_b64 exec, exec, s[0:1]
	s_waitcnt lgkmcnt(0)
	s_barrier
	s_and_saveexec_b64 s[0:1], s[52:53]
	s_cbranch_execz .LBB11_808
; %bb.807:
	ds_read_b32 v26, v11 offset:11696
	ds_read_b32 v27, v12
	s_waitcnt lgkmcnt(0)
	v_fmac_f32_e32 v25, v26, v27
.LBB11_808:
	s_or_b64 exec, exec, s[0:1]
	s_barrier
	s_and_saveexec_b64 s[0:1], s[54:55]
	s_cbranch_execz .LBB11_810
; %bb.809:
	v_mov_b32_e32 v26, 0
	ds_read_b32 v26, v26 offset:11960
	s_waitcnt lgkmcnt(0)
	v_mul_f32_e32 v25, v25, v26
	ds_write_b32 v12, v25
.LBB11_810:
	s_or_b64 exec, exec, s[0:1]
	s_waitcnt lgkmcnt(0)
	s_barrier
	s_and_saveexec_b64 s[0:1], s[36:37]
	s_cbranch_execz .LBB11_812
; %bb.811:
	v_mov_b32_e32 v26, 0
	ds_read_b32 v26, v26 offset:11964
	ds_read_b32 v27, v12
	s_waitcnt lgkmcnt(0)
	v_fmac_f32_e32 v25, v26, v27
.LBB11_812:
	s_or_b64 exec, exec, s[0:1]
	s_barrier
	s_and_saveexec_b64 s[0:1], s[36:37]
	s_cbranch_execz .LBB11_814
; %bb.813:
	v_mov_b32_e32 v26, 0
	ds_read_b32 v26, v26 offset:12220
	s_waitcnt lgkmcnt(0)
	v_mul_f32_e32 v25, v25, v26
	ds_write_b32 v12, v25
.LBB11_814:
	s_or_b64 exec, exec, s[0:1]
	s_waitcnt lgkmcnt(0)
	s_barrier
	s_barrier
	s_and_saveexec_b64 s[0:1], s[18:19]
; %bb.815:
	v_xor_b32_e32 v25, 0x80000000, v25
	ds_write_b32 v6, v25 offset:10416
; %bb.816:
	s_or_b64 exec, exec, s[0:1]
	s_waitcnt lgkmcnt(0)
	s_barrier
	s_barrier
	s_and_saveexec_b64 s[12:13], s[56:57]
	s_cbranch_execz .LBB11_818
; %bb.817:
	v_lshlrev_b32_e32 v25, 8, v0
	ds_read_b32 v26, v25 offset:10416
	s_movk_i32 s0, 0xff04
	v_mad_i32_i24 v27, v0, s0, v25
	s_waitcnt lgkmcnt(0)
	ds_write_b32 v27, v26 offset:11424
	ds_read_b32 v26, v25 offset:10420
	s_waitcnt lgkmcnt(0)
	ds_write_b32 v27, v26 offset:11680
	ds_read_b32 v26, v25 offset:10424
	s_waitcnt lgkmcnt(0)
	ds_write_b32 v27, v26 offset:11936
	ds_read_b32 v25, v25 offset:10428
	s_waitcnt lgkmcnt(0)
	ds_write_b32 v27, v25 offset:12192
.LBB11_818:
	s_or_b64 exec, exec, s[12:13]
	s_waitcnt lgkmcnt(0)
	s_barrier
	s_and_saveexec_b64 s[12:13], vcc
	s_cbranch_execz .LBB11_820
; %bb.819:
	v_mov_b32_e32 v27, 0
	ds_read_b64 v[25:26], v27 offset:11440
	ds_read_b32 v27, v27 offset:11700
	s_movk_i32 s0, 0x2c00
	s_waitcnt lgkmcnt(0)
	v_mul_f32_e32 v25, v25, v27
	v_mul_f32_e32 v25, v26, v25
	v_add_u32_e64 v26, s0, 0
	ds_write2_b32 v26, v25, v25 offset0:45 offset1:108
.LBB11_820:
	s_or_b64 exec, exec, s[12:13]
	v_mov_b32_e32 v25, 0
	s_waitcnt lgkmcnt(0)
	s_barrier
	s_and_saveexec_b64 s[14:15], s[2:3]
	s_cbranch_execz .LBB11_824
; %bb.821:
	v_mul_u32_u24_e32 v25, 0x104, v5
	ds_read_b32 v27, v1 offset:11448
	ds_read_b32 v25, v25 offset:11440
	v_mov_b32_e32 v26, 0
	v_cmp_gt_u32_e64 s[12:13], 2, v4
	s_waitcnt lgkmcnt(0)
	v_fma_f32 v25, v27, v25, 0
	s_and_saveexec_b64 s[0:1], s[12:13]
	s_cbranch_execz .LBB11_823
; %bb.822:
	v_lshlrev_b32_e32 v27, 2, v0
	ds_read_b32 v27, v27 offset:11704
	ds_read_b32 v26, v26 offset:11444
	s_waitcnt lgkmcnt(0)
	v_fmac_f32_e32 v25, v27, v26
.LBB11_823:
	s_or_b64 exec, exec, s[0:1]
	v_xor_b32_e32 v25, 0x80000000, v25
.LBB11_824:
	s_or_b64 exec, exec, s[14:15]
	s_and_saveexec_b64 s[0:1], s[30:31]
	s_cbranch_execz .LBB11_826
; %bb.825:
	v_mov_b32_e32 v26, 0
	ds_read_b32 v26, v26 offset:11960
	s_waitcnt lgkmcnt(0)
	v_mul_f32_e32 v25, v25, v26
	ds_write_b32 v3, v25
.LBB11_826:
	s_or_b64 exec, exec, s[0:1]
	s_waitcnt lgkmcnt(0)
	s_barrier
	s_and_saveexec_b64 s[0:1], s[28:29]
	s_cbranch_execz .LBB11_828
; %bb.827:
	v_mov_b32_e32 v26, 0
	ds_read_b32 v26, v26 offset:11964
	ds_read_b32 v27, v3
	s_waitcnt lgkmcnt(0)
	v_fmac_f32_e32 v25, v26, v27
.LBB11_828:
	s_or_b64 exec, exec, s[0:1]
	s_barrier
	s_and_saveexec_b64 s[0:1], s[28:29]
	s_cbranch_execz .LBB11_830
; %bb.829:
	v_mov_b32_e32 v26, 0
	ds_read_b32 v26, v26 offset:12220
	s_waitcnt lgkmcnt(0)
	v_mul_f32_e32 v25, v25, v26
	ds_write_b32 v3, v25
.LBB11_830:
	s_or_b64 exec, exec, s[0:1]
	s_waitcnt lgkmcnt(0)
	s_barrier
	s_barrier
	s_and_saveexec_b64 s[0:1], s[2:3]
; %bb.831:
	v_xor_b32_e32 v25, 0x80000000, v25
	ds_write_b32 v1, v25 offset:11448
; %bb.832:
	s_or_b64 exec, exec, s[0:1]
	s_waitcnt lgkmcnt(0)
	s_barrier
	s_barrier
	s_and_saveexec_b64 s[0:1], s[34:35]
	s_cbranch_execz .LBB11_834
; %bb.833:
	v_lshlrev_b32_e32 v25, 2, v0
	s_movk_i32 s12, 0xfc
	v_mad_u32_u24 v26, v0, s12, v25
	ds_read_b32 v27, v26 offset:11448
	s_waitcnt lgkmcnt(0)
	ds_write_b32 v25, v27 offset:11952
	ds_read_b32 v26, v26 offset:11452
	s_waitcnt lgkmcnt(0)
	ds_write_b32 v25, v26 offset:12208
.LBB11_834:
	s_or_b64 exec, exec, s[0:1]
	s_waitcnt lgkmcnt(0)
	s_barrier
	s_and_saveexec_b64 s[12:13], vcc
	s_cbranch_execz .LBB11_836
; %bb.835:
	v_mov_b32_e32 v27, 0
	ds_read_b64 v[25:26], v27 offset:11960
	ds_read_b32 v27, v27 offset:12220
	s_movk_i32 s0, 0x2c00
	s_waitcnt lgkmcnt(0)
	v_mul_f32_e32 v25, v25, v27
	v_mul_f32_e32 v25, v26, v25
	v_add_u32_e64 v26, s0, 0
	ds_write2_b32 v26, v25, v25 offset0:175 offset1:238
.LBB11_836:
	s_or_b64 exec, exec, s[12:13]
	v_mov_b32_e32 v25, 0
	s_waitcnt lgkmcnt(0)
	s_barrier
	s_and_saveexec_b64 s[14:15], s[10:11]
	s_cbranch_execz .LBB11_864
; %bb.837:
	v_mul_u32_u24_e32 v26, 0x104, v24
	ds_read_b32 v25, v20 offset:8384
	ds_read_b32 v27, v26 offset:8320
	s_movk_i32 s0, 0xf0
	v_cmp_gt_u32_e64 s[12:13], s0, v4
	s_waitcnt lgkmcnt(0)
	v_fma_f32 v25, v25, v27, 0
	s_and_saveexec_b64 s[16:17], s[12:13]
	s_cbranch_execz .LBB11_839
; %bb.838:
	v_lshlrev_b32_e32 v27, 2, v24
	v_sub_u32_e32 v27, v26, v27
	v_lshl_add_u32 v27, v21, 2, v27
	ds_read_b32 v27, v27 offset:8640
	ds_read_b32 v28, v26 offset:8324
	s_waitcnt lgkmcnt(0)
	v_fmac_f32_e32 v25, v27, v28
.LBB11_839:
	s_or_b64 exec, exec, s[16:17]
	s_movk_i32 s0, 0xe0
	v_cmp_gt_u32_e64 s[12:13], s0, v4
	s_and_saveexec_b64 s[0:1], s[12:13]
	s_cbranch_execz .LBB11_841
; %bb.840:
	v_lshlrev_b32_e32 v27, 2, v24
	v_sub_u32_e32 v27, v26, v27
	v_lshl_add_u32 v27, v21, 2, v27
	ds_read_b32 v27, v27 offset:8896
	ds_read_b32 v28, v26 offset:8328
	s_waitcnt lgkmcnt(0)
	v_fmac_f32_e32 v25, v27, v28
.LBB11_841:
	s_or_b64 exec, exec, s[0:1]
	s_movk_i32 s0, 0xd0
	v_cmp_gt_u32_e64 s[12:13], s0, v4
	;; [unrolled: 14-line block ×7, first 2 shown]
	s_and_saveexec_b64 s[0:1], s[12:13]
	s_cbranch_execz .LBB11_853
; %bb.852:
	ds_read_b32 v24, v20 offset:10432
	ds_read_b32 v27, v26 offset:8352
	s_waitcnt lgkmcnt(0)
	v_fmac_f32_e32 v25, v24, v27
.LBB11_853:
	s_or_b64 exec, exec, s[0:1]
	s_movk_i32 s0, 0x70
	v_cmp_gt_u32_e64 s[12:13], s0, v4
	s_and_saveexec_b64 s[0:1], s[12:13]
	s_cbranch_execz .LBB11_855
; %bb.854:
	v_lshlrev_b32_e32 v24, 2, v21
	v_lshl_add_u32 v24, v23, 2, v24
	ds_read_b32 v24, v24 offset:10688
	ds_read_b32 v27, v26 offset:8356
	s_waitcnt lgkmcnt(0)
	v_fmac_f32_e32 v25, v24, v27
.LBB11_855:
	s_or_b64 exec, exec, s[0:1]
	s_movk_i32 s0, 0x60
	v_cmp_gt_u32_e64 s[12:13], s0, v4
	s_and_saveexec_b64 s[0:1], s[12:13]
	s_cbranch_execz .LBB11_857
; %bb.856:
	v_lshlrev_b32_e32 v24, 2, v21
	v_lshl_add_u32 v24, v23, 2, v24
	ds_read_b32 v24, v24 offset:10944
	ds_read_b32 v27, v26 offset:8360
	s_waitcnt lgkmcnt(0)
	v_fmac_f32_e32 v25, v24, v27
.LBB11_857:
	s_or_b64 exec, exec, s[0:1]
	s_movk_i32 s0, 0x50
	v_cmp_gt_u32_e64 s[12:13], s0, v4
	s_and_saveexec_b64 s[0:1], s[12:13]
	s_cbranch_execnz .LBB11_1241
; %bb.858:
	s_or_b64 exec, exec, s[0:1]
	v_cmp_gt_u32_e64 s[12:13], 64, v4
	s_and_saveexec_b64 s[0:1], s[12:13]
	s_cbranch_execnz .LBB11_1242
.LBB11_859:
	s_or_b64 exec, exec, s[0:1]
	v_cmp_gt_u32_e64 s[12:13], 48, v4
	s_and_saveexec_b64 s[0:1], s[12:13]
	s_cbranch_execnz .LBB11_1243
.LBB11_860:
	s_or_b64 exec, exec, s[0:1]
	v_cmp_gt_u32_e64 s[12:13], 32, v4
	s_and_saveexec_b64 s[0:1], s[12:13]
	s_cbranch_execnz .LBB11_1244
.LBB11_861:
	s_or_b64 exec, exec, s[0:1]
	v_cmp_gt_u32_e64 s[12:13], 16, v4
	s_and_saveexec_b64 s[0:1], s[12:13]
	s_cbranch_execz .LBB11_863
.LBB11_862:
	v_lshlrev_b32_e32 v23, 2, v0
	v_mov_b32_e32 v24, 0
	ds_read_b32 v23, v23 offset:12224
	ds_read_b32 v24, v24 offset:8380
	s_waitcnt lgkmcnt(0)
	v_fmac_f32_e32 v25, v23, v24
.LBB11_863:
	s_or_b64 exec, exec, s[0:1]
	v_xor_b32_e32 v25, 0x80000000, v25
.LBB11_864:
	s_or_b64 exec, exec, s[14:15]
	s_mov_b64 s[0:1], exec
	v_readlane_b32 s12, v33, 4
	v_readlane_b32 s13, v33, 5
	s_and_b64 s[12:13], s[0:1], s[12:13]
	s_mov_b64 exec, s[12:13]
	s_cbranch_execz .LBB11_866
; %bb.865:
	v_mov_b32_e32 v23, 0
	ds_read_b32 v23, v23 offset:12480
	s_waitcnt lgkmcnt(0)
	v_mul_f32_e32 v25, v25, v23
	ds_write_b32 v22, v25
.LBB11_866:
	s_or_b64 exec, exec, s[0:1]
	s_waitcnt lgkmcnt(0)
	s_barrier
	s_mov_b64 s[0:1], exec
	v_readlane_b32 s12, v33, 6
	v_readlane_b32 s13, v33, 7
	s_and_b64 s[12:13], s[0:1], s[12:13]
	s_mov_b64 exec, s[12:13]
	s_cbranch_execz .LBB11_868
; %bb.867:
	v_lshlrev_b32_e32 v23, 2, v21
	ds_read_b32 v23, v23 offset:12480
	ds_read_b32 v24, v22
	s_waitcnt lgkmcnt(0)
	v_fmac_f32_e32 v25, v23, v24
.LBB11_868:
	s_or_b64 exec, exec, s[0:1]
	s_barrier
	s_mov_b64 s[0:1], exec
	v_readlane_b32 s12, v33, 8
	v_readlane_b32 s13, v33, 9
	s_and_b64 s[12:13], s[0:1], s[12:13]
	s_mov_b64 exec, s[12:13]
	s_cbranch_execz .LBB11_870
; %bb.869:
	v_mov_b32_e32 v23, 0
	ds_read_b32 v23, v23 offset:12740
	s_waitcnt lgkmcnt(0)
	v_mul_f32_e32 v25, v25, v23
	ds_write_b32 v22, v25
.LBB11_870:
	s_or_b64 exec, exec, s[0:1]
	s_waitcnt lgkmcnt(0)
	s_barrier
	s_mov_b64 s[0:1], exec
	v_readlane_b32 s12, v33, 10
	v_readlane_b32 s13, v33, 11
	s_and_b64 s[12:13], s[0:1], s[12:13]
	s_mov_b64 exec, s[12:13]
	s_cbranch_execz .LBB11_872
; %bb.871:
	v_lshlrev_b32_e32 v23, 2, v21
	ds_read_b32 v23, v23 offset:12736
	ds_read_b32 v24, v22
	s_waitcnt lgkmcnt(0)
	v_fmac_f32_e32 v25, v23, v24
.LBB11_872:
	s_or_b64 exec, exec, s[0:1]
	s_barrier
	;; [unrolled: 31-line block ×14, first 2 shown]
	s_mov_b64 s[0:1], exec
	v_readlane_b32 s12, v33, 60
	v_readlane_b32 s13, v33, 61
	s_and_b64 s[12:13], s[0:1], s[12:13]
	s_mov_b64 exec, s[12:13]
	s_cbranch_execz .LBB11_922
; %bb.921:
	v_mov_b32_e32 v21, 0
	ds_read_b32 v21, v21 offset:16120
	s_waitcnt lgkmcnt(0)
	v_mul_f32_e32 v25, v25, v21
	ds_write_b32 v22, v25
.LBB11_922:
	s_or_b64 exec, exec, s[0:1]
	s_waitcnt lgkmcnt(0)
	s_barrier
	s_and_saveexec_b64 s[0:1], s[88:89]
	s_cbranch_execz .LBB11_924
; %bb.923:
	v_mov_b32_e32 v21, 0
	ds_read_b32 v21, v21 offset:16124
	ds_read_b32 v23, v22
	s_waitcnt lgkmcnt(0)
	v_fmac_f32_e32 v25, v21, v23
.LBB11_924:
	s_or_b64 exec, exec, s[0:1]
	s_barrier
	s_and_saveexec_b64 s[0:1], s[88:89]
	s_cbranch_execz .LBB11_926
; %bb.925:
	v_mov_b32_e32 v21, 0
	ds_read_b32 v21, v21 offset:16380
	s_waitcnt lgkmcnt(0)
	v_mul_f32_e32 v25, v25, v21
	ds_write_b32 v22, v25
.LBB11_926:
	s_or_b64 exec, exec, s[0:1]
	s_waitcnt lgkmcnt(0)
	s_barrier
	s_barrier
	s_and_saveexec_b64 s[0:1], s[10:11]
; %bb.927:
	v_xor_b32_e32 v21, 0x80000000, v25
	ds_write_b32 v20, v21 offset:8384
; %bb.928:
	s_or_b64 exec, exec, s[0:1]
	s_waitcnt lgkmcnt(0)
	s_barrier
	s_barrier
	s_mov_b64 s[0:1], exec
	v_readlane_b32 s10, v33, 62
	v_readlane_b32 s11, v33, 63
	s_and_b64 s[10:11], s[0:1], s[10:11]
	s_mov_b64 exec, s[10:11]
	s_cbranch_execz .LBB11_930
; %bb.929:
	v_lshlrev_b32_e32 v20, 8, v0
	ds_read_b32 v21, v20 offset:8384
	s_movk_i32 s10, 0xff04
	v_mad_i32_i24 v22, v0, s10, v20
	s_waitcnt lgkmcnt(0)
	ds_write_b32 v22, v21 offset:12416
	ds_read_b32 v21, v20 offset:8388
	s_waitcnt lgkmcnt(0)
	ds_write_b32 v22, v21 offset:12672
	ds_read_b32 v21, v20 offset:8392
	;; [unrolled: 3-line block ×15, first 2 shown]
	s_waitcnt lgkmcnt(0)
	ds_write_b32 v22, v20 offset:16256
.LBB11_930:
	s_or_b64 exec, exec, s[0:1]
	s_waitcnt lgkmcnt(0)
	s_barrier
	s_and_saveexec_b64 s[0:1], vcc
	s_cbranch_execz .LBB11_932
; %bb.931:
	v_mov_b32_e32 v22, 0
	ds_read_b64 v[20:21], v22 offset:12480
	ds_read_b32 v22, v22 offset:12740
	s_movk_i32 s10, 0x3000
	s_waitcnt lgkmcnt(0)
	v_mul_f32_e32 v20, v20, v22
	v_mul_f32_e32 v20, v21, v20
	v_add_u32_e64 v21, s10, 0
	ds_write2_b32 v21, v20, v20 offset0:49 offset1:112
.LBB11_932:
	s_or_b64 exec, exec, s[0:1]
	v_mov_b32_e32 v20, 0
	s_waitcnt lgkmcnt(0)
	s_barrier
	s_and_saveexec_b64 s[0:1], s[2:3]
	s_cbranch_execz .LBB11_936
; %bb.933:
	v_mul_u32_u24_e32 v20, 0x104, v5
	ds_read_b32 v22, v1 offset:12488
	ds_read_b32 v20, v20 offset:12480
	v_mov_b32_e32 v21, 0
	v_cmp_gt_u32_e64 s[10:11], 2, v4
	s_waitcnt lgkmcnt(0)
	v_fma_f32 v20, v22, v20, 0
	s_and_saveexec_b64 s[12:13], s[10:11]
	s_cbranch_execz .LBB11_935
; %bb.934:
	v_lshlrev_b32_e32 v22, 2, v0
	ds_read_b32 v22, v22 offset:12744
	ds_read_b32 v21, v21 offset:12484
	s_waitcnt lgkmcnt(0)
	v_fmac_f32_e32 v20, v22, v21
.LBB11_935:
	s_or_b64 exec, exec, s[12:13]
	v_xor_b32_e32 v20, 0x80000000, v20
.LBB11_936:
	s_or_b64 exec, exec, s[0:1]
	s_and_saveexec_b64 s[0:1], s[30:31]
	s_cbranch_execz .LBB11_938
; %bb.937:
	v_mov_b32_e32 v21, 0
	ds_read_b32 v21, v21 offset:13000
	s_waitcnt lgkmcnt(0)
	v_mul_f32_e32 v20, v20, v21
	ds_write_b32 v3, v20
.LBB11_938:
	s_or_b64 exec, exec, s[0:1]
	s_waitcnt lgkmcnt(0)
	s_barrier
	s_and_saveexec_b64 s[0:1], s[28:29]
	s_cbranch_execz .LBB11_940
; %bb.939:
	v_mov_b32_e32 v21, 0
	ds_read_b32 v21, v21 offset:13004
	ds_read_b32 v22, v3
	s_waitcnt lgkmcnt(0)
	v_fmac_f32_e32 v20, v21, v22
.LBB11_940:
	s_or_b64 exec, exec, s[0:1]
	s_barrier
	s_and_saveexec_b64 s[0:1], s[28:29]
	s_cbranch_execz .LBB11_942
; %bb.941:
	v_mov_b32_e32 v21, 0
	ds_read_b32 v21, v21 offset:13260
	s_waitcnt lgkmcnt(0)
	v_mul_f32_e32 v20, v20, v21
	ds_write_b32 v3, v20
.LBB11_942:
	s_or_b64 exec, exec, s[0:1]
	s_waitcnt lgkmcnt(0)
	s_barrier
	s_barrier
	s_and_saveexec_b64 s[0:1], s[2:3]
; %bb.943:
	v_xor_b32_e32 v20, 0x80000000, v20
	ds_write_b32 v1, v20 offset:12488
; %bb.944:
	s_or_b64 exec, exec, s[0:1]
	s_waitcnt lgkmcnt(0)
	s_barrier
	s_barrier
	s_and_saveexec_b64 s[0:1], s[34:35]
	s_cbranch_execz .LBB11_946
; %bb.945:
	v_lshlrev_b32_e32 v20, 2, v0
	s_movk_i32 s10, 0xfc
	v_mad_u32_u24 v21, v0, s10, v20
	ds_read_b32 v22, v21 offset:12488
	s_waitcnt lgkmcnt(0)
	ds_write_b32 v20, v22 offset:12992
	ds_read_b32 v21, v21 offset:12492
	s_waitcnt lgkmcnt(0)
	ds_write_b32 v20, v21 offset:13248
.LBB11_946:
	s_or_b64 exec, exec, s[0:1]
	s_waitcnt lgkmcnt(0)
	s_barrier
	s_and_saveexec_b64 s[0:1], vcc
	s_cbranch_execz .LBB11_948
; %bb.947:
	v_mov_b32_e32 v22, 0
	ds_read_b64 v[20:21], v22 offset:13000
	ds_read_b32 v22, v22 offset:13260
	s_movk_i32 s10, 0x3000
	s_waitcnt lgkmcnt(0)
	v_mul_f32_e32 v20, v20, v22
	v_mul_f32_e32 v20, v21, v20
	v_add_u32_e64 v21, s10, 0
	ds_write2_b32 v21, v20, v20 offset0:179 offset1:242
.LBB11_948:
	s_or_b64 exec, exec, s[0:1]
	v_mov_b32_e32 v20, 0
	s_waitcnt lgkmcnt(0)
	s_barrier
	s_and_saveexec_b64 s[0:1], s[18:19]
	s_cbranch_execz .LBB11_954
; %bb.949:
	v_mul_u32_u24_e32 v21, 0x104, v14
	ds_read_b32 v20, v6 offset:12496
	ds_read_b32 v22, v21 offset:12480
	v_cmp_gt_u32_e64 s[10:11], 12, v4
	s_waitcnt lgkmcnt(0)
	v_fma_f32 v20, v20, v22, 0
	s_and_saveexec_b64 s[12:13], s[10:11]
	s_cbranch_execnz .LBB11_1245
; %bb.950:
	s_or_b64 exec, exec, s[12:13]
	v_cmp_gt_u32_e64 s[10:11], 8, v4
	s_and_saveexec_b64 s[12:13], s[10:11]
	s_cbranch_execnz .LBB11_1246
.LBB11_951:
	s_or_b64 exec, exec, s[12:13]
	v_cmp_gt_u32_e64 s[10:11], 4, v4
	s_and_saveexec_b64 s[12:13], s[10:11]
	s_cbranch_execz .LBB11_953
.LBB11_952:
	v_lshlrev_b32_e32 v21, 2, v0
	v_mov_b32_e32 v22, 0
	ds_read_b32 v21, v21 offset:13264
	ds_read_b32 v22, v22 offset:12492
	s_waitcnt lgkmcnt(0)
	v_fmac_f32_e32 v20, v21, v22
.LBB11_953:
	s_or_b64 exec, exec, s[12:13]
	v_xor_b32_e32 v20, 0x80000000, v20
.LBB11_954:
	s_or_b64 exec, exec, s[0:1]
	s_and_saveexec_b64 s[0:1], s[38:39]
	s_cbranch_execz .LBB11_956
; %bb.955:
	v_mov_b32_e32 v21, 0
	ds_read_b32 v21, v21 offset:13520
	s_waitcnt lgkmcnt(0)
	v_mul_f32_e32 v20, v20, v21
	ds_write_b32 v12, v20
.LBB11_956:
	s_or_b64 exec, exec, s[0:1]
	s_waitcnt lgkmcnt(0)
	s_barrier
	s_and_saveexec_b64 s[0:1], s[42:43]
	s_cbranch_execz .LBB11_958
; %bb.957:
	ds_read_b32 v21, v11 offset:13520
	ds_read_b32 v22, v12
	s_waitcnt lgkmcnt(0)
	v_fmac_f32_e32 v20, v21, v22
.LBB11_958:
	s_or_b64 exec, exec, s[0:1]
	s_barrier
	s_and_saveexec_b64 s[0:1], s[44:45]
	s_cbranch_execz .LBB11_960
; %bb.959:
	v_mov_b32_e32 v21, 0
	ds_read_b32 v21, v21 offset:13780
	s_waitcnt lgkmcnt(0)
	v_mul_f32_e32 v20, v20, v21
	ds_write_b32 v12, v20
.LBB11_960:
	s_or_b64 exec, exec, s[0:1]
	s_waitcnt lgkmcnt(0)
	s_barrier
	s_and_saveexec_b64 s[0:1], s[52:53]
	s_cbranch_execz .LBB11_962
; %bb.961:
	ds_read_b32 v21, v11 offset:13776
	ds_read_b32 v22, v12
	s_waitcnt lgkmcnt(0)
	v_fmac_f32_e32 v20, v21, v22
.LBB11_962:
	s_or_b64 exec, exec, s[0:1]
	s_barrier
	s_and_saveexec_b64 s[0:1], s[54:55]
	s_cbranch_execz .LBB11_964
; %bb.963:
	v_mov_b32_e32 v21, 0
	ds_read_b32 v21, v21 offset:14040
	s_waitcnt lgkmcnt(0)
	v_mul_f32_e32 v20, v20, v21
	ds_write_b32 v12, v20
.LBB11_964:
	s_or_b64 exec, exec, s[0:1]
	s_waitcnt lgkmcnt(0)
	s_barrier
	s_and_saveexec_b64 s[0:1], s[36:37]
	s_cbranch_execz .LBB11_966
; %bb.965:
	v_mov_b32_e32 v21, 0
	ds_read_b32 v21, v21 offset:14044
	ds_read_b32 v22, v12
	s_waitcnt lgkmcnt(0)
	v_fmac_f32_e32 v20, v21, v22
.LBB11_966:
	s_or_b64 exec, exec, s[0:1]
	s_barrier
	s_and_saveexec_b64 s[0:1], s[36:37]
	s_cbranch_execz .LBB11_968
; %bb.967:
	v_mov_b32_e32 v21, 0
	ds_read_b32 v21, v21 offset:14300
	s_waitcnt lgkmcnt(0)
	v_mul_f32_e32 v20, v20, v21
	ds_write_b32 v12, v20
.LBB11_968:
	s_or_b64 exec, exec, s[0:1]
	s_waitcnt lgkmcnt(0)
	s_barrier
	s_barrier
	s_and_saveexec_b64 s[0:1], s[18:19]
; %bb.969:
	v_xor_b32_e32 v20, 0x80000000, v20
	ds_write_b32 v6, v20 offset:12496
; %bb.970:
	s_or_b64 exec, exec, s[0:1]
	s_waitcnt lgkmcnt(0)
	s_barrier
	s_barrier
	s_and_saveexec_b64 s[0:1], s[56:57]
	s_cbranch_execz .LBB11_972
; %bb.971:
	v_lshlrev_b32_e32 v20, 8, v0
	ds_read_b32 v21, v20 offset:12496
	s_movk_i32 s10, 0xff04
	v_mad_i32_i24 v22, v0, s10, v20
	s_waitcnt lgkmcnt(0)
	ds_write_b32 v22, v21 offset:13504
	ds_read_b32 v21, v20 offset:12500
	s_waitcnt lgkmcnt(0)
	ds_write_b32 v22, v21 offset:13760
	ds_read_b32 v21, v20 offset:12504
	;; [unrolled: 3-line block ×3, first 2 shown]
	s_waitcnt lgkmcnt(0)
	ds_write_b32 v22, v20 offset:14272
.LBB11_972:
	s_or_b64 exec, exec, s[0:1]
	s_waitcnt lgkmcnt(0)
	s_barrier
	s_and_saveexec_b64 s[0:1], vcc
	s_cbranch_execz .LBB11_974
; %bb.973:
	v_mov_b32_e32 v22, 0
	ds_read_b64 v[20:21], v22 offset:13520
	ds_read_b32 v22, v22 offset:13780
	s_movk_i32 s10, 0x3400
	s_waitcnt lgkmcnt(0)
	v_mul_f32_e32 v20, v20, v22
	v_mul_f32_e32 v20, v21, v20
	v_add_u32_e64 v21, s10, 0
	ds_write2_b32 v21, v20, v20 offset0:53 offset1:116
.LBB11_974:
	s_or_b64 exec, exec, s[0:1]
	v_mov_b32_e32 v20, 0
	s_waitcnt lgkmcnt(0)
	s_barrier
	s_and_saveexec_b64 s[0:1], s[2:3]
	s_cbranch_execz .LBB11_978
; %bb.975:
	v_mul_u32_u24_e32 v20, 0x104, v5
	ds_read_b32 v22, v1 offset:13528
	ds_read_b32 v20, v20 offset:13520
	v_mov_b32_e32 v21, 0
	v_cmp_gt_u32_e64 s[10:11], 2, v4
	s_waitcnt lgkmcnt(0)
	v_fma_f32 v20, v22, v20, 0
	s_and_saveexec_b64 s[12:13], s[10:11]
	s_cbranch_execz .LBB11_977
; %bb.976:
	v_lshlrev_b32_e32 v22, 2, v0
	ds_read_b32 v22, v22 offset:13784
	ds_read_b32 v21, v21 offset:13524
	s_waitcnt lgkmcnt(0)
	v_fmac_f32_e32 v20, v22, v21
.LBB11_977:
	s_or_b64 exec, exec, s[12:13]
	v_xor_b32_e32 v20, 0x80000000, v20
.LBB11_978:
	s_or_b64 exec, exec, s[0:1]
	s_and_saveexec_b64 s[0:1], s[30:31]
	s_cbranch_execz .LBB11_980
; %bb.979:
	v_mov_b32_e32 v21, 0
	ds_read_b32 v21, v21 offset:14040
	s_waitcnt lgkmcnt(0)
	v_mul_f32_e32 v20, v20, v21
	ds_write_b32 v3, v20
.LBB11_980:
	s_or_b64 exec, exec, s[0:1]
	s_waitcnt lgkmcnt(0)
	s_barrier
	s_and_saveexec_b64 s[0:1], s[28:29]
	s_cbranch_execz .LBB11_982
; %bb.981:
	v_mov_b32_e32 v21, 0
	ds_read_b32 v21, v21 offset:14044
	ds_read_b32 v22, v3
	s_waitcnt lgkmcnt(0)
	v_fmac_f32_e32 v20, v21, v22
.LBB11_982:
	s_or_b64 exec, exec, s[0:1]
	s_barrier
	s_and_saveexec_b64 s[0:1], s[28:29]
	s_cbranch_execz .LBB11_984
; %bb.983:
	v_mov_b32_e32 v21, 0
	ds_read_b32 v21, v21 offset:14300
	s_waitcnt lgkmcnt(0)
	v_mul_f32_e32 v20, v20, v21
	ds_write_b32 v3, v20
.LBB11_984:
	s_or_b64 exec, exec, s[0:1]
	s_waitcnt lgkmcnt(0)
	s_barrier
	s_barrier
	s_and_saveexec_b64 s[0:1], s[2:3]
; %bb.985:
	v_xor_b32_e32 v20, 0x80000000, v20
	ds_write_b32 v1, v20 offset:13528
; %bb.986:
	s_or_b64 exec, exec, s[0:1]
	s_waitcnt lgkmcnt(0)
	s_barrier
	s_barrier
	s_and_saveexec_b64 s[0:1], s[34:35]
	s_cbranch_execz .LBB11_988
; %bb.987:
	v_lshlrev_b32_e32 v20, 2, v0
	s_movk_i32 s10, 0xfc
	v_mad_u32_u24 v21, v0, s10, v20
	ds_read_b32 v22, v21 offset:13528
	s_waitcnt lgkmcnt(0)
	ds_write_b32 v20, v22 offset:14032
	ds_read_b32 v21, v21 offset:13532
	s_waitcnt lgkmcnt(0)
	ds_write_b32 v20, v21 offset:14288
.LBB11_988:
	s_or_b64 exec, exec, s[0:1]
	s_waitcnt lgkmcnt(0)
	s_barrier
	s_and_saveexec_b64 s[0:1], vcc
	s_cbranch_execz .LBB11_990
; %bb.989:
	v_mov_b32_e32 v22, 0
	ds_read_b64 v[20:21], v22 offset:14040
	ds_read_b32 v22, v22 offset:14300
	s_movk_i32 s10, 0x3400
	s_waitcnt lgkmcnt(0)
	v_mul_f32_e32 v20, v20, v22
	v_mul_f32_e32 v20, v21, v20
	v_add_u32_e64 v21, s10, 0
	ds_write2_b32 v21, v20, v20 offset0:183 offset1:246
.LBB11_990:
	s_or_b64 exec, exec, s[0:1]
	v_mov_b32_e32 v20, 0
	s_waitcnt lgkmcnt(0)
	s_barrier
	s_and_saveexec_b64 s[0:1], s[8:9]
	s_cbranch_execz .LBB11_1000
; %bb.991:
	v_mul_u32_u24_e32 v21, 0x104, v19
	ds_read_b32 v20, v15 offset:12512
	ds_read_b32 v22, v21 offset:12480
	v_cmp_gt_u32_e64 s[10:11], 56, v4
	s_waitcnt lgkmcnt(0)
	v_fma_f32 v20, v20, v22, 0
	s_and_saveexec_b64 s[12:13], s[10:11]
	s_cbranch_execnz .LBB11_1247
; %bb.992:
	s_or_b64 exec, exec, s[12:13]
	v_cmp_gt_u32_e64 s[10:11], 48, v4
	s_and_saveexec_b64 s[12:13], s[10:11]
	s_cbranch_execnz .LBB11_1248
.LBB11_993:
	s_or_b64 exec, exec, s[12:13]
	v_cmp_gt_u32_e64 s[10:11], 40, v4
	s_and_saveexec_b64 s[12:13], s[10:11]
	s_cbranch_execnz .LBB11_1249
.LBB11_994:
	s_or_b64 exec, exec, s[12:13]
	v_cmp_gt_u32_e64 s[10:11], 32, v4
	s_and_saveexec_b64 s[12:13], s[10:11]
	s_cbranch_execnz .LBB11_1250
.LBB11_995:
	s_or_b64 exec, exec, s[12:13]
	v_cmp_gt_u32_e64 s[10:11], 24, v4
	s_and_saveexec_b64 s[12:13], s[10:11]
	s_cbranch_execnz .LBB11_1251
.LBB11_996:
	s_or_b64 exec, exec, s[12:13]
	v_cmp_gt_u32_e64 s[10:11], 16, v4
	s_and_saveexec_b64 s[12:13], s[10:11]
	s_cbranch_execnz .LBB11_1252
.LBB11_997:
	s_or_b64 exec, exec, s[12:13]
	v_cmp_gt_u32_e64 s[10:11], 8, v4
	s_and_saveexec_b64 s[12:13], s[10:11]
	s_cbranch_execz .LBB11_999
.LBB11_998:
	v_lshlrev_b32_e32 v18, 2, v0
	v_mov_b32_e32 v19, 0
	ds_read_b32 v18, v18 offset:14304
	ds_read_b32 v19, v19 offset:12508
	s_waitcnt lgkmcnt(0)
	v_fmac_f32_e32 v20, v18, v19
.LBB11_999:
	s_or_b64 exec, exec, s[12:13]
	v_xor_b32_e32 v20, 0x80000000, v20
.LBB11_1000:
	s_or_b64 exec, exec, s[0:1]
	s_and_saveexec_b64 s[0:1], s[58:59]
	s_cbranch_execz .LBB11_1002
; %bb.1001:
	v_mov_b32_e32 v18, 0
	ds_read_b32 v18, v18 offset:14560
	s_waitcnt lgkmcnt(0)
	v_mul_f32_e32 v20, v20, v18
	ds_write_b32 v17, v20
.LBB11_1002:
	s_or_b64 exec, exec, s[0:1]
	s_waitcnt lgkmcnt(0)
	s_barrier
	s_and_saveexec_b64 s[0:1], s[60:61]
	v_readlane_b32 s58, v33, 2
	v_readlane_b32 s59, v33, 3
	s_cbranch_execz .LBB11_1004
; %bb.1003:
	ds_read_b32 v18, v16 offset:14560
	ds_read_b32 v19, v17
	s_waitcnt lgkmcnt(0)
	v_fmac_f32_e32 v20, v18, v19
.LBB11_1004:
	s_or_b64 exec, exec, s[0:1]
	s_barrier
	s_and_saveexec_b64 s[0:1], s[62:63]
	s_cbranch_execz .LBB11_1006
; %bb.1005:
	v_mov_b32_e32 v18, 0
	ds_read_b32 v18, v18 offset:14820
	s_waitcnt lgkmcnt(0)
	v_mul_f32_e32 v20, v20, v18
	ds_write_b32 v17, v20
.LBB11_1006:
	s_or_b64 exec, exec, s[0:1]
	s_waitcnt lgkmcnt(0)
	s_barrier
	s_and_saveexec_b64 s[0:1], s[64:65]
	s_cbranch_execz .LBB11_1008
; %bb.1007:
	ds_read_b32 v18, v16 offset:14816
	ds_read_b32 v19, v17
	s_waitcnt lgkmcnt(0)
	v_fmac_f32_e32 v20, v18, v19
.LBB11_1008:
	s_or_b64 exec, exec, s[0:1]
	s_barrier
	s_and_saveexec_b64 s[0:1], s[68:69]
	s_cbranch_execz .LBB11_1010
; %bb.1009:
	v_mov_b32_e32 v18, 0
	ds_read_b32 v18, v18 offset:15080
	s_waitcnt lgkmcnt(0)
	v_mul_f32_e32 v20, v20, v18
	ds_write_b32 v17, v20
.LBB11_1010:
	s_or_b64 exec, exec, s[0:1]
	s_waitcnt lgkmcnt(0)
	s_barrier
	s_and_saveexec_b64 s[0:1], s[70:71]
	;; [unrolled: 22-line block ×6, first 2 shown]
	s_cbranch_execz .LBB11_1028
; %bb.1027:
	v_mov_b32_e32 v16, 0
	ds_read_b32 v16, v16 offset:16124
	ds_read_b32 v18, v17
	s_waitcnt lgkmcnt(0)
	v_fmac_f32_e32 v20, v16, v18
.LBB11_1028:
	s_or_b64 exec, exec, s[0:1]
	s_barrier
	s_and_saveexec_b64 s[0:1], s[66:67]
	s_cbranch_execz .LBB11_1030
; %bb.1029:
	v_mov_b32_e32 v16, 0
	ds_read_b32 v16, v16 offset:16380
	s_waitcnt lgkmcnt(0)
	v_mul_f32_e32 v20, v20, v16
	ds_write_b32 v17, v20
.LBB11_1030:
	s_or_b64 exec, exec, s[0:1]
	s_waitcnt lgkmcnt(0)
	s_barrier
	s_barrier
	s_and_saveexec_b64 s[0:1], s[8:9]
; %bb.1031:
	v_xor_b32_e32 v16, 0x80000000, v20
	ds_write_b32 v15, v16 offset:12512
; %bb.1032:
	s_or_b64 exec, exec, s[0:1]
	s_waitcnt lgkmcnt(0)
	s_barrier
	s_barrier
	s_and_saveexec_b64 s[0:1], s[86:87]
	s_cbranch_execz .LBB11_1034
; %bb.1033:
	v_lshlrev_b32_e32 v15, 8, v0
	ds_read_b32 v16, v15 offset:12512
	s_movk_i32 s8, 0xff04
	v_mad_i32_i24 v17, v0, s8, v15
	s_waitcnt lgkmcnt(0)
	ds_write_b32 v17, v16 offset:14528
	ds_read_b32 v16, v15 offset:12516
	s_waitcnt lgkmcnt(0)
	ds_write_b32 v17, v16 offset:14784
	ds_read_b32 v16, v15 offset:12520
	;; [unrolled: 3-line block ×7, first 2 shown]
	s_waitcnt lgkmcnt(0)
	ds_write_b32 v17, v15 offset:16320
.LBB11_1034:
	s_or_b64 exec, exec, s[0:1]
	s_waitcnt lgkmcnt(0)
	s_barrier
	s_and_saveexec_b64 s[0:1], vcc
	s_cbranch_execz .LBB11_1036
; %bb.1035:
	v_mov_b32_e32 v17, 0
	ds_read_b64 v[15:16], v17 offset:14560
	ds_read_b32 v17, v17 offset:14820
	s_movk_i32 s8, 0x3800
	s_waitcnt lgkmcnt(0)
	v_mul_f32_e32 v15, v15, v17
	v_mul_f32_e32 v15, v16, v15
	v_add_u32_e64 v16, s8, 0
	ds_write2_b32 v16, v15, v15 offset0:57 offset1:120
.LBB11_1036:
	s_or_b64 exec, exec, s[0:1]
	v_mov_b32_e32 v15, 0
	s_waitcnt lgkmcnt(0)
	s_barrier
	s_and_saveexec_b64 s[0:1], s[2:3]
	s_cbranch_execz .LBB11_1040
; %bb.1037:
	v_mul_u32_u24_e32 v15, 0x104, v5
	ds_read_b32 v17, v1 offset:14568
	ds_read_b32 v15, v15 offset:14560
	v_mov_b32_e32 v16, 0
	v_cmp_gt_u32_e64 s[8:9], 2, v4
	s_waitcnt lgkmcnt(0)
	v_fma_f32 v15, v17, v15, 0
	s_and_saveexec_b64 s[10:11], s[8:9]
	s_cbranch_execz .LBB11_1039
; %bb.1038:
	v_lshlrev_b32_e32 v17, 2, v0
	ds_read_b32 v17, v17 offset:14824
	ds_read_b32 v16, v16 offset:14564
	s_waitcnt lgkmcnt(0)
	v_fmac_f32_e32 v15, v17, v16
.LBB11_1039:
	s_or_b64 exec, exec, s[10:11]
	v_xor_b32_e32 v15, 0x80000000, v15
.LBB11_1040:
	s_or_b64 exec, exec, s[0:1]
	s_and_saveexec_b64 s[0:1], s[30:31]
	s_cbranch_execz .LBB11_1042
; %bb.1041:
	v_mov_b32_e32 v16, 0
	ds_read_b32 v16, v16 offset:15080
	s_waitcnt lgkmcnt(0)
	v_mul_f32_e32 v15, v15, v16
	ds_write_b32 v3, v15
.LBB11_1042:
	s_or_b64 exec, exec, s[0:1]
	s_waitcnt lgkmcnt(0)
	s_barrier
	s_and_saveexec_b64 s[0:1], s[28:29]
	s_cbranch_execz .LBB11_1044
; %bb.1043:
	v_mov_b32_e32 v16, 0
	ds_read_b32 v16, v16 offset:15084
	ds_read_b32 v17, v3
	s_waitcnt lgkmcnt(0)
	v_fmac_f32_e32 v15, v16, v17
.LBB11_1044:
	s_or_b64 exec, exec, s[0:1]
	s_barrier
	s_and_saveexec_b64 s[0:1], s[28:29]
	s_cbranch_execz .LBB11_1046
; %bb.1045:
	v_mov_b32_e32 v16, 0
	ds_read_b32 v16, v16 offset:15340
	s_waitcnt lgkmcnt(0)
	v_mul_f32_e32 v15, v15, v16
	ds_write_b32 v3, v15
.LBB11_1046:
	s_or_b64 exec, exec, s[0:1]
	s_waitcnt lgkmcnt(0)
	s_barrier
	s_barrier
	s_and_saveexec_b64 s[0:1], s[2:3]
; %bb.1047:
	v_xor_b32_e32 v15, 0x80000000, v15
	ds_write_b32 v1, v15 offset:14568
; %bb.1048:
	s_or_b64 exec, exec, s[0:1]
	s_waitcnt lgkmcnt(0)
	s_barrier
	s_barrier
	s_and_saveexec_b64 s[0:1], s[34:35]
	s_cbranch_execz .LBB11_1050
; %bb.1049:
	v_lshlrev_b32_e32 v15, 2, v0
	s_movk_i32 s8, 0xfc
	v_mad_u32_u24 v16, v0, s8, v15
	ds_read_b32 v17, v16 offset:14568
	s_waitcnt lgkmcnt(0)
	ds_write_b32 v15, v17 offset:15072
	ds_read_b32 v16, v16 offset:14572
	s_waitcnt lgkmcnt(0)
	ds_write_b32 v15, v16 offset:15328
.LBB11_1050:
	s_or_b64 exec, exec, s[0:1]
	s_waitcnt lgkmcnt(0)
	s_barrier
	s_and_saveexec_b64 s[0:1], vcc
	s_cbranch_execz .LBB11_1052
; %bb.1051:
	v_mov_b32_e32 v17, 0
	ds_read_b64 v[15:16], v17 offset:15080
	ds_read_b32 v17, v17 offset:15340
	s_movk_i32 s8, 0x3800
	s_waitcnt lgkmcnt(0)
	v_mul_f32_e32 v15, v15, v17
	v_mul_f32_e32 v15, v16, v15
	v_add_u32_e64 v16, s8, 0
	ds_write2_b32 v16, v15, v15 offset0:187 offset1:250
.LBB11_1052:
	s_or_b64 exec, exec, s[0:1]
	v_mov_b32_e32 v15, 0
	s_waitcnt lgkmcnt(0)
	s_barrier
	s_and_saveexec_b64 s[0:1], s[18:19]
	s_cbranch_execz .LBB11_1058
; %bb.1053:
	v_mul_u32_u24_e32 v16, 0x104, v14
	ds_read_b32 v15, v6 offset:14576
	ds_read_b32 v17, v16 offset:14560
	v_cmp_gt_u32_e64 s[8:9], 12, v4
	s_waitcnt lgkmcnt(0)
	v_fma_f32 v15, v15, v17, 0
	s_and_saveexec_b64 s[10:11], s[8:9]
	s_cbranch_execnz .LBB11_1253
; %bb.1054:
	s_or_b64 exec, exec, s[10:11]
	v_cmp_gt_u32_e64 s[8:9], 8, v4
	s_and_saveexec_b64 s[10:11], s[8:9]
	s_cbranch_execnz .LBB11_1254
.LBB11_1055:
	s_or_b64 exec, exec, s[10:11]
	v_cmp_gt_u32_e64 s[8:9], 4, v4
	s_and_saveexec_b64 s[10:11], s[8:9]
	s_cbranch_execz .LBB11_1057
.LBB11_1056:
	v_lshlrev_b32_e32 v13, 2, v0
	v_mov_b32_e32 v14, 0
	ds_read_b32 v13, v13 offset:15344
	ds_read_b32 v14, v14 offset:14572
	s_waitcnt lgkmcnt(0)
	v_fmac_f32_e32 v15, v13, v14
.LBB11_1057:
	s_or_b64 exec, exec, s[10:11]
	v_xor_b32_e32 v15, 0x80000000, v15
.LBB11_1058:
	s_or_b64 exec, exec, s[0:1]
	s_and_saveexec_b64 s[0:1], s[38:39]
	s_cbranch_execz .LBB11_1060
; %bb.1059:
	v_mov_b32_e32 v13, 0
	ds_read_b32 v13, v13 offset:15600
	s_waitcnt lgkmcnt(0)
	v_mul_f32_e32 v15, v15, v13
	ds_write_b32 v12, v15
.LBB11_1060:
	s_or_b64 exec, exec, s[0:1]
	s_waitcnt lgkmcnt(0)
	s_barrier
	s_and_saveexec_b64 s[0:1], s[42:43]
	v_readlane_b32 s38, v33, 1
	s_cbranch_execz .LBB11_1062
; %bb.1061:
	ds_read_b32 v13, v11 offset:15600
	ds_read_b32 v14, v12
	s_waitcnt lgkmcnt(0)
	v_fmac_f32_e32 v15, v13, v14
.LBB11_1062:
	s_or_b64 exec, exec, s[0:1]
	s_barrier
	s_and_saveexec_b64 s[0:1], s[44:45]
	s_cbranch_execz .LBB11_1064
; %bb.1063:
	v_mov_b32_e32 v13, 0
	ds_read_b32 v13, v13 offset:15860
	s_waitcnt lgkmcnt(0)
	v_mul_f32_e32 v15, v15, v13
	ds_write_b32 v12, v15
.LBB11_1064:
	s_or_b64 exec, exec, s[0:1]
	s_waitcnt lgkmcnt(0)
	s_barrier
	s_and_saveexec_b64 s[0:1], s[52:53]
	s_cbranch_execz .LBB11_1066
; %bb.1065:
	ds_read_b32 v11, v11 offset:15856
	ds_read_b32 v13, v12
	s_waitcnt lgkmcnt(0)
	v_fmac_f32_e32 v15, v11, v13
.LBB11_1066:
	s_or_b64 exec, exec, s[0:1]
	s_barrier
	s_and_saveexec_b64 s[0:1], s[54:55]
	s_cbranch_execz .LBB11_1068
; %bb.1067:
	v_mov_b32_e32 v11, 0
	ds_read_b32 v11, v11 offset:16120
	s_waitcnt lgkmcnt(0)
	v_mul_f32_e32 v15, v15, v11
	ds_write_b32 v12, v15
.LBB11_1068:
	s_or_b64 exec, exec, s[0:1]
	s_waitcnt lgkmcnt(0)
	s_barrier
	s_and_saveexec_b64 s[0:1], s[36:37]
	s_cbranch_execz .LBB11_1070
; %bb.1069:
	v_mov_b32_e32 v11, 0
	ds_read_b32 v11, v11 offset:16124
	ds_read_b32 v13, v12
	s_waitcnt lgkmcnt(0)
	v_fmac_f32_e32 v15, v11, v13
.LBB11_1070:
	s_or_b64 exec, exec, s[0:1]
	s_barrier
	s_and_saveexec_b64 s[0:1], s[36:37]
	s_cbranch_execz .LBB11_1072
; %bb.1071:
	v_mov_b32_e32 v11, 0
	ds_read_b32 v11, v11 offset:16380
	s_waitcnt lgkmcnt(0)
	v_mul_f32_e32 v15, v15, v11
	ds_write_b32 v12, v15
.LBB11_1072:
	s_or_b64 exec, exec, s[0:1]
	s_waitcnt lgkmcnt(0)
	s_barrier
	s_barrier
	s_and_saveexec_b64 s[0:1], s[18:19]
; %bb.1073:
	v_xor_b32_e32 v11, 0x80000000, v15
	ds_write_b32 v6, v11 offset:14576
; %bb.1074:
	s_or_b64 exec, exec, s[0:1]
	s_waitcnt lgkmcnt(0)
	s_barrier
	s_barrier
	s_and_saveexec_b64 s[0:1], s[56:57]
	s_cbranch_execz .LBB11_1076
; %bb.1075:
	v_lshlrev_b32_e32 v6, 8, v0
	ds_read_b32 v11, v6 offset:14576
	s_movk_i32 s8, 0xff04
	v_mad_i32_i24 v12, v0, s8, v6
	s_waitcnt lgkmcnt(0)
	ds_write_b32 v12, v11 offset:15584
	ds_read_b32 v11, v6 offset:14580
	s_waitcnt lgkmcnt(0)
	ds_write_b32 v12, v11 offset:15840
	ds_read_b32 v11, v6 offset:14584
	;; [unrolled: 3-line block ×3, first 2 shown]
	s_waitcnt lgkmcnt(0)
	ds_write_b32 v12, v6 offset:16352
.LBB11_1076:
	s_or_b64 exec, exec, s[0:1]
	s_waitcnt lgkmcnt(0)
	s_barrier
	s_and_saveexec_b64 s[0:1], vcc
	s_cbranch_execz .LBB11_1078
; %bb.1077:
	v_mov_b32_e32 v6, 0
	ds_read_b64 v[11:12], v6 offset:15600
	ds_read_b32 v6, v6 offset:15860
	s_movk_i32 s8, 0x3c00
	s_waitcnt lgkmcnt(0)
	v_mul_f32_e32 v6, v11, v6
	v_mul_f32_e32 v6, v12, v6
	v_add_u32_e64 v11, s8, 0
	ds_write2_b32 v11, v6, v6 offset0:61 offset1:124
.LBB11_1078:
	s_or_b64 exec, exec, s[0:1]
	v_mov_b32_e32 v6, 0
	s_waitcnt lgkmcnt(0)
	s_barrier
	s_and_saveexec_b64 s[0:1], s[2:3]
	s_cbranch_execz .LBB11_1082
; %bb.1079:
	v_mul_u32_u24_e32 v5, 0x104, v5
	ds_read_b32 v11, v1 offset:15608
	ds_read_b32 v5, v5 offset:15600
	v_mov_b32_e32 v6, 0
	v_cmp_gt_u32_e64 s[8:9], 2, v4
	s_waitcnt lgkmcnt(0)
	v_fma_f32 v5, v11, v5, 0
	s_and_saveexec_b64 s[10:11], s[8:9]
	s_cbranch_execz .LBB11_1081
; %bb.1080:
	v_lshlrev_b32_e32 v4, 2, v0
	ds_read_b32 v4, v4 offset:15864
	ds_read_b32 v6, v6 offset:15604
	s_waitcnt lgkmcnt(0)
	v_fmac_f32_e32 v5, v4, v6
.LBB11_1081:
	s_or_b64 exec, exec, s[10:11]
	v_xor_b32_e32 v6, 0x80000000, v5
.LBB11_1082:
	s_or_b64 exec, exec, s[0:1]
	s_and_saveexec_b64 s[0:1], s[30:31]
	s_cbranch_execz .LBB11_1084
; %bb.1083:
	v_mov_b32_e32 v4, 0
	ds_read_b32 v4, v4 offset:16120
	s_waitcnt lgkmcnt(0)
	v_mul_f32_e32 v6, v6, v4
	ds_write_b32 v3, v6
.LBB11_1084:
	s_or_b64 exec, exec, s[0:1]
	s_waitcnt lgkmcnt(0)
	s_barrier
	s_and_saveexec_b64 s[0:1], s[28:29]
	s_load_dword s30, s[4:5], 0x6c
	v_readlane_b32 s31, v33, 0
	s_cbranch_execz .LBB11_1086
; %bb.1085:
	v_mov_b32_e32 v4, 0
	ds_read_b32 v4, v4 offset:16124
	ds_read_b32 v5, v3
	s_waitcnt lgkmcnt(0)
	v_fmac_f32_e32 v6, v4, v5
.LBB11_1086:
	s_or_b64 exec, exec, s[0:1]
	s_waitcnt lgkmcnt(0)
	s_barrier
	s_and_saveexec_b64 s[0:1], s[28:29]
	s_cbranch_execz .LBB11_1088
; %bb.1087:
	v_mov_b32_e32 v4, 0
	ds_read_b32 v4, v4 offset:16380
	s_waitcnt lgkmcnt(0)
	v_mul_f32_e32 v6, v6, v4
	ds_write_b32 v3, v6
.LBB11_1088:
	s_or_b64 exec, exec, s[0:1]
	s_waitcnt lgkmcnt(0)
	s_barrier
	s_barrier
	s_and_saveexec_b64 s[0:1], s[2:3]
; %bb.1089:
	v_xor_b32_e32 v3, 0x80000000, v6
	ds_write_b32 v1, v3 offset:15608
; %bb.1090:
	s_or_b64 exec, exec, s[0:1]
	s_waitcnt lgkmcnt(0)
	s_barrier
	s_barrier
	s_and_saveexec_b64 s[0:1], s[34:35]
	s_cbranch_execz .LBB11_1092
; %bb.1091:
	v_lshlrev_b32_e32 v1, 2, v0
	s_movk_i32 s2, 0xfc
	v_mad_u32_u24 v3, v0, s2, v1
	ds_read_b32 v4, v3 offset:15608
	s_waitcnt lgkmcnt(0)
	ds_write_b32 v1, v4 offset:16112
	ds_read_b32 v3, v3 offset:15612
	s_waitcnt lgkmcnt(0)
	ds_write_b32 v1, v3 offset:16368
.LBB11_1092:
	s_or_b64 exec, exec, s[0:1]
	s_waitcnt lgkmcnt(0)
	s_barrier
	s_and_saveexec_b64 s[0:1], vcc
	s_cbranch_execz .LBB11_1094
; %bb.1093:
	v_mov_b32_e32 v1, 0
	ds_read_b64 v[3:4], v1 offset:16120
	ds_read_b32 v1, v1 offset:16380
	s_movk_i32 s2, 0x3c00
	s_waitcnt lgkmcnt(0)
	v_mul_f32_e32 v1, v3, v1
	v_mul_f32_e32 v1, v4, v1
	v_add_u32_e64 v3, s2, 0
	ds_write2_b32 v3, v1, v1 offset0:191 offset1:254
.LBB11_1094:
	s_or_b64 exec, exec, s[0:1]
.LBB11_1095:
	s_load_dwordx4 s[12:15], s[4:5], 0x48
	v_cmp_le_i32_e32 vcc, s90, v0
	v_mov_b32_e32 v11, 0
	v_add_u32_e32 v3, s33, v0
	s_waitcnt lgkmcnt(0)
	s_mul_i32 s1, s13, s22
	s_mul_hi_u32 s2, s12, s22
	s_mul_i32 s0, s12, s22
	s_add_i32 s1, s2, s1
	s_lshl_b64 s[0:1], s[0:1], 2
	s_add_u32 s2, s46, s0
	s_addc_u32 s3, s47, s1
	s_lshl_b64 s[0:1], s[48:49], 2
	s_add_u32 s20, s2, s0
	s_addc_u32 s21, s3, s1
	s_and_b64 s[16:17], vcc, s[26:27]
	v_cmp_eq_u32_e64 s[2:3], 0, v2
	s_xor_b64 s[0:1], s[16:17], -1
	s_and_b64 s[4:5], s[2:3], s[0:1]
	s_barrier
	s_and_saveexec_b64 s[0:1], s[4:5]
	s_cbranch_execz .LBB11_1097
; %bb.1096:
	v_ashrrev_i32_e32 v1, 31, v3
	v_mul_lo_u32 v6, s51, v3
	v_mad_u64_u32 v[4:5], s[4:5], s50, v3, 0
	v_mul_lo_u32 v1, s50, v1
	v_add3_u32 v5, v5, v1, v6
	v_lshlrev_b64 v[4:5], 2, v[4:5]
	v_mov_b32_e32 v1, s21
	v_add_co_u32_e32 v4, vcc, s20, v4
	v_addc_co_u32_e32 v5, vcc, v1, v5, vcc
	global_load_dword v1, v[4:5], off
	s_waitcnt vmcnt(0)
	v_mul_f32_e64 v11, v1, -s31
.LBB11_1097:
	s_or_b64 exec, exec, s[0:1]
	s_and_b32 s0, 0xffff, s30
	v_mad_u32_u24 v1, v2, s0, v0
	s_cmp_lt_i32 s6, 1
	v_cmp_eq_u32_e64 s[4:5], 0, v1
	s_cbranch_scc1 .LBB11_1123
; %bb.1098:
	v_ashrrev_i32_e32 v6, 31, v3
	v_mul_lo_u32 v12, s41, v3
	v_mad_u64_u32 v[4:5], s[0:1], s40, v3, 0
	v_mul_lo_u32 v6, s40, v6
	v_cmp_gt_i32_e64 s[8:9], s24, v3
	s_lshl_b64 s[0:1], s[22:23], 2
	s_add_u32 s0, s14, s0
	v_add3_u32 v5, v5, v6, v12
	v_lshlrev_b64 v[3:4], 2, v[4:5]
	v_mov_b32_e32 v6, 0x5000
	v_mov_b32_e32 v5, s92
	v_add_co_u32_e32 v14, vcc, s91, v3
	s_mov_b32 s28, 0
	s_addc_u32 s1, s15, s1
	v_cmp_gt_u32_e64 s[12:13], 64, v1
	v_lshl_add_u32 v12, v1, 2, v6
	v_lshl_or_b32 v13, v2, 2, v6
	s_add_i32 s93, s93, 1
	v_addc_co_u32_e32 v15, vcc, v5, v4, vcc
	v_mov_b32_e32 v17, -1
	v_mov_b32_e32 v16, 0
	s_branch .LBB11_1101
.LBB11_1099:                            ;   in Loop: Header=BB11_1101 Depth=1
	ds_read_b32 v3, v13 offset:192
	s_waitcnt vmcnt(0) lgkmcnt(0)
	v_fmac_f32_e32 v11, v5, v3
.LBB11_1100:                            ;   in Loop: Header=BB11_1101 Depth=1
	s_or_b64 exec, exec, s[18:19]
	s_add_i32 s28, s28, 1
	s_cmp_eq_u32 s28, s6
	s_cbranch_scc1 .LBB11_1123
.LBB11_1101:                            ; =>This Loop Header: Depth=1
                                        ;     Child Loop BB11_1103 Depth 2
	v_cmp_gt_i32_e32 vcc, s28, v17
	s_and_b64 s[18:19], s[4:5], vcc
	s_and_saveexec_b64 s[10:11], s[18:19]
	s_cbranch_execz .LBB11_1104
; %bb.1102:                             ;   in Loop: Header=BB11_1101 Depth=1
	global_load_dword v17, v16, s[0:1]
	s_waitcnt vmcnt(0)
	v_cmp_le_i32_e32 vcc, s28, v17
	s_cbranch_vccnz .LBB11_1104
.LBB11_1103:                            ;   Parent Loop BB11_1101 Depth=1
                                        ; =>  This Inner Loop Header: Depth=2
	buffer_wbinvl1_vol
	global_load_dword v17, v16, s[0:1]
	s_waitcnt vmcnt(0)
	v_cmp_gt_i32_e32 vcc, s28, v17
	s_cbranch_vccnz .LBB11_1103
.LBB11_1104:                            ;   in Loop: Header=BB11_1101 Depth=1
	s_or_b64 exec, exec, s[10:11]
	s_sub_i32 s29, s7, s28
	s_lshl_b32 s30, s29, 6
	buffer_wbinvl1_vol
	s_barrier
	s_and_saveexec_b64 s[10:11], s[12:13]
	s_cbranch_execz .LBB11_1108
; %bb.1105:                             ;   in Loop: Header=BB11_1101 Depth=1
	s_ashr_i32 s18, s30, 31
	v_mov_b32_e32 v4, s18
	v_or_b32_e32 v3, s30, v1
	v_cmp_gt_i64_e32 vcc, s[24:25], v[3:4]
	v_mov_b32_e32 v5, 0
	s_and_saveexec_b64 s[18:19], vcc
	s_cbranch_execz .LBB11_1107
; %bb.1106:                             ;   in Loop: Header=BB11_1101 Depth=1
	v_mul_lo_u32 v5, v4, s50
	v_mul_lo_u32 v6, v3, s51
	v_mad_u64_u32 v[3:4], s[34:35], v3, s50, 0
	v_add3_u32 v4, v4, v6, v5
	v_lshlrev_b64 v[3:4], 2, v[3:4]
	v_mov_b32_e32 v5, s21
	v_add_co_u32_e32 v3, vcc, s20, v3
	v_addc_co_u32_e32 v4, vcc, v5, v4, vcc
	global_load_dword v5, v[3:4], off
.LBB11_1107:                            ;   in Loop: Header=BB11_1101 Depth=1
	s_or_b64 exec, exec, s[18:19]
	s_waitcnt vmcnt(0)
	ds_write_b32 v12, v5
.LBB11_1108:                            ;   in Loop: Header=BB11_1101 Depth=1
	s_or_b64 exec, exec, s[10:11]
	v_add_u32_e32 v5, s30, v2
	v_ashrrev_i32_e32 v6, 31, v5
	v_lshlrev_b64 v[3:4], 2, v[5:6]
	s_cmp_lg_u32 s29, s93
	v_add_co_u32_e32 v3, vcc, v14, v3
	s_cselect_b64 s[10:11], -1, 0
	v_addc_co_u32_e32 v4, vcc, v15, v4, vcc
	v_cmp_gt_i32_e32 vcc, s24, v5
	v_cndmask_b32_e64 v6, 0, 1, s[10:11]
	s_and_b64 s[30:31], vcc, s[8:9]
	v_cmp_ne_u32_e64 s[10:11], 1, v6
	s_waitcnt lgkmcnt(0)
	s_barrier
	s_and_saveexec_b64 s[18:19], s[30:31]
	s_cbranch_execz .LBB11_1112
; %bb.1109:                             ;   in Loop: Header=BB11_1101 Depth=1
	s_and_b64 vcc, exec, s[10:11]
	v_mov_b32_e32 v6, v8
	s_cbranch_vccnz .LBB11_1111
; %bb.1110:                             ;   in Loop: Header=BB11_1101 Depth=1
	global_load_dword v6, v[3:4], off
.LBB11_1111:                            ;   in Loop: Header=BB11_1101 Depth=1
	ds_read_b32 v18, v13
	s_waitcnt vmcnt(0) lgkmcnt(0)
	v_fmac_f32_e32 v11, v6, v18
.LBB11_1112:                            ;   in Loop: Header=BB11_1101 Depth=1
	s_or_b64 exec, exec, s[18:19]
	v_add_u32_e32 v6, 16, v5
	v_cmp_gt_i32_e32 vcc, s24, v6
	s_and_b64 s[30:31], vcc, s[8:9]
	s_and_saveexec_b64 s[18:19], s[30:31]
	s_cbranch_execz .LBB11_1116
; %bb.1113:                             ;   in Loop: Header=BB11_1101 Depth=1
	s_and_b64 vcc, exec, s[10:11]
	v_mov_b32_e32 v6, v7
	s_cbranch_vccnz .LBB11_1115
; %bb.1114:                             ;   in Loop: Header=BB11_1101 Depth=1
	global_load_dword v6, v[3:4], off offset:64
.LBB11_1115:                            ;   in Loop: Header=BB11_1101 Depth=1
	ds_read_b32 v18, v13 offset:64
	s_waitcnt vmcnt(0) lgkmcnt(0)
	v_fmac_f32_e32 v11, v6, v18
.LBB11_1116:                            ;   in Loop: Header=BB11_1101 Depth=1
	s_or_b64 exec, exec, s[18:19]
	v_add_u32_e32 v6, 32, v5
	v_cmp_gt_i32_e32 vcc, s24, v6
	s_and_b64 s[30:31], vcc, s[8:9]
	s_and_saveexec_b64 s[18:19], s[30:31]
	s_cbranch_execz .LBB11_1120
; %bb.1117:                             ;   in Loop: Header=BB11_1101 Depth=1
	s_and_b64 vcc, exec, s[10:11]
	v_mov_b32_e32 v6, v10
	s_cbranch_vccnz .LBB11_1119
; %bb.1118:                             ;   in Loop: Header=BB11_1101 Depth=1
	global_load_dword v6, v[3:4], off offset:128
.LBB11_1119:                            ;   in Loop: Header=BB11_1101 Depth=1
	ds_read_b32 v18, v13 offset:128
	s_waitcnt vmcnt(0) lgkmcnt(0)
	v_fmac_f32_e32 v11, v6, v18
.LBB11_1120:                            ;   in Loop: Header=BB11_1101 Depth=1
	s_or_b64 exec, exec, s[18:19]
	v_add_u32_e32 v5, 48, v5
	v_cmp_gt_i32_e32 vcc, s24, v5
	s_and_b64 s[30:31], vcc, s[8:9]
	s_and_saveexec_b64 s[18:19], s[30:31]
	s_cbranch_execz .LBB11_1100
; %bb.1121:                             ;   in Loop: Header=BB11_1101 Depth=1
	s_and_b64 vcc, exec, s[10:11]
	v_mov_b32_e32 v5, v9
	s_cbranch_vccnz .LBB11_1099
; %bb.1122:                             ;   in Loop: Header=BB11_1101 Depth=1
	global_load_dword v5, v[3:4], off offset:192
	s_branch .LBB11_1099
.LBB11_1123:
	v_lshl_add_u32 v3, v2, 6, v0
	s_xor_b64 s[0:1], s[26:27], -1
	v_lshlrev_b32_e32 v3, 2, v3
	ds_write_b32 v3, v11 offset:16384
	s_waitcnt lgkmcnt(0)
	s_barrier
	s_and_saveexec_b64 s[4:5], s[2:3]
	s_cbranch_execz .LBB11_1125
; %bb.1124:
	v_lshlrev_b32_e32 v10, 2, v0
	ds_read2st64_b32 v[4:5], v10 offset0:65 offset1:66
	ds_read2st64_b32 v[6:7], v10 offset0:67 offset1:68
	;; [unrolled: 1-line block ×5, first 2 shown]
	s_waitcnt lgkmcnt(4)
	v_add_f32_e32 v4, v11, v4
	v_add_f32_e32 v4, v4, v5
	s_waitcnt lgkmcnt(3)
	v_add_f32_e32 v4, v4, v6
	v_add_f32_e32 v4, v4, v7
	;; [unrolled: 3-line block ×4, first 2 shown]
	ds_read2st64_b32 v[4:5], v10 offset0:75 offset1:76
	ds_read2st64_b32 v[6:7], v10 offset0:77 offset1:78
	ds_read_b32 v9, v10 offset:20224
	s_waitcnt lgkmcnt(3)
	v_add_f32_e32 v8, v8, v14
	v_add_f32_e32 v8, v8, v15
	s_waitcnt lgkmcnt(2)
	v_add_f32_e32 v4, v8, v4
	v_add_f32_e32 v4, v4, v5
	;; [unrolled: 3-line block ×3, first 2 shown]
	s_waitcnt lgkmcnt(0)
	v_add_f32_e32 v4, v4, v9
	v_cndmask_b32_e64 v11, -v4, 0, s[16:17]
.LBB11_1125:
	s_or_b64 exec, exec, s[4:5]
	s_and_b64 vcc, exec, s[58:59]
	s_cbranch_vccnz .LBB11_1138
; %bb.1126:
	v_mov_b32_e32 v4, 0x5000
	v_lshl_or_b32 v5, v2, 2, v4
	s_and_saveexec_b64 s[4:5], s[2:3]
; %bb.1127:
	v_lshl_add_u32 v4, v0, 2, v5
	ds_write_b32 v4, v11
; %bb.1128:
	s_or_b64 exec, exec, s[4:5]
	v_cmp_le_u32_e32 vcc, v0, v2
	v_mov_b32_e32 v4, 0
	s_waitcnt lgkmcnt(0)
	s_barrier
	s_and_saveexec_b64 s[4:5], vcc
	s_cbranch_execz .LBB11_1130
; %bb.1129:
	ds_read_b32 v4, v3
	ds_read_b32 v6, v5
	s_waitcnt lgkmcnt(0)
	v_fma_f32 v4, v4, v6, 0
.LBB11_1130:
	s_or_b64 exec, exec, s[4:5]
	v_add_u32_e32 v6, 16, v2
	v_cmp_le_u32_e32 vcc, v0, v6
	s_and_saveexec_b64 s[4:5], vcc
	s_cbranch_execz .LBB11_1132
; %bb.1131:
	ds_read_b32 v6, v3 offset:4096
	ds_read_b32 v7, v5 offset:64
	s_waitcnt lgkmcnt(0)
	v_fmac_f32_e32 v4, v6, v7
.LBB11_1132:
	s_or_b64 exec, exec, s[4:5]
	v_add_u32_e32 v6, 32, v2
	v_cmp_le_u32_e32 vcc, v0, v6
	s_and_saveexec_b64 s[4:5], vcc
	s_cbranch_execz .LBB11_1134
; %bb.1133:
	ds_read_b32 v6, v3 offset:8192
	ds_read_b32 v7, v5 offset:128
	s_waitcnt lgkmcnt(0)
	v_fmac_f32_e32 v4, v6, v7
.LBB11_1134:
	s_or_b64 exec, exec, s[4:5]
	v_add_u32_e32 v2, 48, v2
	v_add_u32_e32 v6, 0x4000, v3
	v_cmp_le_u32_e32 vcc, v0, v2
	s_and_saveexec_b64 s[4:5], vcc
	s_cbranch_execz .LBB11_1136
; %bb.1135:
	ds_read_b32 v2, v3 offset:12288
	ds_read_b32 v3, v5 offset:192
	s_waitcnt lgkmcnt(0)
	v_fmac_f32_e32 v4, v2, v3
.LBB11_1136:
	s_or_b64 exec, exec, s[4:5]
	s_mov_b64 s[6:7], 0
	s_mov_b64 s[4:5], 0
	ds_write_b32 v6, v4
	s_waitcnt lgkmcnt(0)
	s_barrier
                                        ; implicit-def: $vgpr2
	s_and_saveexec_b64 s[8:9], s[2:3]
	s_cbranch_execz .LBB11_1201
; %bb.1137:
	v_lshlrev_b32_e32 v12, 2, v0
	ds_read2st64_b32 v[2:3], v12 offset0:65 offset1:66
	ds_read2st64_b32 v[5:6], v12 offset0:67 offset1:68
	;; [unrolled: 1-line block ×4, first 2 shown]
	s_mov_b64 s[4:5], exec
	s_waitcnt lgkmcnt(3)
	v_add_f32_e32 v2, v4, v2
	v_add_f32_e32 v2, v3, v2
	s_waitcnt lgkmcnt(2)
	v_add_f32_e32 v2, v5, v2
	v_add_f32_e32 v2, v6, v2
	;; [unrolled: 3-line block ×3, first 2 shown]
	s_waitcnt lgkmcnt(0)
	v_add_f32_e32 v4, v9, v2
	ds_read2st64_b32 v[2:3], v12 offset0:73 offset1:74
	v_add_f32_e32 v8, v10, v4
	ds_read2st64_b32 v[4:5], v12 offset0:75 offset1:76
	ds_read2st64_b32 v[6:7], v12 offset0:77 offset1:78
	ds_read_b32 v9, v12 offset:20224
	s_waitcnt lgkmcnt(3)
	v_add_f32_e32 v2, v2, v8
	v_add_f32_e32 v2, v3, v2
	s_waitcnt lgkmcnt(2)
	v_add_f32_e32 v2, v4, v2
	v_add_f32_e32 v2, v5, v2
	;; [unrolled: 3-line block ×3, first 2 shown]
	s_waitcnt lgkmcnt(0)
	v_add_f32_e32 v2, v9, v2
	s_or_b64 exec, exec, s[8:9]
	s_and_b64 vcc, exec, s[6:7]
	s_cbranch_vccnz .LBB11_1139
	s_branch .LBB11_1202
.LBB11_1138:
	s_mov_b64 s[4:5], 0
                                        ; implicit-def: $vgpr2
	s_cbranch_execz .LBB11_1202
.LBB11_1139:
	s_movk_i32 s6, 0x104
	v_lshlrev_b32_e32 v3, 8, v0
	v_mov_b32_e32 v4, 0x3c00
	v_mul_u32_u24_e32 v2, 0x104, v0
	v_sub_u32_e32 v3, 0, v3
	v_mad_u32_u24 v4, v0, s6, v4
	s_mov_b32 s8, 63
	s_movk_i32 s9, 0xc100
	v_mov_b32_e32 v5, 0
	s_branch .LBB11_1141
.LBB11_1140:                            ;   in Loop: Header=BB11_1141 Depth=1
	s_or_b64 exec, exec, s[6:7]
	s_add_i32 s8, s8, -4
	s_cmp_lg_u32 s10, 0
	v_add_u32_e32 v3, 0xfffffc00, v3
	s_barrier
	s_cbranch_scc0 .LBB11_1157
.LBB11_1141:                            ; =>This Inner Loop Header: Depth=1
	v_cmp_eq_u32_e32 vcc, s9, v3
	s_and_b64 s[10:11], s[2:3], vcc
	s_and_saveexec_b64 s[6:7], s[10:11]
	s_cbranch_execz .LBB11_1143
; %bb.1142:                             ;   in Loop: Header=BB11_1141 Depth=1
	ds_read_b32 v6, v2
	s_waitcnt lgkmcnt(0)
	v_mul_f32_e32 v11, v11, v6
	ds_write_b32 v5, v11 offset:20736
.LBB11_1143:                            ;   in Loop: Header=BB11_1141 Depth=1
	s_or_b64 exec, exec, s[6:7]
	v_cmp_gt_u32_e32 vcc, s8, v0
	s_and_b64 s[10:11], s[2:3], vcc
	v_add_u32_e32 v6, v4, v3
	s_waitcnt lgkmcnt(0)
	s_barrier
	s_and_saveexec_b64 s[6:7], s[10:11]
	s_cbranch_execz .LBB11_1145
; %bb.1144:                             ;   in Loop: Header=BB11_1141 Depth=1
	ds_read_b32 v7, v6 offset:768
	ds_read_b32 v8, v5 offset:20736
	s_waitcnt lgkmcnt(0)
	v_fmac_f32_e32 v11, v7, v8
.LBB11_1145:                            ;   in Loop: Header=BB11_1141 Depth=1
	s_or_b64 exec, exec, s[6:7]
	s_add_i32 s10, s8, -1
	v_cmp_eq_u32_e32 vcc, s10, v0
	s_and_b64 s[12:13], s[2:3], vcc
	s_barrier
	s_and_saveexec_b64 s[6:7], s[12:13]
	s_cbranch_execz .LBB11_1147
; %bb.1146:                             ;   in Loop: Header=BB11_1141 Depth=1
	ds_read_b32 v7, v2
	s_waitcnt lgkmcnt(0)
	v_mul_f32_e32 v11, v11, v7
	ds_write_b32 v5, v11 offset:20736
.LBB11_1147:                            ;   in Loop: Header=BB11_1141 Depth=1
	s_or_b64 exec, exec, s[6:7]
	v_cmp_gt_u32_e32 vcc, s10, v0
	s_and_b64 s[10:11], s[2:3], vcc
	s_waitcnt lgkmcnt(0)
	s_barrier
	s_and_saveexec_b64 s[6:7], s[10:11]
	s_cbranch_execz .LBB11_1149
; %bb.1148:                             ;   in Loop: Header=BB11_1141 Depth=1
	ds_read_b32 v7, v6 offset:512
	ds_read_b32 v8, v5 offset:20736
	s_waitcnt lgkmcnt(0)
	v_fmac_f32_e32 v11, v7, v8
.LBB11_1149:                            ;   in Loop: Header=BB11_1141 Depth=1
	s_or_b64 exec, exec, s[6:7]
	s_add_i32 s10, s8, -2
	v_cmp_eq_u32_e32 vcc, s10, v0
	s_and_b64 s[12:13], s[2:3], vcc
	s_barrier
	s_and_saveexec_b64 s[6:7], s[12:13]
	s_cbranch_execz .LBB11_1151
; %bb.1150:                             ;   in Loop: Header=BB11_1141 Depth=1
	ds_read_b32 v7, v2
	s_waitcnt lgkmcnt(0)
	v_mul_f32_e32 v11, v11, v7
	ds_write_b32 v5, v11 offset:20736
.LBB11_1151:                            ;   in Loop: Header=BB11_1141 Depth=1
	s_or_b64 exec, exec, s[6:7]
	v_cmp_gt_u32_e32 vcc, s10, v0
	s_and_b64 s[10:11], s[2:3], vcc
	;; [unrolled: 26-line block ×3, first 2 shown]
	s_waitcnt lgkmcnt(0)
	s_barrier
	s_and_saveexec_b64 s[6:7], s[12:13]
	s_cbranch_execz .LBB11_1140
; %bb.1156:                             ;   in Loop: Header=BB11_1141 Depth=1
	ds_read_b32 v6, v6
	ds_read_b32 v7, v5 offset:20736
	s_waitcnt lgkmcnt(0)
	v_fmac_f32_e32 v11, v6, v7
	s_branch .LBB11_1140
.LBB11_1157:
	s_mov_b64 s[6:7], -1
	s_and_b64 vcc, exec, s[0:1]
	s_cbranch_vccnz .LBB11_1203
; %bb.1158:
	s_andn2_b64 vcc, exec, s[6:7]
	s_cbranch_vccz .LBB11_1204
.LBB11_1159:
	s_and_saveexec_b64 s[0:1], s[4:5]
	s_cbranch_execz .LBB11_1161
.LBB11_1160:
	v_mov_b32_e32 v0, s38
	v_add_co_u32_e32 v2, vcc, s33, v1
	v_addc_co_u32_e32 v0, vcc, 0, v0, vcc
	v_mul_lo_u32 v0, v0, s50
	v_mul_lo_u32 v4, v2, s51
	v_mad_u64_u32 v[2:3], s[2:3], v2, s50, 0
	v_add3_u32 v3, v3, v4, v0
	v_lshlrev_b64 v[2:3], 2, v[2:3]
	v_mov_b32_e32 v0, s21
	v_add_co_u32_e32 v2, vcc, s20, v2
	v_addc_co_u32_e32 v3, vcc, v0, v3, vcc
	global_store_dword v[2:3], v11, off
.LBB11_1161:
	s_or_b64 exec, exec, s[0:1]
	v_cmp_eq_u32_e32 vcc, 0, v1
	s_waitcnt vmcnt(0)
	buffer_wbinvl1_vol
	s_barrier
	s_and_saveexec_b64 s[0:1], vcc
	s_cbranch_execz .LBB11_1163
; %bb.1162:
	s_lshl_b64 s[2:3], s[22:23], 2
	s_add_u32 s2, s14, s2
	s_addc_u32 s3, s15, s3
	v_mov_b32_e32 v0, 0
	global_load_dword v1, v0, s[2:3]
	s_waitcnt vmcnt(0)
	v_add_u32_e32 v1, 1, v1
	global_store_dword v0, v1, s[2:3]
.LBB11_1163:
	s_or_b64 exec, exec, s[0:1]
	s_waitcnt vmcnt(0)
	buffer_wbinvl1_vol
	s_endpgm
.LBB11_1164:
                                        ; implicit-def: $vgpr9
                                        ; implicit-def: $vgpr10
                                        ; implicit-def: $vgpr7
                                        ; implicit-def: $vgpr8
                                        ; implicit-def: $sgpr33
	s_cbranch_execnz .LBB11_10
	s_branch .LBB11_11
.LBB11_1165:
	v_cmp_ne_u32_e32 vcc, v0, v2
	s_and_saveexec_b64 s[12:13], vcc
	s_xor_b64 s[12:13], exec, s[12:13]
; %bb.1166:
	v_or_b32_e32 v1, v2, v0
	v_cmp_gt_u32_e32 vcc, 64, v1
	s_and_b64 s[10:11], vcc, exec
                                        ; implicit-def: $vgpr5_vgpr6
; %bb.1167:
	s_or_saveexec_b64 s[12:13], s[12:13]
	v_mov_b32_e32 v1, 0
	s_xor_b64 exec, exec, s[12:13]
	s_cbranch_execz .LBB11_1169
; %bb.1168:
	v_lshlrev_b64 v[5:6], 2, v[5:6]
	v_mov_b32_e32 v1, s92
	v_add_co_u32_e32 v5, vcc, s91, v5
	v_addc_co_u32_e32 v6, vcc, v1, v6, vcc
	global_load_dword v1, v[5:6], off
	s_or_b64 s[10:11], s[10:11], exec
	s_waitcnt vmcnt(0)
	v_div_scale_f32 v5, s[14:15], v1, v1, 1.0
	v_div_scale_f32 v6, vcc, 1.0, v1, 1.0
	v_rcp_f32_e32 v12, v5
	v_fma_f32 v13, -v5, v12, 1.0
	v_fmac_f32_e32 v12, v13, v12
	v_mul_f32_e32 v13, v6, v12
	v_fma_f32 v14, -v5, v13, v6
	v_fmac_f32_e32 v13, v14, v12
	v_fma_f32 v5, -v5, v13, v6
	v_div_fmas_f32 v5, v5, v12, v13
	v_div_fixup_f32 v1, v5, v1, 1.0
.LBB11_1169:
	s_or_b64 exec, exec, s[12:13]
	s_and_b64 s[10:11], s[10:11], exec
                                        ; implicit-def: $vgpr5_vgpr6
	s_andn2_saveexec_b64 s[8:9], s[8:9]
	s_cbranch_execz .LBB11_14
.LBB11_1170:
	v_lshlrev_b64 v[5:6], 2, v[5:6]
	v_mov_b32_e32 v1, s92
	v_add_co_u32_e32 v5, vcc, s91, v5
	v_addc_co_u32_e32 v6, vcc, v1, v6, vcc
	global_load_dword v1, v[5:6], off
	s_or_b64 s[10:11], s[10:11], exec
	s_waitcnt vmcnt(0)
	v_xor_b32_e32 v1, 0x80000000, v1
	s_or_b64 exec, exec, s[8:9]
	s_and_saveexec_b64 s[8:9], s[10:11]
	s_cbranch_execnz .LBB11_15
	s_branch .LBB11_16
.LBB11_1171:
	v_cmp_ne_u32_e32 vcc, v0, v1
	s_and_saveexec_b64 s[10:11], vcc
	s_xor_b64 s[10:11], exec, s[10:11]
; %bb.1172:
	v_or_b32_e32 v5, v1, v0
	v_cmp_gt_u32_e32 vcc, 64, v5
	s_and_b64 s[8:9], vcc, exec
                                        ; implicit-def: $vgpr5_vgpr6
; %bb.1173:
	s_or_saveexec_b64 s[10:11], s[10:11]
	v_mov_b32_e32 v12, 0
	s_xor_b64 exec, exec, s[10:11]
	s_cbranch_execz .LBB11_1175
; %bb.1174:
	v_lshlrev_b64 v[5:6], 2, v[5:6]
	v_mov_b32_e32 v12, s92
	v_add_co_u32_e32 v5, vcc, s91, v5
	v_addc_co_u32_e32 v6, vcc, v12, v6, vcc
	global_load_dword v5, v[5:6], off
	s_or_b64 s[8:9], s[8:9], exec
	s_waitcnt vmcnt(0)
	v_div_scale_f32 v6, s[12:13], v5, v5, 1.0
	v_div_scale_f32 v12, vcc, 1.0, v5, 1.0
	v_rcp_f32_e32 v13, v6
	v_fma_f32 v14, -v6, v13, 1.0
	v_fmac_f32_e32 v13, v14, v13
	v_mul_f32_e32 v14, v12, v13
	v_fma_f32 v15, -v6, v14, v12
	v_fmac_f32_e32 v14, v15, v13
	v_fma_f32 v6, -v6, v14, v12
	v_div_fmas_f32 v6, v6, v13, v14
	v_div_fixup_f32 v12, v6, v5, 1.0
.LBB11_1175:
	s_or_b64 exec, exec, s[10:11]
	s_and_b64 s[8:9], s[8:9], exec
                                        ; implicit-def: $vgpr5_vgpr6
	s_andn2_saveexec_b64 s[2:3], s[2:3]
	s_cbranch_execz .LBB11_18
.LBB11_1176:
	v_lshlrev_b64 v[5:6], 2, v[5:6]
	v_mov_b32_e32 v12, s92
	v_add_co_u32_e32 v5, vcc, s91, v5
	v_addc_co_u32_e32 v6, vcc, v12, v6, vcc
	global_load_dword v5, v[5:6], off
	s_or_b64 s[8:9], s[8:9], exec
	s_waitcnt vmcnt(0)
	v_xor_b32_e32 v12, 0x80000000, v5
	s_or_b64 exec, exec, s[2:3]
	s_and_saveexec_b64 s[2:3], s[8:9]
	s_cbranch_execnz .LBB11_19
	s_branch .LBB11_20
.LBB11_1177:
	v_cmp_ne_u32_e32 vcc, v0, v1
	s_and_saveexec_b64 s[10:11], vcc
	s_xor_b64 s[10:11], exec, s[10:11]
; %bb.1178:
	v_or_b32_e32 v5, v1, v0
	v_cmp_gt_u32_e32 vcc, 64, v5
	s_and_b64 s[8:9], vcc, exec
                                        ; implicit-def: $vgpr5_vgpr6
; %bb.1179:
	s_or_saveexec_b64 s[10:11], s[10:11]
	v_mov_b32_e32 v12, 0
	s_xor_b64 exec, exec, s[10:11]
	s_cbranch_execz .LBB11_1181
; %bb.1180:
	v_lshlrev_b64 v[5:6], 2, v[5:6]
	v_mov_b32_e32 v12, s92
	v_add_co_u32_e32 v5, vcc, s91, v5
	v_addc_co_u32_e32 v6, vcc, v12, v6, vcc
	global_load_dword v5, v[5:6], off
	s_or_b64 s[8:9], s[8:9], exec
	s_waitcnt vmcnt(0)
	v_div_scale_f32 v6, s[12:13], v5, v5, 1.0
	v_div_scale_f32 v12, vcc, 1.0, v5, 1.0
	v_rcp_f32_e32 v13, v6
	v_fma_f32 v14, -v6, v13, 1.0
	v_fmac_f32_e32 v13, v14, v13
	v_mul_f32_e32 v14, v12, v13
	v_fma_f32 v15, -v6, v14, v12
	v_fmac_f32_e32 v14, v15, v13
	v_fma_f32 v6, -v6, v14, v12
	v_div_fmas_f32 v6, v6, v13, v14
	v_div_fixup_f32 v12, v6, v5, 1.0
.LBB11_1181:
	s_or_b64 exec, exec, s[10:11]
	s_and_b64 s[8:9], s[8:9], exec
                                        ; implicit-def: $vgpr5_vgpr6
	s_andn2_saveexec_b64 s[2:3], s[2:3]
	s_cbranch_execz .LBB11_22
.LBB11_1182:
	v_lshlrev_b64 v[5:6], 2, v[5:6]
	v_mov_b32_e32 v12, s92
	v_add_co_u32_e32 v5, vcc, s91, v5
	v_addc_co_u32_e32 v6, vcc, v12, v6, vcc
	global_load_dword v5, v[5:6], off
	s_or_b64 s[8:9], s[8:9], exec
	s_waitcnt vmcnt(0)
	v_xor_b32_e32 v12, 0x80000000, v5
	s_or_b64 exec, exec, s[2:3]
	s_and_saveexec_b64 s[2:3], s[8:9]
	s_cbranch_execnz .LBB11_23
	s_branch .LBB11_24
.LBB11_1183:
	v_cmp_ne_u32_e32 vcc, v0, v2
	s_xor_b64 s[12:13], s[2:3], -1
	s_or_b64 s[14:15], s[12:13], vcc
	s_mov_b64 s[12:13], 0
	s_and_saveexec_b64 s[16:17], s[14:15]
	s_xor_b64 s[14:15], exec, s[16:17]
; %bb.1184:
	v_or_b32_e32 v1, v2, v0
	v_cmp_gt_u32_e32 vcc, 64, v1
	s_and_b64 s[12:13], vcc, exec
                                        ; implicit-def: $vgpr5_vgpr6
; %bb.1185:
	s_or_saveexec_b64 s[14:15], s[14:15]
	v_mov_b32_e32 v1, 0
	s_xor_b64 exec, exec, s[14:15]
	s_cbranch_execz .LBB11_1187
; %bb.1186:
	v_lshlrev_b64 v[5:6], 2, v[5:6]
	v_mov_b32_e32 v1, s92
	v_add_co_u32_e32 v5, vcc, s91, v5
	v_addc_co_u32_e32 v6, vcc, v1, v6, vcc
	global_load_dword v1, v[5:6], off
	s_or_b64 s[12:13], s[12:13], exec
	s_waitcnt vmcnt(0)
	v_div_scale_f32 v5, s[16:17], v1, v1, 1.0
	v_div_scale_f32 v6, vcc, 1.0, v1, 1.0
	v_rcp_f32_e32 v12, v5
	v_fma_f32 v13, -v5, v12, 1.0
	v_fmac_f32_e32 v12, v13, v12
	v_mul_f32_e32 v13, v6, v12
	v_fma_f32 v14, -v5, v13, v6
	v_fmac_f32_e32 v13, v14, v12
	v_fma_f32 v5, -v5, v13, v6
	v_div_fmas_f32 v5, v5, v12, v13
	v_div_fixup_f32 v1, v5, v1, 1.0
.LBB11_1187:
	s_or_b64 exec, exec, s[14:15]
	s_and_b64 s[12:13], s[12:13], exec
                                        ; implicit-def: $vgpr5_vgpr6
	s_andn2_saveexec_b64 s[8:9], s[8:9]
	s_cbranch_execz .LBB11_36
.LBB11_1188:
	v_lshlrev_b64 v[5:6], 2, v[5:6]
	v_mov_b32_e32 v1, s92
	v_add_co_u32_e32 v5, vcc, s91, v5
	v_addc_co_u32_e32 v6, vcc, v1, v6, vcc
	global_load_dword v1, v[5:6], off
	s_or_b64 s[12:13], s[12:13], exec
	s_waitcnt vmcnt(0)
	v_xor_b32_e32 v1, 0x80000000, v1
	s_or_b64 exec, exec, s[8:9]
	s_and_saveexec_b64 s[8:9], s[12:13]
	s_cbranch_execnz .LBB11_37
	s_branch .LBB11_38
.LBB11_1189:
	v_cmp_ne_u32_e32 vcc, v0, v1
	s_xor_b64 s[12:13], s[2:3], -1
	s_or_b64 s[14:15], s[12:13], vcc
	s_mov_b64 s[12:13], 0
	s_and_saveexec_b64 s[16:17], s[14:15]
	s_xor_b64 s[14:15], exec, s[16:17]
; %bb.1190:
	v_or_b32_e32 v5, v1, v0
	v_cmp_gt_u32_e32 vcc, 64, v5
	s_and_b64 s[12:13], vcc, exec
                                        ; implicit-def: $vgpr5_vgpr6
; %bb.1191:
	s_or_saveexec_b64 s[14:15], s[14:15]
	v_mov_b32_e32 v12, 0
	s_xor_b64 exec, exec, s[14:15]
	s_cbranch_execz .LBB11_1193
; %bb.1192:
	v_lshlrev_b64 v[5:6], 2, v[5:6]
	v_mov_b32_e32 v12, s92
	v_add_co_u32_e32 v5, vcc, s91, v5
	v_addc_co_u32_e32 v6, vcc, v12, v6, vcc
	global_load_dword v5, v[5:6], off
	s_or_b64 s[12:13], s[12:13], exec
	s_waitcnt vmcnt(0)
	v_div_scale_f32 v6, s[16:17], v5, v5, 1.0
	v_div_scale_f32 v12, vcc, 1.0, v5, 1.0
	v_rcp_f32_e32 v13, v6
	v_fma_f32 v14, -v6, v13, 1.0
	v_fmac_f32_e32 v13, v14, v13
	v_mul_f32_e32 v14, v12, v13
	v_fma_f32 v15, -v6, v14, v12
	v_fmac_f32_e32 v14, v15, v13
	v_fma_f32 v6, -v6, v14, v12
	v_div_fmas_f32 v6, v6, v13, v14
	v_div_fixup_f32 v12, v6, v5, 1.0
.LBB11_1193:
	s_or_b64 exec, exec, s[14:15]
	s_and_b64 s[12:13], s[12:13], exec
                                        ; implicit-def: $vgpr5_vgpr6
	s_andn2_saveexec_b64 s[8:9], s[8:9]
	s_cbranch_execz .LBB11_40
.LBB11_1194:
	v_lshlrev_b64 v[5:6], 2, v[5:6]
	v_mov_b32_e32 v12, s92
	v_add_co_u32_e32 v5, vcc, s91, v5
	v_addc_co_u32_e32 v6, vcc, v12, v6, vcc
	global_load_dword v5, v[5:6], off
	s_or_b64 s[12:13], s[12:13], exec
	s_waitcnt vmcnt(0)
	v_xor_b32_e32 v12, 0x80000000, v5
	s_or_b64 exec, exec, s[8:9]
	s_and_saveexec_b64 s[8:9], s[12:13]
	s_cbranch_execnz .LBB11_41
	s_branch .LBB11_42
.LBB11_1195:
	v_cmp_ne_u32_e32 vcc, v0, v1
	s_xor_b64 s[12:13], s[2:3], -1
	s_or_b64 s[14:15], s[12:13], vcc
	s_mov_b64 s[12:13], 0
	s_and_saveexec_b64 s[16:17], s[14:15]
	s_xor_b64 s[14:15], exec, s[16:17]
; %bb.1196:
	v_or_b32_e32 v5, v1, v0
	v_cmp_gt_u32_e32 vcc, 64, v5
	s_and_b64 s[12:13], vcc, exec
                                        ; implicit-def: $vgpr5_vgpr6
; %bb.1197:
	s_or_saveexec_b64 s[14:15], s[14:15]
	v_mov_b32_e32 v12, 0
	s_xor_b64 exec, exec, s[14:15]
	s_cbranch_execz .LBB11_1199
; %bb.1198:
	v_lshlrev_b64 v[5:6], 2, v[5:6]
	v_mov_b32_e32 v12, s92
	v_add_co_u32_e32 v5, vcc, s91, v5
	v_addc_co_u32_e32 v6, vcc, v12, v6, vcc
	global_load_dword v5, v[5:6], off
	s_or_b64 s[12:13], s[12:13], exec
	s_waitcnt vmcnt(0)
	v_div_scale_f32 v6, s[16:17], v5, v5, 1.0
	v_div_scale_f32 v12, vcc, 1.0, v5, 1.0
	v_rcp_f32_e32 v13, v6
	v_fma_f32 v14, -v6, v13, 1.0
	v_fmac_f32_e32 v13, v14, v13
	v_mul_f32_e32 v14, v12, v13
	v_fma_f32 v15, -v6, v14, v12
	v_fmac_f32_e32 v14, v15, v13
	v_fma_f32 v6, -v6, v14, v12
	v_div_fmas_f32 v6, v6, v13, v14
	v_div_fixup_f32 v12, v6, v5, 1.0
.LBB11_1199:
	s_or_b64 exec, exec, s[14:15]
	s_and_b64 s[12:13], s[12:13], exec
                                        ; implicit-def: $vgpr5_vgpr6
	s_andn2_saveexec_b64 s[8:9], s[8:9]
	s_cbranch_execz .LBB11_44
.LBB11_1200:
	v_lshlrev_b64 v[5:6], 2, v[5:6]
	v_mov_b32_e32 v12, s92
	v_add_co_u32_e32 v5, vcc, s91, v5
	v_addc_co_u32_e32 v6, vcc, v12, v6, vcc
	global_load_dword v5, v[5:6], off
	s_or_b64 s[12:13], s[12:13], exec
	s_waitcnt vmcnt(0)
	v_xor_b32_e32 v12, 0x80000000, v5
	s_or_b64 exec, exec, s[8:9]
	s_and_saveexec_b64 s[8:9], s[12:13]
	s_cbranch_execnz .LBB11_45
	s_branch .LBB11_46
.LBB11_1201:
	s_or_b64 exec, exec, s[8:9]
	s_and_b64 vcc, exec, s[6:7]
	s_cbranch_vccnz .LBB11_1139
.LBB11_1202:
	v_mov_b32_e32 v11, v2
	s_and_saveexec_b64 s[0:1], s[4:5]
	s_cbranch_execnz .LBB11_1160
	s_branch .LBB11_1161
.LBB11_1203:
	s_andn2_b64 s[0:1], s[4:5], exec
	s_and_b64 s[4:5], s[2:3], exec
	s_or_b64 s[4:5], s[0:1], s[4:5]
	s_cbranch_execnz .LBB11_1159
.LBB11_1204:
	v_cmp_gt_i32_e32 vcc, s90, v0
	s_and_b64 s[0:1], s[2:3], vcc
	s_andn2_b64 s[2:3], s[4:5], exec
	s_and_b64 s[0:1], s[0:1], exec
	s_or_b64 s[4:5], s[2:3], s[0:1]
	s_and_saveexec_b64 s[0:1], s[4:5]
	s_cbranch_execnz .LBB11_1160
	s_branch .LBB11_1161
.LBB11_1205:
	v_lshlrev_b32_e32 v16, 2, v14
	v_sub_u32_e32 v16, v15, v16
	v_lshl_add_u32 v16, v13, 2, v16
	ds_read_b32 v16, v16 offset:272
	ds_read_b32 v17, v15 offset:4
	s_waitcnt lgkmcnt(0)
	v_fmac_f32_e32 v12, v16, v17
	s_or_b64 exec, exec, s[14:15]
	v_cmp_gt_u32_e64 s[10:11], 8, v4
	s_and_saveexec_b64 s[14:15], s[10:11]
	s_cbranch_execz .LBB11_79
.LBB11_1206:
	ds_read_b32 v16, v6 offset:528
	ds_read_b32 v15, v15 offset:8
	s_waitcnt lgkmcnt(0)
	v_fmac_f32_e32 v12, v16, v15
	s_or_b64 exec, exec, s[14:15]
	v_cmp_gt_u32_e64 s[10:11], 4, v4
	s_and_saveexec_b64 s[14:15], s[10:11]
	s_cbranch_execnz .LBB11_80
	s_branch .LBB11_81
.LBB11_1207:
	v_lshlrev_b32_e32 v21, 2, v19
	v_sub_u32_e32 v21, v20, v21
	v_lshl_add_u32 v21, v18, 2, v21
	ds_read_b32 v21, v21 offset:288
	ds_read_b32 v22, v20 offset:4
	s_waitcnt lgkmcnt(0)
	v_fmac_f32_e32 v17, v21, v22
	s_or_b64 exec, exec, s[16:17]
	v_cmp_gt_u32_e64 s[14:15], 48, v4
	s_and_saveexec_b64 s[16:17], s[14:15]
	s_cbranch_execz .LBB11_121
.LBB11_1208:
	v_lshlrev_b32_e32 v21, 2, v19
	v_sub_u32_e32 v21, v20, v21
	v_lshl_add_u32 v21, v18, 2, v21
	ds_read_b32 v21, v21 offset:544
	ds_read_b32 v22, v20 offset:8
	s_waitcnt lgkmcnt(0)
	v_fmac_f32_e32 v17, v21, v22
	s_or_b64 exec, exec, s[16:17]
	v_cmp_gt_u32_e64 s[14:15], 40, v4
	s_and_saveexec_b64 s[16:17], s[14:15]
	s_cbranch_execz .LBB11_122
.LBB11_1209:
	v_lshlrev_b32_e32 v21, 2, v19
	v_sub_u32_e32 v21, v20, v21
	v_lshl_add_u32 v21, v18, 2, v21
	ds_read_b32 v21, v21 offset:800
	ds_read_b32 v22, v20 offset:12
	s_waitcnt lgkmcnt(0)
	v_fmac_f32_e32 v17, v21, v22
	s_or_b64 exec, exec, s[16:17]
	v_cmp_gt_u32_e64 s[14:15], 32, v4
	s_and_saveexec_b64 s[16:17], s[14:15]
	s_cbranch_execz .LBB11_123
.LBB11_1210:
	ds_read_b32 v21, v15 offset:1056
	ds_read_b32 v22, v20 offset:16
	s_waitcnt lgkmcnt(0)
	v_fmac_f32_e32 v17, v21, v22
	s_or_b64 exec, exec, s[16:17]
	v_cmp_gt_u32_e64 s[14:15], 24, v4
	s_and_saveexec_b64 s[16:17], s[14:15]
	s_cbranch_execz .LBB11_124
.LBB11_1211:
	v_lshlrev_b32_e32 v21, 2, v19
	v_sub_u32_e32 v21, v20, v21
	v_lshl_add_u32 v21, v18, 2, v21
	ds_read_b32 v21, v21 offset:1312
	ds_read_b32 v22, v20 offset:20
	s_waitcnt lgkmcnt(0)
	v_fmac_f32_e32 v17, v21, v22
	s_or_b64 exec, exec, s[16:17]
	v_cmp_gt_u32_e64 s[14:15], 16, v4
	s_and_saveexec_b64 s[16:17], s[14:15]
	s_cbranch_execz .LBB11_125
.LBB11_1212:
	ds_read_b32 v21, v15 offset:1568
	ds_read_b32 v20, v20 offset:24
	s_waitcnt lgkmcnt(0)
	v_fmac_f32_e32 v17, v21, v20
	s_or_b64 exec, exec, s[16:17]
	v_cmp_gt_u32_e64 s[14:15], 8, v4
	s_and_saveexec_b64 s[16:17], s[14:15]
	s_cbranch_execnz .LBB11_126
	s_branch .LBB11_127
.LBB11_1213:
	v_lshlrev_b32_e32 v22, 2, v14
	v_sub_u32_e32 v22, v21, v22
	v_lshl_add_u32 v22, v13, 2, v22
	ds_read_b32 v22, v22 offset:2352
	ds_read_b32 v23, v21 offset:2084
	s_waitcnt lgkmcnt(0)
	v_fmac_f32_e32 v20, v22, v23
	s_or_b64 exec, exec, s[14:15]
	v_cmp_gt_u32_e64 s[10:11], 8, v4
	s_and_saveexec_b64 s[14:15], s[10:11]
	s_cbranch_execz .LBB11_183
.LBB11_1214:
	ds_read_b32 v22, v6 offset:2608
	ds_read_b32 v21, v21 offset:2088
	s_waitcnt lgkmcnt(0)
	v_fmac_f32_e32 v20, v22, v21
	s_or_b64 exec, exec, s[14:15]
	v_cmp_gt_u32_e64 s[10:11], 4, v4
	s_and_saveexec_b64 s[14:15], s[10:11]
	s_cbranch_execnz .LBB11_184
	s_branch .LBB11_185
.LBB11_1215:
	v_lshlrev_b32_e32 v26, 2, v21
	v_lshl_add_u32 v26, v23, 2, v26
	ds_read_b32 v26, v26 offset:2880
	ds_read_b32 v27, v25 offset:44
	s_waitcnt lgkmcnt(0)
	v_fmac_f32_e32 v22, v26, v27
	s_or_b64 exec, exec, s[20:21]
	v_cmp_gt_u32_e64 s[16:17], 64, v4
	s_and_saveexec_b64 s[20:21], s[16:17]
	s_cbranch_execz .LBB11_245
.LBB11_1216:
	ds_read_b32 v26, v20 offset:3136
	ds_read_b32 v27, v25 offset:48
	s_waitcnt lgkmcnt(0)
	v_fmac_f32_e32 v22, v26, v27
	s_or_b64 exec, exec, s[20:21]
	v_cmp_gt_u32_e64 s[16:17], 48, v4
	s_and_saveexec_b64 s[20:21], s[16:17]
	s_cbranch_execz .LBB11_246
.LBB11_1217:
	v_lshlrev_b32_e32 v26, 2, v21
	v_lshl_add_u32 v26, v23, 2, v26
	ds_read_b32 v26, v26 offset:3392
	ds_read_b32 v27, v25 offset:52
	s_waitcnt lgkmcnt(0)
	v_fmac_f32_e32 v22, v26, v27
	s_or_b64 exec, exec, s[20:21]
	v_cmp_gt_u32_e64 s[16:17], 32, v4
	s_and_saveexec_b64 s[20:21], s[16:17]
	s_cbranch_execz .LBB11_247
.LBB11_1218:
	ds_read_b32 v26, v20 offset:3648
	ds_read_b32 v25, v25 offset:56
	s_waitcnt lgkmcnt(0)
	v_fmac_f32_e32 v22, v26, v25
	s_or_b64 exec, exec, s[20:21]
	v_cmp_gt_u32_e64 s[16:17], 16, v4
	s_and_saveexec_b64 s[20:21], s[16:17]
	s_cbranch_execnz .LBB11_248
	s_branch .LBB11_249
.LBB11_1219:
	v_lshlrev_b32_e32 v27, 2, v14
	v_sub_u32_e32 v27, v26, v27
	v_lshl_add_u32 v27, v13, 2, v27
	ds_read_b32 v27, v27 offset:4432
	ds_read_b32 v28, v26 offset:4164
	s_waitcnt lgkmcnt(0)
	v_fmac_f32_e32 v25, v27, v28
	s_or_b64 exec, exec, s[20:21]
	v_cmp_gt_u32_e64 s[14:15], 8, v4
	s_and_saveexec_b64 s[0:1], s[14:15]
	s_cbranch_execz .LBB11_337
.LBB11_1220:
	ds_read_b32 v27, v6 offset:4688
	ds_read_b32 v26, v26 offset:4168
	s_waitcnt lgkmcnt(0)
	v_fmac_f32_e32 v25, v27, v26
	s_or_b64 exec, exec, s[0:1]
	v_cmp_gt_u32_e64 s[14:15], 4, v4
	s_and_saveexec_b64 s[20:21], s[14:15]
	s_cbranch_execnz .LBB11_338
	s_branch .LBB11_339
.LBB11_1221:
	v_lshlrev_b32_e32 v27, 2, v19
	v_sub_u32_e32 v27, v26, v27
	v_lshl_add_u32 v27, v18, 2, v27
	ds_read_b32 v27, v27 offset:4448
	ds_read_b32 v28, v26 offset:4164
	s_waitcnt lgkmcnt(0)
	v_fmac_f32_e32 v25, v27, v28
	s_or_b64 exec, exec, s[20:21]
	v_cmp_gt_u32_e64 s[14:15], 48, v4
	s_and_saveexec_b64 s[20:21], s[14:15]
	s_cbranch_execz .LBB11_379
.LBB11_1222:
	v_lshlrev_b32_e32 v27, 2, v19
	v_sub_u32_e32 v27, v26, v27
	v_lshl_add_u32 v27, v18, 2, v27
	ds_read_b32 v27, v27 offset:4704
	ds_read_b32 v28, v26 offset:4168
	s_waitcnt lgkmcnt(0)
	v_fmac_f32_e32 v25, v27, v28
	s_or_b64 exec, exec, s[20:21]
	v_cmp_gt_u32_e64 s[14:15], 40, v4
	s_and_saveexec_b64 s[20:21], s[14:15]
	s_cbranch_execz .LBB11_380
.LBB11_1223:
	v_lshlrev_b32_e32 v27, 2, v19
	v_sub_u32_e32 v27, v26, v27
	v_lshl_add_u32 v27, v18, 2, v27
	ds_read_b32 v27, v27 offset:4960
	ds_read_b32 v28, v26 offset:4172
	s_waitcnt lgkmcnt(0)
	v_fmac_f32_e32 v25, v27, v28
	s_or_b64 exec, exec, s[20:21]
	v_cmp_gt_u32_e64 s[14:15], 32, v4
	s_and_saveexec_b64 s[0:1], s[14:15]
	s_cbranch_execz .LBB11_381
.LBB11_1224:
	ds_read_b32 v27, v15 offset:5216
	ds_read_b32 v28, v26 offset:4176
	s_waitcnt lgkmcnt(0)
	v_fmac_f32_e32 v25, v27, v28
	s_or_b64 exec, exec, s[0:1]
	v_cmp_gt_u32_e64 s[14:15], 24, v4
	s_and_saveexec_b64 s[20:21], s[14:15]
	s_cbranch_execz .LBB11_382
.LBB11_1225:
	v_lshlrev_b32_e32 v27, 2, v19
	v_sub_u32_e32 v27, v26, v27
	v_lshl_add_u32 v27, v18, 2, v27
	ds_read_b32 v27, v27 offset:5472
	ds_read_b32 v28, v26 offset:4180
	s_waitcnt lgkmcnt(0)
	v_fmac_f32_e32 v25, v27, v28
	s_or_b64 exec, exec, s[20:21]
	v_cmp_gt_u32_e64 s[14:15], 16, v4
	s_and_saveexec_b64 s[0:1], s[14:15]
	s_cbranch_execz .LBB11_383
.LBB11_1226:
	ds_read_b32 v27, v15 offset:5728
	ds_read_b32 v26, v26 offset:4184
	s_waitcnt lgkmcnt(0)
	v_fmac_f32_e32 v25, v27, v26
	s_or_b64 exec, exec, s[0:1]
	v_cmp_gt_u32_e64 s[14:15], 8, v4
	s_and_saveexec_b64 s[20:21], s[14:15]
	s_cbranch_execnz .LBB11_384
	s_branch .LBB11_385
.LBB11_1227:
	v_lshlrev_b32_e32 v27, 2, v14
	v_sub_u32_e32 v27, v26, v27
	v_lshl_add_u32 v27, v13, 2, v27
	ds_read_b32 v27, v27 offset:6512
	ds_read_b32 v28, v26 offset:6244
	s_waitcnt lgkmcnt(0)
	v_fmac_f32_e32 v25, v27, v28
	s_or_b64 exec, exec, s[20:21]
	v_cmp_gt_u32_e64 s[14:15], 8, v4
	s_and_saveexec_b64 s[0:1], s[14:15]
	s_cbranch_execz .LBB11_441
.LBB11_1228:
	ds_read_b32 v27, v6 offset:6768
	ds_read_b32 v26, v26 offset:6248
	s_waitcnt lgkmcnt(0)
	v_fmac_f32_e32 v25, v27, v26
	s_or_b64 exec, exec, s[0:1]
	v_cmp_gt_u32_e64 s[14:15], 4, v4
	s_and_saveexec_b64 s[20:21], s[14:15]
	s_cbranch_execnz .LBB11_442
	s_branch .LBB11_443
.LBB11_1229:
	ds_read_b32 v31, v25 offset:7552
	ds_read_b32 v32, v30 offset:116
	s_waitcnt lgkmcnt(0)
	v_fmac_f32_e32 v28, v31, v32
	s_or_b64 exec, exec, s[0:1]
	v_cmp_gt_u32_e64 s[20:21], 64, v4
	s_and_saveexec_b64 s[0:1], s[20:21]
	s_cbranch_execz .LBB11_539
.LBB11_1230:
	ds_read_b32 v31, v25 offset:7808
	ds_read_b32 v30, v30 offset:120
	s_waitcnt lgkmcnt(0)
	v_fmac_f32_e32 v28, v31, v30
	s_or_b64 exec, exec, s[0:1]
	v_cmp_gt_u32_e64 s[20:21], 32, v4
	s_and_saveexec_b64 s[0:1], s[20:21]
	s_cbranch_execnz .LBB11_540
	s_branch .LBB11_541
.LBB11_1231:
	v_lshlrev_b32_e32 v27, 2, v14
	v_sub_u32_e32 v27, v26, v27
	v_lshl_add_u32 v27, v13, 2, v27
	ds_read_b32 v27, v27 offset:8592
	ds_read_b32 v28, v26 offset:8324
	s_waitcnt lgkmcnt(0)
	v_fmac_f32_e32 v25, v27, v28
	s_or_b64 exec, exec, s[16:17]
	v_cmp_gt_u32_e64 s[12:13], 8, v4
	s_and_saveexec_b64 s[0:1], s[12:13]
	s_cbranch_execz .LBB11_693
.LBB11_1232:
	ds_read_b32 v27, v6 offset:8848
	ds_read_b32 v26, v26 offset:8328
	s_waitcnt lgkmcnt(0)
	v_fmac_f32_e32 v25, v27, v26
	s_or_b64 exec, exec, s[0:1]
	v_cmp_gt_u32_e64 s[12:13], 4, v4
	s_and_saveexec_b64 s[0:1], s[12:13]
	s_cbranch_execnz .LBB11_694
	s_branch .LBB11_695
.LBB11_1233:
	v_lshlrev_b32_e32 v27, 2, v19
	v_sub_u32_e32 v27, v26, v27
	v_lshl_add_u32 v27, v18, 2, v27
	ds_read_b32 v27, v27 offset:8608
	ds_read_b32 v28, v26 offset:8324
	s_waitcnt lgkmcnt(0)
	v_fmac_f32_e32 v25, v27, v28
	s_or_b64 exec, exec, s[16:17]
	v_cmp_gt_u32_e64 s[12:13], 48, v4
	s_and_saveexec_b64 s[0:1], s[12:13]
	s_cbranch_execz .LBB11_735
.LBB11_1234:
	v_lshlrev_b32_e32 v27, 2, v19
	v_sub_u32_e32 v27, v26, v27
	v_lshl_add_u32 v27, v18, 2, v27
	ds_read_b32 v27, v27 offset:8864
	ds_read_b32 v28, v26 offset:8328
	s_waitcnt lgkmcnt(0)
	v_fmac_f32_e32 v25, v27, v28
	s_or_b64 exec, exec, s[0:1]
	v_cmp_gt_u32_e64 s[12:13], 40, v4
	s_and_saveexec_b64 s[0:1], s[12:13]
	s_cbranch_execz .LBB11_736
.LBB11_1235:
	v_lshlrev_b32_e32 v27, 2, v19
	v_sub_u32_e32 v27, v26, v27
	v_lshl_add_u32 v27, v18, 2, v27
	ds_read_b32 v27, v27 offset:9120
	ds_read_b32 v28, v26 offset:8332
	s_waitcnt lgkmcnt(0)
	v_fmac_f32_e32 v25, v27, v28
	s_or_b64 exec, exec, s[0:1]
	v_cmp_gt_u32_e64 s[12:13], 32, v4
	s_and_saveexec_b64 s[0:1], s[12:13]
	s_cbranch_execz .LBB11_737
.LBB11_1236:
	ds_read_b32 v27, v15 offset:9376
	ds_read_b32 v28, v26 offset:8336
	s_waitcnt lgkmcnt(0)
	v_fmac_f32_e32 v25, v27, v28
	s_or_b64 exec, exec, s[0:1]
	v_cmp_gt_u32_e64 s[12:13], 24, v4
	s_and_saveexec_b64 s[0:1], s[12:13]
	s_cbranch_execz .LBB11_738
.LBB11_1237:
	v_lshlrev_b32_e32 v27, 2, v19
	v_sub_u32_e32 v27, v26, v27
	v_lshl_add_u32 v27, v18, 2, v27
	ds_read_b32 v27, v27 offset:9632
	ds_read_b32 v28, v26 offset:8340
	s_waitcnt lgkmcnt(0)
	v_fmac_f32_e32 v25, v27, v28
	s_or_b64 exec, exec, s[0:1]
	v_cmp_gt_u32_e64 s[12:13], 16, v4
	s_and_saveexec_b64 s[0:1], s[12:13]
	s_cbranch_execz .LBB11_739
.LBB11_1238:
	ds_read_b32 v27, v15 offset:9888
	ds_read_b32 v26, v26 offset:8344
	s_waitcnt lgkmcnt(0)
	v_fmac_f32_e32 v25, v27, v26
	s_or_b64 exec, exec, s[0:1]
	v_cmp_gt_u32_e64 s[12:13], 8, v4
	s_and_saveexec_b64 s[0:1], s[12:13]
	s_cbranch_execnz .LBB11_740
	s_branch .LBB11_741
.LBB11_1239:
	v_lshlrev_b32_e32 v27, 2, v14
	v_sub_u32_e32 v27, v26, v27
	v_lshl_add_u32 v27, v13, 2, v27
	ds_read_b32 v27, v27 offset:10672
	ds_read_b32 v28, v26 offset:10404
	s_waitcnt lgkmcnt(0)
	v_fmac_f32_e32 v25, v27, v28
	s_or_b64 exec, exec, s[16:17]
	v_cmp_gt_u32_e64 s[12:13], 8, v4
	s_and_saveexec_b64 s[0:1], s[12:13]
	s_cbranch_execz .LBB11_797
.LBB11_1240:
	ds_read_b32 v27, v6 offset:10928
	ds_read_b32 v26, v26 offset:10408
	s_waitcnt lgkmcnt(0)
	v_fmac_f32_e32 v25, v27, v26
	s_or_b64 exec, exec, s[0:1]
	v_cmp_gt_u32_e64 s[12:13], 4, v4
	s_and_saveexec_b64 s[0:1], s[12:13]
	s_cbranch_execnz .LBB11_798
	s_branch .LBB11_799
.LBB11_1241:
	v_lshlrev_b32_e32 v24, 2, v21
	v_lshl_add_u32 v24, v23, 2, v24
	ds_read_b32 v24, v24 offset:11200
	ds_read_b32 v27, v26 offset:8364
	s_waitcnt lgkmcnt(0)
	v_fmac_f32_e32 v25, v24, v27
	s_or_b64 exec, exec, s[0:1]
	v_cmp_gt_u32_e64 s[12:13], 64, v4
	s_and_saveexec_b64 s[0:1], s[12:13]
	s_cbranch_execz .LBB11_859
.LBB11_1242:
	ds_read_b32 v24, v20 offset:11456
	ds_read_b32 v27, v26 offset:8368
	s_waitcnt lgkmcnt(0)
	v_fmac_f32_e32 v25, v24, v27
	s_or_b64 exec, exec, s[0:1]
	v_cmp_gt_u32_e64 s[12:13], 48, v4
	s_and_saveexec_b64 s[0:1], s[12:13]
	s_cbranch_execz .LBB11_860
.LBB11_1243:
	v_lshlrev_b32_e32 v24, 2, v21
	v_lshl_add_u32 v23, v23, 2, v24
	ds_read_b32 v23, v23 offset:11712
	ds_read_b32 v24, v26 offset:8372
	s_waitcnt lgkmcnt(0)
	v_fmac_f32_e32 v25, v23, v24
	s_or_b64 exec, exec, s[0:1]
	v_cmp_gt_u32_e64 s[12:13], 32, v4
	s_and_saveexec_b64 s[0:1], s[12:13]
	s_cbranch_execz .LBB11_861
.LBB11_1244:
	ds_read_b32 v23, v20 offset:11968
	ds_read_b32 v24, v26 offset:8376
	s_waitcnt lgkmcnt(0)
	v_fmac_f32_e32 v25, v23, v24
	s_or_b64 exec, exec, s[0:1]
	v_cmp_gt_u32_e64 s[12:13], 16, v4
	s_and_saveexec_b64 s[0:1], s[12:13]
	s_cbranch_execnz .LBB11_862
	s_branch .LBB11_863
.LBB11_1245:
	v_lshlrev_b32_e32 v22, 2, v14
	v_sub_u32_e32 v22, v21, v22
	v_lshl_add_u32 v22, v13, 2, v22
	ds_read_b32 v22, v22 offset:12752
	ds_read_b32 v23, v21 offset:12484
	s_waitcnt lgkmcnt(0)
	v_fmac_f32_e32 v20, v22, v23
	s_or_b64 exec, exec, s[12:13]
	v_cmp_gt_u32_e64 s[10:11], 8, v4
	s_and_saveexec_b64 s[12:13], s[10:11]
	s_cbranch_execz .LBB11_951
.LBB11_1246:
	ds_read_b32 v22, v6 offset:13008
	ds_read_b32 v21, v21 offset:12488
	s_waitcnt lgkmcnt(0)
	v_fmac_f32_e32 v20, v22, v21
	s_or_b64 exec, exec, s[12:13]
	v_cmp_gt_u32_e64 s[10:11], 4, v4
	s_and_saveexec_b64 s[12:13], s[10:11]
	s_cbranch_execnz .LBB11_952
	s_branch .LBB11_953
.LBB11_1247:
	v_lshlrev_b32_e32 v22, 2, v19
	v_sub_u32_e32 v22, v21, v22
	v_lshl_add_u32 v22, v18, 2, v22
	ds_read_b32 v22, v22 offset:12768
	ds_read_b32 v23, v21 offset:12484
	s_waitcnt lgkmcnt(0)
	v_fmac_f32_e32 v20, v22, v23
	s_or_b64 exec, exec, s[12:13]
	v_cmp_gt_u32_e64 s[10:11], 48, v4
	s_and_saveexec_b64 s[12:13], s[10:11]
	s_cbranch_execz .LBB11_993
.LBB11_1248:
	v_lshlrev_b32_e32 v22, 2, v19
	v_sub_u32_e32 v22, v21, v22
	v_lshl_add_u32 v22, v18, 2, v22
	ds_read_b32 v22, v22 offset:13024
	ds_read_b32 v23, v21 offset:12488
	s_waitcnt lgkmcnt(0)
	v_fmac_f32_e32 v20, v22, v23
	s_or_b64 exec, exec, s[12:13]
	v_cmp_gt_u32_e64 s[10:11], 40, v4
	s_and_saveexec_b64 s[12:13], s[10:11]
	s_cbranch_execz .LBB11_994
.LBB11_1249:
	v_lshlrev_b32_e32 v22, 2, v19
	v_sub_u32_e32 v22, v21, v22
	v_lshl_add_u32 v22, v18, 2, v22
	ds_read_b32 v22, v22 offset:13280
	ds_read_b32 v23, v21 offset:12492
	s_waitcnt lgkmcnt(0)
	v_fmac_f32_e32 v20, v22, v23
	s_or_b64 exec, exec, s[12:13]
	v_cmp_gt_u32_e64 s[10:11], 32, v4
	s_and_saveexec_b64 s[12:13], s[10:11]
	s_cbranch_execz .LBB11_995
.LBB11_1250:
	ds_read_b32 v22, v15 offset:13536
	ds_read_b32 v23, v21 offset:12496
	s_waitcnt lgkmcnt(0)
	v_fmac_f32_e32 v20, v22, v23
	s_or_b64 exec, exec, s[12:13]
	v_cmp_gt_u32_e64 s[10:11], 24, v4
	s_and_saveexec_b64 s[12:13], s[10:11]
	s_cbranch_execz .LBB11_996
.LBB11_1251:
	v_lshlrev_b32_e32 v19, 2, v19
	v_sub_u32_e32 v19, v21, v19
	v_lshl_add_u32 v18, v18, 2, v19
	ds_read_b32 v18, v18 offset:13792
	ds_read_b32 v19, v21 offset:12500
	s_waitcnt lgkmcnt(0)
	v_fmac_f32_e32 v20, v18, v19
	s_or_b64 exec, exec, s[12:13]
	v_cmp_gt_u32_e64 s[10:11], 16, v4
	s_and_saveexec_b64 s[12:13], s[10:11]
	s_cbranch_execz .LBB11_997
.LBB11_1252:
	ds_read_b32 v18, v15 offset:14048
	ds_read_b32 v19, v21 offset:12504
	s_waitcnt lgkmcnt(0)
	v_fmac_f32_e32 v20, v18, v19
	s_or_b64 exec, exec, s[12:13]
	v_cmp_gt_u32_e64 s[10:11], 8, v4
	s_and_saveexec_b64 s[12:13], s[10:11]
	s_cbranch_execnz .LBB11_998
	s_branch .LBB11_999
.LBB11_1253:
	v_lshlrev_b32_e32 v14, 2, v14
	v_sub_u32_e32 v14, v16, v14
	v_lshl_add_u32 v13, v13, 2, v14
	ds_read_b32 v13, v13 offset:14832
	ds_read_b32 v14, v16 offset:14564
	s_waitcnt lgkmcnt(0)
	v_fmac_f32_e32 v15, v13, v14
	s_or_b64 exec, exec, s[10:11]
	v_cmp_gt_u32_e64 s[8:9], 8, v4
	s_and_saveexec_b64 s[10:11], s[8:9]
	s_cbranch_execz .LBB11_1055
.LBB11_1254:
	ds_read_b32 v13, v6 offset:15088
	ds_read_b32 v14, v16 offset:14568
	s_waitcnt lgkmcnt(0)
	v_fmac_f32_e32 v15, v13, v14
	s_or_b64 exec, exec, s[10:11]
	v_cmp_gt_u32_e64 s[8:9], 4, v4
	s_and_saveexec_b64 s[10:11], s[8:9]
	s_cbranch_execnz .LBB11_1056
	s_branch .LBB11_1057
	.section	.rodata,"a",@progbits
	.p2align	6, 0x0
	.amdhsa_kernel _ZL19rocblas_trsv_deviceILi64ELi16ELb1ELb1ELb0ELb0EfPKfS1_PfEviT7_lllT6_T8_lllPii
		.amdhsa_group_segment_fixed_size 20740
		.amdhsa_private_segment_fixed_size 0
		.amdhsa_kernarg_size 352
		.amdhsa_user_sgpr_count 6
		.amdhsa_user_sgpr_private_segment_buffer 1
		.amdhsa_user_sgpr_dispatch_ptr 0
		.amdhsa_user_sgpr_queue_ptr 0
		.amdhsa_user_sgpr_kernarg_segment_ptr 1
		.amdhsa_user_sgpr_dispatch_id 0
		.amdhsa_user_sgpr_flat_scratch_init 0
		.amdhsa_user_sgpr_private_segment_size 0
		.amdhsa_uses_dynamic_stack 0
		.amdhsa_system_sgpr_private_segment_wavefront_offset 0
		.amdhsa_system_sgpr_workgroup_id_x 1
		.amdhsa_system_sgpr_workgroup_id_y 0
		.amdhsa_system_sgpr_workgroup_id_z 1
		.amdhsa_system_sgpr_workgroup_info 0
		.amdhsa_system_vgpr_workitem_id 1
		.amdhsa_next_free_vgpr 34
		.amdhsa_next_free_sgpr 96
		.amdhsa_reserve_vcc 1
		.amdhsa_reserve_flat_scratch 0
		.amdhsa_float_round_mode_32 0
		.amdhsa_float_round_mode_16_64 0
		.amdhsa_float_denorm_mode_32 3
		.amdhsa_float_denorm_mode_16_64 3
		.amdhsa_dx10_clamp 1
		.amdhsa_ieee_mode 1
		.amdhsa_fp16_overflow 0
		.amdhsa_exception_fp_ieee_invalid_op 0
		.amdhsa_exception_fp_denorm_src 0
		.amdhsa_exception_fp_ieee_div_zero 0
		.amdhsa_exception_fp_ieee_overflow 0
		.amdhsa_exception_fp_ieee_underflow 0
		.amdhsa_exception_fp_ieee_inexact 0
		.amdhsa_exception_int_div_zero 0
	.end_amdhsa_kernel
	.section	.text._ZL19rocblas_trsv_deviceILi64ELi16ELb1ELb1ELb0ELb0EfPKfS1_PfEviT7_lllT6_T8_lllPii,"axG",@progbits,_ZL19rocblas_trsv_deviceILi64ELi16ELb1ELb1ELb0ELb0EfPKfS1_PfEviT7_lllT6_T8_lllPii,comdat
.Lfunc_end11:
	.size	_ZL19rocblas_trsv_deviceILi64ELi16ELb1ELb1ELb0ELb0EfPKfS1_PfEviT7_lllT6_T8_lllPii, .Lfunc_end11-_ZL19rocblas_trsv_deviceILi64ELi16ELb1ELb1ELb0ELb0EfPKfS1_PfEviT7_lllT6_T8_lllPii
                                        ; -- End function
	.set _ZL19rocblas_trsv_deviceILi64ELi16ELb1ELb1ELb0ELb0EfPKfS1_PfEviT7_lllT6_T8_lllPii.num_vgpr, 34
	.set _ZL19rocblas_trsv_deviceILi64ELi16ELb1ELb1ELb0ELb0EfPKfS1_PfEviT7_lllT6_T8_lllPii.num_agpr, 0
	.set _ZL19rocblas_trsv_deviceILi64ELi16ELb1ELb1ELb0ELb0EfPKfS1_PfEviT7_lllT6_T8_lllPii.numbered_sgpr, 96
	.set _ZL19rocblas_trsv_deviceILi64ELi16ELb1ELb1ELb0ELb0EfPKfS1_PfEviT7_lllT6_T8_lllPii.num_named_barrier, 0
	.set _ZL19rocblas_trsv_deviceILi64ELi16ELb1ELb1ELb0ELb0EfPKfS1_PfEviT7_lllT6_T8_lllPii.private_seg_size, 0
	.set _ZL19rocblas_trsv_deviceILi64ELi16ELb1ELb1ELb0ELb0EfPKfS1_PfEviT7_lllT6_T8_lllPii.uses_vcc, 1
	.set _ZL19rocblas_trsv_deviceILi64ELi16ELb1ELb1ELb0ELb0EfPKfS1_PfEviT7_lllT6_T8_lllPii.uses_flat_scratch, 0
	.set _ZL19rocblas_trsv_deviceILi64ELi16ELb1ELb1ELb0ELb0EfPKfS1_PfEviT7_lllT6_T8_lllPii.has_dyn_sized_stack, 0
	.set _ZL19rocblas_trsv_deviceILi64ELi16ELb1ELb1ELb0ELb0EfPKfS1_PfEviT7_lllT6_T8_lllPii.has_recursion, 0
	.set _ZL19rocblas_trsv_deviceILi64ELi16ELb1ELb1ELb0ELb0EfPKfS1_PfEviT7_lllT6_T8_lllPii.has_indirect_call, 0
	.section	.AMDGPU.csdata,"",@progbits
; Kernel info:
; codeLenInByte = 39468
; TotalNumSgprs: 100
; NumVgprs: 34
; ScratchSize: 0
; MemoryBound: 0
; FloatMode: 240
; IeeeMode: 1
; LDSByteSize: 20740 bytes/workgroup (compile time only)
; SGPRBlocks: 12
; VGPRBlocks: 8
; NumSGPRsForWavesPerEU: 100
; NumVGPRsForWavesPerEU: 34
; Occupancy: 7
; WaveLimiterHint : 0
; COMPUTE_PGM_RSRC2:SCRATCH_EN: 0
; COMPUTE_PGM_RSRC2:USER_SGPR: 6
; COMPUTE_PGM_RSRC2:TRAP_HANDLER: 0
; COMPUTE_PGM_RSRC2:TGID_X_EN: 1
; COMPUTE_PGM_RSRC2:TGID_Y_EN: 0
; COMPUTE_PGM_RSRC2:TGID_Z_EN: 1
; COMPUTE_PGM_RSRC2:TIDIG_COMP_CNT: 1
	.section	.text._ZL19rocblas_trsv_deviceILi64ELi16ELb1ELb1ELb1ELb0EfPKfS1_PfEviT7_lllT6_T8_lllPii,"axG",@progbits,_ZL19rocblas_trsv_deviceILi64ELi16ELb1ELb1ELb1ELb0EfPKfS1_PfEviT7_lllT6_T8_lllPii,comdat
	.globl	_ZL19rocblas_trsv_deviceILi64ELi16ELb1ELb1ELb1ELb0EfPKfS1_PfEviT7_lllT6_T8_lllPii ; -- Begin function _ZL19rocblas_trsv_deviceILi64ELi16ELb1ELb1ELb1ELb0EfPKfS1_PfEviT7_lllT6_T8_lllPii
	.p2align	8
	.type	_ZL19rocblas_trsv_deviceILi64ELi16ELb1ELb1ELb1ELb0EfPKfS1_PfEviT7_lllT6_T8_lllPii,@function
_ZL19rocblas_trsv_deviceILi64ELi16ELb1ELb1ELb1ELb0EfPKfS1_PfEviT7_lllT6_T8_lllPii: ; @_ZL19rocblas_trsv_deviceILi64ELi16ELb1ELb1ELb1ELb0EfPKfS1_PfEviT7_lllT6_T8_lllPii
; %bb.0:
	s_load_dwordx16 s[36:51], s[4:5], 0x8
	s_load_dword s24, s[4:5], 0x0
	s_mov_b32 s22, s7
	v_mov_b32_e32 v2, v1
	s_mov_b32 s23, 0
	s_waitcnt lgkmcnt(0)
	s_mul_i32 s0, s43, s7
	s_mul_hi_u32 s1, s42, s7
	s_add_i32 s1, s1, s0
	s_mul_i32 s0, s42, s7
	s_load_dword s7, s[4:5], 0x60
	s_lshl_b64 s[0:1], s[0:1], 2
	s_add_u32 s2, s36, s0
	s_addc_u32 s3, s37, s1
	s_lshl_b64 s[0:1], s[38:39], 2
	s_load_dword s31, s[44:45], 0x0
	s_load_dword s30, s[4:5], 0x6c
	s_add_u32 s91, s2, s0
	s_addc_u32 s92, s3, s1
	s_waitcnt lgkmcnt(0)
	s_add_i32 s7, s7, -1
	s_sub_i32 s93, s7, s6
	s_cmp_lg_u32 s6, 0
	s_cbranch_scc0 .LBB12_1164
; %bb.1:
	s_lshl_b32 s33, s93, 6
	v_add_u32_e32 v1, s33, v0
	v_ashrrev_i32_e32 v3, 31, v1
	v_mul_lo_u32 v7, s40, v3
	v_mul_lo_u32 v8, s41, v1
	v_mad_u64_u32 v[5:6], s[0:1], s40, v1, 0
	v_add3_u32 v3, v2, s33, 64
	v_ashrrev_i32_e32 v4, 31, v3
	v_add3_u32 v6, v6, v7, v8
	v_lshlrev_b64 v[5:6], 2, v[5:6]
	v_cmp_gt_i32_e32 vcc, s24, v1
	v_mov_b32_e32 v1, s92
	v_add_co_u32_e64 v7, s[0:1], s91, v5
	v_lshlrev_b64 v[4:5], 2, v[3:4]
	v_addc_co_u32_e64 v1, s[0:1], v1, v6, s[0:1]
	v_add_co_u32_e64 v4, s[0:1], v7, v4
	v_addc_co_u32_e64 v5, s[0:1], v1, v5, s[0:1]
	v_cmp_gt_i32_e64 s[0:1], s24, v3
	s_and_b64 s[2:3], s[0:1], vcc
	v_mov_b32_e32 v7, 0
	v_mov_b32_e32 v8, 0
	s_barrier
	s_and_saveexec_b64 s[0:1], s[2:3]
	s_cbranch_execz .LBB12_3
; %bb.2:
	global_load_dword v8, v[4:5], off
.LBB12_3:
	s_or_b64 exec, exec, s[0:1]
	v_add_u32_e32 v1, 16, v3
	v_cmp_gt_i32_e64 s[0:1], s24, v1
	s_and_b64 s[2:3], s[0:1], vcc
	s_waitcnt vmcnt(0)
	s_barrier
	s_and_saveexec_b64 s[0:1], s[2:3]
	s_cbranch_execz .LBB12_5
; %bb.4:
	global_load_dword v7, v[4:5], off offset:64
.LBB12_5:
	s_or_b64 exec, exec, s[0:1]
	v_add_u32_e32 v1, 32, v3
	v_cmp_gt_i32_e64 s[0:1], s24, v1
	s_and_b64 s[2:3], s[0:1], vcc
	v_mov_b32_e32 v9, 0
	v_mov_b32_e32 v10, 0
	s_waitcnt vmcnt(0)
	s_barrier
	s_and_saveexec_b64 s[0:1], s[2:3]
	s_cbranch_execz .LBB12_7
; %bb.6:
	global_load_dword v10, v[4:5], off offset:128
.LBB12_7:
	s_or_b64 exec, exec, s[0:1]
	v_add_u32_e32 v1, 48, v3
	v_cmp_gt_i32_e64 s[0:1], s24, v1
	s_and_b64 s[2:3], s[0:1], vcc
	s_waitcnt vmcnt(0)
	s_barrier
	s_and_saveexec_b64 s[0:1], s[2:3]
	s_cbranch_execz .LBB12_9
; %bb.8:
	global_load_dword v9, v[4:5], off offset:192
.LBB12_9:
	s_or_b64 exec, exec, s[0:1]
	s_branch .LBB12_11
.LBB12_10:
	s_lshl_b32 s33, s93, 6
                                        ; implicit-def: $vgpr8
                                        ; implicit-def: $vgpr7
                                        ; implicit-def: $vgpr10
                                        ; implicit-def: $vgpr9
.LBB12_11:
	s_ashr_i32 s25, s24, 31
	s_lshr_b32 s0, s25, 26
	s_add_i32 s0, s24, s0
	s_andn2_b32 s0, s0, 63
	s_sub_i32 s90, s24, s0
	s_add_i32 s0, s24, -1
	s_ashr_i32 s1, s0, 31
	s_lshr_b32 s1, s1, 26
	s_add_i32 s0, s0, s1
	s_ashr_i32 s0, s0, 6
	s_cmp_eq_u32 s0, s93
	s_cselect_b64 s[0:1], -1, 0
	s_cmp_lg_u32 s90, 0
	s_cselect_b64 s[2:3], -1, 0
	s_and_b64 s[26:27], s[2:3], s[0:1]
	s_cmp_lt_i32 s6, 5
	s_cselect_b64 s[2:3], -1, 0
	s_or_b64 s[0:1], s[2:3], s[26:27]
	s_ashr_i32 s38, s33, 31
	s_add_u32 s10, s40, 1
	v_mov_b32_e32 v1, 0
	v_mov_b32_e32 v3, s33
	v_mad_u64_u32 v[3:4], s[8:9], s10, v3, v[0:1]
	s_addc_u32 s11, s41, 0
	s_mul_i32 s8, s10, s38
	s_mul_i32 s11, s11, s33
	s_add_i32 s8, s8, s11
	s_mov_b64 s[12:13], -1
	v_lshlrev_b32_e32 v11, 6, v0
	v_add_u32_e32 v4, s8, v4
	s_and_b64 vcc, exec, s[26:27]
	v_cmp_le_u32_e64 s[8:9], v0, v2
	s_cbranch_vccnz .LBB12_33
; %bb.12:
	v_mad_u64_u32 v[5:6], s[10:11], s40, v2, v[3:4]
	v_mov_b32_e32 v1, v6
	v_mad_u64_u32 v[12:13], s[10:11], s41, v2, v[1:2]
	s_mov_b64 s[10:11], 0
                                        ; implicit-def: $vgpr1
	v_mov_b32_e32 v6, v12
	s_and_saveexec_b64 s[12:13], s[8:9]
	s_xor_b64 s[8:9], exec, s[12:13]
	s_cbranch_execnz .LBB12_1165
; %bb.13:
	s_andn2_saveexec_b64 s[8:9], s[8:9]
	s_cbranch_execnz .LBB12_1170
.LBB12_14:
	s_or_b64 exec, exec, s[8:9]
	s_and_saveexec_b64 s[8:9], s[10:11]
.LBB12_15:
	v_add_u32_e32 v5, v2, v11
	v_lshl_add_u32 v6, v2, 6, v0
	v_cndmask_b32_e64 v5, v6, v5, s[2:3]
	v_lshlrev_b32_e32 v5, 2, v5
	ds_write_b32 v5, v1
.LBB12_16:
	s_or_b64 exec, exec, s[8:9]
	v_add_u32_e32 v1, 16, v2
	v_mad_u64_u32 v[5:6], s[2:3], s40, v1, v[3:4]
	v_cmp_le_u32_e32 vcc, v0, v1
	s_mov_b64 s[8:9], 0
	v_mad_u64_u32 v[12:13], s[2:3], s41, v1, v[6:7]
	v_mov_b32_e32 v6, v12
                                        ; implicit-def: $vgpr12
	s_and_saveexec_b64 s[2:3], vcc
	s_xor_b64 s[2:3], exec, s[2:3]
	s_cbranch_execnz .LBB12_1171
; %bb.17:
	s_andn2_saveexec_b64 s[2:3], s[2:3]
	s_cbranch_execnz .LBB12_1176
.LBB12_18:
	s_or_b64 exec, exec, s[2:3]
	s_and_saveexec_b64 s[2:3], s[8:9]
.LBB12_19:
	v_add_u32_e32 v5, v1, v11
	v_lshl_add_u32 v1, v1, 6, v0
	v_cndmask_b32_e64 v1, v1, v5, s[0:1]
	v_lshlrev_b32_e32 v1, 2, v1
	ds_write_b32 v1, v12
.LBB12_20:
	s_or_b64 exec, exec, s[2:3]
	v_add_u32_e32 v1, 32, v2
	v_mad_u64_u32 v[5:6], s[2:3], s40, v1, v[3:4]
	v_cmp_le_u32_e32 vcc, v0, v1
	s_mov_b64 s[8:9], 0
	v_mad_u64_u32 v[12:13], s[2:3], s41, v1, v[6:7]
	v_mov_b32_e32 v6, v12
                                        ; implicit-def: $vgpr12
	s_and_saveexec_b64 s[2:3], vcc
	s_xor_b64 s[2:3], exec, s[2:3]
	s_cbranch_execnz .LBB12_1177
; %bb.21:
	s_andn2_saveexec_b64 s[2:3], s[2:3]
	s_cbranch_execnz .LBB12_1182
.LBB12_22:
	s_or_b64 exec, exec, s[2:3]
	s_and_saveexec_b64 s[2:3], s[8:9]
.LBB12_23:
	v_add_u32_e32 v5, v1, v11
	v_lshl_add_u32 v1, v1, 6, v0
	v_cndmask_b32_e64 v1, v1, v5, s[0:1]
	v_lshlrev_b32_e32 v1, 2, v1
	ds_write_b32 v1, v12
.LBB12_24:
	s_or_b64 exec, exec, s[2:3]
	v_add_u32_e32 v12, 48, v2
	v_mad_u64_u32 v[5:6], s[2:3], s40, v12, v[3:4]
	v_cmp_le_u32_e32 vcc, v0, v12
	s_mov_b64 s[10:11], 0
	v_mov_b32_e32 v1, v6
	v_mad_u64_u32 v[13:14], s[2:3], s41, v12, v[1:2]
                                        ; implicit-def: $vgpr1
	v_mov_b32_e32 v6, v13
	s_and_saveexec_b64 s[2:3], vcc
	s_xor_b64 s[2:3], exec, s[2:3]
	s_cbranch_execz .LBB12_30
; %bb.25:
	v_cmp_ne_u32_e32 vcc, v0, v12
	s_mov_b64 s[8:9], 0
	s_and_saveexec_b64 s[10:11], vcc
	s_xor_b64 s[10:11], exec, s[10:11]
; %bb.26:
	v_or_b32_e32 v1, v12, v0
	v_cmp_gt_u32_e32 vcc, 64, v1
	s_and_b64 s[8:9], vcc, exec
                                        ; implicit-def: $vgpr5_vgpr6
; %bb.27:
	s_or_saveexec_b64 s[10:11], s[10:11]
	v_mov_b32_e32 v1, 0
	s_xor_b64 exec, exec, s[10:11]
	s_cbranch_execz .LBB12_29
; %bb.28:
	v_lshlrev_b64 v[5:6], 2, v[5:6]
	v_mov_b32_e32 v1, s92
	v_add_co_u32_e32 v5, vcc, s91, v5
	v_addc_co_u32_e32 v6, vcc, v1, v6, vcc
	global_load_dword v1, v[5:6], off
	s_or_b64 s[8:9], s[8:9], exec
	s_waitcnt vmcnt(0)
	v_div_scale_f32 v5, s[12:13], v1, v1, 1.0
	v_div_scale_f32 v6, vcc, 1.0, v1, 1.0
	v_rcp_f32_e32 v13, v5
	v_fma_f32 v14, -v5, v13, 1.0
	v_fmac_f32_e32 v13, v14, v13
	v_mul_f32_e32 v14, v6, v13
	v_fma_f32 v15, -v5, v14, v6
	v_fmac_f32_e32 v14, v15, v13
	v_fma_f32 v5, -v5, v14, v6
	v_div_fmas_f32 v5, v5, v13, v14
	v_div_fixup_f32 v1, v5, v1, 1.0
.LBB12_29:
	s_or_b64 exec, exec, s[10:11]
	s_and_b64 s[10:11], s[8:9], exec
                                        ; implicit-def: $vgpr5_vgpr6
.LBB12_30:
	s_or_saveexec_b64 s[2:3], s[2:3]
	v_add_u32_e32 v13, v12, v11
	v_lshl_add_u32 v12, v12, 6, v0
	s_xor_b64 exec, exec, s[2:3]
	s_cbranch_execz .LBB12_32
; %bb.31:
	v_lshlrev_b64 v[5:6], 2, v[5:6]
	v_mov_b32_e32 v1, s92
	v_add_co_u32_e32 v5, vcc, s91, v5
	v_addc_co_u32_e32 v6, vcc, v1, v6, vcc
	global_load_dword v1, v[5:6], off
	s_or_b64 s[10:11], s[10:11], exec
	s_waitcnt vmcnt(0)
	v_xor_b32_e32 v1, 0x80000000, v1
.LBB12_32:
	s_or_b64 exec, exec, s[2:3]
	v_cndmask_b32_e64 v5, v12, v13, s[0:1]
	s_branch .LBB12_55
.LBB12_33:
	s_mov_b64 s[10:11], 0
                                        ; implicit-def: $vgpr1
                                        ; implicit-def: $vgpr5
	s_and_b64 vcc, exec, s[12:13]
	s_cbranch_vccz .LBB12_55
; %bb.34:
	v_mad_u64_u32 v[5:6], s[2:3], s40, v2, v[3:4]
	v_cmp_le_u32_e32 vcc, v0, v2
	v_cmp_gt_i32_e64 s[2:3], s90, v0
	v_mov_b32_e32 v1, v6
	v_mad_u64_u32 v[12:13], s[8:9], s41, v2, v[1:2]
	v_max_i32_e32 v1, v2, v0
	v_cmp_le_i32_e64 s[8:9], s90, v1
	v_mov_b32_e32 v6, v12
	s_or_b64 s[8:9], s[8:9], vcc
	s_mov_b64 s[12:13], 0
                                        ; implicit-def: $vgpr1
	s_and_saveexec_b64 s[14:15], s[8:9]
	s_xor_b64 s[8:9], exec, s[14:15]
	s_cbranch_execnz .LBB12_1183
; %bb.35:
	s_andn2_saveexec_b64 s[8:9], s[8:9]
	s_cbranch_execnz .LBB12_1188
.LBB12_36:
	s_or_b64 exec, exec, s[8:9]
	s_and_saveexec_b64 s[8:9], s[12:13]
.LBB12_37:
	v_lshlrev_b32_e32 v5, 2, v11
	v_lshl_add_u32 v5, v2, 2, v5
	ds_write_b32 v5, v1
.LBB12_38:
	s_or_b64 exec, exec, s[8:9]
	v_add_u32_e32 v1, 16, v2
	v_mad_u64_u32 v[5:6], s[8:9], s40, v1, v[3:4]
	v_cmp_gt_u32_e32 vcc, v0, v1
	s_mov_b64 s[12:13], 0
	v_mad_u64_u32 v[12:13], s[8:9], s41, v1, v[6:7]
	v_cmp_gt_i32_e64 s[8:9], s90, v1
	s_and_b64 s[8:9], vcc, s[8:9]
	s_and_b64 s[8:9], s[2:3], s[8:9]
	v_mov_b32_e32 v6, v12
	s_xor_b64 s[8:9], s[8:9], -1
                                        ; implicit-def: $vgpr12
	s_and_saveexec_b64 s[14:15], s[8:9]
	s_xor_b64 s[8:9], exec, s[14:15]
	s_cbranch_execnz .LBB12_1189
; %bb.39:
	s_andn2_saveexec_b64 s[8:9], s[8:9]
	s_cbranch_execnz .LBB12_1194
.LBB12_40:
	s_or_b64 exec, exec, s[8:9]
	s_and_saveexec_b64 s[8:9], s[12:13]
.LBB12_41:
	v_add_u32_e32 v5, v1, v11
	v_lshl_add_u32 v1, v1, 6, v0
	v_cndmask_b32_e64 v1, v1, v5, s[0:1]
	v_lshlrev_b32_e32 v1, 2, v1
	ds_write_b32 v1, v12
.LBB12_42:
	s_or_b64 exec, exec, s[8:9]
	v_add_u32_e32 v1, 32, v2
	v_mad_u64_u32 v[5:6], s[8:9], s40, v1, v[3:4]
	v_cmp_gt_u32_e32 vcc, v0, v1
	s_mov_b64 s[12:13], 0
	v_mad_u64_u32 v[12:13], s[8:9], s41, v1, v[6:7]
	v_cmp_gt_i32_e64 s[8:9], s90, v1
	s_and_b64 s[8:9], vcc, s[8:9]
	s_and_b64 s[8:9], s[2:3], s[8:9]
	v_mov_b32_e32 v6, v12
	s_xor_b64 s[8:9], s[8:9], -1
                                        ; implicit-def: $vgpr12
	s_and_saveexec_b64 s[14:15], s[8:9]
	s_xor_b64 s[8:9], exec, s[14:15]
	s_cbranch_execnz .LBB12_1195
; %bb.43:
	s_andn2_saveexec_b64 s[8:9], s[8:9]
	s_cbranch_execnz .LBB12_1200
.LBB12_44:
	s_or_b64 exec, exec, s[8:9]
	s_and_saveexec_b64 s[8:9], s[12:13]
.LBB12_45:
	v_add_u32_e32 v5, v1, v11
	v_lshl_add_u32 v1, v1, 6, v0
	v_cndmask_b32_e64 v1, v1, v5, s[0:1]
	v_lshlrev_b32_e32 v1, 2, v1
	ds_write_b32 v1, v12
.LBB12_46:
	s_or_b64 exec, exec, s[8:9]
	v_add_u32_e32 v5, 48, v2
	v_mad_u64_u32 v[3:4], s[8:9], s40, v5, v[3:4]
	v_cmp_gt_u32_e32 vcc, v0, v5
	v_mov_b32_e32 v1, v4
	v_mad_u64_u32 v[12:13], s[8:9], s41, v5, v[1:2]
	v_cmp_gt_i32_e64 s[8:9], s90, v5
	s_and_b64 s[8:9], vcc, s[8:9]
	s_and_b64 s[8:9], s[2:3], s[8:9]
	v_mov_b32_e32 v4, v12
	s_xor_b64 s[8:9], s[8:9], -1
                                        ; implicit-def: $vgpr1
	s_and_saveexec_b64 s[12:13], s[8:9]
	s_xor_b64 s[8:9], exec, s[12:13]
	s_cbranch_execz .LBB12_52
; %bb.47:
	v_cmp_ne_u32_e32 vcc, v0, v5
	s_xor_b64 s[2:3], s[2:3], -1
	s_or_b64 s[12:13], s[2:3], vcc
	s_mov_b64 s[2:3], s[10:11]
	s_and_saveexec_b64 s[14:15], s[12:13]
	s_xor_b64 s[12:13], exec, s[14:15]
; %bb.48:
	v_or_b32_e32 v1, v5, v0
	v_cmp_gt_u32_e32 vcc, 64, v1
	s_andn2_b64 s[2:3], s[10:11], exec
	s_and_b64 s[14:15], vcc, exec
	s_or_b64 s[2:3], s[2:3], s[14:15]
                                        ; implicit-def: $vgpr3_vgpr4
; %bb.49:
	s_or_saveexec_b64 s[12:13], s[12:13]
	v_mov_b32_e32 v1, 0
	s_xor_b64 exec, exec, s[12:13]
	s_cbranch_execz .LBB12_51
; %bb.50:
	v_lshlrev_b64 v[3:4], 2, v[3:4]
	v_mov_b32_e32 v1, s92
	v_add_co_u32_e32 v3, vcc, s91, v3
	v_addc_co_u32_e32 v4, vcc, v1, v4, vcc
	global_load_dword v1, v[3:4], off
	s_or_b64 s[2:3], s[2:3], exec
	s_waitcnt vmcnt(0)
	v_div_scale_f32 v3, s[14:15], v1, v1, 1.0
	v_div_scale_f32 v4, vcc, 1.0, v1, 1.0
	v_rcp_f32_e32 v6, v3
	v_fma_f32 v12, -v3, v6, 1.0
	v_fmac_f32_e32 v6, v12, v6
	v_mul_f32_e32 v12, v4, v6
	v_fma_f32 v13, -v3, v12, v4
	v_fmac_f32_e32 v12, v13, v6
	v_fma_f32 v3, -v3, v12, v4
	v_div_fmas_f32 v3, v3, v6, v12
	v_div_fixup_f32 v1, v3, v1, 1.0
.LBB12_51:
	s_or_b64 exec, exec, s[12:13]
	s_andn2_b64 s[10:11], s[10:11], exec
	s_and_b64 s[2:3], s[2:3], exec
	s_or_b64 s[10:11], s[10:11], s[2:3]
                                        ; implicit-def: $vgpr3_vgpr4
.LBB12_52:
	s_or_saveexec_b64 s[2:3], s[8:9]
	v_add_u32_e32 v6, v5, v11
	v_lshl_add_u32 v5, v5, 6, v0
	s_xor_b64 exec, exec, s[2:3]
	s_cbranch_execz .LBB12_54
; %bb.53:
	v_lshlrev_b64 v[3:4], 2, v[3:4]
	v_mov_b32_e32 v1, s92
	v_add_co_u32_e32 v3, vcc, s91, v3
	v_addc_co_u32_e32 v4, vcc, v1, v4, vcc
	global_load_dword v1, v[3:4], off
	s_or_b64 s[10:11], s[10:11], exec
	s_waitcnt vmcnt(0)
	v_xor_b32_e32 v1, 0x80000000, v1
.LBB12_54:
	s_or_b64 exec, exec, s[2:3]
	v_cndmask_b32_e64 v5, v5, v6, s[0:1]
.LBB12_55:
	s_xor_b64 s[0:1], s[0:1], -1
	s_and_saveexec_b64 s[2:3], s[10:11]
; %bb.56:
	v_lshlrev_b32_e32 v3, 2, v5
	ds_write_b32 v3, v1
; %bb.57:
	s_or_b64 exec, exec, s[2:3]
	v_cndmask_b32_e64 v1, 0, 1, s[0:1]
	v_cmp_ne_u32_e64 s[58:59], 1, v1
	s_andn2_b64 vcc, exec, s[0:1]
	s_waitcnt vmcnt(0) lgkmcnt(0)
	s_barrier
	s_cbranch_vccnz .LBB12_1095
; %bb.58:
	v_or_b32_e32 v1, v0, v2
	v_cmp_eq_u32_e32 vcc, 0, v1
	s_and_saveexec_b64 s[0:1], vcc
	s_cbranch_execz .LBB12_60
; %bb.59:
	v_mov_b32_e32 v1, 0
	ds_read_b64 v[3:4], v1
	ds_read_b32 v5, v1 offset:260
	s_waitcnt lgkmcnt(0)
	v_mul_f32_e32 v3, v3, v5
	v_mul_f32_e32 v3, v4, v3
	ds_write2_b32 v1, v3, v3 offset0:1 offset1:64
.LBB12_60:
	s_or_b64 exec, exec, s[0:1]
	v_lshl_add_u32 v4, v2, 6, v0
	v_and_b32_e32 v11, 1, v0
	v_lshrrev_b32_e32 v5, 1, v4
	v_lshlrev_b32_e32 v1, 2, v11
	v_cmp_lt_u32_e64 s[8:9], 3, v4
	v_cmp_gt_u32_e64 s[2:3], 4, v4
	v_lshl_or_b32 v1, v5, 8, v1
	v_mov_b32_e32 v6, 0
	s_waitcnt lgkmcnt(0)
	s_barrier
	s_and_saveexec_b64 s[0:1], s[2:3]
	s_cbranch_execz .LBB12_64
; %bb.61:
	v_mul_u32_u24_e32 v3, 0x104, v5
	ds_read_b32 v12, v1 offset:8
	ds_read_b32 v3, v3
	v_mov_b32_e32 v6, 0
	v_cmp_gt_u32_e64 s[10:11], 2, v4
	s_waitcnt lgkmcnt(0)
	v_fma_f32 v3, v12, v3, 0
	s_and_saveexec_b64 s[12:13], s[10:11]
	s_cbranch_execz .LBB12_63
; %bb.62:
	v_lshlrev_b32_e32 v12, 2, v0
	ds_read_b32 v12, v12 offset:264
	ds_read_b32 v6, v6 offset:4
	s_waitcnt lgkmcnt(0)
	v_fmac_f32_e32 v3, v12, v6
.LBB12_63:
	s_or_b64 exec, exec, s[12:13]
	v_xor_b32_e32 v6, 0x80000000, v3
.LBB12_64:
                                        ; implicit-def: $vgpr33 : SGPR spill to VGPR lane
	v_writelane_b32 v33, s31, 0
	s_or_b64 exec, exec, s[0:1]
	v_mov_b32_e32 v3, 0x4000
	v_cmp_eq_u32_e64 s[10:11], 0, v11
	s_xor_b64 s[0:1], s[8:9], -1
	v_lshl_add_u32 v3, v5, 2, v3
	s_and_b64 s[30:31], s[10:11], s[0:1]
	s_and_saveexec_b64 s[8:9], s[30:31]
	s_cbranch_execz .LBB12_66
; %bb.65:
	v_mov_b32_e32 v12, 0
	ds_read_b32 v12, v12 offset:520
	s_waitcnt lgkmcnt(0)
	v_mul_f32_e32 v6, v6, v12
	ds_write_b32 v3, v6
.LBB12_66:
	s_or_b64 exec, exec, s[8:9]
	v_cmp_ne_u32_e64 s[8:9], 0, v11
	s_and_b64 s[28:29], s[8:9], s[0:1]
	s_waitcnt lgkmcnt(0)
	s_barrier
	s_and_saveexec_b64 s[0:1], s[28:29]
	s_cbranch_execz .LBB12_68
; %bb.67:
	v_mov_b32_e32 v11, 0
	ds_read_b32 v11, v11 offset:524
	ds_read_b32 v12, v3
	s_waitcnt lgkmcnt(0)
	v_fmac_f32_e32 v6, v11, v12
.LBB12_68:
	s_or_b64 exec, exec, s[0:1]
	s_barrier
	s_and_saveexec_b64 s[0:1], s[28:29]
	s_cbranch_execz .LBB12_70
; %bb.69:
	v_mov_b32_e32 v11, 0
	ds_read_b32 v11, v11 offset:780
	s_waitcnt lgkmcnt(0)
	v_mul_f32_e32 v6, v6, v11
	ds_write_b32 v3, v6
.LBB12_70:
	s_or_b64 exec, exec, s[0:1]
	s_waitcnt lgkmcnt(0)
	s_barrier
	s_barrier
	s_and_saveexec_b64 s[0:1], s[2:3]
; %bb.71:
	v_xor_b32_e32 v6, 0x80000000, v6
	ds_write_b32 v1, v6 offset:8
; %bb.72:
	s_or_b64 exec, exec, s[0:1]
	v_cmp_eq_u32_e64 s[12:13], 0, v2
	v_cmp_gt_u32_e64 s[8:9], 2, v0
	s_and_b64 s[34:35], s[12:13], s[8:9]
	s_waitcnt lgkmcnt(0)
	s_barrier
	s_barrier
	s_and_saveexec_b64 s[0:1], s[34:35]
	s_cbranch_execz .LBB12_74
; %bb.73:
	v_lshlrev_b32_e32 v6, 2, v0
	s_movk_i32 s8, 0xfc
	v_mad_u32_u24 v11, v0, s8, v6
	ds_read_b32 v12, v11 offset:8
	s_waitcnt lgkmcnt(0)
	ds_write_b32 v6, v12 offset:512
	ds_read_b32 v11, v11 offset:12
	s_waitcnt lgkmcnt(0)
	ds_write_b32 v6, v11 offset:768
.LBB12_74:
	s_or_b64 exec, exec, s[0:1]
	s_waitcnt lgkmcnt(0)
	s_barrier
	s_and_saveexec_b64 s[0:1], vcc
	s_cbranch_execz .LBB12_76
; %bb.75:
	v_mov_b32_e32 v6, 0
	ds_read_b64 v[11:12], v6 offset:520
	ds_read_b32 v13, v6 offset:780
	s_waitcnt lgkmcnt(0)
	v_mul_f32_e32 v11, v11, v13
	v_mul_f32_e32 v11, v12, v11
	ds_write2_b32 v6, v11, v11 offset0:131 offset1:194
.LBB12_76:
	s_or_b64 exec, exec, s[0:1]
	v_and_b32_e32 v13, 3, v0
	v_lshrrev_b32_e32 v14, 2, v4
	v_lshlrev_b32_e32 v11, 2, v13
	v_cmp_lt_u32_e64 s[8:9], 15, v4
	v_cmp_gt_u32_e64 s[18:19], 16, v4
	v_lshl_or_b32 v6, v14, 8, v11
	v_mov_b32_e32 v15, 0
	s_waitcnt lgkmcnt(0)
	s_barrier
	s_and_saveexec_b64 s[0:1], s[18:19]
	s_cbranch_execz .LBB12_82
; %bb.77:
	v_mul_u32_u24_e32 v15, 0x104, v14
	ds_read_b32 v12, v6 offset:16
	ds_read_b32 v16, v15
	v_cmp_gt_u32_e64 s[10:11], 12, v4
	s_waitcnt lgkmcnt(0)
	v_fma_f32 v12, v12, v16, 0
	s_and_saveexec_b64 s[14:15], s[10:11]
	s_cbranch_execnz .LBB12_1205
; %bb.78:
	s_or_b64 exec, exec, s[14:15]
	v_cmp_gt_u32_e64 s[10:11], 8, v4
	s_and_saveexec_b64 s[14:15], s[10:11]
	s_cbranch_execnz .LBB12_1206
.LBB12_79:
	s_or_b64 exec, exec, s[14:15]
	v_cmp_gt_u32_e64 s[10:11], 4, v4
	s_and_saveexec_b64 s[14:15], s[10:11]
	s_cbranch_execz .LBB12_81
.LBB12_80:
	v_lshlrev_b32_e32 v15, 2, v0
	v_mov_b32_e32 v16, 0
	ds_read_b32 v15, v15 offset:784
	ds_read_b32 v16, v16 offset:12
	s_waitcnt lgkmcnt(0)
	v_fmac_f32_e32 v12, v15, v16
.LBB12_81:
	s_or_b64 exec, exec, s[14:15]
	v_xor_b32_e32 v15, 0x80000000, v12
.LBB12_82:
	v_writelane_b32 v33, s38, 1
	s_or_b64 exec, exec, s[0:1]
	v_mov_b32_e32 v12, 0x4000
	v_cmp_eq_u32_e64 s[10:11], 0, v13
	s_xor_b64 s[0:1], s[8:9], -1
	v_lshl_add_u32 v12, v14, 2, v12
	s_and_b64 s[38:39], s[10:11], s[0:1]
	s_and_saveexec_b64 s[8:9], s[38:39]
	s_cbranch_execz .LBB12_84
; %bb.83:
	v_mov_b32_e32 v16, 0
	ds_read_b32 v16, v16 offset:1040
	s_waitcnt lgkmcnt(0)
	v_mul_f32_e32 v15, v15, v16
	ds_write_b32 v12, v15
.LBB12_84:
	s_or_b64 exec, exec, s[8:9]
	v_cmp_ne_u32_e64 s[8:9], 0, v13
	s_and_b64 s[42:43], s[8:9], s[0:1]
	s_waitcnt lgkmcnt(0)
	s_barrier
	s_and_saveexec_b64 s[8:9], s[42:43]
	s_cbranch_execz .LBB12_86
; %bb.85:
	ds_read_b32 v16, v11 offset:1040
	ds_read_b32 v17, v12
	s_waitcnt lgkmcnt(0)
	v_fmac_f32_e32 v15, v16, v17
.LBB12_86:
	s_or_b64 exec, exec, s[8:9]
	v_cmp_eq_u32_e64 s[8:9], 1, v13
	s_and_b64 s[44:45], s[8:9], s[0:1]
	s_barrier
	s_and_saveexec_b64 s[8:9], s[44:45]
	s_cbranch_execz .LBB12_88
; %bb.87:
	v_mov_b32_e32 v16, 0
	ds_read_b32 v16, v16 offset:1300
	s_waitcnt lgkmcnt(0)
	v_mul_f32_e32 v15, v15, v16
	ds_write_b32 v12, v15
.LBB12_88:
	s_or_b64 exec, exec, s[8:9]
	v_cmp_lt_u32_e64 s[8:9], 1, v13
	s_and_b64 s[52:53], s[8:9], s[0:1]
	s_waitcnt lgkmcnt(0)
	s_barrier
	s_and_saveexec_b64 s[8:9], s[52:53]
	s_cbranch_execz .LBB12_90
; %bb.89:
	ds_read_b32 v16, v11 offset:1296
	ds_read_b32 v17, v12
	s_waitcnt lgkmcnt(0)
	v_fmac_f32_e32 v15, v16, v17
.LBB12_90:
	s_or_b64 exec, exec, s[8:9]
	v_cmp_eq_u32_e64 s[8:9], 2, v13
	s_and_b64 s[54:55], s[8:9], s[0:1]
	s_barrier
	s_and_saveexec_b64 s[8:9], s[54:55]
	s_cbranch_execz .LBB12_92
; %bb.91:
	v_mov_b32_e32 v16, 0
	ds_read_b32 v16, v16 offset:1560
	s_waitcnt lgkmcnt(0)
	v_mul_f32_e32 v15, v15, v16
	ds_write_b32 v12, v15
.LBB12_92:
	s_or_b64 exec, exec, s[8:9]
	v_cmp_eq_u32_e64 s[8:9], 3, v13
	s_and_b64 s[36:37], s[8:9], s[0:1]
	s_waitcnt lgkmcnt(0)
	s_barrier
	s_and_saveexec_b64 s[0:1], s[36:37]
	s_cbranch_execz .LBB12_94
; %bb.93:
	v_mov_b32_e32 v16, 0
	ds_read_b32 v16, v16 offset:1564
	ds_read_b32 v17, v12
	s_waitcnt lgkmcnt(0)
	v_fmac_f32_e32 v15, v16, v17
.LBB12_94:
	s_or_b64 exec, exec, s[0:1]
	s_barrier
	s_and_saveexec_b64 s[0:1], s[36:37]
	s_cbranch_execz .LBB12_96
; %bb.95:
	v_mov_b32_e32 v16, 0
	ds_read_b32 v16, v16 offset:1820
	s_waitcnt lgkmcnt(0)
	v_mul_f32_e32 v15, v15, v16
	ds_write_b32 v12, v15
.LBB12_96:
	s_or_b64 exec, exec, s[0:1]
	s_waitcnt lgkmcnt(0)
	s_barrier
	s_barrier
	s_and_saveexec_b64 s[0:1], s[18:19]
; %bb.97:
	v_xor_b32_e32 v15, 0x80000000, v15
	ds_write_b32 v6, v15 offset:16
; %bb.98:
	s_or_b64 exec, exec, s[0:1]
	v_cmp_gt_u32_e64 s[8:9], 4, v0
	s_and_b64 s[56:57], s[12:13], s[8:9]
	s_waitcnt lgkmcnt(0)
	s_barrier
	s_barrier
	s_and_saveexec_b64 s[0:1], s[56:57]
	s_cbranch_execz .LBB12_100
; %bb.99:
	v_lshlrev_b32_e32 v15, 8, v0
	ds_read_b32 v16, v15 offset:16
	s_movk_i32 s8, 0xff04
	v_mad_i32_i24 v17, v0, s8, v15
	s_waitcnt lgkmcnt(0)
	ds_write_b32 v17, v16 offset:1024
	ds_read_b32 v16, v15 offset:20
	s_waitcnt lgkmcnt(0)
	ds_write_b32 v17, v16 offset:1280
	ds_read_b32 v16, v15 offset:24
	;; [unrolled: 3-line block ×3, first 2 shown]
	s_waitcnt lgkmcnt(0)
	ds_write_b32 v17, v15 offset:1792
.LBB12_100:
	s_or_b64 exec, exec, s[0:1]
	s_waitcnt lgkmcnt(0)
	s_barrier
	s_and_saveexec_b64 s[0:1], vcc
	s_cbranch_execz .LBB12_102
; %bb.101:
	v_mov_b32_e32 v17, 0
	ds_read_b64 v[15:16], v17 offset:1040
	ds_read_b32 v17, v17 offset:1300
	s_movk_i32 s8, 0x400
	s_waitcnt lgkmcnt(0)
	v_mul_f32_e32 v15, v15, v17
	v_mul_f32_e32 v15, v16, v15
	v_add_u32_e64 v16, s8, 0
	ds_write2_b32 v16, v15, v15 offset0:5 offset1:68
.LBB12_102:
	s_or_b64 exec, exec, s[0:1]
	v_mov_b32_e32 v15, 0
	s_waitcnt lgkmcnt(0)
	s_barrier
	s_and_saveexec_b64 s[0:1], s[2:3]
	s_cbranch_execz .LBB12_106
; %bb.103:
	v_mul_u32_u24_e32 v15, 0x104, v5
	ds_read_b32 v17, v1 offset:1048
	ds_read_b32 v15, v15 offset:1040
	v_mov_b32_e32 v16, 0
	v_cmp_gt_u32_e64 s[8:9], 2, v4
	s_waitcnt lgkmcnt(0)
	v_fma_f32 v15, v17, v15, 0
	s_and_saveexec_b64 s[10:11], s[8:9]
	s_cbranch_execz .LBB12_105
; %bb.104:
	v_lshlrev_b32_e32 v17, 2, v0
	ds_read_b32 v17, v17 offset:1304
	ds_read_b32 v16, v16 offset:1044
	s_waitcnt lgkmcnt(0)
	v_fmac_f32_e32 v15, v17, v16
.LBB12_105:
	s_or_b64 exec, exec, s[10:11]
	v_xor_b32_e32 v15, 0x80000000, v15
.LBB12_106:
	s_or_b64 exec, exec, s[0:1]
	s_and_saveexec_b64 s[0:1], s[30:31]
	s_cbranch_execz .LBB12_108
; %bb.107:
	v_mov_b32_e32 v16, 0
	ds_read_b32 v16, v16 offset:1560
	s_waitcnt lgkmcnt(0)
	v_mul_f32_e32 v15, v15, v16
	ds_write_b32 v3, v15
.LBB12_108:
	s_or_b64 exec, exec, s[0:1]
	s_waitcnt lgkmcnt(0)
	s_barrier
	s_and_saveexec_b64 s[0:1], s[28:29]
	s_cbranch_execz .LBB12_110
; %bb.109:
	v_mov_b32_e32 v16, 0
	ds_read_b32 v16, v16 offset:1564
	ds_read_b32 v17, v3
	s_waitcnt lgkmcnt(0)
	v_fmac_f32_e32 v15, v16, v17
.LBB12_110:
	s_or_b64 exec, exec, s[0:1]
	s_barrier
	s_and_saveexec_b64 s[0:1], s[28:29]
	s_cbranch_execz .LBB12_112
; %bb.111:
	v_mov_b32_e32 v16, 0
	ds_read_b32 v16, v16 offset:1820
	s_waitcnt lgkmcnt(0)
	v_mul_f32_e32 v15, v15, v16
	ds_write_b32 v3, v15
.LBB12_112:
	s_or_b64 exec, exec, s[0:1]
	s_waitcnt lgkmcnt(0)
	s_barrier
	s_barrier
	s_and_saveexec_b64 s[0:1], s[2:3]
; %bb.113:
	v_xor_b32_e32 v15, 0x80000000, v15
	ds_write_b32 v1, v15 offset:1048
; %bb.114:
	s_or_b64 exec, exec, s[0:1]
	s_waitcnt lgkmcnt(0)
	s_barrier
	s_barrier
	s_and_saveexec_b64 s[0:1], s[34:35]
	s_cbranch_execz .LBB12_116
; %bb.115:
	v_lshlrev_b32_e32 v15, 2, v0
	s_movk_i32 s8, 0xfc
	v_mad_u32_u24 v16, v0, s8, v15
	ds_read_b32 v17, v16 offset:1048
	s_waitcnt lgkmcnt(0)
	ds_write_b32 v15, v17 offset:1552
	ds_read_b32 v16, v16 offset:1052
	s_waitcnt lgkmcnt(0)
	ds_write_b32 v15, v16 offset:1808
.LBB12_116:
	s_or_b64 exec, exec, s[0:1]
	s_waitcnt lgkmcnt(0)
	s_barrier
	s_and_saveexec_b64 s[0:1], vcc
	s_cbranch_execz .LBB12_118
; %bb.117:
	v_mov_b32_e32 v17, 0
	ds_read_b64 v[15:16], v17 offset:1560
	ds_read_b32 v17, v17 offset:1820
	s_movk_i32 s8, 0x400
	s_waitcnt lgkmcnt(0)
	v_mul_f32_e32 v15, v15, v17
	v_mul_f32_e32 v15, v16, v15
	v_add_u32_e64 v16, s8, 0
	ds_write2_b32 v16, v15, v15 offset0:135 offset1:198
.LBB12_118:
	s_or_b64 exec, exec, s[0:1]
	v_and_b32_e32 v18, 7, v0
	v_lshrrev_b32_e32 v19, 3, v4
	v_lshlrev_b32_e32 v16, 2, v18
	v_cmp_lt_u32_e64 s[10:11], 63, v4
	v_cmp_gt_u32_e64 s[8:9], 64, v4
	v_lshl_or_b32 v15, v19, 8, v16
	v_mov_b32_e32 v20, 0
	s_waitcnt lgkmcnt(0)
	s_barrier
	s_and_saveexec_b64 s[0:1], s[8:9]
	s_cbranch_execz .LBB12_128
; %bb.119:
	v_mul_u32_u24_e32 v20, 0x104, v19
	ds_read_b32 v17, v15 offset:32
	ds_read_b32 v21, v20
	v_cmp_gt_u32_e64 s[14:15], 56, v4
	s_waitcnt lgkmcnt(0)
	v_fma_f32 v17, v17, v21, 0
	s_and_saveexec_b64 s[16:17], s[14:15]
	s_cbranch_execnz .LBB12_1207
; %bb.120:
	s_or_b64 exec, exec, s[16:17]
	v_cmp_gt_u32_e64 s[14:15], 48, v4
	s_and_saveexec_b64 s[16:17], s[14:15]
	s_cbranch_execnz .LBB12_1208
.LBB12_121:
	s_or_b64 exec, exec, s[16:17]
	v_cmp_gt_u32_e64 s[14:15], 40, v4
	s_and_saveexec_b64 s[16:17], s[14:15]
	s_cbranch_execnz .LBB12_1209
.LBB12_122:
	s_or_b64 exec, exec, s[16:17]
	v_cmp_gt_u32_e64 s[14:15], 32, v4
	s_and_saveexec_b64 s[16:17], s[14:15]
	s_cbranch_execnz .LBB12_1210
.LBB12_123:
	s_or_b64 exec, exec, s[16:17]
	v_cmp_gt_u32_e64 s[14:15], 24, v4
	s_and_saveexec_b64 s[16:17], s[14:15]
	s_cbranch_execnz .LBB12_1211
.LBB12_124:
	s_or_b64 exec, exec, s[16:17]
	v_cmp_gt_u32_e64 s[14:15], 16, v4
	s_and_saveexec_b64 s[16:17], s[14:15]
	s_cbranch_execnz .LBB12_1212
.LBB12_125:
	s_or_b64 exec, exec, s[16:17]
	v_cmp_gt_u32_e64 s[14:15], 8, v4
	s_and_saveexec_b64 s[16:17], s[14:15]
	s_cbranch_execz .LBB12_127
.LBB12_126:
	v_lshlrev_b32_e32 v20, 2, v0
	v_mov_b32_e32 v21, 0
	ds_read_b32 v20, v20 offset:1824
	ds_read_b32 v21, v21 offset:28
	s_waitcnt lgkmcnt(0)
	v_fmac_f32_e32 v17, v20, v21
.LBB12_127:
	s_or_b64 exec, exec, s[16:17]
	v_xor_b32_e32 v20, 0x80000000, v17
.LBB12_128:
	v_writelane_b32 v33, s58, 2
	v_writelane_b32 v33, s59, 3
	s_or_b64 exec, exec, s[0:1]
	v_mov_b32_e32 v17, 0x4000
	v_cmp_eq_u32_e64 s[14:15], 0, v18
	s_xor_b64 s[0:1], s[10:11], -1
	v_lshl_add_u32 v17, v19, 2, v17
	s_and_b64 s[58:59], s[14:15], s[0:1]
	s_and_saveexec_b64 s[10:11], s[58:59]
	s_cbranch_execz .LBB12_130
; %bb.129:
	v_mov_b32_e32 v21, 0
	ds_read_b32 v21, v21 offset:2080
	s_waitcnt lgkmcnt(0)
	v_mul_f32_e32 v20, v20, v21
	ds_write_b32 v17, v20
.LBB12_130:
	s_or_b64 exec, exec, s[10:11]
	v_cmp_ne_u32_e64 s[10:11], 0, v18
	s_and_b64 s[60:61], s[10:11], s[0:1]
	s_waitcnt lgkmcnt(0)
	s_barrier
	s_and_saveexec_b64 s[10:11], s[60:61]
	s_cbranch_execz .LBB12_132
; %bb.131:
	ds_read_b32 v21, v16 offset:2080
	ds_read_b32 v22, v17
	s_waitcnt lgkmcnt(0)
	v_fmac_f32_e32 v20, v21, v22
.LBB12_132:
	s_or_b64 exec, exec, s[10:11]
	v_cmp_eq_u32_e64 s[10:11], 1, v18
	s_and_b64 s[62:63], s[10:11], s[0:1]
	s_barrier
	s_and_saveexec_b64 s[10:11], s[62:63]
	s_cbranch_execz .LBB12_134
; %bb.133:
	v_mov_b32_e32 v21, 0
	ds_read_b32 v21, v21 offset:2340
	s_waitcnt lgkmcnt(0)
	v_mul_f32_e32 v20, v20, v21
	ds_write_b32 v17, v20
.LBB12_134:
	s_or_b64 exec, exec, s[10:11]
	v_cmp_lt_u32_e64 s[10:11], 1, v18
	s_and_b64 s[64:65], s[10:11], s[0:1]
	s_waitcnt lgkmcnt(0)
	s_barrier
	s_and_saveexec_b64 s[10:11], s[64:65]
	s_cbranch_execz .LBB12_136
; %bb.135:
	ds_read_b32 v21, v16 offset:2336
	ds_read_b32 v22, v17
	s_waitcnt lgkmcnt(0)
	v_fmac_f32_e32 v20, v21, v22
.LBB12_136:
	s_or_b64 exec, exec, s[10:11]
	v_cmp_eq_u32_e64 s[10:11], 2, v18
	s_and_b64 s[68:69], s[10:11], s[0:1]
	s_barrier
	s_and_saveexec_b64 s[10:11], s[68:69]
	s_cbranch_execz .LBB12_138
; %bb.137:
	v_mov_b32_e32 v21, 0
	ds_read_b32 v21, v21 offset:2600
	s_waitcnt lgkmcnt(0)
	v_mul_f32_e32 v20, v20, v21
	ds_write_b32 v17, v20
.LBB12_138:
	s_or_b64 exec, exec, s[10:11]
	v_cmp_lt_u32_e64 s[10:11], 2, v18
	;; [unrolled: 26-line block ×5, first 2 shown]
	s_and_b64 s[82:83], s[10:11], s[0:1]
	s_waitcnt lgkmcnt(0)
	s_barrier
	s_and_saveexec_b64 s[10:11], s[82:83]
	s_cbranch_execz .LBB12_152
; %bb.151:
	ds_read_b32 v21, v16 offset:3360
	ds_read_b32 v22, v17
	s_waitcnt lgkmcnt(0)
	v_fmac_f32_e32 v20, v21, v22
.LBB12_152:
	s_or_b64 exec, exec, s[10:11]
	v_cmp_eq_u32_e64 s[10:11], 6, v18
	s_and_b64 s[84:85], s[10:11], s[0:1]
	s_barrier
	s_and_saveexec_b64 s[10:11], s[84:85]
	s_cbranch_execz .LBB12_154
; %bb.153:
	v_mov_b32_e32 v21, 0
	ds_read_b32 v21, v21 offset:3640
	s_waitcnt lgkmcnt(0)
	v_mul_f32_e32 v20, v20, v21
	ds_write_b32 v17, v20
.LBB12_154:
	s_or_b64 exec, exec, s[10:11]
	v_cmp_eq_u32_e64 s[10:11], 7, v18
	s_and_b64 s[66:67], s[10:11], s[0:1]
	s_waitcnt lgkmcnt(0)
	s_barrier
	s_and_saveexec_b64 s[0:1], s[66:67]
	s_cbranch_execz .LBB12_156
; %bb.155:
	v_mov_b32_e32 v21, 0
	ds_read_b32 v21, v21 offset:3644
	ds_read_b32 v22, v17
	s_waitcnt lgkmcnt(0)
	v_fmac_f32_e32 v20, v21, v22
.LBB12_156:
	s_or_b64 exec, exec, s[0:1]
	s_barrier
	s_and_saveexec_b64 s[0:1], s[66:67]
	s_cbranch_execz .LBB12_158
; %bb.157:
	v_mov_b32_e32 v21, 0
	ds_read_b32 v21, v21 offset:3900
	s_waitcnt lgkmcnt(0)
	v_mul_f32_e32 v20, v20, v21
	ds_write_b32 v17, v20
.LBB12_158:
	s_or_b64 exec, exec, s[0:1]
	s_waitcnt lgkmcnt(0)
	s_barrier
	s_barrier
	s_and_saveexec_b64 s[0:1], s[8:9]
; %bb.159:
	v_xor_b32_e32 v20, 0x80000000, v20
	ds_write_b32 v15, v20 offset:32
; %bb.160:
	s_or_b64 exec, exec, s[0:1]
	v_cmp_gt_u32_e64 s[10:11], 8, v0
	s_and_b64 s[86:87], s[12:13], s[10:11]
	s_waitcnt lgkmcnt(0)
	s_barrier
	s_barrier
	s_and_saveexec_b64 s[0:1], s[86:87]
	s_cbranch_execz .LBB12_162
; %bb.161:
	v_lshlrev_b32_e32 v20, 8, v0
	ds_read_b32 v21, v20 offset:32
	s_movk_i32 s10, 0xff04
	v_mad_i32_i24 v22, v0, s10, v20
	s_waitcnt lgkmcnt(0)
	ds_write_b32 v22, v21 offset:2048
	ds_read_b32 v21, v20 offset:36
	s_waitcnt lgkmcnt(0)
	ds_write_b32 v22, v21 offset:2304
	ds_read_b32 v21, v20 offset:40
	;; [unrolled: 3-line block ×7, first 2 shown]
	s_waitcnt lgkmcnt(0)
	ds_write_b32 v22, v20 offset:3840
.LBB12_162:
	s_or_b64 exec, exec, s[0:1]
	s_waitcnt lgkmcnt(0)
	s_barrier
	s_and_saveexec_b64 s[0:1], vcc
	s_cbranch_execz .LBB12_164
; %bb.163:
	v_mov_b32_e32 v22, 0
	ds_read_b64 v[20:21], v22 offset:2080
	ds_read_b32 v22, v22 offset:2340
	s_movk_i32 s10, 0x800
	s_waitcnt lgkmcnt(0)
	v_mul_f32_e32 v20, v20, v22
	v_mul_f32_e32 v20, v21, v20
	v_add_u32_e64 v21, s10, 0
	ds_write2_b32 v21, v20, v20 offset0:9 offset1:72
.LBB12_164:
	s_or_b64 exec, exec, s[0:1]
	v_mov_b32_e32 v20, 0
	s_waitcnt lgkmcnt(0)
	s_barrier
	s_and_saveexec_b64 s[0:1], s[2:3]
	s_cbranch_execz .LBB12_168
; %bb.165:
	v_mul_u32_u24_e32 v20, 0x104, v5
	ds_read_b32 v22, v1 offset:2088
	ds_read_b32 v20, v20 offset:2080
	v_mov_b32_e32 v21, 0
	v_cmp_gt_u32_e64 s[10:11], 2, v4
	s_waitcnt lgkmcnt(0)
	v_fma_f32 v20, v22, v20, 0
	s_and_saveexec_b64 s[14:15], s[10:11]
	s_cbranch_execz .LBB12_167
; %bb.166:
	v_lshlrev_b32_e32 v22, 2, v0
	ds_read_b32 v22, v22 offset:2344
	ds_read_b32 v21, v21 offset:2084
	s_waitcnt lgkmcnt(0)
	v_fmac_f32_e32 v20, v22, v21
.LBB12_167:
	s_or_b64 exec, exec, s[14:15]
	v_xor_b32_e32 v20, 0x80000000, v20
.LBB12_168:
	s_or_b64 exec, exec, s[0:1]
	s_and_saveexec_b64 s[0:1], s[30:31]
	s_cbranch_execz .LBB12_170
; %bb.169:
	v_mov_b32_e32 v21, 0
	ds_read_b32 v21, v21 offset:2600
	s_waitcnt lgkmcnt(0)
	v_mul_f32_e32 v20, v20, v21
	ds_write_b32 v3, v20
.LBB12_170:
	s_or_b64 exec, exec, s[0:1]
	s_waitcnt lgkmcnt(0)
	s_barrier
	s_and_saveexec_b64 s[0:1], s[28:29]
	s_cbranch_execz .LBB12_172
; %bb.171:
	v_mov_b32_e32 v21, 0
	ds_read_b32 v21, v21 offset:2604
	ds_read_b32 v22, v3
	s_waitcnt lgkmcnt(0)
	v_fmac_f32_e32 v20, v21, v22
.LBB12_172:
	s_or_b64 exec, exec, s[0:1]
	s_barrier
	s_and_saveexec_b64 s[0:1], s[28:29]
	s_cbranch_execz .LBB12_174
; %bb.173:
	v_mov_b32_e32 v21, 0
	ds_read_b32 v21, v21 offset:2860
	s_waitcnt lgkmcnt(0)
	v_mul_f32_e32 v20, v20, v21
	ds_write_b32 v3, v20
.LBB12_174:
	s_or_b64 exec, exec, s[0:1]
	s_waitcnt lgkmcnt(0)
	s_barrier
	s_barrier
	s_and_saveexec_b64 s[0:1], s[2:3]
; %bb.175:
	v_xor_b32_e32 v20, 0x80000000, v20
	ds_write_b32 v1, v20 offset:2088
; %bb.176:
	s_or_b64 exec, exec, s[0:1]
	s_waitcnt lgkmcnt(0)
	s_barrier
	s_barrier
	s_and_saveexec_b64 s[0:1], s[34:35]
	s_cbranch_execz .LBB12_178
; %bb.177:
	v_lshlrev_b32_e32 v20, 2, v0
	s_movk_i32 s10, 0xfc
	v_mad_u32_u24 v21, v0, s10, v20
	ds_read_b32 v22, v21 offset:2088
	s_waitcnt lgkmcnt(0)
	ds_write_b32 v20, v22 offset:2592
	ds_read_b32 v21, v21 offset:2092
	s_waitcnt lgkmcnt(0)
	ds_write_b32 v20, v21 offset:2848
.LBB12_178:
	s_or_b64 exec, exec, s[0:1]
	s_waitcnt lgkmcnt(0)
	s_barrier
	s_and_saveexec_b64 s[0:1], vcc
	s_cbranch_execz .LBB12_180
; %bb.179:
	v_mov_b32_e32 v22, 0
	ds_read_b64 v[20:21], v22 offset:2600
	ds_read_b32 v22, v22 offset:2860
	s_movk_i32 s10, 0x800
	s_waitcnt lgkmcnt(0)
	v_mul_f32_e32 v20, v20, v22
	v_mul_f32_e32 v20, v21, v20
	v_add_u32_e64 v21, s10, 0
	ds_write2_b32 v21, v20, v20 offset0:139 offset1:202
.LBB12_180:
	s_or_b64 exec, exec, s[0:1]
	v_mov_b32_e32 v20, 0
	s_waitcnt lgkmcnt(0)
	s_barrier
	s_and_saveexec_b64 s[0:1], s[18:19]
	s_cbranch_execz .LBB12_186
; %bb.181:
	v_mul_u32_u24_e32 v21, 0x104, v14
	ds_read_b32 v20, v6 offset:2096
	ds_read_b32 v22, v21 offset:2080
	v_cmp_gt_u32_e64 s[10:11], 12, v4
	s_waitcnt lgkmcnt(0)
	v_fma_f32 v20, v20, v22, 0
	s_and_saveexec_b64 s[14:15], s[10:11]
	s_cbranch_execnz .LBB12_1213
; %bb.182:
	s_or_b64 exec, exec, s[14:15]
	v_cmp_gt_u32_e64 s[10:11], 8, v4
	s_and_saveexec_b64 s[14:15], s[10:11]
	s_cbranch_execnz .LBB12_1214
.LBB12_183:
	s_or_b64 exec, exec, s[14:15]
	v_cmp_gt_u32_e64 s[10:11], 4, v4
	s_and_saveexec_b64 s[14:15], s[10:11]
	s_cbranch_execz .LBB12_185
.LBB12_184:
	v_lshlrev_b32_e32 v21, 2, v0
	v_mov_b32_e32 v22, 0
	ds_read_b32 v21, v21 offset:2864
	ds_read_b32 v22, v22 offset:2092
	s_waitcnt lgkmcnt(0)
	v_fmac_f32_e32 v20, v21, v22
.LBB12_185:
	s_or_b64 exec, exec, s[14:15]
	v_xor_b32_e32 v20, 0x80000000, v20
.LBB12_186:
	s_or_b64 exec, exec, s[0:1]
	s_and_saveexec_b64 s[0:1], s[38:39]
	s_cbranch_execz .LBB12_188
; %bb.187:
	v_mov_b32_e32 v21, 0
	ds_read_b32 v21, v21 offset:3120
	s_waitcnt lgkmcnt(0)
	v_mul_f32_e32 v20, v20, v21
	ds_write_b32 v12, v20
.LBB12_188:
	s_or_b64 exec, exec, s[0:1]
	s_waitcnt lgkmcnt(0)
	s_barrier
	s_and_saveexec_b64 s[0:1], s[42:43]
	s_cbranch_execz .LBB12_190
; %bb.189:
	ds_read_b32 v21, v11 offset:3120
	ds_read_b32 v22, v12
	s_waitcnt lgkmcnt(0)
	v_fmac_f32_e32 v20, v21, v22
.LBB12_190:
	s_or_b64 exec, exec, s[0:1]
	s_barrier
	s_and_saveexec_b64 s[0:1], s[44:45]
	s_cbranch_execz .LBB12_192
; %bb.191:
	v_mov_b32_e32 v21, 0
	ds_read_b32 v21, v21 offset:3380
	s_waitcnt lgkmcnt(0)
	v_mul_f32_e32 v20, v20, v21
	ds_write_b32 v12, v20
.LBB12_192:
	s_or_b64 exec, exec, s[0:1]
	s_waitcnt lgkmcnt(0)
	s_barrier
	s_and_saveexec_b64 s[0:1], s[52:53]
	s_cbranch_execz .LBB12_194
; %bb.193:
	ds_read_b32 v21, v11 offset:3376
	ds_read_b32 v22, v12
	s_waitcnt lgkmcnt(0)
	v_fmac_f32_e32 v20, v21, v22
.LBB12_194:
	s_or_b64 exec, exec, s[0:1]
	s_barrier
	s_and_saveexec_b64 s[0:1], s[54:55]
	s_cbranch_execz .LBB12_196
; %bb.195:
	v_mov_b32_e32 v21, 0
	ds_read_b32 v21, v21 offset:3640
	s_waitcnt lgkmcnt(0)
	v_mul_f32_e32 v20, v20, v21
	ds_write_b32 v12, v20
.LBB12_196:
	s_or_b64 exec, exec, s[0:1]
	s_waitcnt lgkmcnt(0)
	s_barrier
	s_and_saveexec_b64 s[0:1], s[36:37]
	s_cbranch_execz .LBB12_198
; %bb.197:
	v_mov_b32_e32 v21, 0
	ds_read_b32 v21, v21 offset:3644
	ds_read_b32 v22, v12
	s_waitcnt lgkmcnt(0)
	v_fmac_f32_e32 v20, v21, v22
.LBB12_198:
	s_or_b64 exec, exec, s[0:1]
	s_barrier
	s_and_saveexec_b64 s[0:1], s[36:37]
	s_cbranch_execz .LBB12_200
; %bb.199:
	v_mov_b32_e32 v21, 0
	ds_read_b32 v21, v21 offset:3900
	s_waitcnt lgkmcnt(0)
	v_mul_f32_e32 v20, v20, v21
	ds_write_b32 v12, v20
.LBB12_200:
	s_or_b64 exec, exec, s[0:1]
	s_waitcnt lgkmcnt(0)
	s_barrier
	s_barrier
	s_and_saveexec_b64 s[0:1], s[18:19]
; %bb.201:
	v_xor_b32_e32 v20, 0x80000000, v20
	ds_write_b32 v6, v20 offset:2096
; %bb.202:
	s_or_b64 exec, exec, s[0:1]
	s_waitcnt lgkmcnt(0)
	s_barrier
	s_barrier
	s_and_saveexec_b64 s[0:1], s[56:57]
	s_cbranch_execz .LBB12_204
; %bb.203:
	v_lshlrev_b32_e32 v20, 8, v0
	ds_read_b32 v21, v20 offset:2096
	s_movk_i32 s10, 0xff04
	v_mad_i32_i24 v22, v0, s10, v20
	s_waitcnt lgkmcnt(0)
	ds_write_b32 v22, v21 offset:3104
	ds_read_b32 v21, v20 offset:2100
	s_waitcnt lgkmcnt(0)
	ds_write_b32 v22, v21 offset:3360
	ds_read_b32 v21, v20 offset:2104
	;; [unrolled: 3-line block ×3, first 2 shown]
	s_waitcnt lgkmcnt(0)
	ds_write_b32 v22, v20 offset:3872
.LBB12_204:
	s_or_b64 exec, exec, s[0:1]
	s_waitcnt lgkmcnt(0)
	s_barrier
	s_and_saveexec_b64 s[0:1], vcc
	s_cbranch_execz .LBB12_206
; %bb.205:
	v_mov_b32_e32 v22, 0
	ds_read_b64 v[20:21], v22 offset:3120
	ds_read_b32 v22, v22 offset:3380
	s_movk_i32 s10, 0xc00
	s_waitcnt lgkmcnt(0)
	v_mul_f32_e32 v20, v20, v22
	v_mul_f32_e32 v20, v21, v20
	v_add_u32_e64 v21, s10, 0
	ds_write2_b32 v21, v20, v20 offset0:13 offset1:76
.LBB12_206:
	s_or_b64 exec, exec, s[0:1]
	v_mov_b32_e32 v20, 0
	s_waitcnt lgkmcnt(0)
	s_barrier
	s_and_saveexec_b64 s[0:1], s[2:3]
	s_cbranch_execz .LBB12_210
; %bb.207:
	v_mul_u32_u24_e32 v20, 0x104, v5
	ds_read_b32 v22, v1 offset:3128
	ds_read_b32 v20, v20 offset:3120
	v_mov_b32_e32 v21, 0
	v_cmp_gt_u32_e64 s[10:11], 2, v4
	s_waitcnt lgkmcnt(0)
	v_fma_f32 v20, v22, v20, 0
	s_and_saveexec_b64 s[14:15], s[10:11]
	s_cbranch_execz .LBB12_209
; %bb.208:
	v_lshlrev_b32_e32 v22, 2, v0
	ds_read_b32 v22, v22 offset:3384
	ds_read_b32 v21, v21 offset:3124
	s_waitcnt lgkmcnt(0)
	v_fmac_f32_e32 v20, v22, v21
.LBB12_209:
	s_or_b64 exec, exec, s[14:15]
	v_xor_b32_e32 v20, 0x80000000, v20
.LBB12_210:
	s_or_b64 exec, exec, s[0:1]
	s_and_saveexec_b64 s[0:1], s[30:31]
	s_cbranch_execz .LBB12_212
; %bb.211:
	v_mov_b32_e32 v21, 0
	ds_read_b32 v21, v21 offset:3640
	s_waitcnt lgkmcnt(0)
	v_mul_f32_e32 v20, v20, v21
	ds_write_b32 v3, v20
.LBB12_212:
	s_or_b64 exec, exec, s[0:1]
	s_waitcnt lgkmcnt(0)
	s_barrier
	s_and_saveexec_b64 s[0:1], s[28:29]
	s_cbranch_execz .LBB12_214
; %bb.213:
	v_mov_b32_e32 v21, 0
	ds_read_b32 v21, v21 offset:3644
	ds_read_b32 v22, v3
	s_waitcnt lgkmcnt(0)
	v_fmac_f32_e32 v20, v21, v22
.LBB12_214:
	s_or_b64 exec, exec, s[0:1]
	s_barrier
	s_and_saveexec_b64 s[0:1], s[28:29]
	s_cbranch_execz .LBB12_216
; %bb.215:
	v_mov_b32_e32 v21, 0
	ds_read_b32 v21, v21 offset:3900
	s_waitcnt lgkmcnt(0)
	v_mul_f32_e32 v20, v20, v21
	ds_write_b32 v3, v20
.LBB12_216:
	s_or_b64 exec, exec, s[0:1]
	s_waitcnt lgkmcnt(0)
	s_barrier
	s_barrier
	s_and_saveexec_b64 s[0:1], s[2:3]
; %bb.217:
	v_xor_b32_e32 v20, 0x80000000, v20
	ds_write_b32 v1, v20 offset:3128
; %bb.218:
	s_or_b64 exec, exec, s[0:1]
	s_waitcnt lgkmcnt(0)
	s_barrier
	s_barrier
	s_and_saveexec_b64 s[0:1], s[34:35]
	s_cbranch_execz .LBB12_220
; %bb.219:
	v_lshlrev_b32_e32 v20, 2, v0
	s_movk_i32 s10, 0xfc
	v_mad_u32_u24 v21, v0, s10, v20
	ds_read_b32 v22, v21 offset:3128
	s_waitcnt lgkmcnt(0)
	ds_write_b32 v20, v22 offset:3632
	ds_read_b32 v21, v21 offset:3132
	s_waitcnt lgkmcnt(0)
	ds_write_b32 v20, v21 offset:3888
.LBB12_220:
	s_or_b64 exec, exec, s[0:1]
	s_waitcnt lgkmcnt(0)
	s_barrier
	s_and_saveexec_b64 s[0:1], vcc
	s_cbranch_execz .LBB12_222
; %bb.221:
	v_mov_b32_e32 v22, 0
	ds_read_b64 v[20:21], v22 offset:3640
	ds_read_b32 v22, v22 offset:3900
	s_movk_i32 s10, 0xc00
	s_waitcnt lgkmcnt(0)
	v_mul_f32_e32 v20, v20, v22
	v_mul_f32_e32 v20, v21, v20
	v_add_u32_e64 v21, s10, 0
	ds_write2_b32 v21, v20, v20 offset0:143 offset1:206
.LBB12_222:
	s_or_b64 exec, exec, s[0:1]
	v_lshrrev_b32_e32 v24, 4, v4
	v_and_b32_e32 v21, 15, v0
	s_movk_i32 s0, 0xff
	v_lshlrev_b32_e32 v23, 6, v24
	v_cmp_lt_u32_e64 s[14:15], s0, v4
	s_movk_i32 s0, 0x100
	v_or_b32_e32 v20, v23, v21
	v_cmp_gt_u32_e64 s[10:11], s0, v4
	v_lshlrev_b32_e32 v20, 2, v20
	v_mov_b32_e32 v25, 0
	s_waitcnt lgkmcnt(0)
	s_barrier
	s_and_saveexec_b64 s[0:1], s[10:11]
	s_cbranch_execz .LBB12_250
; %bb.223:
	v_mul_u32_u24_e32 v25, 0x104, v24
	ds_read_b32 v22, v20 offset:64
	ds_read_b32 v26, v25
	s_movk_i32 s16, 0xf0
	v_cmp_gt_u32_e64 s[16:17], s16, v4
	s_waitcnt lgkmcnt(0)
	v_fma_f32 v22, v22, v26, 0
	s_and_saveexec_b64 s[20:21], s[16:17]
	s_cbranch_execz .LBB12_225
; %bb.224:
	v_lshlrev_b32_e32 v26, 2, v24
	v_sub_u32_e32 v26, v25, v26
	v_lshl_add_u32 v26, v21, 2, v26
	ds_read_b32 v26, v26 offset:320
	ds_read_b32 v27, v25 offset:4
	s_waitcnt lgkmcnt(0)
	v_fmac_f32_e32 v22, v26, v27
.LBB12_225:
	s_or_b64 exec, exec, s[20:21]
	s_movk_i32 s16, 0xe0
	v_cmp_gt_u32_e64 s[16:17], s16, v4
	s_and_saveexec_b64 s[20:21], s[16:17]
	s_cbranch_execz .LBB12_227
; %bb.226:
	v_lshlrev_b32_e32 v26, 2, v24
	v_sub_u32_e32 v26, v25, v26
	v_lshl_add_u32 v26, v21, 2, v26
	ds_read_b32 v26, v26 offset:576
	ds_read_b32 v27, v25 offset:8
	s_waitcnt lgkmcnt(0)
	v_fmac_f32_e32 v22, v26, v27
.LBB12_227:
	s_or_b64 exec, exec, s[20:21]
	s_movk_i32 s16, 0xd0
	v_cmp_gt_u32_e64 s[16:17], s16, v4
	s_and_saveexec_b64 s[20:21], s[16:17]
	s_cbranch_execz .LBB12_229
; %bb.228:
	v_lshlrev_b32_e32 v26, 2, v24
	v_sub_u32_e32 v26, v25, v26
	v_lshl_add_u32 v26, v21, 2, v26
	ds_read_b32 v26, v26 offset:832
	ds_read_b32 v27, v25 offset:12
	s_waitcnt lgkmcnt(0)
	v_fmac_f32_e32 v22, v26, v27
.LBB12_229:
	s_or_b64 exec, exec, s[20:21]
	s_movk_i32 s16, 0xc0
	v_cmp_gt_u32_e64 s[16:17], s16, v4
	s_and_saveexec_b64 s[20:21], s[16:17]
	s_cbranch_execz .LBB12_231
; %bb.230:
	v_lshlrev_b32_e32 v26, 2, v24
	v_sub_u32_e32 v26, v25, v26
	v_lshl_add_u32 v26, v21, 2, v26
	ds_read_b32 v26, v26 offset:1088
	ds_read_b32 v27, v25 offset:16
	s_waitcnt lgkmcnt(0)
	v_fmac_f32_e32 v22, v26, v27
.LBB12_231:
	s_or_b64 exec, exec, s[20:21]
	s_movk_i32 s16, 0xb0
	v_cmp_gt_u32_e64 s[16:17], s16, v4
	s_and_saveexec_b64 s[20:21], s[16:17]
	s_cbranch_execz .LBB12_233
; %bb.232:
	v_lshlrev_b32_e32 v26, 2, v24
	v_sub_u32_e32 v26, v25, v26
	v_lshl_add_u32 v26, v21, 2, v26
	ds_read_b32 v26, v26 offset:1344
	ds_read_b32 v27, v25 offset:20
	s_waitcnt lgkmcnt(0)
	v_fmac_f32_e32 v22, v26, v27
.LBB12_233:
	s_or_b64 exec, exec, s[20:21]
	s_movk_i32 s16, 0xa0
	v_cmp_gt_u32_e64 s[16:17], s16, v4
	s_and_saveexec_b64 s[20:21], s[16:17]
	s_cbranch_execz .LBB12_235
; %bb.234:
	v_lshlrev_b32_e32 v26, 2, v24
	v_sub_u32_e32 v26, v25, v26
	v_lshl_add_u32 v26, v21, 2, v26
	ds_read_b32 v26, v26 offset:1600
	ds_read_b32 v27, v25 offset:24
	s_waitcnt lgkmcnt(0)
	v_fmac_f32_e32 v22, v26, v27
.LBB12_235:
	s_or_b64 exec, exec, s[20:21]
	s_movk_i32 s16, 0x90
	v_cmp_gt_u32_e64 s[16:17], s16, v4
	s_and_saveexec_b64 s[20:21], s[16:17]
	s_cbranch_execz .LBB12_237
; %bb.236:
	v_lshlrev_b32_e32 v26, 2, v24
	v_sub_u32_e32 v26, v25, v26
	v_lshl_add_u32 v26, v21, 2, v26
	ds_read_b32 v26, v26 offset:1856
	ds_read_b32 v27, v25 offset:28
	s_waitcnt lgkmcnt(0)
	v_fmac_f32_e32 v22, v26, v27
.LBB12_237:
	s_or_b64 exec, exec, s[20:21]
	s_movk_i32 s16, 0x80
	v_cmp_gt_u32_e64 s[16:17], s16, v4
	s_and_saveexec_b64 s[20:21], s[16:17]
	s_cbranch_execz .LBB12_239
; %bb.238:
	ds_read_b32 v26, v20 offset:2112
	ds_read_b32 v27, v25 offset:32
	s_waitcnt lgkmcnt(0)
	v_fmac_f32_e32 v22, v26, v27
.LBB12_239:
	s_or_b64 exec, exec, s[20:21]
	s_movk_i32 s16, 0x70
	v_cmp_gt_u32_e64 s[16:17], s16, v4
	s_and_saveexec_b64 s[20:21], s[16:17]
	s_cbranch_execz .LBB12_241
; %bb.240:
	v_lshlrev_b32_e32 v26, 2, v24
	v_sub_u32_e32 v26, v25, v26
	v_lshl_add_u32 v26, v21, 2, v26
	ds_read_b32 v26, v26 offset:2368
	ds_read_b32 v27, v25 offset:36
	s_waitcnt lgkmcnt(0)
	v_fmac_f32_e32 v22, v26, v27
.LBB12_241:
	s_or_b64 exec, exec, s[20:21]
	s_movk_i32 s16, 0x60
	v_cmp_gt_u32_e64 s[16:17], s16, v4
	s_and_saveexec_b64 s[20:21], s[16:17]
	s_cbranch_execz .LBB12_243
; %bb.242:
	v_lshlrev_b32_e32 v26, 2, v21
	v_lshl_add_u32 v26, v23, 2, v26
	ds_read_b32 v26, v26 offset:2624
	ds_read_b32 v27, v25 offset:40
	s_waitcnt lgkmcnt(0)
	v_fmac_f32_e32 v22, v26, v27
.LBB12_243:
	s_or_b64 exec, exec, s[20:21]
	s_movk_i32 s16, 0x50
	v_cmp_gt_u32_e64 s[16:17], s16, v4
	s_and_saveexec_b64 s[20:21], s[16:17]
	s_cbranch_execnz .LBB12_1215
; %bb.244:
	s_or_b64 exec, exec, s[20:21]
	v_cmp_gt_u32_e64 s[16:17], 64, v4
	s_and_saveexec_b64 s[20:21], s[16:17]
	s_cbranch_execnz .LBB12_1216
.LBB12_245:
	s_or_b64 exec, exec, s[20:21]
	v_cmp_gt_u32_e64 s[16:17], 48, v4
	s_and_saveexec_b64 s[20:21], s[16:17]
	s_cbranch_execnz .LBB12_1217
.LBB12_246:
	s_or_b64 exec, exec, s[20:21]
	v_cmp_gt_u32_e64 s[16:17], 32, v4
	s_and_saveexec_b64 s[20:21], s[16:17]
	s_cbranch_execnz .LBB12_1218
.LBB12_247:
	s_or_b64 exec, exec, s[20:21]
	v_cmp_gt_u32_e64 s[16:17], 16, v4
	s_and_saveexec_b64 s[20:21], s[16:17]
	s_cbranch_execz .LBB12_249
.LBB12_248:
	v_lshlrev_b32_e32 v25, 2, v0
	v_mov_b32_e32 v26, 0
	ds_read_b32 v25, v25 offset:3904
	ds_read_b32 v26, v26 offset:60
	s_waitcnt lgkmcnt(0)
	v_fmac_f32_e32 v22, v25, v26
.LBB12_249:
	s_or_b64 exec, exec, s[20:21]
	v_xor_b32_e32 v25, 0x80000000, v22
.LBB12_250:
	s_or_b64 exec, exec, s[0:1]
	v_mov_b32_e32 v22, 0x4000
	v_lshl_add_u32 v22, v24, 2, v22
	v_cmp_eq_u32_e64 s[16:17], 0, v21
	s_xor_b64 s[20:21], s[14:15], -1
	s_and_b64 s[14:15], s[16:17], s[20:21]
	s_mov_b64 s[0:1], exec
	v_writelane_b32 v33, s14, 4
	v_writelane_b32 v33, s15, 5
	s_and_b64 s[14:15], s[0:1], s[14:15]
	s_mov_b64 exec, s[14:15]
	s_cbranch_execz .LBB12_252
; %bb.251:
	v_mov_b32_e32 v26, 0
	ds_read_b32 v26, v26 offset:4160
	s_waitcnt lgkmcnt(0)
	v_mul_f32_e32 v25, v25, v26
	ds_write_b32 v22, v25
.LBB12_252:
	s_or_b64 exec, exec, s[0:1]
	v_cmp_ne_u32_e64 s[14:15], 0, v21
	s_waitcnt lgkmcnt(0)
	s_barrier
	s_and_b64 s[14:15], s[14:15], s[20:21]
	s_mov_b64 s[0:1], exec
	v_writelane_b32 v33, s14, 6
	v_writelane_b32 v33, s15, 7
	s_and_b64 s[14:15], s[0:1], s[14:15]
	s_mov_b64 exec, s[14:15]
	s_cbranch_execz .LBB12_254
; %bb.253:
	v_lshlrev_b32_e32 v26, 2, v21
	ds_read_b32 v26, v26 offset:4160
	ds_read_b32 v27, v22
	s_waitcnt lgkmcnt(0)
	v_fmac_f32_e32 v25, v26, v27
.LBB12_254:
	s_or_b64 exec, exec, s[0:1]
	v_cmp_eq_u32_e64 s[14:15], 1, v21
	s_barrier
	s_and_b64 s[14:15], s[14:15], s[20:21]
	s_mov_b64 s[0:1], exec
	v_writelane_b32 v33, s14, 8
	v_writelane_b32 v33, s15, 9
	s_and_b64 s[14:15], s[0:1], s[14:15]
	s_mov_b64 exec, s[14:15]
	s_cbranch_execz .LBB12_256
; %bb.255:
	v_mov_b32_e32 v26, 0
	ds_read_b32 v26, v26 offset:4420
	s_waitcnt lgkmcnt(0)
	v_mul_f32_e32 v25, v25, v26
	ds_write_b32 v22, v25
.LBB12_256:
	s_or_b64 exec, exec, s[0:1]
	v_cmp_lt_u32_e64 s[14:15], 1, v21
	s_waitcnt lgkmcnt(0)
	s_barrier
	s_and_b64 s[14:15], s[14:15], s[20:21]
	s_mov_b64 s[0:1], exec
	v_writelane_b32 v33, s14, 10
	v_writelane_b32 v33, s15, 11
	s_and_b64 s[14:15], s[0:1], s[14:15]
	s_mov_b64 exec, s[14:15]
	s_cbranch_execz .LBB12_258
; %bb.257:
	v_lshlrev_b32_e32 v26, 2, v21
	ds_read_b32 v26, v26 offset:4416
	ds_read_b32 v27, v22
	s_waitcnt lgkmcnt(0)
	v_fmac_f32_e32 v25, v26, v27
.LBB12_258:
	s_or_b64 exec, exec, s[0:1]
	v_cmp_eq_u32_e64 s[14:15], 2, v21
	s_barrier
	s_and_b64 s[14:15], s[14:15], s[20:21]
	s_mov_b64 s[0:1], exec
	v_writelane_b32 v33, s14, 12
	v_writelane_b32 v33, s15, 13
	s_and_b64 s[14:15], s[0:1], s[14:15]
	s_mov_b64 exec, s[14:15]
	s_cbranch_execz .LBB12_260
; %bb.259:
	v_mov_b32_e32 v26, 0
	ds_read_b32 v26, v26 offset:4680
	s_waitcnt lgkmcnt(0)
	v_mul_f32_e32 v25, v25, v26
	ds_write_b32 v22, v25
.LBB12_260:
	s_or_b64 exec, exec, s[0:1]
	v_cmp_lt_u32_e64 s[14:15], 2, v21
	;; [unrolled: 35-line block ×13, first 2 shown]
	s_waitcnt lgkmcnt(0)
	s_barrier
	s_and_b64 s[14:15], s[14:15], s[20:21]
	s_mov_b64 s[0:1], exec
	v_writelane_b32 v33, s14, 58
	v_writelane_b32 v33, s15, 59
	s_and_b64 s[14:15], s[0:1], s[14:15]
	s_mov_b64 exec, s[14:15]
	s_cbranch_execz .LBB12_306
; %bb.305:
	v_lshlrev_b32_e32 v26, 2, v21
	ds_read_b32 v26, v26 offset:7488
	ds_read_b32 v27, v22
	s_waitcnt lgkmcnt(0)
	v_fmac_f32_e32 v25, v26, v27
.LBB12_306:
	s_or_b64 exec, exec, s[0:1]
	v_cmp_eq_u32_e64 s[14:15], 14, v21
	s_barrier
	s_and_b64 s[14:15], s[14:15], s[20:21]
	s_mov_b64 s[0:1], exec
	v_writelane_b32 v33, s14, 60
	v_writelane_b32 v33, s15, 61
	s_and_b64 s[14:15], s[0:1], s[14:15]
	s_mov_b64 exec, s[14:15]
	s_cbranch_execz .LBB12_308
; %bb.307:
	v_mov_b32_e32 v26, 0
	ds_read_b32 v26, v26 offset:7800
	s_waitcnt lgkmcnt(0)
	v_mul_f32_e32 v25, v25, v26
	ds_write_b32 v22, v25
.LBB12_308:
	s_or_b64 exec, exec, s[0:1]
	v_cmp_eq_u32_e64 s[14:15], 15, v21
	s_and_b64 s[88:89], s[14:15], s[20:21]
	s_waitcnt lgkmcnt(0)
	s_barrier
	s_and_saveexec_b64 s[0:1], s[88:89]
	s_cbranch_execz .LBB12_310
; %bb.309:
	v_mov_b32_e32 v26, 0
	ds_read_b32 v26, v26 offset:7804
	ds_read_b32 v27, v22
	s_waitcnt lgkmcnt(0)
	v_fmac_f32_e32 v25, v26, v27
.LBB12_310:
	s_or_b64 exec, exec, s[0:1]
	s_barrier
	s_and_saveexec_b64 s[0:1], s[88:89]
	s_cbranch_execz .LBB12_312
; %bb.311:
	v_mov_b32_e32 v26, 0
	ds_read_b32 v26, v26 offset:8060
	s_waitcnt lgkmcnt(0)
	v_mul_f32_e32 v25, v25, v26
	ds_write_b32 v22, v25
.LBB12_312:
	s_or_b64 exec, exec, s[0:1]
	s_waitcnt lgkmcnt(0)
	s_barrier
	s_barrier
	s_and_saveexec_b64 s[0:1], s[10:11]
; %bb.313:
	v_xor_b32_e32 v25, 0x80000000, v25
	ds_write_b32 v20, v25 offset:64
; %bb.314:
	s_or_b64 exec, exec, s[0:1]
	v_cmp_gt_u32_e64 s[14:15], 16, v0
	s_waitcnt lgkmcnt(0)
	s_barrier
	s_barrier
	s_and_b64 s[0:1], s[12:13], s[14:15]
	s_mov_b64 s[14:15], exec
	v_writelane_b32 v33, s0, 62
	v_writelane_b32 v33, s1, 63
	s_and_b64 s[0:1], s[14:15], s[0:1]
	s_mov_b64 exec, s[0:1]
	s_cbranch_execz .LBB12_316
; %bb.315:
	v_lshlrev_b32_e32 v25, 8, v0
	ds_read_b32 v26, v25 offset:64
	s_movk_i32 s0, 0xff04
	v_mad_i32_i24 v27, v0, s0, v25
	s_waitcnt lgkmcnt(0)
	ds_write_b32 v27, v26 offset:4096
	ds_read_b32 v26, v25 offset:68
	s_waitcnt lgkmcnt(0)
	ds_write_b32 v27, v26 offset:4352
	ds_read_b32 v26, v25 offset:72
	;; [unrolled: 3-line block ×15, first 2 shown]
	s_waitcnt lgkmcnt(0)
	ds_write_b32 v27, v25 offset:7936
.LBB12_316:
	s_or_b64 exec, exec, s[14:15]
	s_waitcnt lgkmcnt(0)
	s_barrier
	s_and_saveexec_b64 s[14:15], vcc
	s_cbranch_execz .LBB12_318
; %bb.317:
	v_mov_b32_e32 v27, 0
	ds_read_b64 v[25:26], v27 offset:4160
	ds_read_b32 v27, v27 offset:4420
	s_movk_i32 s0, 0x1000
	s_waitcnt lgkmcnt(0)
	v_mul_f32_e32 v25, v25, v27
	v_mul_f32_e32 v25, v26, v25
	v_add_u32_e64 v26, s0, 0
	ds_write2_b32 v26, v25, v25 offset0:17 offset1:80
.LBB12_318:
	s_or_b64 exec, exec, s[14:15]
	v_mov_b32_e32 v25, 0
	s_waitcnt lgkmcnt(0)
	s_barrier
	s_and_saveexec_b64 s[16:17], s[2:3]
	s_cbranch_execz .LBB12_322
; %bb.319:
	v_mul_u32_u24_e32 v25, 0x104, v5
	ds_read_b32 v27, v1 offset:4168
	ds_read_b32 v25, v25 offset:4160
	v_mov_b32_e32 v26, 0
	v_cmp_gt_u32_e64 s[14:15], 2, v4
	s_waitcnt lgkmcnt(0)
	v_fma_f32 v25, v27, v25, 0
	s_and_saveexec_b64 s[0:1], s[14:15]
	s_cbranch_execz .LBB12_321
; %bb.320:
	v_lshlrev_b32_e32 v27, 2, v0
	ds_read_b32 v27, v27 offset:4424
	ds_read_b32 v26, v26 offset:4164
	s_waitcnt lgkmcnt(0)
	v_fmac_f32_e32 v25, v27, v26
.LBB12_321:
	s_or_b64 exec, exec, s[0:1]
	v_xor_b32_e32 v25, 0x80000000, v25
.LBB12_322:
	s_or_b64 exec, exec, s[16:17]
	s_and_saveexec_b64 s[0:1], s[30:31]
	s_cbranch_execz .LBB12_324
; %bb.323:
	v_mov_b32_e32 v26, 0
	ds_read_b32 v26, v26 offset:4680
	s_waitcnt lgkmcnt(0)
	v_mul_f32_e32 v25, v25, v26
	ds_write_b32 v3, v25
.LBB12_324:
	s_or_b64 exec, exec, s[0:1]
	s_waitcnt lgkmcnt(0)
	s_barrier
	s_and_saveexec_b64 s[0:1], s[28:29]
	s_cbranch_execz .LBB12_326
; %bb.325:
	v_mov_b32_e32 v26, 0
	ds_read_b32 v26, v26 offset:4684
	ds_read_b32 v27, v3
	s_waitcnt lgkmcnt(0)
	v_fmac_f32_e32 v25, v26, v27
.LBB12_326:
	s_or_b64 exec, exec, s[0:1]
	s_barrier
	s_and_saveexec_b64 s[0:1], s[28:29]
	s_cbranch_execz .LBB12_328
; %bb.327:
	v_mov_b32_e32 v26, 0
	ds_read_b32 v26, v26 offset:4940
	s_waitcnt lgkmcnt(0)
	v_mul_f32_e32 v25, v25, v26
	ds_write_b32 v3, v25
.LBB12_328:
	s_or_b64 exec, exec, s[0:1]
	s_waitcnt lgkmcnt(0)
	s_barrier
	s_barrier
	s_and_saveexec_b64 s[0:1], s[2:3]
; %bb.329:
	v_xor_b32_e32 v25, 0x80000000, v25
	ds_write_b32 v1, v25 offset:4168
; %bb.330:
	s_or_b64 exec, exec, s[0:1]
	s_waitcnt lgkmcnt(0)
	s_barrier
	s_barrier
	s_and_saveexec_b64 s[0:1], s[34:35]
	s_cbranch_execz .LBB12_332
; %bb.331:
	v_lshlrev_b32_e32 v25, 2, v0
	s_movk_i32 s14, 0xfc
	v_mad_u32_u24 v26, v0, s14, v25
	ds_read_b32 v27, v26 offset:4168
	s_waitcnt lgkmcnt(0)
	ds_write_b32 v25, v27 offset:4672
	ds_read_b32 v26, v26 offset:4172
	s_waitcnt lgkmcnt(0)
	ds_write_b32 v25, v26 offset:4928
.LBB12_332:
	s_or_b64 exec, exec, s[0:1]
	s_waitcnt lgkmcnt(0)
	s_barrier
	s_and_saveexec_b64 s[14:15], vcc
	s_cbranch_execz .LBB12_334
; %bb.333:
	v_mov_b32_e32 v27, 0
	ds_read_b64 v[25:26], v27 offset:4680
	ds_read_b32 v27, v27 offset:4940
	s_movk_i32 s0, 0x1000
	s_waitcnt lgkmcnt(0)
	v_mul_f32_e32 v25, v25, v27
	v_mul_f32_e32 v25, v26, v25
	v_add_u32_e64 v26, s0, 0
	ds_write2_b32 v26, v25, v25 offset0:147 offset1:210
.LBB12_334:
	s_or_b64 exec, exec, s[14:15]
	v_mov_b32_e32 v25, 0
	s_waitcnt lgkmcnt(0)
	s_barrier
	s_and_saveexec_b64 s[16:17], s[18:19]
	s_cbranch_execz .LBB12_340
; %bb.335:
	v_mul_u32_u24_e32 v26, 0x104, v14
	ds_read_b32 v25, v6 offset:4176
	ds_read_b32 v27, v26 offset:4160
	v_cmp_gt_u32_e64 s[14:15], 12, v4
	s_waitcnt lgkmcnt(0)
	v_fma_f32 v25, v25, v27, 0
	s_and_saveexec_b64 s[20:21], s[14:15]
	s_cbranch_execnz .LBB12_1219
; %bb.336:
	s_or_b64 exec, exec, s[20:21]
	v_cmp_gt_u32_e64 s[14:15], 8, v4
	s_and_saveexec_b64 s[0:1], s[14:15]
	s_cbranch_execnz .LBB12_1220
.LBB12_337:
	s_or_b64 exec, exec, s[0:1]
	v_cmp_gt_u32_e64 s[14:15], 4, v4
	s_and_saveexec_b64 s[20:21], s[14:15]
	s_cbranch_execz .LBB12_339
.LBB12_338:
	v_lshlrev_b32_e32 v26, 2, v0
	v_mov_b32_e32 v27, 0
	ds_read_b32 v26, v26 offset:4944
	ds_read_b32 v27, v27 offset:4172
	s_waitcnt lgkmcnt(0)
	v_fmac_f32_e32 v25, v26, v27
.LBB12_339:
	s_or_b64 exec, exec, s[20:21]
	v_xor_b32_e32 v25, 0x80000000, v25
.LBB12_340:
	s_or_b64 exec, exec, s[16:17]
	s_and_saveexec_b64 s[0:1], s[38:39]
	s_cbranch_execz .LBB12_342
; %bb.341:
	v_mov_b32_e32 v26, 0
	ds_read_b32 v26, v26 offset:5200
	s_waitcnt lgkmcnt(0)
	v_mul_f32_e32 v25, v25, v26
	ds_write_b32 v12, v25
.LBB12_342:
	s_or_b64 exec, exec, s[0:1]
	s_waitcnt lgkmcnt(0)
	s_barrier
	s_and_saveexec_b64 s[0:1], s[42:43]
	s_cbranch_execz .LBB12_344
; %bb.343:
	ds_read_b32 v26, v11 offset:5200
	ds_read_b32 v27, v12
	s_waitcnt lgkmcnt(0)
	v_fmac_f32_e32 v25, v26, v27
.LBB12_344:
	s_or_b64 exec, exec, s[0:1]
	s_barrier
	s_and_saveexec_b64 s[0:1], s[44:45]
	s_cbranch_execz .LBB12_346
; %bb.345:
	v_mov_b32_e32 v26, 0
	ds_read_b32 v26, v26 offset:5460
	s_waitcnt lgkmcnt(0)
	v_mul_f32_e32 v25, v25, v26
	ds_write_b32 v12, v25
.LBB12_346:
	s_or_b64 exec, exec, s[0:1]
	s_waitcnt lgkmcnt(0)
	s_barrier
	s_and_saveexec_b64 s[0:1], s[52:53]
	s_cbranch_execz .LBB12_348
; %bb.347:
	ds_read_b32 v26, v11 offset:5456
	ds_read_b32 v27, v12
	s_waitcnt lgkmcnt(0)
	v_fmac_f32_e32 v25, v26, v27
.LBB12_348:
	s_or_b64 exec, exec, s[0:1]
	s_barrier
	s_and_saveexec_b64 s[0:1], s[54:55]
	s_cbranch_execz .LBB12_350
; %bb.349:
	v_mov_b32_e32 v26, 0
	ds_read_b32 v26, v26 offset:5720
	s_waitcnt lgkmcnt(0)
	v_mul_f32_e32 v25, v25, v26
	ds_write_b32 v12, v25
.LBB12_350:
	s_or_b64 exec, exec, s[0:1]
	s_waitcnt lgkmcnt(0)
	s_barrier
	s_and_saveexec_b64 s[0:1], s[36:37]
	s_cbranch_execz .LBB12_352
; %bb.351:
	v_mov_b32_e32 v26, 0
	ds_read_b32 v26, v26 offset:5724
	ds_read_b32 v27, v12
	s_waitcnt lgkmcnt(0)
	v_fmac_f32_e32 v25, v26, v27
.LBB12_352:
	s_or_b64 exec, exec, s[0:1]
	s_barrier
	s_and_saveexec_b64 s[0:1], s[36:37]
	s_cbranch_execz .LBB12_354
; %bb.353:
	v_mov_b32_e32 v26, 0
	ds_read_b32 v26, v26 offset:5980
	s_waitcnt lgkmcnt(0)
	v_mul_f32_e32 v25, v25, v26
	ds_write_b32 v12, v25
.LBB12_354:
	s_or_b64 exec, exec, s[0:1]
	s_waitcnt lgkmcnt(0)
	s_barrier
	s_barrier
	s_and_saveexec_b64 s[0:1], s[18:19]
; %bb.355:
	v_xor_b32_e32 v25, 0x80000000, v25
	ds_write_b32 v6, v25 offset:4176
; %bb.356:
	s_or_b64 exec, exec, s[0:1]
	s_waitcnt lgkmcnt(0)
	s_barrier
	s_barrier
	s_and_saveexec_b64 s[14:15], s[56:57]
	s_cbranch_execz .LBB12_358
; %bb.357:
	v_lshlrev_b32_e32 v25, 8, v0
	ds_read_b32 v26, v25 offset:4176
	s_movk_i32 s0, 0xff04
	v_mad_i32_i24 v27, v0, s0, v25
	s_waitcnt lgkmcnt(0)
	ds_write_b32 v27, v26 offset:5184
	ds_read_b32 v26, v25 offset:4180
	s_waitcnt lgkmcnt(0)
	ds_write_b32 v27, v26 offset:5440
	ds_read_b32 v26, v25 offset:4184
	;; [unrolled: 3-line block ×3, first 2 shown]
	s_waitcnt lgkmcnt(0)
	ds_write_b32 v27, v25 offset:5952
.LBB12_358:
	s_or_b64 exec, exec, s[14:15]
	s_waitcnt lgkmcnt(0)
	s_barrier
	s_and_saveexec_b64 s[14:15], vcc
	s_cbranch_execz .LBB12_360
; %bb.359:
	v_mov_b32_e32 v27, 0
	ds_read_b64 v[25:26], v27 offset:5200
	ds_read_b32 v27, v27 offset:5460
	s_movk_i32 s0, 0x1400
	s_waitcnt lgkmcnt(0)
	v_mul_f32_e32 v25, v25, v27
	v_mul_f32_e32 v25, v26, v25
	v_add_u32_e64 v26, s0, 0
	ds_write2_b32 v26, v25, v25 offset0:21 offset1:84
.LBB12_360:
	s_or_b64 exec, exec, s[14:15]
	v_mov_b32_e32 v25, 0
	s_waitcnt lgkmcnt(0)
	s_barrier
	s_and_saveexec_b64 s[16:17], s[2:3]
	s_cbranch_execz .LBB12_364
; %bb.361:
	v_mul_u32_u24_e32 v25, 0x104, v5
	ds_read_b32 v27, v1 offset:5208
	ds_read_b32 v25, v25 offset:5200
	v_mov_b32_e32 v26, 0
	v_cmp_gt_u32_e64 s[14:15], 2, v4
	s_waitcnt lgkmcnt(0)
	v_fma_f32 v25, v27, v25, 0
	s_and_saveexec_b64 s[0:1], s[14:15]
	s_cbranch_execz .LBB12_363
; %bb.362:
	v_lshlrev_b32_e32 v27, 2, v0
	ds_read_b32 v27, v27 offset:5464
	ds_read_b32 v26, v26 offset:5204
	s_waitcnt lgkmcnt(0)
	v_fmac_f32_e32 v25, v27, v26
.LBB12_363:
	s_or_b64 exec, exec, s[0:1]
	v_xor_b32_e32 v25, 0x80000000, v25
.LBB12_364:
	s_or_b64 exec, exec, s[16:17]
	s_and_saveexec_b64 s[0:1], s[30:31]
	s_cbranch_execz .LBB12_366
; %bb.365:
	v_mov_b32_e32 v26, 0
	ds_read_b32 v26, v26 offset:5720
	s_waitcnt lgkmcnt(0)
	v_mul_f32_e32 v25, v25, v26
	ds_write_b32 v3, v25
.LBB12_366:
	s_or_b64 exec, exec, s[0:1]
	s_waitcnt lgkmcnt(0)
	s_barrier
	s_and_saveexec_b64 s[0:1], s[28:29]
	s_cbranch_execz .LBB12_368
; %bb.367:
	v_mov_b32_e32 v26, 0
	ds_read_b32 v26, v26 offset:5724
	ds_read_b32 v27, v3
	s_waitcnt lgkmcnt(0)
	v_fmac_f32_e32 v25, v26, v27
.LBB12_368:
	s_or_b64 exec, exec, s[0:1]
	s_barrier
	s_and_saveexec_b64 s[0:1], s[28:29]
	s_cbranch_execz .LBB12_370
; %bb.369:
	v_mov_b32_e32 v26, 0
	ds_read_b32 v26, v26 offset:5980
	s_waitcnt lgkmcnt(0)
	v_mul_f32_e32 v25, v25, v26
	ds_write_b32 v3, v25
.LBB12_370:
	s_or_b64 exec, exec, s[0:1]
	s_waitcnt lgkmcnt(0)
	s_barrier
	s_barrier
	s_and_saveexec_b64 s[0:1], s[2:3]
; %bb.371:
	v_xor_b32_e32 v25, 0x80000000, v25
	ds_write_b32 v1, v25 offset:5208
; %bb.372:
	s_or_b64 exec, exec, s[0:1]
	s_waitcnt lgkmcnt(0)
	s_barrier
	s_barrier
	s_and_saveexec_b64 s[0:1], s[34:35]
	s_cbranch_execz .LBB12_374
; %bb.373:
	v_lshlrev_b32_e32 v25, 2, v0
	s_movk_i32 s14, 0xfc
	v_mad_u32_u24 v26, v0, s14, v25
	ds_read_b32 v27, v26 offset:5208
	s_waitcnt lgkmcnt(0)
	ds_write_b32 v25, v27 offset:5712
	ds_read_b32 v26, v26 offset:5212
	s_waitcnt lgkmcnt(0)
	ds_write_b32 v25, v26 offset:5968
.LBB12_374:
	s_or_b64 exec, exec, s[0:1]
	s_waitcnt lgkmcnt(0)
	s_barrier
	s_and_saveexec_b64 s[14:15], vcc
	s_cbranch_execz .LBB12_376
; %bb.375:
	v_mov_b32_e32 v27, 0
	ds_read_b64 v[25:26], v27 offset:5720
	ds_read_b32 v27, v27 offset:5980
	s_movk_i32 s0, 0x1400
	s_waitcnt lgkmcnt(0)
	v_mul_f32_e32 v25, v25, v27
	v_mul_f32_e32 v25, v26, v25
	v_add_u32_e64 v26, s0, 0
	ds_write2_b32 v26, v25, v25 offset0:151 offset1:214
.LBB12_376:
	s_or_b64 exec, exec, s[14:15]
	v_mov_b32_e32 v25, 0
	s_waitcnt lgkmcnt(0)
	s_barrier
	s_and_saveexec_b64 s[16:17], s[8:9]
	s_cbranch_execz .LBB12_386
; %bb.377:
	v_mul_u32_u24_e32 v26, 0x104, v19
	ds_read_b32 v25, v15 offset:4192
	ds_read_b32 v27, v26 offset:4160
	v_cmp_gt_u32_e64 s[14:15], 56, v4
	s_waitcnt lgkmcnt(0)
	v_fma_f32 v25, v25, v27, 0
	s_and_saveexec_b64 s[20:21], s[14:15]
	s_cbranch_execnz .LBB12_1221
; %bb.378:
	s_or_b64 exec, exec, s[20:21]
	v_cmp_gt_u32_e64 s[14:15], 48, v4
	s_and_saveexec_b64 s[20:21], s[14:15]
	s_cbranch_execnz .LBB12_1222
.LBB12_379:
	s_or_b64 exec, exec, s[20:21]
	v_cmp_gt_u32_e64 s[14:15], 40, v4
	s_and_saveexec_b64 s[20:21], s[14:15]
	s_cbranch_execnz .LBB12_1223
.LBB12_380:
	s_or_b64 exec, exec, s[20:21]
	v_cmp_gt_u32_e64 s[14:15], 32, v4
	s_and_saveexec_b64 s[0:1], s[14:15]
	s_cbranch_execnz .LBB12_1224
.LBB12_381:
	s_or_b64 exec, exec, s[0:1]
	v_cmp_gt_u32_e64 s[14:15], 24, v4
	s_and_saveexec_b64 s[20:21], s[14:15]
	s_cbranch_execnz .LBB12_1225
.LBB12_382:
	s_or_b64 exec, exec, s[20:21]
	v_cmp_gt_u32_e64 s[14:15], 16, v4
	s_and_saveexec_b64 s[0:1], s[14:15]
	s_cbranch_execnz .LBB12_1226
.LBB12_383:
	s_or_b64 exec, exec, s[0:1]
	v_cmp_gt_u32_e64 s[14:15], 8, v4
	s_and_saveexec_b64 s[20:21], s[14:15]
	s_cbranch_execz .LBB12_385
.LBB12_384:
	v_lshlrev_b32_e32 v26, 2, v0
	v_mov_b32_e32 v27, 0
	ds_read_b32 v26, v26 offset:5984
	ds_read_b32 v27, v27 offset:4188
	s_waitcnt lgkmcnt(0)
	v_fmac_f32_e32 v25, v26, v27
.LBB12_385:
	s_or_b64 exec, exec, s[20:21]
	v_xor_b32_e32 v25, 0x80000000, v25
.LBB12_386:
	s_or_b64 exec, exec, s[16:17]
	s_and_saveexec_b64 s[0:1], s[58:59]
	s_cbranch_execz .LBB12_388
; %bb.387:
	v_mov_b32_e32 v26, 0
	ds_read_b32 v26, v26 offset:6240
	s_waitcnt lgkmcnt(0)
	v_mul_f32_e32 v25, v25, v26
	ds_write_b32 v17, v25
.LBB12_388:
	s_or_b64 exec, exec, s[0:1]
	s_waitcnt lgkmcnt(0)
	s_barrier
	s_and_saveexec_b64 s[0:1], s[60:61]
	s_cbranch_execz .LBB12_390
; %bb.389:
	ds_read_b32 v26, v16 offset:6240
	ds_read_b32 v27, v17
	s_waitcnt lgkmcnt(0)
	v_fmac_f32_e32 v25, v26, v27
.LBB12_390:
	s_or_b64 exec, exec, s[0:1]
	s_barrier
	s_and_saveexec_b64 s[0:1], s[62:63]
	s_cbranch_execz .LBB12_392
; %bb.391:
	v_mov_b32_e32 v26, 0
	ds_read_b32 v26, v26 offset:6500
	s_waitcnt lgkmcnt(0)
	v_mul_f32_e32 v25, v25, v26
	ds_write_b32 v17, v25
.LBB12_392:
	s_or_b64 exec, exec, s[0:1]
	s_waitcnt lgkmcnt(0)
	s_barrier
	s_and_saveexec_b64 s[0:1], s[64:65]
	s_cbranch_execz .LBB12_394
; %bb.393:
	ds_read_b32 v26, v16 offset:6496
	ds_read_b32 v27, v17
	s_waitcnt lgkmcnt(0)
	v_fmac_f32_e32 v25, v26, v27
.LBB12_394:
	s_or_b64 exec, exec, s[0:1]
	s_barrier
	s_and_saveexec_b64 s[0:1], s[68:69]
	s_cbranch_execz .LBB12_396
; %bb.395:
	v_mov_b32_e32 v26, 0
	ds_read_b32 v26, v26 offset:6760
	s_waitcnt lgkmcnt(0)
	v_mul_f32_e32 v25, v25, v26
	ds_write_b32 v17, v25
.LBB12_396:
	s_or_b64 exec, exec, s[0:1]
	s_waitcnt lgkmcnt(0)
	s_barrier
	s_and_saveexec_b64 s[0:1], s[70:71]
	s_cbranch_execz .LBB12_398
; %bb.397:
	ds_read_b32 v26, v16 offset:6752
	ds_read_b32 v27, v17
	s_waitcnt lgkmcnt(0)
	v_fmac_f32_e32 v25, v26, v27
.LBB12_398:
	s_or_b64 exec, exec, s[0:1]
	s_barrier
	s_and_saveexec_b64 s[0:1], s[72:73]
	s_cbranch_execz .LBB12_400
; %bb.399:
	v_mov_b32_e32 v26, 0
	ds_read_b32 v26, v26 offset:7020
	s_waitcnt lgkmcnt(0)
	v_mul_f32_e32 v25, v25, v26
	ds_write_b32 v17, v25
.LBB12_400:
	s_or_b64 exec, exec, s[0:1]
	s_waitcnt lgkmcnt(0)
	s_barrier
	s_and_saveexec_b64 s[0:1], s[74:75]
	s_cbranch_execz .LBB12_402
; %bb.401:
	ds_read_b32 v26, v16 offset:7008
	ds_read_b32 v27, v17
	s_waitcnt lgkmcnt(0)
	v_fmac_f32_e32 v25, v26, v27
.LBB12_402:
	s_or_b64 exec, exec, s[0:1]
	s_barrier
	s_and_saveexec_b64 s[0:1], s[76:77]
	s_cbranch_execz .LBB12_404
; %bb.403:
	v_mov_b32_e32 v26, 0
	ds_read_b32 v26, v26 offset:7280
	s_waitcnt lgkmcnt(0)
	v_mul_f32_e32 v25, v25, v26
	ds_write_b32 v17, v25
.LBB12_404:
	s_or_b64 exec, exec, s[0:1]
	s_waitcnt lgkmcnt(0)
	s_barrier
	s_and_saveexec_b64 s[0:1], s[78:79]
	s_cbranch_execz .LBB12_406
; %bb.405:
	ds_read_b32 v26, v16 offset:7264
	ds_read_b32 v27, v17
	s_waitcnt lgkmcnt(0)
	v_fmac_f32_e32 v25, v26, v27
.LBB12_406:
	s_or_b64 exec, exec, s[0:1]
	s_barrier
	s_and_saveexec_b64 s[0:1], s[80:81]
	s_cbranch_execz .LBB12_408
; %bb.407:
	v_mov_b32_e32 v26, 0
	ds_read_b32 v26, v26 offset:7540
	s_waitcnt lgkmcnt(0)
	v_mul_f32_e32 v25, v25, v26
	ds_write_b32 v17, v25
.LBB12_408:
	s_or_b64 exec, exec, s[0:1]
	s_waitcnt lgkmcnt(0)
	s_barrier
	s_and_saveexec_b64 s[0:1], s[82:83]
	s_cbranch_execz .LBB12_410
; %bb.409:
	ds_read_b32 v26, v16 offset:7520
	ds_read_b32 v27, v17
	s_waitcnt lgkmcnt(0)
	v_fmac_f32_e32 v25, v26, v27
.LBB12_410:
	s_or_b64 exec, exec, s[0:1]
	s_barrier
	s_and_saveexec_b64 s[0:1], s[84:85]
	s_cbranch_execz .LBB12_412
; %bb.411:
	v_mov_b32_e32 v26, 0
	ds_read_b32 v26, v26 offset:7800
	s_waitcnt lgkmcnt(0)
	v_mul_f32_e32 v25, v25, v26
	ds_write_b32 v17, v25
.LBB12_412:
	s_or_b64 exec, exec, s[0:1]
	s_waitcnt lgkmcnt(0)
	s_barrier
	s_and_saveexec_b64 s[0:1], s[66:67]
	s_cbranch_execz .LBB12_414
; %bb.413:
	v_mov_b32_e32 v26, 0
	ds_read_b32 v26, v26 offset:7804
	ds_read_b32 v27, v17
	s_waitcnt lgkmcnt(0)
	v_fmac_f32_e32 v25, v26, v27
.LBB12_414:
	s_or_b64 exec, exec, s[0:1]
	s_barrier
	s_and_saveexec_b64 s[0:1], s[66:67]
	s_cbranch_execz .LBB12_416
; %bb.415:
	v_mov_b32_e32 v26, 0
	ds_read_b32 v26, v26 offset:8060
	s_waitcnt lgkmcnt(0)
	v_mul_f32_e32 v25, v25, v26
	ds_write_b32 v17, v25
.LBB12_416:
	s_or_b64 exec, exec, s[0:1]
	s_waitcnt lgkmcnt(0)
	s_barrier
	s_barrier
	s_and_saveexec_b64 s[0:1], s[8:9]
; %bb.417:
	v_xor_b32_e32 v25, 0x80000000, v25
	ds_write_b32 v15, v25 offset:4192
; %bb.418:
	s_or_b64 exec, exec, s[0:1]
	s_waitcnt lgkmcnt(0)
	s_barrier
	s_barrier
	s_and_saveexec_b64 s[14:15], s[86:87]
	s_cbranch_execz .LBB12_420
; %bb.419:
	v_lshlrev_b32_e32 v25, 8, v0
	ds_read_b32 v26, v25 offset:4192
	s_movk_i32 s0, 0xff04
	v_mad_i32_i24 v27, v0, s0, v25
	s_waitcnt lgkmcnt(0)
	ds_write_b32 v27, v26 offset:6208
	ds_read_b32 v26, v25 offset:4196
	s_waitcnt lgkmcnt(0)
	ds_write_b32 v27, v26 offset:6464
	ds_read_b32 v26, v25 offset:4200
	;; [unrolled: 3-line block ×7, first 2 shown]
	s_waitcnt lgkmcnt(0)
	ds_write_b32 v27, v25 offset:8000
.LBB12_420:
	s_or_b64 exec, exec, s[14:15]
	s_waitcnt lgkmcnt(0)
	s_barrier
	s_and_saveexec_b64 s[14:15], vcc
	s_cbranch_execz .LBB12_422
; %bb.421:
	v_mov_b32_e32 v27, 0
	ds_read_b64 v[25:26], v27 offset:6240
	ds_read_b32 v27, v27 offset:6500
	s_movk_i32 s0, 0x1800
	s_waitcnt lgkmcnt(0)
	v_mul_f32_e32 v25, v25, v27
	v_mul_f32_e32 v25, v26, v25
	v_add_u32_e64 v26, s0, 0
	ds_write2_b32 v26, v25, v25 offset0:25 offset1:88
.LBB12_422:
	s_or_b64 exec, exec, s[14:15]
	v_mov_b32_e32 v25, 0
	s_waitcnt lgkmcnt(0)
	s_barrier
	s_and_saveexec_b64 s[16:17], s[2:3]
	s_cbranch_execz .LBB12_426
; %bb.423:
	v_mul_u32_u24_e32 v25, 0x104, v5
	ds_read_b32 v27, v1 offset:6248
	ds_read_b32 v25, v25 offset:6240
	v_mov_b32_e32 v26, 0
	v_cmp_gt_u32_e64 s[14:15], 2, v4
	s_waitcnt lgkmcnt(0)
	v_fma_f32 v25, v27, v25, 0
	s_and_saveexec_b64 s[0:1], s[14:15]
	s_cbranch_execz .LBB12_425
; %bb.424:
	v_lshlrev_b32_e32 v27, 2, v0
	ds_read_b32 v27, v27 offset:6504
	ds_read_b32 v26, v26 offset:6244
	s_waitcnt lgkmcnt(0)
	v_fmac_f32_e32 v25, v27, v26
.LBB12_425:
	s_or_b64 exec, exec, s[0:1]
	v_xor_b32_e32 v25, 0x80000000, v25
.LBB12_426:
	s_or_b64 exec, exec, s[16:17]
	s_and_saveexec_b64 s[0:1], s[30:31]
	s_cbranch_execz .LBB12_428
; %bb.427:
	v_mov_b32_e32 v26, 0
	ds_read_b32 v26, v26 offset:6760
	s_waitcnt lgkmcnt(0)
	v_mul_f32_e32 v25, v25, v26
	ds_write_b32 v3, v25
.LBB12_428:
	s_or_b64 exec, exec, s[0:1]
	s_waitcnt lgkmcnt(0)
	s_barrier
	s_and_saveexec_b64 s[0:1], s[28:29]
	s_cbranch_execz .LBB12_430
; %bb.429:
	v_mov_b32_e32 v26, 0
	ds_read_b32 v26, v26 offset:6764
	ds_read_b32 v27, v3
	s_waitcnt lgkmcnt(0)
	v_fmac_f32_e32 v25, v26, v27
.LBB12_430:
	s_or_b64 exec, exec, s[0:1]
	s_barrier
	s_and_saveexec_b64 s[0:1], s[28:29]
	s_cbranch_execz .LBB12_432
; %bb.431:
	v_mov_b32_e32 v26, 0
	ds_read_b32 v26, v26 offset:7020
	s_waitcnt lgkmcnt(0)
	v_mul_f32_e32 v25, v25, v26
	ds_write_b32 v3, v25
.LBB12_432:
	s_or_b64 exec, exec, s[0:1]
	s_waitcnt lgkmcnt(0)
	s_barrier
	s_barrier
	s_and_saveexec_b64 s[0:1], s[2:3]
; %bb.433:
	v_xor_b32_e32 v25, 0x80000000, v25
	ds_write_b32 v1, v25 offset:6248
; %bb.434:
	s_or_b64 exec, exec, s[0:1]
	s_waitcnt lgkmcnt(0)
	s_barrier
	s_barrier
	s_and_saveexec_b64 s[0:1], s[34:35]
	s_cbranch_execz .LBB12_436
; %bb.435:
	v_lshlrev_b32_e32 v25, 2, v0
	s_movk_i32 s14, 0xfc
	v_mad_u32_u24 v26, v0, s14, v25
	ds_read_b32 v27, v26 offset:6248
	s_waitcnt lgkmcnt(0)
	ds_write_b32 v25, v27 offset:6752
	ds_read_b32 v26, v26 offset:6252
	s_waitcnt lgkmcnt(0)
	ds_write_b32 v25, v26 offset:7008
.LBB12_436:
	s_or_b64 exec, exec, s[0:1]
	s_waitcnt lgkmcnt(0)
	s_barrier
	s_and_saveexec_b64 s[14:15], vcc
	s_cbranch_execz .LBB12_438
; %bb.437:
	v_mov_b32_e32 v27, 0
	ds_read_b64 v[25:26], v27 offset:6760
	ds_read_b32 v27, v27 offset:7020
	s_movk_i32 s0, 0x1800
	s_waitcnt lgkmcnt(0)
	v_mul_f32_e32 v25, v25, v27
	v_mul_f32_e32 v25, v26, v25
	v_add_u32_e64 v26, s0, 0
	ds_write2_b32 v26, v25, v25 offset0:155 offset1:218
.LBB12_438:
	s_or_b64 exec, exec, s[14:15]
	v_mov_b32_e32 v25, 0
	s_waitcnt lgkmcnt(0)
	s_barrier
	s_and_saveexec_b64 s[16:17], s[18:19]
	s_cbranch_execz .LBB12_444
; %bb.439:
	v_mul_u32_u24_e32 v26, 0x104, v14
	ds_read_b32 v25, v6 offset:6256
	ds_read_b32 v27, v26 offset:6240
	v_cmp_gt_u32_e64 s[14:15], 12, v4
	s_waitcnt lgkmcnt(0)
	v_fma_f32 v25, v25, v27, 0
	s_and_saveexec_b64 s[20:21], s[14:15]
	s_cbranch_execnz .LBB12_1227
; %bb.440:
	s_or_b64 exec, exec, s[20:21]
	v_cmp_gt_u32_e64 s[14:15], 8, v4
	s_and_saveexec_b64 s[0:1], s[14:15]
	s_cbranch_execnz .LBB12_1228
.LBB12_441:
	s_or_b64 exec, exec, s[0:1]
	v_cmp_gt_u32_e64 s[14:15], 4, v4
	s_and_saveexec_b64 s[20:21], s[14:15]
	s_cbranch_execz .LBB12_443
.LBB12_442:
	v_lshlrev_b32_e32 v26, 2, v0
	v_mov_b32_e32 v27, 0
	ds_read_b32 v26, v26 offset:7024
	ds_read_b32 v27, v27 offset:6252
	s_waitcnt lgkmcnt(0)
	v_fmac_f32_e32 v25, v26, v27
.LBB12_443:
	s_or_b64 exec, exec, s[20:21]
	v_xor_b32_e32 v25, 0x80000000, v25
.LBB12_444:
	s_or_b64 exec, exec, s[16:17]
	s_and_saveexec_b64 s[0:1], s[38:39]
	s_cbranch_execz .LBB12_446
; %bb.445:
	v_mov_b32_e32 v26, 0
	ds_read_b32 v26, v26 offset:7280
	s_waitcnt lgkmcnt(0)
	v_mul_f32_e32 v25, v25, v26
	ds_write_b32 v12, v25
.LBB12_446:
	s_or_b64 exec, exec, s[0:1]
	s_waitcnt lgkmcnt(0)
	s_barrier
	s_and_saveexec_b64 s[0:1], s[42:43]
	s_cbranch_execz .LBB12_448
; %bb.447:
	ds_read_b32 v26, v11 offset:7280
	ds_read_b32 v27, v12
	s_waitcnt lgkmcnt(0)
	v_fmac_f32_e32 v25, v26, v27
.LBB12_448:
	s_or_b64 exec, exec, s[0:1]
	s_barrier
	s_and_saveexec_b64 s[0:1], s[44:45]
	s_cbranch_execz .LBB12_450
; %bb.449:
	v_mov_b32_e32 v26, 0
	ds_read_b32 v26, v26 offset:7540
	s_waitcnt lgkmcnt(0)
	v_mul_f32_e32 v25, v25, v26
	ds_write_b32 v12, v25
.LBB12_450:
	s_or_b64 exec, exec, s[0:1]
	s_waitcnt lgkmcnt(0)
	s_barrier
	s_and_saveexec_b64 s[0:1], s[52:53]
	s_cbranch_execz .LBB12_452
; %bb.451:
	ds_read_b32 v26, v11 offset:7536
	ds_read_b32 v27, v12
	s_waitcnt lgkmcnt(0)
	v_fmac_f32_e32 v25, v26, v27
.LBB12_452:
	s_or_b64 exec, exec, s[0:1]
	s_barrier
	s_and_saveexec_b64 s[0:1], s[54:55]
	s_cbranch_execz .LBB12_454
; %bb.453:
	v_mov_b32_e32 v26, 0
	ds_read_b32 v26, v26 offset:7800
	s_waitcnt lgkmcnt(0)
	v_mul_f32_e32 v25, v25, v26
	ds_write_b32 v12, v25
.LBB12_454:
	s_or_b64 exec, exec, s[0:1]
	s_waitcnt lgkmcnt(0)
	s_barrier
	s_and_saveexec_b64 s[0:1], s[36:37]
	s_cbranch_execz .LBB12_456
; %bb.455:
	v_mov_b32_e32 v26, 0
	ds_read_b32 v26, v26 offset:7804
	ds_read_b32 v27, v12
	s_waitcnt lgkmcnt(0)
	v_fmac_f32_e32 v25, v26, v27
.LBB12_456:
	s_or_b64 exec, exec, s[0:1]
	s_barrier
	s_and_saveexec_b64 s[0:1], s[36:37]
	s_cbranch_execz .LBB12_458
; %bb.457:
	v_mov_b32_e32 v26, 0
	ds_read_b32 v26, v26 offset:8060
	s_waitcnt lgkmcnt(0)
	v_mul_f32_e32 v25, v25, v26
	ds_write_b32 v12, v25
.LBB12_458:
	s_or_b64 exec, exec, s[0:1]
	s_waitcnt lgkmcnt(0)
	s_barrier
	s_barrier
	s_and_saveexec_b64 s[0:1], s[18:19]
; %bb.459:
	v_xor_b32_e32 v25, 0x80000000, v25
	ds_write_b32 v6, v25 offset:6256
; %bb.460:
	s_or_b64 exec, exec, s[0:1]
	s_waitcnt lgkmcnt(0)
	s_barrier
	s_barrier
	s_and_saveexec_b64 s[14:15], s[56:57]
	s_cbranch_execz .LBB12_462
; %bb.461:
	v_lshlrev_b32_e32 v25, 8, v0
	ds_read_b32 v26, v25 offset:6256
	s_movk_i32 s0, 0xff04
	v_mad_i32_i24 v27, v0, s0, v25
	s_waitcnt lgkmcnt(0)
	ds_write_b32 v27, v26 offset:7264
	ds_read_b32 v26, v25 offset:6260
	s_waitcnt lgkmcnt(0)
	ds_write_b32 v27, v26 offset:7520
	ds_read_b32 v26, v25 offset:6264
	;; [unrolled: 3-line block ×3, first 2 shown]
	s_waitcnt lgkmcnt(0)
	ds_write_b32 v27, v25 offset:8032
.LBB12_462:
	s_or_b64 exec, exec, s[14:15]
	s_waitcnt lgkmcnt(0)
	s_barrier
	s_and_saveexec_b64 s[14:15], vcc
	s_cbranch_execz .LBB12_464
; %bb.463:
	v_mov_b32_e32 v27, 0
	ds_read_b64 v[25:26], v27 offset:7280
	ds_read_b32 v27, v27 offset:7540
	s_movk_i32 s0, 0x1c00
	s_waitcnt lgkmcnt(0)
	v_mul_f32_e32 v25, v25, v27
	v_mul_f32_e32 v25, v26, v25
	v_add_u32_e64 v26, s0, 0
	ds_write2_b32 v26, v25, v25 offset0:29 offset1:92
.LBB12_464:
	s_or_b64 exec, exec, s[14:15]
	v_mov_b32_e32 v25, 0
	s_waitcnt lgkmcnt(0)
	s_barrier
	s_and_saveexec_b64 s[16:17], s[2:3]
	s_cbranch_execz .LBB12_468
; %bb.465:
	v_mul_u32_u24_e32 v25, 0x104, v5
	ds_read_b32 v27, v1 offset:7288
	ds_read_b32 v25, v25 offset:7280
	v_mov_b32_e32 v26, 0
	v_cmp_gt_u32_e64 s[14:15], 2, v4
	s_waitcnt lgkmcnt(0)
	v_fma_f32 v25, v27, v25, 0
	s_and_saveexec_b64 s[0:1], s[14:15]
	s_cbranch_execz .LBB12_467
; %bb.466:
	v_lshlrev_b32_e32 v27, 2, v0
	ds_read_b32 v27, v27 offset:7544
	ds_read_b32 v26, v26 offset:7284
	s_waitcnt lgkmcnt(0)
	v_fmac_f32_e32 v25, v27, v26
.LBB12_467:
	s_or_b64 exec, exec, s[0:1]
	v_xor_b32_e32 v25, 0x80000000, v25
.LBB12_468:
	s_or_b64 exec, exec, s[16:17]
	s_and_saveexec_b64 s[0:1], s[30:31]
	s_cbranch_execz .LBB12_470
; %bb.469:
	v_mov_b32_e32 v26, 0
	ds_read_b32 v26, v26 offset:7800
	s_waitcnt lgkmcnt(0)
	v_mul_f32_e32 v25, v25, v26
	ds_write_b32 v3, v25
.LBB12_470:
	s_or_b64 exec, exec, s[0:1]
	s_waitcnt lgkmcnt(0)
	s_barrier
	s_and_saveexec_b64 s[0:1], s[28:29]
	s_cbranch_execz .LBB12_472
; %bb.471:
	v_mov_b32_e32 v26, 0
	ds_read_b32 v26, v26 offset:7804
	ds_read_b32 v27, v3
	s_waitcnt lgkmcnt(0)
	v_fmac_f32_e32 v25, v26, v27
.LBB12_472:
	s_or_b64 exec, exec, s[0:1]
	s_barrier
	s_and_saveexec_b64 s[0:1], s[28:29]
	s_cbranch_execz .LBB12_474
; %bb.473:
	v_mov_b32_e32 v26, 0
	ds_read_b32 v26, v26 offset:8060
	s_waitcnt lgkmcnt(0)
	v_mul_f32_e32 v25, v25, v26
	ds_write_b32 v3, v25
.LBB12_474:
	s_or_b64 exec, exec, s[0:1]
	s_waitcnt lgkmcnt(0)
	s_barrier
	s_barrier
	s_and_saveexec_b64 s[0:1], s[2:3]
; %bb.475:
	v_xor_b32_e32 v25, 0x80000000, v25
	ds_write_b32 v1, v25 offset:7288
; %bb.476:
	s_or_b64 exec, exec, s[0:1]
	s_waitcnt lgkmcnt(0)
	s_barrier
	s_barrier
	s_and_saveexec_b64 s[0:1], s[34:35]
	s_cbranch_execz .LBB12_478
; %bb.477:
	v_lshlrev_b32_e32 v25, 2, v0
	s_movk_i32 s14, 0xfc
	v_mad_u32_u24 v26, v0, s14, v25
	ds_read_b32 v27, v26 offset:7288
	s_waitcnt lgkmcnt(0)
	ds_write_b32 v25, v27 offset:7792
	ds_read_b32 v26, v26 offset:7292
	s_waitcnt lgkmcnt(0)
	ds_write_b32 v25, v26 offset:8048
.LBB12_478:
	s_or_b64 exec, exec, s[0:1]
	s_waitcnt lgkmcnt(0)
	s_barrier
	s_and_saveexec_b64 s[14:15], vcc
	s_cbranch_execz .LBB12_480
; %bb.479:
	v_mov_b32_e32 v27, 0
	ds_read_b64 v[25:26], v27 offset:7800
	ds_read_b32 v27, v27 offset:8060
	s_movk_i32 s0, 0x1c00
	s_waitcnt lgkmcnt(0)
	v_mul_f32_e32 v25, v25, v27
	v_mul_f32_e32 v25, v26, v25
	v_add_u32_e64 v26, s0, 0
	ds_write2_b32 v26, v25, v25 offset0:159 offset1:222
.LBB12_480:
	s_or_b64 exec, exec, s[14:15]
	v_and_b32_e32 v26, 31, v0
	s_movk_i32 s0, 0x3ff
	v_lshrrev_b32_e32 v29, 5, v4
	v_cmp_lt_u32_e64 s[16:17], s0, v4
	s_movk_i32 s0, 0x400
	v_lshlrev_b32_e32 v27, 2, v26
	v_cmp_gt_u32_e64 s[14:15], s0, v4
	v_lshl_or_b32 v25, v29, 8, v27
	v_mov_b32_e32 v28, 0
	s_waitcnt lgkmcnt(0)
	s_barrier
	s_and_saveexec_b64 s[94:95], s[14:15]
	s_cbranch_execz .LBB12_542
; %bb.481:
	v_mul_u32_u24_e32 v30, 0x104, v29
	ds_read_b32 v28, v25 offset:128
	ds_read_b32 v31, v30
	s_movk_i32 s0, 0x3e0
	v_cmp_gt_u32_e64 s[20:21], s0, v4
	s_waitcnt lgkmcnt(0)
	v_fma_f32 v28, v28, v31, 0
	s_and_saveexec_b64 s[0:1], s[20:21]
	s_cbranch_execz .LBB12_483
; %bb.482:
	ds_read_b32 v31, v25 offset:384
	ds_read_b32 v32, v30 offset:4
	s_waitcnt lgkmcnt(0)
	v_fmac_f32_e32 v28, v31, v32
.LBB12_483:
	s_or_b64 exec, exec, s[0:1]
	s_movk_i32 s0, 0x3c0
	v_cmp_gt_u32_e64 s[20:21], s0, v4
	s_and_saveexec_b64 s[0:1], s[20:21]
	s_cbranch_execz .LBB12_485
; %bb.484:
	ds_read_b32 v31, v25 offset:640
	ds_read_b32 v32, v30 offset:8
	s_waitcnt lgkmcnt(0)
	v_fmac_f32_e32 v28, v31, v32
.LBB12_485:
	s_or_b64 exec, exec, s[0:1]
	s_movk_i32 s0, 0x3a0
	v_cmp_gt_u32_e64 s[20:21], s0, v4
	;; [unrolled: 11-line block ×28, first 2 shown]
	s_and_saveexec_b64 s[0:1], s[20:21]
	s_cbranch_execnz .LBB12_1229
; %bb.538:
	s_or_b64 exec, exec, s[0:1]
	v_cmp_gt_u32_e64 s[20:21], 64, v4
	s_and_saveexec_b64 s[0:1], s[20:21]
	s_cbranch_execnz .LBB12_1230
.LBB12_539:
	s_or_b64 exec, exec, s[0:1]
	v_cmp_gt_u32_e64 s[20:21], 32, v4
	s_and_saveexec_b64 s[0:1], s[20:21]
	s_cbranch_execz .LBB12_541
.LBB12_540:
	v_lshlrev_b32_e32 v30, 2, v0
	v_mov_b32_e32 v31, 0
	ds_read_b32 v30, v30 offset:8064
	ds_read_b32 v31, v31 offset:124
	s_waitcnt lgkmcnt(0)
	v_fmac_f32_e32 v28, v30, v31
.LBB12_541:
	s_or_b64 exec, exec, s[0:1]
	v_xor_b32_e32 v28, 0x80000000, v28
.LBB12_542:
	s_or_b64 exec, exec, s[94:95]
	v_mov_b32_e32 v30, 0x4000
	v_cmp_eq_u32_e64 s[20:21], 0, v26
	s_xor_b64 s[94:95], s[16:17], -1
	v_lshl_or_b32 v29, v29, 2, v30
	s_and_b64 s[16:17], s[20:21], s[94:95]
	s_and_saveexec_b64 s[0:1], s[16:17]
	s_cbranch_execz .LBB12_544
; %bb.543:
	v_mov_b32_e32 v30, 0
	ds_read_b32 v30, v30 offset:8320
	s_waitcnt lgkmcnt(0)
	v_mul_f32_e32 v28, v28, v30
	ds_write_b32 v29, v28
.LBB12_544:
	s_or_b64 exec, exec, s[0:1]
	v_cmp_ne_u32_e64 s[16:17], 0, v26
	s_and_b64 s[16:17], s[16:17], s[94:95]
	s_waitcnt lgkmcnt(0)
	s_barrier
	s_and_saveexec_b64 s[0:1], s[16:17]
	s_cbranch_execz .LBB12_546
; %bb.545:
	ds_read_b32 v30, v27 offset:8320
	ds_read_b32 v31, v29
	s_waitcnt lgkmcnt(0)
	v_fmac_f32_e32 v28, v30, v31
.LBB12_546:
	s_or_b64 exec, exec, s[0:1]
	v_cmp_eq_u32_e64 s[16:17], 1, v26
	s_and_b64 s[16:17], s[16:17], s[94:95]
	s_barrier
	s_and_saveexec_b64 s[0:1], s[16:17]
	s_cbranch_execz .LBB12_548
; %bb.547:
	v_mov_b32_e32 v30, 0
	ds_read_b32 v30, v30 offset:8580
	s_waitcnt lgkmcnt(0)
	v_mul_f32_e32 v28, v28, v30
	ds_write_b32 v29, v28
.LBB12_548:
	s_or_b64 exec, exec, s[0:1]
	v_cmp_lt_u32_e64 s[16:17], 1, v26
	s_and_b64 s[16:17], s[16:17], s[94:95]
	s_waitcnt lgkmcnt(0)
	s_barrier
	s_and_saveexec_b64 s[0:1], s[16:17]
	s_cbranch_execz .LBB12_550
; %bb.549:
	ds_read_b32 v30, v27 offset:8576
	ds_read_b32 v31, v29
	s_waitcnt lgkmcnt(0)
	v_fmac_f32_e32 v28, v30, v31
.LBB12_550:
	s_or_b64 exec, exec, s[0:1]
	v_cmp_eq_u32_e64 s[16:17], 2, v26
	s_and_b64 s[16:17], s[16:17], s[94:95]
	s_barrier
	s_and_saveexec_b64 s[0:1], s[16:17]
	s_cbranch_execz .LBB12_552
; %bb.551:
	v_mov_b32_e32 v30, 0
	ds_read_b32 v30, v30 offset:8840
	s_waitcnt lgkmcnt(0)
	v_mul_f32_e32 v28, v28, v30
	ds_write_b32 v29, v28
.LBB12_552:
	s_or_b64 exec, exec, s[0:1]
	v_cmp_lt_u32_e64 s[16:17], 2, v26
	;; [unrolled: 26-line block ×29, first 2 shown]
	s_and_b64 s[16:17], s[16:17], s[94:95]
	s_waitcnt lgkmcnt(0)
	s_barrier
	s_and_saveexec_b64 s[0:1], s[16:17]
	s_cbranch_execz .LBB12_662
; %bb.661:
	ds_read_b32 v27, v27 offset:15744
	ds_read_b32 v30, v29
	s_waitcnt lgkmcnt(0)
	v_fmac_f32_e32 v28, v27, v30
.LBB12_662:
	s_or_b64 exec, exec, s[0:1]
	v_cmp_eq_u32_e64 s[16:17], 30, v26
	s_and_b64 s[16:17], s[16:17], s[94:95]
	s_barrier
	s_and_saveexec_b64 s[0:1], s[16:17]
	s_cbranch_execz .LBB12_664
; %bb.663:
	v_mov_b32_e32 v27, 0
	ds_read_b32 v27, v27 offset:16120
	s_waitcnt lgkmcnt(0)
	v_mul_f32_e32 v28, v28, v27
	ds_write_b32 v29, v28
.LBB12_664:
	s_or_b64 exec, exec, s[0:1]
	v_cmp_eq_u32_e64 s[16:17], 31, v26
	s_and_b64 s[16:17], s[16:17], s[94:95]
	s_waitcnt lgkmcnt(0)
	s_barrier
	s_and_saveexec_b64 s[0:1], s[16:17]
	s_cbranch_execz .LBB12_666
; %bb.665:
	v_mov_b32_e32 v26, 0
	ds_read_b32 v26, v26 offset:16124
	ds_read_b32 v27, v29
	s_waitcnt lgkmcnt(0)
	v_fmac_f32_e32 v28, v26, v27
.LBB12_666:
	s_or_b64 exec, exec, s[0:1]
	s_barrier
	s_and_saveexec_b64 s[0:1], s[16:17]
	s_cbranch_execz .LBB12_668
; %bb.667:
	v_mov_b32_e32 v26, 0
	ds_read_b32 v26, v26 offset:16380
	s_waitcnt lgkmcnt(0)
	v_mul_f32_e32 v28, v28, v26
	ds_write_b32 v29, v28
.LBB12_668:
	s_or_b64 exec, exec, s[0:1]
	s_waitcnt lgkmcnt(0)
	s_barrier
	s_barrier
	s_and_saveexec_b64 s[0:1], s[14:15]
; %bb.669:
	v_xor_b32_e32 v26, 0x80000000, v28
	ds_write_b32 v25, v26 offset:128
; %bb.670:
	s_or_b64 exec, exec, s[0:1]
	v_cmp_gt_u32_e64 s[14:15], 32, v0
	s_and_b64 s[0:1], s[12:13], s[14:15]
	s_waitcnt lgkmcnt(0)
	s_barrier
	s_barrier
	s_and_saveexec_b64 s[12:13], s[0:1]
	s_cbranch_execz .LBB12_672
; %bb.671:
	v_lshlrev_b32_e32 v25, 8, v0
	ds_read_b32 v26, v25 offset:128
	s_movk_i32 s0, 0xff04
	v_mad_i32_i24 v27, v0, s0, v25
	s_waitcnt lgkmcnt(0)
	ds_write_b32 v27, v26 offset:8192
	ds_read_b32 v26, v25 offset:132
	s_waitcnt lgkmcnt(0)
	ds_write_b32 v27, v26 offset:8448
	ds_read_b32 v26, v25 offset:136
	;; [unrolled: 3-line block ×31, first 2 shown]
	s_waitcnt lgkmcnt(0)
	ds_write_b32 v27, v25 offset:16128
.LBB12_672:
	s_or_b64 exec, exec, s[12:13]
	s_waitcnt lgkmcnt(0)
	s_barrier
	s_and_saveexec_b64 s[12:13], vcc
	s_cbranch_execz .LBB12_674
; %bb.673:
	v_mov_b32_e32 v27, 0
	ds_read_b64 v[25:26], v27 offset:8320
	ds_read_b32 v27, v27 offset:8580
	s_movk_i32 s0, 0x2000
	s_waitcnt lgkmcnt(0)
	v_mul_f32_e32 v25, v25, v27
	v_mul_f32_e32 v25, v26, v25
	v_add_u32_e64 v26, s0, 0
	ds_write2_b32 v26, v25, v25 offset0:33 offset1:96
.LBB12_674:
	s_or_b64 exec, exec, s[12:13]
	v_mov_b32_e32 v25, 0
	s_waitcnt lgkmcnt(0)
	s_barrier
	s_and_saveexec_b64 s[14:15], s[2:3]
	s_cbranch_execz .LBB12_678
; %bb.675:
	v_mul_u32_u24_e32 v25, 0x104, v5
	ds_read_b32 v27, v1 offset:8328
	ds_read_b32 v25, v25 offset:8320
	v_mov_b32_e32 v26, 0
	v_cmp_gt_u32_e64 s[12:13], 2, v4
	s_waitcnt lgkmcnt(0)
	v_fma_f32 v25, v27, v25, 0
	s_and_saveexec_b64 s[0:1], s[12:13]
	s_cbranch_execz .LBB12_677
; %bb.676:
	v_lshlrev_b32_e32 v27, 2, v0
	ds_read_b32 v27, v27 offset:8584
	ds_read_b32 v26, v26 offset:8324
	s_waitcnt lgkmcnt(0)
	v_fmac_f32_e32 v25, v27, v26
.LBB12_677:
	s_or_b64 exec, exec, s[0:1]
	v_xor_b32_e32 v25, 0x80000000, v25
.LBB12_678:
	s_or_b64 exec, exec, s[14:15]
	s_and_saveexec_b64 s[0:1], s[30:31]
	s_cbranch_execz .LBB12_680
; %bb.679:
	v_mov_b32_e32 v26, 0
	ds_read_b32 v26, v26 offset:8840
	s_waitcnt lgkmcnt(0)
	v_mul_f32_e32 v25, v25, v26
	ds_write_b32 v3, v25
.LBB12_680:
	s_or_b64 exec, exec, s[0:1]
	s_waitcnt lgkmcnt(0)
	s_barrier
	s_and_saveexec_b64 s[0:1], s[28:29]
	s_cbranch_execz .LBB12_682
; %bb.681:
	v_mov_b32_e32 v26, 0
	ds_read_b32 v26, v26 offset:8844
	ds_read_b32 v27, v3
	s_waitcnt lgkmcnt(0)
	v_fmac_f32_e32 v25, v26, v27
.LBB12_682:
	s_or_b64 exec, exec, s[0:1]
	s_barrier
	s_and_saveexec_b64 s[0:1], s[28:29]
	s_cbranch_execz .LBB12_684
; %bb.683:
	v_mov_b32_e32 v26, 0
	ds_read_b32 v26, v26 offset:9100
	s_waitcnt lgkmcnt(0)
	v_mul_f32_e32 v25, v25, v26
	ds_write_b32 v3, v25
.LBB12_684:
	s_or_b64 exec, exec, s[0:1]
	s_waitcnt lgkmcnt(0)
	s_barrier
	s_barrier
	s_and_saveexec_b64 s[0:1], s[2:3]
; %bb.685:
	v_xor_b32_e32 v25, 0x80000000, v25
	ds_write_b32 v1, v25 offset:8328
; %bb.686:
	s_or_b64 exec, exec, s[0:1]
	s_waitcnt lgkmcnt(0)
	s_barrier
	s_barrier
	s_and_saveexec_b64 s[0:1], s[34:35]
	s_cbranch_execz .LBB12_688
; %bb.687:
	v_lshlrev_b32_e32 v25, 2, v0
	s_movk_i32 s12, 0xfc
	v_mad_u32_u24 v26, v0, s12, v25
	ds_read_b32 v27, v26 offset:8328
	s_waitcnt lgkmcnt(0)
	ds_write_b32 v25, v27 offset:8832
	ds_read_b32 v26, v26 offset:8332
	s_waitcnt lgkmcnt(0)
	ds_write_b32 v25, v26 offset:9088
.LBB12_688:
	s_or_b64 exec, exec, s[0:1]
	s_waitcnt lgkmcnt(0)
	s_barrier
	s_and_saveexec_b64 s[12:13], vcc
	s_cbranch_execz .LBB12_690
; %bb.689:
	v_mov_b32_e32 v27, 0
	ds_read_b64 v[25:26], v27 offset:8840
	ds_read_b32 v27, v27 offset:9100
	s_movk_i32 s0, 0x2000
	s_waitcnt lgkmcnt(0)
	v_mul_f32_e32 v25, v25, v27
	v_mul_f32_e32 v25, v26, v25
	v_add_u32_e64 v26, s0, 0
	ds_write2_b32 v26, v25, v25 offset0:163 offset1:226
.LBB12_690:
	s_or_b64 exec, exec, s[12:13]
	v_mov_b32_e32 v25, 0
	s_waitcnt lgkmcnt(0)
	s_barrier
	s_and_saveexec_b64 s[14:15], s[18:19]
	s_cbranch_execz .LBB12_696
; %bb.691:
	v_mul_u32_u24_e32 v26, 0x104, v14
	ds_read_b32 v25, v6 offset:8336
	ds_read_b32 v27, v26 offset:8320
	v_cmp_gt_u32_e64 s[12:13], 12, v4
	s_waitcnt lgkmcnt(0)
	v_fma_f32 v25, v25, v27, 0
	s_and_saveexec_b64 s[16:17], s[12:13]
	s_cbranch_execnz .LBB12_1231
; %bb.692:
	s_or_b64 exec, exec, s[16:17]
	v_cmp_gt_u32_e64 s[12:13], 8, v4
	s_and_saveexec_b64 s[0:1], s[12:13]
	s_cbranch_execnz .LBB12_1232
.LBB12_693:
	s_or_b64 exec, exec, s[0:1]
	v_cmp_gt_u32_e64 s[12:13], 4, v4
	s_and_saveexec_b64 s[0:1], s[12:13]
	s_cbranch_execz .LBB12_695
.LBB12_694:
	v_lshlrev_b32_e32 v26, 2, v0
	v_mov_b32_e32 v27, 0
	ds_read_b32 v26, v26 offset:9104
	ds_read_b32 v27, v27 offset:8332
	s_waitcnt lgkmcnt(0)
	v_fmac_f32_e32 v25, v26, v27
.LBB12_695:
	s_or_b64 exec, exec, s[0:1]
	v_xor_b32_e32 v25, 0x80000000, v25
.LBB12_696:
	s_or_b64 exec, exec, s[14:15]
	s_and_saveexec_b64 s[0:1], s[38:39]
	s_cbranch_execz .LBB12_698
; %bb.697:
	v_mov_b32_e32 v26, 0
	ds_read_b32 v26, v26 offset:9360
	s_waitcnt lgkmcnt(0)
	v_mul_f32_e32 v25, v25, v26
	ds_write_b32 v12, v25
.LBB12_698:
	s_or_b64 exec, exec, s[0:1]
	s_waitcnt lgkmcnt(0)
	s_barrier
	s_and_saveexec_b64 s[0:1], s[42:43]
	s_cbranch_execz .LBB12_700
; %bb.699:
	ds_read_b32 v26, v11 offset:9360
	ds_read_b32 v27, v12
	s_waitcnt lgkmcnt(0)
	v_fmac_f32_e32 v25, v26, v27
.LBB12_700:
	s_or_b64 exec, exec, s[0:1]
	s_barrier
	s_and_saveexec_b64 s[0:1], s[44:45]
	s_cbranch_execz .LBB12_702
; %bb.701:
	v_mov_b32_e32 v26, 0
	ds_read_b32 v26, v26 offset:9620
	s_waitcnt lgkmcnt(0)
	v_mul_f32_e32 v25, v25, v26
	ds_write_b32 v12, v25
.LBB12_702:
	s_or_b64 exec, exec, s[0:1]
	s_waitcnt lgkmcnt(0)
	s_barrier
	s_and_saveexec_b64 s[0:1], s[52:53]
	s_cbranch_execz .LBB12_704
; %bb.703:
	ds_read_b32 v26, v11 offset:9616
	ds_read_b32 v27, v12
	s_waitcnt lgkmcnt(0)
	v_fmac_f32_e32 v25, v26, v27
.LBB12_704:
	s_or_b64 exec, exec, s[0:1]
	s_barrier
	s_and_saveexec_b64 s[0:1], s[54:55]
	s_cbranch_execz .LBB12_706
; %bb.705:
	v_mov_b32_e32 v26, 0
	ds_read_b32 v26, v26 offset:9880
	s_waitcnt lgkmcnt(0)
	v_mul_f32_e32 v25, v25, v26
	ds_write_b32 v12, v25
.LBB12_706:
	s_or_b64 exec, exec, s[0:1]
	s_waitcnt lgkmcnt(0)
	s_barrier
	s_and_saveexec_b64 s[0:1], s[36:37]
	s_cbranch_execz .LBB12_708
; %bb.707:
	v_mov_b32_e32 v26, 0
	ds_read_b32 v26, v26 offset:9884
	ds_read_b32 v27, v12
	s_waitcnt lgkmcnt(0)
	v_fmac_f32_e32 v25, v26, v27
.LBB12_708:
	s_or_b64 exec, exec, s[0:1]
	s_barrier
	s_and_saveexec_b64 s[0:1], s[36:37]
	s_cbranch_execz .LBB12_710
; %bb.709:
	v_mov_b32_e32 v26, 0
	ds_read_b32 v26, v26 offset:10140
	s_waitcnt lgkmcnt(0)
	v_mul_f32_e32 v25, v25, v26
	ds_write_b32 v12, v25
.LBB12_710:
	s_or_b64 exec, exec, s[0:1]
	s_waitcnt lgkmcnt(0)
	s_barrier
	s_barrier
	s_and_saveexec_b64 s[0:1], s[18:19]
; %bb.711:
	v_xor_b32_e32 v25, 0x80000000, v25
	ds_write_b32 v6, v25 offset:8336
; %bb.712:
	s_or_b64 exec, exec, s[0:1]
	s_waitcnt lgkmcnt(0)
	s_barrier
	s_barrier
	s_and_saveexec_b64 s[12:13], s[56:57]
	s_cbranch_execz .LBB12_714
; %bb.713:
	v_lshlrev_b32_e32 v25, 8, v0
	ds_read_b32 v26, v25 offset:8336
	s_movk_i32 s0, 0xff04
	v_mad_i32_i24 v27, v0, s0, v25
	s_waitcnt lgkmcnt(0)
	ds_write_b32 v27, v26 offset:9344
	ds_read_b32 v26, v25 offset:8340
	s_waitcnt lgkmcnt(0)
	ds_write_b32 v27, v26 offset:9600
	ds_read_b32 v26, v25 offset:8344
	;; [unrolled: 3-line block ×3, first 2 shown]
	s_waitcnt lgkmcnt(0)
	ds_write_b32 v27, v25 offset:10112
.LBB12_714:
	s_or_b64 exec, exec, s[12:13]
	s_waitcnt lgkmcnt(0)
	s_barrier
	s_and_saveexec_b64 s[12:13], vcc
	s_cbranch_execz .LBB12_716
; %bb.715:
	v_mov_b32_e32 v27, 0
	ds_read_b64 v[25:26], v27 offset:9360
	ds_read_b32 v27, v27 offset:9620
	s_movk_i32 s0, 0x2400
	s_waitcnt lgkmcnt(0)
	v_mul_f32_e32 v25, v25, v27
	v_mul_f32_e32 v25, v26, v25
	v_add_u32_e64 v26, s0, 0
	ds_write2_b32 v26, v25, v25 offset0:37 offset1:100
.LBB12_716:
	s_or_b64 exec, exec, s[12:13]
	v_mov_b32_e32 v25, 0
	s_waitcnt lgkmcnt(0)
	s_barrier
	s_and_saveexec_b64 s[14:15], s[2:3]
	s_cbranch_execz .LBB12_720
; %bb.717:
	v_mul_u32_u24_e32 v25, 0x104, v5
	ds_read_b32 v27, v1 offset:9368
	ds_read_b32 v25, v25 offset:9360
	v_mov_b32_e32 v26, 0
	v_cmp_gt_u32_e64 s[12:13], 2, v4
	s_waitcnt lgkmcnt(0)
	v_fma_f32 v25, v27, v25, 0
	s_and_saveexec_b64 s[0:1], s[12:13]
	s_cbranch_execz .LBB12_719
; %bb.718:
	v_lshlrev_b32_e32 v27, 2, v0
	ds_read_b32 v27, v27 offset:9624
	ds_read_b32 v26, v26 offset:9364
	s_waitcnt lgkmcnt(0)
	v_fmac_f32_e32 v25, v27, v26
.LBB12_719:
	s_or_b64 exec, exec, s[0:1]
	v_xor_b32_e32 v25, 0x80000000, v25
.LBB12_720:
	s_or_b64 exec, exec, s[14:15]
	s_and_saveexec_b64 s[0:1], s[30:31]
	s_cbranch_execz .LBB12_722
; %bb.721:
	v_mov_b32_e32 v26, 0
	ds_read_b32 v26, v26 offset:9880
	s_waitcnt lgkmcnt(0)
	v_mul_f32_e32 v25, v25, v26
	ds_write_b32 v3, v25
.LBB12_722:
	s_or_b64 exec, exec, s[0:1]
	s_waitcnt lgkmcnt(0)
	s_barrier
	s_and_saveexec_b64 s[0:1], s[28:29]
	s_cbranch_execz .LBB12_724
; %bb.723:
	v_mov_b32_e32 v26, 0
	ds_read_b32 v26, v26 offset:9884
	ds_read_b32 v27, v3
	s_waitcnt lgkmcnt(0)
	v_fmac_f32_e32 v25, v26, v27
.LBB12_724:
	s_or_b64 exec, exec, s[0:1]
	s_barrier
	s_and_saveexec_b64 s[0:1], s[28:29]
	s_cbranch_execz .LBB12_726
; %bb.725:
	v_mov_b32_e32 v26, 0
	ds_read_b32 v26, v26 offset:10140
	s_waitcnt lgkmcnt(0)
	v_mul_f32_e32 v25, v25, v26
	ds_write_b32 v3, v25
.LBB12_726:
	s_or_b64 exec, exec, s[0:1]
	s_waitcnt lgkmcnt(0)
	s_barrier
	s_barrier
	s_and_saveexec_b64 s[0:1], s[2:3]
; %bb.727:
	v_xor_b32_e32 v25, 0x80000000, v25
	ds_write_b32 v1, v25 offset:9368
; %bb.728:
	s_or_b64 exec, exec, s[0:1]
	s_waitcnt lgkmcnt(0)
	s_barrier
	s_barrier
	s_and_saveexec_b64 s[0:1], s[34:35]
	s_cbranch_execz .LBB12_730
; %bb.729:
	v_lshlrev_b32_e32 v25, 2, v0
	s_movk_i32 s12, 0xfc
	v_mad_u32_u24 v26, v0, s12, v25
	ds_read_b32 v27, v26 offset:9368
	s_waitcnt lgkmcnt(0)
	ds_write_b32 v25, v27 offset:9872
	ds_read_b32 v26, v26 offset:9372
	s_waitcnt lgkmcnt(0)
	ds_write_b32 v25, v26 offset:10128
.LBB12_730:
	s_or_b64 exec, exec, s[0:1]
	s_waitcnt lgkmcnt(0)
	s_barrier
	s_and_saveexec_b64 s[12:13], vcc
	s_cbranch_execz .LBB12_732
; %bb.731:
	v_mov_b32_e32 v27, 0
	ds_read_b64 v[25:26], v27 offset:9880
	ds_read_b32 v27, v27 offset:10140
	s_movk_i32 s0, 0x2400
	s_waitcnt lgkmcnt(0)
	v_mul_f32_e32 v25, v25, v27
	v_mul_f32_e32 v25, v26, v25
	v_add_u32_e64 v26, s0, 0
	ds_write2_b32 v26, v25, v25 offset0:167 offset1:230
.LBB12_732:
	s_or_b64 exec, exec, s[12:13]
	v_mov_b32_e32 v25, 0
	s_waitcnt lgkmcnt(0)
	s_barrier
	s_and_saveexec_b64 s[14:15], s[8:9]
	s_cbranch_execz .LBB12_742
; %bb.733:
	v_mul_u32_u24_e32 v26, 0x104, v19
	ds_read_b32 v25, v15 offset:8352
	ds_read_b32 v27, v26 offset:8320
	v_cmp_gt_u32_e64 s[12:13], 56, v4
	s_waitcnt lgkmcnt(0)
	v_fma_f32 v25, v25, v27, 0
	s_and_saveexec_b64 s[16:17], s[12:13]
	s_cbranch_execnz .LBB12_1233
; %bb.734:
	s_or_b64 exec, exec, s[16:17]
	v_cmp_gt_u32_e64 s[12:13], 48, v4
	s_and_saveexec_b64 s[0:1], s[12:13]
	s_cbranch_execnz .LBB12_1234
.LBB12_735:
	s_or_b64 exec, exec, s[0:1]
	v_cmp_gt_u32_e64 s[12:13], 40, v4
	s_and_saveexec_b64 s[0:1], s[12:13]
	s_cbranch_execnz .LBB12_1235
.LBB12_736:
	s_or_b64 exec, exec, s[0:1]
	v_cmp_gt_u32_e64 s[12:13], 32, v4
	s_and_saveexec_b64 s[0:1], s[12:13]
	s_cbranch_execnz .LBB12_1236
.LBB12_737:
	s_or_b64 exec, exec, s[0:1]
	v_cmp_gt_u32_e64 s[12:13], 24, v4
	s_and_saveexec_b64 s[0:1], s[12:13]
	s_cbranch_execnz .LBB12_1237
.LBB12_738:
	s_or_b64 exec, exec, s[0:1]
	v_cmp_gt_u32_e64 s[12:13], 16, v4
	s_and_saveexec_b64 s[0:1], s[12:13]
	s_cbranch_execnz .LBB12_1238
.LBB12_739:
	s_or_b64 exec, exec, s[0:1]
	v_cmp_gt_u32_e64 s[12:13], 8, v4
	s_and_saveexec_b64 s[0:1], s[12:13]
	s_cbranch_execz .LBB12_741
.LBB12_740:
	v_lshlrev_b32_e32 v26, 2, v0
	v_mov_b32_e32 v27, 0
	ds_read_b32 v26, v26 offset:10144
	ds_read_b32 v27, v27 offset:8348
	s_waitcnt lgkmcnt(0)
	v_fmac_f32_e32 v25, v26, v27
.LBB12_741:
	s_or_b64 exec, exec, s[0:1]
	v_xor_b32_e32 v25, 0x80000000, v25
.LBB12_742:
	s_or_b64 exec, exec, s[14:15]
	s_and_saveexec_b64 s[0:1], s[58:59]
	s_cbranch_execz .LBB12_744
; %bb.743:
	v_mov_b32_e32 v26, 0
	ds_read_b32 v26, v26 offset:10400
	s_waitcnt lgkmcnt(0)
	v_mul_f32_e32 v25, v25, v26
	ds_write_b32 v17, v25
.LBB12_744:
	s_or_b64 exec, exec, s[0:1]
	s_waitcnt lgkmcnt(0)
	s_barrier
	s_and_saveexec_b64 s[0:1], s[60:61]
	s_cbranch_execz .LBB12_746
; %bb.745:
	ds_read_b32 v26, v16 offset:10400
	ds_read_b32 v27, v17
	s_waitcnt lgkmcnt(0)
	v_fmac_f32_e32 v25, v26, v27
.LBB12_746:
	s_or_b64 exec, exec, s[0:1]
	s_barrier
	s_and_saveexec_b64 s[0:1], s[62:63]
	s_cbranch_execz .LBB12_748
; %bb.747:
	v_mov_b32_e32 v26, 0
	ds_read_b32 v26, v26 offset:10660
	s_waitcnt lgkmcnt(0)
	v_mul_f32_e32 v25, v25, v26
	ds_write_b32 v17, v25
.LBB12_748:
	s_or_b64 exec, exec, s[0:1]
	s_waitcnt lgkmcnt(0)
	s_barrier
	s_and_saveexec_b64 s[0:1], s[64:65]
	s_cbranch_execz .LBB12_750
; %bb.749:
	ds_read_b32 v26, v16 offset:10656
	ds_read_b32 v27, v17
	s_waitcnt lgkmcnt(0)
	v_fmac_f32_e32 v25, v26, v27
.LBB12_750:
	s_or_b64 exec, exec, s[0:1]
	s_barrier
	;; [unrolled: 22-line block ×6, first 2 shown]
	s_and_saveexec_b64 s[0:1], s[84:85]
	s_cbranch_execz .LBB12_768
; %bb.767:
	v_mov_b32_e32 v26, 0
	ds_read_b32 v26, v26 offset:11960
	s_waitcnt lgkmcnt(0)
	v_mul_f32_e32 v25, v25, v26
	ds_write_b32 v17, v25
.LBB12_768:
	s_or_b64 exec, exec, s[0:1]
	s_waitcnt lgkmcnt(0)
	s_barrier
	s_and_saveexec_b64 s[0:1], s[66:67]
	s_cbranch_execz .LBB12_770
; %bb.769:
	v_mov_b32_e32 v26, 0
	ds_read_b32 v26, v26 offset:11964
	ds_read_b32 v27, v17
	s_waitcnt lgkmcnt(0)
	v_fmac_f32_e32 v25, v26, v27
.LBB12_770:
	s_or_b64 exec, exec, s[0:1]
	s_barrier
	s_and_saveexec_b64 s[0:1], s[66:67]
	s_cbranch_execz .LBB12_772
; %bb.771:
	v_mov_b32_e32 v26, 0
	ds_read_b32 v26, v26 offset:12220
	s_waitcnt lgkmcnt(0)
	v_mul_f32_e32 v25, v25, v26
	ds_write_b32 v17, v25
.LBB12_772:
	s_or_b64 exec, exec, s[0:1]
	s_waitcnt lgkmcnt(0)
	s_barrier
	s_barrier
	s_and_saveexec_b64 s[0:1], s[8:9]
; %bb.773:
	v_xor_b32_e32 v25, 0x80000000, v25
	ds_write_b32 v15, v25 offset:8352
; %bb.774:
	s_or_b64 exec, exec, s[0:1]
	s_waitcnt lgkmcnt(0)
	s_barrier
	s_barrier
	s_and_saveexec_b64 s[12:13], s[86:87]
	s_cbranch_execz .LBB12_776
; %bb.775:
	v_lshlrev_b32_e32 v25, 8, v0
	ds_read_b32 v26, v25 offset:8352
	s_movk_i32 s0, 0xff04
	v_mad_i32_i24 v27, v0, s0, v25
	s_waitcnt lgkmcnt(0)
	ds_write_b32 v27, v26 offset:10368
	ds_read_b32 v26, v25 offset:8356
	s_waitcnt lgkmcnt(0)
	ds_write_b32 v27, v26 offset:10624
	ds_read_b32 v26, v25 offset:8360
	;; [unrolled: 3-line block ×7, first 2 shown]
	s_waitcnt lgkmcnt(0)
	ds_write_b32 v27, v25 offset:12160
.LBB12_776:
	s_or_b64 exec, exec, s[12:13]
	s_waitcnt lgkmcnt(0)
	s_barrier
	s_and_saveexec_b64 s[12:13], vcc
	s_cbranch_execz .LBB12_778
; %bb.777:
	v_mov_b32_e32 v27, 0
	ds_read_b64 v[25:26], v27 offset:10400
	ds_read_b32 v27, v27 offset:10660
	s_movk_i32 s0, 0x2800
	s_waitcnt lgkmcnt(0)
	v_mul_f32_e32 v25, v25, v27
	v_mul_f32_e32 v25, v26, v25
	v_add_u32_e64 v26, s0, 0
	ds_write2_b32 v26, v25, v25 offset0:41 offset1:104
.LBB12_778:
	s_or_b64 exec, exec, s[12:13]
	v_mov_b32_e32 v25, 0
	s_waitcnt lgkmcnt(0)
	s_barrier
	s_and_saveexec_b64 s[14:15], s[2:3]
	s_cbranch_execz .LBB12_782
; %bb.779:
	v_mul_u32_u24_e32 v25, 0x104, v5
	ds_read_b32 v27, v1 offset:10408
	ds_read_b32 v25, v25 offset:10400
	v_mov_b32_e32 v26, 0
	v_cmp_gt_u32_e64 s[12:13], 2, v4
	s_waitcnt lgkmcnt(0)
	v_fma_f32 v25, v27, v25, 0
	s_and_saveexec_b64 s[0:1], s[12:13]
	s_cbranch_execz .LBB12_781
; %bb.780:
	v_lshlrev_b32_e32 v27, 2, v0
	ds_read_b32 v27, v27 offset:10664
	ds_read_b32 v26, v26 offset:10404
	s_waitcnt lgkmcnt(0)
	v_fmac_f32_e32 v25, v27, v26
.LBB12_781:
	s_or_b64 exec, exec, s[0:1]
	v_xor_b32_e32 v25, 0x80000000, v25
.LBB12_782:
	s_or_b64 exec, exec, s[14:15]
	s_and_saveexec_b64 s[0:1], s[30:31]
	s_cbranch_execz .LBB12_784
; %bb.783:
	v_mov_b32_e32 v26, 0
	ds_read_b32 v26, v26 offset:10920
	s_waitcnt lgkmcnt(0)
	v_mul_f32_e32 v25, v25, v26
	ds_write_b32 v3, v25
.LBB12_784:
	s_or_b64 exec, exec, s[0:1]
	s_waitcnt lgkmcnt(0)
	s_barrier
	s_and_saveexec_b64 s[0:1], s[28:29]
	s_cbranch_execz .LBB12_786
; %bb.785:
	v_mov_b32_e32 v26, 0
	ds_read_b32 v26, v26 offset:10924
	ds_read_b32 v27, v3
	s_waitcnt lgkmcnt(0)
	v_fmac_f32_e32 v25, v26, v27
.LBB12_786:
	s_or_b64 exec, exec, s[0:1]
	s_barrier
	s_and_saveexec_b64 s[0:1], s[28:29]
	s_cbranch_execz .LBB12_788
; %bb.787:
	v_mov_b32_e32 v26, 0
	ds_read_b32 v26, v26 offset:11180
	s_waitcnt lgkmcnt(0)
	v_mul_f32_e32 v25, v25, v26
	ds_write_b32 v3, v25
.LBB12_788:
	s_or_b64 exec, exec, s[0:1]
	s_waitcnt lgkmcnt(0)
	s_barrier
	s_barrier
	s_and_saveexec_b64 s[0:1], s[2:3]
; %bb.789:
	v_xor_b32_e32 v25, 0x80000000, v25
	ds_write_b32 v1, v25 offset:10408
; %bb.790:
	s_or_b64 exec, exec, s[0:1]
	s_waitcnt lgkmcnt(0)
	s_barrier
	s_barrier
	s_and_saveexec_b64 s[0:1], s[34:35]
	s_cbranch_execz .LBB12_792
; %bb.791:
	v_lshlrev_b32_e32 v25, 2, v0
	s_movk_i32 s12, 0xfc
	v_mad_u32_u24 v26, v0, s12, v25
	ds_read_b32 v27, v26 offset:10408
	s_waitcnt lgkmcnt(0)
	ds_write_b32 v25, v27 offset:10912
	ds_read_b32 v26, v26 offset:10412
	s_waitcnt lgkmcnt(0)
	ds_write_b32 v25, v26 offset:11168
.LBB12_792:
	s_or_b64 exec, exec, s[0:1]
	s_waitcnt lgkmcnt(0)
	s_barrier
	s_and_saveexec_b64 s[12:13], vcc
	s_cbranch_execz .LBB12_794
; %bb.793:
	v_mov_b32_e32 v27, 0
	ds_read_b64 v[25:26], v27 offset:10920
	ds_read_b32 v27, v27 offset:11180
	s_movk_i32 s0, 0x2800
	s_waitcnt lgkmcnt(0)
	v_mul_f32_e32 v25, v25, v27
	v_mul_f32_e32 v25, v26, v25
	v_add_u32_e64 v26, s0, 0
	ds_write2_b32 v26, v25, v25 offset0:171 offset1:234
.LBB12_794:
	s_or_b64 exec, exec, s[12:13]
	v_mov_b32_e32 v25, 0
	s_waitcnt lgkmcnt(0)
	s_barrier
	s_and_saveexec_b64 s[14:15], s[18:19]
	s_cbranch_execz .LBB12_800
; %bb.795:
	v_mul_u32_u24_e32 v26, 0x104, v14
	ds_read_b32 v25, v6 offset:10416
	ds_read_b32 v27, v26 offset:10400
	v_cmp_gt_u32_e64 s[12:13], 12, v4
	s_waitcnt lgkmcnt(0)
	v_fma_f32 v25, v25, v27, 0
	s_and_saveexec_b64 s[16:17], s[12:13]
	s_cbranch_execnz .LBB12_1239
; %bb.796:
	s_or_b64 exec, exec, s[16:17]
	v_cmp_gt_u32_e64 s[12:13], 8, v4
	s_and_saveexec_b64 s[0:1], s[12:13]
	s_cbranch_execnz .LBB12_1240
.LBB12_797:
	s_or_b64 exec, exec, s[0:1]
	v_cmp_gt_u32_e64 s[12:13], 4, v4
	s_and_saveexec_b64 s[0:1], s[12:13]
	s_cbranch_execz .LBB12_799
.LBB12_798:
	v_lshlrev_b32_e32 v26, 2, v0
	v_mov_b32_e32 v27, 0
	ds_read_b32 v26, v26 offset:11184
	ds_read_b32 v27, v27 offset:10412
	s_waitcnt lgkmcnt(0)
	v_fmac_f32_e32 v25, v26, v27
.LBB12_799:
	s_or_b64 exec, exec, s[0:1]
	v_xor_b32_e32 v25, 0x80000000, v25
.LBB12_800:
	s_or_b64 exec, exec, s[14:15]
	s_and_saveexec_b64 s[0:1], s[38:39]
	s_cbranch_execz .LBB12_802
; %bb.801:
	v_mov_b32_e32 v26, 0
	ds_read_b32 v26, v26 offset:11440
	s_waitcnt lgkmcnt(0)
	v_mul_f32_e32 v25, v25, v26
	ds_write_b32 v12, v25
.LBB12_802:
	s_or_b64 exec, exec, s[0:1]
	s_waitcnt lgkmcnt(0)
	s_barrier
	s_and_saveexec_b64 s[0:1], s[42:43]
	s_cbranch_execz .LBB12_804
; %bb.803:
	ds_read_b32 v26, v11 offset:11440
	ds_read_b32 v27, v12
	s_waitcnt lgkmcnt(0)
	v_fmac_f32_e32 v25, v26, v27
.LBB12_804:
	s_or_b64 exec, exec, s[0:1]
	s_barrier
	s_and_saveexec_b64 s[0:1], s[44:45]
	s_cbranch_execz .LBB12_806
; %bb.805:
	v_mov_b32_e32 v26, 0
	ds_read_b32 v26, v26 offset:11700
	s_waitcnt lgkmcnt(0)
	v_mul_f32_e32 v25, v25, v26
	ds_write_b32 v12, v25
.LBB12_806:
	s_or_b64 exec, exec, s[0:1]
	s_waitcnt lgkmcnt(0)
	s_barrier
	s_and_saveexec_b64 s[0:1], s[52:53]
	s_cbranch_execz .LBB12_808
; %bb.807:
	ds_read_b32 v26, v11 offset:11696
	ds_read_b32 v27, v12
	s_waitcnt lgkmcnt(0)
	v_fmac_f32_e32 v25, v26, v27
.LBB12_808:
	s_or_b64 exec, exec, s[0:1]
	s_barrier
	s_and_saveexec_b64 s[0:1], s[54:55]
	s_cbranch_execz .LBB12_810
; %bb.809:
	v_mov_b32_e32 v26, 0
	ds_read_b32 v26, v26 offset:11960
	s_waitcnt lgkmcnt(0)
	v_mul_f32_e32 v25, v25, v26
	ds_write_b32 v12, v25
.LBB12_810:
	s_or_b64 exec, exec, s[0:1]
	s_waitcnt lgkmcnt(0)
	s_barrier
	s_and_saveexec_b64 s[0:1], s[36:37]
	s_cbranch_execz .LBB12_812
; %bb.811:
	v_mov_b32_e32 v26, 0
	ds_read_b32 v26, v26 offset:11964
	ds_read_b32 v27, v12
	s_waitcnt lgkmcnt(0)
	v_fmac_f32_e32 v25, v26, v27
.LBB12_812:
	s_or_b64 exec, exec, s[0:1]
	s_barrier
	s_and_saveexec_b64 s[0:1], s[36:37]
	s_cbranch_execz .LBB12_814
; %bb.813:
	v_mov_b32_e32 v26, 0
	ds_read_b32 v26, v26 offset:12220
	s_waitcnt lgkmcnt(0)
	v_mul_f32_e32 v25, v25, v26
	ds_write_b32 v12, v25
.LBB12_814:
	s_or_b64 exec, exec, s[0:1]
	s_waitcnt lgkmcnt(0)
	s_barrier
	s_barrier
	s_and_saveexec_b64 s[0:1], s[18:19]
; %bb.815:
	v_xor_b32_e32 v25, 0x80000000, v25
	ds_write_b32 v6, v25 offset:10416
; %bb.816:
	s_or_b64 exec, exec, s[0:1]
	s_waitcnt lgkmcnt(0)
	s_barrier
	s_barrier
	s_and_saveexec_b64 s[12:13], s[56:57]
	s_cbranch_execz .LBB12_818
; %bb.817:
	v_lshlrev_b32_e32 v25, 8, v0
	ds_read_b32 v26, v25 offset:10416
	s_movk_i32 s0, 0xff04
	v_mad_i32_i24 v27, v0, s0, v25
	s_waitcnt lgkmcnt(0)
	ds_write_b32 v27, v26 offset:11424
	ds_read_b32 v26, v25 offset:10420
	s_waitcnt lgkmcnt(0)
	ds_write_b32 v27, v26 offset:11680
	ds_read_b32 v26, v25 offset:10424
	;; [unrolled: 3-line block ×3, first 2 shown]
	s_waitcnt lgkmcnt(0)
	ds_write_b32 v27, v25 offset:12192
.LBB12_818:
	s_or_b64 exec, exec, s[12:13]
	s_waitcnt lgkmcnt(0)
	s_barrier
	s_and_saveexec_b64 s[12:13], vcc
	s_cbranch_execz .LBB12_820
; %bb.819:
	v_mov_b32_e32 v27, 0
	ds_read_b64 v[25:26], v27 offset:11440
	ds_read_b32 v27, v27 offset:11700
	s_movk_i32 s0, 0x2c00
	s_waitcnt lgkmcnt(0)
	v_mul_f32_e32 v25, v25, v27
	v_mul_f32_e32 v25, v26, v25
	v_add_u32_e64 v26, s0, 0
	ds_write2_b32 v26, v25, v25 offset0:45 offset1:108
.LBB12_820:
	s_or_b64 exec, exec, s[12:13]
	v_mov_b32_e32 v25, 0
	s_waitcnt lgkmcnt(0)
	s_barrier
	s_and_saveexec_b64 s[14:15], s[2:3]
	s_cbranch_execz .LBB12_824
; %bb.821:
	v_mul_u32_u24_e32 v25, 0x104, v5
	ds_read_b32 v27, v1 offset:11448
	ds_read_b32 v25, v25 offset:11440
	v_mov_b32_e32 v26, 0
	v_cmp_gt_u32_e64 s[12:13], 2, v4
	s_waitcnt lgkmcnt(0)
	v_fma_f32 v25, v27, v25, 0
	s_and_saveexec_b64 s[0:1], s[12:13]
	s_cbranch_execz .LBB12_823
; %bb.822:
	v_lshlrev_b32_e32 v27, 2, v0
	ds_read_b32 v27, v27 offset:11704
	ds_read_b32 v26, v26 offset:11444
	s_waitcnt lgkmcnt(0)
	v_fmac_f32_e32 v25, v27, v26
.LBB12_823:
	s_or_b64 exec, exec, s[0:1]
	v_xor_b32_e32 v25, 0x80000000, v25
.LBB12_824:
	s_or_b64 exec, exec, s[14:15]
	s_and_saveexec_b64 s[0:1], s[30:31]
	s_cbranch_execz .LBB12_826
; %bb.825:
	v_mov_b32_e32 v26, 0
	ds_read_b32 v26, v26 offset:11960
	s_waitcnt lgkmcnt(0)
	v_mul_f32_e32 v25, v25, v26
	ds_write_b32 v3, v25
.LBB12_826:
	s_or_b64 exec, exec, s[0:1]
	s_waitcnt lgkmcnt(0)
	s_barrier
	s_and_saveexec_b64 s[0:1], s[28:29]
	s_cbranch_execz .LBB12_828
; %bb.827:
	v_mov_b32_e32 v26, 0
	ds_read_b32 v26, v26 offset:11964
	ds_read_b32 v27, v3
	s_waitcnt lgkmcnt(0)
	v_fmac_f32_e32 v25, v26, v27
.LBB12_828:
	s_or_b64 exec, exec, s[0:1]
	s_barrier
	s_and_saveexec_b64 s[0:1], s[28:29]
	s_cbranch_execz .LBB12_830
; %bb.829:
	v_mov_b32_e32 v26, 0
	ds_read_b32 v26, v26 offset:12220
	s_waitcnt lgkmcnt(0)
	v_mul_f32_e32 v25, v25, v26
	ds_write_b32 v3, v25
.LBB12_830:
	s_or_b64 exec, exec, s[0:1]
	s_waitcnt lgkmcnt(0)
	s_barrier
	s_barrier
	s_and_saveexec_b64 s[0:1], s[2:3]
; %bb.831:
	v_xor_b32_e32 v25, 0x80000000, v25
	ds_write_b32 v1, v25 offset:11448
; %bb.832:
	s_or_b64 exec, exec, s[0:1]
	s_waitcnt lgkmcnt(0)
	s_barrier
	s_barrier
	s_and_saveexec_b64 s[0:1], s[34:35]
	s_cbranch_execz .LBB12_834
; %bb.833:
	v_lshlrev_b32_e32 v25, 2, v0
	s_movk_i32 s12, 0xfc
	v_mad_u32_u24 v26, v0, s12, v25
	ds_read_b32 v27, v26 offset:11448
	s_waitcnt lgkmcnt(0)
	ds_write_b32 v25, v27 offset:11952
	ds_read_b32 v26, v26 offset:11452
	s_waitcnt lgkmcnt(0)
	ds_write_b32 v25, v26 offset:12208
.LBB12_834:
	s_or_b64 exec, exec, s[0:1]
	s_waitcnt lgkmcnt(0)
	s_barrier
	s_and_saveexec_b64 s[12:13], vcc
	s_cbranch_execz .LBB12_836
; %bb.835:
	v_mov_b32_e32 v27, 0
	ds_read_b64 v[25:26], v27 offset:11960
	ds_read_b32 v27, v27 offset:12220
	s_movk_i32 s0, 0x2c00
	s_waitcnt lgkmcnt(0)
	v_mul_f32_e32 v25, v25, v27
	v_mul_f32_e32 v25, v26, v25
	v_add_u32_e64 v26, s0, 0
	ds_write2_b32 v26, v25, v25 offset0:175 offset1:238
.LBB12_836:
	s_or_b64 exec, exec, s[12:13]
	v_mov_b32_e32 v25, 0
	s_waitcnt lgkmcnt(0)
	s_barrier
	s_and_saveexec_b64 s[14:15], s[10:11]
	s_cbranch_execz .LBB12_864
; %bb.837:
	v_mul_u32_u24_e32 v26, 0x104, v24
	ds_read_b32 v25, v20 offset:8384
	ds_read_b32 v27, v26 offset:8320
	s_movk_i32 s0, 0xf0
	v_cmp_gt_u32_e64 s[12:13], s0, v4
	s_waitcnt lgkmcnt(0)
	v_fma_f32 v25, v25, v27, 0
	s_and_saveexec_b64 s[16:17], s[12:13]
	s_cbranch_execz .LBB12_839
; %bb.838:
	v_lshlrev_b32_e32 v27, 2, v24
	v_sub_u32_e32 v27, v26, v27
	v_lshl_add_u32 v27, v21, 2, v27
	ds_read_b32 v27, v27 offset:8640
	ds_read_b32 v28, v26 offset:8324
	s_waitcnt lgkmcnt(0)
	v_fmac_f32_e32 v25, v27, v28
.LBB12_839:
	s_or_b64 exec, exec, s[16:17]
	s_movk_i32 s0, 0xe0
	v_cmp_gt_u32_e64 s[12:13], s0, v4
	s_and_saveexec_b64 s[0:1], s[12:13]
	s_cbranch_execz .LBB12_841
; %bb.840:
	v_lshlrev_b32_e32 v27, 2, v24
	v_sub_u32_e32 v27, v26, v27
	v_lshl_add_u32 v27, v21, 2, v27
	ds_read_b32 v27, v27 offset:8896
	ds_read_b32 v28, v26 offset:8328
	s_waitcnt lgkmcnt(0)
	v_fmac_f32_e32 v25, v27, v28
.LBB12_841:
	s_or_b64 exec, exec, s[0:1]
	s_movk_i32 s0, 0xd0
	v_cmp_gt_u32_e64 s[12:13], s0, v4
	;; [unrolled: 14-line block ×7, first 2 shown]
	s_and_saveexec_b64 s[0:1], s[12:13]
	s_cbranch_execz .LBB12_853
; %bb.852:
	ds_read_b32 v24, v20 offset:10432
	ds_read_b32 v27, v26 offset:8352
	s_waitcnt lgkmcnt(0)
	v_fmac_f32_e32 v25, v24, v27
.LBB12_853:
	s_or_b64 exec, exec, s[0:1]
	s_movk_i32 s0, 0x70
	v_cmp_gt_u32_e64 s[12:13], s0, v4
	s_and_saveexec_b64 s[0:1], s[12:13]
	s_cbranch_execz .LBB12_855
; %bb.854:
	v_lshlrev_b32_e32 v24, 2, v21
	v_lshl_add_u32 v24, v23, 2, v24
	ds_read_b32 v24, v24 offset:10688
	ds_read_b32 v27, v26 offset:8356
	s_waitcnt lgkmcnt(0)
	v_fmac_f32_e32 v25, v24, v27
.LBB12_855:
	s_or_b64 exec, exec, s[0:1]
	s_movk_i32 s0, 0x60
	v_cmp_gt_u32_e64 s[12:13], s0, v4
	s_and_saveexec_b64 s[0:1], s[12:13]
	s_cbranch_execz .LBB12_857
; %bb.856:
	v_lshlrev_b32_e32 v24, 2, v21
	v_lshl_add_u32 v24, v23, 2, v24
	ds_read_b32 v24, v24 offset:10944
	ds_read_b32 v27, v26 offset:8360
	s_waitcnt lgkmcnt(0)
	v_fmac_f32_e32 v25, v24, v27
.LBB12_857:
	s_or_b64 exec, exec, s[0:1]
	s_movk_i32 s0, 0x50
	v_cmp_gt_u32_e64 s[12:13], s0, v4
	s_and_saveexec_b64 s[0:1], s[12:13]
	s_cbranch_execnz .LBB12_1241
; %bb.858:
	s_or_b64 exec, exec, s[0:1]
	v_cmp_gt_u32_e64 s[12:13], 64, v4
	s_and_saveexec_b64 s[0:1], s[12:13]
	s_cbranch_execnz .LBB12_1242
.LBB12_859:
	s_or_b64 exec, exec, s[0:1]
	v_cmp_gt_u32_e64 s[12:13], 48, v4
	s_and_saveexec_b64 s[0:1], s[12:13]
	s_cbranch_execnz .LBB12_1243
.LBB12_860:
	s_or_b64 exec, exec, s[0:1]
	v_cmp_gt_u32_e64 s[12:13], 32, v4
	s_and_saveexec_b64 s[0:1], s[12:13]
	s_cbranch_execnz .LBB12_1244
.LBB12_861:
	s_or_b64 exec, exec, s[0:1]
	v_cmp_gt_u32_e64 s[12:13], 16, v4
	s_and_saveexec_b64 s[0:1], s[12:13]
	s_cbranch_execz .LBB12_863
.LBB12_862:
	v_lshlrev_b32_e32 v23, 2, v0
	v_mov_b32_e32 v24, 0
	ds_read_b32 v23, v23 offset:12224
	ds_read_b32 v24, v24 offset:8380
	s_waitcnt lgkmcnt(0)
	v_fmac_f32_e32 v25, v23, v24
.LBB12_863:
	s_or_b64 exec, exec, s[0:1]
	v_xor_b32_e32 v25, 0x80000000, v25
.LBB12_864:
	s_or_b64 exec, exec, s[14:15]
	s_mov_b64 s[0:1], exec
	v_readlane_b32 s12, v33, 4
	v_readlane_b32 s13, v33, 5
	s_and_b64 s[12:13], s[0:1], s[12:13]
	s_mov_b64 exec, s[12:13]
	s_cbranch_execz .LBB12_866
; %bb.865:
	v_mov_b32_e32 v23, 0
	ds_read_b32 v23, v23 offset:12480
	s_waitcnt lgkmcnt(0)
	v_mul_f32_e32 v25, v25, v23
	ds_write_b32 v22, v25
.LBB12_866:
	s_or_b64 exec, exec, s[0:1]
	s_waitcnt lgkmcnt(0)
	s_barrier
	s_mov_b64 s[0:1], exec
	v_readlane_b32 s12, v33, 6
	v_readlane_b32 s13, v33, 7
	s_and_b64 s[12:13], s[0:1], s[12:13]
	s_mov_b64 exec, s[12:13]
	s_cbranch_execz .LBB12_868
; %bb.867:
	v_lshlrev_b32_e32 v23, 2, v21
	ds_read_b32 v23, v23 offset:12480
	ds_read_b32 v24, v22
	s_waitcnt lgkmcnt(0)
	v_fmac_f32_e32 v25, v23, v24
.LBB12_868:
	s_or_b64 exec, exec, s[0:1]
	s_barrier
	s_mov_b64 s[0:1], exec
	v_readlane_b32 s12, v33, 8
	v_readlane_b32 s13, v33, 9
	s_and_b64 s[12:13], s[0:1], s[12:13]
	s_mov_b64 exec, s[12:13]
	s_cbranch_execz .LBB12_870
; %bb.869:
	v_mov_b32_e32 v23, 0
	ds_read_b32 v23, v23 offset:12740
	s_waitcnt lgkmcnt(0)
	v_mul_f32_e32 v25, v25, v23
	ds_write_b32 v22, v25
.LBB12_870:
	s_or_b64 exec, exec, s[0:1]
	s_waitcnt lgkmcnt(0)
	s_barrier
	s_mov_b64 s[0:1], exec
	v_readlane_b32 s12, v33, 10
	v_readlane_b32 s13, v33, 11
	s_and_b64 s[12:13], s[0:1], s[12:13]
	s_mov_b64 exec, s[12:13]
	s_cbranch_execz .LBB12_872
; %bb.871:
	v_lshlrev_b32_e32 v23, 2, v21
	ds_read_b32 v23, v23 offset:12736
	ds_read_b32 v24, v22
	s_waitcnt lgkmcnt(0)
	v_fmac_f32_e32 v25, v23, v24
.LBB12_872:
	s_or_b64 exec, exec, s[0:1]
	s_barrier
	;; [unrolled: 31-line block ×14, first 2 shown]
	s_mov_b64 s[0:1], exec
	v_readlane_b32 s12, v33, 60
	v_readlane_b32 s13, v33, 61
	s_and_b64 s[12:13], s[0:1], s[12:13]
	s_mov_b64 exec, s[12:13]
	s_cbranch_execz .LBB12_922
; %bb.921:
	v_mov_b32_e32 v21, 0
	ds_read_b32 v21, v21 offset:16120
	s_waitcnt lgkmcnt(0)
	v_mul_f32_e32 v25, v25, v21
	ds_write_b32 v22, v25
.LBB12_922:
	s_or_b64 exec, exec, s[0:1]
	s_waitcnt lgkmcnt(0)
	s_barrier
	s_and_saveexec_b64 s[0:1], s[88:89]
	s_cbranch_execz .LBB12_924
; %bb.923:
	v_mov_b32_e32 v21, 0
	ds_read_b32 v21, v21 offset:16124
	ds_read_b32 v23, v22
	s_waitcnt lgkmcnt(0)
	v_fmac_f32_e32 v25, v21, v23
.LBB12_924:
	s_or_b64 exec, exec, s[0:1]
	s_barrier
	s_and_saveexec_b64 s[0:1], s[88:89]
	s_cbranch_execz .LBB12_926
; %bb.925:
	v_mov_b32_e32 v21, 0
	ds_read_b32 v21, v21 offset:16380
	s_waitcnt lgkmcnt(0)
	v_mul_f32_e32 v25, v25, v21
	ds_write_b32 v22, v25
.LBB12_926:
	s_or_b64 exec, exec, s[0:1]
	s_waitcnt lgkmcnt(0)
	s_barrier
	s_barrier
	s_and_saveexec_b64 s[0:1], s[10:11]
; %bb.927:
	v_xor_b32_e32 v21, 0x80000000, v25
	ds_write_b32 v20, v21 offset:8384
; %bb.928:
	s_or_b64 exec, exec, s[0:1]
	s_waitcnt lgkmcnt(0)
	s_barrier
	s_barrier
	s_mov_b64 s[0:1], exec
	v_readlane_b32 s10, v33, 62
	v_readlane_b32 s11, v33, 63
	s_and_b64 s[10:11], s[0:1], s[10:11]
	s_mov_b64 exec, s[10:11]
	s_cbranch_execz .LBB12_930
; %bb.929:
	v_lshlrev_b32_e32 v20, 8, v0
	ds_read_b32 v21, v20 offset:8384
	s_movk_i32 s10, 0xff04
	v_mad_i32_i24 v22, v0, s10, v20
	s_waitcnt lgkmcnt(0)
	ds_write_b32 v22, v21 offset:12416
	ds_read_b32 v21, v20 offset:8388
	s_waitcnt lgkmcnt(0)
	ds_write_b32 v22, v21 offset:12672
	ds_read_b32 v21, v20 offset:8392
	;; [unrolled: 3-line block ×15, first 2 shown]
	s_waitcnt lgkmcnt(0)
	ds_write_b32 v22, v20 offset:16256
.LBB12_930:
	s_or_b64 exec, exec, s[0:1]
	s_waitcnt lgkmcnt(0)
	s_barrier
	s_and_saveexec_b64 s[0:1], vcc
	s_cbranch_execz .LBB12_932
; %bb.931:
	v_mov_b32_e32 v22, 0
	ds_read_b64 v[20:21], v22 offset:12480
	ds_read_b32 v22, v22 offset:12740
	s_movk_i32 s10, 0x3000
	s_waitcnt lgkmcnt(0)
	v_mul_f32_e32 v20, v20, v22
	v_mul_f32_e32 v20, v21, v20
	v_add_u32_e64 v21, s10, 0
	ds_write2_b32 v21, v20, v20 offset0:49 offset1:112
.LBB12_932:
	s_or_b64 exec, exec, s[0:1]
	v_mov_b32_e32 v20, 0
	s_waitcnt lgkmcnt(0)
	s_barrier
	s_and_saveexec_b64 s[0:1], s[2:3]
	s_cbranch_execz .LBB12_936
; %bb.933:
	v_mul_u32_u24_e32 v20, 0x104, v5
	ds_read_b32 v22, v1 offset:12488
	ds_read_b32 v20, v20 offset:12480
	v_mov_b32_e32 v21, 0
	v_cmp_gt_u32_e64 s[10:11], 2, v4
	s_waitcnt lgkmcnt(0)
	v_fma_f32 v20, v22, v20, 0
	s_and_saveexec_b64 s[12:13], s[10:11]
	s_cbranch_execz .LBB12_935
; %bb.934:
	v_lshlrev_b32_e32 v22, 2, v0
	ds_read_b32 v22, v22 offset:12744
	ds_read_b32 v21, v21 offset:12484
	s_waitcnt lgkmcnt(0)
	v_fmac_f32_e32 v20, v22, v21
.LBB12_935:
	s_or_b64 exec, exec, s[12:13]
	v_xor_b32_e32 v20, 0x80000000, v20
.LBB12_936:
	s_or_b64 exec, exec, s[0:1]
	s_and_saveexec_b64 s[0:1], s[30:31]
	s_cbranch_execz .LBB12_938
; %bb.937:
	v_mov_b32_e32 v21, 0
	ds_read_b32 v21, v21 offset:13000
	s_waitcnt lgkmcnt(0)
	v_mul_f32_e32 v20, v20, v21
	ds_write_b32 v3, v20
.LBB12_938:
	s_or_b64 exec, exec, s[0:1]
	s_waitcnt lgkmcnt(0)
	s_barrier
	s_and_saveexec_b64 s[0:1], s[28:29]
	s_cbranch_execz .LBB12_940
; %bb.939:
	v_mov_b32_e32 v21, 0
	ds_read_b32 v21, v21 offset:13004
	ds_read_b32 v22, v3
	s_waitcnt lgkmcnt(0)
	v_fmac_f32_e32 v20, v21, v22
.LBB12_940:
	s_or_b64 exec, exec, s[0:1]
	s_barrier
	s_and_saveexec_b64 s[0:1], s[28:29]
	s_cbranch_execz .LBB12_942
; %bb.941:
	v_mov_b32_e32 v21, 0
	ds_read_b32 v21, v21 offset:13260
	s_waitcnt lgkmcnt(0)
	v_mul_f32_e32 v20, v20, v21
	ds_write_b32 v3, v20
.LBB12_942:
	s_or_b64 exec, exec, s[0:1]
	s_waitcnt lgkmcnt(0)
	s_barrier
	s_barrier
	s_and_saveexec_b64 s[0:1], s[2:3]
; %bb.943:
	v_xor_b32_e32 v20, 0x80000000, v20
	ds_write_b32 v1, v20 offset:12488
; %bb.944:
	s_or_b64 exec, exec, s[0:1]
	s_waitcnt lgkmcnt(0)
	s_barrier
	s_barrier
	s_and_saveexec_b64 s[0:1], s[34:35]
	s_cbranch_execz .LBB12_946
; %bb.945:
	v_lshlrev_b32_e32 v20, 2, v0
	s_movk_i32 s10, 0xfc
	v_mad_u32_u24 v21, v0, s10, v20
	ds_read_b32 v22, v21 offset:12488
	s_waitcnt lgkmcnt(0)
	ds_write_b32 v20, v22 offset:12992
	ds_read_b32 v21, v21 offset:12492
	s_waitcnt lgkmcnt(0)
	ds_write_b32 v20, v21 offset:13248
.LBB12_946:
	s_or_b64 exec, exec, s[0:1]
	s_waitcnt lgkmcnt(0)
	s_barrier
	s_and_saveexec_b64 s[0:1], vcc
	s_cbranch_execz .LBB12_948
; %bb.947:
	v_mov_b32_e32 v22, 0
	ds_read_b64 v[20:21], v22 offset:13000
	ds_read_b32 v22, v22 offset:13260
	s_movk_i32 s10, 0x3000
	s_waitcnt lgkmcnt(0)
	v_mul_f32_e32 v20, v20, v22
	v_mul_f32_e32 v20, v21, v20
	v_add_u32_e64 v21, s10, 0
	ds_write2_b32 v21, v20, v20 offset0:179 offset1:242
.LBB12_948:
	s_or_b64 exec, exec, s[0:1]
	v_mov_b32_e32 v20, 0
	s_waitcnt lgkmcnt(0)
	s_barrier
	s_and_saveexec_b64 s[0:1], s[18:19]
	s_cbranch_execz .LBB12_954
; %bb.949:
	v_mul_u32_u24_e32 v21, 0x104, v14
	ds_read_b32 v20, v6 offset:12496
	ds_read_b32 v22, v21 offset:12480
	v_cmp_gt_u32_e64 s[10:11], 12, v4
	s_waitcnt lgkmcnt(0)
	v_fma_f32 v20, v20, v22, 0
	s_and_saveexec_b64 s[12:13], s[10:11]
	s_cbranch_execnz .LBB12_1245
; %bb.950:
	s_or_b64 exec, exec, s[12:13]
	v_cmp_gt_u32_e64 s[10:11], 8, v4
	s_and_saveexec_b64 s[12:13], s[10:11]
	s_cbranch_execnz .LBB12_1246
.LBB12_951:
	s_or_b64 exec, exec, s[12:13]
	v_cmp_gt_u32_e64 s[10:11], 4, v4
	s_and_saveexec_b64 s[12:13], s[10:11]
	s_cbranch_execz .LBB12_953
.LBB12_952:
	v_lshlrev_b32_e32 v21, 2, v0
	v_mov_b32_e32 v22, 0
	ds_read_b32 v21, v21 offset:13264
	ds_read_b32 v22, v22 offset:12492
	s_waitcnt lgkmcnt(0)
	v_fmac_f32_e32 v20, v21, v22
.LBB12_953:
	s_or_b64 exec, exec, s[12:13]
	v_xor_b32_e32 v20, 0x80000000, v20
.LBB12_954:
	s_or_b64 exec, exec, s[0:1]
	s_and_saveexec_b64 s[0:1], s[38:39]
	s_cbranch_execz .LBB12_956
; %bb.955:
	v_mov_b32_e32 v21, 0
	ds_read_b32 v21, v21 offset:13520
	s_waitcnt lgkmcnt(0)
	v_mul_f32_e32 v20, v20, v21
	ds_write_b32 v12, v20
.LBB12_956:
	s_or_b64 exec, exec, s[0:1]
	s_waitcnt lgkmcnt(0)
	s_barrier
	s_and_saveexec_b64 s[0:1], s[42:43]
	s_cbranch_execz .LBB12_958
; %bb.957:
	ds_read_b32 v21, v11 offset:13520
	ds_read_b32 v22, v12
	s_waitcnt lgkmcnt(0)
	v_fmac_f32_e32 v20, v21, v22
.LBB12_958:
	s_or_b64 exec, exec, s[0:1]
	s_barrier
	s_and_saveexec_b64 s[0:1], s[44:45]
	s_cbranch_execz .LBB12_960
; %bb.959:
	v_mov_b32_e32 v21, 0
	ds_read_b32 v21, v21 offset:13780
	s_waitcnt lgkmcnt(0)
	v_mul_f32_e32 v20, v20, v21
	ds_write_b32 v12, v20
.LBB12_960:
	s_or_b64 exec, exec, s[0:1]
	s_waitcnt lgkmcnt(0)
	s_barrier
	s_and_saveexec_b64 s[0:1], s[52:53]
	s_cbranch_execz .LBB12_962
; %bb.961:
	ds_read_b32 v21, v11 offset:13776
	ds_read_b32 v22, v12
	s_waitcnt lgkmcnt(0)
	v_fmac_f32_e32 v20, v21, v22
.LBB12_962:
	s_or_b64 exec, exec, s[0:1]
	s_barrier
	s_and_saveexec_b64 s[0:1], s[54:55]
	s_cbranch_execz .LBB12_964
; %bb.963:
	v_mov_b32_e32 v21, 0
	ds_read_b32 v21, v21 offset:14040
	s_waitcnt lgkmcnt(0)
	v_mul_f32_e32 v20, v20, v21
	ds_write_b32 v12, v20
.LBB12_964:
	s_or_b64 exec, exec, s[0:1]
	s_waitcnt lgkmcnt(0)
	s_barrier
	s_and_saveexec_b64 s[0:1], s[36:37]
	s_cbranch_execz .LBB12_966
; %bb.965:
	v_mov_b32_e32 v21, 0
	ds_read_b32 v21, v21 offset:14044
	ds_read_b32 v22, v12
	s_waitcnt lgkmcnt(0)
	v_fmac_f32_e32 v20, v21, v22
.LBB12_966:
	s_or_b64 exec, exec, s[0:1]
	s_barrier
	s_and_saveexec_b64 s[0:1], s[36:37]
	s_cbranch_execz .LBB12_968
; %bb.967:
	v_mov_b32_e32 v21, 0
	ds_read_b32 v21, v21 offset:14300
	s_waitcnt lgkmcnt(0)
	v_mul_f32_e32 v20, v20, v21
	ds_write_b32 v12, v20
.LBB12_968:
	s_or_b64 exec, exec, s[0:1]
	s_waitcnt lgkmcnt(0)
	s_barrier
	s_barrier
	s_and_saveexec_b64 s[0:1], s[18:19]
; %bb.969:
	v_xor_b32_e32 v20, 0x80000000, v20
	ds_write_b32 v6, v20 offset:12496
; %bb.970:
	s_or_b64 exec, exec, s[0:1]
	s_waitcnt lgkmcnt(0)
	s_barrier
	s_barrier
	s_and_saveexec_b64 s[0:1], s[56:57]
	s_cbranch_execz .LBB12_972
; %bb.971:
	v_lshlrev_b32_e32 v20, 8, v0
	ds_read_b32 v21, v20 offset:12496
	s_movk_i32 s10, 0xff04
	v_mad_i32_i24 v22, v0, s10, v20
	s_waitcnt lgkmcnt(0)
	ds_write_b32 v22, v21 offset:13504
	ds_read_b32 v21, v20 offset:12500
	s_waitcnt lgkmcnt(0)
	ds_write_b32 v22, v21 offset:13760
	ds_read_b32 v21, v20 offset:12504
	;; [unrolled: 3-line block ×3, first 2 shown]
	s_waitcnt lgkmcnt(0)
	ds_write_b32 v22, v20 offset:14272
.LBB12_972:
	s_or_b64 exec, exec, s[0:1]
	s_waitcnt lgkmcnt(0)
	s_barrier
	s_and_saveexec_b64 s[0:1], vcc
	s_cbranch_execz .LBB12_974
; %bb.973:
	v_mov_b32_e32 v22, 0
	ds_read_b64 v[20:21], v22 offset:13520
	ds_read_b32 v22, v22 offset:13780
	s_movk_i32 s10, 0x3400
	s_waitcnt lgkmcnt(0)
	v_mul_f32_e32 v20, v20, v22
	v_mul_f32_e32 v20, v21, v20
	v_add_u32_e64 v21, s10, 0
	ds_write2_b32 v21, v20, v20 offset0:53 offset1:116
.LBB12_974:
	s_or_b64 exec, exec, s[0:1]
	v_mov_b32_e32 v20, 0
	s_waitcnt lgkmcnt(0)
	s_barrier
	s_and_saveexec_b64 s[0:1], s[2:3]
	s_cbranch_execz .LBB12_978
; %bb.975:
	v_mul_u32_u24_e32 v20, 0x104, v5
	ds_read_b32 v22, v1 offset:13528
	ds_read_b32 v20, v20 offset:13520
	v_mov_b32_e32 v21, 0
	v_cmp_gt_u32_e64 s[10:11], 2, v4
	s_waitcnt lgkmcnt(0)
	v_fma_f32 v20, v22, v20, 0
	s_and_saveexec_b64 s[12:13], s[10:11]
	s_cbranch_execz .LBB12_977
; %bb.976:
	v_lshlrev_b32_e32 v22, 2, v0
	ds_read_b32 v22, v22 offset:13784
	ds_read_b32 v21, v21 offset:13524
	s_waitcnt lgkmcnt(0)
	v_fmac_f32_e32 v20, v22, v21
.LBB12_977:
	s_or_b64 exec, exec, s[12:13]
	v_xor_b32_e32 v20, 0x80000000, v20
.LBB12_978:
	s_or_b64 exec, exec, s[0:1]
	s_and_saveexec_b64 s[0:1], s[30:31]
	s_cbranch_execz .LBB12_980
; %bb.979:
	v_mov_b32_e32 v21, 0
	ds_read_b32 v21, v21 offset:14040
	s_waitcnt lgkmcnt(0)
	v_mul_f32_e32 v20, v20, v21
	ds_write_b32 v3, v20
.LBB12_980:
	s_or_b64 exec, exec, s[0:1]
	s_waitcnt lgkmcnt(0)
	s_barrier
	s_and_saveexec_b64 s[0:1], s[28:29]
	s_cbranch_execz .LBB12_982
; %bb.981:
	v_mov_b32_e32 v21, 0
	ds_read_b32 v21, v21 offset:14044
	ds_read_b32 v22, v3
	s_waitcnt lgkmcnt(0)
	v_fmac_f32_e32 v20, v21, v22
.LBB12_982:
	s_or_b64 exec, exec, s[0:1]
	s_barrier
	s_and_saveexec_b64 s[0:1], s[28:29]
	s_cbranch_execz .LBB12_984
; %bb.983:
	v_mov_b32_e32 v21, 0
	ds_read_b32 v21, v21 offset:14300
	s_waitcnt lgkmcnt(0)
	v_mul_f32_e32 v20, v20, v21
	ds_write_b32 v3, v20
.LBB12_984:
	s_or_b64 exec, exec, s[0:1]
	s_waitcnt lgkmcnt(0)
	s_barrier
	s_barrier
	s_and_saveexec_b64 s[0:1], s[2:3]
; %bb.985:
	v_xor_b32_e32 v20, 0x80000000, v20
	ds_write_b32 v1, v20 offset:13528
; %bb.986:
	s_or_b64 exec, exec, s[0:1]
	s_waitcnt lgkmcnt(0)
	s_barrier
	s_barrier
	s_and_saveexec_b64 s[0:1], s[34:35]
	s_cbranch_execz .LBB12_988
; %bb.987:
	v_lshlrev_b32_e32 v20, 2, v0
	s_movk_i32 s10, 0xfc
	v_mad_u32_u24 v21, v0, s10, v20
	ds_read_b32 v22, v21 offset:13528
	s_waitcnt lgkmcnt(0)
	ds_write_b32 v20, v22 offset:14032
	ds_read_b32 v21, v21 offset:13532
	s_waitcnt lgkmcnt(0)
	ds_write_b32 v20, v21 offset:14288
.LBB12_988:
	s_or_b64 exec, exec, s[0:1]
	s_waitcnt lgkmcnt(0)
	s_barrier
	s_and_saveexec_b64 s[0:1], vcc
	s_cbranch_execz .LBB12_990
; %bb.989:
	v_mov_b32_e32 v22, 0
	ds_read_b64 v[20:21], v22 offset:14040
	ds_read_b32 v22, v22 offset:14300
	s_movk_i32 s10, 0x3400
	s_waitcnt lgkmcnt(0)
	v_mul_f32_e32 v20, v20, v22
	v_mul_f32_e32 v20, v21, v20
	v_add_u32_e64 v21, s10, 0
	ds_write2_b32 v21, v20, v20 offset0:183 offset1:246
.LBB12_990:
	s_or_b64 exec, exec, s[0:1]
	v_mov_b32_e32 v20, 0
	s_waitcnt lgkmcnt(0)
	s_barrier
	s_and_saveexec_b64 s[0:1], s[8:9]
	s_cbranch_execz .LBB12_1000
; %bb.991:
	v_mul_u32_u24_e32 v21, 0x104, v19
	ds_read_b32 v20, v15 offset:12512
	ds_read_b32 v22, v21 offset:12480
	v_cmp_gt_u32_e64 s[10:11], 56, v4
	s_waitcnt lgkmcnt(0)
	v_fma_f32 v20, v20, v22, 0
	s_and_saveexec_b64 s[12:13], s[10:11]
	s_cbranch_execnz .LBB12_1247
; %bb.992:
	s_or_b64 exec, exec, s[12:13]
	v_cmp_gt_u32_e64 s[10:11], 48, v4
	s_and_saveexec_b64 s[12:13], s[10:11]
	s_cbranch_execnz .LBB12_1248
.LBB12_993:
	s_or_b64 exec, exec, s[12:13]
	v_cmp_gt_u32_e64 s[10:11], 40, v4
	s_and_saveexec_b64 s[12:13], s[10:11]
	s_cbranch_execnz .LBB12_1249
.LBB12_994:
	s_or_b64 exec, exec, s[12:13]
	v_cmp_gt_u32_e64 s[10:11], 32, v4
	s_and_saveexec_b64 s[12:13], s[10:11]
	s_cbranch_execnz .LBB12_1250
.LBB12_995:
	s_or_b64 exec, exec, s[12:13]
	v_cmp_gt_u32_e64 s[10:11], 24, v4
	s_and_saveexec_b64 s[12:13], s[10:11]
	s_cbranch_execnz .LBB12_1251
.LBB12_996:
	s_or_b64 exec, exec, s[12:13]
	v_cmp_gt_u32_e64 s[10:11], 16, v4
	s_and_saveexec_b64 s[12:13], s[10:11]
	s_cbranch_execnz .LBB12_1252
.LBB12_997:
	s_or_b64 exec, exec, s[12:13]
	v_cmp_gt_u32_e64 s[10:11], 8, v4
	s_and_saveexec_b64 s[12:13], s[10:11]
	s_cbranch_execz .LBB12_999
.LBB12_998:
	v_lshlrev_b32_e32 v18, 2, v0
	v_mov_b32_e32 v19, 0
	ds_read_b32 v18, v18 offset:14304
	ds_read_b32 v19, v19 offset:12508
	s_waitcnt lgkmcnt(0)
	v_fmac_f32_e32 v20, v18, v19
.LBB12_999:
	s_or_b64 exec, exec, s[12:13]
	v_xor_b32_e32 v20, 0x80000000, v20
.LBB12_1000:
	s_or_b64 exec, exec, s[0:1]
	s_and_saveexec_b64 s[0:1], s[58:59]
	s_cbranch_execz .LBB12_1002
; %bb.1001:
	v_mov_b32_e32 v18, 0
	ds_read_b32 v18, v18 offset:14560
	s_waitcnt lgkmcnt(0)
	v_mul_f32_e32 v20, v20, v18
	ds_write_b32 v17, v20
.LBB12_1002:
	s_or_b64 exec, exec, s[0:1]
	s_waitcnt lgkmcnt(0)
	s_barrier
	s_and_saveexec_b64 s[0:1], s[60:61]
	v_readlane_b32 s58, v33, 2
	v_readlane_b32 s59, v33, 3
	s_cbranch_execz .LBB12_1004
; %bb.1003:
	ds_read_b32 v18, v16 offset:14560
	ds_read_b32 v19, v17
	s_waitcnt lgkmcnt(0)
	v_fmac_f32_e32 v20, v18, v19
.LBB12_1004:
	s_or_b64 exec, exec, s[0:1]
	s_barrier
	s_and_saveexec_b64 s[0:1], s[62:63]
	s_cbranch_execz .LBB12_1006
; %bb.1005:
	v_mov_b32_e32 v18, 0
	ds_read_b32 v18, v18 offset:14820
	s_waitcnt lgkmcnt(0)
	v_mul_f32_e32 v20, v20, v18
	ds_write_b32 v17, v20
.LBB12_1006:
	s_or_b64 exec, exec, s[0:1]
	s_waitcnt lgkmcnt(0)
	s_barrier
	s_and_saveexec_b64 s[0:1], s[64:65]
	s_cbranch_execz .LBB12_1008
; %bb.1007:
	ds_read_b32 v18, v16 offset:14816
	ds_read_b32 v19, v17
	s_waitcnt lgkmcnt(0)
	v_fmac_f32_e32 v20, v18, v19
.LBB12_1008:
	s_or_b64 exec, exec, s[0:1]
	s_barrier
	s_and_saveexec_b64 s[0:1], s[68:69]
	s_cbranch_execz .LBB12_1010
; %bb.1009:
	v_mov_b32_e32 v18, 0
	ds_read_b32 v18, v18 offset:15080
	s_waitcnt lgkmcnt(0)
	v_mul_f32_e32 v20, v20, v18
	ds_write_b32 v17, v20
.LBB12_1010:
	s_or_b64 exec, exec, s[0:1]
	s_waitcnt lgkmcnt(0)
	s_barrier
	s_and_saveexec_b64 s[0:1], s[70:71]
	;; [unrolled: 22-line block ×6, first 2 shown]
	s_cbranch_execz .LBB12_1028
; %bb.1027:
	v_mov_b32_e32 v16, 0
	ds_read_b32 v16, v16 offset:16124
	ds_read_b32 v18, v17
	s_waitcnt lgkmcnt(0)
	v_fmac_f32_e32 v20, v16, v18
.LBB12_1028:
	s_or_b64 exec, exec, s[0:1]
	s_barrier
	s_and_saveexec_b64 s[0:1], s[66:67]
	s_cbranch_execz .LBB12_1030
; %bb.1029:
	v_mov_b32_e32 v16, 0
	ds_read_b32 v16, v16 offset:16380
	s_waitcnt lgkmcnt(0)
	v_mul_f32_e32 v20, v20, v16
	ds_write_b32 v17, v20
.LBB12_1030:
	s_or_b64 exec, exec, s[0:1]
	s_waitcnt lgkmcnt(0)
	s_barrier
	s_barrier
	s_and_saveexec_b64 s[0:1], s[8:9]
; %bb.1031:
	v_xor_b32_e32 v16, 0x80000000, v20
	ds_write_b32 v15, v16 offset:12512
; %bb.1032:
	s_or_b64 exec, exec, s[0:1]
	s_waitcnt lgkmcnt(0)
	s_barrier
	s_barrier
	s_and_saveexec_b64 s[0:1], s[86:87]
	s_cbranch_execz .LBB12_1034
; %bb.1033:
	v_lshlrev_b32_e32 v15, 8, v0
	ds_read_b32 v16, v15 offset:12512
	s_movk_i32 s8, 0xff04
	v_mad_i32_i24 v17, v0, s8, v15
	s_waitcnt lgkmcnt(0)
	ds_write_b32 v17, v16 offset:14528
	ds_read_b32 v16, v15 offset:12516
	s_waitcnt lgkmcnt(0)
	ds_write_b32 v17, v16 offset:14784
	ds_read_b32 v16, v15 offset:12520
	;; [unrolled: 3-line block ×7, first 2 shown]
	s_waitcnt lgkmcnt(0)
	ds_write_b32 v17, v15 offset:16320
.LBB12_1034:
	s_or_b64 exec, exec, s[0:1]
	s_waitcnt lgkmcnt(0)
	s_barrier
	s_and_saveexec_b64 s[0:1], vcc
	s_cbranch_execz .LBB12_1036
; %bb.1035:
	v_mov_b32_e32 v17, 0
	ds_read_b64 v[15:16], v17 offset:14560
	ds_read_b32 v17, v17 offset:14820
	s_movk_i32 s8, 0x3800
	s_waitcnt lgkmcnt(0)
	v_mul_f32_e32 v15, v15, v17
	v_mul_f32_e32 v15, v16, v15
	v_add_u32_e64 v16, s8, 0
	ds_write2_b32 v16, v15, v15 offset0:57 offset1:120
.LBB12_1036:
	s_or_b64 exec, exec, s[0:1]
	v_mov_b32_e32 v15, 0
	s_waitcnt lgkmcnt(0)
	s_barrier
	s_and_saveexec_b64 s[0:1], s[2:3]
	s_cbranch_execz .LBB12_1040
; %bb.1037:
	v_mul_u32_u24_e32 v15, 0x104, v5
	ds_read_b32 v17, v1 offset:14568
	ds_read_b32 v15, v15 offset:14560
	v_mov_b32_e32 v16, 0
	v_cmp_gt_u32_e64 s[8:9], 2, v4
	s_waitcnt lgkmcnt(0)
	v_fma_f32 v15, v17, v15, 0
	s_and_saveexec_b64 s[10:11], s[8:9]
	s_cbranch_execz .LBB12_1039
; %bb.1038:
	v_lshlrev_b32_e32 v17, 2, v0
	ds_read_b32 v17, v17 offset:14824
	ds_read_b32 v16, v16 offset:14564
	s_waitcnt lgkmcnt(0)
	v_fmac_f32_e32 v15, v17, v16
.LBB12_1039:
	s_or_b64 exec, exec, s[10:11]
	v_xor_b32_e32 v15, 0x80000000, v15
.LBB12_1040:
	s_or_b64 exec, exec, s[0:1]
	s_and_saveexec_b64 s[0:1], s[30:31]
	s_cbranch_execz .LBB12_1042
; %bb.1041:
	v_mov_b32_e32 v16, 0
	ds_read_b32 v16, v16 offset:15080
	s_waitcnt lgkmcnt(0)
	v_mul_f32_e32 v15, v15, v16
	ds_write_b32 v3, v15
.LBB12_1042:
	s_or_b64 exec, exec, s[0:1]
	s_waitcnt lgkmcnt(0)
	s_barrier
	s_and_saveexec_b64 s[0:1], s[28:29]
	s_cbranch_execz .LBB12_1044
; %bb.1043:
	v_mov_b32_e32 v16, 0
	ds_read_b32 v16, v16 offset:15084
	ds_read_b32 v17, v3
	s_waitcnt lgkmcnt(0)
	v_fmac_f32_e32 v15, v16, v17
.LBB12_1044:
	s_or_b64 exec, exec, s[0:1]
	s_barrier
	s_and_saveexec_b64 s[0:1], s[28:29]
	s_cbranch_execz .LBB12_1046
; %bb.1045:
	v_mov_b32_e32 v16, 0
	ds_read_b32 v16, v16 offset:15340
	s_waitcnt lgkmcnt(0)
	v_mul_f32_e32 v15, v15, v16
	ds_write_b32 v3, v15
.LBB12_1046:
	s_or_b64 exec, exec, s[0:1]
	s_waitcnt lgkmcnt(0)
	s_barrier
	s_barrier
	s_and_saveexec_b64 s[0:1], s[2:3]
; %bb.1047:
	v_xor_b32_e32 v15, 0x80000000, v15
	ds_write_b32 v1, v15 offset:14568
; %bb.1048:
	s_or_b64 exec, exec, s[0:1]
	s_waitcnt lgkmcnt(0)
	s_barrier
	s_barrier
	s_and_saveexec_b64 s[0:1], s[34:35]
	s_cbranch_execz .LBB12_1050
; %bb.1049:
	v_lshlrev_b32_e32 v15, 2, v0
	s_movk_i32 s8, 0xfc
	v_mad_u32_u24 v16, v0, s8, v15
	ds_read_b32 v17, v16 offset:14568
	s_waitcnt lgkmcnt(0)
	ds_write_b32 v15, v17 offset:15072
	ds_read_b32 v16, v16 offset:14572
	s_waitcnt lgkmcnt(0)
	ds_write_b32 v15, v16 offset:15328
.LBB12_1050:
	s_or_b64 exec, exec, s[0:1]
	s_waitcnt lgkmcnt(0)
	s_barrier
	s_and_saveexec_b64 s[0:1], vcc
	s_cbranch_execz .LBB12_1052
; %bb.1051:
	v_mov_b32_e32 v17, 0
	ds_read_b64 v[15:16], v17 offset:15080
	ds_read_b32 v17, v17 offset:15340
	s_movk_i32 s8, 0x3800
	s_waitcnt lgkmcnt(0)
	v_mul_f32_e32 v15, v15, v17
	v_mul_f32_e32 v15, v16, v15
	v_add_u32_e64 v16, s8, 0
	ds_write2_b32 v16, v15, v15 offset0:187 offset1:250
.LBB12_1052:
	s_or_b64 exec, exec, s[0:1]
	v_mov_b32_e32 v15, 0
	s_waitcnt lgkmcnt(0)
	s_barrier
	s_and_saveexec_b64 s[0:1], s[18:19]
	s_cbranch_execz .LBB12_1058
; %bb.1053:
	v_mul_u32_u24_e32 v16, 0x104, v14
	ds_read_b32 v15, v6 offset:14576
	ds_read_b32 v17, v16 offset:14560
	v_cmp_gt_u32_e64 s[8:9], 12, v4
	s_waitcnt lgkmcnt(0)
	v_fma_f32 v15, v15, v17, 0
	s_and_saveexec_b64 s[10:11], s[8:9]
	s_cbranch_execnz .LBB12_1253
; %bb.1054:
	s_or_b64 exec, exec, s[10:11]
	v_cmp_gt_u32_e64 s[8:9], 8, v4
	s_and_saveexec_b64 s[10:11], s[8:9]
	s_cbranch_execnz .LBB12_1254
.LBB12_1055:
	s_or_b64 exec, exec, s[10:11]
	v_cmp_gt_u32_e64 s[8:9], 4, v4
	s_and_saveexec_b64 s[10:11], s[8:9]
	s_cbranch_execz .LBB12_1057
.LBB12_1056:
	v_lshlrev_b32_e32 v13, 2, v0
	v_mov_b32_e32 v14, 0
	ds_read_b32 v13, v13 offset:15344
	ds_read_b32 v14, v14 offset:14572
	s_waitcnt lgkmcnt(0)
	v_fmac_f32_e32 v15, v13, v14
.LBB12_1057:
	s_or_b64 exec, exec, s[10:11]
	v_xor_b32_e32 v15, 0x80000000, v15
.LBB12_1058:
	s_or_b64 exec, exec, s[0:1]
	s_and_saveexec_b64 s[0:1], s[38:39]
	s_cbranch_execz .LBB12_1060
; %bb.1059:
	v_mov_b32_e32 v13, 0
	ds_read_b32 v13, v13 offset:15600
	s_waitcnt lgkmcnt(0)
	v_mul_f32_e32 v15, v15, v13
	ds_write_b32 v12, v15
.LBB12_1060:
	s_or_b64 exec, exec, s[0:1]
	s_waitcnt lgkmcnt(0)
	s_barrier
	s_and_saveexec_b64 s[0:1], s[42:43]
	v_readlane_b32 s38, v33, 1
	s_cbranch_execz .LBB12_1062
; %bb.1061:
	ds_read_b32 v13, v11 offset:15600
	ds_read_b32 v14, v12
	s_waitcnt lgkmcnt(0)
	v_fmac_f32_e32 v15, v13, v14
.LBB12_1062:
	s_or_b64 exec, exec, s[0:1]
	s_barrier
	s_and_saveexec_b64 s[0:1], s[44:45]
	s_cbranch_execz .LBB12_1064
; %bb.1063:
	v_mov_b32_e32 v13, 0
	ds_read_b32 v13, v13 offset:15860
	s_waitcnt lgkmcnt(0)
	v_mul_f32_e32 v15, v15, v13
	ds_write_b32 v12, v15
.LBB12_1064:
	s_or_b64 exec, exec, s[0:1]
	s_waitcnt lgkmcnt(0)
	s_barrier
	s_and_saveexec_b64 s[0:1], s[52:53]
	s_cbranch_execz .LBB12_1066
; %bb.1065:
	ds_read_b32 v11, v11 offset:15856
	ds_read_b32 v13, v12
	s_waitcnt lgkmcnt(0)
	v_fmac_f32_e32 v15, v11, v13
.LBB12_1066:
	s_or_b64 exec, exec, s[0:1]
	s_barrier
	s_and_saveexec_b64 s[0:1], s[54:55]
	s_cbranch_execz .LBB12_1068
; %bb.1067:
	v_mov_b32_e32 v11, 0
	ds_read_b32 v11, v11 offset:16120
	s_waitcnt lgkmcnt(0)
	v_mul_f32_e32 v15, v15, v11
	ds_write_b32 v12, v15
.LBB12_1068:
	s_or_b64 exec, exec, s[0:1]
	s_waitcnt lgkmcnt(0)
	s_barrier
	s_and_saveexec_b64 s[0:1], s[36:37]
	s_cbranch_execz .LBB12_1070
; %bb.1069:
	v_mov_b32_e32 v11, 0
	ds_read_b32 v11, v11 offset:16124
	ds_read_b32 v13, v12
	s_waitcnt lgkmcnt(0)
	v_fmac_f32_e32 v15, v11, v13
.LBB12_1070:
	s_or_b64 exec, exec, s[0:1]
	s_barrier
	s_and_saveexec_b64 s[0:1], s[36:37]
	s_cbranch_execz .LBB12_1072
; %bb.1071:
	v_mov_b32_e32 v11, 0
	ds_read_b32 v11, v11 offset:16380
	s_waitcnt lgkmcnt(0)
	v_mul_f32_e32 v15, v15, v11
	ds_write_b32 v12, v15
.LBB12_1072:
	s_or_b64 exec, exec, s[0:1]
	s_waitcnt lgkmcnt(0)
	s_barrier
	s_barrier
	s_and_saveexec_b64 s[0:1], s[18:19]
; %bb.1073:
	v_xor_b32_e32 v11, 0x80000000, v15
	ds_write_b32 v6, v11 offset:14576
; %bb.1074:
	s_or_b64 exec, exec, s[0:1]
	s_waitcnt lgkmcnt(0)
	s_barrier
	s_barrier
	s_and_saveexec_b64 s[0:1], s[56:57]
	s_cbranch_execz .LBB12_1076
; %bb.1075:
	v_lshlrev_b32_e32 v6, 8, v0
	ds_read_b32 v11, v6 offset:14576
	s_movk_i32 s8, 0xff04
	v_mad_i32_i24 v12, v0, s8, v6
	s_waitcnt lgkmcnt(0)
	ds_write_b32 v12, v11 offset:15584
	ds_read_b32 v11, v6 offset:14580
	s_waitcnt lgkmcnt(0)
	ds_write_b32 v12, v11 offset:15840
	ds_read_b32 v11, v6 offset:14584
	;; [unrolled: 3-line block ×3, first 2 shown]
	s_waitcnt lgkmcnt(0)
	ds_write_b32 v12, v6 offset:16352
.LBB12_1076:
	s_or_b64 exec, exec, s[0:1]
	s_waitcnt lgkmcnt(0)
	s_barrier
	s_and_saveexec_b64 s[0:1], vcc
	s_cbranch_execz .LBB12_1078
; %bb.1077:
	v_mov_b32_e32 v6, 0
	ds_read_b64 v[11:12], v6 offset:15600
	ds_read_b32 v6, v6 offset:15860
	s_movk_i32 s8, 0x3c00
	s_waitcnt lgkmcnt(0)
	v_mul_f32_e32 v6, v11, v6
	v_mul_f32_e32 v6, v12, v6
	v_add_u32_e64 v11, s8, 0
	ds_write2_b32 v11, v6, v6 offset0:61 offset1:124
.LBB12_1078:
	s_or_b64 exec, exec, s[0:1]
	v_mov_b32_e32 v6, 0
	s_waitcnt lgkmcnt(0)
	s_barrier
	s_and_saveexec_b64 s[0:1], s[2:3]
	s_cbranch_execz .LBB12_1082
; %bb.1079:
	v_mul_u32_u24_e32 v5, 0x104, v5
	ds_read_b32 v11, v1 offset:15608
	ds_read_b32 v5, v5 offset:15600
	v_mov_b32_e32 v6, 0
	v_cmp_gt_u32_e64 s[8:9], 2, v4
	s_waitcnt lgkmcnt(0)
	v_fma_f32 v5, v11, v5, 0
	s_and_saveexec_b64 s[10:11], s[8:9]
	s_cbranch_execz .LBB12_1081
; %bb.1080:
	v_lshlrev_b32_e32 v4, 2, v0
	ds_read_b32 v4, v4 offset:15864
	ds_read_b32 v6, v6 offset:15604
	s_waitcnt lgkmcnt(0)
	v_fmac_f32_e32 v5, v4, v6
.LBB12_1081:
	s_or_b64 exec, exec, s[10:11]
	v_xor_b32_e32 v6, 0x80000000, v5
.LBB12_1082:
	s_or_b64 exec, exec, s[0:1]
	s_and_saveexec_b64 s[0:1], s[30:31]
	s_cbranch_execz .LBB12_1084
; %bb.1083:
	v_mov_b32_e32 v4, 0
	ds_read_b32 v4, v4 offset:16120
	s_waitcnt lgkmcnt(0)
	v_mul_f32_e32 v6, v6, v4
	ds_write_b32 v3, v6
.LBB12_1084:
	s_or_b64 exec, exec, s[0:1]
	s_waitcnt lgkmcnt(0)
	s_barrier
	s_and_saveexec_b64 s[0:1], s[28:29]
	s_load_dword s30, s[4:5], 0x6c
	v_readlane_b32 s31, v33, 0
	s_cbranch_execz .LBB12_1086
; %bb.1085:
	v_mov_b32_e32 v4, 0
	ds_read_b32 v4, v4 offset:16124
	ds_read_b32 v5, v3
	s_waitcnt lgkmcnt(0)
	v_fmac_f32_e32 v6, v4, v5
.LBB12_1086:
	s_or_b64 exec, exec, s[0:1]
	s_waitcnt lgkmcnt(0)
	s_barrier
	s_and_saveexec_b64 s[0:1], s[28:29]
	s_cbranch_execz .LBB12_1088
; %bb.1087:
	v_mov_b32_e32 v4, 0
	ds_read_b32 v4, v4 offset:16380
	s_waitcnt lgkmcnt(0)
	v_mul_f32_e32 v6, v6, v4
	ds_write_b32 v3, v6
.LBB12_1088:
	s_or_b64 exec, exec, s[0:1]
	s_waitcnt lgkmcnt(0)
	s_barrier
	s_barrier
	s_and_saveexec_b64 s[0:1], s[2:3]
; %bb.1089:
	v_xor_b32_e32 v3, 0x80000000, v6
	ds_write_b32 v1, v3 offset:15608
; %bb.1090:
	s_or_b64 exec, exec, s[0:1]
	s_waitcnt lgkmcnt(0)
	s_barrier
	s_barrier
	s_and_saveexec_b64 s[0:1], s[34:35]
	s_cbranch_execz .LBB12_1092
; %bb.1091:
	v_lshlrev_b32_e32 v1, 2, v0
	s_movk_i32 s2, 0xfc
	v_mad_u32_u24 v3, v0, s2, v1
	ds_read_b32 v4, v3 offset:15608
	s_waitcnt lgkmcnt(0)
	ds_write_b32 v1, v4 offset:16112
	ds_read_b32 v3, v3 offset:15612
	s_waitcnt lgkmcnt(0)
	ds_write_b32 v1, v3 offset:16368
.LBB12_1092:
	s_or_b64 exec, exec, s[0:1]
	s_waitcnt lgkmcnt(0)
	s_barrier
	s_and_saveexec_b64 s[0:1], vcc
	s_cbranch_execz .LBB12_1094
; %bb.1093:
	v_mov_b32_e32 v1, 0
	ds_read_b64 v[3:4], v1 offset:16120
	ds_read_b32 v1, v1 offset:16380
	s_movk_i32 s2, 0x3c00
	s_waitcnt lgkmcnt(0)
	v_mul_f32_e32 v1, v3, v1
	v_mul_f32_e32 v1, v4, v1
	v_add_u32_e64 v3, s2, 0
	ds_write2_b32 v3, v1, v1 offset0:191 offset1:254
.LBB12_1094:
	s_or_b64 exec, exec, s[0:1]
.LBB12_1095:
	s_load_dwordx4 s[12:15], s[4:5], 0x48
	v_cmp_le_i32_e32 vcc, s90, v0
	v_mov_b32_e32 v11, 0
	v_add_u32_e32 v3, s33, v0
	s_waitcnt lgkmcnt(0)
	s_mul_i32 s1, s13, s22
	s_mul_hi_u32 s2, s12, s22
	s_mul_i32 s0, s12, s22
	s_add_i32 s1, s2, s1
	s_lshl_b64 s[0:1], s[0:1], 2
	s_add_u32 s2, s46, s0
	s_addc_u32 s3, s47, s1
	s_lshl_b64 s[0:1], s[48:49], 2
	s_add_u32 s20, s2, s0
	s_addc_u32 s21, s3, s1
	s_and_b64 s[16:17], vcc, s[26:27]
	v_cmp_eq_u32_e64 s[2:3], 0, v2
	s_xor_b64 s[0:1], s[16:17], -1
	s_and_b64 s[4:5], s[2:3], s[0:1]
	s_barrier
	s_and_saveexec_b64 s[0:1], s[4:5]
	s_cbranch_execz .LBB12_1097
; %bb.1096:
	v_ashrrev_i32_e32 v1, 31, v3
	v_mul_lo_u32 v6, s51, v3
	v_mad_u64_u32 v[4:5], s[4:5], s50, v3, 0
	v_mul_lo_u32 v1, s50, v1
	v_add3_u32 v5, v5, v1, v6
	v_lshlrev_b64 v[4:5], 2, v[4:5]
	v_mov_b32_e32 v1, s21
	v_add_co_u32_e32 v4, vcc, s20, v4
	v_addc_co_u32_e32 v5, vcc, v1, v5, vcc
	global_load_dword v1, v[4:5], off
	s_waitcnt vmcnt(0)
	v_mul_f32_e64 v11, v1, -s31
.LBB12_1097:
	s_or_b64 exec, exec, s[0:1]
	s_and_b32 s0, 0xffff, s30
	v_mad_u32_u24 v1, v2, s0, v0
	s_cmp_lt_i32 s6, 1
	v_cmp_eq_u32_e64 s[4:5], 0, v1
	s_cbranch_scc1 .LBB12_1123
; %bb.1098:
	v_ashrrev_i32_e32 v6, 31, v3
	v_mul_lo_u32 v12, s41, v3
	v_mad_u64_u32 v[4:5], s[0:1], s40, v3, 0
	v_mul_lo_u32 v6, s40, v6
	v_cmp_gt_i32_e64 s[8:9], s24, v3
	s_lshl_b64 s[0:1], s[22:23], 2
	s_add_u32 s0, s14, s0
	v_add3_u32 v5, v5, v6, v12
	v_lshlrev_b64 v[3:4], 2, v[4:5]
	v_mov_b32_e32 v6, 0x5000
	v_mov_b32_e32 v5, s92
	v_add_co_u32_e32 v14, vcc, s91, v3
	s_mov_b32 s28, 0
	s_addc_u32 s1, s15, s1
	v_cmp_gt_u32_e64 s[12:13], 64, v1
	v_lshl_add_u32 v12, v1, 2, v6
	v_lshl_or_b32 v13, v2, 2, v6
	s_add_i32 s93, s93, 1
	v_addc_co_u32_e32 v15, vcc, v5, v4, vcc
	v_mov_b32_e32 v17, -1
	v_mov_b32_e32 v16, 0
	s_branch .LBB12_1101
.LBB12_1099:                            ;   in Loop: Header=BB12_1101 Depth=1
	ds_read_b32 v3, v13 offset:192
	s_waitcnt vmcnt(0) lgkmcnt(0)
	v_fmac_f32_e32 v11, v5, v3
.LBB12_1100:                            ;   in Loop: Header=BB12_1101 Depth=1
	s_or_b64 exec, exec, s[18:19]
	s_add_i32 s28, s28, 1
	s_cmp_eq_u32 s28, s6
	s_cbranch_scc1 .LBB12_1123
.LBB12_1101:                            ; =>This Loop Header: Depth=1
                                        ;     Child Loop BB12_1103 Depth 2
	v_cmp_gt_i32_e32 vcc, s28, v17
	s_and_b64 s[18:19], s[4:5], vcc
	s_and_saveexec_b64 s[10:11], s[18:19]
	s_cbranch_execz .LBB12_1104
; %bb.1102:                             ;   in Loop: Header=BB12_1101 Depth=1
	global_load_dword v17, v16, s[0:1]
	s_waitcnt vmcnt(0)
	v_cmp_le_i32_e32 vcc, s28, v17
	s_cbranch_vccnz .LBB12_1104
.LBB12_1103:                            ;   Parent Loop BB12_1101 Depth=1
                                        ; =>  This Inner Loop Header: Depth=2
	buffer_wbinvl1_vol
	global_load_dword v17, v16, s[0:1]
	s_waitcnt vmcnt(0)
	v_cmp_gt_i32_e32 vcc, s28, v17
	s_cbranch_vccnz .LBB12_1103
.LBB12_1104:                            ;   in Loop: Header=BB12_1101 Depth=1
	s_or_b64 exec, exec, s[10:11]
	s_sub_i32 s29, s7, s28
	s_lshl_b32 s30, s29, 6
	buffer_wbinvl1_vol
	s_barrier
	s_and_saveexec_b64 s[10:11], s[12:13]
	s_cbranch_execz .LBB12_1108
; %bb.1105:                             ;   in Loop: Header=BB12_1101 Depth=1
	s_ashr_i32 s18, s30, 31
	v_mov_b32_e32 v4, s18
	v_or_b32_e32 v3, s30, v1
	v_cmp_gt_i64_e32 vcc, s[24:25], v[3:4]
	v_mov_b32_e32 v5, 0
	s_and_saveexec_b64 s[18:19], vcc
	s_cbranch_execz .LBB12_1107
; %bb.1106:                             ;   in Loop: Header=BB12_1101 Depth=1
	v_mul_lo_u32 v5, v4, s50
	v_mul_lo_u32 v6, v3, s51
	v_mad_u64_u32 v[3:4], s[34:35], v3, s50, 0
	v_add3_u32 v4, v4, v6, v5
	v_lshlrev_b64 v[3:4], 2, v[3:4]
	v_mov_b32_e32 v5, s21
	v_add_co_u32_e32 v3, vcc, s20, v3
	v_addc_co_u32_e32 v4, vcc, v5, v4, vcc
	global_load_dword v5, v[3:4], off
.LBB12_1107:                            ;   in Loop: Header=BB12_1101 Depth=1
	s_or_b64 exec, exec, s[18:19]
	s_waitcnt vmcnt(0)
	ds_write_b32 v12, v5
.LBB12_1108:                            ;   in Loop: Header=BB12_1101 Depth=1
	s_or_b64 exec, exec, s[10:11]
	v_add_u32_e32 v5, s30, v2
	v_ashrrev_i32_e32 v6, 31, v5
	v_lshlrev_b64 v[3:4], 2, v[5:6]
	s_cmp_lg_u32 s29, s93
	v_add_co_u32_e32 v3, vcc, v14, v3
	s_cselect_b64 s[10:11], -1, 0
	v_addc_co_u32_e32 v4, vcc, v15, v4, vcc
	v_cmp_gt_i32_e32 vcc, s24, v5
	v_cndmask_b32_e64 v6, 0, 1, s[10:11]
	s_and_b64 s[30:31], vcc, s[8:9]
	v_cmp_ne_u32_e64 s[10:11], 1, v6
	s_waitcnt lgkmcnt(0)
	s_barrier
	s_and_saveexec_b64 s[18:19], s[30:31]
	s_cbranch_execz .LBB12_1112
; %bb.1109:                             ;   in Loop: Header=BB12_1101 Depth=1
	s_and_b64 vcc, exec, s[10:11]
	v_mov_b32_e32 v6, v8
	s_cbranch_vccnz .LBB12_1111
; %bb.1110:                             ;   in Loop: Header=BB12_1101 Depth=1
	global_load_dword v6, v[3:4], off
.LBB12_1111:                            ;   in Loop: Header=BB12_1101 Depth=1
	ds_read_b32 v18, v13
	s_waitcnt vmcnt(0) lgkmcnt(0)
	v_fmac_f32_e32 v11, v6, v18
.LBB12_1112:                            ;   in Loop: Header=BB12_1101 Depth=1
	s_or_b64 exec, exec, s[18:19]
	v_add_u32_e32 v6, 16, v5
	v_cmp_gt_i32_e32 vcc, s24, v6
	s_and_b64 s[30:31], vcc, s[8:9]
	s_and_saveexec_b64 s[18:19], s[30:31]
	s_cbranch_execz .LBB12_1116
; %bb.1113:                             ;   in Loop: Header=BB12_1101 Depth=1
	s_and_b64 vcc, exec, s[10:11]
	v_mov_b32_e32 v6, v7
	s_cbranch_vccnz .LBB12_1115
; %bb.1114:                             ;   in Loop: Header=BB12_1101 Depth=1
	global_load_dword v6, v[3:4], off offset:64
.LBB12_1115:                            ;   in Loop: Header=BB12_1101 Depth=1
	ds_read_b32 v18, v13 offset:64
	s_waitcnt vmcnt(0) lgkmcnt(0)
	v_fmac_f32_e32 v11, v6, v18
.LBB12_1116:                            ;   in Loop: Header=BB12_1101 Depth=1
	s_or_b64 exec, exec, s[18:19]
	v_add_u32_e32 v6, 32, v5
	v_cmp_gt_i32_e32 vcc, s24, v6
	s_and_b64 s[30:31], vcc, s[8:9]
	s_and_saveexec_b64 s[18:19], s[30:31]
	s_cbranch_execz .LBB12_1120
; %bb.1117:                             ;   in Loop: Header=BB12_1101 Depth=1
	s_and_b64 vcc, exec, s[10:11]
	v_mov_b32_e32 v6, v10
	s_cbranch_vccnz .LBB12_1119
; %bb.1118:                             ;   in Loop: Header=BB12_1101 Depth=1
	global_load_dword v6, v[3:4], off offset:128
.LBB12_1119:                            ;   in Loop: Header=BB12_1101 Depth=1
	ds_read_b32 v18, v13 offset:128
	s_waitcnt vmcnt(0) lgkmcnt(0)
	v_fmac_f32_e32 v11, v6, v18
.LBB12_1120:                            ;   in Loop: Header=BB12_1101 Depth=1
	s_or_b64 exec, exec, s[18:19]
	v_add_u32_e32 v5, 48, v5
	v_cmp_gt_i32_e32 vcc, s24, v5
	s_and_b64 s[30:31], vcc, s[8:9]
	s_and_saveexec_b64 s[18:19], s[30:31]
	s_cbranch_execz .LBB12_1100
; %bb.1121:                             ;   in Loop: Header=BB12_1101 Depth=1
	s_and_b64 vcc, exec, s[10:11]
	v_mov_b32_e32 v5, v9
	s_cbranch_vccnz .LBB12_1099
; %bb.1122:                             ;   in Loop: Header=BB12_1101 Depth=1
	global_load_dword v5, v[3:4], off offset:192
	s_branch .LBB12_1099
.LBB12_1123:
	v_lshl_add_u32 v3, v2, 6, v0
	s_xor_b64 s[0:1], s[26:27], -1
	v_lshlrev_b32_e32 v3, 2, v3
	ds_write_b32 v3, v11 offset:16384
	s_waitcnt lgkmcnt(0)
	s_barrier
	s_and_saveexec_b64 s[4:5], s[2:3]
	s_cbranch_execz .LBB12_1125
; %bb.1124:
	v_lshlrev_b32_e32 v10, 2, v0
	ds_read2st64_b32 v[4:5], v10 offset0:65 offset1:66
	ds_read2st64_b32 v[6:7], v10 offset0:67 offset1:68
	ds_read2st64_b32 v[8:9], v10 offset0:69 offset1:70
	ds_read2st64_b32 v[12:13], v10 offset0:71 offset1:72
	ds_read2st64_b32 v[14:15], v10 offset0:73 offset1:74
	s_waitcnt lgkmcnt(4)
	v_add_f32_e32 v4, v11, v4
	v_add_f32_e32 v4, v4, v5
	s_waitcnt lgkmcnt(3)
	v_add_f32_e32 v4, v4, v6
	v_add_f32_e32 v4, v4, v7
	s_waitcnt lgkmcnt(2)
	v_add_f32_e32 v4, v4, v8
	v_add_f32_e32 v4, v4, v9
	s_waitcnt lgkmcnt(1)
	v_add_f32_e32 v4, v4, v12
	v_add_f32_e32 v8, v4, v13
	ds_read2st64_b32 v[4:5], v10 offset0:75 offset1:76
	ds_read2st64_b32 v[6:7], v10 offset0:77 offset1:78
	ds_read_b32 v9, v10 offset:20224
	s_waitcnt lgkmcnt(3)
	v_add_f32_e32 v8, v8, v14
	v_add_f32_e32 v8, v8, v15
	s_waitcnt lgkmcnt(2)
	v_add_f32_e32 v4, v8, v4
	v_add_f32_e32 v4, v4, v5
	;; [unrolled: 3-line block ×3, first 2 shown]
	s_waitcnt lgkmcnt(0)
	v_add_f32_e32 v4, v4, v9
	v_cndmask_b32_e64 v11, -v4, 0, s[16:17]
.LBB12_1125:
	s_or_b64 exec, exec, s[4:5]
	s_and_b64 vcc, exec, s[58:59]
	s_cbranch_vccnz .LBB12_1138
; %bb.1126:
	v_mov_b32_e32 v4, 0x5000
	v_lshl_or_b32 v5, v2, 2, v4
	s_and_saveexec_b64 s[4:5], s[2:3]
; %bb.1127:
	v_lshl_add_u32 v4, v0, 2, v5
	ds_write_b32 v4, v11
; %bb.1128:
	s_or_b64 exec, exec, s[4:5]
	v_cmp_le_u32_e32 vcc, v0, v2
	v_mov_b32_e32 v4, 0
	s_waitcnt lgkmcnt(0)
	s_barrier
	s_and_saveexec_b64 s[4:5], vcc
	s_cbranch_execz .LBB12_1130
; %bb.1129:
	ds_read_b32 v4, v3
	ds_read_b32 v6, v5
	s_waitcnt lgkmcnt(0)
	v_fma_f32 v4, v4, v6, 0
.LBB12_1130:
	s_or_b64 exec, exec, s[4:5]
	v_add_u32_e32 v6, 16, v2
	v_cmp_le_u32_e32 vcc, v0, v6
	s_and_saveexec_b64 s[4:5], vcc
	s_cbranch_execz .LBB12_1132
; %bb.1131:
	ds_read_b32 v6, v3 offset:4096
	ds_read_b32 v7, v5 offset:64
	s_waitcnt lgkmcnt(0)
	v_fmac_f32_e32 v4, v6, v7
.LBB12_1132:
	s_or_b64 exec, exec, s[4:5]
	v_add_u32_e32 v6, 32, v2
	v_cmp_le_u32_e32 vcc, v0, v6
	s_and_saveexec_b64 s[4:5], vcc
	s_cbranch_execz .LBB12_1134
; %bb.1133:
	ds_read_b32 v6, v3 offset:8192
	ds_read_b32 v7, v5 offset:128
	s_waitcnt lgkmcnt(0)
	v_fmac_f32_e32 v4, v6, v7
.LBB12_1134:
	s_or_b64 exec, exec, s[4:5]
	v_add_u32_e32 v2, 48, v2
	v_add_u32_e32 v6, 0x4000, v3
	v_cmp_le_u32_e32 vcc, v0, v2
	s_and_saveexec_b64 s[4:5], vcc
	s_cbranch_execz .LBB12_1136
; %bb.1135:
	ds_read_b32 v2, v3 offset:12288
	ds_read_b32 v3, v5 offset:192
	s_waitcnt lgkmcnt(0)
	v_fmac_f32_e32 v4, v2, v3
.LBB12_1136:
	s_or_b64 exec, exec, s[4:5]
	s_mov_b64 s[6:7], 0
	s_mov_b64 s[4:5], 0
	ds_write_b32 v6, v4
	s_waitcnt lgkmcnt(0)
	s_barrier
                                        ; implicit-def: $vgpr2
	s_and_saveexec_b64 s[8:9], s[2:3]
	s_cbranch_execz .LBB12_1201
; %bb.1137:
	v_lshlrev_b32_e32 v12, 2, v0
	ds_read2st64_b32 v[2:3], v12 offset0:65 offset1:66
	ds_read2st64_b32 v[5:6], v12 offset0:67 offset1:68
	;; [unrolled: 1-line block ×4, first 2 shown]
	s_mov_b64 s[4:5], exec
	s_waitcnt lgkmcnt(3)
	v_add_f32_e32 v2, v4, v2
	v_add_f32_e32 v2, v3, v2
	s_waitcnt lgkmcnt(2)
	v_add_f32_e32 v2, v5, v2
	v_add_f32_e32 v2, v6, v2
	;; [unrolled: 3-line block ×3, first 2 shown]
	s_waitcnt lgkmcnt(0)
	v_add_f32_e32 v4, v9, v2
	ds_read2st64_b32 v[2:3], v12 offset0:73 offset1:74
	v_add_f32_e32 v8, v10, v4
	ds_read2st64_b32 v[4:5], v12 offset0:75 offset1:76
	ds_read2st64_b32 v[6:7], v12 offset0:77 offset1:78
	ds_read_b32 v9, v12 offset:20224
	s_waitcnt lgkmcnt(3)
	v_add_f32_e32 v2, v2, v8
	v_add_f32_e32 v2, v3, v2
	s_waitcnt lgkmcnt(2)
	v_add_f32_e32 v2, v4, v2
	v_add_f32_e32 v2, v5, v2
	;; [unrolled: 3-line block ×3, first 2 shown]
	s_waitcnt lgkmcnt(0)
	v_add_f32_e32 v2, v9, v2
	s_or_b64 exec, exec, s[8:9]
	s_and_b64 vcc, exec, s[6:7]
	s_cbranch_vccnz .LBB12_1139
	s_branch .LBB12_1202
.LBB12_1138:
	s_mov_b64 s[4:5], 0
                                        ; implicit-def: $vgpr2
	s_cbranch_execz .LBB12_1202
.LBB12_1139:
	s_movk_i32 s6, 0x104
	v_lshlrev_b32_e32 v3, 8, v0
	v_mov_b32_e32 v4, 0x3c00
	v_mul_u32_u24_e32 v2, 0x104, v0
	v_sub_u32_e32 v3, 0, v3
	v_mad_u32_u24 v4, v0, s6, v4
	s_mov_b32 s8, 63
	s_movk_i32 s9, 0xc100
	v_mov_b32_e32 v5, 0
	s_branch .LBB12_1141
.LBB12_1140:                            ;   in Loop: Header=BB12_1141 Depth=1
	s_or_b64 exec, exec, s[6:7]
	s_add_i32 s8, s8, -4
	s_cmp_lg_u32 s10, 0
	v_add_u32_e32 v3, 0xfffffc00, v3
	s_barrier
	s_cbranch_scc0 .LBB12_1157
.LBB12_1141:                            ; =>This Inner Loop Header: Depth=1
	v_cmp_eq_u32_e32 vcc, s9, v3
	s_and_b64 s[10:11], s[2:3], vcc
	s_and_saveexec_b64 s[6:7], s[10:11]
	s_cbranch_execz .LBB12_1143
; %bb.1142:                             ;   in Loop: Header=BB12_1141 Depth=1
	ds_read_b32 v6, v2
	s_waitcnt lgkmcnt(0)
	v_mul_f32_e32 v11, v11, v6
	ds_write_b32 v5, v11 offset:20736
.LBB12_1143:                            ;   in Loop: Header=BB12_1141 Depth=1
	s_or_b64 exec, exec, s[6:7]
	v_cmp_gt_u32_e32 vcc, s8, v0
	s_and_b64 s[10:11], s[2:3], vcc
	v_add_u32_e32 v6, v4, v3
	s_waitcnt lgkmcnt(0)
	s_barrier
	s_and_saveexec_b64 s[6:7], s[10:11]
	s_cbranch_execz .LBB12_1145
; %bb.1144:                             ;   in Loop: Header=BB12_1141 Depth=1
	ds_read_b32 v7, v6 offset:768
	ds_read_b32 v8, v5 offset:20736
	s_waitcnt lgkmcnt(0)
	v_fmac_f32_e32 v11, v7, v8
.LBB12_1145:                            ;   in Loop: Header=BB12_1141 Depth=1
	s_or_b64 exec, exec, s[6:7]
	s_add_i32 s10, s8, -1
	v_cmp_eq_u32_e32 vcc, s10, v0
	s_and_b64 s[12:13], s[2:3], vcc
	s_barrier
	s_and_saveexec_b64 s[6:7], s[12:13]
	s_cbranch_execz .LBB12_1147
; %bb.1146:                             ;   in Loop: Header=BB12_1141 Depth=1
	ds_read_b32 v7, v2
	s_waitcnt lgkmcnt(0)
	v_mul_f32_e32 v11, v11, v7
	ds_write_b32 v5, v11 offset:20736
.LBB12_1147:                            ;   in Loop: Header=BB12_1141 Depth=1
	s_or_b64 exec, exec, s[6:7]
	v_cmp_gt_u32_e32 vcc, s10, v0
	s_and_b64 s[10:11], s[2:3], vcc
	s_waitcnt lgkmcnt(0)
	s_barrier
	s_and_saveexec_b64 s[6:7], s[10:11]
	s_cbranch_execz .LBB12_1149
; %bb.1148:                             ;   in Loop: Header=BB12_1141 Depth=1
	ds_read_b32 v7, v6 offset:512
	ds_read_b32 v8, v5 offset:20736
	s_waitcnt lgkmcnt(0)
	v_fmac_f32_e32 v11, v7, v8
.LBB12_1149:                            ;   in Loop: Header=BB12_1141 Depth=1
	s_or_b64 exec, exec, s[6:7]
	s_add_i32 s10, s8, -2
	v_cmp_eq_u32_e32 vcc, s10, v0
	s_and_b64 s[12:13], s[2:3], vcc
	s_barrier
	s_and_saveexec_b64 s[6:7], s[12:13]
	s_cbranch_execz .LBB12_1151
; %bb.1150:                             ;   in Loop: Header=BB12_1141 Depth=1
	ds_read_b32 v7, v2
	s_waitcnt lgkmcnt(0)
	v_mul_f32_e32 v11, v11, v7
	ds_write_b32 v5, v11 offset:20736
.LBB12_1151:                            ;   in Loop: Header=BB12_1141 Depth=1
	s_or_b64 exec, exec, s[6:7]
	v_cmp_gt_u32_e32 vcc, s10, v0
	s_and_b64 s[10:11], s[2:3], vcc
	;; [unrolled: 26-line block ×3, first 2 shown]
	s_waitcnt lgkmcnt(0)
	s_barrier
	s_and_saveexec_b64 s[6:7], s[12:13]
	s_cbranch_execz .LBB12_1140
; %bb.1156:                             ;   in Loop: Header=BB12_1141 Depth=1
	ds_read_b32 v6, v6
	ds_read_b32 v7, v5 offset:20736
	s_waitcnt lgkmcnt(0)
	v_fmac_f32_e32 v11, v6, v7
	s_branch .LBB12_1140
.LBB12_1157:
	s_mov_b64 s[6:7], -1
	s_and_b64 vcc, exec, s[0:1]
	s_cbranch_vccnz .LBB12_1203
; %bb.1158:
	s_andn2_b64 vcc, exec, s[6:7]
	s_cbranch_vccz .LBB12_1204
.LBB12_1159:
	s_and_saveexec_b64 s[0:1], s[4:5]
	s_cbranch_execz .LBB12_1161
.LBB12_1160:
	v_mov_b32_e32 v0, s38
	v_add_co_u32_e32 v2, vcc, s33, v1
	v_addc_co_u32_e32 v0, vcc, 0, v0, vcc
	v_mul_lo_u32 v0, v0, s50
	v_mul_lo_u32 v4, v2, s51
	v_mad_u64_u32 v[2:3], s[2:3], v2, s50, 0
	v_add3_u32 v3, v3, v4, v0
	v_lshlrev_b64 v[2:3], 2, v[2:3]
	v_mov_b32_e32 v0, s21
	v_add_co_u32_e32 v2, vcc, s20, v2
	v_addc_co_u32_e32 v3, vcc, v0, v3, vcc
	global_store_dword v[2:3], v11, off
.LBB12_1161:
	s_or_b64 exec, exec, s[0:1]
	v_cmp_eq_u32_e32 vcc, 0, v1
	s_waitcnt vmcnt(0)
	buffer_wbinvl1_vol
	s_barrier
	s_and_saveexec_b64 s[0:1], vcc
	s_cbranch_execz .LBB12_1163
; %bb.1162:
	s_lshl_b64 s[2:3], s[22:23], 2
	s_add_u32 s2, s14, s2
	s_addc_u32 s3, s15, s3
	v_mov_b32_e32 v0, 0
	global_load_dword v1, v0, s[2:3]
	s_waitcnt vmcnt(0)
	v_add_u32_e32 v1, 1, v1
	global_store_dword v0, v1, s[2:3]
.LBB12_1163:
	s_or_b64 exec, exec, s[0:1]
	s_waitcnt vmcnt(0)
	buffer_wbinvl1_vol
	s_endpgm
.LBB12_1164:
                                        ; implicit-def: $vgpr9
                                        ; implicit-def: $vgpr10
                                        ; implicit-def: $vgpr7
                                        ; implicit-def: $vgpr8
                                        ; implicit-def: $sgpr33
	s_cbranch_execnz .LBB12_10
	s_branch .LBB12_11
.LBB12_1165:
	v_cmp_ne_u32_e32 vcc, v0, v2
	s_and_saveexec_b64 s[12:13], vcc
	s_xor_b64 s[12:13], exec, s[12:13]
; %bb.1166:
	v_or_b32_e32 v1, v2, v0
	v_cmp_gt_u32_e32 vcc, 64, v1
	s_and_b64 s[10:11], vcc, exec
                                        ; implicit-def: $vgpr5_vgpr6
; %bb.1167:
	s_or_saveexec_b64 s[12:13], s[12:13]
	v_mov_b32_e32 v1, 0
	s_xor_b64 exec, exec, s[12:13]
	s_cbranch_execz .LBB12_1169
; %bb.1168:
	v_lshlrev_b64 v[5:6], 2, v[5:6]
	v_mov_b32_e32 v1, s92
	v_add_co_u32_e32 v5, vcc, s91, v5
	v_addc_co_u32_e32 v6, vcc, v1, v6, vcc
	global_load_dword v1, v[5:6], off
	s_or_b64 s[10:11], s[10:11], exec
	s_waitcnt vmcnt(0)
	v_div_scale_f32 v5, s[14:15], v1, v1, 1.0
	v_div_scale_f32 v6, vcc, 1.0, v1, 1.0
	v_rcp_f32_e32 v12, v5
	v_fma_f32 v13, -v5, v12, 1.0
	v_fmac_f32_e32 v12, v13, v12
	v_mul_f32_e32 v13, v6, v12
	v_fma_f32 v14, -v5, v13, v6
	v_fmac_f32_e32 v13, v14, v12
	v_fma_f32 v5, -v5, v13, v6
	v_div_fmas_f32 v5, v5, v12, v13
	v_div_fixup_f32 v1, v5, v1, 1.0
.LBB12_1169:
	s_or_b64 exec, exec, s[12:13]
	s_and_b64 s[10:11], s[10:11], exec
                                        ; implicit-def: $vgpr5_vgpr6
	s_andn2_saveexec_b64 s[8:9], s[8:9]
	s_cbranch_execz .LBB12_14
.LBB12_1170:
	v_lshlrev_b64 v[5:6], 2, v[5:6]
	v_mov_b32_e32 v1, s92
	v_add_co_u32_e32 v5, vcc, s91, v5
	v_addc_co_u32_e32 v6, vcc, v1, v6, vcc
	global_load_dword v1, v[5:6], off
	s_or_b64 s[10:11], s[10:11], exec
	s_waitcnt vmcnt(0)
	v_xor_b32_e32 v1, 0x80000000, v1
	s_or_b64 exec, exec, s[8:9]
	s_and_saveexec_b64 s[8:9], s[10:11]
	s_cbranch_execnz .LBB12_15
	s_branch .LBB12_16
.LBB12_1171:
	v_cmp_ne_u32_e32 vcc, v0, v1
	s_and_saveexec_b64 s[10:11], vcc
	s_xor_b64 s[10:11], exec, s[10:11]
; %bb.1172:
	v_or_b32_e32 v5, v1, v0
	v_cmp_gt_u32_e32 vcc, 64, v5
	s_and_b64 s[8:9], vcc, exec
                                        ; implicit-def: $vgpr5_vgpr6
; %bb.1173:
	s_or_saveexec_b64 s[10:11], s[10:11]
	v_mov_b32_e32 v12, 0
	s_xor_b64 exec, exec, s[10:11]
	s_cbranch_execz .LBB12_1175
; %bb.1174:
	v_lshlrev_b64 v[5:6], 2, v[5:6]
	v_mov_b32_e32 v12, s92
	v_add_co_u32_e32 v5, vcc, s91, v5
	v_addc_co_u32_e32 v6, vcc, v12, v6, vcc
	global_load_dword v5, v[5:6], off
	s_or_b64 s[8:9], s[8:9], exec
	s_waitcnt vmcnt(0)
	v_div_scale_f32 v6, s[12:13], v5, v5, 1.0
	v_div_scale_f32 v12, vcc, 1.0, v5, 1.0
	v_rcp_f32_e32 v13, v6
	v_fma_f32 v14, -v6, v13, 1.0
	v_fmac_f32_e32 v13, v14, v13
	v_mul_f32_e32 v14, v12, v13
	v_fma_f32 v15, -v6, v14, v12
	v_fmac_f32_e32 v14, v15, v13
	v_fma_f32 v6, -v6, v14, v12
	v_div_fmas_f32 v6, v6, v13, v14
	v_div_fixup_f32 v12, v6, v5, 1.0
.LBB12_1175:
	s_or_b64 exec, exec, s[10:11]
	s_and_b64 s[8:9], s[8:9], exec
                                        ; implicit-def: $vgpr5_vgpr6
	s_andn2_saveexec_b64 s[2:3], s[2:3]
	s_cbranch_execz .LBB12_18
.LBB12_1176:
	v_lshlrev_b64 v[5:6], 2, v[5:6]
	v_mov_b32_e32 v12, s92
	v_add_co_u32_e32 v5, vcc, s91, v5
	v_addc_co_u32_e32 v6, vcc, v12, v6, vcc
	global_load_dword v5, v[5:6], off
	s_or_b64 s[8:9], s[8:9], exec
	s_waitcnt vmcnt(0)
	v_xor_b32_e32 v12, 0x80000000, v5
	s_or_b64 exec, exec, s[2:3]
	s_and_saveexec_b64 s[2:3], s[8:9]
	s_cbranch_execnz .LBB12_19
	s_branch .LBB12_20
.LBB12_1177:
	v_cmp_ne_u32_e32 vcc, v0, v1
	s_and_saveexec_b64 s[10:11], vcc
	s_xor_b64 s[10:11], exec, s[10:11]
; %bb.1178:
	v_or_b32_e32 v5, v1, v0
	v_cmp_gt_u32_e32 vcc, 64, v5
	s_and_b64 s[8:9], vcc, exec
                                        ; implicit-def: $vgpr5_vgpr6
; %bb.1179:
	s_or_saveexec_b64 s[10:11], s[10:11]
	v_mov_b32_e32 v12, 0
	s_xor_b64 exec, exec, s[10:11]
	s_cbranch_execz .LBB12_1181
; %bb.1180:
	v_lshlrev_b64 v[5:6], 2, v[5:6]
	v_mov_b32_e32 v12, s92
	v_add_co_u32_e32 v5, vcc, s91, v5
	v_addc_co_u32_e32 v6, vcc, v12, v6, vcc
	global_load_dword v5, v[5:6], off
	s_or_b64 s[8:9], s[8:9], exec
	s_waitcnt vmcnt(0)
	v_div_scale_f32 v6, s[12:13], v5, v5, 1.0
	v_div_scale_f32 v12, vcc, 1.0, v5, 1.0
	v_rcp_f32_e32 v13, v6
	v_fma_f32 v14, -v6, v13, 1.0
	v_fmac_f32_e32 v13, v14, v13
	v_mul_f32_e32 v14, v12, v13
	v_fma_f32 v15, -v6, v14, v12
	v_fmac_f32_e32 v14, v15, v13
	v_fma_f32 v6, -v6, v14, v12
	v_div_fmas_f32 v6, v6, v13, v14
	v_div_fixup_f32 v12, v6, v5, 1.0
.LBB12_1181:
	s_or_b64 exec, exec, s[10:11]
	s_and_b64 s[8:9], s[8:9], exec
                                        ; implicit-def: $vgpr5_vgpr6
	s_andn2_saveexec_b64 s[2:3], s[2:3]
	s_cbranch_execz .LBB12_22
.LBB12_1182:
	v_lshlrev_b64 v[5:6], 2, v[5:6]
	v_mov_b32_e32 v12, s92
	v_add_co_u32_e32 v5, vcc, s91, v5
	v_addc_co_u32_e32 v6, vcc, v12, v6, vcc
	global_load_dword v5, v[5:6], off
	s_or_b64 s[8:9], s[8:9], exec
	s_waitcnt vmcnt(0)
	v_xor_b32_e32 v12, 0x80000000, v5
	s_or_b64 exec, exec, s[2:3]
	s_and_saveexec_b64 s[2:3], s[8:9]
	s_cbranch_execnz .LBB12_23
	s_branch .LBB12_24
.LBB12_1183:
	v_cmp_ne_u32_e32 vcc, v0, v2
	s_xor_b64 s[12:13], s[2:3], -1
	s_or_b64 s[14:15], s[12:13], vcc
	s_mov_b64 s[12:13], 0
	s_and_saveexec_b64 s[16:17], s[14:15]
	s_xor_b64 s[14:15], exec, s[16:17]
; %bb.1184:
	v_or_b32_e32 v1, v2, v0
	v_cmp_gt_u32_e32 vcc, 64, v1
	s_and_b64 s[12:13], vcc, exec
                                        ; implicit-def: $vgpr5_vgpr6
; %bb.1185:
	s_or_saveexec_b64 s[14:15], s[14:15]
	v_mov_b32_e32 v1, 0
	s_xor_b64 exec, exec, s[14:15]
	s_cbranch_execz .LBB12_1187
; %bb.1186:
	v_lshlrev_b64 v[5:6], 2, v[5:6]
	v_mov_b32_e32 v1, s92
	v_add_co_u32_e32 v5, vcc, s91, v5
	v_addc_co_u32_e32 v6, vcc, v1, v6, vcc
	global_load_dword v1, v[5:6], off
	s_or_b64 s[12:13], s[12:13], exec
	s_waitcnt vmcnt(0)
	v_div_scale_f32 v5, s[16:17], v1, v1, 1.0
	v_div_scale_f32 v6, vcc, 1.0, v1, 1.0
	v_rcp_f32_e32 v12, v5
	v_fma_f32 v13, -v5, v12, 1.0
	v_fmac_f32_e32 v12, v13, v12
	v_mul_f32_e32 v13, v6, v12
	v_fma_f32 v14, -v5, v13, v6
	v_fmac_f32_e32 v13, v14, v12
	v_fma_f32 v5, -v5, v13, v6
	v_div_fmas_f32 v5, v5, v12, v13
	v_div_fixup_f32 v1, v5, v1, 1.0
.LBB12_1187:
	s_or_b64 exec, exec, s[14:15]
	s_and_b64 s[12:13], s[12:13], exec
                                        ; implicit-def: $vgpr5_vgpr6
	s_andn2_saveexec_b64 s[8:9], s[8:9]
	s_cbranch_execz .LBB12_36
.LBB12_1188:
	v_lshlrev_b64 v[5:6], 2, v[5:6]
	v_mov_b32_e32 v1, s92
	v_add_co_u32_e32 v5, vcc, s91, v5
	v_addc_co_u32_e32 v6, vcc, v1, v6, vcc
	global_load_dword v1, v[5:6], off
	s_or_b64 s[12:13], s[12:13], exec
	s_waitcnt vmcnt(0)
	v_xor_b32_e32 v1, 0x80000000, v1
	s_or_b64 exec, exec, s[8:9]
	s_and_saveexec_b64 s[8:9], s[12:13]
	s_cbranch_execnz .LBB12_37
	s_branch .LBB12_38
.LBB12_1189:
	v_cmp_ne_u32_e32 vcc, v0, v1
	s_xor_b64 s[12:13], s[2:3], -1
	s_or_b64 s[14:15], s[12:13], vcc
	s_mov_b64 s[12:13], 0
	s_and_saveexec_b64 s[16:17], s[14:15]
	s_xor_b64 s[14:15], exec, s[16:17]
; %bb.1190:
	v_or_b32_e32 v5, v1, v0
	v_cmp_gt_u32_e32 vcc, 64, v5
	s_and_b64 s[12:13], vcc, exec
                                        ; implicit-def: $vgpr5_vgpr6
; %bb.1191:
	s_or_saveexec_b64 s[14:15], s[14:15]
	v_mov_b32_e32 v12, 0
	s_xor_b64 exec, exec, s[14:15]
	s_cbranch_execz .LBB12_1193
; %bb.1192:
	v_lshlrev_b64 v[5:6], 2, v[5:6]
	v_mov_b32_e32 v12, s92
	v_add_co_u32_e32 v5, vcc, s91, v5
	v_addc_co_u32_e32 v6, vcc, v12, v6, vcc
	global_load_dword v5, v[5:6], off
	s_or_b64 s[12:13], s[12:13], exec
	s_waitcnt vmcnt(0)
	v_div_scale_f32 v6, s[16:17], v5, v5, 1.0
	v_div_scale_f32 v12, vcc, 1.0, v5, 1.0
	v_rcp_f32_e32 v13, v6
	v_fma_f32 v14, -v6, v13, 1.0
	v_fmac_f32_e32 v13, v14, v13
	v_mul_f32_e32 v14, v12, v13
	v_fma_f32 v15, -v6, v14, v12
	v_fmac_f32_e32 v14, v15, v13
	v_fma_f32 v6, -v6, v14, v12
	v_div_fmas_f32 v6, v6, v13, v14
	v_div_fixup_f32 v12, v6, v5, 1.0
.LBB12_1193:
	s_or_b64 exec, exec, s[14:15]
	s_and_b64 s[12:13], s[12:13], exec
                                        ; implicit-def: $vgpr5_vgpr6
	s_andn2_saveexec_b64 s[8:9], s[8:9]
	s_cbranch_execz .LBB12_40
.LBB12_1194:
	v_lshlrev_b64 v[5:6], 2, v[5:6]
	v_mov_b32_e32 v12, s92
	v_add_co_u32_e32 v5, vcc, s91, v5
	v_addc_co_u32_e32 v6, vcc, v12, v6, vcc
	global_load_dword v5, v[5:6], off
	s_or_b64 s[12:13], s[12:13], exec
	s_waitcnt vmcnt(0)
	v_xor_b32_e32 v12, 0x80000000, v5
	s_or_b64 exec, exec, s[8:9]
	s_and_saveexec_b64 s[8:9], s[12:13]
	s_cbranch_execnz .LBB12_41
	s_branch .LBB12_42
.LBB12_1195:
	v_cmp_ne_u32_e32 vcc, v0, v1
	s_xor_b64 s[12:13], s[2:3], -1
	s_or_b64 s[14:15], s[12:13], vcc
	s_mov_b64 s[12:13], 0
	s_and_saveexec_b64 s[16:17], s[14:15]
	s_xor_b64 s[14:15], exec, s[16:17]
; %bb.1196:
	v_or_b32_e32 v5, v1, v0
	v_cmp_gt_u32_e32 vcc, 64, v5
	s_and_b64 s[12:13], vcc, exec
                                        ; implicit-def: $vgpr5_vgpr6
; %bb.1197:
	s_or_saveexec_b64 s[14:15], s[14:15]
	v_mov_b32_e32 v12, 0
	s_xor_b64 exec, exec, s[14:15]
	s_cbranch_execz .LBB12_1199
; %bb.1198:
	v_lshlrev_b64 v[5:6], 2, v[5:6]
	v_mov_b32_e32 v12, s92
	v_add_co_u32_e32 v5, vcc, s91, v5
	v_addc_co_u32_e32 v6, vcc, v12, v6, vcc
	global_load_dword v5, v[5:6], off
	s_or_b64 s[12:13], s[12:13], exec
	s_waitcnt vmcnt(0)
	v_div_scale_f32 v6, s[16:17], v5, v5, 1.0
	v_div_scale_f32 v12, vcc, 1.0, v5, 1.0
	v_rcp_f32_e32 v13, v6
	v_fma_f32 v14, -v6, v13, 1.0
	v_fmac_f32_e32 v13, v14, v13
	v_mul_f32_e32 v14, v12, v13
	v_fma_f32 v15, -v6, v14, v12
	v_fmac_f32_e32 v14, v15, v13
	v_fma_f32 v6, -v6, v14, v12
	v_div_fmas_f32 v6, v6, v13, v14
	v_div_fixup_f32 v12, v6, v5, 1.0
.LBB12_1199:
	s_or_b64 exec, exec, s[14:15]
	s_and_b64 s[12:13], s[12:13], exec
                                        ; implicit-def: $vgpr5_vgpr6
	s_andn2_saveexec_b64 s[8:9], s[8:9]
	s_cbranch_execz .LBB12_44
.LBB12_1200:
	v_lshlrev_b64 v[5:6], 2, v[5:6]
	v_mov_b32_e32 v12, s92
	v_add_co_u32_e32 v5, vcc, s91, v5
	v_addc_co_u32_e32 v6, vcc, v12, v6, vcc
	global_load_dword v5, v[5:6], off
	s_or_b64 s[12:13], s[12:13], exec
	s_waitcnt vmcnt(0)
	v_xor_b32_e32 v12, 0x80000000, v5
	s_or_b64 exec, exec, s[8:9]
	s_and_saveexec_b64 s[8:9], s[12:13]
	s_cbranch_execnz .LBB12_45
	s_branch .LBB12_46
.LBB12_1201:
	s_or_b64 exec, exec, s[8:9]
	s_and_b64 vcc, exec, s[6:7]
	s_cbranch_vccnz .LBB12_1139
.LBB12_1202:
	v_mov_b32_e32 v11, v2
	s_and_saveexec_b64 s[0:1], s[4:5]
	s_cbranch_execnz .LBB12_1160
	s_branch .LBB12_1161
.LBB12_1203:
	s_andn2_b64 s[0:1], s[4:5], exec
	s_and_b64 s[4:5], s[2:3], exec
	s_or_b64 s[4:5], s[0:1], s[4:5]
	s_cbranch_execnz .LBB12_1159
.LBB12_1204:
	v_cmp_gt_i32_e32 vcc, s90, v0
	s_and_b64 s[0:1], s[2:3], vcc
	s_andn2_b64 s[2:3], s[4:5], exec
	s_and_b64 s[0:1], s[0:1], exec
	s_or_b64 s[4:5], s[2:3], s[0:1]
	s_and_saveexec_b64 s[0:1], s[4:5]
	s_cbranch_execnz .LBB12_1160
	s_branch .LBB12_1161
.LBB12_1205:
	v_lshlrev_b32_e32 v16, 2, v14
	v_sub_u32_e32 v16, v15, v16
	v_lshl_add_u32 v16, v13, 2, v16
	ds_read_b32 v16, v16 offset:272
	ds_read_b32 v17, v15 offset:4
	s_waitcnt lgkmcnt(0)
	v_fmac_f32_e32 v12, v16, v17
	s_or_b64 exec, exec, s[14:15]
	v_cmp_gt_u32_e64 s[10:11], 8, v4
	s_and_saveexec_b64 s[14:15], s[10:11]
	s_cbranch_execz .LBB12_79
.LBB12_1206:
	ds_read_b32 v16, v6 offset:528
	ds_read_b32 v15, v15 offset:8
	s_waitcnt lgkmcnt(0)
	v_fmac_f32_e32 v12, v16, v15
	s_or_b64 exec, exec, s[14:15]
	v_cmp_gt_u32_e64 s[10:11], 4, v4
	s_and_saveexec_b64 s[14:15], s[10:11]
	s_cbranch_execnz .LBB12_80
	s_branch .LBB12_81
.LBB12_1207:
	v_lshlrev_b32_e32 v21, 2, v19
	v_sub_u32_e32 v21, v20, v21
	v_lshl_add_u32 v21, v18, 2, v21
	ds_read_b32 v21, v21 offset:288
	ds_read_b32 v22, v20 offset:4
	s_waitcnt lgkmcnt(0)
	v_fmac_f32_e32 v17, v21, v22
	s_or_b64 exec, exec, s[16:17]
	v_cmp_gt_u32_e64 s[14:15], 48, v4
	s_and_saveexec_b64 s[16:17], s[14:15]
	s_cbranch_execz .LBB12_121
.LBB12_1208:
	v_lshlrev_b32_e32 v21, 2, v19
	v_sub_u32_e32 v21, v20, v21
	v_lshl_add_u32 v21, v18, 2, v21
	ds_read_b32 v21, v21 offset:544
	ds_read_b32 v22, v20 offset:8
	s_waitcnt lgkmcnt(0)
	v_fmac_f32_e32 v17, v21, v22
	s_or_b64 exec, exec, s[16:17]
	v_cmp_gt_u32_e64 s[14:15], 40, v4
	s_and_saveexec_b64 s[16:17], s[14:15]
	s_cbranch_execz .LBB12_122
.LBB12_1209:
	v_lshlrev_b32_e32 v21, 2, v19
	v_sub_u32_e32 v21, v20, v21
	v_lshl_add_u32 v21, v18, 2, v21
	ds_read_b32 v21, v21 offset:800
	ds_read_b32 v22, v20 offset:12
	s_waitcnt lgkmcnt(0)
	v_fmac_f32_e32 v17, v21, v22
	s_or_b64 exec, exec, s[16:17]
	v_cmp_gt_u32_e64 s[14:15], 32, v4
	s_and_saveexec_b64 s[16:17], s[14:15]
	s_cbranch_execz .LBB12_123
.LBB12_1210:
	ds_read_b32 v21, v15 offset:1056
	ds_read_b32 v22, v20 offset:16
	s_waitcnt lgkmcnt(0)
	v_fmac_f32_e32 v17, v21, v22
	s_or_b64 exec, exec, s[16:17]
	v_cmp_gt_u32_e64 s[14:15], 24, v4
	s_and_saveexec_b64 s[16:17], s[14:15]
	s_cbranch_execz .LBB12_124
.LBB12_1211:
	v_lshlrev_b32_e32 v21, 2, v19
	v_sub_u32_e32 v21, v20, v21
	v_lshl_add_u32 v21, v18, 2, v21
	ds_read_b32 v21, v21 offset:1312
	ds_read_b32 v22, v20 offset:20
	s_waitcnt lgkmcnt(0)
	v_fmac_f32_e32 v17, v21, v22
	s_or_b64 exec, exec, s[16:17]
	v_cmp_gt_u32_e64 s[14:15], 16, v4
	s_and_saveexec_b64 s[16:17], s[14:15]
	s_cbranch_execz .LBB12_125
.LBB12_1212:
	ds_read_b32 v21, v15 offset:1568
	ds_read_b32 v20, v20 offset:24
	s_waitcnt lgkmcnt(0)
	v_fmac_f32_e32 v17, v21, v20
	s_or_b64 exec, exec, s[16:17]
	v_cmp_gt_u32_e64 s[14:15], 8, v4
	s_and_saveexec_b64 s[16:17], s[14:15]
	s_cbranch_execnz .LBB12_126
	s_branch .LBB12_127
.LBB12_1213:
	v_lshlrev_b32_e32 v22, 2, v14
	v_sub_u32_e32 v22, v21, v22
	v_lshl_add_u32 v22, v13, 2, v22
	ds_read_b32 v22, v22 offset:2352
	ds_read_b32 v23, v21 offset:2084
	s_waitcnt lgkmcnt(0)
	v_fmac_f32_e32 v20, v22, v23
	s_or_b64 exec, exec, s[14:15]
	v_cmp_gt_u32_e64 s[10:11], 8, v4
	s_and_saveexec_b64 s[14:15], s[10:11]
	s_cbranch_execz .LBB12_183
.LBB12_1214:
	ds_read_b32 v22, v6 offset:2608
	ds_read_b32 v21, v21 offset:2088
	s_waitcnt lgkmcnt(0)
	v_fmac_f32_e32 v20, v22, v21
	s_or_b64 exec, exec, s[14:15]
	v_cmp_gt_u32_e64 s[10:11], 4, v4
	s_and_saveexec_b64 s[14:15], s[10:11]
	s_cbranch_execnz .LBB12_184
	s_branch .LBB12_185
.LBB12_1215:
	v_lshlrev_b32_e32 v26, 2, v21
	v_lshl_add_u32 v26, v23, 2, v26
	ds_read_b32 v26, v26 offset:2880
	ds_read_b32 v27, v25 offset:44
	s_waitcnt lgkmcnt(0)
	v_fmac_f32_e32 v22, v26, v27
	s_or_b64 exec, exec, s[20:21]
	v_cmp_gt_u32_e64 s[16:17], 64, v4
	s_and_saveexec_b64 s[20:21], s[16:17]
	s_cbranch_execz .LBB12_245
.LBB12_1216:
	ds_read_b32 v26, v20 offset:3136
	ds_read_b32 v27, v25 offset:48
	s_waitcnt lgkmcnt(0)
	v_fmac_f32_e32 v22, v26, v27
	s_or_b64 exec, exec, s[20:21]
	v_cmp_gt_u32_e64 s[16:17], 48, v4
	s_and_saveexec_b64 s[20:21], s[16:17]
	s_cbranch_execz .LBB12_246
.LBB12_1217:
	v_lshlrev_b32_e32 v26, 2, v21
	v_lshl_add_u32 v26, v23, 2, v26
	ds_read_b32 v26, v26 offset:3392
	ds_read_b32 v27, v25 offset:52
	s_waitcnt lgkmcnt(0)
	v_fmac_f32_e32 v22, v26, v27
	s_or_b64 exec, exec, s[20:21]
	v_cmp_gt_u32_e64 s[16:17], 32, v4
	s_and_saveexec_b64 s[20:21], s[16:17]
	s_cbranch_execz .LBB12_247
.LBB12_1218:
	ds_read_b32 v26, v20 offset:3648
	ds_read_b32 v25, v25 offset:56
	s_waitcnt lgkmcnt(0)
	v_fmac_f32_e32 v22, v26, v25
	s_or_b64 exec, exec, s[20:21]
	v_cmp_gt_u32_e64 s[16:17], 16, v4
	s_and_saveexec_b64 s[20:21], s[16:17]
	s_cbranch_execnz .LBB12_248
	s_branch .LBB12_249
.LBB12_1219:
	v_lshlrev_b32_e32 v27, 2, v14
	v_sub_u32_e32 v27, v26, v27
	v_lshl_add_u32 v27, v13, 2, v27
	ds_read_b32 v27, v27 offset:4432
	ds_read_b32 v28, v26 offset:4164
	s_waitcnt lgkmcnt(0)
	v_fmac_f32_e32 v25, v27, v28
	s_or_b64 exec, exec, s[20:21]
	v_cmp_gt_u32_e64 s[14:15], 8, v4
	s_and_saveexec_b64 s[0:1], s[14:15]
	s_cbranch_execz .LBB12_337
.LBB12_1220:
	ds_read_b32 v27, v6 offset:4688
	ds_read_b32 v26, v26 offset:4168
	s_waitcnt lgkmcnt(0)
	v_fmac_f32_e32 v25, v27, v26
	s_or_b64 exec, exec, s[0:1]
	v_cmp_gt_u32_e64 s[14:15], 4, v4
	s_and_saveexec_b64 s[20:21], s[14:15]
	s_cbranch_execnz .LBB12_338
	s_branch .LBB12_339
.LBB12_1221:
	v_lshlrev_b32_e32 v27, 2, v19
	v_sub_u32_e32 v27, v26, v27
	v_lshl_add_u32 v27, v18, 2, v27
	ds_read_b32 v27, v27 offset:4448
	ds_read_b32 v28, v26 offset:4164
	s_waitcnt lgkmcnt(0)
	v_fmac_f32_e32 v25, v27, v28
	s_or_b64 exec, exec, s[20:21]
	v_cmp_gt_u32_e64 s[14:15], 48, v4
	s_and_saveexec_b64 s[20:21], s[14:15]
	s_cbranch_execz .LBB12_379
.LBB12_1222:
	v_lshlrev_b32_e32 v27, 2, v19
	v_sub_u32_e32 v27, v26, v27
	v_lshl_add_u32 v27, v18, 2, v27
	ds_read_b32 v27, v27 offset:4704
	ds_read_b32 v28, v26 offset:4168
	s_waitcnt lgkmcnt(0)
	v_fmac_f32_e32 v25, v27, v28
	s_or_b64 exec, exec, s[20:21]
	v_cmp_gt_u32_e64 s[14:15], 40, v4
	s_and_saveexec_b64 s[20:21], s[14:15]
	s_cbranch_execz .LBB12_380
.LBB12_1223:
	v_lshlrev_b32_e32 v27, 2, v19
	v_sub_u32_e32 v27, v26, v27
	v_lshl_add_u32 v27, v18, 2, v27
	ds_read_b32 v27, v27 offset:4960
	ds_read_b32 v28, v26 offset:4172
	s_waitcnt lgkmcnt(0)
	v_fmac_f32_e32 v25, v27, v28
	s_or_b64 exec, exec, s[20:21]
	v_cmp_gt_u32_e64 s[14:15], 32, v4
	s_and_saveexec_b64 s[0:1], s[14:15]
	s_cbranch_execz .LBB12_381
.LBB12_1224:
	ds_read_b32 v27, v15 offset:5216
	ds_read_b32 v28, v26 offset:4176
	s_waitcnt lgkmcnt(0)
	v_fmac_f32_e32 v25, v27, v28
	s_or_b64 exec, exec, s[0:1]
	v_cmp_gt_u32_e64 s[14:15], 24, v4
	s_and_saveexec_b64 s[20:21], s[14:15]
	s_cbranch_execz .LBB12_382
.LBB12_1225:
	v_lshlrev_b32_e32 v27, 2, v19
	v_sub_u32_e32 v27, v26, v27
	v_lshl_add_u32 v27, v18, 2, v27
	ds_read_b32 v27, v27 offset:5472
	ds_read_b32 v28, v26 offset:4180
	s_waitcnt lgkmcnt(0)
	v_fmac_f32_e32 v25, v27, v28
	s_or_b64 exec, exec, s[20:21]
	v_cmp_gt_u32_e64 s[14:15], 16, v4
	s_and_saveexec_b64 s[0:1], s[14:15]
	s_cbranch_execz .LBB12_383
.LBB12_1226:
	ds_read_b32 v27, v15 offset:5728
	ds_read_b32 v26, v26 offset:4184
	s_waitcnt lgkmcnt(0)
	v_fmac_f32_e32 v25, v27, v26
	s_or_b64 exec, exec, s[0:1]
	v_cmp_gt_u32_e64 s[14:15], 8, v4
	s_and_saveexec_b64 s[20:21], s[14:15]
	s_cbranch_execnz .LBB12_384
	s_branch .LBB12_385
.LBB12_1227:
	v_lshlrev_b32_e32 v27, 2, v14
	v_sub_u32_e32 v27, v26, v27
	v_lshl_add_u32 v27, v13, 2, v27
	ds_read_b32 v27, v27 offset:6512
	ds_read_b32 v28, v26 offset:6244
	s_waitcnt lgkmcnt(0)
	v_fmac_f32_e32 v25, v27, v28
	s_or_b64 exec, exec, s[20:21]
	v_cmp_gt_u32_e64 s[14:15], 8, v4
	s_and_saveexec_b64 s[0:1], s[14:15]
	s_cbranch_execz .LBB12_441
.LBB12_1228:
	ds_read_b32 v27, v6 offset:6768
	ds_read_b32 v26, v26 offset:6248
	s_waitcnt lgkmcnt(0)
	v_fmac_f32_e32 v25, v27, v26
	s_or_b64 exec, exec, s[0:1]
	v_cmp_gt_u32_e64 s[14:15], 4, v4
	s_and_saveexec_b64 s[20:21], s[14:15]
	s_cbranch_execnz .LBB12_442
	s_branch .LBB12_443
.LBB12_1229:
	ds_read_b32 v31, v25 offset:7552
	ds_read_b32 v32, v30 offset:116
	s_waitcnt lgkmcnt(0)
	v_fmac_f32_e32 v28, v31, v32
	s_or_b64 exec, exec, s[0:1]
	v_cmp_gt_u32_e64 s[20:21], 64, v4
	s_and_saveexec_b64 s[0:1], s[20:21]
	s_cbranch_execz .LBB12_539
.LBB12_1230:
	ds_read_b32 v31, v25 offset:7808
	ds_read_b32 v30, v30 offset:120
	s_waitcnt lgkmcnt(0)
	v_fmac_f32_e32 v28, v31, v30
	s_or_b64 exec, exec, s[0:1]
	v_cmp_gt_u32_e64 s[20:21], 32, v4
	s_and_saveexec_b64 s[0:1], s[20:21]
	s_cbranch_execnz .LBB12_540
	s_branch .LBB12_541
.LBB12_1231:
	v_lshlrev_b32_e32 v27, 2, v14
	v_sub_u32_e32 v27, v26, v27
	v_lshl_add_u32 v27, v13, 2, v27
	ds_read_b32 v27, v27 offset:8592
	ds_read_b32 v28, v26 offset:8324
	s_waitcnt lgkmcnt(0)
	v_fmac_f32_e32 v25, v27, v28
	s_or_b64 exec, exec, s[16:17]
	v_cmp_gt_u32_e64 s[12:13], 8, v4
	s_and_saveexec_b64 s[0:1], s[12:13]
	s_cbranch_execz .LBB12_693
.LBB12_1232:
	ds_read_b32 v27, v6 offset:8848
	ds_read_b32 v26, v26 offset:8328
	s_waitcnt lgkmcnt(0)
	v_fmac_f32_e32 v25, v27, v26
	s_or_b64 exec, exec, s[0:1]
	v_cmp_gt_u32_e64 s[12:13], 4, v4
	s_and_saveexec_b64 s[0:1], s[12:13]
	s_cbranch_execnz .LBB12_694
	s_branch .LBB12_695
.LBB12_1233:
	v_lshlrev_b32_e32 v27, 2, v19
	v_sub_u32_e32 v27, v26, v27
	v_lshl_add_u32 v27, v18, 2, v27
	ds_read_b32 v27, v27 offset:8608
	ds_read_b32 v28, v26 offset:8324
	s_waitcnt lgkmcnt(0)
	v_fmac_f32_e32 v25, v27, v28
	s_or_b64 exec, exec, s[16:17]
	v_cmp_gt_u32_e64 s[12:13], 48, v4
	s_and_saveexec_b64 s[0:1], s[12:13]
	s_cbranch_execz .LBB12_735
.LBB12_1234:
	v_lshlrev_b32_e32 v27, 2, v19
	v_sub_u32_e32 v27, v26, v27
	v_lshl_add_u32 v27, v18, 2, v27
	ds_read_b32 v27, v27 offset:8864
	ds_read_b32 v28, v26 offset:8328
	s_waitcnt lgkmcnt(0)
	v_fmac_f32_e32 v25, v27, v28
	s_or_b64 exec, exec, s[0:1]
	v_cmp_gt_u32_e64 s[12:13], 40, v4
	s_and_saveexec_b64 s[0:1], s[12:13]
	s_cbranch_execz .LBB12_736
.LBB12_1235:
	v_lshlrev_b32_e32 v27, 2, v19
	v_sub_u32_e32 v27, v26, v27
	v_lshl_add_u32 v27, v18, 2, v27
	ds_read_b32 v27, v27 offset:9120
	ds_read_b32 v28, v26 offset:8332
	s_waitcnt lgkmcnt(0)
	v_fmac_f32_e32 v25, v27, v28
	s_or_b64 exec, exec, s[0:1]
	v_cmp_gt_u32_e64 s[12:13], 32, v4
	s_and_saveexec_b64 s[0:1], s[12:13]
	s_cbranch_execz .LBB12_737
.LBB12_1236:
	ds_read_b32 v27, v15 offset:9376
	ds_read_b32 v28, v26 offset:8336
	s_waitcnt lgkmcnt(0)
	v_fmac_f32_e32 v25, v27, v28
	s_or_b64 exec, exec, s[0:1]
	v_cmp_gt_u32_e64 s[12:13], 24, v4
	s_and_saveexec_b64 s[0:1], s[12:13]
	s_cbranch_execz .LBB12_738
.LBB12_1237:
	v_lshlrev_b32_e32 v27, 2, v19
	v_sub_u32_e32 v27, v26, v27
	v_lshl_add_u32 v27, v18, 2, v27
	ds_read_b32 v27, v27 offset:9632
	ds_read_b32 v28, v26 offset:8340
	s_waitcnt lgkmcnt(0)
	v_fmac_f32_e32 v25, v27, v28
	s_or_b64 exec, exec, s[0:1]
	v_cmp_gt_u32_e64 s[12:13], 16, v4
	s_and_saveexec_b64 s[0:1], s[12:13]
	s_cbranch_execz .LBB12_739
.LBB12_1238:
	ds_read_b32 v27, v15 offset:9888
	ds_read_b32 v26, v26 offset:8344
	s_waitcnt lgkmcnt(0)
	v_fmac_f32_e32 v25, v27, v26
	s_or_b64 exec, exec, s[0:1]
	v_cmp_gt_u32_e64 s[12:13], 8, v4
	s_and_saveexec_b64 s[0:1], s[12:13]
	s_cbranch_execnz .LBB12_740
	s_branch .LBB12_741
.LBB12_1239:
	v_lshlrev_b32_e32 v27, 2, v14
	v_sub_u32_e32 v27, v26, v27
	v_lshl_add_u32 v27, v13, 2, v27
	ds_read_b32 v27, v27 offset:10672
	ds_read_b32 v28, v26 offset:10404
	s_waitcnt lgkmcnt(0)
	v_fmac_f32_e32 v25, v27, v28
	s_or_b64 exec, exec, s[16:17]
	v_cmp_gt_u32_e64 s[12:13], 8, v4
	s_and_saveexec_b64 s[0:1], s[12:13]
	s_cbranch_execz .LBB12_797
.LBB12_1240:
	ds_read_b32 v27, v6 offset:10928
	ds_read_b32 v26, v26 offset:10408
	s_waitcnt lgkmcnt(0)
	v_fmac_f32_e32 v25, v27, v26
	s_or_b64 exec, exec, s[0:1]
	v_cmp_gt_u32_e64 s[12:13], 4, v4
	s_and_saveexec_b64 s[0:1], s[12:13]
	s_cbranch_execnz .LBB12_798
	s_branch .LBB12_799
.LBB12_1241:
	v_lshlrev_b32_e32 v24, 2, v21
	v_lshl_add_u32 v24, v23, 2, v24
	ds_read_b32 v24, v24 offset:11200
	ds_read_b32 v27, v26 offset:8364
	s_waitcnt lgkmcnt(0)
	v_fmac_f32_e32 v25, v24, v27
	s_or_b64 exec, exec, s[0:1]
	v_cmp_gt_u32_e64 s[12:13], 64, v4
	s_and_saveexec_b64 s[0:1], s[12:13]
	s_cbranch_execz .LBB12_859
.LBB12_1242:
	ds_read_b32 v24, v20 offset:11456
	ds_read_b32 v27, v26 offset:8368
	s_waitcnt lgkmcnt(0)
	v_fmac_f32_e32 v25, v24, v27
	s_or_b64 exec, exec, s[0:1]
	v_cmp_gt_u32_e64 s[12:13], 48, v4
	s_and_saveexec_b64 s[0:1], s[12:13]
	s_cbranch_execz .LBB12_860
.LBB12_1243:
	v_lshlrev_b32_e32 v24, 2, v21
	v_lshl_add_u32 v23, v23, 2, v24
	ds_read_b32 v23, v23 offset:11712
	ds_read_b32 v24, v26 offset:8372
	s_waitcnt lgkmcnt(0)
	v_fmac_f32_e32 v25, v23, v24
	s_or_b64 exec, exec, s[0:1]
	v_cmp_gt_u32_e64 s[12:13], 32, v4
	s_and_saveexec_b64 s[0:1], s[12:13]
	s_cbranch_execz .LBB12_861
.LBB12_1244:
	ds_read_b32 v23, v20 offset:11968
	ds_read_b32 v24, v26 offset:8376
	s_waitcnt lgkmcnt(0)
	v_fmac_f32_e32 v25, v23, v24
	s_or_b64 exec, exec, s[0:1]
	v_cmp_gt_u32_e64 s[12:13], 16, v4
	s_and_saveexec_b64 s[0:1], s[12:13]
	s_cbranch_execnz .LBB12_862
	s_branch .LBB12_863
.LBB12_1245:
	v_lshlrev_b32_e32 v22, 2, v14
	v_sub_u32_e32 v22, v21, v22
	v_lshl_add_u32 v22, v13, 2, v22
	ds_read_b32 v22, v22 offset:12752
	ds_read_b32 v23, v21 offset:12484
	s_waitcnt lgkmcnt(0)
	v_fmac_f32_e32 v20, v22, v23
	s_or_b64 exec, exec, s[12:13]
	v_cmp_gt_u32_e64 s[10:11], 8, v4
	s_and_saveexec_b64 s[12:13], s[10:11]
	s_cbranch_execz .LBB12_951
.LBB12_1246:
	ds_read_b32 v22, v6 offset:13008
	ds_read_b32 v21, v21 offset:12488
	s_waitcnt lgkmcnt(0)
	v_fmac_f32_e32 v20, v22, v21
	s_or_b64 exec, exec, s[12:13]
	v_cmp_gt_u32_e64 s[10:11], 4, v4
	s_and_saveexec_b64 s[12:13], s[10:11]
	s_cbranch_execnz .LBB12_952
	s_branch .LBB12_953
.LBB12_1247:
	v_lshlrev_b32_e32 v22, 2, v19
	v_sub_u32_e32 v22, v21, v22
	v_lshl_add_u32 v22, v18, 2, v22
	ds_read_b32 v22, v22 offset:12768
	ds_read_b32 v23, v21 offset:12484
	s_waitcnt lgkmcnt(0)
	v_fmac_f32_e32 v20, v22, v23
	s_or_b64 exec, exec, s[12:13]
	v_cmp_gt_u32_e64 s[10:11], 48, v4
	s_and_saveexec_b64 s[12:13], s[10:11]
	s_cbranch_execz .LBB12_993
.LBB12_1248:
	v_lshlrev_b32_e32 v22, 2, v19
	v_sub_u32_e32 v22, v21, v22
	v_lshl_add_u32 v22, v18, 2, v22
	ds_read_b32 v22, v22 offset:13024
	ds_read_b32 v23, v21 offset:12488
	s_waitcnt lgkmcnt(0)
	v_fmac_f32_e32 v20, v22, v23
	s_or_b64 exec, exec, s[12:13]
	v_cmp_gt_u32_e64 s[10:11], 40, v4
	s_and_saveexec_b64 s[12:13], s[10:11]
	s_cbranch_execz .LBB12_994
.LBB12_1249:
	v_lshlrev_b32_e32 v22, 2, v19
	v_sub_u32_e32 v22, v21, v22
	v_lshl_add_u32 v22, v18, 2, v22
	ds_read_b32 v22, v22 offset:13280
	ds_read_b32 v23, v21 offset:12492
	s_waitcnt lgkmcnt(0)
	v_fmac_f32_e32 v20, v22, v23
	s_or_b64 exec, exec, s[12:13]
	v_cmp_gt_u32_e64 s[10:11], 32, v4
	s_and_saveexec_b64 s[12:13], s[10:11]
	s_cbranch_execz .LBB12_995
.LBB12_1250:
	ds_read_b32 v22, v15 offset:13536
	ds_read_b32 v23, v21 offset:12496
	s_waitcnt lgkmcnt(0)
	v_fmac_f32_e32 v20, v22, v23
	s_or_b64 exec, exec, s[12:13]
	v_cmp_gt_u32_e64 s[10:11], 24, v4
	s_and_saveexec_b64 s[12:13], s[10:11]
	s_cbranch_execz .LBB12_996
.LBB12_1251:
	v_lshlrev_b32_e32 v19, 2, v19
	v_sub_u32_e32 v19, v21, v19
	v_lshl_add_u32 v18, v18, 2, v19
	ds_read_b32 v18, v18 offset:13792
	ds_read_b32 v19, v21 offset:12500
	s_waitcnt lgkmcnt(0)
	v_fmac_f32_e32 v20, v18, v19
	s_or_b64 exec, exec, s[12:13]
	v_cmp_gt_u32_e64 s[10:11], 16, v4
	s_and_saveexec_b64 s[12:13], s[10:11]
	s_cbranch_execz .LBB12_997
.LBB12_1252:
	ds_read_b32 v18, v15 offset:14048
	ds_read_b32 v19, v21 offset:12504
	s_waitcnt lgkmcnt(0)
	v_fmac_f32_e32 v20, v18, v19
	s_or_b64 exec, exec, s[12:13]
	v_cmp_gt_u32_e64 s[10:11], 8, v4
	s_and_saveexec_b64 s[12:13], s[10:11]
	s_cbranch_execnz .LBB12_998
	s_branch .LBB12_999
.LBB12_1253:
	v_lshlrev_b32_e32 v14, 2, v14
	v_sub_u32_e32 v14, v16, v14
	v_lshl_add_u32 v13, v13, 2, v14
	ds_read_b32 v13, v13 offset:14832
	ds_read_b32 v14, v16 offset:14564
	s_waitcnt lgkmcnt(0)
	v_fmac_f32_e32 v15, v13, v14
	s_or_b64 exec, exec, s[10:11]
	v_cmp_gt_u32_e64 s[8:9], 8, v4
	s_and_saveexec_b64 s[10:11], s[8:9]
	s_cbranch_execz .LBB12_1055
.LBB12_1254:
	ds_read_b32 v13, v6 offset:15088
	ds_read_b32 v14, v16 offset:14568
	s_waitcnt lgkmcnt(0)
	v_fmac_f32_e32 v15, v13, v14
	s_or_b64 exec, exec, s[10:11]
	v_cmp_gt_u32_e64 s[8:9], 4, v4
	s_and_saveexec_b64 s[10:11], s[8:9]
	s_cbranch_execnz .LBB12_1056
	s_branch .LBB12_1057
	.section	.rodata,"a",@progbits
	.p2align	6, 0x0
	.amdhsa_kernel _ZL19rocblas_trsv_deviceILi64ELi16ELb1ELb1ELb1ELb0EfPKfS1_PfEviT7_lllT6_T8_lllPii
		.amdhsa_group_segment_fixed_size 20740
		.amdhsa_private_segment_fixed_size 0
		.amdhsa_kernarg_size 352
		.amdhsa_user_sgpr_count 6
		.amdhsa_user_sgpr_private_segment_buffer 1
		.amdhsa_user_sgpr_dispatch_ptr 0
		.amdhsa_user_sgpr_queue_ptr 0
		.amdhsa_user_sgpr_kernarg_segment_ptr 1
		.amdhsa_user_sgpr_dispatch_id 0
		.amdhsa_user_sgpr_flat_scratch_init 0
		.amdhsa_user_sgpr_private_segment_size 0
		.amdhsa_uses_dynamic_stack 0
		.amdhsa_system_sgpr_private_segment_wavefront_offset 0
		.amdhsa_system_sgpr_workgroup_id_x 1
		.amdhsa_system_sgpr_workgroup_id_y 0
		.amdhsa_system_sgpr_workgroup_id_z 1
		.amdhsa_system_sgpr_workgroup_info 0
		.amdhsa_system_vgpr_workitem_id 1
		.amdhsa_next_free_vgpr 34
		.amdhsa_next_free_sgpr 96
		.amdhsa_reserve_vcc 1
		.amdhsa_reserve_flat_scratch 0
		.amdhsa_float_round_mode_32 0
		.amdhsa_float_round_mode_16_64 0
		.amdhsa_float_denorm_mode_32 3
		.amdhsa_float_denorm_mode_16_64 3
		.amdhsa_dx10_clamp 1
		.amdhsa_ieee_mode 1
		.amdhsa_fp16_overflow 0
		.amdhsa_exception_fp_ieee_invalid_op 0
		.amdhsa_exception_fp_denorm_src 0
		.amdhsa_exception_fp_ieee_div_zero 0
		.amdhsa_exception_fp_ieee_overflow 0
		.amdhsa_exception_fp_ieee_underflow 0
		.amdhsa_exception_fp_ieee_inexact 0
		.amdhsa_exception_int_div_zero 0
	.end_amdhsa_kernel
	.section	.text._ZL19rocblas_trsv_deviceILi64ELi16ELb1ELb1ELb1ELb0EfPKfS1_PfEviT7_lllT6_T8_lllPii,"axG",@progbits,_ZL19rocblas_trsv_deviceILi64ELi16ELb1ELb1ELb1ELb0EfPKfS1_PfEviT7_lllT6_T8_lllPii,comdat
.Lfunc_end12:
	.size	_ZL19rocblas_trsv_deviceILi64ELi16ELb1ELb1ELb1ELb0EfPKfS1_PfEviT7_lllT6_T8_lllPii, .Lfunc_end12-_ZL19rocblas_trsv_deviceILi64ELi16ELb1ELb1ELb1ELb0EfPKfS1_PfEviT7_lllT6_T8_lllPii
                                        ; -- End function
	.set _ZL19rocblas_trsv_deviceILi64ELi16ELb1ELb1ELb1ELb0EfPKfS1_PfEviT7_lllT6_T8_lllPii.num_vgpr, 34
	.set _ZL19rocblas_trsv_deviceILi64ELi16ELb1ELb1ELb1ELb0EfPKfS1_PfEviT7_lllT6_T8_lllPii.num_agpr, 0
	.set _ZL19rocblas_trsv_deviceILi64ELi16ELb1ELb1ELb1ELb0EfPKfS1_PfEviT7_lllT6_T8_lllPii.numbered_sgpr, 96
	.set _ZL19rocblas_trsv_deviceILi64ELi16ELb1ELb1ELb1ELb0EfPKfS1_PfEviT7_lllT6_T8_lllPii.num_named_barrier, 0
	.set _ZL19rocblas_trsv_deviceILi64ELi16ELb1ELb1ELb1ELb0EfPKfS1_PfEviT7_lllT6_T8_lllPii.private_seg_size, 0
	.set _ZL19rocblas_trsv_deviceILi64ELi16ELb1ELb1ELb1ELb0EfPKfS1_PfEviT7_lllT6_T8_lllPii.uses_vcc, 1
	.set _ZL19rocblas_trsv_deviceILi64ELi16ELb1ELb1ELb1ELb0EfPKfS1_PfEviT7_lllT6_T8_lllPii.uses_flat_scratch, 0
	.set _ZL19rocblas_trsv_deviceILi64ELi16ELb1ELb1ELb1ELb0EfPKfS1_PfEviT7_lllT6_T8_lllPii.has_dyn_sized_stack, 0
	.set _ZL19rocblas_trsv_deviceILi64ELi16ELb1ELb1ELb1ELb0EfPKfS1_PfEviT7_lllT6_T8_lllPii.has_recursion, 0
	.set _ZL19rocblas_trsv_deviceILi64ELi16ELb1ELb1ELb1ELb0EfPKfS1_PfEviT7_lllT6_T8_lllPii.has_indirect_call, 0
	.section	.AMDGPU.csdata,"",@progbits
; Kernel info:
; codeLenInByte = 39468
; TotalNumSgprs: 100
; NumVgprs: 34
; ScratchSize: 0
; MemoryBound: 0
; FloatMode: 240
; IeeeMode: 1
; LDSByteSize: 20740 bytes/workgroup (compile time only)
; SGPRBlocks: 12
; VGPRBlocks: 8
; NumSGPRsForWavesPerEU: 100
; NumVGPRsForWavesPerEU: 34
; Occupancy: 7
; WaveLimiterHint : 0
; COMPUTE_PGM_RSRC2:SCRATCH_EN: 0
; COMPUTE_PGM_RSRC2:USER_SGPR: 6
; COMPUTE_PGM_RSRC2:TRAP_HANDLER: 0
; COMPUTE_PGM_RSRC2:TGID_X_EN: 1
; COMPUTE_PGM_RSRC2:TGID_Y_EN: 0
; COMPUTE_PGM_RSRC2:TGID_Z_EN: 1
; COMPUTE_PGM_RSRC2:TIDIG_COMP_CNT: 1
	.section	.text._ZL19rocblas_trsv_deviceILi64ELi16ELb0ELb0ELb0ELb1EffPKfPfEviT7_lllT6_T8_lllPii,"axG",@progbits,_ZL19rocblas_trsv_deviceILi64ELi16ELb0ELb0ELb0ELb1EffPKfPfEviT7_lllT6_T8_lllPii,comdat
	.globl	_ZL19rocblas_trsv_deviceILi64ELi16ELb0ELb0ELb0ELb1EffPKfPfEviT7_lllT6_T8_lllPii ; -- Begin function _ZL19rocblas_trsv_deviceILi64ELi16ELb0ELb0ELb0ELb1EffPKfPfEviT7_lllT6_T8_lllPii
	.p2align	8
	.type	_ZL19rocblas_trsv_deviceILi64ELi16ELb0ELb0ELb0ELb1EffPKfPfEviT7_lllT6_T8_lllPii,@function
_ZL19rocblas_trsv_deviceILi64ELi16ELb0ELb0ELb0ELb1EffPKfPfEviT7_lllT6_T8_lllPii: ; @_ZL19rocblas_trsv_deviceILi64ELi16ELb0ELb0ELb0ELb1EffPKfPfEviT7_lllT6_T8_lllPii
; %bb.0:
	s_load_dwordx8 s[16:23], s[4:5], 0x8
	s_load_dword s26, s[4:5], 0x0
	s_mov_b32 s24, s7
	s_mov_b32 s25, 0
	s_load_dword s79, s[4:5], 0x6c
	s_waitcnt lgkmcnt(0)
	s_mul_i32 s0, s23, s7
	s_mul_hi_u32 s1, s22, s7
	s_add_i32 s1, s1, s0
	s_mul_i32 s0, s22, s7
	s_load_dword s7, s[4:5], 0x60
	s_lshl_b64 s[0:1], s[0:1], 2
	s_add_u32 s2, s16, s0
	s_addc_u32 s3, s17, s1
	s_lshl_b64 s[0:1], s[18:19], 2
	s_add_u32 s77, s2, s0
	s_addc_u32 s78, s3, s1
	s_waitcnt lgkmcnt(0)
	s_add_i32 s7, s7, -1
	s_sub_i32 s33, s7, s6
	s_cmp_eq_u32 s6, 0
	s_cbranch_scc1 .LBB13_10
; %bb.1:
	s_lshl_b32 s2, s33, 6
	v_add3_u32 v8, v1, s2, 64
	v_ashrrev_i32_e32 v2, 31, v8
	v_mul_lo_u32 v6, s20, v2
	v_mul_lo_u32 v7, s21, v8
	v_mad_u64_u32 v[2:3], s[0:1], s20, v8, 0
	v_add_u32_e32 v4, s2, v0
	v_ashrrev_i32_e32 v5, 31, v4
	v_add3_u32 v3, v3, v6, v7
	v_lshlrev_b64 v[2:3], 2, v[2:3]
	v_mov_b32_e32 v6, s78
	v_add_co_u32_e64 v7, s[0:1], s77, v2
	v_addc_co_u32_e64 v6, s[0:1], v6, v3, s[0:1]
	v_lshlrev_b64 v[2:3], 2, v[4:5]
	v_cmp_gt_i32_e32 vcc, s26, v4
	v_add_co_u32_e64 v2, s[0:1], v7, v2
	v_addc_co_u32_e64 v3, s[0:1], v6, v3, s[0:1]
	v_cmp_gt_i32_e64 s[0:1], s26, v8
	s_and_b64 s[2:3], vcc, s[0:1]
	v_mov_b32_e32 v5, 0
	v_mov_b32_e32 v4, 0
	s_barrier
	s_and_saveexec_b64 s[0:1], s[2:3]
	s_cbranch_execz .LBB13_3
; %bb.2:
	global_load_dword v4, v[2:3], off
.LBB13_3:
	s_or_b64 exec, exec, s[0:1]
	v_add_u32_e32 v6, 16, v8
	v_cmp_gt_i32_e64 s[0:1], s26, v6
	s_and_b64 s[0:1], vcc, s[0:1]
	s_waitcnt vmcnt(0)
	s_barrier
	s_and_saveexec_b64 s[2:3], s[0:1]
	s_cbranch_execz .LBB13_5
; %bb.4:
	s_lshl_b64 s[0:1], s[20:21], 6
	v_mov_b32_e32 v6, s1
	v_add_co_u32_e64 v5, s[0:1], s0, v2
	v_addc_co_u32_e64 v6, s[0:1], v3, v6, s[0:1]
	global_load_dword v5, v[5:6], off
.LBB13_5:
	s_or_b64 exec, exec, s[2:3]
	v_add_u32_e32 v6, 32, v8
	v_cmp_gt_i32_e64 s[0:1], s26, v6
	s_and_b64 s[0:1], vcc, s[0:1]
	v_mov_b32_e32 v6, 0
	v_mov_b32_e32 v7, 0
	s_waitcnt vmcnt(0)
	s_barrier
	s_and_saveexec_b64 s[2:3], s[0:1]
	s_cbranch_execz .LBB13_7
; %bb.6:
	s_lshl_b64 s[0:1], s[20:21], 7
	v_mov_b32_e32 v7, s1
	v_add_co_u32_e64 v9, s[0:1], s0, v2
	v_addc_co_u32_e64 v10, s[0:1], v3, v7, s[0:1]
	global_load_dword v7, v[9:10], off
.LBB13_7:
	s_or_b64 exec, exec, s[2:3]
	v_add_u32_e32 v8, 48, v8
	v_cmp_gt_i32_e64 s[0:1], s26, v8
	s_and_b64 s[2:3], vcc, s[0:1]
	s_waitcnt vmcnt(0)
	s_barrier
	s_and_saveexec_b64 s[0:1], s[2:3]
	s_cbranch_execz .LBB13_9
; %bb.8:
	v_mov_b32_e32 v6, 0xc0
	v_mad_u64_u32 v[2:3], s[2:3], s20, v6, v[2:3]
	s_mul_i32 s2, s21, 0xc0
	v_add_u32_e32 v3, s2, v3
	global_load_dword v6, v[2:3], off
.LBB13_9:
	s_or_b64 exec, exec, s[0:1]
	s_branch .LBB13_11
.LBB13_10:
                                        ; implicit-def: $vgpr6
                                        ; implicit-def: $vgpr7
                                        ; implicit-def: $vgpr5
                                        ; implicit-def: $vgpr4
.LBB13_11:
	s_ashr_i32 s27, s26, 31
	s_lshr_b32 s0, s27, 26
	s_add_i32 s0, s26, s0
	s_andn2_b32 s0, s0, 63
	s_sub_i32 s76, s26, s0
	s_add_i32 s0, s26, -1
	s_ashr_i32 s1, s0, 31
	s_lshr_b32 s1, s1, 26
	s_add_i32 s0, s0, s1
	s_ashr_i32 s0, s0, 6
	s_cmp_eq_u32 s0, s33
	s_cselect_b64 s[0:1], -1, 0
	s_cmp_lg_u32 s76, 0
	s_cselect_b64 s[2:3], -1, 0
	s_and_b64 s[18:19], s[2:3], s[0:1]
	s_mov_b64 s[2:3], -1
	s_and_b64 vcc, exec, s[18:19]
	v_cmp_le_u32_e64 s[0:1], v1, v0
	s_cbranch_vccnz .LBB13_27
; %bb.12:
	s_add_u32 s2, s20, 1
	s_addc_u32 s3, s21, 0
	s_lshl_b32 s8, s33, 6
	s_ashr_i32 s9, s8, 31
	s_mul_hi_u32 s10, s2, s8
	s_mul_i32 s9, s2, s9
	s_add_i32 s9, s10, s9
	s_mul_i32 s3, s3, s8
	s_add_i32 s3, s9, s3
	s_mul_i32 s2, s2, s8
	s_lshl_b64 s[2:3], s[2:3], 2
	s_add_u32 s2, s77, s2
	s_addc_u32 s3, s78, s3
	v_lshlrev_b32_e32 v8, 2, v0
	v_mov_b32_e32 v3, s3
	v_add_co_u32_e32 v2, vcc, s2, v8
	v_mov_b32_e32 v9, 0
	v_addc_co_u32_e32 v3, vcc, 0, v3, vcc
	s_mov_b64 s[2:3], 0
	s_and_saveexec_b64 s[8:9], s[0:1]
	s_xor_b64 s[0:1], exec, s[8:9]
	s_cbranch_execnz .LBB13_1092
; %bb.13:
	s_andn2_saveexec_b64 s[0:1], s[0:1]
	s_cbranch_execnz .LBB13_1093
.LBB13_14:
	s_or_b64 exec, exec, s[0:1]
	s_and_saveexec_b64 s[0:1], s[2:3]
.LBB13_15:
	v_lshl_add_u32 v10, v1, 8, v8
	ds_write_b32 v10, v9
.LBB13_16:
	s_or_b64 exec, exec, s[0:1]
	v_add_u32_e32 v9, 16, v1
	v_cmp_le_u32_e32 vcc, v9, v0
	s_mov_b64 s[0:1], 0
	s_and_saveexec_b64 s[2:3], vcc
	s_xor_b64 s[2:3], exec, s[2:3]
	s_cbranch_execnz .LBB13_1094
; %bb.17:
	s_or_saveexec_b64 s[2:3], s[2:3]
	v_mov_b32_e32 v10, 0
	s_xor_b64 exec, exec, s[2:3]
	s_cbranch_execnz .LBB13_1095
.LBB13_18:
	s_or_b64 exec, exec, s[2:3]
	s_and_saveexec_b64 s[2:3], s[0:1]
.LBB13_19:
	v_lshl_add_u32 v9, v9, 8, v8
	ds_write_b32 v9, v10
.LBB13_20:
	s_or_b64 exec, exec, s[2:3]
	v_add_u32_e32 v9, 32, v1
	v_cmp_le_u32_e32 vcc, v9, v0
	s_mov_b64 s[0:1], 0
	s_and_saveexec_b64 s[2:3], vcc
	s_xor_b64 s[2:3], exec, s[2:3]
	s_cbranch_execnz .LBB13_1096
; %bb.21:
	s_or_saveexec_b64 s[2:3], s[2:3]
	v_mov_b32_e32 v10, 0
	s_xor_b64 exec, exec, s[2:3]
	s_cbranch_execnz .LBB13_1097
.LBB13_22:
	s_or_b64 exec, exec, s[2:3]
	s_and_saveexec_b64 s[2:3], s[0:1]
.LBB13_23:
	v_lshl_add_u32 v8, v9, 8, v8
	ds_write_b32 v8, v10
.LBB13_24:
	s_or_b64 exec, exec, s[2:3]
	v_add_u32_e32 v8, 48, v1
	v_cmp_le_u32_e32 vcc, v8, v0
	s_mov_b64 s[0:1], -1
	s_mov_b64 s[2:3], 0
	s_mov_b64 s[8:9], 0
	s_and_saveexec_b64 s[10:11], vcc
	s_xor_b64 s[10:11], exec, s[10:11]
; %bb.25:
	v_or_b32_e32 v9, v8, v0
	v_cmp_gt_u32_e32 vcc, 64, v9
	s_and_b64 s[8:9], vcc, exec
	s_xor_b64 s[0:1], exec, -1
; %bb.26:
	s_or_b64 exec, exec, s[10:11]
	v_lshl_add_u32 v9, v8, 6, v0
	s_and_b64 vcc, exec, s[2:3]
	s_cbranch_vccnz .LBB13_28
	s_branch .LBB13_43
.LBB13_27:
	s_mov_b64 s[0:1], 0
	s_mov_b64 s[8:9], 0
                                        ; implicit-def: $vgpr9
                                        ; implicit-def: $vgpr2_vgpr3
                                        ; implicit-def: $vgpr8
	s_and_b64 vcc, exec, s[2:3]
	s_cbranch_vccz .LBB13_43
.LBB13_28:
	s_add_u32 s0, s20, 1
	s_addc_u32 s1, s21, 0
	s_lshl_b32 s2, s33, 6
	s_ashr_i32 s3, s2, 31
	s_mul_hi_u32 s10, s0, s2
	s_mul_i32 s3, s0, s3
	s_add_i32 s3, s10, s3
	s_mul_i32 s1, s1, s2
	s_add_i32 s1, s3, s1
	s_mul_i32 s0, s0, s2
	s_lshl_b64 s[0:1], s[0:1], 2
	s_add_u32 s0, s77, s0
	s_addc_u32 s1, s78, s1
	v_lshlrev_b32_e32 v8, 2, v0
	v_mov_b32_e32 v3, s1
	v_add_co_u32_e64 v2, s[0:1], s0, v8
	v_addc_co_u32_e64 v3, s[0:1], 0, v3, s[0:1]
	v_max_i32_e32 v10, v1, v0
	v_cmp_le_u32_e64 s[0:1], v1, v0
	v_cmp_le_i32_e64 s[2:3], s76, v10
	v_cmp_gt_i32_e32 vcc, s76, v0
	v_mov_b32_e32 v9, 0
	s_or_b64 s[0:1], s[2:3], s[0:1]
	s_mov_b64 s[2:3], 0
	s_and_saveexec_b64 s[10:11], s[0:1]
	s_xor_b64 s[10:11], exec, s[10:11]
	s_cbranch_execnz .LBB13_1098
; %bb.29:
	s_andn2_saveexec_b64 s[10:11], s[10:11]
	s_cbranch_execnz .LBB13_1099
.LBB13_30:
	s_or_b64 exec, exec, s[10:11]
	s_and_saveexec_b64 s[0:1], s[2:3]
.LBB13_31:
	v_lshl_add_u32 v10, v1, 8, v8
	ds_write_b32 v10, v9
.LBB13_32:
	s_or_b64 exec, exec, s[0:1]
	v_add_u32_e32 v9, 16, v1
	v_cmp_gt_u32_e64 s[0:1], v9, v0
	v_cmp_gt_i32_e64 s[2:3], s76, v9
	s_and_b64 s[0:1], s[0:1], s[2:3]
	s_and_b64 s[0:1], s[0:1], vcc
	s_xor_b64 s[0:1], s[0:1], -1
	s_mov_b64 s[2:3], 0
	s_and_saveexec_b64 s[10:11], s[0:1]
	s_xor_b64 s[10:11], exec, s[10:11]
	s_cbranch_execnz .LBB13_1100
; %bb.33:
	s_or_saveexec_b64 s[10:11], s[10:11]
	v_mov_b32_e32 v10, 0
	s_xor_b64 exec, exec, s[10:11]
	s_cbranch_execnz .LBB13_1101
.LBB13_34:
	s_or_b64 exec, exec, s[10:11]
	s_and_saveexec_b64 s[0:1], s[2:3]
.LBB13_35:
	v_lshl_add_u32 v9, v9, 8, v8
	ds_write_b32 v9, v10
.LBB13_36:
	s_or_b64 exec, exec, s[0:1]
	v_add_u32_e32 v9, 32, v1
	v_cmp_gt_u32_e64 s[0:1], v9, v0
	v_cmp_gt_i32_e64 s[2:3], s76, v9
	s_and_b64 s[0:1], s[0:1], s[2:3]
	s_and_b64 s[0:1], s[0:1], vcc
	s_xor_b64 s[0:1], s[0:1], -1
	s_mov_b64 s[2:3], 0
	s_and_saveexec_b64 s[10:11], s[0:1]
	s_xor_b64 s[10:11], exec, s[10:11]
	s_cbranch_execnz .LBB13_1102
; %bb.37:
	s_or_saveexec_b64 s[10:11], s[10:11]
	v_mov_b32_e32 v10, 0
	s_xor_b64 exec, exec, s[10:11]
	s_cbranch_execnz .LBB13_1103
.LBB13_38:
	s_or_b64 exec, exec, s[10:11]
	s_and_saveexec_b64 s[0:1], s[2:3]
.LBB13_39:
	v_lshl_add_u32 v8, v9, 8, v8
	ds_write_b32 v8, v10
.LBB13_40:
	s_or_b64 exec, exec, s[0:1]
	v_add_u32_e32 v8, 48, v1
	v_cmp_gt_u32_e64 s[0:1], v8, v0
	v_cmp_gt_i32_e64 s[2:3], s76, v8
	s_and_b64 s[0:1], s[0:1], s[2:3]
	s_and_b64 s[2:3], s[0:1], vcc
	s_mov_b64 s[0:1], -1
	s_xor_b64 s[10:11], s[2:3], -1
	s_and_saveexec_b64 s[2:3], s[10:11]
; %bb.41:
	v_or_b32_e32 v9, v8, v0
	v_cmp_gt_u32_e32 vcc, 64, v9
	s_andn2_b64 s[0:1], s[8:9], exec
	s_and_b64 s[8:9], vcc, exec
	s_or_b64 s[8:9], s[0:1], s[8:9]
	s_xor_b64 s[0:1], exec, -1
; %bb.42:
	s_or_b64 exec, exec, s[2:3]
	v_lshl_add_u32 v9, v8, 6, v0
.LBB13_43:
	v_mov_b32_e32 v10, 0
	s_and_saveexec_b64 s[2:3], s[0:1]
	s_cbranch_execnz .LBB13_1065
; %bb.44:
	s_or_b64 exec, exec, s[2:3]
	s_and_saveexec_b64 s[0:1], s[8:9]
.LBB13_45:
	v_lshlrev_b32_e32 v2, 2, v9
	ds_write_b32 v2, v10
.LBB13_46:
	s_or_b64 exec, exec, s[0:1]
	s_cmp_lt_i32 s6, 5
	s_cselect_b64 s[0:1], -1, 0
	s_or_b64 s[22:23], s[0:1], s[18:19]
	s_and_b64 vcc, exec, s[22:23]
	s_waitcnt vmcnt(0) lgkmcnt(0)
	s_barrier
	s_cbranch_vccnz .LBB13_1022
; %bb.47:
	v_or_b32_e32 v2, v0, v1
	v_cmp_eq_u32_e32 vcc, 0, v2
	s_and_saveexec_b64 s[0:1], vcc
; %bb.48:
	s_movk_i32 s2, 0x3c00
	v_mov_b32_e32 v2, 1.0
	v_add_u32_e64 v3, s2, 0
	ds_write2_b32 v3, v2, v2 offset0:190 offset1:255
; %bb.49:
	s_or_b64 exec, exec, s[0:1]
	v_lshlrev_b32_e32 v3, 6, v1
	v_add_u32_e32 v9, v3, v0
	v_and_b32_e32 v8, v3, v0
	v_xor_b32_e32 v3, v3, v0
	v_lshrrev_b16_e32 v3, 1, v3
	v_add_u16_e32 v8, v8, v3
	v_and_b32_e32 v2, 1, v0
	v_sub_u32_e32 v3, 1, v8
	v_cmp_lt_u32_e64 s[2:3], 3, v9
	v_cmp_gt_u32_e64 s[0:1], 4, v9
	v_mov_b32_e32 v10, 0
	s_waitcnt lgkmcnt(0)
	s_barrier
	buffer_wbinvl1_vol
	s_and_saveexec_b64 s[10:11], s[0:1]
	s_cbranch_execz .LBB13_53
; %bb.50:
	v_lshlrev_b32_e32 v10, 8, v3
	v_lshlrev_b32_e32 v11, 2, v2
	ds_read_b32 v12, v11 offset:16112
	ds_read_b32 v10, v10 offset:16120
	v_mov_b32_e32 v11, 0
	v_cmp_gt_u32_e64 s[8:9], 2, v9
	s_waitcnt lgkmcnt(0)
	v_fma_f32 v10, v12, v10, 0
	s_and_saveexec_b64 s[12:13], s[8:9]
	s_cbranch_execz .LBB13_52
; %bb.51:
	v_lshlrev_b32_e32 v12, 2, v0
	ds_read_b32 v12, v12 offset:16368
	ds_read_b32 v11, v11 offset:16380
	s_waitcnt lgkmcnt(0)
	v_fmac_f32_e32 v10, v12, v11
.LBB13_52:
	s_or_b64 exec, exec, s[12:13]
.LBB13_53:
	s_or_b64 exec, exec, s[10:11]
	v_mov_b32_e32 v11, 0x4000
	v_cmp_ne_u32_e64 s[8:9], 0, v2
	s_xor_b64 s[10:11], s[2:3], -1
	v_lshl_add_u32 v8, v8, 2, v11
	s_and_b64 s[30:31], s[8:9], s[10:11]
	s_and_saveexec_b64 s[2:3], s[30:31]
; %bb.54:
	v_xor_b32_e32 v11, 0x80000000, v10
	ds_write_b32 v8, v11
; %bb.55:
	s_or_b64 exec, exec, s[2:3]
	v_cmp_eq_u32_e64 s[2:3], 0, v2
	s_and_b64 s[28:29], s[2:3], s[10:11]
	s_waitcnt lgkmcnt(0)
	s_barrier
	s_and_saveexec_b64 s[2:3], s[28:29]
	s_cbranch_execz .LBB13_57
; %bb.56:
	v_mov_b32_e32 v11, 0
	ds_read_b32 v11, v11 offset:15856
	ds_read_b32 v12, v8
	s_waitcnt lgkmcnt(0)
	v_fma_f32 v10, -v11, v12, v10
.LBB13_57:
	s_or_b64 exec, exec, s[2:3]
	s_barrier
	s_and_saveexec_b64 s[2:3], s[28:29]
; %bb.58:
	v_xor_b32_e32 v11, 0x80000000, v10
	ds_write_b32 v8, v11
; %bb.59:
	s_or_b64 exec, exec, s[2:3]
	s_waitcnt lgkmcnt(0)
	s_barrier
	s_barrier
	s_and_saveexec_b64 s[2:3], s[0:1]
; %bb.60:
	v_lshlrev_b32_e32 v11, 2, v2
	v_lshl_or_b32 v11, v3, 8, v11
	ds_write_b32 v11, v10 offset:16112
; %bb.61:
	s_or_b64 exec, exec, s[2:3]
	s_waitcnt lgkmcnt(0)
	s_barrier
	s_barrier
	s_and_saveexec_b64 s[2:3], vcc
; %bb.62:
	s_movk_i32 s8, 0x3c00
	v_mov_b32_e32 v10, 1.0
	v_add_u32_e64 v11, s8, 0
	ds_write2_b32 v11, v10, v10 offset0:60 offset1:125
; %bb.63:
	s_or_b64 exec, exec, s[2:3]
	v_lshrrev_b32_e32 v12, 2, v9
	v_and_b32_e32 v10, 3, v0
	v_sub_u32_e32 v11, 3, v12
	v_cmp_lt_u32_e64 s[8:9], 15, v9
	v_cmp_gt_u32_e64 s[2:3], 16, v9
	v_mov_b32_e32 v13, 0
	s_waitcnt lgkmcnt(0)
	s_barrier
	buffer_wbinvl1_vol
	s_and_saveexec_b64 s[12:13], s[2:3]
	s_cbranch_execz .LBB13_69
; %bb.64:
	v_lshlrev_b32_e32 v15, 2, v10
	v_lshlrev_b32_e32 v14, 8, v11
	ds_read_b32 v13, v15 offset:15584
	ds_read_b32 v16, v14 offset:15600
	v_cmp_gt_u32_e64 s[10:11], 12, v9
	s_waitcnt lgkmcnt(0)
	v_fma_f32 v13, v13, v16, 0
	s_and_saveexec_b64 s[14:15], s[10:11]
	s_cbranch_execnz .LBB13_1108
; %bb.65:
	s_or_b64 exec, exec, s[14:15]
	v_cmp_gt_u32_e64 s[10:11], 8, v9
	s_and_saveexec_b64 s[14:15], s[10:11]
	s_cbranch_execnz .LBB13_1109
.LBB13_66:
	s_or_b64 exec, exec, s[14:15]
	v_cmp_gt_u32_e64 s[10:11], 4, v9
	s_and_saveexec_b64 s[14:15], s[10:11]
	s_cbranch_execz .LBB13_68
.LBB13_67:
	v_lshlrev_b32_e32 v14, 2, v0
	v_mov_b32_e32 v15, 0
	ds_read_b32 v14, v14 offset:16352
	ds_read_b32 v15, v15 offset:16380
	s_waitcnt lgkmcnt(0)
	v_fmac_f32_e32 v13, v14, v15
.LBB13_68:
	s_or_b64 exec, exec, s[14:15]
.LBB13_69:
	s_or_b64 exec, exec, s[12:13]
	v_mov_b32_e32 v14, 0x4000
	v_cmp_eq_u32_e64 s[10:11], 3, v10
	s_xor_b64 s[12:13], s[8:9], -1
	v_lshl_add_u32 v12, v12, 2, v14
	s_and_b64 s[36:37], s[10:11], s[12:13]
	s_and_saveexec_b64 s[8:9], s[36:37]
; %bb.70:
	v_xor_b32_e32 v14, 0x80000000, v13
	ds_write_b32 v12, v14
; %bb.71:
	s_or_b64 exec, exec, s[8:9]
	v_cmp_ne_u32_e64 s[8:9], 3, v10
	s_and_b64 s[38:39], s[8:9], s[12:13]
	s_waitcnt lgkmcnt(0)
	s_barrier
	s_and_saveexec_b64 s[8:9], s[38:39]
	s_cbranch_execz .LBB13_73
; %bb.72:
	v_lshlrev_b32_e32 v14, 2, v10
	ds_read_b32 v14, v14 offset:15328
	ds_read_b32 v15, v12
	s_waitcnt lgkmcnt(0)
	v_fma_f32 v13, -v14, v15, v13
.LBB13_73:
	s_or_b64 exec, exec, s[8:9]
	v_cmp_eq_u32_e64 s[8:9], 2, v10
	s_and_b64 s[40:41], s[8:9], s[12:13]
	s_barrier
	s_and_saveexec_b64 s[8:9], s[40:41]
; %bb.74:
	v_xor_b32_e32 v14, 0x80000000, v13
	ds_write_b32 v12, v14
; %bb.75:
	s_or_b64 exec, exec, s[8:9]
	v_cmp_gt_u32_e64 s[8:9], 2, v10
	s_and_b64 s[42:43], s[8:9], s[12:13]
	s_waitcnt lgkmcnt(0)
	s_barrier
	s_and_saveexec_b64 s[8:9], s[42:43]
	s_cbranch_execz .LBB13_77
; %bb.76:
	v_lshlrev_b32_e32 v14, 2, v10
	ds_read_b32 v14, v14 offset:15072
	ds_read_b32 v15, v12
	s_waitcnt lgkmcnt(0)
	v_fma_f32 v13, -v14, v15, v13
.LBB13_77:
	s_or_b64 exec, exec, s[8:9]
	v_cmp_eq_u32_e64 s[8:9], 1, v10
	s_and_b64 s[44:45], s[8:9], s[12:13]
	s_barrier
	s_and_saveexec_b64 s[8:9], s[44:45]
; %bb.78:
	v_xor_b32_e32 v14, 0x80000000, v13
	ds_write_b32 v12, v14
; %bb.79:
	s_or_b64 exec, exec, s[8:9]
	v_cmp_eq_u32_e64 s[8:9], 0, v10
	s_and_b64 s[34:35], s[8:9], s[12:13]
	s_waitcnt lgkmcnt(0)
	s_barrier
	s_and_saveexec_b64 s[8:9], s[34:35]
	s_cbranch_execz .LBB13_81
; %bb.80:
	v_mov_b32_e32 v14, 0
	ds_read_b32 v14, v14 offset:14816
	ds_read_b32 v15, v12
	s_waitcnt lgkmcnt(0)
	v_fma_f32 v13, -v14, v15, v13
.LBB13_81:
	s_or_b64 exec, exec, s[8:9]
	s_barrier
	s_and_saveexec_b64 s[8:9], s[34:35]
; %bb.82:
	v_xor_b32_e32 v14, 0x80000000, v13
	ds_write_b32 v12, v14
; %bb.83:
	s_or_b64 exec, exec, s[8:9]
	s_waitcnt lgkmcnt(0)
	s_barrier
	s_barrier
	s_and_saveexec_b64 s[8:9], s[2:3]
; %bb.84:
	v_lshlrev_b32_e32 v14, 2, v10
	v_lshl_or_b32 v14, v11, 8, v14
	ds_write_b32 v14, v13 offset:15584
; %bb.85:
	s_or_b64 exec, exec, s[8:9]
	s_waitcnt lgkmcnt(0)
	s_barrier
	s_barrier
	s_and_saveexec_b64 s[8:9], vcc
; %bb.86:
	s_movk_i32 s10, 0x3800
	v_mov_b32_e32 v13, 1.0
	v_add_u32_e64 v14, s10, 0
	ds_write2_b32 v14, v13, v13 offset0:186 offset1:251
; %bb.87:
	s_or_b64 exec, exec, s[8:9]
	v_mov_b32_e32 v13, 0
	s_waitcnt lgkmcnt(0)
	s_barrier
	buffer_wbinvl1_vol
	s_and_saveexec_b64 s[10:11], s[0:1]
	s_cbranch_execz .LBB13_91
; %bb.88:
	v_lshlrev_b32_e32 v13, 8, v3
	v_lshlrev_b32_e32 v14, 2, v2
	ds_read_b32 v15, v14 offset:15072
	ds_read_b32 v13, v13 offset:15080
	v_mov_b32_e32 v14, 0
	v_cmp_gt_u32_e64 s[8:9], 2, v9
	s_waitcnt lgkmcnt(0)
	v_fma_f32 v13, v15, v13, 0
	s_and_saveexec_b64 s[12:13], s[8:9]
	s_cbranch_execz .LBB13_90
; %bb.89:
	v_lshlrev_b32_e32 v15, 2, v0
	ds_read_b32 v15, v15 offset:15328
	ds_read_b32 v14, v14 offset:15340
	s_waitcnt lgkmcnt(0)
	v_fmac_f32_e32 v13, v15, v14
.LBB13_90:
	s_or_b64 exec, exec, s[12:13]
.LBB13_91:
	s_or_b64 exec, exec, s[10:11]
	s_and_saveexec_b64 s[8:9], s[30:31]
; %bb.92:
	v_xor_b32_e32 v14, 0x80000000, v13
	ds_write_b32 v8, v14
; %bb.93:
	s_or_b64 exec, exec, s[8:9]
	s_waitcnt lgkmcnt(0)
	s_barrier
	s_and_saveexec_b64 s[8:9], s[28:29]
	s_cbranch_execz .LBB13_95
; %bb.94:
	v_mov_b32_e32 v14, 0
	ds_read_b32 v14, v14 offset:14816
	ds_read_b32 v15, v8
	s_waitcnt lgkmcnt(0)
	v_fma_f32 v13, -v14, v15, v13
.LBB13_95:
	s_or_b64 exec, exec, s[8:9]
	s_barrier
	s_and_saveexec_b64 s[8:9], s[28:29]
; %bb.96:
	v_xor_b32_e32 v14, 0x80000000, v13
	ds_write_b32 v8, v14
; %bb.97:
	s_or_b64 exec, exec, s[8:9]
	s_waitcnt lgkmcnt(0)
	s_barrier
	s_barrier
	s_and_saveexec_b64 s[8:9], s[0:1]
; %bb.98:
	v_lshlrev_b32_e32 v14, 2, v2
	v_lshl_or_b32 v14, v3, 8, v14
	ds_write_b32 v14, v13 offset:15072
; %bb.99:
	s_or_b64 exec, exec, s[8:9]
	s_waitcnt lgkmcnt(0)
	s_barrier
	s_barrier
	s_and_saveexec_b64 s[8:9], vcc
; %bb.100:
	s_movk_i32 s10, 0x3800
	v_mov_b32_e32 v13, 1.0
	v_add_u32_e64 v14, s10, 0
	ds_write2_b32 v14, v13, v13 offset0:56 offset1:121
; %bb.101:
	s_or_b64 exec, exec, s[8:9]
	v_lshrrev_b32_e32 v15, 3, v9
	v_and_b32_e32 v13, 7, v0
	v_sub_u32_e32 v14, 7, v15
	v_cmp_lt_u32_e64 s[8:9], 63, v9
	v_cmp_gt_u32_e64 s[14:15], 64, v9
	v_mov_b32_e32 v16, 0
	s_waitcnt lgkmcnt(0)
	s_barrier
	buffer_wbinvl1_vol
	s_and_saveexec_b64 s[12:13], s[14:15]
	s_cbranch_execz .LBB13_111
; %bb.102:
	v_lshlrev_b32_e32 v18, 2, v13
	v_lshlrev_b32_e32 v17, 8, v14
	ds_read_b32 v16, v18 offset:14528
	ds_read_b32 v19, v17 offset:14560
	v_cmp_gt_u32_e64 s[10:11], 56, v9
	s_waitcnt lgkmcnt(0)
	v_fma_f32 v16, v16, v19, 0
	s_and_saveexec_b64 s[16:17], s[10:11]
	s_cbranch_execnz .LBB13_1110
; %bb.103:
	s_or_b64 exec, exec, s[16:17]
	v_cmp_gt_u32_e64 s[10:11], 48, v9
	s_and_saveexec_b64 s[16:17], s[10:11]
	s_cbranch_execnz .LBB13_1111
.LBB13_104:
	s_or_b64 exec, exec, s[16:17]
	v_cmp_gt_u32_e64 s[10:11], 40, v9
	s_and_saveexec_b64 s[16:17], s[10:11]
	s_cbranch_execnz .LBB13_1112
.LBB13_105:
	s_or_b64 exec, exec, s[16:17]
	v_cmp_gt_u32_e64 s[10:11], 32, v9
	s_and_saveexec_b64 s[16:17], s[10:11]
	s_cbranch_execnz .LBB13_1113
.LBB13_106:
	s_or_b64 exec, exec, s[16:17]
	v_cmp_gt_u32_e64 s[10:11], 24, v9
	s_and_saveexec_b64 s[16:17], s[10:11]
	s_cbranch_execnz .LBB13_1114
.LBB13_107:
	s_or_b64 exec, exec, s[16:17]
	s_and_saveexec_b64 s[10:11], s[2:3]
	s_cbranch_execnz .LBB13_1115
.LBB13_108:
	s_or_b64 exec, exec, s[10:11]
	v_cmp_gt_u32_e64 s[10:11], 8, v9
	s_and_saveexec_b64 s[16:17], s[10:11]
	s_cbranch_execz .LBB13_110
.LBB13_109:
	v_lshlrev_b32_e32 v17, 2, v0
	v_mov_b32_e32 v18, 0
	ds_read_b32 v17, v17 offset:16320
	ds_read_b32 v18, v18 offset:16380
	s_waitcnt lgkmcnt(0)
	v_fmac_f32_e32 v16, v17, v18
.LBB13_110:
	s_or_b64 exec, exec, s[16:17]
.LBB13_111:
	s_or_b64 exec, exec, s[12:13]
	v_mov_b32_e32 v17, 0x4000
	v_cmp_eq_u32_e64 s[10:11], 7, v13
	s_xor_b64 s[12:13], s[8:9], -1
	v_lshl_add_u32 v15, v15, 2, v17
	s_and_b64 s[46:47], s[10:11], s[12:13]
	s_and_saveexec_b64 s[8:9], s[46:47]
; %bb.112:
	v_xor_b32_e32 v17, 0x80000000, v16
	ds_write_b32 v15, v17
; %bb.113:
	s_or_b64 exec, exec, s[8:9]
	v_cmp_ne_u32_e64 s[8:9], 7, v13
	s_and_b64 s[48:49], s[8:9], s[12:13]
	s_waitcnt lgkmcnt(0)
	s_barrier
	s_and_saveexec_b64 s[8:9], s[48:49]
	s_cbranch_execz .LBB13_115
; %bb.114:
	v_lshlrev_b32_e32 v17, 2, v13
	ds_read_b32 v17, v17 offset:14272
	ds_read_b32 v18, v15
	s_waitcnt lgkmcnt(0)
	v_fma_f32 v16, -v17, v18, v16
.LBB13_115:
	s_or_b64 exec, exec, s[8:9]
	v_cmp_eq_u32_e64 s[8:9], 6, v13
	s_and_b64 s[50:51], s[8:9], s[12:13]
	s_barrier
	s_and_saveexec_b64 s[8:9], s[50:51]
; %bb.116:
	v_xor_b32_e32 v17, 0x80000000, v16
	ds_write_b32 v15, v17
; %bb.117:
	s_or_b64 exec, exec, s[8:9]
	v_cmp_gt_u32_e64 s[8:9], 6, v13
	s_and_b64 s[52:53], s[8:9], s[12:13]
	s_waitcnt lgkmcnt(0)
	s_barrier
	s_and_saveexec_b64 s[8:9], s[52:53]
	s_cbranch_execz .LBB13_119
; %bb.118:
	v_lshlrev_b32_e32 v17, 2, v13
	ds_read_b32 v17, v17 offset:14016
	ds_read_b32 v18, v15
	s_waitcnt lgkmcnt(0)
	v_fma_f32 v16, -v17, v18, v16
.LBB13_119:
	s_or_b64 exec, exec, s[8:9]
	v_cmp_eq_u32_e64 s[8:9], 5, v13
	s_and_b64 s[54:55], s[8:9], s[12:13]
	s_barrier
	s_and_saveexec_b64 s[8:9], s[54:55]
; %bb.120:
	v_xor_b32_e32 v17, 0x80000000, v16
	ds_write_b32 v15, v17
; %bb.121:
	s_or_b64 exec, exec, s[8:9]
	v_cmp_gt_u32_e64 s[8:9], 5, v13
	;; [unrolled: 23-line block ×5, first 2 shown]
	s_and_b64 s[70:71], s[8:9], s[12:13]
	s_waitcnt lgkmcnt(0)
	s_barrier
	s_and_saveexec_b64 s[8:9], s[70:71]
	s_cbranch_execz .LBB13_135
; %bb.134:
	v_lshlrev_b32_e32 v17, 2, v13
	ds_read_b32 v17, v17 offset:12992
	ds_read_b32 v18, v15
	s_waitcnt lgkmcnt(0)
	v_fma_f32 v16, -v17, v18, v16
.LBB13_135:
	s_or_b64 exec, exec, s[8:9]
	v_cmp_eq_u32_e64 s[8:9], 1, v13
	s_and_b64 s[72:73], s[8:9], s[12:13]
	s_barrier
	s_and_saveexec_b64 s[8:9], s[72:73]
; %bb.136:
	v_xor_b32_e32 v17, 0x80000000, v16
	ds_write_b32 v15, v17
; %bb.137:
	s_or_b64 exec, exec, s[8:9]
	v_cmp_eq_u32_e64 s[8:9], 0, v13
	s_and_b64 s[56:57], s[8:9], s[12:13]
	s_waitcnt lgkmcnt(0)
	s_barrier
	s_and_saveexec_b64 s[8:9], s[56:57]
	s_cbranch_execz .LBB13_139
; %bb.138:
	v_mov_b32_e32 v17, 0
	ds_read_b32 v17, v17 offset:12736
	ds_read_b32 v18, v15
	s_waitcnt lgkmcnt(0)
	v_fma_f32 v16, -v17, v18, v16
.LBB13_139:
	s_or_b64 exec, exec, s[8:9]
	s_barrier
	s_and_saveexec_b64 s[8:9], s[56:57]
; %bb.140:
	v_xor_b32_e32 v17, 0x80000000, v16
	ds_write_b32 v15, v17
; %bb.141:
	s_or_b64 exec, exec, s[8:9]
	s_waitcnt lgkmcnt(0)
	s_barrier
	s_barrier
	s_and_saveexec_b64 s[8:9], s[14:15]
; %bb.142:
	v_lshlrev_b32_e32 v17, 2, v13
	v_lshl_or_b32 v17, v14, 8, v17
	ds_write_b32 v17, v16 offset:14528
; %bb.143:
	s_or_b64 exec, exec, s[8:9]
	s_waitcnt lgkmcnt(0)
	s_barrier
	s_barrier
	s_and_saveexec_b64 s[8:9], vcc
; %bb.144:
	s_movk_i32 s10, 0x3400
	v_mov_b32_e32 v16, 1.0
	v_add_u32_e64 v17, s10, 0
	ds_write2_b32 v17, v16, v16 offset0:182 offset1:247
; %bb.145:
	s_or_b64 exec, exec, s[8:9]
	v_mov_b32_e32 v16, 0
	s_waitcnt lgkmcnt(0)
	s_barrier
	buffer_wbinvl1_vol
	s_and_saveexec_b64 s[10:11], s[0:1]
	s_cbranch_execz .LBB13_149
; %bb.146:
	v_lshlrev_b32_e32 v16, 8, v3
	v_lshlrev_b32_e32 v17, 2, v2
	ds_read_b32 v18, v17 offset:14032
	ds_read_b32 v16, v16 offset:14040
	v_mov_b32_e32 v17, 0
	v_cmp_gt_u32_e64 s[8:9], 2, v9
	s_waitcnt lgkmcnt(0)
	v_fma_f32 v16, v18, v16, 0
	s_and_saveexec_b64 s[12:13], s[8:9]
	s_cbranch_execz .LBB13_148
; %bb.147:
	v_lshlrev_b32_e32 v18, 2, v0
	ds_read_b32 v18, v18 offset:14288
	ds_read_b32 v17, v17 offset:14300
	s_waitcnt lgkmcnt(0)
	v_fmac_f32_e32 v16, v18, v17
.LBB13_148:
	s_or_b64 exec, exec, s[12:13]
.LBB13_149:
	s_or_b64 exec, exec, s[10:11]
	s_and_saveexec_b64 s[8:9], s[30:31]
; %bb.150:
	v_xor_b32_e32 v17, 0x80000000, v16
	ds_write_b32 v8, v17
; %bb.151:
	s_or_b64 exec, exec, s[8:9]
	s_waitcnt lgkmcnt(0)
	s_barrier
	s_and_saveexec_b64 s[8:9], s[28:29]
	s_cbranch_execz .LBB13_153
; %bb.152:
	v_mov_b32_e32 v17, 0
	ds_read_b32 v17, v17 offset:13776
	ds_read_b32 v18, v8
	s_waitcnt lgkmcnt(0)
	v_fma_f32 v16, -v17, v18, v16
.LBB13_153:
	s_or_b64 exec, exec, s[8:9]
	s_barrier
	s_and_saveexec_b64 s[8:9], s[28:29]
; %bb.154:
	v_xor_b32_e32 v17, 0x80000000, v16
	ds_write_b32 v8, v17
; %bb.155:
	s_or_b64 exec, exec, s[8:9]
	s_waitcnt lgkmcnt(0)
	s_barrier
	s_barrier
	s_and_saveexec_b64 s[8:9], s[0:1]
; %bb.156:
	v_lshlrev_b32_e32 v17, 2, v2
	v_lshl_or_b32 v17, v3, 8, v17
	ds_write_b32 v17, v16 offset:14032
; %bb.157:
	s_or_b64 exec, exec, s[8:9]
	s_waitcnt lgkmcnt(0)
	s_barrier
	s_barrier
	s_and_saveexec_b64 s[8:9], vcc
; %bb.158:
	s_movk_i32 s10, 0x3400
	v_mov_b32_e32 v16, 1.0
	v_add_u32_e64 v17, s10, 0
	ds_write2_b32 v17, v16, v16 offset0:52 offset1:117
; %bb.159:
	s_or_b64 exec, exec, s[8:9]
	v_mov_b32_e32 v16, 0
	s_waitcnt lgkmcnt(0)
	s_barrier
	buffer_wbinvl1_vol
	s_and_saveexec_b64 s[10:11], s[2:3]
	s_cbranch_execz .LBB13_165
; %bb.160:
	v_lshlrev_b32_e32 v18, 2, v10
	v_lshlrev_b32_e32 v17, 8, v11
	ds_read_b32 v16, v18 offset:13504
	ds_read_b32 v19, v17 offset:13520
	v_cmp_gt_u32_e64 s[8:9], 12, v9
	s_waitcnt lgkmcnt(0)
	v_fma_f32 v16, v16, v19, 0
	s_and_saveexec_b64 s[12:13], s[8:9]
	s_cbranch_execnz .LBB13_1116
; %bb.161:
	s_or_b64 exec, exec, s[12:13]
	v_cmp_gt_u32_e64 s[8:9], 8, v9
	s_and_saveexec_b64 s[12:13], s[8:9]
	s_cbranch_execnz .LBB13_1117
.LBB13_162:
	s_or_b64 exec, exec, s[12:13]
	v_cmp_gt_u32_e64 s[8:9], 4, v9
	s_and_saveexec_b64 s[12:13], s[8:9]
	s_cbranch_execz .LBB13_164
.LBB13_163:
	v_lshlrev_b32_e32 v17, 2, v0
	v_mov_b32_e32 v18, 0
	ds_read_b32 v17, v17 offset:14272
	ds_read_b32 v18, v18 offset:14300
	s_waitcnt lgkmcnt(0)
	v_fmac_f32_e32 v16, v17, v18
.LBB13_164:
	s_or_b64 exec, exec, s[12:13]
.LBB13_165:
	s_or_b64 exec, exec, s[10:11]
	s_and_saveexec_b64 s[8:9], s[36:37]
; %bb.166:
	v_xor_b32_e32 v17, 0x80000000, v16
	ds_write_b32 v12, v17
; %bb.167:
	s_or_b64 exec, exec, s[8:9]
	s_waitcnt lgkmcnt(0)
	s_barrier
	s_and_saveexec_b64 s[8:9], s[38:39]
	s_cbranch_execz .LBB13_169
; %bb.168:
	v_lshlrev_b32_e32 v17, 2, v10
	ds_read_b32 v17, v17 offset:13248
	ds_read_b32 v18, v12
	s_waitcnt lgkmcnt(0)
	v_fma_f32 v16, -v17, v18, v16
.LBB13_169:
	s_or_b64 exec, exec, s[8:9]
	s_barrier
	s_and_saveexec_b64 s[8:9], s[40:41]
; %bb.170:
	v_xor_b32_e32 v17, 0x80000000, v16
	ds_write_b32 v12, v17
; %bb.171:
	s_or_b64 exec, exec, s[8:9]
	s_waitcnt lgkmcnt(0)
	s_barrier
	s_and_saveexec_b64 s[8:9], s[42:43]
	s_cbranch_execz .LBB13_173
; %bb.172:
	v_lshlrev_b32_e32 v17, 2, v10
	ds_read_b32 v17, v17 offset:12992
	ds_read_b32 v18, v12
	s_waitcnt lgkmcnt(0)
	v_fma_f32 v16, -v17, v18, v16
.LBB13_173:
	s_or_b64 exec, exec, s[8:9]
	s_barrier
	s_and_saveexec_b64 s[8:9], s[44:45]
; %bb.174:
	v_xor_b32_e32 v17, 0x80000000, v16
	ds_write_b32 v12, v17
; %bb.175:
	s_or_b64 exec, exec, s[8:9]
	s_waitcnt lgkmcnt(0)
	s_barrier
	s_and_saveexec_b64 s[8:9], s[34:35]
	s_cbranch_execz .LBB13_177
; %bb.176:
	v_mov_b32_e32 v17, 0
	ds_read_b32 v17, v17 offset:12736
	ds_read_b32 v18, v12
	s_waitcnt lgkmcnt(0)
	v_fma_f32 v16, -v17, v18, v16
.LBB13_177:
	s_or_b64 exec, exec, s[8:9]
	s_barrier
	s_and_saveexec_b64 s[8:9], s[34:35]
; %bb.178:
	v_xor_b32_e32 v17, 0x80000000, v16
	ds_write_b32 v12, v17
; %bb.179:
	s_or_b64 exec, exec, s[8:9]
	s_waitcnt lgkmcnt(0)
	s_barrier
	s_barrier
	s_and_saveexec_b64 s[8:9], s[2:3]
; %bb.180:
	v_lshlrev_b32_e32 v17, 2, v10
	v_lshl_or_b32 v17, v11, 8, v17
	ds_write_b32 v17, v16 offset:13504
; %bb.181:
	s_or_b64 exec, exec, s[8:9]
	s_waitcnt lgkmcnt(0)
	s_barrier
	s_barrier
	s_and_saveexec_b64 s[8:9], vcc
; %bb.182:
	s_movk_i32 s10, 0x3000
	v_mov_b32_e32 v16, 1.0
	v_add_u32_e64 v17, s10, 0
	ds_write2_b32 v17, v16, v16 offset0:178 offset1:243
; %bb.183:
	s_or_b64 exec, exec, s[8:9]
	v_mov_b32_e32 v16, 0
	s_waitcnt lgkmcnt(0)
	s_barrier
	buffer_wbinvl1_vol
	s_and_saveexec_b64 s[10:11], s[0:1]
	s_cbranch_execz .LBB13_187
; %bb.184:
	v_lshlrev_b32_e32 v16, 8, v3
	v_lshlrev_b32_e32 v17, 2, v2
	ds_read_b32 v18, v17 offset:12992
	ds_read_b32 v16, v16 offset:13000
	v_mov_b32_e32 v17, 0
	v_cmp_gt_u32_e64 s[8:9], 2, v9
	s_waitcnt lgkmcnt(0)
	v_fma_f32 v16, v18, v16, 0
	s_and_saveexec_b64 s[12:13], s[8:9]
	s_cbranch_execz .LBB13_186
; %bb.185:
	v_lshlrev_b32_e32 v18, 2, v0
	ds_read_b32 v18, v18 offset:13248
	ds_read_b32 v17, v17 offset:13260
	s_waitcnt lgkmcnt(0)
	v_fmac_f32_e32 v16, v18, v17
.LBB13_186:
	s_or_b64 exec, exec, s[12:13]
.LBB13_187:
	s_or_b64 exec, exec, s[10:11]
	s_and_saveexec_b64 s[8:9], s[30:31]
; %bb.188:
	v_xor_b32_e32 v17, 0x80000000, v16
	ds_write_b32 v8, v17
; %bb.189:
	s_or_b64 exec, exec, s[8:9]
	s_waitcnt lgkmcnt(0)
	s_barrier
	s_and_saveexec_b64 s[8:9], s[28:29]
	s_cbranch_execz .LBB13_191
; %bb.190:
	v_mov_b32_e32 v17, 0
	ds_read_b32 v17, v17 offset:12736
	ds_read_b32 v18, v8
	s_waitcnt lgkmcnt(0)
	v_fma_f32 v16, -v17, v18, v16
.LBB13_191:
	s_or_b64 exec, exec, s[8:9]
	s_barrier
	s_and_saveexec_b64 s[8:9], s[28:29]
; %bb.192:
	v_xor_b32_e32 v17, 0x80000000, v16
	ds_write_b32 v8, v17
; %bb.193:
	s_or_b64 exec, exec, s[8:9]
	s_waitcnt lgkmcnt(0)
	s_barrier
	s_barrier
	s_and_saveexec_b64 s[8:9], s[0:1]
; %bb.194:
	v_lshlrev_b32_e32 v17, 2, v2
	v_lshl_or_b32 v17, v3, 8, v17
	ds_write_b32 v17, v16 offset:12992
; %bb.195:
	s_or_b64 exec, exec, s[8:9]
	s_waitcnt lgkmcnt(0)
	s_barrier
	s_barrier
	s_and_saveexec_b64 s[8:9], vcc
; %bb.196:
	s_movk_i32 s10, 0x3000
	v_mov_b32_e32 v16, 1.0
	v_add_u32_e64 v17, s10, 0
	ds_write2_b32 v17, v16, v16 offset0:48 offset1:113
; %bb.197:
	s_or_b64 exec, exec, s[8:9]
	s_movk_i32 s8, 0xff
	v_lshrrev_b32_e32 v18, 4, v9
	v_cmp_lt_u32_e64 s[10:11], s8, v9
	s_movk_i32 s8, 0x100
	v_and_b32_e32 v16, 15, v0
	v_sub_u32_e32 v17, 15, v18
	v_cmp_gt_u32_e64 s[8:9], s8, v9
	v_mov_b32_e32 v19, 0
	s_waitcnt lgkmcnt(0)
	s_barrier
	buffer_wbinvl1_vol
	s_and_saveexec_b64 s[16:17], s[8:9]
	s_cbranch_execz .LBB13_225
; %bb.198:
	v_lshlrev_b32_e32 v21, 2, v16
	v_lshlrev_b32_e32 v20, 8, v17
	ds_read_b32 v19, v21 offset:12416
	ds_read_b32 v22, v20 offset:12480
	s_movk_i32 s12, 0xf0
	v_cmp_gt_u32_e64 s[12:13], s12, v9
	s_waitcnt lgkmcnt(0)
	v_fma_f32 v19, v19, v22, 0
	s_and_saveexec_b64 s[74:75], s[12:13]
	s_cbranch_execz .LBB13_200
; %bb.199:
	ds_read_b32 v22, v21 offset:12672
	ds_read_b32 v23, v20 offset:12484
	s_waitcnt lgkmcnt(0)
	v_fmac_f32_e32 v19, v22, v23
.LBB13_200:
	s_or_b64 exec, exec, s[74:75]
	s_movk_i32 s12, 0xe0
	v_cmp_gt_u32_e64 s[12:13], s12, v9
	s_and_saveexec_b64 s[74:75], s[12:13]
	s_cbranch_execz .LBB13_202
; %bb.201:
	ds_read_b32 v22, v21 offset:12928
	ds_read_b32 v23, v20 offset:12488
	s_waitcnt lgkmcnt(0)
	v_fmac_f32_e32 v19, v22, v23
.LBB13_202:
	s_or_b64 exec, exec, s[74:75]
	s_movk_i32 s12, 0xd0
	v_cmp_gt_u32_e64 s[12:13], s12, v9
	;; [unrolled: 11-line block ×10, first 2 shown]
	s_and_saveexec_b64 s[74:75], s[12:13]
	s_cbranch_execnz .LBB13_1118
; %bb.219:
	s_or_b64 exec, exec, s[74:75]
	s_and_saveexec_b64 s[12:13], s[14:15]
	s_cbranch_execnz .LBB13_1119
.LBB13_220:
	s_or_b64 exec, exec, s[12:13]
	v_cmp_gt_u32_e64 s[12:13], 48, v9
	s_and_saveexec_b64 s[74:75], s[12:13]
	s_cbranch_execnz .LBB13_1120
.LBB13_221:
	s_or_b64 exec, exec, s[74:75]
	v_cmp_gt_u32_e64 s[12:13], 32, v9
	s_and_saveexec_b64 s[74:75], s[12:13]
	s_cbranch_execnz .LBB13_1121
.LBB13_222:
	s_or_b64 exec, exec, s[74:75]
	v_cmp_gt_u32_e64 s[12:13], 16, v9
	s_and_saveexec_b64 s[74:75], s[12:13]
	s_cbranch_execz .LBB13_224
.LBB13_223:
	v_lshlrev_b32_e32 v20, 2, v0
	v_mov_b32_e32 v21, 0
	ds_read_b32 v20, v20 offset:16256
	ds_read_b32 v21, v21 offset:16380
	s_waitcnt lgkmcnt(0)
	v_fmac_f32_e32 v19, v20, v21
.LBB13_224:
	s_or_b64 exec, exec, s[74:75]
.LBB13_225:
	s_or_b64 exec, exec, s[16:17]
	v_mov_b32_e32 v20, 0x4000
	v_lshl_add_u32 v18, v18, 2, v20
	v_cmp_eq_u32_e64 s[12:13], 15, v16
	s_xor_b64 s[16:17], s[10:11], -1
	s_and_b64 s[12:13], s[12:13], s[16:17]
	s_mov_b64 s[10:11], exec
                                        ; implicit-def: $vgpr27 : SGPR spill to VGPR lane
	v_writelane_b32 v27, s12, 0
	v_writelane_b32 v27, s13, 1
	s_and_b64 s[12:13], s[10:11], s[12:13]
	s_mov_b64 exec, s[12:13]
; %bb.226:
	v_xor_b32_e32 v20, 0x80000000, v19
	ds_write_b32 v18, v20
; %bb.227:
	s_or_b64 exec, exec, s[10:11]
	v_cmp_ne_u32_e64 s[10:11], 15, v16
	s_waitcnt lgkmcnt(0)
	s_barrier
	s_and_b64 s[12:13], s[10:11], s[16:17]
	s_mov_b64 s[10:11], exec
	v_writelane_b32 v27, s12, 2
	v_writelane_b32 v27, s13, 3
	s_and_b64 s[12:13], s[10:11], s[12:13]
	s_mov_b64 exec, s[12:13]
	s_cbranch_execz .LBB13_229
; %bb.228:
	v_lshlrev_b32_e32 v20, 2, v16
	ds_read_b32 v20, v20 offset:12160
	ds_read_b32 v21, v18
	s_waitcnt lgkmcnt(0)
	v_fma_f32 v19, -v20, v21, v19
.LBB13_229:
	s_or_b64 exec, exec, s[10:11]
	v_cmp_eq_u32_e64 s[10:11], 14, v16
	s_barrier
	s_and_b64 s[12:13], s[10:11], s[16:17]
	s_mov_b64 s[10:11], exec
	v_writelane_b32 v27, s12, 4
	v_writelane_b32 v27, s13, 5
	s_and_b64 s[12:13], s[10:11], s[12:13]
	s_mov_b64 exec, s[12:13]
; %bb.230:
	v_xor_b32_e32 v20, 0x80000000, v19
	ds_write_b32 v18, v20
; %bb.231:
	s_or_b64 exec, exec, s[10:11]
	v_cmp_gt_u32_e64 s[10:11], 14, v16
	s_waitcnt lgkmcnt(0)
	s_barrier
	s_and_b64 s[12:13], s[10:11], s[16:17]
	s_mov_b64 s[10:11], exec
	v_writelane_b32 v27, s12, 6
	v_writelane_b32 v27, s13, 7
	s_and_b64 s[12:13], s[10:11], s[12:13]
	s_mov_b64 exec, s[12:13]
	s_cbranch_execz .LBB13_233
; %bb.232:
	v_lshlrev_b32_e32 v20, 2, v16
	ds_read_b32 v20, v20 offset:11904
	ds_read_b32 v21, v18
	s_waitcnt lgkmcnt(0)
	v_fma_f32 v19, -v20, v21, v19
.LBB13_233:
	s_or_b64 exec, exec, s[10:11]
	v_cmp_eq_u32_e64 s[10:11], 13, v16
	s_barrier
	s_and_b64 s[12:13], s[10:11], s[16:17]
	s_mov_b64 s[10:11], exec
	v_writelane_b32 v27, s12, 8
	v_writelane_b32 v27, s13, 9
	s_and_b64 s[12:13], s[10:11], s[12:13]
	s_mov_b64 exec, s[12:13]
; %bb.234:
	v_xor_b32_e32 v20, 0x80000000, v19
	ds_write_b32 v18, v20
; %bb.235:
	s_or_b64 exec, exec, s[10:11]
	v_cmp_gt_u32_e64 s[10:11], 13, v16
	s_waitcnt lgkmcnt(0)
	s_barrier
	s_and_b64 s[12:13], s[10:11], s[16:17]
	s_mov_b64 s[10:11], exec
	v_writelane_b32 v27, s12, 10
	v_writelane_b32 v27, s13, 11
	s_and_b64 s[12:13], s[10:11], s[12:13]
	s_mov_b64 exec, s[12:13]
	s_cbranch_execz .LBB13_237
; %bb.236:
	v_lshlrev_b32_e32 v20, 2, v16
	ds_read_b32 v20, v20 offset:11648
	ds_read_b32 v21, v18
	s_waitcnt lgkmcnt(0)
	v_fma_f32 v19, -v20, v21, v19
.LBB13_237:
	s_or_b64 exec, exec, s[10:11]
	v_cmp_eq_u32_e64 s[10:11], 12, v16
	s_barrier
	s_and_b64 s[12:13], s[10:11], s[16:17]
	s_mov_b64 s[10:11], exec
	v_writelane_b32 v27, s12, 12
	v_writelane_b32 v27, s13, 13
	s_and_b64 s[12:13], s[10:11], s[12:13]
	s_mov_b64 exec, s[12:13]
; %bb.238:
	v_xor_b32_e32 v20, 0x80000000, v19
	ds_write_b32 v18, v20
; %bb.239:
	s_or_b64 exec, exec, s[10:11]
	v_cmp_gt_u32_e64 s[10:11], 12, v16
	s_waitcnt lgkmcnt(0)
	s_barrier
	s_and_b64 s[12:13], s[10:11], s[16:17]
	s_mov_b64 s[10:11], exec
	v_writelane_b32 v27, s12, 14
	v_writelane_b32 v27, s13, 15
	s_and_b64 s[12:13], s[10:11], s[12:13]
	s_mov_b64 exec, s[12:13]
	s_cbranch_execz .LBB13_241
; %bb.240:
	v_lshlrev_b32_e32 v20, 2, v16
	ds_read_b32 v20, v20 offset:11392
	ds_read_b32 v21, v18
	s_waitcnt lgkmcnt(0)
	v_fma_f32 v19, -v20, v21, v19
.LBB13_241:
	s_or_b64 exec, exec, s[10:11]
	v_cmp_eq_u32_e64 s[10:11], 11, v16
	s_barrier
	s_and_b64 s[12:13], s[10:11], s[16:17]
	s_mov_b64 s[10:11], exec
	v_writelane_b32 v27, s12, 16
	v_writelane_b32 v27, s13, 17
	s_and_b64 s[12:13], s[10:11], s[12:13]
	s_mov_b64 exec, s[12:13]
; %bb.242:
	v_xor_b32_e32 v20, 0x80000000, v19
	ds_write_b32 v18, v20
; %bb.243:
	s_or_b64 exec, exec, s[10:11]
	v_cmp_gt_u32_e64 s[10:11], 11, v16
	s_waitcnt lgkmcnt(0)
	s_barrier
	s_and_b64 s[12:13], s[10:11], s[16:17]
	s_mov_b64 s[10:11], exec
	v_writelane_b32 v27, s12, 18
	v_writelane_b32 v27, s13, 19
	s_and_b64 s[12:13], s[10:11], s[12:13]
	s_mov_b64 exec, s[12:13]
	s_cbranch_execz .LBB13_245
; %bb.244:
	v_lshlrev_b32_e32 v20, 2, v16
	ds_read_b32 v20, v20 offset:11136
	ds_read_b32 v21, v18
	s_waitcnt lgkmcnt(0)
	v_fma_f32 v19, -v20, v21, v19
.LBB13_245:
	s_or_b64 exec, exec, s[10:11]
	v_cmp_eq_u32_e64 s[10:11], 10, v16
	s_barrier
	s_and_b64 s[12:13], s[10:11], s[16:17]
	s_mov_b64 s[10:11], exec
	v_writelane_b32 v27, s12, 20
	v_writelane_b32 v27, s13, 21
	s_and_b64 s[12:13], s[10:11], s[12:13]
	s_mov_b64 exec, s[12:13]
; %bb.246:
	v_xor_b32_e32 v20, 0x80000000, v19
	ds_write_b32 v18, v20
; %bb.247:
	s_or_b64 exec, exec, s[10:11]
	v_cmp_gt_u32_e64 s[10:11], 10, v16
	s_waitcnt lgkmcnt(0)
	s_barrier
	s_and_b64 s[12:13], s[10:11], s[16:17]
	s_mov_b64 s[10:11], exec
	v_writelane_b32 v27, s12, 22
	v_writelane_b32 v27, s13, 23
	s_and_b64 s[12:13], s[10:11], s[12:13]
	s_mov_b64 exec, s[12:13]
	s_cbranch_execz .LBB13_249
; %bb.248:
	v_lshlrev_b32_e32 v20, 2, v16
	ds_read_b32 v20, v20 offset:10880
	ds_read_b32 v21, v18
	s_waitcnt lgkmcnt(0)
	v_fma_f32 v19, -v20, v21, v19
.LBB13_249:
	s_or_b64 exec, exec, s[10:11]
	v_cmp_eq_u32_e64 s[10:11], 9, v16
	s_barrier
	s_and_b64 s[12:13], s[10:11], s[16:17]
	s_mov_b64 s[10:11], exec
	v_writelane_b32 v27, s12, 24
	v_writelane_b32 v27, s13, 25
	s_and_b64 s[12:13], s[10:11], s[12:13]
	s_mov_b64 exec, s[12:13]
; %bb.250:
	v_xor_b32_e32 v20, 0x80000000, v19
	ds_write_b32 v18, v20
; %bb.251:
	s_or_b64 exec, exec, s[10:11]
	v_cmp_gt_u32_e64 s[10:11], 9, v16
	s_waitcnt lgkmcnt(0)
	s_barrier
	s_and_b64 s[12:13], s[10:11], s[16:17]
	s_mov_b64 s[10:11], exec
	v_writelane_b32 v27, s12, 26
	v_writelane_b32 v27, s13, 27
	s_and_b64 s[12:13], s[10:11], s[12:13]
	s_mov_b64 exec, s[12:13]
	s_cbranch_execz .LBB13_253
; %bb.252:
	v_lshlrev_b32_e32 v20, 2, v16
	ds_read_b32 v20, v20 offset:10624
	ds_read_b32 v21, v18
	s_waitcnt lgkmcnt(0)
	v_fma_f32 v19, -v20, v21, v19
.LBB13_253:
	s_or_b64 exec, exec, s[10:11]
	v_cmp_eq_u32_e64 s[10:11], 8, v16
	s_barrier
	s_and_b64 s[12:13], s[10:11], s[16:17]
	s_mov_b64 s[10:11], exec
	v_writelane_b32 v27, s12, 28
	v_writelane_b32 v27, s13, 29
	s_and_b64 s[12:13], s[10:11], s[12:13]
	s_mov_b64 exec, s[12:13]
; %bb.254:
	v_xor_b32_e32 v20, 0x80000000, v19
	ds_write_b32 v18, v20
; %bb.255:
	s_or_b64 exec, exec, s[10:11]
	v_cmp_gt_u32_e64 s[10:11], 8, v16
	s_waitcnt lgkmcnt(0)
	s_barrier
	s_and_b64 s[12:13], s[10:11], s[16:17]
	s_mov_b64 s[10:11], exec
	v_writelane_b32 v27, s12, 30
	v_writelane_b32 v27, s13, 31
	s_and_b64 s[12:13], s[10:11], s[12:13]
	s_mov_b64 exec, s[12:13]
	s_cbranch_execz .LBB13_257
; %bb.256:
	v_lshlrev_b32_e32 v20, 2, v16
	ds_read_b32 v20, v20 offset:10368
	ds_read_b32 v21, v18
	s_waitcnt lgkmcnt(0)
	v_fma_f32 v19, -v20, v21, v19
.LBB13_257:
	s_or_b64 exec, exec, s[10:11]
	v_cmp_eq_u32_e64 s[10:11], 7, v16
	s_barrier
	s_and_b64 s[12:13], s[10:11], s[16:17]
	s_mov_b64 s[10:11], exec
	v_writelane_b32 v27, s12, 32
	v_writelane_b32 v27, s13, 33
	s_and_b64 s[12:13], s[10:11], s[12:13]
	s_mov_b64 exec, s[12:13]
; %bb.258:
	v_xor_b32_e32 v20, 0x80000000, v19
	ds_write_b32 v18, v20
; %bb.259:
	s_or_b64 exec, exec, s[10:11]
	v_cmp_gt_u32_e64 s[10:11], 7, v16
	s_waitcnt lgkmcnt(0)
	s_barrier
	s_and_b64 s[12:13], s[10:11], s[16:17]
	s_mov_b64 s[10:11], exec
	v_writelane_b32 v27, s12, 34
	v_writelane_b32 v27, s13, 35
	s_and_b64 s[12:13], s[10:11], s[12:13]
	s_mov_b64 exec, s[12:13]
	s_cbranch_execz .LBB13_261
; %bb.260:
	v_lshlrev_b32_e32 v20, 2, v16
	ds_read_b32 v20, v20 offset:10112
	ds_read_b32 v21, v18
	s_waitcnt lgkmcnt(0)
	v_fma_f32 v19, -v20, v21, v19
.LBB13_261:
	s_or_b64 exec, exec, s[10:11]
	v_cmp_eq_u32_e64 s[10:11], 6, v16
	s_barrier
	s_and_b64 s[12:13], s[10:11], s[16:17]
	s_mov_b64 s[10:11], exec
	v_writelane_b32 v27, s12, 36
	v_writelane_b32 v27, s13, 37
	s_and_b64 s[12:13], s[10:11], s[12:13]
	s_mov_b64 exec, s[12:13]
; %bb.262:
	v_xor_b32_e32 v20, 0x80000000, v19
	ds_write_b32 v18, v20
; %bb.263:
	s_or_b64 exec, exec, s[10:11]
	v_cmp_gt_u32_e64 s[10:11], 6, v16
	s_waitcnt lgkmcnt(0)
	s_barrier
	s_and_b64 s[12:13], s[10:11], s[16:17]
	s_mov_b64 s[10:11], exec
	v_writelane_b32 v27, s12, 38
	v_writelane_b32 v27, s13, 39
	s_and_b64 s[12:13], s[10:11], s[12:13]
	s_mov_b64 exec, s[12:13]
	s_cbranch_execz .LBB13_265
; %bb.264:
	v_lshlrev_b32_e32 v20, 2, v16
	ds_read_b32 v20, v20 offset:9856
	ds_read_b32 v21, v18
	s_waitcnt lgkmcnt(0)
	v_fma_f32 v19, -v20, v21, v19
.LBB13_265:
	s_or_b64 exec, exec, s[10:11]
	v_cmp_eq_u32_e64 s[10:11], 5, v16
	s_barrier
	s_and_b64 s[12:13], s[10:11], s[16:17]
	s_mov_b64 s[10:11], exec
	v_writelane_b32 v27, s12, 40
	v_writelane_b32 v27, s13, 41
	s_and_b64 s[12:13], s[10:11], s[12:13]
	s_mov_b64 exec, s[12:13]
; %bb.266:
	v_xor_b32_e32 v20, 0x80000000, v19
	ds_write_b32 v18, v20
; %bb.267:
	s_or_b64 exec, exec, s[10:11]
	v_cmp_gt_u32_e64 s[10:11], 5, v16
	s_waitcnt lgkmcnt(0)
	s_barrier
	s_and_b64 s[12:13], s[10:11], s[16:17]
	s_mov_b64 s[10:11], exec
	v_writelane_b32 v27, s12, 42
	v_writelane_b32 v27, s13, 43
	s_and_b64 s[12:13], s[10:11], s[12:13]
	s_mov_b64 exec, s[12:13]
	s_cbranch_execz .LBB13_269
; %bb.268:
	v_lshlrev_b32_e32 v20, 2, v16
	ds_read_b32 v20, v20 offset:9600
	ds_read_b32 v21, v18
	s_waitcnt lgkmcnt(0)
	v_fma_f32 v19, -v20, v21, v19
.LBB13_269:
	s_or_b64 exec, exec, s[10:11]
	v_cmp_eq_u32_e64 s[10:11], 4, v16
	s_barrier
	s_and_b64 s[12:13], s[10:11], s[16:17]
	s_mov_b64 s[10:11], exec
	v_writelane_b32 v27, s12, 44
	v_writelane_b32 v27, s13, 45
	s_and_b64 s[12:13], s[10:11], s[12:13]
	s_mov_b64 exec, s[12:13]
; %bb.270:
	v_xor_b32_e32 v20, 0x80000000, v19
	ds_write_b32 v18, v20
; %bb.271:
	s_or_b64 exec, exec, s[10:11]
	v_cmp_gt_u32_e64 s[10:11], 4, v16
	s_and_b64 s[74:75], s[10:11], s[16:17]
	s_waitcnt lgkmcnt(0)
	s_barrier
	s_and_saveexec_b64 s[10:11], s[74:75]
	s_cbranch_execz .LBB13_273
; %bb.272:
	v_lshlrev_b32_e32 v20, 2, v16
	ds_read_b32 v20, v20 offset:9344
	ds_read_b32 v21, v18
	s_waitcnt lgkmcnt(0)
	v_fma_f32 v19, -v20, v21, v19
.LBB13_273:
	s_or_b64 exec, exec, s[10:11]
	v_cmp_eq_u32_e64 s[10:11], 3, v16
	s_and_b64 s[80:81], s[10:11], s[16:17]
	s_barrier
	s_and_saveexec_b64 s[10:11], s[80:81]
; %bb.274:
	v_xor_b32_e32 v20, 0x80000000, v19
	ds_write_b32 v18, v20
; %bb.275:
	s_or_b64 exec, exec, s[10:11]
	v_cmp_gt_u32_e64 s[10:11], 3, v16
	s_and_b64 s[82:83], s[10:11], s[16:17]
	s_waitcnt lgkmcnt(0)
	s_barrier
	s_and_saveexec_b64 s[10:11], s[82:83]
	s_cbranch_execz .LBB13_277
; %bb.276:
	v_lshlrev_b32_e32 v20, 2, v16
	ds_read_b32 v20, v20 offset:9088
	ds_read_b32 v21, v18
	s_waitcnt lgkmcnt(0)
	v_fma_f32 v19, -v20, v21, v19
.LBB13_277:
	s_or_b64 exec, exec, s[10:11]
	v_cmp_eq_u32_e64 s[10:11], 2, v16
	s_and_b64 s[84:85], s[10:11], s[16:17]
	s_barrier
	s_and_saveexec_b64 s[10:11], s[84:85]
; %bb.278:
	v_xor_b32_e32 v20, 0x80000000, v19
	ds_write_b32 v18, v20
; %bb.279:
	s_or_b64 exec, exec, s[10:11]
	v_cmp_gt_u32_e64 s[10:11], 2, v16
	s_and_b64 s[86:87], s[10:11], s[16:17]
	s_waitcnt lgkmcnt(0)
	s_barrier
	s_and_saveexec_b64 s[10:11], s[86:87]
	s_cbranch_execz .LBB13_281
; %bb.280:
	v_lshlrev_b32_e32 v20, 2, v16
	ds_read_b32 v20, v20 offset:8832
	ds_read_b32 v21, v18
	s_waitcnt lgkmcnt(0)
	v_fma_f32 v19, -v20, v21, v19
.LBB13_281:
	s_or_b64 exec, exec, s[10:11]
	v_cmp_eq_u32_e64 s[10:11], 1, v16
	s_and_b64 s[88:89], s[10:11], s[16:17]
	s_barrier
	s_and_saveexec_b64 s[10:11], s[88:89]
; %bb.282:
	v_xor_b32_e32 v20, 0x80000000, v19
	ds_write_b32 v18, v20
; %bb.283:
	s_or_b64 exec, exec, s[10:11]
	v_cmp_eq_u32_e64 s[10:11], 0, v16
	s_and_b64 s[94:95], s[10:11], s[16:17]
	s_waitcnt lgkmcnt(0)
	s_barrier
	s_and_saveexec_b64 s[10:11], s[94:95]
	s_cbranch_execz .LBB13_285
; %bb.284:
	v_mov_b32_e32 v20, 0
	ds_read_b32 v20, v20 offset:8576
	ds_read_b32 v21, v18
	s_waitcnt lgkmcnt(0)
	v_fma_f32 v19, -v20, v21, v19
.LBB13_285:
	s_or_b64 exec, exec, s[10:11]
	s_barrier
	s_and_saveexec_b64 s[10:11], s[94:95]
; %bb.286:
	v_xor_b32_e32 v20, 0x80000000, v19
	ds_write_b32 v18, v20
; %bb.287:
	s_or_b64 exec, exec, s[10:11]
	s_waitcnt lgkmcnt(0)
	s_barrier
	s_barrier
	s_and_saveexec_b64 s[10:11], s[8:9]
; %bb.288:
	v_lshlrev_b32_e32 v20, 2, v16
	v_lshl_or_b32 v20, v17, 8, v20
	ds_write_b32 v20, v19 offset:12416
; %bb.289:
	s_or_b64 exec, exec, s[10:11]
	s_waitcnt lgkmcnt(0)
	s_barrier
	s_barrier
	s_and_saveexec_b64 s[10:11], vcc
; %bb.290:
	s_movk_i32 s12, 0x2c00
	v_mov_b32_e32 v19, 1.0
	v_add_u32_e64 v20, s12, 0
	ds_write2_b32 v20, v19, v19 offset0:174 offset1:239
; %bb.291:
	s_or_b64 exec, exec, s[10:11]
	v_mov_b32_e32 v19, 0
	s_waitcnt lgkmcnt(0)
	s_barrier
	buffer_wbinvl1_vol
	s_and_saveexec_b64 s[12:13], s[0:1]
	s_cbranch_execz .LBB13_295
; %bb.292:
	v_lshlrev_b32_e32 v19, 8, v3
	v_lshlrev_b32_e32 v20, 2, v2
	ds_read_b32 v21, v20 offset:11952
	ds_read_b32 v19, v19 offset:11960
	v_mov_b32_e32 v20, 0
	v_cmp_gt_u32_e64 s[10:11], 2, v9
	s_waitcnt lgkmcnt(0)
	v_fma_f32 v19, v21, v19, 0
	s_and_saveexec_b64 s[16:17], s[10:11]
	s_cbranch_execz .LBB13_294
; %bb.293:
	v_lshlrev_b32_e32 v21, 2, v0
	ds_read_b32 v21, v21 offset:12208
	ds_read_b32 v20, v20 offset:12220
	s_waitcnt lgkmcnt(0)
	v_fmac_f32_e32 v19, v21, v20
.LBB13_294:
	s_or_b64 exec, exec, s[16:17]
.LBB13_295:
	s_or_b64 exec, exec, s[12:13]
	s_and_saveexec_b64 s[10:11], s[30:31]
; %bb.296:
	v_xor_b32_e32 v20, 0x80000000, v19
	ds_write_b32 v8, v20
; %bb.297:
	s_or_b64 exec, exec, s[10:11]
	s_waitcnt lgkmcnt(0)
	s_barrier
	s_and_saveexec_b64 s[10:11], s[28:29]
	s_cbranch_execz .LBB13_299
; %bb.298:
	v_mov_b32_e32 v20, 0
	ds_read_b32 v20, v20 offset:11696
	ds_read_b32 v21, v8
	s_waitcnt lgkmcnt(0)
	v_fma_f32 v19, -v20, v21, v19
.LBB13_299:
	s_or_b64 exec, exec, s[10:11]
	s_barrier
	s_and_saveexec_b64 s[10:11], s[28:29]
; %bb.300:
	v_xor_b32_e32 v20, 0x80000000, v19
	ds_write_b32 v8, v20
; %bb.301:
	s_or_b64 exec, exec, s[10:11]
	s_waitcnt lgkmcnt(0)
	s_barrier
	s_barrier
	s_and_saveexec_b64 s[10:11], s[0:1]
; %bb.302:
	v_lshlrev_b32_e32 v20, 2, v2
	v_lshl_or_b32 v20, v3, 8, v20
	ds_write_b32 v20, v19 offset:11952
; %bb.303:
	s_or_b64 exec, exec, s[10:11]
	s_waitcnt lgkmcnt(0)
	s_barrier
	s_barrier
	s_and_saveexec_b64 s[10:11], vcc
; %bb.304:
	s_movk_i32 s12, 0x2c00
	v_mov_b32_e32 v19, 1.0
	v_add_u32_e64 v20, s12, 0
	ds_write2_b32 v20, v19, v19 offset0:44 offset1:109
; %bb.305:
	s_or_b64 exec, exec, s[10:11]
	v_mov_b32_e32 v19, 0
	s_waitcnt lgkmcnt(0)
	s_barrier
	buffer_wbinvl1_vol
	s_and_saveexec_b64 s[12:13], s[2:3]
	s_cbranch_execz .LBB13_311
; %bb.306:
	v_lshlrev_b32_e32 v21, 2, v10
	v_lshlrev_b32_e32 v20, 8, v11
	ds_read_b32 v19, v21 offset:11424
	ds_read_b32 v22, v20 offset:11440
	v_cmp_gt_u32_e64 s[10:11], 12, v9
	s_waitcnt lgkmcnt(0)
	v_fma_f32 v19, v19, v22, 0
	s_and_saveexec_b64 s[16:17], s[10:11]
	s_cbranch_execnz .LBB13_1122
; %bb.307:
	s_or_b64 exec, exec, s[16:17]
	v_cmp_gt_u32_e64 s[10:11], 8, v9
	s_and_saveexec_b64 s[16:17], s[10:11]
	s_cbranch_execnz .LBB13_1123
.LBB13_308:
	s_or_b64 exec, exec, s[16:17]
	v_cmp_gt_u32_e64 s[10:11], 4, v9
	s_and_saveexec_b64 s[16:17], s[10:11]
	s_cbranch_execz .LBB13_310
.LBB13_309:
	v_lshlrev_b32_e32 v20, 2, v0
	v_mov_b32_e32 v21, 0
	ds_read_b32 v20, v20 offset:12192
	ds_read_b32 v21, v21 offset:12220
	s_waitcnt lgkmcnt(0)
	v_fmac_f32_e32 v19, v20, v21
.LBB13_310:
	s_or_b64 exec, exec, s[16:17]
.LBB13_311:
	s_or_b64 exec, exec, s[12:13]
	s_and_saveexec_b64 s[10:11], s[36:37]
; %bb.312:
	v_xor_b32_e32 v20, 0x80000000, v19
	ds_write_b32 v12, v20
; %bb.313:
	s_or_b64 exec, exec, s[10:11]
	s_waitcnt lgkmcnt(0)
	s_barrier
	s_and_saveexec_b64 s[10:11], s[38:39]
	s_cbranch_execz .LBB13_315
; %bb.314:
	v_lshlrev_b32_e32 v20, 2, v10
	ds_read_b32 v20, v20 offset:11168
	ds_read_b32 v21, v12
	s_waitcnt lgkmcnt(0)
	v_fma_f32 v19, -v20, v21, v19
.LBB13_315:
	s_or_b64 exec, exec, s[10:11]
	s_barrier
	s_and_saveexec_b64 s[10:11], s[40:41]
; %bb.316:
	v_xor_b32_e32 v20, 0x80000000, v19
	ds_write_b32 v12, v20
; %bb.317:
	s_or_b64 exec, exec, s[10:11]
	s_waitcnt lgkmcnt(0)
	s_barrier
	s_and_saveexec_b64 s[10:11], s[42:43]
	s_cbranch_execz .LBB13_319
; %bb.318:
	v_lshlrev_b32_e32 v20, 2, v10
	ds_read_b32 v20, v20 offset:10912
	ds_read_b32 v21, v12
	s_waitcnt lgkmcnt(0)
	v_fma_f32 v19, -v20, v21, v19
.LBB13_319:
	s_or_b64 exec, exec, s[10:11]
	s_barrier
	s_and_saveexec_b64 s[10:11], s[44:45]
; %bb.320:
	v_xor_b32_e32 v20, 0x80000000, v19
	ds_write_b32 v12, v20
; %bb.321:
	s_or_b64 exec, exec, s[10:11]
	s_waitcnt lgkmcnt(0)
	s_barrier
	s_and_saveexec_b64 s[10:11], s[34:35]
	s_cbranch_execz .LBB13_323
; %bb.322:
	v_mov_b32_e32 v20, 0
	ds_read_b32 v20, v20 offset:10656
	ds_read_b32 v21, v12
	s_waitcnt lgkmcnt(0)
	v_fma_f32 v19, -v20, v21, v19
.LBB13_323:
	s_or_b64 exec, exec, s[10:11]
	s_barrier
	s_and_saveexec_b64 s[10:11], s[34:35]
; %bb.324:
	v_xor_b32_e32 v20, 0x80000000, v19
	ds_write_b32 v12, v20
; %bb.325:
	s_or_b64 exec, exec, s[10:11]
	s_waitcnt lgkmcnt(0)
	s_barrier
	s_barrier
	s_and_saveexec_b64 s[10:11], s[2:3]
; %bb.326:
	v_lshlrev_b32_e32 v20, 2, v10
	v_lshl_or_b32 v20, v11, 8, v20
	ds_write_b32 v20, v19 offset:11424
; %bb.327:
	s_or_b64 exec, exec, s[10:11]
	s_waitcnt lgkmcnt(0)
	s_barrier
	s_barrier
	s_and_saveexec_b64 s[10:11], vcc
; %bb.328:
	s_movk_i32 s12, 0x2800
	v_mov_b32_e32 v19, 1.0
	v_add_u32_e64 v20, s12, 0
	ds_write2_b32 v20, v19, v19 offset0:170 offset1:235
; %bb.329:
	s_or_b64 exec, exec, s[10:11]
	v_mov_b32_e32 v19, 0
	s_waitcnt lgkmcnt(0)
	s_barrier
	buffer_wbinvl1_vol
	s_and_saveexec_b64 s[12:13], s[0:1]
	s_cbranch_execz .LBB13_333
; %bb.330:
	v_lshlrev_b32_e32 v19, 8, v3
	v_lshlrev_b32_e32 v20, 2, v2
	ds_read_b32 v21, v20 offset:10912
	ds_read_b32 v19, v19 offset:10920
	v_mov_b32_e32 v20, 0
	v_cmp_gt_u32_e64 s[10:11], 2, v9
	s_waitcnt lgkmcnt(0)
	v_fma_f32 v19, v21, v19, 0
	s_and_saveexec_b64 s[16:17], s[10:11]
	s_cbranch_execz .LBB13_332
; %bb.331:
	v_lshlrev_b32_e32 v21, 2, v0
	ds_read_b32 v21, v21 offset:11168
	ds_read_b32 v20, v20 offset:11180
	s_waitcnt lgkmcnt(0)
	v_fmac_f32_e32 v19, v21, v20
.LBB13_332:
	s_or_b64 exec, exec, s[16:17]
.LBB13_333:
	s_or_b64 exec, exec, s[12:13]
	s_and_saveexec_b64 s[10:11], s[30:31]
; %bb.334:
	v_xor_b32_e32 v20, 0x80000000, v19
	ds_write_b32 v8, v20
; %bb.335:
	s_or_b64 exec, exec, s[10:11]
	s_waitcnt lgkmcnt(0)
	s_barrier
	s_and_saveexec_b64 s[10:11], s[28:29]
	s_cbranch_execz .LBB13_337
; %bb.336:
	v_mov_b32_e32 v20, 0
	ds_read_b32 v20, v20 offset:10656
	ds_read_b32 v21, v8
	s_waitcnt lgkmcnt(0)
	v_fma_f32 v19, -v20, v21, v19
.LBB13_337:
	s_or_b64 exec, exec, s[10:11]
	s_barrier
	s_and_saveexec_b64 s[10:11], s[28:29]
; %bb.338:
	v_xor_b32_e32 v20, 0x80000000, v19
	ds_write_b32 v8, v20
; %bb.339:
	s_or_b64 exec, exec, s[10:11]
	s_waitcnt lgkmcnt(0)
	s_barrier
	s_barrier
	s_and_saveexec_b64 s[10:11], s[0:1]
; %bb.340:
	v_lshlrev_b32_e32 v20, 2, v2
	v_lshl_or_b32 v20, v3, 8, v20
	ds_write_b32 v20, v19 offset:10912
; %bb.341:
	s_or_b64 exec, exec, s[10:11]
	s_waitcnt lgkmcnt(0)
	s_barrier
	s_barrier
	s_and_saveexec_b64 s[10:11], vcc
; %bb.342:
	s_movk_i32 s12, 0x2800
	v_mov_b32_e32 v19, 1.0
	v_add_u32_e64 v20, s12, 0
	ds_write2_b32 v20, v19, v19 offset0:40 offset1:105
; %bb.343:
	s_or_b64 exec, exec, s[10:11]
	v_mov_b32_e32 v19, 0
	s_waitcnt lgkmcnt(0)
	s_barrier
	buffer_wbinvl1_vol
	s_and_saveexec_b64 s[12:13], s[14:15]
	s_cbranch_execz .LBB13_353
; %bb.344:
	v_lshlrev_b32_e32 v21, 2, v13
	v_lshlrev_b32_e32 v20, 8, v14
	ds_read_b32 v19, v21 offset:10368
	ds_read_b32 v22, v20 offset:10400
	v_cmp_gt_u32_e64 s[10:11], 56, v9
	s_waitcnt lgkmcnt(0)
	v_fma_f32 v19, v19, v22, 0
	s_and_saveexec_b64 s[16:17], s[10:11]
	s_cbranch_execnz .LBB13_1124
; %bb.345:
	s_or_b64 exec, exec, s[16:17]
	v_cmp_gt_u32_e64 s[10:11], 48, v9
	s_and_saveexec_b64 s[16:17], s[10:11]
	s_cbranch_execnz .LBB13_1125
.LBB13_346:
	s_or_b64 exec, exec, s[16:17]
	v_cmp_gt_u32_e64 s[10:11], 40, v9
	s_and_saveexec_b64 s[16:17], s[10:11]
	s_cbranch_execnz .LBB13_1126
.LBB13_347:
	s_or_b64 exec, exec, s[16:17]
	v_cmp_gt_u32_e64 s[10:11], 32, v9
	s_and_saveexec_b64 s[16:17], s[10:11]
	s_cbranch_execnz .LBB13_1127
.LBB13_348:
	s_or_b64 exec, exec, s[16:17]
	v_cmp_gt_u32_e64 s[10:11], 24, v9
	s_and_saveexec_b64 s[16:17], s[10:11]
	s_cbranch_execnz .LBB13_1128
.LBB13_349:
	s_or_b64 exec, exec, s[16:17]
	s_and_saveexec_b64 s[10:11], s[2:3]
	s_cbranch_execnz .LBB13_1129
.LBB13_350:
	s_or_b64 exec, exec, s[10:11]
	v_cmp_gt_u32_e64 s[10:11], 8, v9
	s_and_saveexec_b64 s[16:17], s[10:11]
	s_cbranch_execz .LBB13_352
.LBB13_351:
	v_lshlrev_b32_e32 v20, 2, v0
	v_mov_b32_e32 v21, 0
	ds_read_b32 v20, v20 offset:12160
	ds_read_b32 v21, v21 offset:12220
	s_waitcnt lgkmcnt(0)
	v_fmac_f32_e32 v19, v20, v21
.LBB13_352:
	s_or_b64 exec, exec, s[16:17]
.LBB13_353:
	s_or_b64 exec, exec, s[12:13]
	s_and_saveexec_b64 s[10:11], s[46:47]
; %bb.354:
	v_xor_b32_e32 v20, 0x80000000, v19
	ds_write_b32 v15, v20
; %bb.355:
	s_or_b64 exec, exec, s[10:11]
	s_waitcnt lgkmcnt(0)
	s_barrier
	s_and_saveexec_b64 s[10:11], s[48:49]
	s_cbranch_execz .LBB13_357
; %bb.356:
	v_lshlrev_b32_e32 v20, 2, v13
	ds_read_b32 v20, v20 offset:10112
	ds_read_b32 v21, v15
	s_waitcnt lgkmcnt(0)
	v_fma_f32 v19, -v20, v21, v19
.LBB13_357:
	s_or_b64 exec, exec, s[10:11]
	s_barrier
	s_and_saveexec_b64 s[10:11], s[50:51]
; %bb.358:
	v_xor_b32_e32 v20, 0x80000000, v19
	ds_write_b32 v15, v20
; %bb.359:
	s_or_b64 exec, exec, s[10:11]
	s_waitcnt lgkmcnt(0)
	s_barrier
	s_and_saveexec_b64 s[10:11], s[52:53]
	s_cbranch_execz .LBB13_361
; %bb.360:
	v_lshlrev_b32_e32 v20, 2, v13
	ds_read_b32 v20, v20 offset:9856
	ds_read_b32 v21, v15
	s_waitcnt lgkmcnt(0)
	v_fma_f32 v19, -v20, v21, v19
.LBB13_361:
	s_or_b64 exec, exec, s[10:11]
	s_barrier
	;; [unrolled: 19-line block ×6, first 2 shown]
	s_and_saveexec_b64 s[10:11], s[72:73]
; %bb.378:
	v_xor_b32_e32 v20, 0x80000000, v19
	ds_write_b32 v15, v20
; %bb.379:
	s_or_b64 exec, exec, s[10:11]
	s_waitcnt lgkmcnt(0)
	s_barrier
	s_and_saveexec_b64 s[10:11], s[56:57]
	s_cbranch_execz .LBB13_381
; %bb.380:
	v_mov_b32_e32 v20, 0
	ds_read_b32 v20, v20 offset:8576
	ds_read_b32 v21, v15
	s_waitcnt lgkmcnt(0)
	v_fma_f32 v19, -v20, v21, v19
.LBB13_381:
	s_or_b64 exec, exec, s[10:11]
	s_barrier
	s_and_saveexec_b64 s[10:11], s[56:57]
; %bb.382:
	v_xor_b32_e32 v20, 0x80000000, v19
	ds_write_b32 v15, v20
; %bb.383:
	s_or_b64 exec, exec, s[10:11]
	s_waitcnt lgkmcnt(0)
	s_barrier
	s_barrier
	s_and_saveexec_b64 s[10:11], s[14:15]
; %bb.384:
	v_lshlrev_b32_e32 v20, 2, v13
	v_lshl_or_b32 v20, v14, 8, v20
	ds_write_b32 v20, v19 offset:10368
; %bb.385:
	s_or_b64 exec, exec, s[10:11]
	s_waitcnt lgkmcnt(0)
	s_barrier
	s_barrier
	s_and_saveexec_b64 s[10:11], vcc
; %bb.386:
	s_movk_i32 s12, 0x2400
	v_mov_b32_e32 v19, 1.0
	v_add_u32_e64 v20, s12, 0
	ds_write2_b32 v20, v19, v19 offset0:166 offset1:231
; %bb.387:
	s_or_b64 exec, exec, s[10:11]
	v_mov_b32_e32 v19, 0
	s_waitcnt lgkmcnt(0)
	s_barrier
	buffer_wbinvl1_vol
	s_and_saveexec_b64 s[12:13], s[0:1]
	s_cbranch_execz .LBB13_391
; %bb.388:
	v_lshlrev_b32_e32 v19, 8, v3
	v_lshlrev_b32_e32 v20, 2, v2
	ds_read_b32 v21, v20 offset:9872
	ds_read_b32 v19, v19 offset:9880
	v_mov_b32_e32 v20, 0
	v_cmp_gt_u32_e64 s[10:11], 2, v9
	s_waitcnt lgkmcnt(0)
	v_fma_f32 v19, v21, v19, 0
	s_and_saveexec_b64 s[16:17], s[10:11]
	s_cbranch_execz .LBB13_390
; %bb.389:
	v_lshlrev_b32_e32 v21, 2, v0
	ds_read_b32 v21, v21 offset:10128
	ds_read_b32 v20, v20 offset:10140
	s_waitcnt lgkmcnt(0)
	v_fmac_f32_e32 v19, v21, v20
.LBB13_390:
	s_or_b64 exec, exec, s[16:17]
.LBB13_391:
	s_or_b64 exec, exec, s[12:13]
	s_and_saveexec_b64 s[10:11], s[30:31]
; %bb.392:
	v_xor_b32_e32 v20, 0x80000000, v19
	ds_write_b32 v8, v20
; %bb.393:
	s_or_b64 exec, exec, s[10:11]
	s_waitcnt lgkmcnt(0)
	s_barrier
	s_and_saveexec_b64 s[10:11], s[28:29]
	s_cbranch_execz .LBB13_395
; %bb.394:
	v_mov_b32_e32 v20, 0
	ds_read_b32 v20, v20 offset:9616
	ds_read_b32 v21, v8
	s_waitcnt lgkmcnt(0)
	v_fma_f32 v19, -v20, v21, v19
.LBB13_395:
	s_or_b64 exec, exec, s[10:11]
	s_barrier
	s_and_saveexec_b64 s[10:11], s[28:29]
; %bb.396:
	v_xor_b32_e32 v20, 0x80000000, v19
	ds_write_b32 v8, v20
; %bb.397:
	s_or_b64 exec, exec, s[10:11]
	s_waitcnt lgkmcnt(0)
	s_barrier
	s_barrier
	s_and_saveexec_b64 s[10:11], s[0:1]
; %bb.398:
	v_lshlrev_b32_e32 v20, 2, v2
	v_lshl_or_b32 v20, v3, 8, v20
	ds_write_b32 v20, v19 offset:9872
; %bb.399:
	s_or_b64 exec, exec, s[10:11]
	s_waitcnt lgkmcnt(0)
	s_barrier
	s_barrier
	s_and_saveexec_b64 s[10:11], vcc
; %bb.400:
	s_movk_i32 s12, 0x2400
	v_mov_b32_e32 v19, 1.0
	v_add_u32_e64 v20, s12, 0
	ds_write2_b32 v20, v19, v19 offset0:36 offset1:101
; %bb.401:
	s_or_b64 exec, exec, s[10:11]
	v_mov_b32_e32 v19, 0
	s_waitcnt lgkmcnt(0)
	s_barrier
	buffer_wbinvl1_vol
	s_and_saveexec_b64 s[12:13], s[2:3]
	s_cbranch_execz .LBB13_407
; %bb.402:
	v_lshlrev_b32_e32 v21, 2, v10
	v_lshlrev_b32_e32 v20, 8, v11
	ds_read_b32 v19, v21 offset:9344
	ds_read_b32 v22, v20 offset:9360
	v_cmp_gt_u32_e64 s[10:11], 12, v9
	s_waitcnt lgkmcnt(0)
	v_fma_f32 v19, v19, v22, 0
	s_and_saveexec_b64 s[16:17], s[10:11]
	s_cbranch_execnz .LBB13_1130
; %bb.403:
	s_or_b64 exec, exec, s[16:17]
	v_cmp_gt_u32_e64 s[10:11], 8, v9
	s_and_saveexec_b64 s[16:17], s[10:11]
	s_cbranch_execnz .LBB13_1131
.LBB13_404:
	s_or_b64 exec, exec, s[16:17]
	v_cmp_gt_u32_e64 s[10:11], 4, v9
	s_and_saveexec_b64 s[16:17], s[10:11]
	s_cbranch_execz .LBB13_406
.LBB13_405:
	v_lshlrev_b32_e32 v20, 2, v0
	v_mov_b32_e32 v21, 0
	ds_read_b32 v20, v20 offset:10112
	ds_read_b32 v21, v21 offset:10140
	s_waitcnt lgkmcnt(0)
	v_fmac_f32_e32 v19, v20, v21
.LBB13_406:
	s_or_b64 exec, exec, s[16:17]
.LBB13_407:
	s_or_b64 exec, exec, s[12:13]
	s_and_saveexec_b64 s[10:11], s[36:37]
; %bb.408:
	v_xor_b32_e32 v20, 0x80000000, v19
	ds_write_b32 v12, v20
; %bb.409:
	s_or_b64 exec, exec, s[10:11]
	s_waitcnt lgkmcnt(0)
	s_barrier
	s_and_saveexec_b64 s[10:11], s[38:39]
	s_cbranch_execz .LBB13_411
; %bb.410:
	v_lshlrev_b32_e32 v20, 2, v10
	ds_read_b32 v20, v20 offset:9088
	ds_read_b32 v21, v12
	s_waitcnt lgkmcnt(0)
	v_fma_f32 v19, -v20, v21, v19
.LBB13_411:
	s_or_b64 exec, exec, s[10:11]
	s_barrier
	s_and_saveexec_b64 s[10:11], s[40:41]
; %bb.412:
	v_xor_b32_e32 v20, 0x80000000, v19
	ds_write_b32 v12, v20
; %bb.413:
	s_or_b64 exec, exec, s[10:11]
	s_waitcnt lgkmcnt(0)
	s_barrier
	s_and_saveexec_b64 s[10:11], s[42:43]
	s_cbranch_execz .LBB13_415
; %bb.414:
	v_lshlrev_b32_e32 v20, 2, v10
	ds_read_b32 v20, v20 offset:8832
	ds_read_b32 v21, v12
	s_waitcnt lgkmcnt(0)
	v_fma_f32 v19, -v20, v21, v19
.LBB13_415:
	s_or_b64 exec, exec, s[10:11]
	s_barrier
	s_and_saveexec_b64 s[10:11], s[44:45]
; %bb.416:
	v_xor_b32_e32 v20, 0x80000000, v19
	ds_write_b32 v12, v20
; %bb.417:
	s_or_b64 exec, exec, s[10:11]
	s_waitcnt lgkmcnt(0)
	s_barrier
	s_and_saveexec_b64 s[10:11], s[34:35]
	s_cbranch_execz .LBB13_419
; %bb.418:
	v_mov_b32_e32 v20, 0
	ds_read_b32 v20, v20 offset:8576
	ds_read_b32 v21, v12
	s_waitcnt lgkmcnt(0)
	v_fma_f32 v19, -v20, v21, v19
.LBB13_419:
	s_or_b64 exec, exec, s[10:11]
	s_barrier
	s_and_saveexec_b64 s[10:11], s[34:35]
; %bb.420:
	v_xor_b32_e32 v20, 0x80000000, v19
	ds_write_b32 v12, v20
; %bb.421:
	s_or_b64 exec, exec, s[10:11]
	s_waitcnt lgkmcnt(0)
	s_barrier
	s_barrier
	s_and_saveexec_b64 s[10:11], s[2:3]
; %bb.422:
	v_lshlrev_b32_e32 v20, 2, v10
	v_lshl_or_b32 v20, v11, 8, v20
	ds_write_b32 v20, v19 offset:9344
; %bb.423:
	s_or_b64 exec, exec, s[10:11]
	s_waitcnt lgkmcnt(0)
	s_barrier
	s_barrier
	s_and_saveexec_b64 s[10:11], vcc
; %bb.424:
	s_movk_i32 s12, 0x2000
	v_mov_b32_e32 v19, 1.0
	v_add_u32_e64 v20, s12, 0
	ds_write2_b32 v20, v19, v19 offset0:162 offset1:227
; %bb.425:
	s_or_b64 exec, exec, s[10:11]
	v_mov_b32_e32 v19, 0
	s_waitcnt lgkmcnt(0)
	s_barrier
	buffer_wbinvl1_vol
	s_and_saveexec_b64 s[12:13], s[0:1]
	s_cbranch_execz .LBB13_429
; %bb.426:
	v_lshlrev_b32_e32 v19, 8, v3
	v_lshlrev_b32_e32 v20, 2, v2
	ds_read_b32 v21, v20 offset:8832
	ds_read_b32 v19, v19 offset:8840
	v_mov_b32_e32 v20, 0
	v_cmp_gt_u32_e64 s[10:11], 2, v9
	s_waitcnt lgkmcnt(0)
	v_fma_f32 v19, v21, v19, 0
	s_and_saveexec_b64 s[16:17], s[10:11]
	s_cbranch_execz .LBB13_428
; %bb.427:
	v_lshlrev_b32_e32 v21, 2, v0
	ds_read_b32 v21, v21 offset:9088
	ds_read_b32 v20, v20 offset:9100
	s_waitcnt lgkmcnt(0)
	v_fmac_f32_e32 v19, v21, v20
.LBB13_428:
	s_or_b64 exec, exec, s[16:17]
.LBB13_429:
	s_or_b64 exec, exec, s[12:13]
	s_and_saveexec_b64 s[10:11], s[30:31]
; %bb.430:
	v_xor_b32_e32 v20, 0x80000000, v19
	ds_write_b32 v8, v20
; %bb.431:
	s_or_b64 exec, exec, s[10:11]
	s_waitcnt lgkmcnt(0)
	s_barrier
	s_and_saveexec_b64 s[10:11], s[28:29]
	s_cbranch_execz .LBB13_433
; %bb.432:
	v_mov_b32_e32 v20, 0
	ds_read_b32 v20, v20 offset:8576
	ds_read_b32 v21, v8
	s_waitcnt lgkmcnt(0)
	v_fma_f32 v19, -v20, v21, v19
.LBB13_433:
	s_or_b64 exec, exec, s[10:11]
	s_barrier
	s_and_saveexec_b64 s[10:11], s[28:29]
; %bb.434:
	v_xor_b32_e32 v20, 0x80000000, v19
	ds_write_b32 v8, v20
; %bb.435:
	s_or_b64 exec, exec, s[10:11]
	s_waitcnt lgkmcnt(0)
	s_barrier
	s_barrier
	s_and_saveexec_b64 s[10:11], s[0:1]
; %bb.436:
	v_lshlrev_b32_e32 v20, 2, v2
	v_lshl_or_b32 v20, v3, 8, v20
	ds_write_b32 v20, v19 offset:8832
; %bb.437:
	s_or_b64 exec, exec, s[10:11]
	s_waitcnt lgkmcnt(0)
	s_barrier
	s_barrier
	s_and_saveexec_b64 s[10:11], vcc
; %bb.438:
	s_movk_i32 s12, 0x2000
	v_mov_b32_e32 v19, 1.0
	v_add_u32_e64 v20, s12, 0
	ds_write2_b32 v20, v19, v19 offset0:32 offset1:97
; %bb.439:
	s_or_b64 exec, exec, s[10:11]
	s_movk_i32 s10, 0x3ff
	v_lshrrev_b32_e32 v22, 5, v9
	v_cmp_lt_u32_e64 s[12:13], s10, v9
	s_movk_i32 s10, 0x400
	v_and_b32_e32 v19, 31, v0
	v_sub_u32_e32 v20, 31, v22
	v_cmp_gt_u32_e64 s[10:11], s10, v9
	v_mov_b32_e32 v21, 0
	s_waitcnt lgkmcnt(0)
	s_barrier
	buffer_wbinvl1_vol
	s_and_saveexec_b64 s[90:91], s[10:11]
	s_cbranch_execz .LBB13_501
; %bb.440:
	v_lshlrev_b32_e32 v24, 2, v19
	v_lshlrev_b32_e32 v23, 8, v20
	ds_read_b32 v21, v24 offset:8192
	ds_read_b32 v25, v23 offset:8320
	s_movk_i32 s16, 0x3e0
	v_cmp_gt_u32_e64 s[16:17], s16, v9
	s_waitcnt lgkmcnt(0)
	v_fma_f32 v21, v21, v25, 0
	s_and_saveexec_b64 s[92:93], s[16:17]
	s_cbranch_execz .LBB13_442
; %bb.441:
	ds_read_b32 v25, v24 offset:8448
	ds_read_b32 v26, v23 offset:8324
	s_waitcnt lgkmcnt(0)
	v_fmac_f32_e32 v21, v25, v26
.LBB13_442:
	s_or_b64 exec, exec, s[92:93]
	s_movk_i32 s16, 0x3c0
	v_cmp_gt_u32_e64 s[16:17], s16, v9
	s_and_saveexec_b64 s[92:93], s[16:17]
	s_cbranch_execz .LBB13_444
; %bb.443:
	ds_read_b32 v25, v24 offset:8704
	ds_read_b32 v26, v23 offset:8328
	s_waitcnt lgkmcnt(0)
	v_fmac_f32_e32 v21, v25, v26
.LBB13_444:
	s_or_b64 exec, exec, s[92:93]
	s_movk_i32 s16, 0x3a0
	v_cmp_gt_u32_e64 s[16:17], s16, v9
	;; [unrolled: 11-line block ×22, first 2 shown]
	s_and_saveexec_b64 s[92:93], s[16:17]
	s_cbranch_execz .LBB13_486
; %bb.485:
	ds_read_b32 v25, v24 offset:14080
	ds_read_b32 v26, v23 offset:8412
	s_waitcnt lgkmcnt(0)
	v_fmac_f32_e32 v21, v25, v26
.LBB13_486:
	s_or_b64 exec, exec, s[92:93]
	s_and_saveexec_b64 s[16:17], s[8:9]
	s_cbranch_execz .LBB13_488
; %bb.487:
	ds_read_b32 v25, v24 offset:14336
	ds_read_b32 v26, v23 offset:8416
	s_waitcnt lgkmcnt(0)
	v_fmac_f32_e32 v21, v25, v26
.LBB13_488:
	s_or_b64 exec, exec, s[16:17]
	s_movk_i32 s16, 0xe0
	v_cmp_gt_u32_e64 s[16:17], s16, v9
	s_and_saveexec_b64 s[92:93], s[16:17]
	s_cbranch_execz .LBB13_490
; %bb.489:
	ds_read_b32 v25, v24 offset:14592
	ds_read_b32 v26, v23 offset:8420
	s_waitcnt lgkmcnt(0)
	v_fmac_f32_e32 v21, v25, v26
.LBB13_490:
	s_or_b64 exec, exec, s[92:93]
	s_movk_i32 s16, 0xc0
	v_cmp_gt_u32_e64 s[16:17], s16, v9
	;; [unrolled: 11-line block ×5, first 2 shown]
	s_and_saveexec_b64 s[92:93], s[16:17]
	s_cbranch_execnz .LBB13_1132
; %bb.497:
	s_or_b64 exec, exec, s[92:93]
	s_and_saveexec_b64 s[16:17], s[14:15]
	s_cbranch_execnz .LBB13_1133
.LBB13_498:
	s_or_b64 exec, exec, s[16:17]
	v_cmp_gt_u32_e64 s[16:17], 32, v9
	s_and_saveexec_b64 s[92:93], s[16:17]
	s_cbranch_execz .LBB13_500
.LBB13_499:
	v_lshlrev_b32_e32 v23, 2, v0
	v_mov_b32_e32 v24, 0
	ds_read_b32 v23, v23 offset:16128
	ds_read_b32 v24, v24 offset:16380
	s_waitcnt lgkmcnt(0)
	v_fmac_f32_e32 v21, v23, v24
.LBB13_500:
	s_or_b64 exec, exec, s[92:93]
.LBB13_501:
	s_or_b64 exec, exec, s[90:91]
	v_mov_b32_e32 v23, 0x4000
	v_cmp_eq_u32_e64 s[16:17], 31, v19
	s_xor_b64 s[90:91], s[12:13], -1
	v_lshl_add_u32 v22, v22, 2, v23
	s_and_b64 s[16:17], s[16:17], s[90:91]
	s_and_saveexec_b64 s[12:13], s[16:17]
; %bb.502:
	v_xor_b32_e32 v23, 0x80000000, v21
	ds_write_b32 v22, v23
; %bb.503:
	s_or_b64 exec, exec, s[12:13]
	v_cmp_ne_u32_e64 s[12:13], 31, v19
	s_and_b64 s[16:17], s[12:13], s[90:91]
	s_waitcnt lgkmcnt(0)
	s_barrier
	s_and_saveexec_b64 s[12:13], s[16:17]
	s_cbranch_execz .LBB13_505
; %bb.504:
	v_lshlrev_b32_e32 v23, 2, v19
	ds_read_b32 v23, v23 offset:7936
	ds_read_b32 v24, v22
	s_waitcnt lgkmcnt(0)
	v_fma_f32 v21, -v23, v24, v21
.LBB13_505:
	s_or_b64 exec, exec, s[12:13]
	v_cmp_eq_u32_e64 s[12:13], 30, v19
	s_and_b64 s[16:17], s[12:13], s[90:91]
	s_barrier
	s_and_saveexec_b64 s[12:13], s[16:17]
; %bb.506:
	v_xor_b32_e32 v23, 0x80000000, v21
	ds_write_b32 v22, v23
; %bb.507:
	s_or_b64 exec, exec, s[12:13]
	v_cmp_gt_u32_e64 s[12:13], 30, v19
	s_and_b64 s[16:17], s[12:13], s[90:91]
	s_waitcnt lgkmcnt(0)
	s_barrier
	s_and_saveexec_b64 s[12:13], s[16:17]
	s_cbranch_execz .LBB13_509
; %bb.508:
	v_lshlrev_b32_e32 v23, 2, v19
	ds_read_b32 v23, v23 offset:7680
	ds_read_b32 v24, v22
	s_waitcnt lgkmcnt(0)
	v_fma_f32 v21, -v23, v24, v21
.LBB13_509:
	s_or_b64 exec, exec, s[12:13]
	v_cmp_eq_u32_e64 s[12:13], 29, v19
	s_and_b64 s[16:17], s[12:13], s[90:91]
	s_barrier
	s_and_saveexec_b64 s[12:13], s[16:17]
; %bb.510:
	v_xor_b32_e32 v23, 0x80000000, v21
	ds_write_b32 v22, v23
; %bb.511:
	s_or_b64 exec, exec, s[12:13]
	v_cmp_gt_u32_e64 s[12:13], 29, v19
	s_and_b64 s[16:17], s[12:13], s[90:91]
	s_waitcnt lgkmcnt(0)
	s_barrier
	s_and_saveexec_b64 s[12:13], s[16:17]
	s_cbranch_execz .LBB13_513
; %bb.512:
	v_lshlrev_b32_e32 v23, 2, v19
	ds_read_b32 v23, v23 offset:7424
	ds_read_b32 v24, v22
	s_waitcnt lgkmcnt(0)
	v_fma_f32 v21, -v23, v24, v21
.LBB13_513:
	s_or_b64 exec, exec, s[12:13]
	v_cmp_eq_u32_e64 s[12:13], 28, v19
	s_and_b64 s[16:17], s[12:13], s[90:91]
	s_barrier
	s_and_saveexec_b64 s[12:13], s[16:17]
; %bb.514:
	v_xor_b32_e32 v23, 0x80000000, v21
	ds_write_b32 v22, v23
; %bb.515:
	s_or_b64 exec, exec, s[12:13]
	v_cmp_gt_u32_e64 s[12:13], 28, v19
	s_and_b64 s[16:17], s[12:13], s[90:91]
	s_waitcnt lgkmcnt(0)
	s_barrier
	s_and_saveexec_b64 s[12:13], s[16:17]
	s_cbranch_execz .LBB13_517
; %bb.516:
	v_lshlrev_b32_e32 v23, 2, v19
	ds_read_b32 v23, v23 offset:7168
	ds_read_b32 v24, v22
	s_waitcnt lgkmcnt(0)
	v_fma_f32 v21, -v23, v24, v21
.LBB13_517:
	s_or_b64 exec, exec, s[12:13]
	v_cmp_eq_u32_e64 s[12:13], 27, v19
	s_and_b64 s[16:17], s[12:13], s[90:91]
	s_barrier
	s_and_saveexec_b64 s[12:13], s[16:17]
; %bb.518:
	v_xor_b32_e32 v23, 0x80000000, v21
	ds_write_b32 v22, v23
; %bb.519:
	s_or_b64 exec, exec, s[12:13]
	v_cmp_gt_u32_e64 s[12:13], 27, v19
	s_and_b64 s[16:17], s[12:13], s[90:91]
	s_waitcnt lgkmcnt(0)
	s_barrier
	s_and_saveexec_b64 s[12:13], s[16:17]
	s_cbranch_execz .LBB13_521
; %bb.520:
	v_lshlrev_b32_e32 v23, 2, v19
	ds_read_b32 v23, v23 offset:6912
	ds_read_b32 v24, v22
	s_waitcnt lgkmcnt(0)
	v_fma_f32 v21, -v23, v24, v21
.LBB13_521:
	s_or_b64 exec, exec, s[12:13]
	v_cmp_eq_u32_e64 s[12:13], 26, v19
	s_and_b64 s[16:17], s[12:13], s[90:91]
	s_barrier
	s_and_saveexec_b64 s[12:13], s[16:17]
; %bb.522:
	v_xor_b32_e32 v23, 0x80000000, v21
	ds_write_b32 v22, v23
; %bb.523:
	s_or_b64 exec, exec, s[12:13]
	v_cmp_gt_u32_e64 s[12:13], 26, v19
	s_and_b64 s[16:17], s[12:13], s[90:91]
	s_waitcnt lgkmcnt(0)
	s_barrier
	s_and_saveexec_b64 s[12:13], s[16:17]
	s_cbranch_execz .LBB13_525
; %bb.524:
	v_lshlrev_b32_e32 v23, 2, v19
	ds_read_b32 v23, v23 offset:6656
	ds_read_b32 v24, v22
	s_waitcnt lgkmcnt(0)
	v_fma_f32 v21, -v23, v24, v21
.LBB13_525:
	s_or_b64 exec, exec, s[12:13]
	v_cmp_eq_u32_e64 s[12:13], 25, v19
	s_and_b64 s[16:17], s[12:13], s[90:91]
	s_barrier
	s_and_saveexec_b64 s[12:13], s[16:17]
; %bb.526:
	v_xor_b32_e32 v23, 0x80000000, v21
	ds_write_b32 v22, v23
; %bb.527:
	s_or_b64 exec, exec, s[12:13]
	v_cmp_gt_u32_e64 s[12:13], 25, v19
	s_and_b64 s[16:17], s[12:13], s[90:91]
	s_waitcnt lgkmcnt(0)
	s_barrier
	s_and_saveexec_b64 s[12:13], s[16:17]
	s_cbranch_execz .LBB13_529
; %bb.528:
	v_lshlrev_b32_e32 v23, 2, v19
	ds_read_b32 v23, v23 offset:6400
	ds_read_b32 v24, v22
	s_waitcnt lgkmcnt(0)
	v_fma_f32 v21, -v23, v24, v21
.LBB13_529:
	s_or_b64 exec, exec, s[12:13]
	v_cmp_eq_u32_e64 s[12:13], 24, v19
	s_and_b64 s[16:17], s[12:13], s[90:91]
	s_barrier
	s_and_saveexec_b64 s[12:13], s[16:17]
; %bb.530:
	v_xor_b32_e32 v23, 0x80000000, v21
	ds_write_b32 v22, v23
; %bb.531:
	s_or_b64 exec, exec, s[12:13]
	v_cmp_gt_u32_e64 s[12:13], 24, v19
	s_and_b64 s[16:17], s[12:13], s[90:91]
	s_waitcnt lgkmcnt(0)
	s_barrier
	s_and_saveexec_b64 s[12:13], s[16:17]
	s_cbranch_execz .LBB13_533
; %bb.532:
	v_lshlrev_b32_e32 v23, 2, v19
	ds_read_b32 v23, v23 offset:6144
	ds_read_b32 v24, v22
	s_waitcnt lgkmcnt(0)
	v_fma_f32 v21, -v23, v24, v21
.LBB13_533:
	s_or_b64 exec, exec, s[12:13]
	v_cmp_eq_u32_e64 s[12:13], 23, v19
	s_and_b64 s[16:17], s[12:13], s[90:91]
	s_barrier
	s_and_saveexec_b64 s[12:13], s[16:17]
; %bb.534:
	v_xor_b32_e32 v23, 0x80000000, v21
	ds_write_b32 v22, v23
; %bb.535:
	s_or_b64 exec, exec, s[12:13]
	v_cmp_gt_u32_e64 s[12:13], 23, v19
	s_and_b64 s[16:17], s[12:13], s[90:91]
	s_waitcnt lgkmcnt(0)
	s_barrier
	s_and_saveexec_b64 s[12:13], s[16:17]
	s_cbranch_execz .LBB13_537
; %bb.536:
	v_lshlrev_b32_e32 v23, 2, v19
	ds_read_b32 v23, v23 offset:5888
	ds_read_b32 v24, v22
	s_waitcnt lgkmcnt(0)
	v_fma_f32 v21, -v23, v24, v21
.LBB13_537:
	s_or_b64 exec, exec, s[12:13]
	v_cmp_eq_u32_e64 s[12:13], 22, v19
	s_and_b64 s[16:17], s[12:13], s[90:91]
	s_barrier
	s_and_saveexec_b64 s[12:13], s[16:17]
; %bb.538:
	v_xor_b32_e32 v23, 0x80000000, v21
	ds_write_b32 v22, v23
; %bb.539:
	s_or_b64 exec, exec, s[12:13]
	v_cmp_gt_u32_e64 s[12:13], 22, v19
	s_and_b64 s[16:17], s[12:13], s[90:91]
	s_waitcnt lgkmcnt(0)
	s_barrier
	s_and_saveexec_b64 s[12:13], s[16:17]
	s_cbranch_execz .LBB13_541
; %bb.540:
	v_lshlrev_b32_e32 v23, 2, v19
	ds_read_b32 v23, v23 offset:5632
	ds_read_b32 v24, v22
	s_waitcnt lgkmcnt(0)
	v_fma_f32 v21, -v23, v24, v21
.LBB13_541:
	s_or_b64 exec, exec, s[12:13]
	v_cmp_eq_u32_e64 s[12:13], 21, v19
	s_and_b64 s[16:17], s[12:13], s[90:91]
	s_barrier
	s_and_saveexec_b64 s[12:13], s[16:17]
; %bb.542:
	v_xor_b32_e32 v23, 0x80000000, v21
	ds_write_b32 v22, v23
; %bb.543:
	s_or_b64 exec, exec, s[12:13]
	v_cmp_gt_u32_e64 s[12:13], 21, v19
	s_and_b64 s[16:17], s[12:13], s[90:91]
	s_waitcnt lgkmcnt(0)
	s_barrier
	s_and_saveexec_b64 s[12:13], s[16:17]
	s_cbranch_execz .LBB13_545
; %bb.544:
	v_lshlrev_b32_e32 v23, 2, v19
	ds_read_b32 v23, v23 offset:5376
	ds_read_b32 v24, v22
	s_waitcnt lgkmcnt(0)
	v_fma_f32 v21, -v23, v24, v21
.LBB13_545:
	s_or_b64 exec, exec, s[12:13]
	v_cmp_eq_u32_e64 s[12:13], 20, v19
	s_and_b64 s[16:17], s[12:13], s[90:91]
	s_barrier
	s_and_saveexec_b64 s[12:13], s[16:17]
; %bb.546:
	v_xor_b32_e32 v23, 0x80000000, v21
	ds_write_b32 v22, v23
; %bb.547:
	s_or_b64 exec, exec, s[12:13]
	v_cmp_gt_u32_e64 s[12:13], 20, v19
	s_and_b64 s[16:17], s[12:13], s[90:91]
	s_waitcnt lgkmcnt(0)
	s_barrier
	s_and_saveexec_b64 s[12:13], s[16:17]
	s_cbranch_execz .LBB13_549
; %bb.548:
	v_lshlrev_b32_e32 v23, 2, v19
	ds_read_b32 v23, v23 offset:5120
	ds_read_b32 v24, v22
	s_waitcnt lgkmcnt(0)
	v_fma_f32 v21, -v23, v24, v21
.LBB13_549:
	s_or_b64 exec, exec, s[12:13]
	v_cmp_eq_u32_e64 s[12:13], 19, v19
	s_and_b64 s[16:17], s[12:13], s[90:91]
	s_barrier
	s_and_saveexec_b64 s[12:13], s[16:17]
; %bb.550:
	v_xor_b32_e32 v23, 0x80000000, v21
	ds_write_b32 v22, v23
; %bb.551:
	s_or_b64 exec, exec, s[12:13]
	v_cmp_gt_u32_e64 s[12:13], 19, v19
	s_and_b64 s[16:17], s[12:13], s[90:91]
	s_waitcnt lgkmcnt(0)
	s_barrier
	s_and_saveexec_b64 s[12:13], s[16:17]
	s_cbranch_execz .LBB13_553
; %bb.552:
	v_lshlrev_b32_e32 v23, 2, v19
	ds_read_b32 v23, v23 offset:4864
	ds_read_b32 v24, v22
	s_waitcnt lgkmcnt(0)
	v_fma_f32 v21, -v23, v24, v21
.LBB13_553:
	s_or_b64 exec, exec, s[12:13]
	v_cmp_eq_u32_e64 s[12:13], 18, v19
	s_and_b64 s[16:17], s[12:13], s[90:91]
	s_barrier
	s_and_saveexec_b64 s[12:13], s[16:17]
; %bb.554:
	v_xor_b32_e32 v23, 0x80000000, v21
	ds_write_b32 v22, v23
; %bb.555:
	s_or_b64 exec, exec, s[12:13]
	v_cmp_gt_u32_e64 s[12:13], 18, v19
	s_and_b64 s[16:17], s[12:13], s[90:91]
	s_waitcnt lgkmcnt(0)
	s_barrier
	s_and_saveexec_b64 s[12:13], s[16:17]
	s_cbranch_execz .LBB13_557
; %bb.556:
	v_lshlrev_b32_e32 v23, 2, v19
	ds_read_b32 v23, v23 offset:4608
	ds_read_b32 v24, v22
	s_waitcnt lgkmcnt(0)
	v_fma_f32 v21, -v23, v24, v21
.LBB13_557:
	s_or_b64 exec, exec, s[12:13]
	v_cmp_eq_u32_e64 s[12:13], 17, v19
	s_and_b64 s[16:17], s[12:13], s[90:91]
	s_barrier
	s_and_saveexec_b64 s[12:13], s[16:17]
; %bb.558:
	v_xor_b32_e32 v23, 0x80000000, v21
	ds_write_b32 v22, v23
; %bb.559:
	s_or_b64 exec, exec, s[12:13]
	v_cmp_gt_u32_e64 s[12:13], 17, v19
	s_and_b64 s[16:17], s[12:13], s[90:91]
	s_waitcnt lgkmcnt(0)
	s_barrier
	s_and_saveexec_b64 s[12:13], s[16:17]
	s_cbranch_execz .LBB13_561
; %bb.560:
	v_lshlrev_b32_e32 v23, 2, v19
	ds_read_b32 v23, v23 offset:4352
	ds_read_b32 v24, v22
	s_waitcnt lgkmcnt(0)
	v_fma_f32 v21, -v23, v24, v21
.LBB13_561:
	s_or_b64 exec, exec, s[12:13]
	v_cmp_eq_u32_e64 s[12:13], 16, v19
	s_and_b64 s[16:17], s[12:13], s[90:91]
	s_barrier
	s_and_saveexec_b64 s[12:13], s[16:17]
; %bb.562:
	v_xor_b32_e32 v23, 0x80000000, v21
	ds_write_b32 v22, v23
; %bb.563:
	s_or_b64 exec, exec, s[12:13]
	v_cmp_gt_u32_e64 s[12:13], 16, v19
	s_and_b64 s[16:17], s[12:13], s[90:91]
	s_waitcnt lgkmcnt(0)
	s_barrier
	s_and_saveexec_b64 s[12:13], s[16:17]
	s_cbranch_execz .LBB13_565
; %bb.564:
	v_lshlrev_b32_e32 v23, 2, v19
	ds_read_b32 v23, v23 offset:4096
	ds_read_b32 v24, v22
	s_waitcnt lgkmcnt(0)
	v_fma_f32 v21, -v23, v24, v21
.LBB13_565:
	s_or_b64 exec, exec, s[12:13]
	v_cmp_eq_u32_e64 s[12:13], 15, v19
	s_and_b64 s[16:17], s[12:13], s[90:91]
	s_barrier
	s_and_saveexec_b64 s[12:13], s[16:17]
; %bb.566:
	v_xor_b32_e32 v23, 0x80000000, v21
	ds_write_b32 v22, v23
; %bb.567:
	s_or_b64 exec, exec, s[12:13]
	v_cmp_gt_u32_e64 s[12:13], 15, v19
	s_and_b64 s[16:17], s[12:13], s[90:91]
	s_waitcnt lgkmcnt(0)
	s_barrier
	s_and_saveexec_b64 s[12:13], s[16:17]
	s_cbranch_execz .LBB13_569
; %bb.568:
	v_lshlrev_b32_e32 v23, 2, v19
	ds_read_b32 v23, v23 offset:3840
	ds_read_b32 v24, v22
	s_waitcnt lgkmcnt(0)
	v_fma_f32 v21, -v23, v24, v21
.LBB13_569:
	s_or_b64 exec, exec, s[12:13]
	v_cmp_eq_u32_e64 s[12:13], 14, v19
	s_and_b64 s[16:17], s[12:13], s[90:91]
	s_barrier
	s_and_saveexec_b64 s[12:13], s[16:17]
; %bb.570:
	v_xor_b32_e32 v23, 0x80000000, v21
	ds_write_b32 v22, v23
; %bb.571:
	s_or_b64 exec, exec, s[12:13]
	v_cmp_gt_u32_e64 s[12:13], 14, v19
	s_and_b64 s[16:17], s[12:13], s[90:91]
	s_waitcnt lgkmcnt(0)
	s_barrier
	s_and_saveexec_b64 s[12:13], s[16:17]
	s_cbranch_execz .LBB13_573
; %bb.572:
	v_lshlrev_b32_e32 v23, 2, v19
	ds_read_b32 v23, v23 offset:3584
	ds_read_b32 v24, v22
	s_waitcnt lgkmcnt(0)
	v_fma_f32 v21, -v23, v24, v21
.LBB13_573:
	s_or_b64 exec, exec, s[12:13]
	v_cmp_eq_u32_e64 s[12:13], 13, v19
	s_and_b64 s[16:17], s[12:13], s[90:91]
	s_barrier
	s_and_saveexec_b64 s[12:13], s[16:17]
; %bb.574:
	v_xor_b32_e32 v23, 0x80000000, v21
	ds_write_b32 v22, v23
; %bb.575:
	s_or_b64 exec, exec, s[12:13]
	v_cmp_gt_u32_e64 s[12:13], 13, v19
	s_and_b64 s[16:17], s[12:13], s[90:91]
	s_waitcnt lgkmcnt(0)
	s_barrier
	s_and_saveexec_b64 s[12:13], s[16:17]
	s_cbranch_execz .LBB13_577
; %bb.576:
	v_lshlrev_b32_e32 v23, 2, v19
	ds_read_b32 v23, v23 offset:3328
	ds_read_b32 v24, v22
	s_waitcnt lgkmcnt(0)
	v_fma_f32 v21, -v23, v24, v21
.LBB13_577:
	s_or_b64 exec, exec, s[12:13]
	v_cmp_eq_u32_e64 s[12:13], 12, v19
	s_and_b64 s[16:17], s[12:13], s[90:91]
	s_barrier
	s_and_saveexec_b64 s[12:13], s[16:17]
; %bb.578:
	v_xor_b32_e32 v23, 0x80000000, v21
	ds_write_b32 v22, v23
; %bb.579:
	s_or_b64 exec, exec, s[12:13]
	v_cmp_gt_u32_e64 s[12:13], 12, v19
	s_and_b64 s[16:17], s[12:13], s[90:91]
	s_waitcnt lgkmcnt(0)
	s_barrier
	s_and_saveexec_b64 s[12:13], s[16:17]
	s_cbranch_execz .LBB13_581
; %bb.580:
	v_lshlrev_b32_e32 v23, 2, v19
	ds_read_b32 v23, v23 offset:3072
	ds_read_b32 v24, v22
	s_waitcnt lgkmcnt(0)
	v_fma_f32 v21, -v23, v24, v21
.LBB13_581:
	s_or_b64 exec, exec, s[12:13]
	v_cmp_eq_u32_e64 s[12:13], 11, v19
	s_and_b64 s[16:17], s[12:13], s[90:91]
	s_barrier
	s_and_saveexec_b64 s[12:13], s[16:17]
; %bb.582:
	v_xor_b32_e32 v23, 0x80000000, v21
	ds_write_b32 v22, v23
; %bb.583:
	s_or_b64 exec, exec, s[12:13]
	v_cmp_gt_u32_e64 s[12:13], 11, v19
	s_and_b64 s[16:17], s[12:13], s[90:91]
	s_waitcnt lgkmcnt(0)
	s_barrier
	s_and_saveexec_b64 s[12:13], s[16:17]
	s_cbranch_execz .LBB13_585
; %bb.584:
	v_lshlrev_b32_e32 v23, 2, v19
	ds_read_b32 v23, v23 offset:2816
	ds_read_b32 v24, v22
	s_waitcnt lgkmcnt(0)
	v_fma_f32 v21, -v23, v24, v21
.LBB13_585:
	s_or_b64 exec, exec, s[12:13]
	v_cmp_eq_u32_e64 s[12:13], 10, v19
	s_and_b64 s[16:17], s[12:13], s[90:91]
	s_barrier
	s_and_saveexec_b64 s[12:13], s[16:17]
; %bb.586:
	v_xor_b32_e32 v23, 0x80000000, v21
	ds_write_b32 v22, v23
; %bb.587:
	s_or_b64 exec, exec, s[12:13]
	v_cmp_gt_u32_e64 s[12:13], 10, v19
	s_and_b64 s[16:17], s[12:13], s[90:91]
	s_waitcnt lgkmcnt(0)
	s_barrier
	s_and_saveexec_b64 s[12:13], s[16:17]
	s_cbranch_execz .LBB13_589
; %bb.588:
	v_lshlrev_b32_e32 v23, 2, v19
	ds_read_b32 v23, v23 offset:2560
	ds_read_b32 v24, v22
	s_waitcnt lgkmcnt(0)
	v_fma_f32 v21, -v23, v24, v21
.LBB13_589:
	s_or_b64 exec, exec, s[12:13]
	v_cmp_eq_u32_e64 s[12:13], 9, v19
	s_and_b64 s[16:17], s[12:13], s[90:91]
	s_barrier
	s_and_saveexec_b64 s[12:13], s[16:17]
; %bb.590:
	v_xor_b32_e32 v23, 0x80000000, v21
	ds_write_b32 v22, v23
; %bb.591:
	s_or_b64 exec, exec, s[12:13]
	v_cmp_gt_u32_e64 s[12:13], 9, v19
	s_and_b64 s[16:17], s[12:13], s[90:91]
	s_waitcnt lgkmcnt(0)
	s_barrier
	s_and_saveexec_b64 s[12:13], s[16:17]
	s_cbranch_execz .LBB13_593
; %bb.592:
	v_lshlrev_b32_e32 v23, 2, v19
	ds_read_b32 v23, v23 offset:2304
	ds_read_b32 v24, v22
	s_waitcnt lgkmcnt(0)
	v_fma_f32 v21, -v23, v24, v21
.LBB13_593:
	s_or_b64 exec, exec, s[12:13]
	v_cmp_eq_u32_e64 s[12:13], 8, v19
	s_and_b64 s[16:17], s[12:13], s[90:91]
	s_barrier
	s_and_saveexec_b64 s[12:13], s[16:17]
; %bb.594:
	v_xor_b32_e32 v23, 0x80000000, v21
	ds_write_b32 v22, v23
; %bb.595:
	s_or_b64 exec, exec, s[12:13]
	v_cmp_gt_u32_e64 s[12:13], 8, v19
	s_and_b64 s[16:17], s[12:13], s[90:91]
	s_waitcnt lgkmcnt(0)
	s_barrier
	s_and_saveexec_b64 s[12:13], s[16:17]
	s_cbranch_execz .LBB13_597
; %bb.596:
	v_lshlrev_b32_e32 v23, 2, v19
	ds_read_b32 v23, v23 offset:2048
	ds_read_b32 v24, v22
	s_waitcnt lgkmcnt(0)
	v_fma_f32 v21, -v23, v24, v21
.LBB13_597:
	s_or_b64 exec, exec, s[12:13]
	v_cmp_eq_u32_e64 s[12:13], 7, v19
	s_and_b64 s[16:17], s[12:13], s[90:91]
	s_barrier
	s_and_saveexec_b64 s[12:13], s[16:17]
; %bb.598:
	v_xor_b32_e32 v23, 0x80000000, v21
	ds_write_b32 v22, v23
; %bb.599:
	s_or_b64 exec, exec, s[12:13]
	v_cmp_gt_u32_e64 s[12:13], 7, v19
	s_and_b64 s[16:17], s[12:13], s[90:91]
	s_waitcnt lgkmcnt(0)
	s_barrier
	s_and_saveexec_b64 s[12:13], s[16:17]
	s_cbranch_execz .LBB13_601
; %bb.600:
	v_lshlrev_b32_e32 v23, 2, v19
	ds_read_b32 v23, v23 offset:1792
	ds_read_b32 v24, v22
	s_waitcnt lgkmcnt(0)
	v_fma_f32 v21, -v23, v24, v21
.LBB13_601:
	s_or_b64 exec, exec, s[12:13]
	v_cmp_eq_u32_e64 s[12:13], 6, v19
	s_and_b64 s[16:17], s[12:13], s[90:91]
	s_barrier
	s_and_saveexec_b64 s[12:13], s[16:17]
; %bb.602:
	v_xor_b32_e32 v23, 0x80000000, v21
	ds_write_b32 v22, v23
; %bb.603:
	s_or_b64 exec, exec, s[12:13]
	v_cmp_gt_u32_e64 s[12:13], 6, v19
	s_and_b64 s[16:17], s[12:13], s[90:91]
	s_waitcnt lgkmcnt(0)
	s_barrier
	s_and_saveexec_b64 s[12:13], s[16:17]
	s_cbranch_execz .LBB13_605
; %bb.604:
	v_lshlrev_b32_e32 v23, 2, v19
	ds_read_b32 v23, v23 offset:1536
	ds_read_b32 v24, v22
	s_waitcnt lgkmcnt(0)
	v_fma_f32 v21, -v23, v24, v21
.LBB13_605:
	s_or_b64 exec, exec, s[12:13]
	v_cmp_eq_u32_e64 s[12:13], 5, v19
	s_and_b64 s[16:17], s[12:13], s[90:91]
	s_barrier
	s_and_saveexec_b64 s[12:13], s[16:17]
; %bb.606:
	v_xor_b32_e32 v23, 0x80000000, v21
	ds_write_b32 v22, v23
; %bb.607:
	s_or_b64 exec, exec, s[12:13]
	v_cmp_gt_u32_e64 s[12:13], 5, v19
	s_and_b64 s[16:17], s[12:13], s[90:91]
	s_waitcnt lgkmcnt(0)
	s_barrier
	s_and_saveexec_b64 s[12:13], s[16:17]
	s_cbranch_execz .LBB13_609
; %bb.608:
	v_lshlrev_b32_e32 v23, 2, v19
	ds_read_b32 v23, v23 offset:1280
	ds_read_b32 v24, v22
	s_waitcnt lgkmcnt(0)
	v_fma_f32 v21, -v23, v24, v21
.LBB13_609:
	s_or_b64 exec, exec, s[12:13]
	v_cmp_eq_u32_e64 s[12:13], 4, v19
	s_and_b64 s[16:17], s[12:13], s[90:91]
	s_barrier
	s_and_saveexec_b64 s[12:13], s[16:17]
; %bb.610:
	v_xor_b32_e32 v23, 0x80000000, v21
	ds_write_b32 v22, v23
; %bb.611:
	s_or_b64 exec, exec, s[12:13]
	v_cmp_gt_u32_e64 s[12:13], 4, v19
	s_and_b64 s[16:17], s[12:13], s[90:91]
	s_waitcnt lgkmcnt(0)
	s_barrier
	s_and_saveexec_b64 s[12:13], s[16:17]
	s_cbranch_execz .LBB13_613
; %bb.612:
	v_lshlrev_b32_e32 v23, 2, v19
	ds_read_b32 v23, v23 offset:1024
	ds_read_b32 v24, v22
	s_waitcnt lgkmcnt(0)
	v_fma_f32 v21, -v23, v24, v21
.LBB13_613:
	s_or_b64 exec, exec, s[12:13]
	v_cmp_eq_u32_e64 s[12:13], 3, v19
	s_and_b64 s[16:17], s[12:13], s[90:91]
	s_barrier
	s_and_saveexec_b64 s[12:13], s[16:17]
; %bb.614:
	v_xor_b32_e32 v23, 0x80000000, v21
	ds_write_b32 v22, v23
; %bb.615:
	s_or_b64 exec, exec, s[12:13]
	v_cmp_gt_u32_e64 s[12:13], 3, v19
	s_and_b64 s[16:17], s[12:13], s[90:91]
	s_waitcnt lgkmcnt(0)
	s_barrier
	s_and_saveexec_b64 s[12:13], s[16:17]
	s_cbranch_execz .LBB13_617
; %bb.616:
	v_lshlrev_b32_e32 v23, 2, v19
	ds_read_b32 v23, v23 offset:768
	ds_read_b32 v24, v22
	s_waitcnt lgkmcnt(0)
	v_fma_f32 v21, -v23, v24, v21
.LBB13_617:
	s_or_b64 exec, exec, s[12:13]
	v_cmp_eq_u32_e64 s[12:13], 2, v19
	s_and_b64 s[16:17], s[12:13], s[90:91]
	s_barrier
	s_and_saveexec_b64 s[12:13], s[16:17]
; %bb.618:
	v_xor_b32_e32 v23, 0x80000000, v21
	ds_write_b32 v22, v23
; %bb.619:
	s_or_b64 exec, exec, s[12:13]
	v_cmp_gt_u32_e64 s[12:13], 2, v19
	s_and_b64 s[16:17], s[12:13], s[90:91]
	s_waitcnt lgkmcnt(0)
	s_barrier
	s_and_saveexec_b64 s[12:13], s[16:17]
	s_cbranch_execz .LBB13_621
; %bb.620:
	v_lshlrev_b32_e32 v23, 2, v19
	ds_read_b32 v23, v23 offset:512
	ds_read_b32 v24, v22
	s_waitcnt lgkmcnt(0)
	v_fma_f32 v21, -v23, v24, v21
.LBB13_621:
	s_or_b64 exec, exec, s[12:13]
	v_cmp_eq_u32_e64 s[12:13], 1, v19
	s_and_b64 s[16:17], s[12:13], s[90:91]
	s_barrier
	s_and_saveexec_b64 s[12:13], s[16:17]
; %bb.622:
	v_xor_b32_e32 v23, 0x80000000, v21
	ds_write_b32 v22, v23
; %bb.623:
	s_or_b64 exec, exec, s[12:13]
	v_cmp_eq_u32_e64 s[12:13], 0, v19
	s_and_b64 s[12:13], s[12:13], s[90:91]
	s_waitcnt lgkmcnt(0)
	s_barrier
	s_and_saveexec_b64 s[16:17], s[12:13]
	s_cbranch_execz .LBB13_625
; %bb.624:
	v_mov_b32_e32 v23, 0
	ds_read_b32 v23, v23 offset:256
	ds_read_b32 v24, v22
	s_waitcnt lgkmcnt(0)
	v_fma_f32 v21, -v23, v24, v21
.LBB13_625:
	s_or_b64 exec, exec, s[16:17]
	s_barrier
	s_and_saveexec_b64 s[16:17], s[12:13]
; %bb.626:
	v_xor_b32_e32 v23, 0x80000000, v21
	ds_write_b32 v22, v23
; %bb.627:
	s_or_b64 exec, exec, s[16:17]
	s_waitcnt lgkmcnt(0)
	s_barrier
	s_barrier
	s_and_saveexec_b64 s[12:13], s[10:11]
; %bb.628:
	v_lshlrev_b32_e32 v19, 2, v19
	v_lshl_or_b32 v19, v20, 8, v19
	ds_write_b32 v19, v21 offset:8192
; %bb.629:
	s_or_b64 exec, exec, s[12:13]
	s_waitcnt lgkmcnt(0)
	s_barrier
	s_barrier
	s_and_saveexec_b64 s[10:11], vcc
; %bb.630:
	s_movk_i32 s12, 0x1c00
	v_mov_b32_e32 v19, 1.0
	v_add_u32_e64 v20, s12, 0
	ds_write2_b32 v20, v19, v19 offset0:158 offset1:223
; %bb.631:
	s_or_b64 exec, exec, s[10:11]
	v_mov_b32_e32 v19, 0
	s_waitcnt lgkmcnt(0)
	s_barrier
	buffer_wbinvl1_vol
	s_and_saveexec_b64 s[12:13], s[0:1]
	s_cbranch_execz .LBB13_635
; %bb.632:
	v_lshlrev_b32_e32 v19, 8, v3
	v_lshlrev_b32_e32 v20, 2, v2
	ds_read_b32 v21, v20 offset:7792
	ds_read_b32 v19, v19 offset:7800
	v_mov_b32_e32 v20, 0
	v_cmp_gt_u32_e64 s[10:11], 2, v9
	s_waitcnt lgkmcnt(0)
	v_fma_f32 v19, v21, v19, 0
	s_and_saveexec_b64 s[16:17], s[10:11]
	s_cbranch_execz .LBB13_634
; %bb.633:
	v_lshlrev_b32_e32 v21, 2, v0
	ds_read_b32 v21, v21 offset:8048
	ds_read_b32 v20, v20 offset:8060
	s_waitcnt lgkmcnt(0)
	v_fmac_f32_e32 v19, v21, v20
.LBB13_634:
	s_or_b64 exec, exec, s[16:17]
.LBB13_635:
	s_or_b64 exec, exec, s[12:13]
	s_and_saveexec_b64 s[10:11], s[30:31]
; %bb.636:
	v_xor_b32_e32 v20, 0x80000000, v19
	ds_write_b32 v8, v20
; %bb.637:
	s_or_b64 exec, exec, s[10:11]
	s_waitcnt lgkmcnt(0)
	s_barrier
	s_and_saveexec_b64 s[10:11], s[28:29]
	s_cbranch_execz .LBB13_639
; %bb.638:
	v_mov_b32_e32 v20, 0
	ds_read_b32 v20, v20 offset:7536
	ds_read_b32 v21, v8
	s_waitcnt lgkmcnt(0)
	v_fma_f32 v19, -v20, v21, v19
.LBB13_639:
	s_or_b64 exec, exec, s[10:11]
	s_barrier
	s_and_saveexec_b64 s[10:11], s[28:29]
; %bb.640:
	v_xor_b32_e32 v20, 0x80000000, v19
	ds_write_b32 v8, v20
; %bb.641:
	s_or_b64 exec, exec, s[10:11]
	s_waitcnt lgkmcnt(0)
	s_barrier
	s_barrier
	s_and_saveexec_b64 s[10:11], s[0:1]
; %bb.642:
	v_lshlrev_b32_e32 v20, 2, v2
	v_lshl_or_b32 v20, v3, 8, v20
	ds_write_b32 v20, v19 offset:7792
; %bb.643:
	s_or_b64 exec, exec, s[10:11]
	s_waitcnt lgkmcnt(0)
	s_barrier
	s_barrier
	s_and_saveexec_b64 s[10:11], vcc
; %bb.644:
	s_movk_i32 s12, 0x1c00
	v_mov_b32_e32 v19, 1.0
	v_add_u32_e64 v20, s12, 0
	ds_write2_b32 v20, v19, v19 offset0:28 offset1:93
; %bb.645:
	s_or_b64 exec, exec, s[10:11]
	v_mov_b32_e32 v19, 0
	s_waitcnt lgkmcnt(0)
	s_barrier
	buffer_wbinvl1_vol
	s_and_saveexec_b64 s[12:13], s[2:3]
	s_cbranch_execz .LBB13_651
; %bb.646:
	v_lshlrev_b32_e32 v21, 2, v10
	v_lshlrev_b32_e32 v20, 8, v11
	ds_read_b32 v19, v21 offset:7264
	ds_read_b32 v22, v20 offset:7280
	v_cmp_gt_u32_e64 s[10:11], 12, v9
	s_waitcnt lgkmcnt(0)
	v_fma_f32 v19, v19, v22, 0
	s_and_saveexec_b64 s[16:17], s[10:11]
	s_cbranch_execnz .LBB13_1134
; %bb.647:
	s_or_b64 exec, exec, s[16:17]
	v_cmp_gt_u32_e64 s[10:11], 8, v9
	s_and_saveexec_b64 s[16:17], s[10:11]
	s_cbranch_execnz .LBB13_1135
.LBB13_648:
	s_or_b64 exec, exec, s[16:17]
	v_cmp_gt_u32_e64 s[10:11], 4, v9
	s_and_saveexec_b64 s[16:17], s[10:11]
	s_cbranch_execz .LBB13_650
.LBB13_649:
	v_lshlrev_b32_e32 v20, 2, v0
	v_mov_b32_e32 v21, 0
	ds_read_b32 v20, v20 offset:8032
	ds_read_b32 v21, v21 offset:8060
	s_waitcnt lgkmcnt(0)
	v_fmac_f32_e32 v19, v20, v21
.LBB13_650:
	s_or_b64 exec, exec, s[16:17]
.LBB13_651:
	s_or_b64 exec, exec, s[12:13]
	s_and_saveexec_b64 s[10:11], s[36:37]
; %bb.652:
	v_xor_b32_e32 v20, 0x80000000, v19
	ds_write_b32 v12, v20
; %bb.653:
	s_or_b64 exec, exec, s[10:11]
	s_waitcnt lgkmcnt(0)
	s_barrier
	s_and_saveexec_b64 s[10:11], s[38:39]
	s_cbranch_execz .LBB13_655
; %bb.654:
	v_lshlrev_b32_e32 v20, 2, v10
	ds_read_b32 v20, v20 offset:7008
	ds_read_b32 v21, v12
	s_waitcnt lgkmcnt(0)
	v_fma_f32 v19, -v20, v21, v19
.LBB13_655:
	s_or_b64 exec, exec, s[10:11]
	s_barrier
	s_and_saveexec_b64 s[10:11], s[40:41]
; %bb.656:
	v_xor_b32_e32 v20, 0x80000000, v19
	ds_write_b32 v12, v20
; %bb.657:
	s_or_b64 exec, exec, s[10:11]
	s_waitcnt lgkmcnt(0)
	s_barrier
	s_and_saveexec_b64 s[10:11], s[42:43]
	s_cbranch_execz .LBB13_659
; %bb.658:
	v_lshlrev_b32_e32 v20, 2, v10
	ds_read_b32 v20, v20 offset:6752
	ds_read_b32 v21, v12
	s_waitcnt lgkmcnt(0)
	v_fma_f32 v19, -v20, v21, v19
.LBB13_659:
	s_or_b64 exec, exec, s[10:11]
	s_barrier
	s_and_saveexec_b64 s[10:11], s[44:45]
; %bb.660:
	v_xor_b32_e32 v20, 0x80000000, v19
	ds_write_b32 v12, v20
; %bb.661:
	s_or_b64 exec, exec, s[10:11]
	s_waitcnt lgkmcnt(0)
	s_barrier
	s_and_saveexec_b64 s[10:11], s[34:35]
	s_cbranch_execz .LBB13_663
; %bb.662:
	v_mov_b32_e32 v20, 0
	ds_read_b32 v20, v20 offset:6496
	ds_read_b32 v21, v12
	s_waitcnt lgkmcnt(0)
	v_fma_f32 v19, -v20, v21, v19
.LBB13_663:
	s_or_b64 exec, exec, s[10:11]
	s_barrier
	s_and_saveexec_b64 s[10:11], s[34:35]
; %bb.664:
	v_xor_b32_e32 v20, 0x80000000, v19
	ds_write_b32 v12, v20
; %bb.665:
	s_or_b64 exec, exec, s[10:11]
	s_waitcnt lgkmcnt(0)
	s_barrier
	s_barrier
	s_and_saveexec_b64 s[10:11], s[2:3]
; %bb.666:
	v_lshlrev_b32_e32 v20, 2, v10
	v_lshl_or_b32 v20, v11, 8, v20
	ds_write_b32 v20, v19 offset:7264
; %bb.667:
	s_or_b64 exec, exec, s[10:11]
	s_waitcnt lgkmcnt(0)
	s_barrier
	s_barrier
	s_and_saveexec_b64 s[10:11], vcc
; %bb.668:
	s_movk_i32 s12, 0x1800
	v_mov_b32_e32 v19, 1.0
	v_add_u32_e64 v20, s12, 0
	ds_write2_b32 v20, v19, v19 offset0:154 offset1:219
; %bb.669:
	s_or_b64 exec, exec, s[10:11]
	v_mov_b32_e32 v19, 0
	s_waitcnt lgkmcnt(0)
	s_barrier
	buffer_wbinvl1_vol
	s_and_saveexec_b64 s[12:13], s[0:1]
	s_cbranch_execz .LBB13_673
; %bb.670:
	v_lshlrev_b32_e32 v19, 8, v3
	v_lshlrev_b32_e32 v20, 2, v2
	ds_read_b32 v21, v20 offset:6752
	ds_read_b32 v19, v19 offset:6760
	v_mov_b32_e32 v20, 0
	v_cmp_gt_u32_e64 s[10:11], 2, v9
	s_waitcnt lgkmcnt(0)
	v_fma_f32 v19, v21, v19, 0
	s_and_saveexec_b64 s[16:17], s[10:11]
	s_cbranch_execz .LBB13_672
; %bb.671:
	v_lshlrev_b32_e32 v21, 2, v0
	ds_read_b32 v21, v21 offset:7008
	ds_read_b32 v20, v20 offset:7020
	s_waitcnt lgkmcnt(0)
	v_fmac_f32_e32 v19, v21, v20
.LBB13_672:
	s_or_b64 exec, exec, s[16:17]
.LBB13_673:
	s_or_b64 exec, exec, s[12:13]
	s_and_saveexec_b64 s[10:11], s[30:31]
; %bb.674:
	v_xor_b32_e32 v20, 0x80000000, v19
	ds_write_b32 v8, v20
; %bb.675:
	s_or_b64 exec, exec, s[10:11]
	s_waitcnt lgkmcnt(0)
	s_barrier
	s_and_saveexec_b64 s[10:11], s[28:29]
	s_cbranch_execz .LBB13_677
; %bb.676:
	v_mov_b32_e32 v20, 0
	ds_read_b32 v20, v20 offset:6496
	ds_read_b32 v21, v8
	s_waitcnt lgkmcnt(0)
	v_fma_f32 v19, -v20, v21, v19
.LBB13_677:
	s_or_b64 exec, exec, s[10:11]
	s_barrier
	s_and_saveexec_b64 s[10:11], s[28:29]
; %bb.678:
	v_xor_b32_e32 v20, 0x80000000, v19
	ds_write_b32 v8, v20
; %bb.679:
	s_or_b64 exec, exec, s[10:11]
	s_waitcnt lgkmcnt(0)
	s_barrier
	s_barrier
	s_and_saveexec_b64 s[10:11], s[0:1]
; %bb.680:
	v_lshlrev_b32_e32 v20, 2, v2
	v_lshl_or_b32 v20, v3, 8, v20
	ds_write_b32 v20, v19 offset:6752
; %bb.681:
	s_or_b64 exec, exec, s[10:11]
	s_waitcnt lgkmcnt(0)
	s_barrier
	s_barrier
	s_and_saveexec_b64 s[10:11], vcc
; %bb.682:
	s_movk_i32 s12, 0x1800
	v_mov_b32_e32 v19, 1.0
	v_add_u32_e64 v20, s12, 0
	ds_write2_b32 v20, v19, v19 offset0:24 offset1:89
; %bb.683:
	s_or_b64 exec, exec, s[10:11]
	v_mov_b32_e32 v19, 0
	s_waitcnt lgkmcnt(0)
	s_barrier
	buffer_wbinvl1_vol
	s_and_saveexec_b64 s[12:13], s[14:15]
	s_cbranch_execz .LBB13_693
; %bb.684:
	v_lshlrev_b32_e32 v21, 2, v13
	v_lshlrev_b32_e32 v20, 8, v14
	ds_read_b32 v19, v21 offset:6208
	ds_read_b32 v22, v20 offset:6240
	v_cmp_gt_u32_e64 s[10:11], 56, v9
	s_waitcnt lgkmcnt(0)
	v_fma_f32 v19, v19, v22, 0
	s_and_saveexec_b64 s[16:17], s[10:11]
	s_cbranch_execnz .LBB13_1136
; %bb.685:
	s_or_b64 exec, exec, s[16:17]
	v_cmp_gt_u32_e64 s[10:11], 48, v9
	s_and_saveexec_b64 s[16:17], s[10:11]
	s_cbranch_execnz .LBB13_1137
.LBB13_686:
	s_or_b64 exec, exec, s[16:17]
	v_cmp_gt_u32_e64 s[10:11], 40, v9
	s_and_saveexec_b64 s[16:17], s[10:11]
	s_cbranch_execnz .LBB13_1138
.LBB13_687:
	s_or_b64 exec, exec, s[16:17]
	v_cmp_gt_u32_e64 s[10:11], 32, v9
	s_and_saveexec_b64 s[16:17], s[10:11]
	s_cbranch_execnz .LBB13_1139
.LBB13_688:
	s_or_b64 exec, exec, s[16:17]
	v_cmp_gt_u32_e64 s[10:11], 24, v9
	s_and_saveexec_b64 s[16:17], s[10:11]
	s_cbranch_execnz .LBB13_1140
.LBB13_689:
	s_or_b64 exec, exec, s[16:17]
	s_and_saveexec_b64 s[10:11], s[2:3]
	s_cbranch_execnz .LBB13_1141
.LBB13_690:
	s_or_b64 exec, exec, s[10:11]
	v_cmp_gt_u32_e64 s[10:11], 8, v9
	s_and_saveexec_b64 s[16:17], s[10:11]
	s_cbranch_execz .LBB13_692
.LBB13_691:
	v_lshlrev_b32_e32 v20, 2, v0
	v_mov_b32_e32 v21, 0
	ds_read_b32 v20, v20 offset:8000
	ds_read_b32 v21, v21 offset:8060
	s_waitcnt lgkmcnt(0)
	v_fmac_f32_e32 v19, v20, v21
.LBB13_692:
	s_or_b64 exec, exec, s[16:17]
.LBB13_693:
	s_or_b64 exec, exec, s[12:13]
	s_and_saveexec_b64 s[10:11], s[46:47]
; %bb.694:
	v_xor_b32_e32 v20, 0x80000000, v19
	ds_write_b32 v15, v20
; %bb.695:
	s_or_b64 exec, exec, s[10:11]
	s_waitcnt lgkmcnt(0)
	s_barrier
	s_and_saveexec_b64 s[10:11], s[48:49]
	s_cbranch_execz .LBB13_697
; %bb.696:
	v_lshlrev_b32_e32 v20, 2, v13
	ds_read_b32 v20, v20 offset:5952
	ds_read_b32 v21, v15
	s_waitcnt lgkmcnt(0)
	v_fma_f32 v19, -v20, v21, v19
.LBB13_697:
	s_or_b64 exec, exec, s[10:11]
	s_barrier
	s_and_saveexec_b64 s[10:11], s[50:51]
; %bb.698:
	v_xor_b32_e32 v20, 0x80000000, v19
	ds_write_b32 v15, v20
; %bb.699:
	s_or_b64 exec, exec, s[10:11]
	s_waitcnt lgkmcnt(0)
	s_barrier
	s_and_saveexec_b64 s[10:11], s[52:53]
	s_cbranch_execz .LBB13_701
; %bb.700:
	v_lshlrev_b32_e32 v20, 2, v13
	ds_read_b32 v20, v20 offset:5696
	ds_read_b32 v21, v15
	s_waitcnt lgkmcnt(0)
	v_fma_f32 v19, -v20, v21, v19
.LBB13_701:
	s_or_b64 exec, exec, s[10:11]
	s_barrier
	;; [unrolled: 19-line block ×6, first 2 shown]
	s_and_saveexec_b64 s[10:11], s[72:73]
; %bb.718:
	v_xor_b32_e32 v20, 0x80000000, v19
	ds_write_b32 v15, v20
; %bb.719:
	s_or_b64 exec, exec, s[10:11]
	s_waitcnt lgkmcnt(0)
	s_barrier
	s_and_saveexec_b64 s[10:11], s[56:57]
	s_cbranch_execz .LBB13_721
; %bb.720:
	v_mov_b32_e32 v20, 0
	ds_read_b32 v20, v20 offset:4416
	ds_read_b32 v21, v15
	s_waitcnt lgkmcnt(0)
	v_fma_f32 v19, -v20, v21, v19
.LBB13_721:
	s_or_b64 exec, exec, s[10:11]
	s_barrier
	s_and_saveexec_b64 s[10:11], s[56:57]
; %bb.722:
	v_xor_b32_e32 v20, 0x80000000, v19
	ds_write_b32 v15, v20
; %bb.723:
	s_or_b64 exec, exec, s[10:11]
	s_waitcnt lgkmcnt(0)
	s_barrier
	s_barrier
	s_and_saveexec_b64 s[10:11], s[14:15]
; %bb.724:
	v_lshlrev_b32_e32 v20, 2, v13
	v_lshl_or_b32 v20, v14, 8, v20
	ds_write_b32 v20, v19 offset:6208
; %bb.725:
	s_or_b64 exec, exec, s[10:11]
	s_waitcnt lgkmcnt(0)
	s_barrier
	s_barrier
	s_and_saveexec_b64 s[10:11], vcc
; %bb.726:
	s_movk_i32 s12, 0x1400
	v_mov_b32_e32 v19, 1.0
	v_add_u32_e64 v20, s12, 0
	ds_write2_b32 v20, v19, v19 offset0:150 offset1:215
; %bb.727:
	s_or_b64 exec, exec, s[10:11]
	v_mov_b32_e32 v19, 0
	s_waitcnt lgkmcnt(0)
	s_barrier
	buffer_wbinvl1_vol
	s_and_saveexec_b64 s[12:13], s[0:1]
	s_cbranch_execz .LBB13_731
; %bb.728:
	v_lshlrev_b32_e32 v19, 8, v3
	v_lshlrev_b32_e32 v20, 2, v2
	ds_read_b32 v21, v20 offset:5712
	ds_read_b32 v19, v19 offset:5720
	v_mov_b32_e32 v20, 0
	v_cmp_gt_u32_e64 s[10:11], 2, v9
	s_waitcnt lgkmcnt(0)
	v_fma_f32 v19, v21, v19, 0
	s_and_saveexec_b64 s[16:17], s[10:11]
	s_cbranch_execz .LBB13_730
; %bb.729:
	v_lshlrev_b32_e32 v21, 2, v0
	ds_read_b32 v21, v21 offset:5968
	ds_read_b32 v20, v20 offset:5980
	s_waitcnt lgkmcnt(0)
	v_fmac_f32_e32 v19, v21, v20
.LBB13_730:
	s_or_b64 exec, exec, s[16:17]
.LBB13_731:
	s_or_b64 exec, exec, s[12:13]
	s_and_saveexec_b64 s[10:11], s[30:31]
; %bb.732:
	v_xor_b32_e32 v20, 0x80000000, v19
	ds_write_b32 v8, v20
; %bb.733:
	s_or_b64 exec, exec, s[10:11]
	s_waitcnt lgkmcnt(0)
	s_barrier
	s_and_saveexec_b64 s[10:11], s[28:29]
	s_cbranch_execz .LBB13_735
; %bb.734:
	v_mov_b32_e32 v20, 0
	ds_read_b32 v20, v20 offset:5456
	ds_read_b32 v21, v8
	s_waitcnt lgkmcnt(0)
	v_fma_f32 v19, -v20, v21, v19
.LBB13_735:
	s_or_b64 exec, exec, s[10:11]
	s_barrier
	s_and_saveexec_b64 s[10:11], s[28:29]
; %bb.736:
	v_xor_b32_e32 v20, 0x80000000, v19
	ds_write_b32 v8, v20
; %bb.737:
	s_or_b64 exec, exec, s[10:11]
	s_waitcnt lgkmcnt(0)
	s_barrier
	s_barrier
	s_and_saveexec_b64 s[10:11], s[0:1]
; %bb.738:
	v_lshlrev_b32_e32 v20, 2, v2
	v_lshl_or_b32 v20, v3, 8, v20
	ds_write_b32 v20, v19 offset:5712
; %bb.739:
	s_or_b64 exec, exec, s[10:11]
	s_waitcnt lgkmcnt(0)
	s_barrier
	s_barrier
	s_and_saveexec_b64 s[10:11], vcc
; %bb.740:
	s_movk_i32 s12, 0x1400
	v_mov_b32_e32 v19, 1.0
	v_add_u32_e64 v20, s12, 0
	ds_write2_b32 v20, v19, v19 offset0:20 offset1:85
; %bb.741:
	s_or_b64 exec, exec, s[10:11]
	v_mov_b32_e32 v19, 0
	s_waitcnt lgkmcnt(0)
	s_barrier
	buffer_wbinvl1_vol
	s_and_saveexec_b64 s[12:13], s[2:3]
	s_cbranch_execz .LBB13_747
; %bb.742:
	v_lshlrev_b32_e32 v21, 2, v10
	v_lshlrev_b32_e32 v20, 8, v11
	ds_read_b32 v19, v21 offset:5184
	ds_read_b32 v22, v20 offset:5200
	v_cmp_gt_u32_e64 s[10:11], 12, v9
	s_waitcnt lgkmcnt(0)
	v_fma_f32 v19, v19, v22, 0
	s_and_saveexec_b64 s[16:17], s[10:11]
	s_cbranch_execnz .LBB13_1142
; %bb.743:
	s_or_b64 exec, exec, s[16:17]
	v_cmp_gt_u32_e64 s[10:11], 8, v9
	s_and_saveexec_b64 s[16:17], s[10:11]
	s_cbranch_execnz .LBB13_1143
.LBB13_744:
	s_or_b64 exec, exec, s[16:17]
	v_cmp_gt_u32_e64 s[10:11], 4, v9
	s_and_saveexec_b64 s[16:17], s[10:11]
	s_cbranch_execz .LBB13_746
.LBB13_745:
	v_lshlrev_b32_e32 v20, 2, v0
	v_mov_b32_e32 v21, 0
	ds_read_b32 v20, v20 offset:5952
	ds_read_b32 v21, v21 offset:5980
	s_waitcnt lgkmcnt(0)
	v_fmac_f32_e32 v19, v20, v21
.LBB13_746:
	s_or_b64 exec, exec, s[16:17]
.LBB13_747:
	s_or_b64 exec, exec, s[12:13]
	s_and_saveexec_b64 s[10:11], s[36:37]
; %bb.748:
	v_xor_b32_e32 v20, 0x80000000, v19
	ds_write_b32 v12, v20
; %bb.749:
	s_or_b64 exec, exec, s[10:11]
	s_waitcnt lgkmcnt(0)
	s_barrier
	s_and_saveexec_b64 s[10:11], s[38:39]
	s_cbranch_execz .LBB13_751
; %bb.750:
	v_lshlrev_b32_e32 v20, 2, v10
	ds_read_b32 v20, v20 offset:4928
	ds_read_b32 v21, v12
	s_waitcnt lgkmcnt(0)
	v_fma_f32 v19, -v20, v21, v19
.LBB13_751:
	s_or_b64 exec, exec, s[10:11]
	s_barrier
	s_and_saveexec_b64 s[10:11], s[40:41]
; %bb.752:
	v_xor_b32_e32 v20, 0x80000000, v19
	ds_write_b32 v12, v20
; %bb.753:
	s_or_b64 exec, exec, s[10:11]
	s_waitcnt lgkmcnt(0)
	s_barrier
	s_and_saveexec_b64 s[10:11], s[42:43]
	s_cbranch_execz .LBB13_755
; %bb.754:
	v_lshlrev_b32_e32 v20, 2, v10
	ds_read_b32 v20, v20 offset:4672
	ds_read_b32 v21, v12
	s_waitcnt lgkmcnt(0)
	v_fma_f32 v19, -v20, v21, v19
.LBB13_755:
	s_or_b64 exec, exec, s[10:11]
	s_barrier
	s_and_saveexec_b64 s[10:11], s[44:45]
; %bb.756:
	v_xor_b32_e32 v20, 0x80000000, v19
	ds_write_b32 v12, v20
; %bb.757:
	s_or_b64 exec, exec, s[10:11]
	s_waitcnt lgkmcnt(0)
	s_barrier
	s_and_saveexec_b64 s[10:11], s[34:35]
	s_cbranch_execz .LBB13_759
; %bb.758:
	v_mov_b32_e32 v20, 0
	ds_read_b32 v20, v20 offset:4416
	ds_read_b32 v21, v12
	s_waitcnt lgkmcnt(0)
	v_fma_f32 v19, -v20, v21, v19
.LBB13_759:
	s_or_b64 exec, exec, s[10:11]
	s_barrier
	s_and_saveexec_b64 s[10:11], s[34:35]
; %bb.760:
	v_xor_b32_e32 v20, 0x80000000, v19
	ds_write_b32 v12, v20
; %bb.761:
	s_or_b64 exec, exec, s[10:11]
	s_waitcnt lgkmcnt(0)
	s_barrier
	s_barrier
	s_and_saveexec_b64 s[10:11], s[2:3]
; %bb.762:
	v_lshlrev_b32_e32 v20, 2, v10
	v_lshl_or_b32 v20, v11, 8, v20
	ds_write_b32 v20, v19 offset:5184
; %bb.763:
	s_or_b64 exec, exec, s[10:11]
	s_waitcnt lgkmcnt(0)
	s_barrier
	s_barrier
	s_and_saveexec_b64 s[10:11], vcc
; %bb.764:
	s_movk_i32 s12, 0x1000
	v_mov_b32_e32 v19, 1.0
	v_add_u32_e64 v20, s12, 0
	ds_write2_b32 v20, v19, v19 offset0:146 offset1:211
; %bb.765:
	s_or_b64 exec, exec, s[10:11]
	v_mov_b32_e32 v19, 0
	s_waitcnt lgkmcnt(0)
	s_barrier
	buffer_wbinvl1_vol
	s_and_saveexec_b64 s[12:13], s[0:1]
	s_cbranch_execz .LBB13_769
; %bb.766:
	v_lshlrev_b32_e32 v19, 8, v3
	v_lshlrev_b32_e32 v20, 2, v2
	ds_read_b32 v21, v20 offset:4672
	ds_read_b32 v19, v19 offset:4680
	v_mov_b32_e32 v20, 0
	v_cmp_gt_u32_e64 s[10:11], 2, v9
	s_waitcnt lgkmcnt(0)
	v_fma_f32 v19, v21, v19, 0
	s_and_saveexec_b64 s[16:17], s[10:11]
	s_cbranch_execz .LBB13_768
; %bb.767:
	v_lshlrev_b32_e32 v21, 2, v0
	ds_read_b32 v21, v21 offset:4928
	ds_read_b32 v20, v20 offset:4940
	s_waitcnt lgkmcnt(0)
	v_fmac_f32_e32 v19, v21, v20
.LBB13_768:
	s_or_b64 exec, exec, s[16:17]
.LBB13_769:
	s_or_b64 exec, exec, s[12:13]
	s_and_saveexec_b64 s[10:11], s[30:31]
; %bb.770:
	v_xor_b32_e32 v20, 0x80000000, v19
	ds_write_b32 v8, v20
; %bb.771:
	s_or_b64 exec, exec, s[10:11]
	s_waitcnt lgkmcnt(0)
	s_barrier
	s_and_saveexec_b64 s[10:11], s[28:29]
	s_cbranch_execz .LBB13_773
; %bb.772:
	v_mov_b32_e32 v20, 0
	ds_read_b32 v20, v20 offset:4416
	ds_read_b32 v21, v8
	s_waitcnt lgkmcnt(0)
	v_fma_f32 v19, -v20, v21, v19
.LBB13_773:
	s_or_b64 exec, exec, s[10:11]
	s_barrier
	s_and_saveexec_b64 s[10:11], s[28:29]
; %bb.774:
	v_xor_b32_e32 v20, 0x80000000, v19
	ds_write_b32 v8, v20
; %bb.775:
	s_or_b64 exec, exec, s[10:11]
	s_waitcnt lgkmcnt(0)
	s_barrier
	s_barrier
	s_and_saveexec_b64 s[10:11], s[0:1]
; %bb.776:
	v_lshlrev_b32_e32 v20, 2, v2
	v_lshl_or_b32 v20, v3, 8, v20
	ds_write_b32 v20, v19 offset:4672
; %bb.777:
	s_or_b64 exec, exec, s[10:11]
	s_waitcnt lgkmcnt(0)
	s_barrier
	s_barrier
	s_and_saveexec_b64 s[10:11], vcc
; %bb.778:
	s_movk_i32 s12, 0x1000
	v_mov_b32_e32 v19, 1.0
	v_add_u32_e64 v20, s12, 0
	ds_write2_b32 v20, v19, v19 offset0:16 offset1:81
; %bb.779:
	s_or_b64 exec, exec, s[10:11]
	v_mov_b32_e32 v19, 0
	s_waitcnt lgkmcnt(0)
	s_barrier
	buffer_wbinvl1_vol
	s_and_saveexec_b64 s[12:13], s[8:9]
	s_cbranch_execz .LBB13_807
; %bb.780:
	v_lshlrev_b32_e32 v21, 2, v16
	v_lshlrev_b32_e32 v20, 8, v17
	ds_read_b32 v19, v21 offset:4096
	ds_read_b32 v22, v20 offset:4160
	s_movk_i32 s10, 0xf0
	v_cmp_gt_u32_e64 s[10:11], s10, v9
	s_waitcnt lgkmcnt(0)
	v_fma_f32 v19, v19, v22, 0
	s_and_saveexec_b64 s[16:17], s[10:11]
	s_cbranch_execz .LBB13_782
; %bb.781:
	ds_read_b32 v22, v21 offset:4352
	ds_read_b32 v23, v20 offset:4164
	s_waitcnt lgkmcnt(0)
	v_fmac_f32_e32 v19, v22, v23
.LBB13_782:
	s_or_b64 exec, exec, s[16:17]
	s_movk_i32 s10, 0xe0
	v_cmp_gt_u32_e64 s[10:11], s10, v9
	s_and_saveexec_b64 s[16:17], s[10:11]
	s_cbranch_execz .LBB13_784
; %bb.783:
	ds_read_b32 v22, v21 offset:4608
	ds_read_b32 v23, v20 offset:4168
	s_waitcnt lgkmcnt(0)
	v_fmac_f32_e32 v19, v22, v23
.LBB13_784:
	s_or_b64 exec, exec, s[16:17]
	s_movk_i32 s10, 0xd0
	v_cmp_gt_u32_e64 s[10:11], s10, v9
	;; [unrolled: 11-line block ×10, first 2 shown]
	s_and_saveexec_b64 s[16:17], s[10:11]
	s_cbranch_execnz .LBB13_1144
; %bb.801:
	s_or_b64 exec, exec, s[16:17]
	s_and_saveexec_b64 s[10:11], s[14:15]
	s_cbranch_execnz .LBB13_1145
.LBB13_802:
	s_or_b64 exec, exec, s[10:11]
	v_cmp_gt_u32_e64 s[10:11], 48, v9
	s_and_saveexec_b64 s[16:17], s[10:11]
	s_cbranch_execnz .LBB13_1146
.LBB13_803:
	s_or_b64 exec, exec, s[16:17]
	v_cmp_gt_u32_e64 s[10:11], 32, v9
	s_and_saveexec_b64 s[16:17], s[10:11]
	s_cbranch_execnz .LBB13_1147
.LBB13_804:
	s_or_b64 exec, exec, s[16:17]
	v_cmp_gt_u32_e64 s[10:11], 16, v9
	s_and_saveexec_b64 s[16:17], s[10:11]
	s_cbranch_execz .LBB13_806
.LBB13_805:
	v_lshlrev_b32_e32 v20, 2, v0
	v_mov_b32_e32 v21, 0
	ds_read_b32 v20, v20 offset:7936
	ds_read_b32 v21, v21 offset:8060
	s_waitcnt lgkmcnt(0)
	v_fmac_f32_e32 v19, v20, v21
.LBB13_806:
	s_or_b64 exec, exec, s[16:17]
.LBB13_807:
	s_or_b64 exec, exec, s[12:13]
	s_mov_b64 s[10:11], exec
	v_readlane_b32 s12, v27, 0
	v_readlane_b32 s13, v27, 1
	s_and_b64 s[12:13], s[10:11], s[12:13]
	s_mov_b64 exec, s[12:13]
; %bb.808:
	v_xor_b32_e32 v20, 0x80000000, v19
	ds_write_b32 v18, v20
; %bb.809:
	s_or_b64 exec, exec, s[10:11]
	s_waitcnt lgkmcnt(0)
	s_barrier
	s_mov_b64 s[10:11], exec
	v_readlane_b32 s12, v27, 2
	v_readlane_b32 s13, v27, 3
	s_and_b64 s[12:13], s[10:11], s[12:13]
	s_mov_b64 exec, s[12:13]
	s_cbranch_execz .LBB13_811
; %bb.810:
	v_lshlrev_b32_e32 v20, 2, v16
	ds_read_b32 v20, v20 offset:3840
	ds_read_b32 v21, v18
	s_waitcnt lgkmcnt(0)
	v_fma_f32 v19, -v20, v21, v19
.LBB13_811:
	s_or_b64 exec, exec, s[10:11]
	s_barrier
	s_mov_b64 s[10:11], exec
	v_readlane_b32 s12, v27, 4
	v_readlane_b32 s13, v27, 5
	s_and_b64 s[12:13], s[10:11], s[12:13]
	s_mov_b64 exec, s[12:13]
; %bb.812:
	v_xor_b32_e32 v20, 0x80000000, v19
	ds_write_b32 v18, v20
; %bb.813:
	s_or_b64 exec, exec, s[10:11]
	s_waitcnt lgkmcnt(0)
	s_barrier
	s_mov_b64 s[10:11], exec
	v_readlane_b32 s12, v27, 6
	v_readlane_b32 s13, v27, 7
	s_and_b64 s[12:13], s[10:11], s[12:13]
	s_mov_b64 exec, s[12:13]
	s_cbranch_execz .LBB13_815
; %bb.814:
	v_lshlrev_b32_e32 v20, 2, v16
	ds_read_b32 v20, v20 offset:3584
	ds_read_b32 v21, v18
	s_waitcnt lgkmcnt(0)
	v_fma_f32 v19, -v20, v21, v19
.LBB13_815:
	s_or_b64 exec, exec, s[10:11]
	s_barrier
	;; [unrolled: 27-line block ×11, first 2 shown]
	s_mov_b64 s[10:11], exec
	v_readlane_b32 s12, v27, 44
	v_readlane_b32 s13, v27, 45
	s_and_b64 s[12:13], s[10:11], s[12:13]
	s_mov_b64 exec, s[12:13]
; %bb.852:
	v_xor_b32_e32 v20, 0x80000000, v19
	ds_write_b32 v18, v20
; %bb.853:
	s_or_b64 exec, exec, s[10:11]
	s_waitcnt lgkmcnt(0)
	s_barrier
	s_and_saveexec_b64 s[10:11], s[74:75]
	s_cbranch_execz .LBB13_855
; %bb.854:
	v_lshlrev_b32_e32 v20, 2, v16
	ds_read_b32 v20, v20 offset:1024
	ds_read_b32 v21, v18
	s_waitcnt lgkmcnt(0)
	v_fma_f32 v19, -v20, v21, v19
.LBB13_855:
	s_or_b64 exec, exec, s[10:11]
	s_barrier
	s_and_saveexec_b64 s[10:11], s[80:81]
; %bb.856:
	v_xor_b32_e32 v20, 0x80000000, v19
	ds_write_b32 v18, v20
; %bb.857:
	s_or_b64 exec, exec, s[10:11]
	s_waitcnt lgkmcnt(0)
	s_barrier
	s_and_saveexec_b64 s[10:11], s[82:83]
	s_cbranch_execz .LBB13_859
; %bb.858:
	v_lshlrev_b32_e32 v20, 2, v16
	ds_read_b32 v20, v20 offset:768
	ds_read_b32 v21, v18
	s_waitcnt lgkmcnt(0)
	v_fma_f32 v19, -v20, v21, v19
.LBB13_859:
	s_or_b64 exec, exec, s[10:11]
	s_barrier
	s_and_saveexec_b64 s[10:11], s[84:85]
	;; [unrolled: 19-line block ×3, first 2 shown]
; %bb.864:
	v_xor_b32_e32 v20, 0x80000000, v19
	ds_write_b32 v18, v20
; %bb.865:
	s_or_b64 exec, exec, s[10:11]
	s_waitcnt lgkmcnt(0)
	s_barrier
	s_and_saveexec_b64 s[10:11], s[94:95]
	s_cbranch_execz .LBB13_867
; %bb.866:
	v_mov_b32_e32 v20, 0
	ds_read_b32 v20, v20 offset:256
	ds_read_b32 v21, v18
	s_waitcnt lgkmcnt(0)
	v_fma_f32 v19, -v20, v21, v19
.LBB13_867:
	s_or_b64 exec, exec, s[10:11]
	s_barrier
	s_and_saveexec_b64 s[10:11], s[94:95]
; %bb.868:
	v_xor_b32_e32 v20, 0x80000000, v19
	ds_write_b32 v18, v20
; %bb.869:
	s_or_b64 exec, exec, s[10:11]
	s_waitcnt lgkmcnt(0)
	s_barrier
	s_barrier
	s_and_saveexec_b64 s[10:11], s[8:9]
; %bb.870:
	v_lshlrev_b32_e32 v16, 2, v16
	v_lshl_or_b32 v16, v17, 8, v16
	ds_write_b32 v16, v19 offset:4096
; %bb.871:
	s_or_b64 exec, exec, s[10:11]
	s_waitcnt lgkmcnt(0)
	s_barrier
	s_barrier
	s_and_saveexec_b64 s[8:9], vcc
; %bb.872:
	s_movk_i32 s10, 0xc00
	v_mov_b32_e32 v16, 1.0
	v_add_u32_e64 v17, s10, 0
	ds_write2_b32 v17, v16, v16 offset0:142 offset1:207
; %bb.873:
	s_or_b64 exec, exec, s[8:9]
	v_mov_b32_e32 v16, 0
	s_waitcnt lgkmcnt(0)
	s_barrier
	buffer_wbinvl1_vol
	s_and_saveexec_b64 s[10:11], s[0:1]
	s_cbranch_execz .LBB13_877
; %bb.874:
	v_lshlrev_b32_e32 v16, 8, v3
	v_lshlrev_b32_e32 v17, 2, v2
	ds_read_b32 v18, v17 offset:3632
	ds_read_b32 v16, v16 offset:3640
	v_mov_b32_e32 v17, 0
	v_cmp_gt_u32_e64 s[8:9], 2, v9
	s_waitcnt lgkmcnt(0)
	v_fma_f32 v16, v18, v16, 0
	s_and_saveexec_b64 s[12:13], s[8:9]
	s_cbranch_execz .LBB13_876
; %bb.875:
	v_lshlrev_b32_e32 v18, 2, v0
	ds_read_b32 v18, v18 offset:3888
	ds_read_b32 v17, v17 offset:3900
	s_waitcnt lgkmcnt(0)
	v_fmac_f32_e32 v16, v18, v17
.LBB13_876:
	s_or_b64 exec, exec, s[12:13]
.LBB13_877:
	s_or_b64 exec, exec, s[10:11]
	s_and_saveexec_b64 s[8:9], s[30:31]
; %bb.878:
	v_xor_b32_e32 v17, 0x80000000, v16
	ds_write_b32 v8, v17
; %bb.879:
	s_or_b64 exec, exec, s[8:9]
	s_waitcnt lgkmcnt(0)
	s_barrier
	s_and_saveexec_b64 s[8:9], s[28:29]
	s_cbranch_execz .LBB13_881
; %bb.880:
	v_mov_b32_e32 v17, 0
	ds_read_b32 v17, v17 offset:3376
	ds_read_b32 v18, v8
	s_waitcnt lgkmcnt(0)
	v_fma_f32 v16, -v17, v18, v16
.LBB13_881:
	s_or_b64 exec, exec, s[8:9]
	s_barrier
	s_and_saveexec_b64 s[8:9], s[28:29]
; %bb.882:
	v_xor_b32_e32 v17, 0x80000000, v16
	ds_write_b32 v8, v17
; %bb.883:
	s_or_b64 exec, exec, s[8:9]
	s_waitcnt lgkmcnt(0)
	s_barrier
	s_barrier
	s_and_saveexec_b64 s[8:9], s[0:1]
; %bb.884:
	v_lshlrev_b32_e32 v17, 2, v2
	v_lshl_or_b32 v17, v3, 8, v17
	ds_write_b32 v17, v16 offset:3632
; %bb.885:
	s_or_b64 exec, exec, s[8:9]
	s_waitcnt lgkmcnt(0)
	s_barrier
	s_barrier
	s_and_saveexec_b64 s[8:9], vcc
; %bb.886:
	s_movk_i32 s10, 0xc00
	v_mov_b32_e32 v16, 1.0
	v_add_u32_e64 v17, s10, 0
	ds_write2_b32 v17, v16, v16 offset0:12 offset1:77
; %bb.887:
	s_or_b64 exec, exec, s[8:9]
	v_mov_b32_e32 v16, 0
	s_waitcnt lgkmcnt(0)
	s_barrier
	buffer_wbinvl1_vol
	s_and_saveexec_b64 s[10:11], s[2:3]
	s_cbranch_execz .LBB13_893
; %bb.888:
	v_lshlrev_b32_e32 v18, 2, v10
	v_lshlrev_b32_e32 v17, 8, v11
	ds_read_b32 v16, v18 offset:3104
	ds_read_b32 v19, v17 offset:3120
	v_cmp_gt_u32_e64 s[8:9], 12, v9
	s_waitcnt lgkmcnt(0)
	v_fma_f32 v16, v16, v19, 0
	s_and_saveexec_b64 s[12:13], s[8:9]
	s_cbranch_execnz .LBB13_1148
; %bb.889:
	s_or_b64 exec, exec, s[12:13]
	v_cmp_gt_u32_e64 s[8:9], 8, v9
	s_and_saveexec_b64 s[12:13], s[8:9]
	s_cbranch_execnz .LBB13_1149
.LBB13_890:
	s_or_b64 exec, exec, s[12:13]
	v_cmp_gt_u32_e64 s[8:9], 4, v9
	s_and_saveexec_b64 s[12:13], s[8:9]
	s_cbranch_execz .LBB13_892
.LBB13_891:
	v_lshlrev_b32_e32 v17, 2, v0
	v_mov_b32_e32 v18, 0
	ds_read_b32 v17, v17 offset:3872
	ds_read_b32 v18, v18 offset:3900
	s_waitcnt lgkmcnt(0)
	v_fmac_f32_e32 v16, v17, v18
.LBB13_892:
	s_or_b64 exec, exec, s[12:13]
.LBB13_893:
	s_or_b64 exec, exec, s[10:11]
	s_and_saveexec_b64 s[8:9], s[36:37]
; %bb.894:
	v_xor_b32_e32 v17, 0x80000000, v16
	ds_write_b32 v12, v17
; %bb.895:
	s_or_b64 exec, exec, s[8:9]
	s_waitcnt lgkmcnt(0)
	s_barrier
	s_and_saveexec_b64 s[8:9], s[38:39]
	s_cbranch_execz .LBB13_897
; %bb.896:
	v_lshlrev_b32_e32 v17, 2, v10
	ds_read_b32 v17, v17 offset:2848
	ds_read_b32 v18, v12
	s_waitcnt lgkmcnt(0)
	v_fma_f32 v16, -v17, v18, v16
.LBB13_897:
	s_or_b64 exec, exec, s[8:9]
	s_barrier
	s_and_saveexec_b64 s[8:9], s[40:41]
; %bb.898:
	v_xor_b32_e32 v17, 0x80000000, v16
	ds_write_b32 v12, v17
; %bb.899:
	s_or_b64 exec, exec, s[8:9]
	s_waitcnt lgkmcnt(0)
	s_barrier
	s_and_saveexec_b64 s[8:9], s[42:43]
	s_cbranch_execz .LBB13_901
; %bb.900:
	v_lshlrev_b32_e32 v17, 2, v10
	ds_read_b32 v17, v17 offset:2592
	ds_read_b32 v18, v12
	s_waitcnt lgkmcnt(0)
	v_fma_f32 v16, -v17, v18, v16
.LBB13_901:
	s_or_b64 exec, exec, s[8:9]
	s_barrier
	s_and_saveexec_b64 s[8:9], s[44:45]
; %bb.902:
	v_xor_b32_e32 v17, 0x80000000, v16
	ds_write_b32 v12, v17
; %bb.903:
	s_or_b64 exec, exec, s[8:9]
	s_waitcnt lgkmcnt(0)
	s_barrier
	s_and_saveexec_b64 s[8:9], s[34:35]
	s_cbranch_execz .LBB13_905
; %bb.904:
	v_mov_b32_e32 v17, 0
	ds_read_b32 v17, v17 offset:2336
	ds_read_b32 v18, v12
	s_waitcnt lgkmcnt(0)
	v_fma_f32 v16, -v17, v18, v16
.LBB13_905:
	s_or_b64 exec, exec, s[8:9]
	s_barrier
	s_and_saveexec_b64 s[8:9], s[34:35]
; %bb.906:
	v_xor_b32_e32 v17, 0x80000000, v16
	ds_write_b32 v12, v17
; %bb.907:
	s_or_b64 exec, exec, s[8:9]
	s_waitcnt lgkmcnt(0)
	s_barrier
	s_barrier
	s_and_saveexec_b64 s[8:9], s[2:3]
; %bb.908:
	v_lshlrev_b32_e32 v17, 2, v10
	v_lshl_or_b32 v17, v11, 8, v17
	ds_write_b32 v17, v16 offset:3104
; %bb.909:
	s_or_b64 exec, exec, s[8:9]
	s_waitcnt lgkmcnt(0)
	s_barrier
	s_barrier
	s_and_saveexec_b64 s[8:9], vcc
; %bb.910:
	s_movk_i32 s10, 0x800
	v_mov_b32_e32 v16, 1.0
	v_add_u32_e64 v17, s10, 0
	ds_write2_b32 v17, v16, v16 offset0:138 offset1:203
; %bb.911:
	s_or_b64 exec, exec, s[8:9]
	v_mov_b32_e32 v16, 0
	s_waitcnt lgkmcnt(0)
	s_barrier
	buffer_wbinvl1_vol
	s_and_saveexec_b64 s[10:11], s[0:1]
	s_cbranch_execz .LBB13_915
; %bb.912:
	v_lshlrev_b32_e32 v16, 8, v3
	v_lshlrev_b32_e32 v17, 2, v2
	ds_read_b32 v18, v17 offset:2592
	ds_read_b32 v16, v16 offset:2600
	v_mov_b32_e32 v17, 0
	v_cmp_gt_u32_e64 s[8:9], 2, v9
	s_waitcnt lgkmcnt(0)
	v_fma_f32 v16, v18, v16, 0
	s_and_saveexec_b64 s[12:13], s[8:9]
	s_cbranch_execz .LBB13_914
; %bb.913:
	v_lshlrev_b32_e32 v18, 2, v0
	ds_read_b32 v18, v18 offset:2848
	ds_read_b32 v17, v17 offset:2860
	s_waitcnt lgkmcnt(0)
	v_fmac_f32_e32 v16, v18, v17
.LBB13_914:
	s_or_b64 exec, exec, s[12:13]
.LBB13_915:
	s_or_b64 exec, exec, s[10:11]
	s_and_saveexec_b64 s[8:9], s[30:31]
; %bb.916:
	v_xor_b32_e32 v17, 0x80000000, v16
	ds_write_b32 v8, v17
; %bb.917:
	s_or_b64 exec, exec, s[8:9]
	s_waitcnt lgkmcnt(0)
	s_barrier
	s_and_saveexec_b64 s[8:9], s[28:29]
	s_cbranch_execz .LBB13_919
; %bb.918:
	v_mov_b32_e32 v17, 0
	ds_read_b32 v17, v17 offset:2336
	ds_read_b32 v18, v8
	s_waitcnt lgkmcnt(0)
	v_fma_f32 v16, -v17, v18, v16
.LBB13_919:
	s_or_b64 exec, exec, s[8:9]
	s_barrier
	s_and_saveexec_b64 s[8:9], s[28:29]
; %bb.920:
	v_xor_b32_e32 v17, 0x80000000, v16
	ds_write_b32 v8, v17
; %bb.921:
	s_or_b64 exec, exec, s[8:9]
	s_waitcnt lgkmcnt(0)
	s_barrier
	s_barrier
	s_and_saveexec_b64 s[8:9], s[0:1]
; %bb.922:
	v_lshlrev_b32_e32 v17, 2, v2
	v_lshl_or_b32 v17, v3, 8, v17
	ds_write_b32 v17, v16 offset:2592
; %bb.923:
	s_or_b64 exec, exec, s[8:9]
	s_waitcnt lgkmcnt(0)
	s_barrier
	s_barrier
	s_and_saveexec_b64 s[8:9], vcc
; %bb.924:
	s_movk_i32 s10, 0x800
	v_mov_b32_e32 v16, 1.0
	v_add_u32_e64 v17, s10, 0
	ds_write2_b32 v17, v16, v16 offset0:8 offset1:73
; %bb.925:
	s_or_b64 exec, exec, s[8:9]
	v_mov_b32_e32 v16, 0
	s_waitcnt lgkmcnt(0)
	s_barrier
	buffer_wbinvl1_vol
	s_and_saveexec_b64 s[10:11], s[14:15]
	s_cbranch_execz .LBB13_935
; %bb.926:
	v_lshlrev_b32_e32 v18, 2, v13
	v_lshlrev_b32_e32 v17, 8, v14
	ds_read_b32 v16, v18 offset:2048
	ds_read_b32 v19, v17 offset:2080
	v_cmp_gt_u32_e64 s[8:9], 56, v9
	s_waitcnt lgkmcnt(0)
	v_fma_f32 v16, v16, v19, 0
	s_and_saveexec_b64 s[12:13], s[8:9]
	s_cbranch_execnz .LBB13_1150
; %bb.927:
	s_or_b64 exec, exec, s[12:13]
	v_cmp_gt_u32_e64 s[8:9], 48, v9
	s_and_saveexec_b64 s[12:13], s[8:9]
	s_cbranch_execnz .LBB13_1151
.LBB13_928:
	s_or_b64 exec, exec, s[12:13]
	v_cmp_gt_u32_e64 s[8:9], 40, v9
	s_and_saveexec_b64 s[12:13], s[8:9]
	s_cbranch_execnz .LBB13_1152
.LBB13_929:
	s_or_b64 exec, exec, s[12:13]
	v_cmp_gt_u32_e64 s[8:9], 32, v9
	s_and_saveexec_b64 s[12:13], s[8:9]
	s_cbranch_execnz .LBB13_1153
.LBB13_930:
	s_or_b64 exec, exec, s[12:13]
	v_cmp_gt_u32_e64 s[8:9], 24, v9
	s_and_saveexec_b64 s[12:13], s[8:9]
	s_cbranch_execnz .LBB13_1154
.LBB13_931:
	s_or_b64 exec, exec, s[12:13]
	s_and_saveexec_b64 s[8:9], s[2:3]
	s_cbranch_execnz .LBB13_1155
.LBB13_932:
	s_or_b64 exec, exec, s[8:9]
	v_cmp_gt_u32_e64 s[8:9], 8, v9
	s_and_saveexec_b64 s[12:13], s[8:9]
	s_cbranch_execz .LBB13_934
.LBB13_933:
	v_lshlrev_b32_e32 v17, 2, v0
	v_mov_b32_e32 v18, 0
	ds_read_b32 v17, v17 offset:3840
	ds_read_b32 v18, v18 offset:3900
	s_waitcnt lgkmcnt(0)
	v_fmac_f32_e32 v16, v17, v18
.LBB13_934:
	s_or_b64 exec, exec, s[12:13]
.LBB13_935:
	s_or_b64 exec, exec, s[10:11]
	s_and_saveexec_b64 s[8:9], s[46:47]
; %bb.936:
	v_xor_b32_e32 v17, 0x80000000, v16
	ds_write_b32 v15, v17
; %bb.937:
	s_or_b64 exec, exec, s[8:9]
	s_waitcnt lgkmcnt(0)
	s_barrier
	s_and_saveexec_b64 s[8:9], s[48:49]
	s_cbranch_execz .LBB13_939
; %bb.938:
	v_lshlrev_b32_e32 v17, 2, v13
	ds_read_b32 v17, v17 offset:1792
	ds_read_b32 v18, v15
	s_waitcnt lgkmcnt(0)
	v_fma_f32 v16, -v17, v18, v16
.LBB13_939:
	s_or_b64 exec, exec, s[8:9]
	s_barrier
	s_and_saveexec_b64 s[8:9], s[50:51]
; %bb.940:
	v_xor_b32_e32 v17, 0x80000000, v16
	ds_write_b32 v15, v17
; %bb.941:
	s_or_b64 exec, exec, s[8:9]
	s_waitcnt lgkmcnt(0)
	s_barrier
	s_and_saveexec_b64 s[8:9], s[52:53]
	s_cbranch_execz .LBB13_943
; %bb.942:
	v_lshlrev_b32_e32 v17, 2, v13
	ds_read_b32 v17, v17 offset:1536
	ds_read_b32 v18, v15
	s_waitcnt lgkmcnt(0)
	v_fma_f32 v16, -v17, v18, v16
.LBB13_943:
	s_or_b64 exec, exec, s[8:9]
	s_barrier
	;; [unrolled: 19-line block ×6, first 2 shown]
	s_and_saveexec_b64 s[8:9], s[72:73]
; %bb.960:
	v_xor_b32_e32 v17, 0x80000000, v16
	ds_write_b32 v15, v17
; %bb.961:
	s_or_b64 exec, exec, s[8:9]
	s_waitcnt lgkmcnt(0)
	s_barrier
	s_and_saveexec_b64 s[8:9], s[56:57]
	s_cbranch_execz .LBB13_963
; %bb.962:
	v_mov_b32_e32 v17, 0
	ds_read_b32 v17, v17 offset:256
	ds_read_b32 v18, v15
	s_waitcnt lgkmcnt(0)
	v_fma_f32 v16, -v17, v18, v16
.LBB13_963:
	s_or_b64 exec, exec, s[8:9]
	s_barrier
	s_and_saveexec_b64 s[8:9], s[56:57]
; %bb.964:
	v_xor_b32_e32 v17, 0x80000000, v16
	ds_write_b32 v15, v17
; %bb.965:
	s_or_b64 exec, exec, s[8:9]
	s_waitcnt lgkmcnt(0)
	s_barrier
	s_barrier
	s_and_saveexec_b64 s[8:9], s[14:15]
; %bb.966:
	v_lshlrev_b32_e32 v13, 2, v13
	v_lshl_or_b32 v13, v14, 8, v13
	ds_write_b32 v13, v16 offset:2048
; %bb.967:
	s_or_b64 exec, exec, s[8:9]
	s_waitcnt lgkmcnt(0)
	s_barrier
	s_barrier
	s_and_saveexec_b64 s[8:9], vcc
; %bb.968:
	s_movk_i32 s10, 0x400
	v_mov_b32_e32 v13, 1.0
	v_add_u32_e64 v14, s10, 0
	ds_write2_b32 v14, v13, v13 offset0:134 offset1:199
; %bb.969:
	s_or_b64 exec, exec, s[8:9]
	v_mov_b32_e32 v13, 0
	s_waitcnt lgkmcnt(0)
	s_barrier
	buffer_wbinvl1_vol
	s_and_saveexec_b64 s[10:11], s[0:1]
	s_cbranch_execz .LBB13_973
; %bb.970:
	v_lshlrev_b32_e32 v13, 8, v3
	v_lshlrev_b32_e32 v14, 2, v2
	ds_read_b32 v15, v14 offset:1552
	ds_read_b32 v13, v13 offset:1560
	v_mov_b32_e32 v14, 0
	v_cmp_gt_u32_e64 s[8:9], 2, v9
	s_waitcnt lgkmcnt(0)
	v_fma_f32 v13, v15, v13, 0
	s_and_saveexec_b64 s[12:13], s[8:9]
	s_cbranch_execz .LBB13_972
; %bb.971:
	v_lshlrev_b32_e32 v15, 2, v0
	ds_read_b32 v15, v15 offset:1808
	ds_read_b32 v14, v14 offset:1820
	s_waitcnt lgkmcnt(0)
	v_fmac_f32_e32 v13, v15, v14
.LBB13_972:
	s_or_b64 exec, exec, s[12:13]
.LBB13_973:
	s_or_b64 exec, exec, s[10:11]
	s_and_saveexec_b64 s[8:9], s[30:31]
; %bb.974:
	v_xor_b32_e32 v14, 0x80000000, v13
	ds_write_b32 v8, v14
; %bb.975:
	s_or_b64 exec, exec, s[8:9]
	s_waitcnt lgkmcnt(0)
	s_barrier
	s_and_saveexec_b64 s[8:9], s[28:29]
	s_cbranch_execz .LBB13_977
; %bb.976:
	v_mov_b32_e32 v14, 0
	ds_read_b32 v14, v14 offset:1296
	ds_read_b32 v15, v8
	s_waitcnt lgkmcnt(0)
	v_fma_f32 v13, -v14, v15, v13
.LBB13_977:
	s_or_b64 exec, exec, s[8:9]
	s_barrier
	s_and_saveexec_b64 s[8:9], s[28:29]
; %bb.978:
	v_xor_b32_e32 v14, 0x80000000, v13
	ds_write_b32 v8, v14
; %bb.979:
	s_or_b64 exec, exec, s[8:9]
	s_waitcnt lgkmcnt(0)
	s_barrier
	s_barrier
	s_and_saveexec_b64 s[8:9], s[0:1]
; %bb.980:
	v_lshlrev_b32_e32 v14, 2, v2
	v_lshl_or_b32 v14, v3, 8, v14
	ds_write_b32 v14, v13 offset:1552
; %bb.981:
	s_or_b64 exec, exec, s[8:9]
	s_waitcnt lgkmcnt(0)
	s_barrier
	s_barrier
	s_and_saveexec_b64 s[8:9], vcc
; %bb.982:
	s_movk_i32 s10, 0x400
	v_mov_b32_e32 v13, 1.0
	v_add_u32_e64 v14, s10, 0
	ds_write2_b32 v14, v13, v13 offset0:4 offset1:69
; %bb.983:
	s_or_b64 exec, exec, s[8:9]
	v_mov_b32_e32 v13, 0
	s_waitcnt lgkmcnt(0)
	s_barrier
	buffer_wbinvl1_vol
	s_and_saveexec_b64 s[10:11], s[2:3]
	s_cbranch_execz .LBB13_989
; %bb.984:
	v_lshlrev_b32_e32 v15, 2, v10
	v_lshlrev_b32_e32 v14, 8, v11
	ds_read_b32 v13, v15 offset:1024
	ds_read_b32 v16, v14 offset:1040
	v_cmp_gt_u32_e64 s[8:9], 12, v9
	s_waitcnt lgkmcnt(0)
	v_fma_f32 v13, v13, v16, 0
	s_and_saveexec_b64 s[12:13], s[8:9]
	s_cbranch_execnz .LBB13_1156
; %bb.985:
	s_or_b64 exec, exec, s[12:13]
	v_cmp_gt_u32_e64 s[8:9], 8, v9
	s_and_saveexec_b64 s[12:13], s[8:9]
	s_cbranch_execnz .LBB13_1157
.LBB13_986:
	s_or_b64 exec, exec, s[12:13]
	v_cmp_gt_u32_e64 s[8:9], 4, v9
	s_and_saveexec_b64 s[12:13], s[8:9]
	s_cbranch_execz .LBB13_988
.LBB13_987:
	v_lshlrev_b32_e32 v14, 2, v0
	v_mov_b32_e32 v15, 0
	ds_read_b32 v14, v14 offset:1792
	ds_read_b32 v15, v15 offset:1820
	s_waitcnt lgkmcnt(0)
	v_fmac_f32_e32 v13, v14, v15
.LBB13_988:
	s_or_b64 exec, exec, s[12:13]
.LBB13_989:
	s_or_b64 exec, exec, s[10:11]
	s_and_saveexec_b64 s[8:9], s[36:37]
; %bb.990:
	v_xor_b32_e32 v14, 0x80000000, v13
	ds_write_b32 v12, v14
; %bb.991:
	s_or_b64 exec, exec, s[8:9]
	s_waitcnt lgkmcnt(0)
	s_barrier
	s_and_saveexec_b64 s[8:9], s[38:39]
	s_cbranch_execz .LBB13_993
; %bb.992:
	v_lshlrev_b32_e32 v14, 2, v10
	ds_read_b32 v14, v14 offset:768
	ds_read_b32 v15, v12
	s_waitcnt lgkmcnt(0)
	v_fma_f32 v13, -v14, v15, v13
.LBB13_993:
	s_or_b64 exec, exec, s[8:9]
	s_barrier
	s_and_saveexec_b64 s[8:9], s[40:41]
; %bb.994:
	v_xor_b32_e32 v14, 0x80000000, v13
	ds_write_b32 v12, v14
; %bb.995:
	s_or_b64 exec, exec, s[8:9]
	s_waitcnt lgkmcnt(0)
	s_barrier
	s_and_saveexec_b64 s[8:9], s[42:43]
	s_cbranch_execz .LBB13_997
; %bb.996:
	v_lshlrev_b32_e32 v14, 2, v10
	ds_read_b32 v14, v14 offset:512
	ds_read_b32 v15, v12
	s_waitcnt lgkmcnt(0)
	v_fma_f32 v13, -v14, v15, v13
.LBB13_997:
	s_or_b64 exec, exec, s[8:9]
	s_barrier
	s_and_saveexec_b64 s[8:9], s[44:45]
; %bb.998:
	v_xor_b32_e32 v14, 0x80000000, v13
	ds_write_b32 v12, v14
; %bb.999:
	s_or_b64 exec, exec, s[8:9]
	s_waitcnt lgkmcnt(0)
	s_barrier
	s_and_saveexec_b64 s[8:9], s[34:35]
	s_cbranch_execz .LBB13_1001
; %bb.1000:
	v_mov_b32_e32 v14, 0
	ds_read_b32 v14, v14 offset:256
	ds_read_b32 v15, v12
	s_waitcnt lgkmcnt(0)
	v_fma_f32 v13, -v14, v15, v13
.LBB13_1001:
	s_or_b64 exec, exec, s[8:9]
	s_barrier
	s_and_saveexec_b64 s[8:9], s[34:35]
; %bb.1002:
	v_xor_b32_e32 v14, 0x80000000, v13
	ds_write_b32 v12, v14
; %bb.1003:
	s_or_b64 exec, exec, s[8:9]
	s_waitcnt lgkmcnt(0)
	s_barrier
	s_barrier
	s_and_saveexec_b64 s[8:9], s[2:3]
; %bb.1004:
	v_lshlrev_b32_e32 v10, 2, v10
	v_lshl_or_b32 v10, v11, 8, v10
	ds_write_b32 v10, v13 offset:1024
; %bb.1005:
	s_or_b64 exec, exec, s[8:9]
	s_waitcnt lgkmcnt(0)
	s_barrier
	s_barrier
	s_and_saveexec_b64 s[2:3], vcc
; %bb.1006:
	v_mov_b32_e32 v10, 1.0
	v_mov_b32_e32 v11, 0
	ds_write2_b32 v11, v10, v10 offset0:130 offset1:195
; %bb.1007:
	s_or_b64 exec, exec, s[2:3]
	v_mov_b32_e32 v10, 0
	s_waitcnt lgkmcnt(0)
	s_barrier
	buffer_wbinvl1_vol
	s_and_saveexec_b64 s[8:9], s[0:1]
	s_cbranch_execz .LBB13_1011
; %bb.1008:
	v_lshlrev_b32_e32 v10, 8, v3
	v_lshlrev_b32_e32 v11, 2, v2
	ds_read_b32 v12, v11 offset:512
	ds_read_b32 v10, v10 offset:520
	v_mov_b32_e32 v11, 0
	v_cmp_gt_u32_e64 s[2:3], 2, v9
	s_waitcnt lgkmcnt(0)
	v_fma_f32 v10, v12, v10, 0
	s_and_saveexec_b64 s[10:11], s[2:3]
	s_cbranch_execz .LBB13_1010
; %bb.1009:
	v_lshlrev_b32_e32 v9, 2, v0
	ds_read_b32 v9, v9 offset:768
	ds_read_b32 v11, v11 offset:780
	s_waitcnt lgkmcnt(0)
	v_fmac_f32_e32 v10, v9, v11
.LBB13_1010:
	s_or_b64 exec, exec, s[10:11]
.LBB13_1011:
	s_or_b64 exec, exec, s[8:9]
	s_and_saveexec_b64 s[2:3], s[30:31]
; %bb.1012:
	v_xor_b32_e32 v9, 0x80000000, v10
	ds_write_b32 v8, v9
; %bb.1013:
	s_or_b64 exec, exec, s[2:3]
	s_waitcnt lgkmcnt(0)
	s_barrier
	s_and_saveexec_b64 s[2:3], s[28:29]
	s_cbranch_execz .LBB13_1015
; %bb.1014:
	v_mov_b32_e32 v9, 0
	ds_read_b32 v9, v9 offset:256
	ds_read_b32 v11, v8
	s_waitcnt lgkmcnt(0)
	v_fma_f32 v10, -v9, v11, v10
.LBB13_1015:
	s_or_b64 exec, exec, s[2:3]
	s_barrier
	s_and_saveexec_b64 s[2:3], s[28:29]
; %bb.1016:
	v_xor_b32_e32 v9, 0x80000000, v10
	ds_write_b32 v8, v9
; %bb.1017:
	s_or_b64 exec, exec, s[2:3]
	s_waitcnt lgkmcnt(0)
	s_barrier
	s_barrier
	s_and_saveexec_b64 s[2:3], s[0:1]
; %bb.1018:
	v_lshlrev_b32_e32 v2, 2, v2
	v_lshl_or_b32 v2, v3, 8, v2
	ds_write_b32 v2, v10 offset:512
; %bb.1019:
	s_or_b64 exec, exec, s[2:3]
	s_waitcnt lgkmcnt(0)
	s_barrier
	s_barrier
	s_and_saveexec_b64 s[0:1], vcc
; %bb.1020:
	v_mov_b32_e32 v2, 1.0
	v_mov_b32_e32 v3, 0
	ds_write2_b32 v3, v2, v2 offset1:65
; %bb.1021:
	s_or_b64 exec, exec, s[0:1]
.LBB13_1022:
	s_load_dwordx8 s[8:15], s[4:5], 0x30
	s_load_dwordx2 s[16:17], s[4:5], 0x50
	v_cmp_le_i32_e32 vcc, s76, v0
	v_mov_b32_e32 v9, 0
	v_lshl_add_u32 v2, s33, 6, v0
	s_waitcnt lgkmcnt(0)
	s_mul_i32 s1, s15, s24
	s_mul_hi_u32 s2, s14, s24
	s_mul_i32 s0, s14, s24
	s_add_i32 s1, s2, s1
	s_lshl_b64 s[0:1], s[0:1], 2
	s_add_u32 s2, s8, s0
	s_addc_u32 s3, s9, s1
	s_lshl_b64 s[0:1], s[10:11], 2
	s_add_u32 s38, s2, s0
	s_addc_u32 s39, s3, s1
	s_and_b64 s[14:15], vcc, s[18:19]
	v_cmp_eq_u32_e64 s[0:1], 0, v1
	s_xor_b64 s[2:3], s[14:15], -1
	s_and_b64 s[8:9], s[0:1], s[2:3]
	s_barrier
	s_and_saveexec_b64 s[2:3], s[8:9]
	s_cbranch_execz .LBB13_1024
; %bb.1023:
	v_ashrrev_i32_e32 v3, 31, v2
	v_mul_lo_u32 v10, s13, v2
	v_mad_u64_u32 v[8:9], s[8:9], s12, v2, 0
	v_mul_lo_u32 v3, s12, v3
	s_load_dword s4, s[4:5], 0x28
	v_add3_u32 v9, v9, v3, v10
	v_lshlrev_b64 v[8:9], 2, v[8:9]
	v_mov_b32_e32 v3, s39
	v_add_co_u32_e32 v8, vcc, s38, v8
	v_addc_co_u32_e32 v9, vcc, v3, v9, vcc
	global_load_dword v3, v[8:9], off
	s_waitcnt vmcnt(0) lgkmcnt(0)
	v_mul_f32_e64 v9, v3, -s4
.LBB13_1024:
	s_or_b64 exec, exec, s[2:3]
	s_and_b32 s2, 0xffff, s79
	v_mad_u32_u24 v8, v1, s2, v0
	s_cmp_lt_i32 s6, 1
	v_cmp_eq_u32_e64 s[2:3], 0, v8
	s_cbranch_scc1 .LBB13_1050
; %bb.1025:
	v_ashrrev_i32_e32 v3, 31, v2
	v_cmp_gt_i32_e64 s[10:11], s26, v2
	v_lshlrev_b64 v[2:3], 2, v[2:3]
	s_lshl_b64 s[4:5], s[24:25], 2
	s_add_u32 s28, s16, s4
	v_mov_b32_e32 v11, 0x5000
	v_mov_b32_e32 v13, s78
	v_add_co_u32_e32 v12, vcc, s77, v2
	s_mul_i32 s8, s21, 0xc0
	s_mul_hi_u32 s9, s20, 0xc0
	s_mov_b32 s40, 0
	s_addc_u32 s29, s17, s5
	v_cmp_gt_u32_e64 s[4:5], 64, v8
	v_lshl_add_u32 v10, v8, 2, v11
	v_lshl_or_b32 v11, v1, 2, v11
	s_add_i32 s41, s33, 1
	v_addc_co_u32_e32 v13, vcc, v13, v3, vcc
	s_lshl_b64 s[30:31], s[20:21], 6
	s_lshl_b64 s[34:35], s[20:21], 7
	s_add_i32 s42, s9, s8
	s_mul_i32 s43, s20, 0xc0
	v_mov_b32_e32 v15, -1
	v_mov_b32_e32 v14, 0
	s_branch .LBB13_1028
.LBB13_1026:                            ;   in Loop: Header=BB13_1028 Depth=1
	ds_read_b32 v2, v11 offset:192
	s_waitcnt vmcnt(0) lgkmcnt(0)
	v_fmac_f32_e32 v9, v16, v2
.LBB13_1027:                            ;   in Loop: Header=BB13_1028 Depth=1
	s_or_b64 exec, exec, s[36:37]
	s_add_i32 s40, s40, 1
	s_cmp_eq_u32 s40, s6
	s_cbranch_scc1 .LBB13_1050
.LBB13_1028:                            ; =>This Loop Header: Depth=1
                                        ;     Child Loop BB13_1030 Depth 2
	v_cmp_gt_i32_e32 vcc, s40, v15
	s_and_b64 s[36:37], s[2:3], vcc
	s_and_saveexec_b64 s[8:9], s[36:37]
	s_cbranch_execz .LBB13_1031
; %bb.1029:                             ;   in Loop: Header=BB13_1028 Depth=1
	global_load_dword v15, v14, s[28:29]
	s_waitcnt vmcnt(0)
	v_cmp_le_i32_e32 vcc, s40, v15
	s_cbranch_vccnz .LBB13_1031
.LBB13_1030:                            ;   Parent Loop BB13_1028 Depth=1
                                        ; =>  This Inner Loop Header: Depth=2
	buffer_wbinvl1_vol
	global_load_dword v15, v14, s[28:29]
	s_waitcnt vmcnt(0)
	v_cmp_gt_i32_e32 vcc, s40, v15
	s_cbranch_vccnz .LBB13_1030
.LBB13_1031:                            ;   in Loop: Header=BB13_1028 Depth=1
	s_or_b64 exec, exec, s[8:9]
	s_sub_i32 s44, s7, s40
	s_lshl_b32 s45, s44, 6
	buffer_wbinvl1_vol
	s_barrier
	s_and_saveexec_b64 s[8:9], s[4:5]
	s_cbranch_execz .LBB13_1035
; %bb.1032:                             ;   in Loop: Header=BB13_1028 Depth=1
	s_ashr_i32 s36, s45, 31
	v_mov_b32_e32 v3, s36
	v_or_b32_e32 v2, s45, v8
	v_cmp_gt_i64_e32 vcc, s[26:27], v[2:3]
	v_mov_b32_e32 v16, 0
	s_and_saveexec_b64 s[36:37], vcc
	s_cbranch_execz .LBB13_1034
; %bb.1033:                             ;   in Loop: Header=BB13_1028 Depth=1
	v_mul_lo_u32 v16, v3, s12
	v_mul_lo_u32 v17, v2, s13
	v_mad_u64_u32 v[2:3], s[46:47], v2, s12, 0
	v_add3_u32 v3, v3, v17, v16
	v_lshlrev_b64 v[2:3], 2, v[2:3]
	v_mov_b32_e32 v16, s39
	v_add_co_u32_e32 v2, vcc, s38, v2
	v_addc_co_u32_e32 v3, vcc, v16, v3, vcc
	global_load_dword v16, v[2:3], off
.LBB13_1034:                            ;   in Loop: Header=BB13_1028 Depth=1
	s_or_b64 exec, exec, s[36:37]
	s_waitcnt vmcnt(0)
	ds_write_b32 v10, v16
.LBB13_1035:                            ;   in Loop: Header=BB13_1028 Depth=1
	s_or_b64 exec, exec, s[8:9]
	v_add_u32_e32 v16, s45, v1
	v_ashrrev_i32_e32 v17, 31, v16
	v_mul_lo_u32 v18, s21, v16
	v_mad_u64_u32 v[2:3], s[8:9], s20, v16, 0
	v_mul_lo_u32 v17, s20, v17
	s_cmp_lg_u32 s44, s41
	s_cselect_b64 s[8:9], -1, 0
	s_waitcnt lgkmcnt(0)
	v_add3_u32 v3, v3, v17, v18
	v_lshlrev_b64 v[2:3], 2, v[2:3]
	v_cndmask_b32_e64 v17, 0, 1, s[8:9]
	v_add_co_u32_e32 v2, vcc, v12, v2
	v_addc_co_u32_e32 v3, vcc, v13, v3, vcc
	v_cmp_gt_i32_e32 vcc, s26, v16
	s_and_b64 s[44:45], s[10:11], vcc
	v_cmp_ne_u32_e64 s[8:9], 1, v17
	s_barrier
	s_and_saveexec_b64 s[36:37], s[44:45]
	s_cbranch_execz .LBB13_1039
; %bb.1036:                             ;   in Loop: Header=BB13_1028 Depth=1
	s_and_b64 vcc, exec, s[8:9]
	v_mov_b32_e32 v17, v4
	s_cbranch_vccnz .LBB13_1038
; %bb.1037:                             ;   in Loop: Header=BB13_1028 Depth=1
	global_load_dword v17, v[2:3], off
.LBB13_1038:                            ;   in Loop: Header=BB13_1028 Depth=1
	ds_read_b32 v18, v11
	s_waitcnt vmcnt(0) lgkmcnt(0)
	v_fmac_f32_e32 v9, v17, v18
.LBB13_1039:                            ;   in Loop: Header=BB13_1028 Depth=1
	s_or_b64 exec, exec, s[36:37]
	v_add_u32_e32 v17, 16, v16
	v_cmp_gt_i32_e32 vcc, s26, v17
	s_and_b64 s[44:45], s[10:11], vcc
	s_and_saveexec_b64 s[36:37], s[44:45]
	s_cbranch_execz .LBB13_1043
; %bb.1040:                             ;   in Loop: Header=BB13_1028 Depth=1
	s_and_b64 vcc, exec, s[8:9]
	v_mov_b32_e32 v17, v5
	s_cbranch_vccnz .LBB13_1042
; %bb.1041:                             ;   in Loop: Header=BB13_1028 Depth=1
	v_mov_b32_e32 v18, s31
	v_add_co_u32_e32 v17, vcc, s30, v2
	v_addc_co_u32_e32 v18, vcc, v3, v18, vcc
	global_load_dword v17, v[17:18], off
.LBB13_1042:                            ;   in Loop: Header=BB13_1028 Depth=1
	ds_read_b32 v18, v11 offset:64
	s_waitcnt vmcnt(0) lgkmcnt(0)
	v_fmac_f32_e32 v9, v17, v18
.LBB13_1043:                            ;   in Loop: Header=BB13_1028 Depth=1
	s_or_b64 exec, exec, s[36:37]
	v_add_u32_e32 v17, 32, v16
	v_cmp_gt_i32_e32 vcc, s26, v17
	s_and_b64 s[44:45], s[10:11], vcc
	s_and_saveexec_b64 s[36:37], s[44:45]
	s_cbranch_execz .LBB13_1047
; %bb.1044:                             ;   in Loop: Header=BB13_1028 Depth=1
	s_and_b64 vcc, exec, s[8:9]
	v_mov_b32_e32 v17, v7
	s_cbranch_vccnz .LBB13_1046
; %bb.1045:                             ;   in Loop: Header=BB13_1028 Depth=1
	v_mov_b32_e32 v18, s35
	v_add_co_u32_e32 v17, vcc, s34, v2
	v_addc_co_u32_e32 v18, vcc, v3, v18, vcc
	global_load_dword v17, v[17:18], off
.LBB13_1046:                            ;   in Loop: Header=BB13_1028 Depth=1
	ds_read_b32 v18, v11 offset:128
	s_waitcnt vmcnt(0) lgkmcnt(0)
	v_fmac_f32_e32 v9, v17, v18
.LBB13_1047:                            ;   in Loop: Header=BB13_1028 Depth=1
	s_or_b64 exec, exec, s[36:37]
	v_add_u32_e32 v16, 48, v16
	v_cmp_gt_i32_e32 vcc, s26, v16
	s_and_b64 s[44:45], s[10:11], vcc
	s_and_saveexec_b64 s[36:37], s[44:45]
	s_cbranch_execz .LBB13_1027
; %bb.1048:                             ;   in Loop: Header=BB13_1028 Depth=1
	s_and_b64 vcc, exec, s[8:9]
	v_mov_b32_e32 v16, v6
	s_cbranch_vccnz .LBB13_1026
; %bb.1049:                             ;   in Loop: Header=BB13_1028 Depth=1
	v_mov_b32_e32 v16, s42
	v_add_co_u32_e32 v2, vcc, s43, v2
	v_addc_co_u32_e32 v3, vcc, v3, v16, vcc
	global_load_dword v16, v[2:3], off
	s_branch .LBB13_1026
.LBB13_1050:
	v_lshl_add_u32 v2, v1, 6, v0
	s_xor_b64 s[2:3], s[18:19], -1
	s_xor_b64 s[4:5], s[22:23], -1
	v_lshlrev_b32_e32 v2, 2, v2
	ds_write_b32 v2, v9 offset:16384
	s_waitcnt lgkmcnt(0)
	s_barrier
	s_and_saveexec_b64 s[6:7], s[0:1]
	s_cbranch_execz .LBB13_1052
; %bb.1051:
	v_lshlrev_b32_e32 v7, 2, v0
	ds_read2st64_b32 v[3:4], v7 offset0:65 offset1:66
	ds_read2st64_b32 v[5:6], v7 offset0:67 offset1:68
	;; [unrolled: 1-line block ×5, first 2 shown]
	s_waitcnt lgkmcnt(4)
	v_add_f32_e32 v3, v9, v3
	v_add_f32_e32 v3, v3, v4
	s_waitcnt lgkmcnt(3)
	v_add_f32_e32 v3, v3, v5
	v_add_f32_e32 v3, v3, v6
	;; [unrolled: 3-line block ×4, first 2 shown]
	ds_read2st64_b32 v[3:4], v7 offset0:75 offset1:76
	ds_read2st64_b32 v[5:6], v7 offset0:77 offset1:78
	ds_read_b32 v7, v7 offset:20224
	s_waitcnt lgkmcnt(3)
	v_add_f32_e32 v9, v9, v14
	v_add_f32_e32 v9, v9, v15
	s_waitcnt lgkmcnt(2)
	v_add_f32_e32 v3, v9, v3
	v_add_f32_e32 v3, v3, v4
	;; [unrolled: 3-line block ×3, first 2 shown]
	s_waitcnt lgkmcnt(0)
	v_add_f32_e32 v3, v3, v7
	v_cndmask_b32_e64 v9, -v3, 0, s[14:15]
.LBB13_1052:
	s_or_b64 exec, exec, s[6:7]
	s_andn2_b64 vcc, exec, s[4:5]
	s_cbranch_vccnz .LBB13_1066
; %bb.1053:
	v_mov_b32_e32 v3, 0x5000
	v_lshl_or_b32 v4, v1, 2, v3
	s_and_saveexec_b64 s[4:5], s[0:1]
; %bb.1054:
	v_lshl_add_u32 v3, v0, 2, v4
	ds_write_b32 v3, v9
; %bb.1055:
	s_or_b64 exec, exec, s[4:5]
	v_cmp_le_u32_e32 vcc, v0, v1
	v_mov_b32_e32 v3, 0
	s_waitcnt lgkmcnt(0)
	s_barrier
	s_and_saveexec_b64 s[4:5], vcc
	s_cbranch_execz .LBB13_1057
; %bb.1056:
	ds_read_b32 v3, v2
	ds_read_b32 v5, v4
	s_waitcnt lgkmcnt(0)
	v_fma_f32 v3, v3, v5, 0
.LBB13_1057:
	s_or_b64 exec, exec, s[4:5]
	v_add_u32_e32 v5, 16, v1
	v_cmp_le_u32_e32 vcc, v0, v5
	s_and_saveexec_b64 s[4:5], vcc
	s_cbranch_execz .LBB13_1059
; %bb.1058:
	ds_read_b32 v5, v2 offset:4096
	ds_read_b32 v6, v4 offset:64
	s_waitcnt lgkmcnt(0)
	v_fmac_f32_e32 v3, v5, v6
.LBB13_1059:
	s_or_b64 exec, exec, s[4:5]
	v_add_u32_e32 v5, 32, v1
	v_cmp_le_u32_e32 vcc, v0, v5
	s_and_saveexec_b64 s[4:5], vcc
	s_cbranch_execz .LBB13_1061
; %bb.1060:
	ds_read_b32 v5, v2 offset:8192
	ds_read_b32 v6, v4 offset:128
	s_waitcnt lgkmcnt(0)
	v_fmac_f32_e32 v3, v5, v6
.LBB13_1061:
	s_or_b64 exec, exec, s[4:5]
	v_add_u32_e32 v1, 48, v1
	v_add_u32_e32 v5, 0x4000, v2
	v_cmp_le_u32_e32 vcc, v0, v1
	s_and_saveexec_b64 s[4:5], vcc
	s_cbranch_execz .LBB13_1063
; %bb.1062:
	ds_read_b32 v1, v2 offset:12288
	ds_read_b32 v2, v4 offset:192
	s_waitcnt lgkmcnt(0)
	v_fmac_f32_e32 v3, v1, v2
.LBB13_1063:
	s_or_b64 exec, exec, s[4:5]
	s_mov_b64 s[6:7], 0
	s_mov_b64 s[4:5], 0
	ds_write_b32 v5, v3
	s_waitcnt lgkmcnt(0)
	s_barrier
                                        ; implicit-def: $vgpr1
	s_and_saveexec_b64 s[8:9], s[0:1]
	s_cbranch_execz .LBB13_1104
; %bb.1064:
	v_lshlrev_b32_e32 v12, 2, v0
	ds_read2st64_b32 v[1:2], v12 offset0:65 offset1:66
	ds_read2st64_b32 v[4:5], v12 offset0:67 offset1:68
	;; [unrolled: 1-line block ×4, first 2 shown]
	s_mov_b64 s[4:5], exec
	s_waitcnt lgkmcnt(3)
	v_add_f32_e32 v1, v3, v1
	v_add_f32_e32 v1, v2, v1
	s_waitcnt lgkmcnt(2)
	v_add_f32_e32 v1, v4, v1
	v_add_f32_e32 v1, v5, v1
	;; [unrolled: 3-line block ×3, first 2 shown]
	s_waitcnt lgkmcnt(0)
	v_add_f32_e32 v3, v10, v1
	ds_read2st64_b32 v[1:2], v12 offset0:73 offset1:74
	v_add_f32_e32 v7, v11, v3
	ds_read2st64_b32 v[3:4], v12 offset0:75 offset1:76
	ds_read2st64_b32 v[5:6], v12 offset0:77 offset1:78
	ds_read_b32 v10, v12 offset:20224
	s_waitcnt lgkmcnt(3)
	v_add_f32_e32 v1, v1, v7
	v_add_f32_e32 v1, v2, v1
	s_waitcnt lgkmcnt(2)
	v_add_f32_e32 v1, v3, v1
	v_add_f32_e32 v1, v4, v1
	;; [unrolled: 3-line block ×3, first 2 shown]
	s_waitcnt lgkmcnt(0)
	v_add_f32_e32 v1, v10, v1
	s_or_b64 exec, exec, s[8:9]
	s_and_b64 vcc, exec, s[6:7]
	s_cbranch_vccnz .LBB13_1067
	s_branch .LBB13_1105
.LBB13_1065:
	v_mad_u64_u32 v[10:11], s[0:1], s20, v8, 0
	s_or_b64 s[8:9], s[8:9], exec
	v_mad_u64_u32 v[11:12], s[0:1], s21, v8, v[11:12]
	v_lshlrev_b64 v[10:11], 2, v[10:11]
	v_add_co_u32_e32 v2, vcc, v2, v10
	v_addc_co_u32_e32 v3, vcc, v3, v11, vcc
	global_load_dword v2, v[2:3], off
	s_waitcnt vmcnt(0)
	v_xor_b32_e32 v10, 0x80000000, v2
	s_or_b64 exec, exec, s[2:3]
	s_and_saveexec_b64 s[0:1], s[8:9]
	s_cbranch_execnz .LBB13_45
	s_branch .LBB13_46
.LBB13_1066:
	s_mov_b64 s[4:5], 0
                                        ; implicit-def: $vgpr1
	s_cbranch_execz .LBB13_1105
.LBB13_1067:
	v_mov_b32_e32 v1, 0x3c00
	v_lshl_add_u32 v1, v0, 2, v1
	v_mov_b32_e32 v3, 63
	v_mov_b32_e32 v2, 0
	s_branch .LBB13_1069
.LBB13_1068:                            ;   in Loop: Header=BB13_1069 Depth=1
	s_or_b64 exec, exec, s[6:7]
	v_subrev_co_u32_e32 v3, vcc, 1, v3
	s_andn2_b64 vcc, exec, vcc
	v_add_u32_e32 v1, 0xfffffc00, v1
	s_barrier
	s_cbranch_vccz .LBB13_1085
.LBB13_1069:                            ; =>This Inner Loop Header: Depth=1
	v_cmp_eq_u32_e32 vcc, v0, v3
	s_and_b64 s[8:9], s[0:1], vcc
	s_and_saveexec_b64 s[6:7], s[8:9]
; %bb.1070:                             ;   in Loop: Header=BB13_1069 Depth=1
	ds_write_b32 v2, v9 offset:20736
; %bb.1071:                             ;   in Loop: Header=BB13_1069 Depth=1
	s_or_b64 exec, exec, s[6:7]
	v_cmp_lt_u32_e32 vcc, v0, v3
	s_and_b64 s[8:9], s[0:1], vcc
	s_waitcnt lgkmcnt(0)
	s_barrier
	s_and_saveexec_b64 s[6:7], s[8:9]
	s_cbranch_execz .LBB13_1073
; %bb.1072:                             ;   in Loop: Header=BB13_1069 Depth=1
	ds_read_b32 v4, v1 offset:768
	ds_read_b32 v5, v2 offset:20736
	s_waitcnt lgkmcnt(0)
	v_fmac_f32_e32 v9, v4, v5
.LBB13_1073:                            ;   in Loop: Header=BB13_1069 Depth=1
	s_or_b64 exec, exec, s[6:7]
	v_add_u32_e32 v3, -1, v3
	v_cmp_eq_u32_e32 vcc, v0, v3
	s_and_b64 s[8:9], s[0:1], vcc
	s_barrier
	s_and_saveexec_b64 s[6:7], s[8:9]
; %bb.1074:                             ;   in Loop: Header=BB13_1069 Depth=1
	ds_write_b32 v2, v9 offset:20736
; %bb.1075:                             ;   in Loop: Header=BB13_1069 Depth=1
	s_or_b64 exec, exec, s[6:7]
	v_cmp_lt_u32_e32 vcc, v0, v3
	s_and_b64 s[8:9], s[0:1], vcc
	s_waitcnt lgkmcnt(0)
	s_barrier
	s_and_saveexec_b64 s[6:7], s[8:9]
	s_cbranch_execz .LBB13_1077
; %bb.1076:                             ;   in Loop: Header=BB13_1069 Depth=1
	ds_read_b32 v4, v1 offset:512
	ds_read_b32 v5, v2 offset:20736
	s_waitcnt lgkmcnt(0)
	v_fmac_f32_e32 v9, v4, v5
.LBB13_1077:                            ;   in Loop: Header=BB13_1069 Depth=1
	s_or_b64 exec, exec, s[6:7]
	v_add_u32_e32 v3, -1, v3
	v_cmp_eq_u32_e32 vcc, v0, v3
	s_and_b64 s[8:9], s[0:1], vcc
	s_barrier
	;; [unrolled: 22-line block ×3, first 2 shown]
	s_and_saveexec_b64 s[6:7], s[8:9]
; %bb.1082:                             ;   in Loop: Header=BB13_1069 Depth=1
	ds_write_b32 v2, v9 offset:20736
; %bb.1083:                             ;   in Loop: Header=BB13_1069 Depth=1
	s_or_b64 exec, exec, s[6:7]
	v_cmp_lt_u32_e32 vcc, v0, v3
	s_and_b64 s[8:9], s[0:1], vcc
	s_waitcnt lgkmcnt(0)
	s_barrier
	s_and_saveexec_b64 s[6:7], s[8:9]
	s_cbranch_execz .LBB13_1068
; %bb.1084:                             ;   in Loop: Header=BB13_1069 Depth=1
	ds_read_b32 v4, v1
	ds_read_b32 v5, v2 offset:20736
	s_waitcnt lgkmcnt(0)
	v_fmac_f32_e32 v9, v4, v5
	s_branch .LBB13_1068
.LBB13_1085:
	s_mov_b64 s[6:7], -1
	s_and_b64 vcc, exec, s[2:3]
	s_cbranch_vccnz .LBB13_1106
; %bb.1086:
	s_andn2_b64 vcc, exec, s[6:7]
	s_cbranch_vccz .LBB13_1107
.LBB13_1087:
	s_and_saveexec_b64 s[0:1], s[4:5]
	s_cbranch_execz .LBB13_1089
.LBB13_1088:
	s_lshl_b32 s2, s33, 6
	s_ashr_i32 s3, s2, 31
	v_mov_b32_e32 v0, s3
	v_add_co_u32_e32 v1, vcc, s2, v8
	v_addc_co_u32_e32 v0, vcc, 0, v0, vcc
	v_mul_lo_u32 v2, v0, s12
	v_mul_lo_u32 v3, v1, s13
	v_mad_u64_u32 v[0:1], s[2:3], v1, s12, 0
	v_add3_u32 v1, v1, v3, v2
	v_lshlrev_b64 v[0:1], 2, v[0:1]
	v_mov_b32_e32 v2, s39
	v_add_co_u32_e32 v0, vcc, s38, v0
	v_addc_co_u32_e32 v1, vcc, v2, v1, vcc
	global_store_dword v[0:1], v9, off
.LBB13_1089:
	s_or_b64 exec, exec, s[0:1]
	v_cmp_eq_u32_e32 vcc, 0, v8
	s_waitcnt vmcnt(0)
	buffer_wbinvl1_vol
	s_barrier
	s_and_saveexec_b64 s[0:1], vcc
	s_cbranch_execz .LBB13_1091
; %bb.1090:
	s_lshl_b64 s[2:3], s[24:25], 2
	s_add_u32 s2, s16, s2
	s_addc_u32 s3, s17, s3
	v_mov_b32_e32 v0, 0
	global_load_dword v1, v0, s[2:3]
	s_waitcnt vmcnt(0)
	v_add_u32_e32 v1, 1, v1
	global_store_dword v0, v1, s[2:3]
.LBB13_1091:
	s_or_b64 exec, exec, s[0:1]
	s_waitcnt vmcnt(0)
	buffer_wbinvl1_vol
	s_endpgm
.LBB13_1092:
	v_or_b32_e32 v10, v1, v0
	v_cmp_gt_u32_e32 vcc, 64, v10
	s_and_b64 s[2:3], vcc, exec
	s_andn2_saveexec_b64 s[0:1], s[0:1]
	s_cbranch_execz .LBB13_14
.LBB13_1093:
	v_mad_u64_u32 v[9:10], s[8:9], s20, v1, 0
	s_or_b64 s[2:3], s[2:3], exec
	v_mad_u64_u32 v[10:11], s[8:9], s21, v1, v[10:11]
	v_lshlrev_b64 v[9:10], 2, v[9:10]
	v_add_co_u32_e32 v9, vcc, v2, v9
	v_addc_co_u32_e32 v10, vcc, v3, v10, vcc
	global_load_dword v9, v[9:10], off
	s_waitcnt vmcnt(0)
	v_xor_b32_e32 v9, 0x80000000, v9
	s_or_b64 exec, exec, s[0:1]
	s_and_saveexec_b64 s[0:1], s[2:3]
	s_cbranch_execnz .LBB13_15
	s_branch .LBB13_16
.LBB13_1094:
	v_or_b32_e32 v10, v9, v0
	v_cmp_gt_u32_e32 vcc, 64, v10
	s_and_b64 s[0:1], vcc, exec
	s_or_saveexec_b64 s[2:3], s[2:3]
	v_mov_b32_e32 v10, 0
	s_xor_b64 exec, exec, s[2:3]
	s_cbranch_execz .LBB13_18
.LBB13_1095:
	v_mad_u64_u32 v[10:11], s[8:9], s20, v9, 0
	s_or_b64 s[0:1], s[0:1], exec
	v_mad_u64_u32 v[11:12], s[8:9], s21, v9, v[11:12]
	v_lshlrev_b64 v[10:11], 2, v[10:11]
	v_add_co_u32_e32 v10, vcc, v2, v10
	v_addc_co_u32_e32 v11, vcc, v3, v11, vcc
	global_load_dword v10, v[10:11], off
	s_waitcnt vmcnt(0)
	v_xor_b32_e32 v10, 0x80000000, v10
	s_or_b64 exec, exec, s[2:3]
	s_and_saveexec_b64 s[2:3], s[0:1]
	s_cbranch_execnz .LBB13_19
	s_branch .LBB13_20
.LBB13_1096:
	v_or_b32_e32 v10, v9, v0
	v_cmp_gt_u32_e32 vcc, 64, v10
	s_and_b64 s[0:1], vcc, exec
	s_or_saveexec_b64 s[2:3], s[2:3]
	v_mov_b32_e32 v10, 0
	s_xor_b64 exec, exec, s[2:3]
	s_cbranch_execz .LBB13_22
.LBB13_1097:
	v_mad_u64_u32 v[10:11], s[8:9], s20, v9, 0
	s_or_b64 s[0:1], s[0:1], exec
	v_mad_u64_u32 v[11:12], s[8:9], s21, v9, v[11:12]
	v_lshlrev_b64 v[10:11], 2, v[10:11]
	v_add_co_u32_e32 v10, vcc, v2, v10
	v_addc_co_u32_e32 v11, vcc, v3, v11, vcc
	global_load_dword v10, v[10:11], off
	s_waitcnt vmcnt(0)
	v_xor_b32_e32 v10, 0x80000000, v10
	s_or_b64 exec, exec, s[2:3]
	s_and_saveexec_b64 s[2:3], s[0:1]
	s_cbranch_execnz .LBB13_23
	s_branch .LBB13_24
.LBB13_1098:
	v_or_b32_e32 v10, v1, v0
	v_cmp_gt_u32_e64 s[0:1], 64, v10
	s_and_b64 s[2:3], s[0:1], exec
	s_andn2_saveexec_b64 s[10:11], s[10:11]
	s_cbranch_execz .LBB13_30
.LBB13_1099:
	v_mad_u64_u32 v[9:10], s[0:1], s20, v1, 0
	s_or_b64 s[2:3], s[2:3], exec
	v_mad_u64_u32 v[10:11], s[0:1], s21, v1, v[10:11]
	v_lshlrev_b64 v[9:10], 2, v[9:10]
	v_add_co_u32_e64 v9, s[0:1], v2, v9
	v_addc_co_u32_e64 v10, s[0:1], v3, v10, s[0:1]
	global_load_dword v9, v[9:10], off
	s_waitcnt vmcnt(0)
	v_xor_b32_e32 v9, 0x80000000, v9
	s_or_b64 exec, exec, s[10:11]
	s_and_saveexec_b64 s[0:1], s[2:3]
	s_cbranch_execnz .LBB13_31
	s_branch .LBB13_32
.LBB13_1100:
	v_or_b32_e32 v10, v9, v0
	v_cmp_gt_u32_e64 s[0:1], 64, v10
	s_and_b64 s[2:3], s[0:1], exec
	s_or_saveexec_b64 s[10:11], s[10:11]
	v_mov_b32_e32 v10, 0
	s_xor_b64 exec, exec, s[10:11]
	s_cbranch_execz .LBB13_34
.LBB13_1101:
	v_mad_u64_u32 v[10:11], s[0:1], s20, v9, 0
	s_or_b64 s[2:3], s[2:3], exec
	v_mad_u64_u32 v[11:12], s[0:1], s21, v9, v[11:12]
	v_lshlrev_b64 v[10:11], 2, v[10:11]
	v_add_co_u32_e64 v10, s[0:1], v2, v10
	v_addc_co_u32_e64 v11, s[0:1], v3, v11, s[0:1]
	global_load_dword v10, v[10:11], off
	s_waitcnt vmcnt(0)
	v_xor_b32_e32 v10, 0x80000000, v10
	s_or_b64 exec, exec, s[10:11]
	s_and_saveexec_b64 s[0:1], s[2:3]
	s_cbranch_execnz .LBB13_35
	s_branch .LBB13_36
.LBB13_1102:
	v_or_b32_e32 v10, v9, v0
	v_cmp_gt_u32_e64 s[0:1], 64, v10
	s_and_b64 s[2:3], s[0:1], exec
	s_or_saveexec_b64 s[10:11], s[10:11]
	v_mov_b32_e32 v10, 0
	s_xor_b64 exec, exec, s[10:11]
	s_cbranch_execz .LBB13_38
.LBB13_1103:
	v_mad_u64_u32 v[10:11], s[0:1], s20, v9, 0
	s_or_b64 s[2:3], s[2:3], exec
	v_mad_u64_u32 v[11:12], s[0:1], s21, v9, v[11:12]
	v_lshlrev_b64 v[10:11], 2, v[10:11]
	v_add_co_u32_e64 v10, s[0:1], v2, v10
	v_addc_co_u32_e64 v11, s[0:1], v3, v11, s[0:1]
	global_load_dword v10, v[10:11], off
	s_waitcnt vmcnt(0)
	v_xor_b32_e32 v10, 0x80000000, v10
	s_or_b64 exec, exec, s[10:11]
	s_and_saveexec_b64 s[0:1], s[2:3]
	s_cbranch_execnz .LBB13_39
	s_branch .LBB13_40
.LBB13_1104:
	s_or_b64 exec, exec, s[8:9]
	s_and_b64 vcc, exec, s[6:7]
	s_cbranch_vccnz .LBB13_1067
.LBB13_1105:
	v_mov_b32_e32 v9, v1
	s_and_saveexec_b64 s[0:1], s[4:5]
	s_cbranch_execnz .LBB13_1088
	s_branch .LBB13_1089
.LBB13_1106:
	s_andn2_b64 s[2:3], s[4:5], exec
	s_and_b64 s[4:5], s[0:1], exec
	s_or_b64 s[4:5], s[2:3], s[4:5]
	s_cbranch_execnz .LBB13_1087
.LBB13_1107:
	v_cmp_gt_i32_e32 vcc, s76, v0
	s_and_b64 s[0:1], s[0:1], vcc
	s_andn2_b64 s[2:3], s[4:5], exec
	s_and_b64 s[0:1], s[0:1], exec
	s_or_b64 s[4:5], s[2:3], s[0:1]
	s_and_saveexec_b64 s[0:1], s[4:5]
	s_cbranch_execnz .LBB13_1088
	s_branch .LBB13_1089
.LBB13_1108:
	ds_read_b32 v16, v15 offset:15840
	ds_read_b32 v17, v14 offset:15604
	s_waitcnt lgkmcnt(0)
	v_fmac_f32_e32 v13, v16, v17
	s_or_b64 exec, exec, s[14:15]
	v_cmp_gt_u32_e64 s[10:11], 8, v9
	s_and_saveexec_b64 s[14:15], s[10:11]
	s_cbranch_execz .LBB13_66
.LBB13_1109:
	ds_read_b32 v15, v15 offset:16096
	ds_read_b32 v14, v14 offset:15608
	s_waitcnt lgkmcnt(0)
	v_fmac_f32_e32 v13, v15, v14
	s_or_b64 exec, exec, s[14:15]
	v_cmp_gt_u32_e64 s[10:11], 4, v9
	s_and_saveexec_b64 s[14:15], s[10:11]
	s_cbranch_execnz .LBB13_67
	s_branch .LBB13_68
.LBB13_1110:
	ds_read_b32 v19, v18 offset:14784
	ds_read_b32 v20, v17 offset:14564
	s_waitcnt lgkmcnt(0)
	v_fmac_f32_e32 v16, v19, v20
	s_or_b64 exec, exec, s[16:17]
	v_cmp_gt_u32_e64 s[10:11], 48, v9
	s_and_saveexec_b64 s[16:17], s[10:11]
	s_cbranch_execz .LBB13_104
.LBB13_1111:
	ds_read_b32 v19, v18 offset:15040
	ds_read_b32 v20, v17 offset:14568
	s_waitcnt lgkmcnt(0)
	v_fmac_f32_e32 v16, v19, v20
	s_or_b64 exec, exec, s[16:17]
	v_cmp_gt_u32_e64 s[10:11], 40, v9
	s_and_saveexec_b64 s[16:17], s[10:11]
	s_cbranch_execz .LBB13_105
.LBB13_1112:
	ds_read_b32 v19, v18 offset:15296
	ds_read_b32 v20, v17 offset:14572
	s_waitcnt lgkmcnt(0)
	v_fmac_f32_e32 v16, v19, v20
	s_or_b64 exec, exec, s[16:17]
	v_cmp_gt_u32_e64 s[10:11], 32, v9
	s_and_saveexec_b64 s[16:17], s[10:11]
	s_cbranch_execz .LBB13_106
.LBB13_1113:
	ds_read_b32 v19, v18 offset:15552
	ds_read_b32 v20, v17 offset:14576
	s_waitcnt lgkmcnt(0)
	v_fmac_f32_e32 v16, v19, v20
	s_or_b64 exec, exec, s[16:17]
	v_cmp_gt_u32_e64 s[10:11], 24, v9
	s_and_saveexec_b64 s[16:17], s[10:11]
	s_cbranch_execz .LBB13_107
.LBB13_1114:
	ds_read_b32 v19, v18 offset:15808
	ds_read_b32 v20, v17 offset:14580
	s_waitcnt lgkmcnt(0)
	v_fmac_f32_e32 v16, v19, v20
	s_or_b64 exec, exec, s[16:17]
	s_and_saveexec_b64 s[10:11], s[2:3]
	s_cbranch_execz .LBB13_108
.LBB13_1115:
	ds_read_b32 v18, v18 offset:16064
	ds_read_b32 v17, v17 offset:14584
	s_waitcnt lgkmcnt(0)
	v_fmac_f32_e32 v16, v18, v17
	s_or_b64 exec, exec, s[10:11]
	v_cmp_gt_u32_e64 s[10:11], 8, v9
	s_and_saveexec_b64 s[16:17], s[10:11]
	s_cbranch_execnz .LBB13_109
	s_branch .LBB13_110
.LBB13_1116:
	ds_read_b32 v19, v18 offset:13760
	ds_read_b32 v20, v17 offset:13524
	s_waitcnt lgkmcnt(0)
	v_fmac_f32_e32 v16, v19, v20
	s_or_b64 exec, exec, s[12:13]
	v_cmp_gt_u32_e64 s[8:9], 8, v9
	s_and_saveexec_b64 s[12:13], s[8:9]
	s_cbranch_execz .LBB13_162
.LBB13_1117:
	ds_read_b32 v18, v18 offset:14016
	ds_read_b32 v17, v17 offset:13528
	s_waitcnt lgkmcnt(0)
	v_fmac_f32_e32 v16, v18, v17
	s_or_b64 exec, exec, s[12:13]
	v_cmp_gt_u32_e64 s[8:9], 4, v9
	s_and_saveexec_b64 s[12:13], s[8:9]
	s_cbranch_execnz .LBB13_163
	s_branch .LBB13_164
.LBB13_1118:
	ds_read_b32 v22, v21 offset:15232
	ds_read_b32 v23, v20 offset:12524
	s_waitcnt lgkmcnt(0)
	v_fmac_f32_e32 v19, v22, v23
	s_or_b64 exec, exec, s[74:75]
	s_and_saveexec_b64 s[12:13], s[14:15]
	s_cbranch_execz .LBB13_220
.LBB13_1119:
	ds_read_b32 v22, v21 offset:15488
	ds_read_b32 v23, v20 offset:12528
	s_waitcnt lgkmcnt(0)
	v_fmac_f32_e32 v19, v22, v23
	s_or_b64 exec, exec, s[12:13]
	v_cmp_gt_u32_e64 s[12:13], 48, v9
	s_and_saveexec_b64 s[74:75], s[12:13]
	s_cbranch_execz .LBB13_221
.LBB13_1120:
	ds_read_b32 v22, v21 offset:15744
	ds_read_b32 v23, v20 offset:12532
	s_waitcnt lgkmcnt(0)
	v_fmac_f32_e32 v19, v22, v23
	s_or_b64 exec, exec, s[74:75]
	v_cmp_gt_u32_e64 s[12:13], 32, v9
	s_and_saveexec_b64 s[74:75], s[12:13]
	s_cbranch_execz .LBB13_222
.LBB13_1121:
	ds_read_b32 v21, v21 offset:16000
	ds_read_b32 v20, v20 offset:12536
	s_waitcnt lgkmcnt(0)
	v_fmac_f32_e32 v19, v21, v20
	s_or_b64 exec, exec, s[74:75]
	v_cmp_gt_u32_e64 s[12:13], 16, v9
	s_and_saveexec_b64 s[74:75], s[12:13]
	s_cbranch_execnz .LBB13_223
	s_branch .LBB13_224
.LBB13_1122:
	ds_read_b32 v22, v21 offset:11680
	ds_read_b32 v23, v20 offset:11444
	s_waitcnt lgkmcnt(0)
	v_fmac_f32_e32 v19, v22, v23
	s_or_b64 exec, exec, s[16:17]
	v_cmp_gt_u32_e64 s[10:11], 8, v9
	s_and_saveexec_b64 s[16:17], s[10:11]
	s_cbranch_execz .LBB13_308
.LBB13_1123:
	ds_read_b32 v21, v21 offset:11936
	ds_read_b32 v20, v20 offset:11448
	s_waitcnt lgkmcnt(0)
	v_fmac_f32_e32 v19, v21, v20
	s_or_b64 exec, exec, s[16:17]
	v_cmp_gt_u32_e64 s[10:11], 4, v9
	s_and_saveexec_b64 s[16:17], s[10:11]
	s_cbranch_execnz .LBB13_309
	s_branch .LBB13_310
.LBB13_1124:
	ds_read_b32 v22, v21 offset:10624
	ds_read_b32 v23, v20 offset:10404
	s_waitcnt lgkmcnt(0)
	v_fmac_f32_e32 v19, v22, v23
	s_or_b64 exec, exec, s[16:17]
	v_cmp_gt_u32_e64 s[10:11], 48, v9
	s_and_saveexec_b64 s[16:17], s[10:11]
	s_cbranch_execz .LBB13_346
.LBB13_1125:
	ds_read_b32 v22, v21 offset:10880
	ds_read_b32 v23, v20 offset:10408
	s_waitcnt lgkmcnt(0)
	v_fmac_f32_e32 v19, v22, v23
	s_or_b64 exec, exec, s[16:17]
	v_cmp_gt_u32_e64 s[10:11], 40, v9
	s_and_saveexec_b64 s[16:17], s[10:11]
	s_cbranch_execz .LBB13_347
.LBB13_1126:
	ds_read_b32 v22, v21 offset:11136
	ds_read_b32 v23, v20 offset:10412
	s_waitcnt lgkmcnt(0)
	v_fmac_f32_e32 v19, v22, v23
	s_or_b64 exec, exec, s[16:17]
	v_cmp_gt_u32_e64 s[10:11], 32, v9
	s_and_saveexec_b64 s[16:17], s[10:11]
	s_cbranch_execz .LBB13_348
.LBB13_1127:
	ds_read_b32 v22, v21 offset:11392
	ds_read_b32 v23, v20 offset:10416
	s_waitcnt lgkmcnt(0)
	v_fmac_f32_e32 v19, v22, v23
	s_or_b64 exec, exec, s[16:17]
	v_cmp_gt_u32_e64 s[10:11], 24, v9
	s_and_saveexec_b64 s[16:17], s[10:11]
	s_cbranch_execz .LBB13_349
.LBB13_1128:
	ds_read_b32 v22, v21 offset:11648
	ds_read_b32 v23, v20 offset:10420
	s_waitcnt lgkmcnt(0)
	v_fmac_f32_e32 v19, v22, v23
	s_or_b64 exec, exec, s[16:17]
	s_and_saveexec_b64 s[10:11], s[2:3]
	s_cbranch_execz .LBB13_350
.LBB13_1129:
	ds_read_b32 v21, v21 offset:11904
	ds_read_b32 v20, v20 offset:10424
	s_waitcnt lgkmcnt(0)
	v_fmac_f32_e32 v19, v21, v20
	s_or_b64 exec, exec, s[10:11]
	v_cmp_gt_u32_e64 s[10:11], 8, v9
	s_and_saveexec_b64 s[16:17], s[10:11]
	s_cbranch_execnz .LBB13_351
	s_branch .LBB13_352
.LBB13_1130:
	ds_read_b32 v22, v21 offset:9600
	ds_read_b32 v23, v20 offset:9364
	s_waitcnt lgkmcnt(0)
	v_fmac_f32_e32 v19, v22, v23
	s_or_b64 exec, exec, s[16:17]
	v_cmp_gt_u32_e64 s[10:11], 8, v9
	s_and_saveexec_b64 s[16:17], s[10:11]
	s_cbranch_execz .LBB13_404
.LBB13_1131:
	ds_read_b32 v21, v21 offset:9856
	ds_read_b32 v20, v20 offset:9368
	s_waitcnt lgkmcnt(0)
	v_fmac_f32_e32 v19, v21, v20
	s_or_b64 exec, exec, s[16:17]
	v_cmp_gt_u32_e64 s[10:11], 4, v9
	s_and_saveexec_b64 s[16:17], s[10:11]
	s_cbranch_execnz .LBB13_405
	s_branch .LBB13_406
.LBB13_1132:
	ds_read_b32 v25, v24 offset:15616
	ds_read_b32 v26, v23 offset:8436
	s_waitcnt lgkmcnt(0)
	v_fmac_f32_e32 v21, v25, v26
	s_or_b64 exec, exec, s[92:93]
	s_and_saveexec_b64 s[16:17], s[14:15]
	s_cbranch_execz .LBB13_498
.LBB13_1133:
	ds_read_b32 v24, v24 offset:15872
	ds_read_b32 v23, v23 offset:8440
	s_waitcnt lgkmcnt(0)
	v_fmac_f32_e32 v21, v24, v23
	s_or_b64 exec, exec, s[16:17]
	v_cmp_gt_u32_e64 s[16:17], 32, v9
	s_and_saveexec_b64 s[92:93], s[16:17]
	s_cbranch_execnz .LBB13_499
	s_branch .LBB13_500
.LBB13_1134:
	ds_read_b32 v22, v21 offset:7520
	ds_read_b32 v23, v20 offset:7284
	s_waitcnt lgkmcnt(0)
	v_fmac_f32_e32 v19, v22, v23
	s_or_b64 exec, exec, s[16:17]
	v_cmp_gt_u32_e64 s[10:11], 8, v9
	s_and_saveexec_b64 s[16:17], s[10:11]
	s_cbranch_execz .LBB13_648
.LBB13_1135:
	ds_read_b32 v21, v21 offset:7776
	ds_read_b32 v20, v20 offset:7288
	s_waitcnt lgkmcnt(0)
	v_fmac_f32_e32 v19, v21, v20
	s_or_b64 exec, exec, s[16:17]
	v_cmp_gt_u32_e64 s[10:11], 4, v9
	s_and_saveexec_b64 s[16:17], s[10:11]
	s_cbranch_execnz .LBB13_649
	s_branch .LBB13_650
.LBB13_1136:
	ds_read_b32 v22, v21 offset:6464
	ds_read_b32 v23, v20 offset:6244
	s_waitcnt lgkmcnt(0)
	v_fmac_f32_e32 v19, v22, v23
	s_or_b64 exec, exec, s[16:17]
	v_cmp_gt_u32_e64 s[10:11], 48, v9
	s_and_saveexec_b64 s[16:17], s[10:11]
	s_cbranch_execz .LBB13_686
.LBB13_1137:
	ds_read_b32 v22, v21 offset:6720
	ds_read_b32 v23, v20 offset:6248
	s_waitcnt lgkmcnt(0)
	v_fmac_f32_e32 v19, v22, v23
	s_or_b64 exec, exec, s[16:17]
	v_cmp_gt_u32_e64 s[10:11], 40, v9
	s_and_saveexec_b64 s[16:17], s[10:11]
	s_cbranch_execz .LBB13_687
.LBB13_1138:
	ds_read_b32 v22, v21 offset:6976
	ds_read_b32 v23, v20 offset:6252
	s_waitcnt lgkmcnt(0)
	v_fmac_f32_e32 v19, v22, v23
	s_or_b64 exec, exec, s[16:17]
	v_cmp_gt_u32_e64 s[10:11], 32, v9
	s_and_saveexec_b64 s[16:17], s[10:11]
	s_cbranch_execz .LBB13_688
.LBB13_1139:
	ds_read_b32 v22, v21 offset:7232
	ds_read_b32 v23, v20 offset:6256
	s_waitcnt lgkmcnt(0)
	v_fmac_f32_e32 v19, v22, v23
	s_or_b64 exec, exec, s[16:17]
	v_cmp_gt_u32_e64 s[10:11], 24, v9
	s_and_saveexec_b64 s[16:17], s[10:11]
	s_cbranch_execz .LBB13_689
.LBB13_1140:
	ds_read_b32 v22, v21 offset:7488
	ds_read_b32 v23, v20 offset:6260
	s_waitcnt lgkmcnt(0)
	v_fmac_f32_e32 v19, v22, v23
	s_or_b64 exec, exec, s[16:17]
	s_and_saveexec_b64 s[10:11], s[2:3]
	s_cbranch_execz .LBB13_690
.LBB13_1141:
	ds_read_b32 v21, v21 offset:7744
	ds_read_b32 v20, v20 offset:6264
	s_waitcnt lgkmcnt(0)
	v_fmac_f32_e32 v19, v21, v20
	s_or_b64 exec, exec, s[10:11]
	v_cmp_gt_u32_e64 s[10:11], 8, v9
	s_and_saveexec_b64 s[16:17], s[10:11]
	s_cbranch_execnz .LBB13_691
	s_branch .LBB13_692
.LBB13_1142:
	ds_read_b32 v22, v21 offset:5440
	ds_read_b32 v23, v20 offset:5204
	s_waitcnt lgkmcnt(0)
	v_fmac_f32_e32 v19, v22, v23
	s_or_b64 exec, exec, s[16:17]
	v_cmp_gt_u32_e64 s[10:11], 8, v9
	s_and_saveexec_b64 s[16:17], s[10:11]
	s_cbranch_execz .LBB13_744
.LBB13_1143:
	ds_read_b32 v21, v21 offset:5696
	ds_read_b32 v20, v20 offset:5208
	s_waitcnt lgkmcnt(0)
	v_fmac_f32_e32 v19, v21, v20
	s_or_b64 exec, exec, s[16:17]
	v_cmp_gt_u32_e64 s[10:11], 4, v9
	s_and_saveexec_b64 s[16:17], s[10:11]
	s_cbranch_execnz .LBB13_745
	s_branch .LBB13_746
.LBB13_1144:
	ds_read_b32 v22, v21 offset:6912
	ds_read_b32 v23, v20 offset:4204
	s_waitcnt lgkmcnt(0)
	v_fmac_f32_e32 v19, v22, v23
	s_or_b64 exec, exec, s[16:17]
	s_and_saveexec_b64 s[10:11], s[14:15]
	s_cbranch_execz .LBB13_802
.LBB13_1145:
	ds_read_b32 v22, v21 offset:7168
	ds_read_b32 v23, v20 offset:4208
	s_waitcnt lgkmcnt(0)
	v_fmac_f32_e32 v19, v22, v23
	s_or_b64 exec, exec, s[10:11]
	v_cmp_gt_u32_e64 s[10:11], 48, v9
	s_and_saveexec_b64 s[16:17], s[10:11]
	s_cbranch_execz .LBB13_803
.LBB13_1146:
	ds_read_b32 v22, v21 offset:7424
	ds_read_b32 v23, v20 offset:4212
	s_waitcnt lgkmcnt(0)
	v_fmac_f32_e32 v19, v22, v23
	s_or_b64 exec, exec, s[16:17]
	v_cmp_gt_u32_e64 s[10:11], 32, v9
	s_and_saveexec_b64 s[16:17], s[10:11]
	s_cbranch_execz .LBB13_804
.LBB13_1147:
	ds_read_b32 v21, v21 offset:7680
	ds_read_b32 v20, v20 offset:4216
	s_waitcnt lgkmcnt(0)
	v_fmac_f32_e32 v19, v21, v20
	s_or_b64 exec, exec, s[16:17]
	v_cmp_gt_u32_e64 s[10:11], 16, v9
	s_and_saveexec_b64 s[16:17], s[10:11]
	s_cbranch_execnz .LBB13_805
	s_branch .LBB13_806
.LBB13_1148:
	ds_read_b32 v19, v18 offset:3360
	ds_read_b32 v20, v17 offset:3124
	s_waitcnt lgkmcnt(0)
	v_fmac_f32_e32 v16, v19, v20
	s_or_b64 exec, exec, s[12:13]
	v_cmp_gt_u32_e64 s[8:9], 8, v9
	s_and_saveexec_b64 s[12:13], s[8:9]
	s_cbranch_execz .LBB13_890
.LBB13_1149:
	ds_read_b32 v18, v18 offset:3616
	ds_read_b32 v17, v17 offset:3128
	s_waitcnt lgkmcnt(0)
	v_fmac_f32_e32 v16, v18, v17
	s_or_b64 exec, exec, s[12:13]
	v_cmp_gt_u32_e64 s[8:9], 4, v9
	s_and_saveexec_b64 s[12:13], s[8:9]
	s_cbranch_execnz .LBB13_891
	s_branch .LBB13_892
.LBB13_1150:
	ds_read_b32 v19, v18 offset:2304
	ds_read_b32 v20, v17 offset:2084
	s_waitcnt lgkmcnt(0)
	v_fmac_f32_e32 v16, v19, v20
	s_or_b64 exec, exec, s[12:13]
	v_cmp_gt_u32_e64 s[8:9], 48, v9
	s_and_saveexec_b64 s[12:13], s[8:9]
	s_cbranch_execz .LBB13_928
.LBB13_1151:
	ds_read_b32 v19, v18 offset:2560
	ds_read_b32 v20, v17 offset:2088
	s_waitcnt lgkmcnt(0)
	v_fmac_f32_e32 v16, v19, v20
	s_or_b64 exec, exec, s[12:13]
	v_cmp_gt_u32_e64 s[8:9], 40, v9
	s_and_saveexec_b64 s[12:13], s[8:9]
	s_cbranch_execz .LBB13_929
.LBB13_1152:
	ds_read_b32 v19, v18 offset:2816
	ds_read_b32 v20, v17 offset:2092
	s_waitcnt lgkmcnt(0)
	v_fmac_f32_e32 v16, v19, v20
	s_or_b64 exec, exec, s[12:13]
	v_cmp_gt_u32_e64 s[8:9], 32, v9
	s_and_saveexec_b64 s[12:13], s[8:9]
	s_cbranch_execz .LBB13_930
.LBB13_1153:
	ds_read_b32 v19, v18 offset:3072
	ds_read_b32 v20, v17 offset:2096
	s_waitcnt lgkmcnt(0)
	v_fmac_f32_e32 v16, v19, v20
	s_or_b64 exec, exec, s[12:13]
	v_cmp_gt_u32_e64 s[8:9], 24, v9
	s_and_saveexec_b64 s[12:13], s[8:9]
	s_cbranch_execz .LBB13_931
.LBB13_1154:
	ds_read_b32 v19, v18 offset:3328
	ds_read_b32 v20, v17 offset:2100
	s_waitcnt lgkmcnt(0)
	v_fmac_f32_e32 v16, v19, v20
	s_or_b64 exec, exec, s[12:13]
	s_and_saveexec_b64 s[8:9], s[2:3]
	s_cbranch_execz .LBB13_932
.LBB13_1155:
	ds_read_b32 v18, v18 offset:3584
	ds_read_b32 v17, v17 offset:2104
	s_waitcnt lgkmcnt(0)
	v_fmac_f32_e32 v16, v18, v17
	s_or_b64 exec, exec, s[8:9]
	v_cmp_gt_u32_e64 s[8:9], 8, v9
	s_and_saveexec_b64 s[12:13], s[8:9]
	s_cbranch_execnz .LBB13_933
	s_branch .LBB13_934
.LBB13_1156:
	ds_read_b32 v16, v15 offset:1280
	ds_read_b32 v17, v14 offset:1044
	s_waitcnt lgkmcnt(0)
	v_fmac_f32_e32 v13, v16, v17
	s_or_b64 exec, exec, s[12:13]
	v_cmp_gt_u32_e64 s[8:9], 8, v9
	s_and_saveexec_b64 s[12:13], s[8:9]
	s_cbranch_execz .LBB13_986
.LBB13_1157:
	ds_read_b32 v15, v15 offset:1536
	ds_read_b32 v14, v14 offset:1048
	s_waitcnt lgkmcnt(0)
	v_fmac_f32_e32 v13, v15, v14
	s_or_b64 exec, exec, s[12:13]
	v_cmp_gt_u32_e64 s[8:9], 4, v9
	s_and_saveexec_b64 s[12:13], s[8:9]
	s_cbranch_execnz .LBB13_987
	s_branch .LBB13_988
	.section	.rodata,"a",@progbits
	.p2align	6, 0x0
	.amdhsa_kernel _ZL19rocblas_trsv_deviceILi64ELi16ELb0ELb0ELb0ELb1EffPKfPfEviT7_lllT6_T8_lllPii
		.amdhsa_group_segment_fixed_size 20740
		.amdhsa_private_segment_fixed_size 0
		.amdhsa_kernarg_size 352
		.amdhsa_user_sgpr_count 6
		.amdhsa_user_sgpr_private_segment_buffer 1
		.amdhsa_user_sgpr_dispatch_ptr 0
		.amdhsa_user_sgpr_queue_ptr 0
		.amdhsa_user_sgpr_kernarg_segment_ptr 1
		.amdhsa_user_sgpr_dispatch_id 0
		.amdhsa_user_sgpr_flat_scratch_init 0
		.amdhsa_user_sgpr_private_segment_size 0
		.amdhsa_uses_dynamic_stack 0
		.amdhsa_system_sgpr_private_segment_wavefront_offset 0
		.amdhsa_system_sgpr_workgroup_id_x 1
		.amdhsa_system_sgpr_workgroup_id_y 0
		.amdhsa_system_sgpr_workgroup_id_z 1
		.amdhsa_system_sgpr_workgroup_info 0
		.amdhsa_system_vgpr_workitem_id 1
		.amdhsa_next_free_vgpr 29
		.amdhsa_next_free_sgpr 96
		.amdhsa_reserve_vcc 1
		.amdhsa_reserve_flat_scratch 0
		.amdhsa_float_round_mode_32 0
		.amdhsa_float_round_mode_16_64 0
		.amdhsa_float_denorm_mode_32 3
		.amdhsa_float_denorm_mode_16_64 3
		.amdhsa_dx10_clamp 1
		.amdhsa_ieee_mode 1
		.amdhsa_fp16_overflow 0
		.amdhsa_exception_fp_ieee_invalid_op 0
		.amdhsa_exception_fp_denorm_src 0
		.amdhsa_exception_fp_ieee_div_zero 0
		.amdhsa_exception_fp_ieee_overflow 0
		.amdhsa_exception_fp_ieee_underflow 0
		.amdhsa_exception_fp_ieee_inexact 0
		.amdhsa_exception_int_div_zero 0
	.end_amdhsa_kernel
	.section	.text._ZL19rocblas_trsv_deviceILi64ELi16ELb0ELb0ELb0ELb1EffPKfPfEviT7_lllT6_T8_lllPii,"axG",@progbits,_ZL19rocblas_trsv_deviceILi64ELi16ELb0ELb0ELb0ELb1EffPKfPfEviT7_lllT6_T8_lllPii,comdat
.Lfunc_end13:
	.size	_ZL19rocblas_trsv_deviceILi64ELi16ELb0ELb0ELb0ELb1EffPKfPfEviT7_lllT6_T8_lllPii, .Lfunc_end13-_ZL19rocblas_trsv_deviceILi64ELi16ELb0ELb0ELb0ELb1EffPKfPfEviT7_lllT6_T8_lllPii
                                        ; -- End function
	.set _ZL19rocblas_trsv_deviceILi64ELi16ELb0ELb0ELb0ELb1EffPKfPfEviT7_lllT6_T8_lllPii.num_vgpr, 28
	.set _ZL19rocblas_trsv_deviceILi64ELi16ELb0ELb0ELb0ELb1EffPKfPfEviT7_lllT6_T8_lllPii.num_agpr, 0
	.set _ZL19rocblas_trsv_deviceILi64ELi16ELb0ELb0ELb0ELb1EffPKfPfEviT7_lllT6_T8_lllPii.numbered_sgpr, 96
	.set _ZL19rocblas_trsv_deviceILi64ELi16ELb0ELb0ELb0ELb1EffPKfPfEviT7_lllT6_T8_lllPii.num_named_barrier, 0
	.set _ZL19rocblas_trsv_deviceILi64ELi16ELb0ELb0ELb0ELb1EffPKfPfEviT7_lllT6_T8_lllPii.private_seg_size, 0
	.set _ZL19rocblas_trsv_deviceILi64ELi16ELb0ELb0ELb0ELb1EffPKfPfEviT7_lllT6_T8_lllPii.uses_vcc, 1
	.set _ZL19rocblas_trsv_deviceILi64ELi16ELb0ELb0ELb0ELb1EffPKfPfEviT7_lllT6_T8_lllPii.uses_flat_scratch, 0
	.set _ZL19rocblas_trsv_deviceILi64ELi16ELb0ELb0ELb0ELb1EffPKfPfEviT7_lllT6_T8_lllPii.has_dyn_sized_stack, 0
	.set _ZL19rocblas_trsv_deviceILi64ELi16ELb0ELb0ELb0ELb1EffPKfPfEviT7_lllT6_T8_lllPii.has_recursion, 0
	.set _ZL19rocblas_trsv_deviceILi64ELi16ELb0ELb0ELb0ELb1EffPKfPfEviT7_lllT6_T8_lllPii.has_indirect_call, 0
	.section	.AMDGPU.csdata,"",@progbits
; Kernel info:
; codeLenInByte = 29972
; TotalNumSgprs: 100
; NumVgprs: 28
; ScratchSize: 0
; MemoryBound: 0
; FloatMode: 240
; IeeeMode: 1
; LDSByteSize: 20740 bytes/workgroup (compile time only)
; SGPRBlocks: 12
; VGPRBlocks: 7
; NumSGPRsForWavesPerEU: 100
; NumVGPRsForWavesPerEU: 29
; Occupancy: 8
; WaveLimiterHint : 0
; COMPUTE_PGM_RSRC2:SCRATCH_EN: 0
; COMPUTE_PGM_RSRC2:USER_SGPR: 6
; COMPUTE_PGM_RSRC2:TRAP_HANDLER: 0
; COMPUTE_PGM_RSRC2:TGID_X_EN: 1
; COMPUTE_PGM_RSRC2:TGID_Y_EN: 0
; COMPUTE_PGM_RSRC2:TGID_Z_EN: 1
; COMPUTE_PGM_RSRC2:TIDIG_COMP_CNT: 1
	.section	.text._ZL19rocblas_trsv_deviceILi64ELi16ELb0ELb1ELb0ELb1EffPKfPfEviT7_lllT6_T8_lllPii,"axG",@progbits,_ZL19rocblas_trsv_deviceILi64ELi16ELb0ELb1ELb0ELb1EffPKfPfEviT7_lllT6_T8_lllPii,comdat
	.globl	_ZL19rocblas_trsv_deviceILi64ELi16ELb0ELb1ELb0ELb1EffPKfPfEviT7_lllT6_T8_lllPii ; -- Begin function _ZL19rocblas_trsv_deviceILi64ELi16ELb0ELb1ELb0ELb1EffPKfPfEviT7_lllT6_T8_lllPii
	.p2align	8
	.type	_ZL19rocblas_trsv_deviceILi64ELi16ELb0ELb1ELb0ELb1EffPKfPfEviT7_lllT6_T8_lllPii,@function
_ZL19rocblas_trsv_deviceILi64ELi16ELb0ELb1ELb0ELb1EffPKfPfEviT7_lllT6_T8_lllPii: ; @_ZL19rocblas_trsv_deviceILi64ELi16ELb0ELb1ELb0ELb1EffPKfPfEviT7_lllT6_T8_lllPii
; %bb.0:
	s_load_dwordx8 s[20:27], s[4:5], 0x8
	s_load_dword s33, s[4:5], 0x0
	s_mov_b32 s28, s7
	s_mov_b32 s29, 0
	s_waitcnt lgkmcnt(0)
	s_mul_i32 s0, s27, s7
	s_mul_hi_u32 s1, s26, s7
	s_add_i32 s1, s1, s0
	s_mul_i32 s0, s26, s7
	s_lshl_b64 s[0:1], s[0:1], 2
	s_add_u32 s2, s20, s0
	s_load_dword s20, s[4:5], 0x6c
	s_addc_u32 s3, s21, s1
	s_lshl_b64 s[0:1], s[22:23], 2
	s_add_u32 s94, s2, s0
	s_addc_u32 s95, s3, s1
	s_cmp_eq_u32 s6, 0
	s_cbranch_scc1 .LBB14_10
; %bb.1:
	s_lshl_b32 s2, s6, 6
	v_add_u32_e32 v6, s2, v0
	v_ashrrev_i32_e32 v2, 31, v6
	v_mul_lo_u32 v7, s24, v2
	v_mul_lo_u32 v8, s25, v6
	v_mad_u64_u32 v[4:5], s[0:1], s24, v6, 0
	v_add_u32_e32 v2, s2, v1
	v_subrev_u32_e32 v2, 64, v2
	v_add3_u32 v5, v5, v7, v8
	v_lshlrev_b64 v[4:5], 2, v[4:5]
	v_ashrrev_i32_e32 v3, 31, v2
	v_cmp_gt_i32_e32 vcc, s33, v6
	v_mov_b32_e32 v6, s95
	v_add_co_u32_e64 v7, s[0:1], s94, v4
	v_lshlrev_b64 v[3:4], 2, v[2:3]
	v_addc_co_u32_e64 v5, s[0:1], v6, v5, s[0:1]
	v_add_co_u32_e64 v3, s[0:1], v7, v3
	v_addc_co_u32_e64 v4, s[0:1], v5, v4, s[0:1]
	v_cmp_gt_i32_e64 s[0:1], s33, v2
	s_and_b64 s[2:3], s[0:1], vcc
	v_mov_b32_e32 v7, 0
	v_mov_b32_e32 v8, 0
	s_waitcnt lgkmcnt(0)
	s_barrier
	s_and_saveexec_b64 s[0:1], s[2:3]
	s_cbranch_execz .LBB14_3
; %bb.2:
	global_load_dword v8, v[3:4], off
.LBB14_3:
	s_or_b64 exec, exec, s[0:1]
	v_add_u32_e32 v5, 16, v2
	v_cmp_gt_i32_e64 s[0:1], s33, v5
	s_and_b64 s[2:3], s[0:1], vcc
	s_waitcnt vmcnt(0)
	s_barrier
	s_and_saveexec_b64 s[0:1], s[2:3]
	s_cbranch_execz .LBB14_5
; %bb.4:
	global_load_dword v7, v[3:4], off offset:64
.LBB14_5:
	s_or_b64 exec, exec, s[0:1]
	v_add_u32_e32 v5, 32, v2
	v_cmp_gt_i32_e64 s[0:1], s33, v5
	s_and_b64 s[2:3], s[0:1], vcc
	v_mov_b32_e32 v9, 0
	v_mov_b32_e32 v10, 0
	s_waitcnt vmcnt(0)
	s_barrier
	s_and_saveexec_b64 s[0:1], s[2:3]
	s_cbranch_execz .LBB14_7
; %bb.6:
	global_load_dword v10, v[3:4], off offset:128
.LBB14_7:
	s_or_b64 exec, exec, s[0:1]
	v_add_u32_e32 v2, 48, v2
	v_cmp_gt_i32_e64 s[0:1], s33, v2
	s_and_b64 s[2:3], s[0:1], vcc
	s_waitcnt vmcnt(0)
	s_barrier
	s_and_saveexec_b64 s[0:1], s[2:3]
	s_cbranch_execz .LBB14_9
; %bb.8:
	global_load_dword v9, v[3:4], off offset:192
.LBB14_9:
	s_or_b64 exec, exec, s[0:1]
	s_branch .LBB14_11
.LBB14_10:
                                        ; implicit-def: $vgpr9
                                        ; implicit-def: $vgpr10
                                        ; implicit-def: $vgpr7
                                        ; implicit-def: $vgpr8
.LBB14_11:
	s_ashr_i32 s0, s33, 31
	s_lshr_b32 s0, s0, 26
	s_add_i32 s0, s33, s0
	s_andn2_b32 s0, s0, 63
	s_sub_i32 s7, s33, s0
	s_add_i32 s0, s33, -1
	s_ashr_i32 s1, s0, 31
	s_lshr_b32 s1, s1, 26
	s_add_i32 s0, s0, s1
	s_ashr_i32 s0, s0, 6
	s_cmp_eq_u32 s0, s6
	s_cselect_b64 s[0:1], -1, 0
	s_cmp_lg_u32 s7, 0
	s_cselect_b64 s[2:3], -1, 0
	s_and_b64 s[22:23], s[2:3], s[0:1]
	s_cmp_lt_i32 s6, 5
	s_cselect_b64 s[2:3], -1, 0
	s_mov_b64 s[12:13], -1
	s_or_b64 s[0:1], s[2:3], s[22:23]
	v_lshlrev_b32_e32 v4, 6, v0
	s_and_b64 vcc, exec, s[22:23]
	v_cmp_le_u32_e64 s[8:9], v1, v0
	v_lshlrev_b32_e32 v6, 2, v0
	s_cbranch_vccnz .LBB14_27
; %bb.12:
	s_add_u32 s10, s24, 1
	s_addc_u32 s11, s25, 0
	s_lshl_b32 s12, s6, 6
	s_ashr_i32 s13, s12, 31
	s_mul_hi_u32 s14, s10, s12
	s_mul_i32 s13, s10, s13
	s_add_i32 s13, s14, s13
	s_mul_i32 s11, s11, s12
	s_add_i32 s11, s13, s11
	s_mul_i32 s10, s10, s12
	s_lshl_b64 s[10:11], s[10:11], 2
	s_add_u32 s10, s94, s10
	s_addc_u32 s11, s95, s11
	v_lshlrev_b32_e32 v2, 2, v0
	v_mov_b32_e32 v3, s11
	v_add_co_u32_e32 v2, vcc, s10, v2
	v_mov_b32_e32 v5, 0
	v_addc_co_u32_e32 v3, vcc, 0, v3, vcc
	s_mov_b64 s[10:11], 0
	s_and_saveexec_b64 s[12:13], s[8:9]
	s_xor_b64 s[8:9], exec, s[12:13]
	s_cbranch_execnz .LBB14_1149
; %bb.13:
	s_andn2_saveexec_b64 s[8:9], s[8:9]
	s_cbranch_execnz .LBB14_1150
.LBB14_14:
	s_or_b64 exec, exec, s[8:9]
	s_and_saveexec_b64 s[8:9], s[10:11]
.LBB14_15:
	v_add_u32_e32 v11, v1, v4
	v_lshl_add_u32 v12, v1, 6, v0
	v_cndmask_b32_e64 v11, v12, v11, s[2:3]
	v_lshlrev_b32_e32 v11, 2, v11
	ds_write_b32 v11, v5
.LBB14_16:
	s_or_b64 exec, exec, s[8:9]
	v_add_u32_e32 v5, 16, v1
	v_cmp_le_u32_e32 vcc, v5, v0
	s_mov_b64 s[2:3], 0
	s_and_saveexec_b64 s[8:9], vcc
	s_xor_b64 s[8:9], exec, s[8:9]
	s_cbranch_execnz .LBB14_1151
; %bb.17:
	s_or_saveexec_b64 s[8:9], s[8:9]
	v_mov_b32_e32 v11, 0
	s_xor_b64 exec, exec, s[8:9]
	s_cbranch_execnz .LBB14_1152
.LBB14_18:
	s_or_b64 exec, exec, s[8:9]
	s_and_saveexec_b64 s[8:9], s[2:3]
.LBB14_19:
	v_add_u32_e32 v12, v5, v4
	v_lshl_add_u32 v5, v5, 6, v0
	v_cndmask_b32_e64 v5, v5, v12, s[0:1]
	v_lshlrev_b32_e32 v5, 2, v5
	ds_write_b32 v5, v11
.LBB14_20:
	s_or_b64 exec, exec, s[8:9]
	v_add_u32_e32 v5, 32, v1
	v_cmp_le_u32_e32 vcc, v5, v0
	s_mov_b64 s[2:3], 0
	s_and_saveexec_b64 s[8:9], vcc
	s_xor_b64 s[8:9], exec, s[8:9]
	s_cbranch_execnz .LBB14_1153
; %bb.21:
	s_or_saveexec_b64 s[8:9], s[8:9]
	v_mov_b32_e32 v11, 0
	s_xor_b64 exec, exec, s[8:9]
	s_cbranch_execnz .LBB14_1154
.LBB14_22:
	s_or_b64 exec, exec, s[8:9]
	s_and_saveexec_b64 s[8:9], s[2:3]
.LBB14_23:
	v_add_u32_e32 v12, v5, v4
	v_lshl_add_u32 v5, v5, 6, v0
	v_cndmask_b32_e64 v5, v5, v12, s[0:1]
	v_lshlrev_b32_e32 v5, 2, v5
	ds_write_b32 v5, v11
.LBB14_24:
	s_or_b64 exec, exec, s[8:9]
	v_add_u32_e32 v5, 48, v1
	v_add_u32_e32 v11, v5, v4
	v_lshl_add_u32 v12, v5, 6, v0
	v_cmp_le_u32_e32 vcc, v5, v0
	s_mov_b64 s[2:3], -1
	s_mov_b64 s[12:13], 0
	s_mov_b64 s[10:11], 0
	s_and_saveexec_b64 s[8:9], vcc
	s_xor_b64 s[8:9], exec, s[8:9]
; %bb.25:
	v_or_b32_e32 v13, v5, v0
	v_cmp_gt_u32_e32 vcc, 64, v13
	s_and_b64 s[10:11], vcc, exec
	s_xor_b64 s[2:3], exec, -1
; %bb.26:
	s_or_b64 exec, exec, s[8:9]
	v_cndmask_b32_e64 v11, v12, v11, s[0:1]
	s_and_b64 vcc, exec, s[12:13]
	s_cbranch_vccnz .LBB14_28
	s_branch .LBB14_43
.LBB14_27:
	s_mov_b64 s[2:3], 0
	s_mov_b64 s[10:11], 0
                                        ; implicit-def: $vgpr11
                                        ; implicit-def: $vgpr2_vgpr3
                                        ; implicit-def: $vgpr5
	s_and_b64 vcc, exec, s[12:13]
	s_cbranch_vccz .LBB14_43
.LBB14_28:
	s_add_u32 s2, s24, 1
	s_addc_u32 s3, s25, 0
	s_lshl_b32 s8, s6, 6
	s_ashr_i32 s9, s8, 31
	s_mul_hi_u32 s12, s2, s8
	s_mul_i32 s9, s2, s9
	s_add_i32 s9, s12, s9
	s_mul_i32 s3, s3, s8
	s_add_i32 s3, s9, s3
	s_mul_i32 s2, s2, s8
	s_lshl_b64 s[2:3], s[2:3], 2
	s_add_u32 s2, s94, s2
	s_addc_u32 s3, s95, s3
	v_lshlrev_b32_e32 v2, 2, v0
	v_mov_b32_e32 v3, s3
	v_add_co_u32_e64 v2, s[2:3], s2, v2
	v_addc_co_u32_e64 v3, s[2:3], 0, v3, s[2:3]
	v_max_i32_e32 v11, v1, v0
	v_cmp_le_u32_e64 s[2:3], v1, v0
	v_cmp_le_i32_e64 s[8:9], s7, v11
	v_cmp_gt_i32_e32 vcc, s7, v0
	v_mov_b32_e32 v5, 0
	s_or_b64 s[2:3], s[8:9], s[2:3]
	s_mov_b64 s[8:9], 0
	s_and_saveexec_b64 s[12:13], s[2:3]
	s_xor_b64 s[12:13], exec, s[12:13]
	s_cbranch_execnz .LBB14_1155
; %bb.29:
	s_andn2_saveexec_b64 s[12:13], s[12:13]
	s_cbranch_execnz .LBB14_1156
.LBB14_30:
	s_or_b64 exec, exec, s[12:13]
	s_and_saveexec_b64 s[2:3], s[8:9]
.LBB14_31:
	v_lshlrev_b32_e32 v11, 2, v4
	v_lshl_add_u32 v11, v1, 2, v11
	ds_write_b32 v11, v5
.LBB14_32:
	s_or_b64 exec, exec, s[2:3]
	v_add_u32_e32 v5, 16, v1
	v_cmp_gt_u32_e64 s[2:3], v5, v0
	v_cmp_gt_i32_e64 s[8:9], s7, v5
	s_and_b64 s[2:3], s[2:3], s[8:9]
	s_and_b64 s[2:3], s[2:3], vcc
	s_xor_b64 s[2:3], s[2:3], -1
	s_mov_b64 s[8:9], 0
	s_and_saveexec_b64 s[12:13], s[2:3]
	s_xor_b64 s[12:13], exec, s[12:13]
	s_cbranch_execnz .LBB14_1157
; %bb.33:
	s_or_saveexec_b64 s[12:13], s[12:13]
	v_mov_b32_e32 v11, 0
	s_xor_b64 exec, exec, s[12:13]
	s_cbranch_execnz .LBB14_1158
.LBB14_34:
	s_or_b64 exec, exec, s[12:13]
	s_and_saveexec_b64 s[2:3], s[8:9]
.LBB14_35:
	v_add_u32_e32 v12, v5, v4
	v_lshl_add_u32 v5, v5, 6, v0
	v_cndmask_b32_e64 v5, v5, v12, s[0:1]
	v_lshlrev_b32_e32 v5, 2, v5
	ds_write_b32 v5, v11
.LBB14_36:
	s_or_b64 exec, exec, s[2:3]
	v_add_u32_e32 v5, 32, v1
	v_cmp_gt_u32_e64 s[2:3], v5, v0
	v_cmp_gt_i32_e64 s[8:9], s7, v5
	s_and_b64 s[2:3], s[2:3], s[8:9]
	s_and_b64 s[2:3], s[2:3], vcc
	s_xor_b64 s[2:3], s[2:3], -1
	s_mov_b64 s[8:9], 0
	s_and_saveexec_b64 s[12:13], s[2:3]
	s_xor_b64 s[12:13], exec, s[12:13]
	s_cbranch_execnz .LBB14_1159
; %bb.37:
	s_or_saveexec_b64 s[12:13], s[12:13]
	v_mov_b32_e32 v11, 0
	s_xor_b64 exec, exec, s[12:13]
	s_cbranch_execnz .LBB14_1160
.LBB14_38:
	s_or_b64 exec, exec, s[12:13]
	s_and_saveexec_b64 s[2:3], s[8:9]
.LBB14_39:
	v_add_u32_e32 v12, v5, v4
	v_lshl_add_u32 v5, v5, 6, v0
	v_cndmask_b32_e64 v5, v5, v12, s[0:1]
	v_lshlrev_b32_e32 v5, 2, v5
	ds_write_b32 v5, v11
.LBB14_40:
	s_or_b64 exec, exec, s[2:3]
	v_add_u32_e32 v5, 48, v1
	v_cmp_gt_u32_e64 s[2:3], v5, v0
	v_cmp_gt_i32_e64 s[8:9], s7, v5
	s_and_b64 s[2:3], s[2:3], s[8:9]
	s_and_b64 s[8:9], s[2:3], vcc
	v_add_u32_e32 v4, v5, v4
	v_lshl_add_u32 v11, v5, 6, v0
	s_mov_b64 s[2:3], -1
	s_xor_b64 s[12:13], s[8:9], -1
	s_and_saveexec_b64 s[8:9], s[12:13]
; %bb.41:
	v_or_b32_e32 v12, v5, v0
	v_cmp_gt_u32_e32 vcc, 64, v12
	s_andn2_b64 s[2:3], s[10:11], exec
	s_and_b64 s[10:11], vcc, exec
	s_or_b64 s[10:11], s[2:3], s[10:11]
	s_xor_b64 s[2:3], exec, -1
; %bb.42:
	s_or_b64 exec, exec, s[8:9]
	v_cndmask_b32_e64 v11, v11, v4, s[0:1]
.LBB14_43:
	v_mov_b32_e32 v4, 0
	s_and_saveexec_b64 s[8:9], s[2:3]
	s_cbranch_execnz .LBB14_1127
; %bb.44:
	s_or_b64 exec, exec, s[8:9]
	s_xor_b64 s[0:1], s[0:1], -1
	s_and_saveexec_b64 s[2:3], s[10:11]
.LBB14_45:
	v_lshlrev_b32_e32 v2, 2, v11
	ds_write_b32 v2, v4
.LBB14_46:
	s_or_b64 exec, exec, s[2:3]
	v_cndmask_b32_e64 v2, 0, 1, s[0:1]
	v_cmp_ne_u32_e64 s[38:39], 1, v2
	s_andn2_b64 vcc, exec, s[0:1]
	s_waitcnt vmcnt(0) lgkmcnt(0)
	s_barrier
	s_cbranch_vccnz .LBB14_1084
; %bb.47:
	v_or_b32_e32 v2, v0, v1
	v_cmp_eq_u32_e32 vcc, 0, v2
	s_and_saveexec_b64 s[0:1], vcc
	s_cbranch_execz .LBB14_49
; %bb.48:
	v_mov_b32_e32 v4, 0
	ds_read_b32 v3, v4 offset:16376
	v_mov_b32_e32 v2, 1.0
	ds_write_b32 v4, v2 offset:16380
	s_waitcnt lgkmcnt(1)
	ds_write_b64 v4, v[2:3] offset:16120
.LBB14_49:
	s_or_b64 exec, exec, s[0:1]
	v_lshlrev_b32_e32 v3, 6, v1
	v_add_u32_e32 v5, v3, v0
	v_and_b32_e32 v4, v3, v0
	v_xor_b32_e32 v3, v3, v0
	v_lshrrev_b16_e32 v3, 1, v3
	v_add_u16_e32 v4, v4, v3
	v_and_b32_e32 v2, 1, v0
	v_sub_u32_e32 v3, 1, v4
	v_cmp_lt_u32_e64 s[8:9], 3, v5
	v_cmp_gt_u32_e64 s[2:3], 4, v5
	v_mov_b32_e32 v11, 0
	s_waitcnt lgkmcnt(0)
	s_barrier
	buffer_wbinvl1_vol
	s_and_saveexec_b64 s[0:1], s[2:3]
	s_cbranch_execz .LBB14_53
; %bb.50:
	v_lshlrev_b32_e32 v11, 8, v3
	v_lshlrev_b32_e32 v12, 2, v2
	ds_read_b32 v13, v12 offset:16112
	ds_read_b32 v11, v11 offset:16120
	v_mov_b32_e32 v12, 0
	v_cmp_gt_u32_e64 s[10:11], 2, v5
	s_waitcnt lgkmcnt(0)
	v_fma_f32 v11, v13, v11, 0
	s_and_saveexec_b64 s[12:13], s[10:11]
	s_cbranch_execz .LBB14_52
; %bb.51:
	v_lshlrev_b32_e32 v13, 2, v0
	ds_read_b32 v13, v13 offset:16368
	ds_read_b32 v12, v12 offset:16380
	s_waitcnt lgkmcnt(0)
	v_fmac_f32_e32 v11, v13, v12
.LBB14_52:
	s_or_b64 exec, exec, s[12:13]
.LBB14_53:
	s_or_b64 exec, exec, s[0:1]
	v_mov_b32_e32 v12, 0x4000
	v_cmp_ne_u32_e64 s[10:11], 0, v2
	s_xor_b64 s[0:1], s[8:9], -1
	v_lshl_add_u32 v4, v4, 2, v12
	s_and_b64 s[30:31], s[10:11], s[0:1]
	s_and_saveexec_b64 s[8:9], s[30:31]
; %bb.54:
	v_xor_b32_e32 v12, 0x80000000, v11
	ds_write_b32 v4, v12
; %bb.55:
	s_or_b64 exec, exec, s[8:9]
	v_cmp_eq_u32_e64 s[8:9], 0, v2
	s_and_b64 s[26:27], s[8:9], s[0:1]
	s_waitcnt lgkmcnt(0)
	s_barrier
	s_and_saveexec_b64 s[0:1], s[26:27]
	s_cbranch_execz .LBB14_57
; %bb.56:
	v_mov_b32_e32 v12, 0
	ds_read_b32 v12, v12 offset:15856
	ds_read_b32 v13, v4
	s_waitcnt lgkmcnt(0)
	v_fma_f32 v11, -v12, v13, v11
.LBB14_57:
	s_or_b64 exec, exec, s[0:1]
	s_barrier
	s_and_saveexec_b64 s[0:1], s[26:27]
; %bb.58:
	v_xor_b32_e32 v12, 0x80000000, v11
	ds_write_b32 v4, v12
; %bb.59:
	s_or_b64 exec, exec, s[0:1]
	s_waitcnt lgkmcnt(0)
	s_barrier
	s_barrier
	s_and_saveexec_b64 s[0:1], s[2:3]
; %bb.60:
	v_lshlrev_b32_e32 v12, 2, v2
	v_lshl_or_b32 v12, v3, 8, v12
	ds_write_b32 v12, v11 offset:16112
; %bb.61:
	s_or_b64 exec, exec, s[0:1]
	v_cmp_eq_u32_e64 s[12:13], 0, v1
	v_cmp_gt_u32_e64 s[8:9], 2, v0
	s_and_b64 s[34:35], s[12:13], s[8:9]
	s_waitcnt lgkmcnt(0)
	s_barrier
	s_barrier
	s_and_saveexec_b64 s[0:1], s[34:35]
	s_cbranch_execz .LBB14_63
; %bb.62:
	v_lshlrev_b32_e32 v11, 2, v0
	s_movk_i32 s8, 0xfc
	v_mad_u32_u24 v12, v0, s8, v11
	ds_read_b32 v13, v12 offset:16112
	s_waitcnt lgkmcnt(0)
	ds_write_b32 v11, v13 offset:15608
	ds_read_b32 v12, v12 offset:16116
	s_waitcnt lgkmcnt(0)
	ds_write_b32 v11, v12 offset:15864
.LBB14_63:
	s_or_b64 exec, exec, s[0:1]
	s_waitcnt lgkmcnt(0)
	s_barrier
	s_and_saveexec_b64 s[0:1], vcc
	s_cbranch_execz .LBB14_65
; %bb.64:
	v_mov_b32_e32 v13, 0
	ds_read_b32 v12, v13 offset:15856
	v_mov_b32_e32 v11, 1.0
	ds_write_b32 v13, v11 offset:15860
	s_waitcnt lgkmcnt(1)
	ds_write_b64 v13, v[11:12] offset:15600
.LBB14_65:
	s_or_b64 exec, exec, s[0:1]
	v_lshrrev_b32_e32 v13, 2, v5
	v_and_b32_e32 v11, 3, v0
	v_sub_u32_e32 v12, 3, v13
	v_cmp_lt_u32_e64 s[8:9], 15, v5
	v_cmp_gt_u32_e64 s[18:19], 16, v5
	v_mov_b32_e32 v14, 0
	s_waitcnt lgkmcnt(0)
	s_barrier
	buffer_wbinvl1_vol
	s_and_saveexec_b64 s[0:1], s[18:19]
	s_cbranch_execz .LBB14_71
; %bb.66:
	v_lshlrev_b32_e32 v16, 2, v11
	v_lshlrev_b32_e32 v15, 8, v12
	ds_read_b32 v14, v16 offset:15584
	ds_read_b32 v17, v15 offset:15600
	v_cmp_gt_u32_e64 s[10:11], 12, v5
	s_waitcnt lgkmcnt(0)
	v_fma_f32 v14, v14, v17, 0
	s_and_saveexec_b64 s[14:15], s[10:11]
	s_cbranch_execnz .LBB14_1172
; %bb.67:
	s_or_b64 exec, exec, s[14:15]
	v_cmp_gt_u32_e64 s[10:11], 8, v5
	s_and_saveexec_b64 s[14:15], s[10:11]
	s_cbranch_execnz .LBB14_1173
.LBB14_68:
	s_or_b64 exec, exec, s[14:15]
	v_cmp_gt_u32_e64 s[10:11], 4, v5
	s_and_saveexec_b64 s[14:15], s[10:11]
	s_cbranch_execz .LBB14_70
.LBB14_69:
	v_lshlrev_b32_e32 v15, 2, v0
	v_mov_b32_e32 v16, 0
	ds_read_b32 v15, v15 offset:16352
	ds_read_b32 v16, v16 offset:16380
	s_waitcnt lgkmcnt(0)
	v_fmac_f32_e32 v14, v15, v16
.LBB14_70:
	s_or_b64 exec, exec, s[14:15]
.LBB14_71:
                                        ; implicit-def: $vgpr28 : SGPR spill to VGPR lane
	v_writelane_b32 v28, s38, 0
	v_writelane_b32 v28, s39, 1
	s_or_b64 exec, exec, s[0:1]
	v_mov_b32_e32 v15, 0x4000
	v_cmp_eq_u32_e64 s[10:11], 3, v11
	s_xor_b64 s[0:1], s[8:9], -1
	v_lshl_add_u32 v13, v13, 2, v15
	s_and_b64 s[38:39], s[10:11], s[0:1]
	s_and_saveexec_b64 s[8:9], s[38:39]
; %bb.72:
	v_xor_b32_e32 v15, 0x80000000, v14
	ds_write_b32 v13, v15
; %bb.73:
	s_or_b64 exec, exec, s[8:9]
	v_cmp_ne_u32_e64 s[8:9], 3, v11
	s_and_b64 s[40:41], s[8:9], s[0:1]
	s_waitcnt lgkmcnt(0)
	s_barrier
	s_and_saveexec_b64 s[8:9], s[40:41]
	s_cbranch_execz .LBB14_75
; %bb.74:
	v_lshlrev_b32_e32 v15, 2, v11
	ds_read_b32 v15, v15 offset:15328
	ds_read_b32 v16, v13
	s_waitcnt lgkmcnt(0)
	v_fma_f32 v14, -v15, v16, v14
.LBB14_75:
	s_or_b64 exec, exec, s[8:9]
	v_cmp_eq_u32_e64 s[8:9], 2, v11
	s_and_b64 s[42:43], s[8:9], s[0:1]
	s_barrier
	s_and_saveexec_b64 s[8:9], s[42:43]
; %bb.76:
	v_xor_b32_e32 v15, 0x80000000, v14
	ds_write_b32 v13, v15
; %bb.77:
	s_or_b64 exec, exec, s[8:9]
	v_cmp_gt_u32_e64 s[8:9], 2, v11
	s_and_b64 s[44:45], s[8:9], s[0:1]
	s_waitcnt lgkmcnt(0)
	s_barrier
	s_and_saveexec_b64 s[8:9], s[44:45]
	s_cbranch_execz .LBB14_79
; %bb.78:
	v_lshlrev_b32_e32 v15, 2, v11
	ds_read_b32 v15, v15 offset:15072
	ds_read_b32 v16, v13
	s_waitcnt lgkmcnt(0)
	v_fma_f32 v14, -v15, v16, v14
.LBB14_79:
	s_or_b64 exec, exec, s[8:9]
	v_cmp_eq_u32_e64 s[8:9], 1, v11
	s_and_b64 s[46:47], s[8:9], s[0:1]
	s_barrier
	s_and_saveexec_b64 s[8:9], s[46:47]
; %bb.80:
	v_xor_b32_e32 v15, 0x80000000, v14
	ds_write_b32 v13, v15
; %bb.81:
	s_or_b64 exec, exec, s[8:9]
	v_cmp_eq_u32_e64 s[8:9], 0, v11
	s_and_b64 s[36:37], s[8:9], s[0:1]
	s_waitcnt lgkmcnt(0)
	s_barrier
	s_and_saveexec_b64 s[0:1], s[36:37]
	s_cbranch_execz .LBB14_83
; %bb.82:
	v_mov_b32_e32 v15, 0
	ds_read_b32 v15, v15 offset:14816
	ds_read_b32 v16, v13
	s_waitcnt lgkmcnt(0)
	v_fma_f32 v14, -v15, v16, v14
.LBB14_83:
	s_or_b64 exec, exec, s[0:1]
	s_barrier
	s_and_saveexec_b64 s[0:1], s[36:37]
; %bb.84:
	v_xor_b32_e32 v15, 0x80000000, v14
	ds_write_b32 v13, v15
; %bb.85:
	s_or_b64 exec, exec, s[0:1]
	s_waitcnt lgkmcnt(0)
	s_barrier
	s_barrier
	s_and_saveexec_b64 s[0:1], s[18:19]
; %bb.86:
	v_lshlrev_b32_e32 v15, 2, v11
	v_lshl_or_b32 v15, v12, 8, v15
	ds_write_b32 v15, v14 offset:15584
; %bb.87:
	s_or_b64 exec, exec, s[0:1]
	v_cmp_gt_u32_e64 s[8:9], 4, v0
	s_and_b64 s[48:49], s[12:13], s[8:9]
	s_waitcnt lgkmcnt(0)
	s_barrier
	s_barrier
	s_and_saveexec_b64 s[0:1], s[48:49]
	s_cbranch_execz .LBB14_89
; %bb.88:
	v_lshlrev_b32_e32 v14, 8, v0
	ds_read_b32 v15, v14 offset:15584
	s_movk_i32 s8, 0xff04
	v_mad_i32_i24 v16, v0, s8, v14
	s_waitcnt lgkmcnt(0)
	ds_write_b32 v16, v15 offset:14576
	ds_read_b32 v15, v14 offset:15588
	s_waitcnt lgkmcnt(0)
	ds_write_b32 v16, v15 offset:14832
	ds_read_b32 v15, v14 offset:15592
	s_waitcnt lgkmcnt(0)
	ds_write_b32 v16, v15 offset:15088
	ds_read_b32 v14, v14 offset:15596
	s_waitcnt lgkmcnt(0)
	ds_write_b32 v16, v14 offset:15344
.LBB14_89:
	s_or_b64 exec, exec, s[0:1]
	s_waitcnt lgkmcnt(0)
	s_barrier
	s_and_saveexec_b64 s[0:1], vcc
	s_cbranch_execz .LBB14_91
; %bb.90:
	v_mov_b32_e32 v16, 0
	ds_read_b32 v15, v16 offset:15336
	v_mov_b32_e32 v14, 1.0
	ds_write_b32 v16, v14 offset:15340
	s_waitcnt lgkmcnt(1)
	ds_write_b64 v16, v[14:15] offset:15080
.LBB14_91:
	s_or_b64 exec, exec, s[0:1]
	v_mov_b32_e32 v14, 0
	s_waitcnt lgkmcnt(0)
	s_barrier
	buffer_wbinvl1_vol
	s_and_saveexec_b64 s[0:1], s[2:3]
	s_cbranch_execz .LBB14_95
; %bb.92:
	v_lshlrev_b32_e32 v14, 8, v3
	v_lshlrev_b32_e32 v15, 2, v2
	ds_read_b32 v16, v15 offset:15072
	ds_read_b32 v14, v14 offset:15080
	v_mov_b32_e32 v15, 0
	v_cmp_gt_u32_e64 s[8:9], 2, v5
	s_waitcnt lgkmcnt(0)
	v_fma_f32 v14, v16, v14, 0
	s_and_saveexec_b64 s[10:11], s[8:9]
	s_cbranch_execz .LBB14_94
; %bb.93:
	v_lshlrev_b32_e32 v16, 2, v0
	ds_read_b32 v16, v16 offset:15328
	ds_read_b32 v15, v15 offset:15340
	s_waitcnt lgkmcnt(0)
	v_fmac_f32_e32 v14, v16, v15
.LBB14_94:
	s_or_b64 exec, exec, s[10:11]
.LBB14_95:
	s_or_b64 exec, exec, s[0:1]
	s_and_saveexec_b64 s[0:1], s[30:31]
; %bb.96:
	v_xor_b32_e32 v15, 0x80000000, v14
	ds_write_b32 v4, v15
; %bb.97:
	s_or_b64 exec, exec, s[0:1]
	s_waitcnt lgkmcnt(0)
	s_barrier
	s_and_saveexec_b64 s[0:1], s[26:27]
	s_cbranch_execz .LBB14_99
; %bb.98:
	v_mov_b32_e32 v15, 0
	ds_read_b32 v15, v15 offset:14816
	ds_read_b32 v16, v4
	s_waitcnt lgkmcnt(0)
	v_fma_f32 v14, -v15, v16, v14
.LBB14_99:
	s_or_b64 exec, exec, s[0:1]
	s_barrier
	s_and_saveexec_b64 s[0:1], s[26:27]
; %bb.100:
	v_xor_b32_e32 v15, 0x80000000, v14
	ds_write_b32 v4, v15
; %bb.101:
	s_or_b64 exec, exec, s[0:1]
	s_waitcnt lgkmcnt(0)
	s_barrier
	s_barrier
	s_and_saveexec_b64 s[0:1], s[2:3]
; %bb.102:
	v_lshlrev_b32_e32 v15, 2, v2
	v_lshl_or_b32 v15, v3, 8, v15
	ds_write_b32 v15, v14 offset:15072
; %bb.103:
	s_or_b64 exec, exec, s[0:1]
	s_waitcnt lgkmcnt(0)
	s_barrier
	s_barrier
	s_and_saveexec_b64 s[0:1], s[34:35]
	s_cbranch_execz .LBB14_105
; %bb.104:
	v_lshlrev_b32_e32 v14, 2, v0
	s_movk_i32 s8, 0xfc
	v_mad_u32_u24 v15, v0, s8, v14
	ds_read_b32 v16, v15 offset:15072
	s_waitcnt lgkmcnt(0)
	ds_write_b32 v14, v16 offset:14568
	ds_read_b32 v15, v15 offset:15076
	s_waitcnt lgkmcnt(0)
	ds_write_b32 v14, v15 offset:14824
.LBB14_105:
	s_or_b64 exec, exec, s[0:1]
	s_waitcnt lgkmcnt(0)
	s_barrier
	s_and_saveexec_b64 s[0:1], vcc
	s_cbranch_execz .LBB14_107
; %bb.106:
	v_mov_b32_e32 v16, 0
	ds_read_b32 v15, v16 offset:14816
	v_mov_b32_e32 v14, 1.0
	ds_write_b32 v16, v14 offset:14820
	s_waitcnt lgkmcnt(1)
	ds_write_b64 v16, v[14:15] offset:14560
.LBB14_107:
	s_or_b64 exec, exec, s[0:1]
	v_lshrrev_b32_e32 v16, 3, v5
	v_and_b32_e32 v14, 7, v0
	v_sub_u32_e32 v15, 7, v16
	v_cmp_lt_u32_e64 s[10:11], 63, v5
	v_cmp_gt_u32_e64 s[8:9], 64, v5
	v_mov_b32_e32 v17, 0
	s_waitcnt lgkmcnt(0)
	s_barrier
	buffer_wbinvl1_vol
	s_and_saveexec_b64 s[0:1], s[8:9]
	s_cbranch_execz .LBB14_117
; %bb.108:
	v_lshlrev_b32_e32 v19, 2, v14
	v_lshlrev_b32_e32 v18, 8, v15
	ds_read_b32 v17, v19 offset:14528
	ds_read_b32 v20, v18 offset:14560
	v_cmp_gt_u32_e64 s[14:15], 56, v5
	s_waitcnt lgkmcnt(0)
	v_fma_f32 v17, v17, v20, 0
	s_and_saveexec_b64 s[16:17], s[14:15]
	s_cbranch_execnz .LBB14_1174
; %bb.109:
	s_or_b64 exec, exec, s[16:17]
	v_cmp_gt_u32_e64 s[14:15], 48, v5
	s_and_saveexec_b64 s[16:17], s[14:15]
	s_cbranch_execnz .LBB14_1175
.LBB14_110:
	s_or_b64 exec, exec, s[16:17]
	v_cmp_gt_u32_e64 s[14:15], 40, v5
	s_and_saveexec_b64 s[16:17], s[14:15]
	s_cbranch_execnz .LBB14_1176
.LBB14_111:
	s_or_b64 exec, exec, s[16:17]
	v_cmp_gt_u32_e64 s[14:15], 32, v5
	s_and_saveexec_b64 s[16:17], s[14:15]
	s_cbranch_execnz .LBB14_1177
.LBB14_112:
	s_or_b64 exec, exec, s[16:17]
	v_cmp_gt_u32_e64 s[14:15], 24, v5
	s_and_saveexec_b64 s[16:17], s[14:15]
	s_cbranch_execnz .LBB14_1178
.LBB14_113:
	s_or_b64 exec, exec, s[16:17]
	s_and_saveexec_b64 s[14:15], s[18:19]
	s_cbranch_execnz .LBB14_1179
.LBB14_114:
	s_or_b64 exec, exec, s[14:15]
	v_cmp_gt_u32_e64 s[14:15], 8, v5
	s_and_saveexec_b64 s[16:17], s[14:15]
	s_cbranch_execz .LBB14_116
.LBB14_115:
	v_lshlrev_b32_e32 v18, 2, v0
	v_mov_b32_e32 v19, 0
	ds_read_b32 v18, v18 offset:16320
	ds_read_b32 v19, v19 offset:16380
	s_waitcnt lgkmcnt(0)
	v_fmac_f32_e32 v17, v18, v19
.LBB14_116:
	s_or_b64 exec, exec, s[16:17]
.LBB14_117:
	s_or_b64 exec, exec, s[0:1]
	v_mov_b32_e32 v18, 0x4000
	v_cmp_eq_u32_e64 s[14:15], 7, v14
	s_xor_b64 s[0:1], s[10:11], -1
	v_lshl_add_u32 v16, v16, 2, v18
	s_and_b64 s[50:51], s[14:15], s[0:1]
	s_and_saveexec_b64 s[10:11], s[50:51]
; %bb.118:
	v_xor_b32_e32 v18, 0x80000000, v17
	ds_write_b32 v16, v18
; %bb.119:
	s_or_b64 exec, exec, s[10:11]
	v_cmp_ne_u32_e64 s[10:11], 7, v14
	s_and_b64 s[52:53], s[10:11], s[0:1]
	s_waitcnt lgkmcnt(0)
	s_barrier
	s_and_saveexec_b64 s[10:11], s[52:53]
	s_cbranch_execz .LBB14_121
; %bb.120:
	v_lshlrev_b32_e32 v18, 2, v14
	ds_read_b32 v18, v18 offset:14272
	ds_read_b32 v19, v16
	s_waitcnt lgkmcnt(0)
	v_fma_f32 v17, -v18, v19, v17
.LBB14_121:
	s_or_b64 exec, exec, s[10:11]
	v_cmp_eq_u32_e64 s[10:11], 6, v14
	s_and_b64 s[54:55], s[10:11], s[0:1]
	s_barrier
	s_and_saveexec_b64 s[10:11], s[54:55]
; %bb.122:
	v_xor_b32_e32 v18, 0x80000000, v17
	ds_write_b32 v16, v18
; %bb.123:
	s_or_b64 exec, exec, s[10:11]
	v_cmp_gt_u32_e64 s[10:11], 6, v14
	s_and_b64 s[56:57], s[10:11], s[0:1]
	s_waitcnt lgkmcnt(0)
	s_barrier
	s_and_saveexec_b64 s[10:11], s[56:57]
	s_cbranch_execz .LBB14_125
; %bb.124:
	v_lshlrev_b32_e32 v18, 2, v14
	ds_read_b32 v18, v18 offset:14016
	ds_read_b32 v19, v16
	s_waitcnt lgkmcnt(0)
	v_fma_f32 v17, -v18, v19, v17
.LBB14_125:
	s_or_b64 exec, exec, s[10:11]
	v_cmp_eq_u32_e64 s[10:11], 5, v14
	s_and_b64 s[58:59], s[10:11], s[0:1]
	s_barrier
	s_and_saveexec_b64 s[10:11], s[58:59]
; %bb.126:
	v_xor_b32_e32 v18, 0x80000000, v17
	ds_write_b32 v16, v18
; %bb.127:
	s_or_b64 exec, exec, s[10:11]
	v_cmp_gt_u32_e64 s[10:11], 5, v14
	;; [unrolled: 23-line block ×5, first 2 shown]
	s_and_b64 s[74:75], s[10:11], s[0:1]
	s_waitcnt lgkmcnt(0)
	s_barrier
	s_and_saveexec_b64 s[10:11], s[74:75]
	s_cbranch_execz .LBB14_141
; %bb.140:
	v_lshlrev_b32_e32 v18, 2, v14
	ds_read_b32 v18, v18 offset:12992
	ds_read_b32 v19, v16
	s_waitcnt lgkmcnt(0)
	v_fma_f32 v17, -v18, v19, v17
.LBB14_141:
	s_or_b64 exec, exec, s[10:11]
	v_cmp_eq_u32_e64 s[10:11], 1, v14
	s_and_b64 s[76:77], s[10:11], s[0:1]
	s_barrier
	s_and_saveexec_b64 s[10:11], s[76:77]
; %bb.142:
	v_xor_b32_e32 v18, 0x80000000, v17
	ds_write_b32 v16, v18
; %bb.143:
	s_or_b64 exec, exec, s[10:11]
	v_cmp_eq_u32_e64 s[10:11], 0, v14
	s_and_b64 s[60:61], s[10:11], s[0:1]
	s_waitcnt lgkmcnt(0)
	s_barrier
	s_and_saveexec_b64 s[0:1], s[60:61]
	s_cbranch_execz .LBB14_145
; %bb.144:
	v_mov_b32_e32 v18, 0
	ds_read_b32 v18, v18 offset:12736
	ds_read_b32 v19, v16
	s_waitcnt lgkmcnt(0)
	v_fma_f32 v17, -v18, v19, v17
.LBB14_145:
	s_or_b64 exec, exec, s[0:1]
	s_barrier
	s_and_saveexec_b64 s[0:1], s[60:61]
; %bb.146:
	v_xor_b32_e32 v18, 0x80000000, v17
	ds_write_b32 v16, v18
; %bb.147:
	s_or_b64 exec, exec, s[0:1]
	s_waitcnt lgkmcnt(0)
	s_barrier
	s_barrier
	s_and_saveexec_b64 s[0:1], s[8:9]
; %bb.148:
	v_lshlrev_b32_e32 v18, 2, v14
	v_lshl_or_b32 v18, v15, 8, v18
	ds_write_b32 v18, v17 offset:14528
; %bb.149:
	s_or_b64 exec, exec, s[0:1]
	v_cmp_gt_u32_e64 s[10:11], 8, v0
	s_and_b64 s[78:79], s[12:13], s[10:11]
	s_waitcnt lgkmcnt(0)
	s_barrier
	s_barrier
	s_and_saveexec_b64 s[0:1], s[78:79]
	s_cbranch_execz .LBB14_151
; %bb.150:
	v_lshlrev_b32_e32 v17, 8, v0
	ds_read_b32 v18, v17 offset:14528
	s_movk_i32 s10, 0xff04
	v_mad_i32_i24 v19, v0, s10, v17
	s_waitcnt lgkmcnt(0)
	ds_write_b32 v19, v18 offset:12512
	ds_read_b32 v18, v17 offset:14532
	s_waitcnt lgkmcnt(0)
	ds_write_b32 v19, v18 offset:12768
	ds_read_b32 v18, v17 offset:14536
	;; [unrolled: 3-line block ×7, first 2 shown]
	s_waitcnt lgkmcnt(0)
	ds_write_b32 v19, v17 offset:14304
.LBB14_151:
	s_or_b64 exec, exec, s[0:1]
	s_waitcnt lgkmcnt(0)
	s_barrier
	s_and_saveexec_b64 s[0:1], vcc
	s_cbranch_execz .LBB14_153
; %bb.152:
	v_mov_b32_e32 v19, 0
	ds_read_b32 v18, v19 offset:14296
	v_mov_b32_e32 v17, 1.0
	ds_write_b32 v19, v17 offset:14300
	s_waitcnt lgkmcnt(1)
	ds_write_b64 v19, v[17:18] offset:14040
.LBB14_153:
	s_or_b64 exec, exec, s[0:1]
	v_mov_b32_e32 v17, 0
	s_waitcnt lgkmcnt(0)
	s_barrier
	buffer_wbinvl1_vol
	s_and_saveexec_b64 s[0:1], s[2:3]
	s_cbranch_execz .LBB14_157
; %bb.154:
	v_lshlrev_b32_e32 v17, 8, v3
	v_lshlrev_b32_e32 v18, 2, v2
	ds_read_b32 v19, v18 offset:14032
	ds_read_b32 v17, v17 offset:14040
	v_mov_b32_e32 v18, 0
	v_cmp_gt_u32_e64 s[10:11], 2, v5
	s_waitcnt lgkmcnt(0)
	v_fma_f32 v17, v19, v17, 0
	s_and_saveexec_b64 s[14:15], s[10:11]
	s_cbranch_execz .LBB14_156
; %bb.155:
	v_lshlrev_b32_e32 v19, 2, v0
	ds_read_b32 v19, v19 offset:14288
	ds_read_b32 v18, v18 offset:14300
	s_waitcnt lgkmcnt(0)
	v_fmac_f32_e32 v17, v19, v18
.LBB14_156:
	s_or_b64 exec, exec, s[14:15]
.LBB14_157:
	s_or_b64 exec, exec, s[0:1]
	s_and_saveexec_b64 s[0:1], s[30:31]
; %bb.158:
	v_xor_b32_e32 v18, 0x80000000, v17
	ds_write_b32 v4, v18
; %bb.159:
	s_or_b64 exec, exec, s[0:1]
	s_waitcnt lgkmcnt(0)
	s_barrier
	s_and_saveexec_b64 s[0:1], s[26:27]
	s_cbranch_execz .LBB14_161
; %bb.160:
	v_mov_b32_e32 v18, 0
	ds_read_b32 v18, v18 offset:13776
	ds_read_b32 v19, v4
	s_waitcnt lgkmcnt(0)
	v_fma_f32 v17, -v18, v19, v17
.LBB14_161:
	s_or_b64 exec, exec, s[0:1]
	s_barrier
	s_and_saveexec_b64 s[0:1], s[26:27]
; %bb.162:
	v_xor_b32_e32 v18, 0x80000000, v17
	ds_write_b32 v4, v18
; %bb.163:
	s_or_b64 exec, exec, s[0:1]
	s_waitcnt lgkmcnt(0)
	s_barrier
	s_barrier
	s_and_saveexec_b64 s[0:1], s[2:3]
; %bb.164:
	v_lshlrev_b32_e32 v18, 2, v2
	v_lshl_or_b32 v18, v3, 8, v18
	ds_write_b32 v18, v17 offset:14032
; %bb.165:
	s_or_b64 exec, exec, s[0:1]
	s_waitcnt lgkmcnt(0)
	s_barrier
	s_barrier
	s_and_saveexec_b64 s[0:1], s[34:35]
	s_cbranch_execz .LBB14_167
; %bb.166:
	v_lshlrev_b32_e32 v17, 2, v0
	s_movk_i32 s10, 0xfc
	v_mad_u32_u24 v18, v0, s10, v17
	ds_read_b32 v19, v18 offset:14032
	s_waitcnt lgkmcnt(0)
	ds_write_b32 v17, v19 offset:13528
	ds_read_b32 v18, v18 offset:14036
	s_waitcnt lgkmcnt(0)
	ds_write_b32 v17, v18 offset:13784
.LBB14_167:
	s_or_b64 exec, exec, s[0:1]
	s_waitcnt lgkmcnt(0)
	s_barrier
	s_and_saveexec_b64 s[0:1], vcc
	s_cbranch_execz .LBB14_169
; %bb.168:
	v_mov_b32_e32 v19, 0
	ds_read_b32 v18, v19 offset:13776
	v_mov_b32_e32 v17, 1.0
	ds_write_b32 v19, v17 offset:13780
	s_waitcnt lgkmcnt(1)
	ds_write_b64 v19, v[17:18] offset:13520
.LBB14_169:
	s_or_b64 exec, exec, s[0:1]
	v_mov_b32_e32 v17, 0
	s_waitcnt lgkmcnt(0)
	s_barrier
	buffer_wbinvl1_vol
	s_and_saveexec_b64 s[0:1], s[18:19]
	s_cbranch_execz .LBB14_175
; %bb.170:
	v_lshlrev_b32_e32 v19, 2, v11
	v_lshlrev_b32_e32 v18, 8, v12
	ds_read_b32 v17, v19 offset:13504
	ds_read_b32 v20, v18 offset:13520
	v_cmp_gt_u32_e64 s[10:11], 12, v5
	s_waitcnt lgkmcnt(0)
	v_fma_f32 v17, v17, v20, 0
	s_and_saveexec_b64 s[14:15], s[10:11]
	s_cbranch_execnz .LBB14_1180
; %bb.171:
	s_or_b64 exec, exec, s[14:15]
	v_cmp_gt_u32_e64 s[10:11], 8, v5
	s_and_saveexec_b64 s[14:15], s[10:11]
	s_cbranch_execnz .LBB14_1181
.LBB14_172:
	s_or_b64 exec, exec, s[14:15]
	v_cmp_gt_u32_e64 s[10:11], 4, v5
	s_and_saveexec_b64 s[14:15], s[10:11]
	s_cbranch_execz .LBB14_174
.LBB14_173:
	v_lshlrev_b32_e32 v18, 2, v0
	v_mov_b32_e32 v19, 0
	ds_read_b32 v18, v18 offset:14272
	ds_read_b32 v19, v19 offset:14300
	s_waitcnt lgkmcnt(0)
	v_fmac_f32_e32 v17, v18, v19
.LBB14_174:
	s_or_b64 exec, exec, s[14:15]
.LBB14_175:
	s_or_b64 exec, exec, s[0:1]
	s_and_saveexec_b64 s[0:1], s[38:39]
; %bb.176:
	v_xor_b32_e32 v18, 0x80000000, v17
	ds_write_b32 v13, v18
; %bb.177:
	s_or_b64 exec, exec, s[0:1]
	s_waitcnt lgkmcnt(0)
	s_barrier
	s_and_saveexec_b64 s[0:1], s[40:41]
	s_cbranch_execz .LBB14_179
; %bb.178:
	v_lshlrev_b32_e32 v18, 2, v11
	ds_read_b32 v18, v18 offset:13248
	ds_read_b32 v19, v13
	s_waitcnt lgkmcnt(0)
	v_fma_f32 v17, -v18, v19, v17
.LBB14_179:
	s_or_b64 exec, exec, s[0:1]
	s_barrier
	s_and_saveexec_b64 s[0:1], s[42:43]
; %bb.180:
	v_xor_b32_e32 v18, 0x80000000, v17
	ds_write_b32 v13, v18
; %bb.181:
	s_or_b64 exec, exec, s[0:1]
	s_waitcnt lgkmcnt(0)
	s_barrier
	s_and_saveexec_b64 s[0:1], s[44:45]
	s_cbranch_execz .LBB14_183
; %bb.182:
	v_lshlrev_b32_e32 v18, 2, v11
	ds_read_b32 v18, v18 offset:12992
	ds_read_b32 v19, v13
	s_waitcnt lgkmcnt(0)
	v_fma_f32 v17, -v18, v19, v17
.LBB14_183:
	s_or_b64 exec, exec, s[0:1]
	s_barrier
	s_and_saveexec_b64 s[0:1], s[46:47]
; %bb.184:
	v_xor_b32_e32 v18, 0x80000000, v17
	ds_write_b32 v13, v18
; %bb.185:
	s_or_b64 exec, exec, s[0:1]
	s_waitcnt lgkmcnt(0)
	s_barrier
	s_and_saveexec_b64 s[0:1], s[36:37]
	s_cbranch_execz .LBB14_187
; %bb.186:
	v_mov_b32_e32 v18, 0
	ds_read_b32 v18, v18 offset:12736
	ds_read_b32 v19, v13
	s_waitcnt lgkmcnt(0)
	v_fma_f32 v17, -v18, v19, v17
.LBB14_187:
	s_or_b64 exec, exec, s[0:1]
	s_barrier
	s_and_saveexec_b64 s[0:1], s[36:37]
; %bb.188:
	v_xor_b32_e32 v18, 0x80000000, v17
	ds_write_b32 v13, v18
; %bb.189:
	s_or_b64 exec, exec, s[0:1]
	s_waitcnt lgkmcnt(0)
	s_barrier
	s_barrier
	s_and_saveexec_b64 s[0:1], s[18:19]
; %bb.190:
	v_lshlrev_b32_e32 v18, 2, v11
	v_lshl_or_b32 v18, v12, 8, v18
	ds_write_b32 v18, v17 offset:13504
; %bb.191:
	s_or_b64 exec, exec, s[0:1]
	s_waitcnt lgkmcnt(0)
	s_barrier
	s_barrier
	s_and_saveexec_b64 s[0:1], s[48:49]
	s_cbranch_execz .LBB14_193
; %bb.192:
	v_lshlrev_b32_e32 v17, 8, v0
	ds_read_b32 v18, v17 offset:13504
	s_movk_i32 s10, 0xff04
	v_mad_i32_i24 v19, v0, s10, v17
	s_waitcnt lgkmcnt(0)
	ds_write_b32 v19, v18 offset:12496
	ds_read_b32 v18, v17 offset:13508
	s_waitcnt lgkmcnt(0)
	ds_write_b32 v19, v18 offset:12752
	ds_read_b32 v18, v17 offset:13512
	;; [unrolled: 3-line block ×3, first 2 shown]
	s_waitcnt lgkmcnt(0)
	ds_write_b32 v19, v17 offset:13264
.LBB14_193:
	s_or_b64 exec, exec, s[0:1]
	s_waitcnt lgkmcnt(0)
	s_barrier
	s_and_saveexec_b64 s[0:1], vcc
	s_cbranch_execz .LBB14_195
; %bb.194:
	v_mov_b32_e32 v19, 0
	ds_read_b32 v18, v19 offset:13256
	v_mov_b32_e32 v17, 1.0
	ds_write_b32 v19, v17 offset:13260
	s_waitcnt lgkmcnt(1)
	ds_write_b64 v19, v[17:18] offset:13000
.LBB14_195:
	s_or_b64 exec, exec, s[0:1]
	v_mov_b32_e32 v17, 0
	s_waitcnt lgkmcnt(0)
	s_barrier
	buffer_wbinvl1_vol
	s_and_saveexec_b64 s[0:1], s[2:3]
	s_cbranch_execz .LBB14_199
; %bb.196:
	v_lshlrev_b32_e32 v17, 8, v3
	v_lshlrev_b32_e32 v18, 2, v2
	ds_read_b32 v19, v18 offset:12992
	ds_read_b32 v17, v17 offset:13000
	v_mov_b32_e32 v18, 0
	v_cmp_gt_u32_e64 s[10:11], 2, v5
	s_waitcnt lgkmcnt(0)
	v_fma_f32 v17, v19, v17, 0
	s_and_saveexec_b64 s[14:15], s[10:11]
	s_cbranch_execz .LBB14_198
; %bb.197:
	v_lshlrev_b32_e32 v19, 2, v0
	ds_read_b32 v19, v19 offset:13248
	ds_read_b32 v18, v18 offset:13260
	s_waitcnt lgkmcnt(0)
	v_fmac_f32_e32 v17, v19, v18
.LBB14_198:
	s_or_b64 exec, exec, s[14:15]
.LBB14_199:
	s_or_b64 exec, exec, s[0:1]
	s_and_saveexec_b64 s[0:1], s[30:31]
; %bb.200:
	v_xor_b32_e32 v18, 0x80000000, v17
	ds_write_b32 v4, v18
; %bb.201:
	s_or_b64 exec, exec, s[0:1]
	s_waitcnt lgkmcnt(0)
	s_barrier
	s_and_saveexec_b64 s[0:1], s[26:27]
	s_cbranch_execz .LBB14_203
; %bb.202:
	v_mov_b32_e32 v18, 0
	ds_read_b32 v18, v18 offset:12736
	ds_read_b32 v19, v4
	s_waitcnt lgkmcnt(0)
	v_fma_f32 v17, -v18, v19, v17
.LBB14_203:
	s_or_b64 exec, exec, s[0:1]
	s_barrier
	s_and_saveexec_b64 s[0:1], s[26:27]
; %bb.204:
	v_xor_b32_e32 v18, 0x80000000, v17
	ds_write_b32 v4, v18
; %bb.205:
	s_or_b64 exec, exec, s[0:1]
	s_waitcnt lgkmcnt(0)
	s_barrier
	s_barrier
	s_and_saveexec_b64 s[0:1], s[2:3]
; %bb.206:
	v_lshlrev_b32_e32 v18, 2, v2
	v_lshl_or_b32 v18, v3, 8, v18
	ds_write_b32 v18, v17 offset:12992
; %bb.207:
	s_or_b64 exec, exec, s[0:1]
	s_waitcnt lgkmcnt(0)
	s_barrier
	s_barrier
	s_and_saveexec_b64 s[0:1], s[34:35]
	s_cbranch_execz .LBB14_209
; %bb.208:
	v_lshlrev_b32_e32 v17, 2, v0
	s_movk_i32 s10, 0xfc
	v_mad_u32_u24 v18, v0, s10, v17
	ds_read_b32 v19, v18 offset:12992
	s_waitcnt lgkmcnt(0)
	ds_write_b32 v17, v19 offset:12488
	ds_read_b32 v18, v18 offset:12996
	s_waitcnt lgkmcnt(0)
	ds_write_b32 v17, v18 offset:12744
.LBB14_209:
	s_or_b64 exec, exec, s[0:1]
	s_waitcnt lgkmcnt(0)
	s_barrier
	s_and_saveexec_b64 s[0:1], vcc
	s_cbranch_execz .LBB14_211
; %bb.210:
	v_mov_b32_e32 v19, 0
	ds_read_b32 v18, v19 offset:12736
	v_mov_b32_e32 v17, 1.0
	ds_write_b32 v19, v17 offset:12740
	s_waitcnt lgkmcnt(1)
	ds_write_b64 v19, v[17:18] offset:12480
.LBB14_211:
	s_or_b64 exec, exec, s[0:1]
	s_movk_i32 s0, 0xff
	v_lshrrev_b32_e32 v19, 4, v5
	v_cmp_lt_u32_e64 s[14:15], s0, v5
	s_movk_i32 s0, 0x100
	v_and_b32_e32 v17, 15, v0
	v_sub_u32_e32 v18, 15, v19
	v_cmp_gt_u32_e64 s[10:11], s0, v5
	v_mov_b32_e32 v20, 0
	s_waitcnt lgkmcnt(0)
	s_barrier
	buffer_wbinvl1_vol
	s_and_saveexec_b64 s[0:1], s[10:11]
	s_cbranch_execz .LBB14_239
; %bb.212:
	v_lshlrev_b32_e32 v22, 2, v17
	v_lshlrev_b32_e32 v21, 8, v18
	ds_read_b32 v20, v22 offset:12416
	ds_read_b32 v23, v21 offset:12480
	s_movk_i32 s16, 0xf0
	v_cmp_gt_u32_e64 s[16:17], s16, v5
	s_waitcnt lgkmcnt(0)
	v_fma_f32 v20, v20, v23, 0
	s_and_saveexec_b64 s[20:21], s[16:17]
	s_cbranch_execz .LBB14_214
; %bb.213:
	ds_read_b32 v23, v22 offset:12672
	ds_read_b32 v24, v21 offset:12484
	s_waitcnt lgkmcnt(0)
	v_fmac_f32_e32 v20, v23, v24
.LBB14_214:
	s_or_b64 exec, exec, s[20:21]
	s_movk_i32 s16, 0xe0
	v_cmp_gt_u32_e64 s[16:17], s16, v5
	s_and_saveexec_b64 s[20:21], s[16:17]
	s_cbranch_execz .LBB14_216
; %bb.215:
	ds_read_b32 v23, v22 offset:12928
	ds_read_b32 v24, v21 offset:12488
	s_waitcnt lgkmcnt(0)
	v_fmac_f32_e32 v20, v23, v24
.LBB14_216:
	s_or_b64 exec, exec, s[20:21]
	s_movk_i32 s16, 0xd0
	v_cmp_gt_u32_e64 s[16:17], s16, v5
	;; [unrolled: 11-line block ×10, first 2 shown]
	s_and_saveexec_b64 s[20:21], s[16:17]
	s_cbranch_execnz .LBB14_1182
; %bb.233:
	s_or_b64 exec, exec, s[20:21]
	s_and_saveexec_b64 s[16:17], s[8:9]
	s_cbranch_execnz .LBB14_1183
.LBB14_234:
	s_or_b64 exec, exec, s[16:17]
	v_cmp_gt_u32_e64 s[16:17], 48, v5
	s_and_saveexec_b64 s[20:21], s[16:17]
	s_cbranch_execnz .LBB14_1184
.LBB14_235:
	s_or_b64 exec, exec, s[20:21]
	v_cmp_gt_u32_e64 s[16:17], 32, v5
	s_and_saveexec_b64 s[20:21], s[16:17]
	s_cbranch_execnz .LBB14_1185
.LBB14_236:
	s_or_b64 exec, exec, s[20:21]
	v_cmp_gt_u32_e64 s[16:17], 16, v5
	s_and_saveexec_b64 s[20:21], s[16:17]
	s_cbranch_execz .LBB14_238
.LBB14_237:
	v_lshlrev_b32_e32 v21, 2, v0
	v_mov_b32_e32 v22, 0
	ds_read_b32 v21, v21 offset:16256
	ds_read_b32 v22, v22 offset:16380
	s_waitcnt lgkmcnt(0)
	v_fmac_f32_e32 v20, v21, v22
.LBB14_238:
	s_or_b64 exec, exec, s[20:21]
.LBB14_239:
	s_or_b64 exec, exec, s[0:1]
	v_mov_b32_e32 v21, 0x4000
	v_lshl_add_u32 v19, v19, 2, v21
	v_cmp_eq_u32_e64 s[16:17], 15, v17
	s_xor_b64 s[20:21], s[14:15], -1
	s_and_b64 s[14:15], s[16:17], s[20:21]
	s_mov_b64 s[0:1], exec
	v_writelane_b32 v28, s14, 2
	v_writelane_b32 v28, s15, 3
	s_and_b64 s[14:15], s[0:1], s[14:15]
	s_mov_b64 exec, s[14:15]
; %bb.240:
	v_xor_b32_e32 v21, 0x80000000, v20
	ds_write_b32 v19, v21
; %bb.241:
	s_or_b64 exec, exec, s[0:1]
	v_cmp_ne_u32_e64 s[14:15], 15, v17
	s_waitcnt lgkmcnt(0)
	s_barrier
	s_and_b64 s[14:15], s[14:15], s[20:21]
	s_mov_b64 s[0:1], exec
	v_writelane_b32 v28, s14, 4
	v_writelane_b32 v28, s15, 5
	s_and_b64 s[14:15], s[0:1], s[14:15]
	s_mov_b64 exec, s[14:15]
	s_cbranch_execz .LBB14_243
; %bb.242:
	v_lshlrev_b32_e32 v21, 2, v17
	ds_read_b32 v21, v21 offset:12160
	ds_read_b32 v22, v19
	s_waitcnt lgkmcnt(0)
	v_fma_f32 v20, -v21, v22, v20
.LBB14_243:
	s_or_b64 exec, exec, s[0:1]
	v_cmp_eq_u32_e64 s[14:15], 14, v17
	s_barrier
	s_and_b64 s[14:15], s[14:15], s[20:21]
	s_mov_b64 s[0:1], exec
	v_writelane_b32 v28, s14, 6
	v_writelane_b32 v28, s15, 7
	s_and_b64 s[14:15], s[0:1], s[14:15]
	s_mov_b64 exec, s[14:15]
; %bb.244:
	v_xor_b32_e32 v21, 0x80000000, v20
	ds_write_b32 v19, v21
; %bb.245:
	s_or_b64 exec, exec, s[0:1]
	v_cmp_gt_u32_e64 s[14:15], 14, v17
	s_waitcnt lgkmcnt(0)
	s_barrier
	s_and_b64 s[14:15], s[14:15], s[20:21]
	s_mov_b64 s[0:1], exec
	v_writelane_b32 v28, s14, 8
	v_writelane_b32 v28, s15, 9
	s_and_b64 s[14:15], s[0:1], s[14:15]
	s_mov_b64 exec, s[14:15]
	s_cbranch_execz .LBB14_247
; %bb.246:
	v_lshlrev_b32_e32 v21, 2, v17
	ds_read_b32 v21, v21 offset:11904
	ds_read_b32 v22, v19
	s_waitcnt lgkmcnt(0)
	v_fma_f32 v20, -v21, v22, v20
.LBB14_247:
	s_or_b64 exec, exec, s[0:1]
	v_cmp_eq_u32_e64 s[14:15], 13, v17
	s_barrier
	s_and_b64 s[14:15], s[14:15], s[20:21]
	s_mov_b64 s[0:1], exec
	v_writelane_b32 v28, s14, 10
	v_writelane_b32 v28, s15, 11
	s_and_b64 s[14:15], s[0:1], s[14:15]
	s_mov_b64 exec, s[14:15]
; %bb.248:
	v_xor_b32_e32 v21, 0x80000000, v20
	ds_write_b32 v19, v21
; %bb.249:
	s_or_b64 exec, exec, s[0:1]
	v_cmp_gt_u32_e64 s[14:15], 13, v17
	;; [unrolled: 31-line block ×12, first 2 shown]
	s_and_b64 s[0:1], s[14:15], s[20:21]
	s_waitcnt lgkmcnt(0)
	s_barrier
	s_and_saveexec_b64 s[14:15], s[0:1]
	s_cbranch_execz .LBB14_291
; %bb.290:
	v_lshlrev_b32_e32 v21, 2, v17
	ds_read_b32 v21, v21 offset:9088
	ds_read_b32 v22, v19
	s_waitcnt lgkmcnt(0)
	v_fma_f32 v20, -v21, v22, v20
.LBB14_291:
	s_or_b64 exec, exec, s[14:15]
	v_cmp_eq_u32_e64 s[14:15], 2, v17
	s_and_b64 s[80:81], s[14:15], s[20:21]
	s_barrier
	s_and_saveexec_b64 s[14:15], s[80:81]
; %bb.292:
	v_xor_b32_e32 v21, 0x80000000, v20
	ds_write_b32 v19, v21
; %bb.293:
	s_or_b64 exec, exec, s[14:15]
	v_cmp_gt_u32_e64 s[14:15], 2, v17
	s_and_b64 s[82:83], s[14:15], s[20:21]
	s_waitcnt lgkmcnt(0)
	s_barrier
	s_and_saveexec_b64 s[14:15], s[82:83]
	s_cbranch_execz .LBB14_295
; %bb.294:
	v_lshlrev_b32_e32 v21, 2, v17
	ds_read_b32 v21, v21 offset:8832
	ds_read_b32 v22, v19
	s_waitcnt lgkmcnt(0)
	v_fma_f32 v20, -v21, v22, v20
.LBB14_295:
	s_or_b64 exec, exec, s[14:15]
	v_cmp_eq_u32_e64 s[14:15], 1, v17
	s_and_b64 s[84:85], s[14:15], s[20:21]
	s_barrier
	s_and_saveexec_b64 s[14:15], s[84:85]
; %bb.296:
	v_xor_b32_e32 v21, 0x80000000, v20
	ds_write_b32 v19, v21
; %bb.297:
	s_or_b64 exec, exec, s[14:15]
	v_cmp_eq_u32_e64 s[14:15], 0, v17
	s_and_b64 s[86:87], s[14:15], s[20:21]
	s_waitcnt lgkmcnt(0)
	s_barrier
	s_and_saveexec_b64 s[14:15], s[86:87]
	s_cbranch_execz .LBB14_299
; %bb.298:
	v_mov_b32_e32 v21, 0
	ds_read_b32 v21, v21 offset:8576
	ds_read_b32 v22, v19
	s_waitcnt lgkmcnt(0)
	v_fma_f32 v20, -v21, v22, v20
.LBB14_299:
	s_or_b64 exec, exec, s[14:15]
	s_barrier
	s_and_saveexec_b64 s[14:15], s[86:87]
; %bb.300:
	v_xor_b32_e32 v21, 0x80000000, v20
	ds_write_b32 v19, v21
; %bb.301:
	s_or_b64 exec, exec, s[14:15]
	s_waitcnt lgkmcnt(0)
	s_barrier
	s_barrier
	s_and_saveexec_b64 s[14:15], s[10:11]
; %bb.302:
	v_lshlrev_b32_e32 v21, 2, v17
	v_lshl_or_b32 v21, v18, 8, v21
	ds_write_b32 v21, v20 offset:12416
; %bb.303:
	s_or_b64 exec, exec, s[14:15]
	v_cmp_gt_u32_e64 s[14:15], 16, v0
	s_and_b64 s[88:89], s[12:13], s[14:15]
	s_waitcnt lgkmcnt(0)
	s_barrier
	s_barrier
	s_and_saveexec_b64 s[14:15], s[88:89]
	s_cbranch_execz .LBB14_305
; %bb.304:
	v_lshlrev_b32_e32 v20, 8, v0
	ds_read_b32 v21, v20 offset:12416
	s_movk_i32 s16, 0xff04
	v_mad_i32_i24 v22, v0, s16, v20
	s_waitcnt lgkmcnt(0)
	ds_write_b32 v22, v21 offset:8384
	ds_read_b32 v21, v20 offset:12420
	s_waitcnt lgkmcnt(0)
	ds_write_b32 v22, v21 offset:8640
	ds_read_b32 v21, v20 offset:12424
	;; [unrolled: 3-line block ×15, first 2 shown]
	s_waitcnt lgkmcnt(0)
	ds_write_b32 v22, v20 offset:12224
.LBB14_305:
	s_or_b64 exec, exec, s[14:15]
	s_waitcnt lgkmcnt(0)
	s_barrier
	s_and_saveexec_b64 s[14:15], vcc
	s_cbranch_execz .LBB14_307
; %bb.306:
	v_mov_b32_e32 v22, 0
	ds_read_b32 v21, v22 offset:12216
	v_mov_b32_e32 v20, 1.0
	ds_write_b32 v22, v20 offset:12220
	s_waitcnt lgkmcnt(1)
	ds_write_b64 v22, v[20:21] offset:11960
.LBB14_307:
	s_or_b64 exec, exec, s[14:15]
	v_mov_b32_e32 v20, 0
	s_waitcnt lgkmcnt(0)
	s_barrier
	buffer_wbinvl1_vol
	s_and_saveexec_b64 s[16:17], s[2:3]
	s_cbranch_execz .LBB14_311
; %bb.308:
	v_lshlrev_b32_e32 v20, 8, v3
	v_lshlrev_b32_e32 v21, 2, v2
	ds_read_b32 v22, v21 offset:11952
	ds_read_b32 v20, v20 offset:11960
	v_mov_b32_e32 v21, 0
	v_cmp_gt_u32_e64 s[14:15], 2, v5
	s_waitcnt lgkmcnt(0)
	v_fma_f32 v20, v22, v20, 0
	s_and_saveexec_b64 s[20:21], s[14:15]
	s_cbranch_execz .LBB14_310
; %bb.309:
	v_lshlrev_b32_e32 v22, 2, v0
	ds_read_b32 v22, v22 offset:12208
	ds_read_b32 v21, v21 offset:12220
	s_waitcnt lgkmcnt(0)
	v_fmac_f32_e32 v20, v22, v21
.LBB14_310:
	s_or_b64 exec, exec, s[20:21]
.LBB14_311:
	s_or_b64 exec, exec, s[16:17]
	s_and_saveexec_b64 s[14:15], s[30:31]
; %bb.312:
	v_xor_b32_e32 v21, 0x80000000, v20
	ds_write_b32 v4, v21
; %bb.313:
	s_or_b64 exec, exec, s[14:15]
	s_waitcnt lgkmcnt(0)
	s_barrier
	s_and_saveexec_b64 s[14:15], s[26:27]
	s_cbranch_execz .LBB14_315
; %bb.314:
	v_mov_b32_e32 v21, 0
	ds_read_b32 v21, v21 offset:11696
	ds_read_b32 v22, v4
	s_waitcnt lgkmcnt(0)
	v_fma_f32 v20, -v21, v22, v20
.LBB14_315:
	s_or_b64 exec, exec, s[14:15]
	s_barrier
	s_and_saveexec_b64 s[14:15], s[26:27]
; %bb.316:
	v_xor_b32_e32 v21, 0x80000000, v20
	ds_write_b32 v4, v21
; %bb.317:
	s_or_b64 exec, exec, s[14:15]
	s_waitcnt lgkmcnt(0)
	s_barrier
	s_barrier
	s_and_saveexec_b64 s[14:15], s[2:3]
; %bb.318:
	v_lshlrev_b32_e32 v21, 2, v2
	v_lshl_or_b32 v21, v3, 8, v21
	ds_write_b32 v21, v20 offset:11952
; %bb.319:
	s_or_b64 exec, exec, s[14:15]
	s_waitcnt lgkmcnt(0)
	s_barrier
	s_barrier
	s_and_saveexec_b64 s[14:15], s[34:35]
	s_cbranch_execz .LBB14_321
; %bb.320:
	v_lshlrev_b32_e32 v20, 2, v0
	s_movk_i32 s16, 0xfc
	v_mad_u32_u24 v21, v0, s16, v20
	ds_read_b32 v22, v21 offset:11952
	s_waitcnt lgkmcnt(0)
	ds_write_b32 v20, v22 offset:11448
	ds_read_b32 v21, v21 offset:11956
	s_waitcnt lgkmcnt(0)
	ds_write_b32 v20, v21 offset:11704
.LBB14_321:
	s_or_b64 exec, exec, s[14:15]
	s_waitcnt lgkmcnt(0)
	s_barrier
	s_and_saveexec_b64 s[14:15], vcc
	s_cbranch_execz .LBB14_323
; %bb.322:
	v_mov_b32_e32 v22, 0
	ds_read_b32 v21, v22 offset:11696
	v_mov_b32_e32 v20, 1.0
	ds_write_b32 v22, v20 offset:11700
	s_waitcnt lgkmcnt(1)
	ds_write_b64 v22, v[20:21] offset:11440
.LBB14_323:
	s_or_b64 exec, exec, s[14:15]
	v_mov_b32_e32 v20, 0
	s_waitcnt lgkmcnt(0)
	s_barrier
	buffer_wbinvl1_vol
	s_and_saveexec_b64 s[16:17], s[18:19]
	s_cbranch_execz .LBB14_329
; %bb.324:
	v_lshlrev_b32_e32 v22, 2, v11
	v_lshlrev_b32_e32 v21, 8, v12
	ds_read_b32 v20, v22 offset:11424
	ds_read_b32 v23, v21 offset:11440
	v_cmp_gt_u32_e64 s[14:15], 12, v5
	s_waitcnt lgkmcnt(0)
	v_fma_f32 v20, v20, v23, 0
	s_and_saveexec_b64 s[20:21], s[14:15]
	s_cbranch_execnz .LBB14_1186
; %bb.325:
	s_or_b64 exec, exec, s[20:21]
	v_cmp_gt_u32_e64 s[14:15], 8, v5
	s_and_saveexec_b64 s[20:21], s[14:15]
	s_cbranch_execnz .LBB14_1187
.LBB14_326:
	s_or_b64 exec, exec, s[20:21]
	v_cmp_gt_u32_e64 s[14:15], 4, v5
	s_and_saveexec_b64 s[20:21], s[14:15]
	s_cbranch_execz .LBB14_328
.LBB14_327:
	v_lshlrev_b32_e32 v21, 2, v0
	v_mov_b32_e32 v22, 0
	ds_read_b32 v21, v21 offset:12192
	ds_read_b32 v22, v22 offset:12220
	s_waitcnt lgkmcnt(0)
	v_fmac_f32_e32 v20, v21, v22
.LBB14_328:
	s_or_b64 exec, exec, s[20:21]
.LBB14_329:
	s_or_b64 exec, exec, s[16:17]
	s_and_saveexec_b64 s[14:15], s[38:39]
; %bb.330:
	v_xor_b32_e32 v21, 0x80000000, v20
	ds_write_b32 v13, v21
; %bb.331:
	s_or_b64 exec, exec, s[14:15]
	s_waitcnt lgkmcnt(0)
	s_barrier
	s_and_saveexec_b64 s[14:15], s[40:41]
	s_cbranch_execz .LBB14_333
; %bb.332:
	v_lshlrev_b32_e32 v21, 2, v11
	ds_read_b32 v21, v21 offset:11168
	ds_read_b32 v22, v13
	s_waitcnt lgkmcnt(0)
	v_fma_f32 v20, -v21, v22, v20
.LBB14_333:
	s_or_b64 exec, exec, s[14:15]
	s_barrier
	s_and_saveexec_b64 s[14:15], s[42:43]
; %bb.334:
	v_xor_b32_e32 v21, 0x80000000, v20
	ds_write_b32 v13, v21
; %bb.335:
	s_or_b64 exec, exec, s[14:15]
	s_waitcnt lgkmcnt(0)
	s_barrier
	s_and_saveexec_b64 s[14:15], s[44:45]
	s_cbranch_execz .LBB14_337
; %bb.336:
	v_lshlrev_b32_e32 v21, 2, v11
	ds_read_b32 v21, v21 offset:10912
	ds_read_b32 v22, v13
	s_waitcnt lgkmcnt(0)
	v_fma_f32 v20, -v21, v22, v20
.LBB14_337:
	s_or_b64 exec, exec, s[14:15]
	s_barrier
	s_and_saveexec_b64 s[14:15], s[46:47]
; %bb.338:
	v_xor_b32_e32 v21, 0x80000000, v20
	ds_write_b32 v13, v21
; %bb.339:
	s_or_b64 exec, exec, s[14:15]
	s_waitcnt lgkmcnt(0)
	s_barrier
	s_and_saveexec_b64 s[14:15], s[36:37]
	s_cbranch_execz .LBB14_341
; %bb.340:
	v_mov_b32_e32 v21, 0
	ds_read_b32 v21, v21 offset:10656
	ds_read_b32 v22, v13
	s_waitcnt lgkmcnt(0)
	v_fma_f32 v20, -v21, v22, v20
.LBB14_341:
	s_or_b64 exec, exec, s[14:15]
	s_barrier
	s_and_saveexec_b64 s[14:15], s[36:37]
; %bb.342:
	v_xor_b32_e32 v21, 0x80000000, v20
	ds_write_b32 v13, v21
; %bb.343:
	s_or_b64 exec, exec, s[14:15]
	s_waitcnt lgkmcnt(0)
	s_barrier
	s_barrier
	s_and_saveexec_b64 s[14:15], s[18:19]
; %bb.344:
	v_lshlrev_b32_e32 v21, 2, v11
	v_lshl_or_b32 v21, v12, 8, v21
	ds_write_b32 v21, v20 offset:11424
; %bb.345:
	s_or_b64 exec, exec, s[14:15]
	s_waitcnt lgkmcnt(0)
	s_barrier
	s_barrier
	s_and_saveexec_b64 s[14:15], s[48:49]
	s_cbranch_execz .LBB14_347
; %bb.346:
	v_lshlrev_b32_e32 v20, 8, v0
	ds_read_b32 v21, v20 offset:11424
	s_movk_i32 s16, 0xff04
	v_mad_i32_i24 v22, v0, s16, v20
	s_waitcnt lgkmcnt(0)
	ds_write_b32 v22, v21 offset:10416
	ds_read_b32 v21, v20 offset:11428
	s_waitcnt lgkmcnt(0)
	ds_write_b32 v22, v21 offset:10672
	ds_read_b32 v21, v20 offset:11432
	;; [unrolled: 3-line block ×3, first 2 shown]
	s_waitcnt lgkmcnt(0)
	ds_write_b32 v22, v20 offset:11184
.LBB14_347:
	s_or_b64 exec, exec, s[14:15]
	s_waitcnt lgkmcnt(0)
	s_barrier
	s_and_saveexec_b64 s[14:15], vcc
	s_cbranch_execz .LBB14_349
; %bb.348:
	v_mov_b32_e32 v22, 0
	ds_read_b32 v21, v22 offset:11176
	v_mov_b32_e32 v20, 1.0
	ds_write_b32 v22, v20 offset:11180
	s_waitcnt lgkmcnt(1)
	ds_write_b64 v22, v[20:21] offset:10920
.LBB14_349:
	s_or_b64 exec, exec, s[14:15]
	v_mov_b32_e32 v20, 0
	s_waitcnt lgkmcnt(0)
	s_barrier
	buffer_wbinvl1_vol
	s_and_saveexec_b64 s[16:17], s[2:3]
	s_cbranch_execz .LBB14_353
; %bb.350:
	v_lshlrev_b32_e32 v20, 8, v3
	v_lshlrev_b32_e32 v21, 2, v2
	ds_read_b32 v22, v21 offset:10912
	ds_read_b32 v20, v20 offset:10920
	v_mov_b32_e32 v21, 0
	v_cmp_gt_u32_e64 s[14:15], 2, v5
	s_waitcnt lgkmcnt(0)
	v_fma_f32 v20, v22, v20, 0
	s_and_saveexec_b64 s[20:21], s[14:15]
	s_cbranch_execz .LBB14_352
; %bb.351:
	v_lshlrev_b32_e32 v22, 2, v0
	ds_read_b32 v22, v22 offset:11168
	ds_read_b32 v21, v21 offset:11180
	s_waitcnt lgkmcnt(0)
	v_fmac_f32_e32 v20, v22, v21
.LBB14_352:
	s_or_b64 exec, exec, s[20:21]
.LBB14_353:
	s_or_b64 exec, exec, s[16:17]
	s_and_saveexec_b64 s[14:15], s[30:31]
; %bb.354:
	v_xor_b32_e32 v21, 0x80000000, v20
	ds_write_b32 v4, v21
; %bb.355:
	s_or_b64 exec, exec, s[14:15]
	s_waitcnt lgkmcnt(0)
	s_barrier
	s_and_saveexec_b64 s[14:15], s[26:27]
	s_cbranch_execz .LBB14_357
; %bb.356:
	v_mov_b32_e32 v21, 0
	ds_read_b32 v21, v21 offset:10656
	ds_read_b32 v22, v4
	s_waitcnt lgkmcnt(0)
	v_fma_f32 v20, -v21, v22, v20
.LBB14_357:
	s_or_b64 exec, exec, s[14:15]
	s_barrier
	s_and_saveexec_b64 s[14:15], s[26:27]
; %bb.358:
	v_xor_b32_e32 v21, 0x80000000, v20
	ds_write_b32 v4, v21
; %bb.359:
	s_or_b64 exec, exec, s[14:15]
	s_waitcnt lgkmcnt(0)
	s_barrier
	s_barrier
	s_and_saveexec_b64 s[14:15], s[2:3]
; %bb.360:
	v_lshlrev_b32_e32 v21, 2, v2
	v_lshl_or_b32 v21, v3, 8, v21
	ds_write_b32 v21, v20 offset:10912
; %bb.361:
	s_or_b64 exec, exec, s[14:15]
	s_waitcnt lgkmcnt(0)
	s_barrier
	s_barrier
	s_and_saveexec_b64 s[14:15], s[34:35]
	s_cbranch_execz .LBB14_363
; %bb.362:
	v_lshlrev_b32_e32 v20, 2, v0
	s_movk_i32 s16, 0xfc
	v_mad_u32_u24 v21, v0, s16, v20
	ds_read_b32 v22, v21 offset:10912
	s_waitcnt lgkmcnt(0)
	ds_write_b32 v20, v22 offset:10408
	ds_read_b32 v21, v21 offset:10916
	s_waitcnt lgkmcnt(0)
	ds_write_b32 v20, v21 offset:10664
.LBB14_363:
	s_or_b64 exec, exec, s[14:15]
	s_waitcnt lgkmcnt(0)
	s_barrier
	s_and_saveexec_b64 s[14:15], vcc
	s_cbranch_execz .LBB14_365
; %bb.364:
	v_mov_b32_e32 v22, 0
	ds_read_b32 v21, v22 offset:10656
	v_mov_b32_e32 v20, 1.0
	ds_write_b32 v22, v20 offset:10660
	s_waitcnt lgkmcnt(1)
	ds_write_b64 v22, v[20:21] offset:10400
.LBB14_365:
	s_or_b64 exec, exec, s[14:15]
	v_mov_b32_e32 v20, 0
	s_waitcnt lgkmcnt(0)
	s_barrier
	buffer_wbinvl1_vol
	s_and_saveexec_b64 s[16:17], s[8:9]
	s_cbranch_execz .LBB14_375
; %bb.366:
	v_lshlrev_b32_e32 v22, 2, v14
	v_lshlrev_b32_e32 v21, 8, v15
	ds_read_b32 v20, v22 offset:10368
	ds_read_b32 v23, v21 offset:10400
	v_cmp_gt_u32_e64 s[14:15], 56, v5
	s_waitcnt lgkmcnt(0)
	v_fma_f32 v20, v20, v23, 0
	s_and_saveexec_b64 s[20:21], s[14:15]
	s_cbranch_execnz .LBB14_1188
; %bb.367:
	s_or_b64 exec, exec, s[20:21]
	v_cmp_gt_u32_e64 s[14:15], 48, v5
	s_and_saveexec_b64 s[20:21], s[14:15]
	s_cbranch_execnz .LBB14_1189
.LBB14_368:
	s_or_b64 exec, exec, s[20:21]
	v_cmp_gt_u32_e64 s[14:15], 40, v5
	s_and_saveexec_b64 s[20:21], s[14:15]
	s_cbranch_execnz .LBB14_1190
.LBB14_369:
	s_or_b64 exec, exec, s[20:21]
	v_cmp_gt_u32_e64 s[14:15], 32, v5
	s_and_saveexec_b64 s[20:21], s[14:15]
	s_cbranch_execnz .LBB14_1191
.LBB14_370:
	s_or_b64 exec, exec, s[20:21]
	v_cmp_gt_u32_e64 s[14:15], 24, v5
	s_and_saveexec_b64 s[20:21], s[14:15]
	s_cbranch_execnz .LBB14_1192
.LBB14_371:
	s_or_b64 exec, exec, s[20:21]
	s_and_saveexec_b64 s[14:15], s[18:19]
	s_cbranch_execnz .LBB14_1193
.LBB14_372:
	s_or_b64 exec, exec, s[14:15]
	v_cmp_gt_u32_e64 s[14:15], 8, v5
	s_and_saveexec_b64 s[20:21], s[14:15]
	s_cbranch_execz .LBB14_374
.LBB14_373:
	v_lshlrev_b32_e32 v21, 2, v0
	v_mov_b32_e32 v22, 0
	ds_read_b32 v21, v21 offset:12160
	ds_read_b32 v22, v22 offset:12220
	s_waitcnt lgkmcnt(0)
	v_fmac_f32_e32 v20, v21, v22
.LBB14_374:
	s_or_b64 exec, exec, s[20:21]
.LBB14_375:
	s_or_b64 exec, exec, s[16:17]
	s_and_saveexec_b64 s[14:15], s[50:51]
; %bb.376:
	v_xor_b32_e32 v21, 0x80000000, v20
	ds_write_b32 v16, v21
; %bb.377:
	s_or_b64 exec, exec, s[14:15]
	s_waitcnt lgkmcnt(0)
	s_barrier
	s_and_saveexec_b64 s[14:15], s[52:53]
	s_cbranch_execz .LBB14_379
; %bb.378:
	v_lshlrev_b32_e32 v21, 2, v14
	ds_read_b32 v21, v21 offset:10112
	ds_read_b32 v22, v16
	s_waitcnt lgkmcnt(0)
	v_fma_f32 v20, -v21, v22, v20
.LBB14_379:
	s_or_b64 exec, exec, s[14:15]
	s_barrier
	s_and_saveexec_b64 s[14:15], s[54:55]
; %bb.380:
	v_xor_b32_e32 v21, 0x80000000, v20
	ds_write_b32 v16, v21
; %bb.381:
	s_or_b64 exec, exec, s[14:15]
	s_waitcnt lgkmcnt(0)
	s_barrier
	s_and_saveexec_b64 s[14:15], s[56:57]
	s_cbranch_execz .LBB14_383
; %bb.382:
	v_lshlrev_b32_e32 v21, 2, v14
	ds_read_b32 v21, v21 offset:9856
	ds_read_b32 v22, v16
	s_waitcnt lgkmcnt(0)
	v_fma_f32 v20, -v21, v22, v20
.LBB14_383:
	s_or_b64 exec, exec, s[14:15]
	s_barrier
	;; [unrolled: 19-line block ×6, first 2 shown]
	s_and_saveexec_b64 s[14:15], s[76:77]
; %bb.400:
	v_xor_b32_e32 v21, 0x80000000, v20
	ds_write_b32 v16, v21
; %bb.401:
	s_or_b64 exec, exec, s[14:15]
	s_waitcnt lgkmcnt(0)
	s_barrier
	s_and_saveexec_b64 s[14:15], s[60:61]
	s_cbranch_execz .LBB14_403
; %bb.402:
	v_mov_b32_e32 v21, 0
	ds_read_b32 v21, v21 offset:8576
	ds_read_b32 v22, v16
	s_waitcnt lgkmcnt(0)
	v_fma_f32 v20, -v21, v22, v20
.LBB14_403:
	s_or_b64 exec, exec, s[14:15]
	s_barrier
	s_and_saveexec_b64 s[14:15], s[60:61]
; %bb.404:
	v_xor_b32_e32 v21, 0x80000000, v20
	ds_write_b32 v16, v21
; %bb.405:
	s_or_b64 exec, exec, s[14:15]
	s_waitcnt lgkmcnt(0)
	s_barrier
	s_barrier
	s_and_saveexec_b64 s[14:15], s[8:9]
; %bb.406:
	v_lshlrev_b32_e32 v21, 2, v14
	v_lshl_or_b32 v21, v15, 8, v21
	ds_write_b32 v21, v20 offset:10368
; %bb.407:
	s_or_b64 exec, exec, s[14:15]
	s_waitcnt lgkmcnt(0)
	s_barrier
	s_barrier
	s_and_saveexec_b64 s[14:15], s[78:79]
	s_cbranch_execz .LBB14_409
; %bb.408:
	v_lshlrev_b32_e32 v20, 8, v0
	ds_read_b32 v21, v20 offset:10368
	s_movk_i32 s16, 0xff04
	v_mad_i32_i24 v22, v0, s16, v20
	s_waitcnt lgkmcnt(0)
	ds_write_b32 v22, v21 offset:8352
	ds_read_b32 v21, v20 offset:10372
	s_waitcnt lgkmcnt(0)
	ds_write_b32 v22, v21 offset:8608
	ds_read_b32 v21, v20 offset:10376
	;; [unrolled: 3-line block ×7, first 2 shown]
	s_waitcnt lgkmcnt(0)
	ds_write_b32 v22, v20 offset:10144
.LBB14_409:
	s_or_b64 exec, exec, s[14:15]
	s_waitcnt lgkmcnt(0)
	s_barrier
	s_and_saveexec_b64 s[14:15], vcc
	s_cbranch_execz .LBB14_411
; %bb.410:
	v_mov_b32_e32 v22, 0
	ds_read_b32 v21, v22 offset:10136
	v_mov_b32_e32 v20, 1.0
	ds_write_b32 v22, v20 offset:10140
	s_waitcnt lgkmcnt(1)
	ds_write_b64 v22, v[20:21] offset:9880
.LBB14_411:
	s_or_b64 exec, exec, s[14:15]
	v_mov_b32_e32 v20, 0
	s_waitcnt lgkmcnt(0)
	s_barrier
	buffer_wbinvl1_vol
	s_and_saveexec_b64 s[16:17], s[2:3]
	s_cbranch_execz .LBB14_415
; %bb.412:
	v_lshlrev_b32_e32 v20, 8, v3
	v_lshlrev_b32_e32 v21, 2, v2
	ds_read_b32 v22, v21 offset:9872
	ds_read_b32 v20, v20 offset:9880
	v_mov_b32_e32 v21, 0
	v_cmp_gt_u32_e64 s[14:15], 2, v5
	s_waitcnt lgkmcnt(0)
	v_fma_f32 v20, v22, v20, 0
	s_and_saveexec_b64 s[20:21], s[14:15]
	s_cbranch_execz .LBB14_414
; %bb.413:
	v_lshlrev_b32_e32 v22, 2, v0
	ds_read_b32 v22, v22 offset:10128
	ds_read_b32 v21, v21 offset:10140
	s_waitcnt lgkmcnt(0)
	v_fmac_f32_e32 v20, v22, v21
.LBB14_414:
	s_or_b64 exec, exec, s[20:21]
.LBB14_415:
	s_or_b64 exec, exec, s[16:17]
	s_and_saveexec_b64 s[14:15], s[30:31]
; %bb.416:
	v_xor_b32_e32 v21, 0x80000000, v20
	ds_write_b32 v4, v21
; %bb.417:
	s_or_b64 exec, exec, s[14:15]
	s_waitcnt lgkmcnt(0)
	s_barrier
	s_and_saveexec_b64 s[14:15], s[26:27]
	s_cbranch_execz .LBB14_419
; %bb.418:
	v_mov_b32_e32 v21, 0
	ds_read_b32 v21, v21 offset:9616
	ds_read_b32 v22, v4
	s_waitcnt lgkmcnt(0)
	v_fma_f32 v20, -v21, v22, v20
.LBB14_419:
	s_or_b64 exec, exec, s[14:15]
	s_barrier
	s_and_saveexec_b64 s[14:15], s[26:27]
; %bb.420:
	v_xor_b32_e32 v21, 0x80000000, v20
	ds_write_b32 v4, v21
; %bb.421:
	s_or_b64 exec, exec, s[14:15]
	s_waitcnt lgkmcnt(0)
	s_barrier
	s_barrier
	s_and_saveexec_b64 s[14:15], s[2:3]
; %bb.422:
	v_lshlrev_b32_e32 v21, 2, v2
	v_lshl_or_b32 v21, v3, 8, v21
	ds_write_b32 v21, v20 offset:9872
; %bb.423:
	s_or_b64 exec, exec, s[14:15]
	s_waitcnt lgkmcnt(0)
	s_barrier
	s_barrier
	s_and_saveexec_b64 s[14:15], s[34:35]
	s_cbranch_execz .LBB14_425
; %bb.424:
	v_lshlrev_b32_e32 v20, 2, v0
	s_movk_i32 s16, 0xfc
	v_mad_u32_u24 v21, v0, s16, v20
	ds_read_b32 v22, v21 offset:9872
	s_waitcnt lgkmcnt(0)
	ds_write_b32 v20, v22 offset:9368
	ds_read_b32 v21, v21 offset:9876
	s_waitcnt lgkmcnt(0)
	ds_write_b32 v20, v21 offset:9624
.LBB14_425:
	s_or_b64 exec, exec, s[14:15]
	s_waitcnt lgkmcnt(0)
	s_barrier
	s_and_saveexec_b64 s[14:15], vcc
	s_cbranch_execz .LBB14_427
; %bb.426:
	v_mov_b32_e32 v22, 0
	ds_read_b32 v21, v22 offset:9616
	v_mov_b32_e32 v20, 1.0
	ds_write_b32 v22, v20 offset:9620
	s_waitcnt lgkmcnt(1)
	ds_write_b64 v22, v[20:21] offset:9360
.LBB14_427:
	s_or_b64 exec, exec, s[14:15]
	v_mov_b32_e32 v20, 0
	s_waitcnt lgkmcnt(0)
	s_barrier
	buffer_wbinvl1_vol
	s_and_saveexec_b64 s[16:17], s[18:19]
	s_cbranch_execz .LBB14_433
; %bb.428:
	v_lshlrev_b32_e32 v22, 2, v11
	v_lshlrev_b32_e32 v21, 8, v12
	ds_read_b32 v20, v22 offset:9344
	ds_read_b32 v23, v21 offset:9360
	v_cmp_gt_u32_e64 s[14:15], 12, v5
	s_waitcnt lgkmcnt(0)
	v_fma_f32 v20, v20, v23, 0
	s_and_saveexec_b64 s[20:21], s[14:15]
	s_cbranch_execnz .LBB14_1194
; %bb.429:
	s_or_b64 exec, exec, s[20:21]
	v_cmp_gt_u32_e64 s[14:15], 8, v5
	s_and_saveexec_b64 s[20:21], s[14:15]
	s_cbranch_execnz .LBB14_1195
.LBB14_430:
	s_or_b64 exec, exec, s[20:21]
	v_cmp_gt_u32_e64 s[14:15], 4, v5
	s_and_saveexec_b64 s[20:21], s[14:15]
	s_cbranch_execz .LBB14_432
.LBB14_431:
	v_lshlrev_b32_e32 v21, 2, v0
	v_mov_b32_e32 v22, 0
	ds_read_b32 v21, v21 offset:10112
	ds_read_b32 v22, v22 offset:10140
	s_waitcnt lgkmcnt(0)
	v_fmac_f32_e32 v20, v21, v22
.LBB14_432:
	s_or_b64 exec, exec, s[20:21]
.LBB14_433:
	s_or_b64 exec, exec, s[16:17]
	s_and_saveexec_b64 s[14:15], s[38:39]
; %bb.434:
	v_xor_b32_e32 v21, 0x80000000, v20
	ds_write_b32 v13, v21
; %bb.435:
	s_or_b64 exec, exec, s[14:15]
	s_waitcnt lgkmcnt(0)
	s_barrier
	s_and_saveexec_b64 s[14:15], s[40:41]
	s_cbranch_execz .LBB14_437
; %bb.436:
	v_lshlrev_b32_e32 v21, 2, v11
	ds_read_b32 v21, v21 offset:9088
	ds_read_b32 v22, v13
	s_waitcnt lgkmcnt(0)
	v_fma_f32 v20, -v21, v22, v20
.LBB14_437:
	s_or_b64 exec, exec, s[14:15]
	s_barrier
	s_and_saveexec_b64 s[14:15], s[42:43]
; %bb.438:
	v_xor_b32_e32 v21, 0x80000000, v20
	ds_write_b32 v13, v21
; %bb.439:
	s_or_b64 exec, exec, s[14:15]
	s_waitcnt lgkmcnt(0)
	s_barrier
	s_and_saveexec_b64 s[14:15], s[44:45]
	s_cbranch_execz .LBB14_441
; %bb.440:
	v_lshlrev_b32_e32 v21, 2, v11
	ds_read_b32 v21, v21 offset:8832
	ds_read_b32 v22, v13
	s_waitcnt lgkmcnt(0)
	v_fma_f32 v20, -v21, v22, v20
.LBB14_441:
	s_or_b64 exec, exec, s[14:15]
	s_barrier
	s_and_saveexec_b64 s[14:15], s[46:47]
; %bb.442:
	v_xor_b32_e32 v21, 0x80000000, v20
	ds_write_b32 v13, v21
; %bb.443:
	s_or_b64 exec, exec, s[14:15]
	s_waitcnt lgkmcnt(0)
	s_barrier
	s_and_saveexec_b64 s[14:15], s[36:37]
	s_cbranch_execz .LBB14_445
; %bb.444:
	v_mov_b32_e32 v21, 0
	ds_read_b32 v21, v21 offset:8576
	ds_read_b32 v22, v13
	s_waitcnt lgkmcnt(0)
	v_fma_f32 v20, -v21, v22, v20
.LBB14_445:
	s_or_b64 exec, exec, s[14:15]
	s_barrier
	s_and_saveexec_b64 s[14:15], s[36:37]
; %bb.446:
	v_xor_b32_e32 v21, 0x80000000, v20
	ds_write_b32 v13, v21
; %bb.447:
	s_or_b64 exec, exec, s[14:15]
	s_waitcnt lgkmcnt(0)
	s_barrier
	s_barrier
	s_and_saveexec_b64 s[14:15], s[18:19]
; %bb.448:
	v_lshlrev_b32_e32 v21, 2, v11
	v_lshl_or_b32 v21, v12, 8, v21
	ds_write_b32 v21, v20 offset:9344
; %bb.449:
	s_or_b64 exec, exec, s[14:15]
	s_waitcnt lgkmcnt(0)
	s_barrier
	s_barrier
	s_and_saveexec_b64 s[14:15], s[48:49]
	s_cbranch_execz .LBB14_451
; %bb.450:
	v_lshlrev_b32_e32 v20, 8, v0
	ds_read_b32 v21, v20 offset:9344
	s_movk_i32 s16, 0xff04
	v_mad_i32_i24 v22, v0, s16, v20
	s_waitcnt lgkmcnt(0)
	ds_write_b32 v22, v21 offset:8336
	ds_read_b32 v21, v20 offset:9348
	s_waitcnt lgkmcnt(0)
	ds_write_b32 v22, v21 offset:8592
	ds_read_b32 v21, v20 offset:9352
	;; [unrolled: 3-line block ×3, first 2 shown]
	s_waitcnt lgkmcnt(0)
	ds_write_b32 v22, v20 offset:9104
.LBB14_451:
	s_or_b64 exec, exec, s[14:15]
	s_waitcnt lgkmcnt(0)
	s_barrier
	s_and_saveexec_b64 s[14:15], vcc
	s_cbranch_execz .LBB14_453
; %bb.452:
	v_mov_b32_e32 v22, 0
	ds_read_b32 v21, v22 offset:9096
	v_mov_b32_e32 v20, 1.0
	ds_write_b32 v22, v20 offset:9100
	s_waitcnt lgkmcnt(1)
	ds_write_b64 v22, v[20:21] offset:8840
.LBB14_453:
	s_or_b64 exec, exec, s[14:15]
	v_mov_b32_e32 v20, 0
	s_waitcnt lgkmcnt(0)
	s_barrier
	buffer_wbinvl1_vol
	s_and_saveexec_b64 s[16:17], s[2:3]
	s_cbranch_execz .LBB14_457
; %bb.454:
	v_lshlrev_b32_e32 v20, 8, v3
	v_lshlrev_b32_e32 v21, 2, v2
	ds_read_b32 v22, v21 offset:8832
	ds_read_b32 v20, v20 offset:8840
	v_mov_b32_e32 v21, 0
	v_cmp_gt_u32_e64 s[14:15], 2, v5
	s_waitcnt lgkmcnt(0)
	v_fma_f32 v20, v22, v20, 0
	s_and_saveexec_b64 s[20:21], s[14:15]
	s_cbranch_execz .LBB14_456
; %bb.455:
	v_lshlrev_b32_e32 v22, 2, v0
	ds_read_b32 v22, v22 offset:9088
	ds_read_b32 v21, v21 offset:9100
	s_waitcnt lgkmcnt(0)
	v_fmac_f32_e32 v20, v22, v21
.LBB14_456:
	s_or_b64 exec, exec, s[20:21]
.LBB14_457:
	s_or_b64 exec, exec, s[16:17]
	s_and_saveexec_b64 s[14:15], s[30:31]
; %bb.458:
	v_xor_b32_e32 v21, 0x80000000, v20
	ds_write_b32 v4, v21
; %bb.459:
	s_or_b64 exec, exec, s[14:15]
	s_waitcnt lgkmcnt(0)
	s_barrier
	s_and_saveexec_b64 s[14:15], s[26:27]
	s_cbranch_execz .LBB14_461
; %bb.460:
	v_mov_b32_e32 v21, 0
	ds_read_b32 v21, v21 offset:8576
	ds_read_b32 v22, v4
	s_waitcnt lgkmcnt(0)
	v_fma_f32 v20, -v21, v22, v20
.LBB14_461:
	s_or_b64 exec, exec, s[14:15]
	s_barrier
	s_and_saveexec_b64 s[14:15], s[26:27]
; %bb.462:
	v_xor_b32_e32 v21, 0x80000000, v20
	ds_write_b32 v4, v21
; %bb.463:
	s_or_b64 exec, exec, s[14:15]
	s_waitcnt lgkmcnt(0)
	s_barrier
	s_barrier
	s_and_saveexec_b64 s[14:15], s[2:3]
; %bb.464:
	v_lshlrev_b32_e32 v21, 2, v2
	v_lshl_or_b32 v21, v3, 8, v21
	ds_write_b32 v21, v20 offset:8832
; %bb.465:
	s_or_b64 exec, exec, s[14:15]
	s_waitcnt lgkmcnt(0)
	s_barrier
	s_barrier
	s_and_saveexec_b64 s[14:15], s[34:35]
	s_cbranch_execz .LBB14_467
; %bb.466:
	v_lshlrev_b32_e32 v20, 2, v0
	s_movk_i32 s16, 0xfc
	v_mad_u32_u24 v21, v0, s16, v20
	ds_read_b32 v22, v21 offset:8832
	s_waitcnt lgkmcnt(0)
	ds_write_b32 v20, v22 offset:8328
	ds_read_b32 v21, v21 offset:8836
	s_waitcnt lgkmcnt(0)
	ds_write_b32 v20, v21 offset:8584
.LBB14_467:
	s_or_b64 exec, exec, s[14:15]
	s_waitcnt lgkmcnt(0)
	s_barrier
	s_and_saveexec_b64 s[14:15], vcc
	s_cbranch_execz .LBB14_469
; %bb.468:
	v_mov_b32_e32 v22, 0
	ds_read_b32 v21, v22 offset:8576
	v_mov_b32_e32 v20, 1.0
	ds_write_b32 v22, v20 offset:8580
	s_waitcnt lgkmcnt(1)
	ds_write_b64 v22, v[20:21] offset:8320
.LBB14_469:
	s_or_b64 exec, exec, s[14:15]
	s_movk_i32 s14, 0x3ff
	v_lshrrev_b32_e32 v23, 5, v5
	v_cmp_lt_u32_e64 s[16:17], s14, v5
	s_movk_i32 s14, 0x400
	v_and_b32_e32 v20, 31, v0
	v_sub_u32_e32 v21, 31, v23
	v_cmp_gt_u32_e64 s[14:15], s14, v5
	v_mov_b32_e32 v22, 0
	s_waitcnt lgkmcnt(0)
	s_barrier
	buffer_wbinvl1_vol
	s_and_saveexec_b64 s[90:91], s[14:15]
	s_cbranch_execz .LBB14_531
; %bb.470:
	v_lshlrev_b32_e32 v25, 2, v20
	v_lshlrev_b32_e32 v24, 8, v21
	ds_read_b32 v22, v25 offset:8192
	ds_read_b32 v26, v24 offset:8320
	s_movk_i32 s20, 0x3e0
	v_cmp_gt_u32_e64 s[20:21], s20, v5
	s_waitcnt lgkmcnt(0)
	v_fma_f32 v22, v22, v26, 0
	s_and_saveexec_b64 s[92:93], s[20:21]
	s_cbranch_execz .LBB14_472
; %bb.471:
	ds_read_b32 v26, v25 offset:8448
	ds_read_b32 v27, v24 offset:8324
	s_waitcnt lgkmcnt(0)
	v_fmac_f32_e32 v22, v26, v27
.LBB14_472:
	s_or_b64 exec, exec, s[92:93]
	s_movk_i32 s20, 0x3c0
	v_cmp_gt_u32_e64 s[20:21], s20, v5
	s_and_saveexec_b64 s[92:93], s[20:21]
	s_cbranch_execz .LBB14_474
; %bb.473:
	ds_read_b32 v26, v25 offset:8704
	ds_read_b32 v27, v24 offset:8328
	s_waitcnt lgkmcnt(0)
	v_fmac_f32_e32 v22, v26, v27
.LBB14_474:
	s_or_b64 exec, exec, s[92:93]
	s_movk_i32 s20, 0x3a0
	v_cmp_gt_u32_e64 s[20:21], s20, v5
	;; [unrolled: 11-line block ×22, first 2 shown]
	s_and_saveexec_b64 s[92:93], s[20:21]
	s_cbranch_execz .LBB14_516
; %bb.515:
	ds_read_b32 v26, v25 offset:14080
	ds_read_b32 v27, v24 offset:8412
	s_waitcnt lgkmcnt(0)
	v_fmac_f32_e32 v22, v26, v27
.LBB14_516:
	s_or_b64 exec, exec, s[92:93]
	s_and_saveexec_b64 s[20:21], s[10:11]
	s_cbranch_execz .LBB14_518
; %bb.517:
	ds_read_b32 v26, v25 offset:14336
	ds_read_b32 v27, v24 offset:8416
	s_waitcnt lgkmcnt(0)
	v_fmac_f32_e32 v22, v26, v27
.LBB14_518:
	s_or_b64 exec, exec, s[20:21]
	s_movk_i32 s20, 0xe0
	v_cmp_gt_u32_e64 s[20:21], s20, v5
	s_and_saveexec_b64 s[92:93], s[20:21]
	s_cbranch_execz .LBB14_520
; %bb.519:
	ds_read_b32 v26, v25 offset:14592
	ds_read_b32 v27, v24 offset:8420
	s_waitcnt lgkmcnt(0)
	v_fmac_f32_e32 v22, v26, v27
.LBB14_520:
	s_or_b64 exec, exec, s[92:93]
	s_movk_i32 s20, 0xc0
	v_cmp_gt_u32_e64 s[20:21], s20, v5
	;; [unrolled: 11-line block ×5, first 2 shown]
	s_and_saveexec_b64 s[92:93], s[20:21]
	s_cbranch_execnz .LBB14_1196
; %bb.527:
	s_or_b64 exec, exec, s[92:93]
	s_and_saveexec_b64 s[20:21], s[8:9]
	s_cbranch_execnz .LBB14_1197
.LBB14_528:
	s_or_b64 exec, exec, s[20:21]
	v_cmp_gt_u32_e64 s[20:21], 32, v5
	s_and_saveexec_b64 s[92:93], s[20:21]
	s_cbranch_execz .LBB14_530
.LBB14_529:
	v_lshlrev_b32_e32 v24, 2, v0
	v_mov_b32_e32 v25, 0
	ds_read_b32 v24, v24 offset:16128
	ds_read_b32 v25, v25 offset:16380
	s_waitcnt lgkmcnt(0)
	v_fmac_f32_e32 v22, v24, v25
.LBB14_530:
	s_or_b64 exec, exec, s[92:93]
.LBB14_531:
	s_or_b64 exec, exec, s[90:91]
	v_mov_b32_e32 v24, 0x4000
	v_cmp_eq_u32_e64 s[20:21], 31, v20
	s_xor_b64 s[90:91], s[16:17], -1
	v_lshl_add_u32 v23, v23, 2, v24
	s_and_b64 s[20:21], s[20:21], s[90:91]
	s_and_saveexec_b64 s[16:17], s[20:21]
; %bb.532:
	v_xor_b32_e32 v24, 0x80000000, v22
	ds_write_b32 v23, v24
; %bb.533:
	s_or_b64 exec, exec, s[16:17]
	v_cmp_ne_u32_e64 s[16:17], 31, v20
	s_and_b64 s[20:21], s[16:17], s[90:91]
	s_waitcnt lgkmcnt(0)
	s_barrier
	s_and_saveexec_b64 s[16:17], s[20:21]
	s_cbranch_execz .LBB14_535
; %bb.534:
	v_lshlrev_b32_e32 v24, 2, v20
	ds_read_b32 v24, v24 offset:7936
	ds_read_b32 v25, v23
	s_waitcnt lgkmcnt(0)
	v_fma_f32 v22, -v24, v25, v22
.LBB14_535:
	s_or_b64 exec, exec, s[16:17]
	v_cmp_eq_u32_e64 s[16:17], 30, v20
	s_and_b64 s[20:21], s[16:17], s[90:91]
	s_barrier
	s_and_saveexec_b64 s[16:17], s[20:21]
; %bb.536:
	v_xor_b32_e32 v24, 0x80000000, v22
	ds_write_b32 v23, v24
; %bb.537:
	s_or_b64 exec, exec, s[16:17]
	v_cmp_gt_u32_e64 s[16:17], 30, v20
	s_and_b64 s[20:21], s[16:17], s[90:91]
	s_waitcnt lgkmcnt(0)
	s_barrier
	s_and_saveexec_b64 s[16:17], s[20:21]
	s_cbranch_execz .LBB14_539
; %bb.538:
	v_lshlrev_b32_e32 v24, 2, v20
	ds_read_b32 v24, v24 offset:7680
	ds_read_b32 v25, v23
	s_waitcnt lgkmcnt(0)
	v_fma_f32 v22, -v24, v25, v22
.LBB14_539:
	s_or_b64 exec, exec, s[16:17]
	v_cmp_eq_u32_e64 s[16:17], 29, v20
	s_and_b64 s[20:21], s[16:17], s[90:91]
	s_barrier
	s_and_saveexec_b64 s[16:17], s[20:21]
; %bb.540:
	v_xor_b32_e32 v24, 0x80000000, v22
	ds_write_b32 v23, v24
; %bb.541:
	s_or_b64 exec, exec, s[16:17]
	v_cmp_gt_u32_e64 s[16:17], 29, v20
	;; [unrolled: 23-line block ×29, first 2 shown]
	s_and_b64 s[20:21], s[16:17], s[90:91]
	s_waitcnt lgkmcnt(0)
	s_barrier
	s_and_saveexec_b64 s[16:17], s[20:21]
	s_cbranch_execz .LBB14_651
; %bb.650:
	v_lshlrev_b32_e32 v24, 2, v20
	ds_read_b32 v24, v24 offset:512
	ds_read_b32 v25, v23
	s_waitcnt lgkmcnt(0)
	v_fma_f32 v22, -v24, v25, v22
.LBB14_651:
	s_or_b64 exec, exec, s[16:17]
	v_cmp_eq_u32_e64 s[16:17], 1, v20
	s_and_b64 s[20:21], s[16:17], s[90:91]
	s_barrier
	s_and_saveexec_b64 s[16:17], s[20:21]
; %bb.652:
	v_xor_b32_e32 v24, 0x80000000, v22
	ds_write_b32 v23, v24
; %bb.653:
	s_or_b64 exec, exec, s[16:17]
	v_cmp_eq_u32_e64 s[16:17], 0, v20
	s_and_b64 s[16:17], s[16:17], s[90:91]
	s_waitcnt lgkmcnt(0)
	s_barrier
	s_and_saveexec_b64 s[20:21], s[16:17]
	s_cbranch_execz .LBB14_655
; %bb.654:
	v_mov_b32_e32 v24, 0
	ds_read_b32 v24, v24 offset:256
	ds_read_b32 v25, v23
	s_waitcnt lgkmcnt(0)
	v_fma_f32 v22, -v24, v25, v22
.LBB14_655:
	s_or_b64 exec, exec, s[20:21]
	s_barrier
	s_and_saveexec_b64 s[20:21], s[16:17]
; %bb.656:
	v_xor_b32_e32 v24, 0x80000000, v22
	ds_write_b32 v23, v24
; %bb.657:
	s_or_b64 exec, exec, s[20:21]
	s_waitcnt lgkmcnt(0)
	s_barrier
	s_barrier
	s_and_saveexec_b64 s[16:17], s[14:15]
; %bb.658:
	v_lshlrev_b32_e32 v20, 2, v20
	v_lshl_or_b32 v20, v21, 8, v20
	ds_write_b32 v20, v22 offset:8192
; %bb.659:
	s_or_b64 exec, exec, s[16:17]
	v_cmp_gt_u32_e64 s[14:15], 32, v0
	s_and_b64 s[14:15], s[12:13], s[14:15]
	s_waitcnt lgkmcnt(0)
	s_barrier
	s_barrier
	s_and_saveexec_b64 s[12:13], s[14:15]
	s_cbranch_execz .LBB14_661
; %bb.660:
	v_lshlrev_b32_e32 v20, 8, v0
	ds_read_b32 v21, v20 offset:8192
	s_movk_i32 s14, 0xff04
	v_mad_i32_i24 v22, v0, s14, v20
	s_waitcnt lgkmcnt(0)
	ds_write_b32 v22, v21 offset:128
	ds_read_b32 v21, v20 offset:8196
	s_waitcnt lgkmcnt(0)
	ds_write_b32 v22, v21 offset:384
	ds_read_b32 v21, v20 offset:8200
	;; [unrolled: 3-line block ×31, first 2 shown]
	s_waitcnt lgkmcnt(0)
	ds_write_b32 v22, v20 offset:8064
.LBB14_661:
	s_or_b64 exec, exec, s[12:13]
	s_waitcnt lgkmcnt(0)
	s_barrier
	s_and_saveexec_b64 s[12:13], vcc
	s_cbranch_execz .LBB14_663
; %bb.662:
	v_mov_b32_e32 v22, 0
	ds_read_b32 v21, v22 offset:8056
	v_mov_b32_e32 v20, 1.0
	ds_write_b32 v22, v20 offset:8060
	s_waitcnt lgkmcnt(1)
	ds_write_b64 v22, v[20:21] offset:7800
.LBB14_663:
	s_or_b64 exec, exec, s[12:13]
	v_mov_b32_e32 v20, 0
	s_waitcnt lgkmcnt(0)
	s_barrier
	buffer_wbinvl1_vol
	s_and_saveexec_b64 s[14:15], s[2:3]
	s_cbranch_execz .LBB14_667
; %bb.664:
	v_lshlrev_b32_e32 v20, 8, v3
	v_lshlrev_b32_e32 v21, 2, v2
	ds_read_b32 v22, v21 offset:7792
	ds_read_b32 v20, v20 offset:7800
	v_mov_b32_e32 v21, 0
	v_cmp_gt_u32_e64 s[12:13], 2, v5
	s_waitcnt lgkmcnt(0)
	v_fma_f32 v20, v22, v20, 0
	s_and_saveexec_b64 s[16:17], s[12:13]
	s_cbranch_execz .LBB14_666
; %bb.665:
	v_lshlrev_b32_e32 v22, 2, v0
	ds_read_b32 v22, v22 offset:8048
	ds_read_b32 v21, v21 offset:8060
	s_waitcnt lgkmcnt(0)
	v_fmac_f32_e32 v20, v22, v21
.LBB14_666:
	s_or_b64 exec, exec, s[16:17]
.LBB14_667:
	s_or_b64 exec, exec, s[14:15]
	s_and_saveexec_b64 s[12:13], s[30:31]
; %bb.668:
	v_xor_b32_e32 v21, 0x80000000, v20
	ds_write_b32 v4, v21
; %bb.669:
	s_or_b64 exec, exec, s[12:13]
	s_waitcnt lgkmcnt(0)
	s_barrier
	s_and_saveexec_b64 s[12:13], s[26:27]
	s_cbranch_execz .LBB14_671
; %bb.670:
	v_mov_b32_e32 v21, 0
	ds_read_b32 v21, v21 offset:7536
	ds_read_b32 v22, v4
	s_waitcnt lgkmcnt(0)
	v_fma_f32 v20, -v21, v22, v20
.LBB14_671:
	s_or_b64 exec, exec, s[12:13]
	s_barrier
	s_and_saveexec_b64 s[12:13], s[26:27]
; %bb.672:
	v_xor_b32_e32 v21, 0x80000000, v20
	ds_write_b32 v4, v21
; %bb.673:
	s_or_b64 exec, exec, s[12:13]
	s_waitcnt lgkmcnt(0)
	s_barrier
	s_barrier
	s_and_saveexec_b64 s[12:13], s[2:3]
; %bb.674:
	v_lshlrev_b32_e32 v21, 2, v2
	v_lshl_or_b32 v21, v3, 8, v21
	ds_write_b32 v21, v20 offset:7792
; %bb.675:
	s_or_b64 exec, exec, s[12:13]
	s_waitcnt lgkmcnt(0)
	s_barrier
	s_barrier
	s_and_saveexec_b64 s[12:13], s[34:35]
	s_cbranch_execz .LBB14_677
; %bb.676:
	v_lshlrev_b32_e32 v20, 2, v0
	s_movk_i32 s14, 0xfc
	v_mad_u32_u24 v21, v0, s14, v20
	ds_read_b32 v22, v21 offset:7792
	s_waitcnt lgkmcnt(0)
	ds_write_b32 v20, v22 offset:7288
	ds_read_b32 v21, v21 offset:7796
	s_waitcnt lgkmcnt(0)
	ds_write_b32 v20, v21 offset:7544
.LBB14_677:
	s_or_b64 exec, exec, s[12:13]
	s_waitcnt lgkmcnt(0)
	s_barrier
	s_and_saveexec_b64 s[12:13], vcc
	s_cbranch_execz .LBB14_679
; %bb.678:
	v_mov_b32_e32 v22, 0
	ds_read_b32 v21, v22 offset:7536
	v_mov_b32_e32 v20, 1.0
	ds_write_b32 v22, v20 offset:7540
	s_waitcnt lgkmcnt(1)
	ds_write_b64 v22, v[20:21] offset:7280
.LBB14_679:
	s_or_b64 exec, exec, s[12:13]
	v_mov_b32_e32 v20, 0
	s_waitcnt lgkmcnt(0)
	s_barrier
	buffer_wbinvl1_vol
	s_and_saveexec_b64 s[14:15], s[18:19]
	s_cbranch_execz .LBB14_685
; %bb.680:
	v_lshlrev_b32_e32 v22, 2, v11
	v_lshlrev_b32_e32 v21, 8, v12
	ds_read_b32 v20, v22 offset:7264
	ds_read_b32 v23, v21 offset:7280
	v_cmp_gt_u32_e64 s[12:13], 12, v5
	s_waitcnt lgkmcnt(0)
	v_fma_f32 v20, v20, v23, 0
	s_and_saveexec_b64 s[16:17], s[12:13]
	s_cbranch_execnz .LBB14_1198
; %bb.681:
	s_or_b64 exec, exec, s[16:17]
	v_cmp_gt_u32_e64 s[12:13], 8, v5
	s_and_saveexec_b64 s[16:17], s[12:13]
	s_cbranch_execnz .LBB14_1199
.LBB14_682:
	s_or_b64 exec, exec, s[16:17]
	v_cmp_gt_u32_e64 s[12:13], 4, v5
	s_and_saveexec_b64 s[16:17], s[12:13]
	s_cbranch_execz .LBB14_684
.LBB14_683:
	v_lshlrev_b32_e32 v21, 2, v0
	v_mov_b32_e32 v22, 0
	ds_read_b32 v21, v21 offset:8032
	ds_read_b32 v22, v22 offset:8060
	s_waitcnt lgkmcnt(0)
	v_fmac_f32_e32 v20, v21, v22
.LBB14_684:
	s_or_b64 exec, exec, s[16:17]
.LBB14_685:
	s_or_b64 exec, exec, s[14:15]
	s_and_saveexec_b64 s[12:13], s[38:39]
; %bb.686:
	v_xor_b32_e32 v21, 0x80000000, v20
	ds_write_b32 v13, v21
; %bb.687:
	s_or_b64 exec, exec, s[12:13]
	s_waitcnt lgkmcnt(0)
	s_barrier
	s_and_saveexec_b64 s[12:13], s[40:41]
	s_cbranch_execz .LBB14_689
; %bb.688:
	v_lshlrev_b32_e32 v21, 2, v11
	ds_read_b32 v21, v21 offset:7008
	ds_read_b32 v22, v13
	s_waitcnt lgkmcnt(0)
	v_fma_f32 v20, -v21, v22, v20
.LBB14_689:
	s_or_b64 exec, exec, s[12:13]
	s_barrier
	s_and_saveexec_b64 s[12:13], s[42:43]
; %bb.690:
	v_xor_b32_e32 v21, 0x80000000, v20
	ds_write_b32 v13, v21
; %bb.691:
	s_or_b64 exec, exec, s[12:13]
	s_waitcnt lgkmcnt(0)
	s_barrier
	s_and_saveexec_b64 s[12:13], s[44:45]
	s_cbranch_execz .LBB14_693
; %bb.692:
	v_lshlrev_b32_e32 v21, 2, v11
	ds_read_b32 v21, v21 offset:6752
	ds_read_b32 v22, v13
	s_waitcnt lgkmcnt(0)
	v_fma_f32 v20, -v21, v22, v20
.LBB14_693:
	s_or_b64 exec, exec, s[12:13]
	s_barrier
	s_and_saveexec_b64 s[12:13], s[46:47]
; %bb.694:
	v_xor_b32_e32 v21, 0x80000000, v20
	ds_write_b32 v13, v21
; %bb.695:
	s_or_b64 exec, exec, s[12:13]
	s_waitcnt lgkmcnt(0)
	s_barrier
	s_and_saveexec_b64 s[12:13], s[36:37]
	s_cbranch_execz .LBB14_697
; %bb.696:
	v_mov_b32_e32 v21, 0
	ds_read_b32 v21, v21 offset:6496
	ds_read_b32 v22, v13
	s_waitcnt lgkmcnt(0)
	v_fma_f32 v20, -v21, v22, v20
.LBB14_697:
	s_or_b64 exec, exec, s[12:13]
	s_barrier
	s_and_saveexec_b64 s[12:13], s[36:37]
; %bb.698:
	v_xor_b32_e32 v21, 0x80000000, v20
	ds_write_b32 v13, v21
; %bb.699:
	s_or_b64 exec, exec, s[12:13]
	s_waitcnt lgkmcnt(0)
	s_barrier
	s_barrier
	s_and_saveexec_b64 s[12:13], s[18:19]
; %bb.700:
	v_lshlrev_b32_e32 v21, 2, v11
	v_lshl_or_b32 v21, v12, 8, v21
	ds_write_b32 v21, v20 offset:7264
; %bb.701:
	s_or_b64 exec, exec, s[12:13]
	s_waitcnt lgkmcnt(0)
	s_barrier
	s_barrier
	s_and_saveexec_b64 s[12:13], s[48:49]
	s_cbranch_execz .LBB14_703
; %bb.702:
	v_lshlrev_b32_e32 v20, 8, v0
	ds_read_b32 v21, v20 offset:7264
	s_movk_i32 s14, 0xff04
	v_mad_i32_i24 v22, v0, s14, v20
	s_waitcnt lgkmcnt(0)
	ds_write_b32 v22, v21 offset:6256
	ds_read_b32 v21, v20 offset:7268
	s_waitcnt lgkmcnt(0)
	ds_write_b32 v22, v21 offset:6512
	ds_read_b32 v21, v20 offset:7272
	;; [unrolled: 3-line block ×3, first 2 shown]
	s_waitcnt lgkmcnt(0)
	ds_write_b32 v22, v20 offset:7024
.LBB14_703:
	s_or_b64 exec, exec, s[12:13]
	s_waitcnt lgkmcnt(0)
	s_barrier
	s_and_saveexec_b64 s[12:13], vcc
	s_cbranch_execz .LBB14_705
; %bb.704:
	v_mov_b32_e32 v22, 0
	ds_read_b32 v21, v22 offset:7016
	v_mov_b32_e32 v20, 1.0
	ds_write_b32 v22, v20 offset:7020
	s_waitcnt lgkmcnt(1)
	ds_write_b64 v22, v[20:21] offset:6760
.LBB14_705:
	s_or_b64 exec, exec, s[12:13]
	v_mov_b32_e32 v20, 0
	s_waitcnt lgkmcnt(0)
	s_barrier
	buffer_wbinvl1_vol
	s_and_saveexec_b64 s[14:15], s[2:3]
	s_cbranch_execz .LBB14_709
; %bb.706:
	v_lshlrev_b32_e32 v20, 8, v3
	v_lshlrev_b32_e32 v21, 2, v2
	ds_read_b32 v22, v21 offset:6752
	ds_read_b32 v20, v20 offset:6760
	v_mov_b32_e32 v21, 0
	v_cmp_gt_u32_e64 s[12:13], 2, v5
	s_waitcnt lgkmcnt(0)
	v_fma_f32 v20, v22, v20, 0
	s_and_saveexec_b64 s[16:17], s[12:13]
	s_cbranch_execz .LBB14_708
; %bb.707:
	v_lshlrev_b32_e32 v22, 2, v0
	ds_read_b32 v22, v22 offset:7008
	ds_read_b32 v21, v21 offset:7020
	s_waitcnt lgkmcnt(0)
	v_fmac_f32_e32 v20, v22, v21
.LBB14_708:
	s_or_b64 exec, exec, s[16:17]
.LBB14_709:
	s_or_b64 exec, exec, s[14:15]
	s_and_saveexec_b64 s[12:13], s[30:31]
; %bb.710:
	v_xor_b32_e32 v21, 0x80000000, v20
	ds_write_b32 v4, v21
; %bb.711:
	s_or_b64 exec, exec, s[12:13]
	s_waitcnt lgkmcnt(0)
	s_barrier
	s_and_saveexec_b64 s[12:13], s[26:27]
	s_cbranch_execz .LBB14_713
; %bb.712:
	v_mov_b32_e32 v21, 0
	ds_read_b32 v21, v21 offset:6496
	ds_read_b32 v22, v4
	s_waitcnt lgkmcnt(0)
	v_fma_f32 v20, -v21, v22, v20
.LBB14_713:
	s_or_b64 exec, exec, s[12:13]
	s_barrier
	s_and_saveexec_b64 s[12:13], s[26:27]
; %bb.714:
	v_xor_b32_e32 v21, 0x80000000, v20
	ds_write_b32 v4, v21
; %bb.715:
	s_or_b64 exec, exec, s[12:13]
	s_waitcnt lgkmcnt(0)
	s_barrier
	s_barrier
	s_and_saveexec_b64 s[12:13], s[2:3]
; %bb.716:
	v_lshlrev_b32_e32 v21, 2, v2
	v_lshl_or_b32 v21, v3, 8, v21
	ds_write_b32 v21, v20 offset:6752
; %bb.717:
	s_or_b64 exec, exec, s[12:13]
	s_waitcnt lgkmcnt(0)
	s_barrier
	s_barrier
	s_and_saveexec_b64 s[12:13], s[34:35]
	s_cbranch_execz .LBB14_719
; %bb.718:
	v_lshlrev_b32_e32 v20, 2, v0
	s_movk_i32 s14, 0xfc
	v_mad_u32_u24 v21, v0, s14, v20
	ds_read_b32 v22, v21 offset:6752
	s_waitcnt lgkmcnt(0)
	ds_write_b32 v20, v22 offset:6248
	ds_read_b32 v21, v21 offset:6756
	s_waitcnt lgkmcnt(0)
	ds_write_b32 v20, v21 offset:6504
.LBB14_719:
	s_or_b64 exec, exec, s[12:13]
	s_waitcnt lgkmcnt(0)
	s_barrier
	s_and_saveexec_b64 s[12:13], vcc
	s_cbranch_execz .LBB14_721
; %bb.720:
	v_mov_b32_e32 v22, 0
	ds_read_b32 v21, v22 offset:6496
	v_mov_b32_e32 v20, 1.0
	ds_write_b32 v22, v20 offset:6500
	s_waitcnt lgkmcnt(1)
	ds_write_b64 v22, v[20:21] offset:6240
.LBB14_721:
	s_or_b64 exec, exec, s[12:13]
	v_mov_b32_e32 v20, 0
	s_waitcnt lgkmcnt(0)
	s_barrier
	buffer_wbinvl1_vol
	s_and_saveexec_b64 s[14:15], s[8:9]
	s_cbranch_execz .LBB14_731
; %bb.722:
	v_lshlrev_b32_e32 v22, 2, v14
	v_lshlrev_b32_e32 v21, 8, v15
	ds_read_b32 v20, v22 offset:6208
	ds_read_b32 v23, v21 offset:6240
	v_cmp_gt_u32_e64 s[12:13], 56, v5
	s_waitcnt lgkmcnt(0)
	v_fma_f32 v20, v20, v23, 0
	s_and_saveexec_b64 s[16:17], s[12:13]
	s_cbranch_execnz .LBB14_1200
; %bb.723:
	s_or_b64 exec, exec, s[16:17]
	v_cmp_gt_u32_e64 s[12:13], 48, v5
	s_and_saveexec_b64 s[16:17], s[12:13]
	s_cbranch_execnz .LBB14_1201
.LBB14_724:
	s_or_b64 exec, exec, s[16:17]
	v_cmp_gt_u32_e64 s[12:13], 40, v5
	s_and_saveexec_b64 s[16:17], s[12:13]
	s_cbranch_execnz .LBB14_1202
.LBB14_725:
	s_or_b64 exec, exec, s[16:17]
	v_cmp_gt_u32_e64 s[12:13], 32, v5
	s_and_saveexec_b64 s[16:17], s[12:13]
	s_cbranch_execnz .LBB14_1203
.LBB14_726:
	s_or_b64 exec, exec, s[16:17]
	v_cmp_gt_u32_e64 s[12:13], 24, v5
	s_and_saveexec_b64 s[16:17], s[12:13]
	s_cbranch_execnz .LBB14_1204
.LBB14_727:
	s_or_b64 exec, exec, s[16:17]
	s_and_saveexec_b64 s[12:13], s[18:19]
	s_cbranch_execnz .LBB14_1205
.LBB14_728:
	s_or_b64 exec, exec, s[12:13]
	v_cmp_gt_u32_e64 s[12:13], 8, v5
	s_and_saveexec_b64 s[16:17], s[12:13]
	s_cbranch_execz .LBB14_730
.LBB14_729:
	v_lshlrev_b32_e32 v21, 2, v0
	v_mov_b32_e32 v22, 0
	ds_read_b32 v21, v21 offset:8000
	ds_read_b32 v22, v22 offset:8060
	s_waitcnt lgkmcnt(0)
	v_fmac_f32_e32 v20, v21, v22
.LBB14_730:
	s_or_b64 exec, exec, s[16:17]
.LBB14_731:
	s_or_b64 exec, exec, s[14:15]
	s_and_saveexec_b64 s[12:13], s[50:51]
; %bb.732:
	v_xor_b32_e32 v21, 0x80000000, v20
	ds_write_b32 v16, v21
; %bb.733:
	s_or_b64 exec, exec, s[12:13]
	s_waitcnt lgkmcnt(0)
	s_barrier
	s_and_saveexec_b64 s[12:13], s[52:53]
	s_cbranch_execz .LBB14_735
; %bb.734:
	v_lshlrev_b32_e32 v21, 2, v14
	ds_read_b32 v21, v21 offset:5952
	ds_read_b32 v22, v16
	s_waitcnt lgkmcnt(0)
	v_fma_f32 v20, -v21, v22, v20
.LBB14_735:
	s_or_b64 exec, exec, s[12:13]
	s_barrier
	s_and_saveexec_b64 s[12:13], s[54:55]
; %bb.736:
	v_xor_b32_e32 v21, 0x80000000, v20
	ds_write_b32 v16, v21
; %bb.737:
	s_or_b64 exec, exec, s[12:13]
	s_waitcnt lgkmcnt(0)
	s_barrier
	s_and_saveexec_b64 s[12:13], s[56:57]
	s_cbranch_execz .LBB14_739
; %bb.738:
	v_lshlrev_b32_e32 v21, 2, v14
	ds_read_b32 v21, v21 offset:5696
	ds_read_b32 v22, v16
	s_waitcnt lgkmcnt(0)
	v_fma_f32 v20, -v21, v22, v20
.LBB14_739:
	s_or_b64 exec, exec, s[12:13]
	s_barrier
	;; [unrolled: 19-line block ×6, first 2 shown]
	s_and_saveexec_b64 s[12:13], s[76:77]
; %bb.756:
	v_xor_b32_e32 v21, 0x80000000, v20
	ds_write_b32 v16, v21
; %bb.757:
	s_or_b64 exec, exec, s[12:13]
	s_waitcnt lgkmcnt(0)
	s_barrier
	s_and_saveexec_b64 s[12:13], s[60:61]
	s_cbranch_execz .LBB14_759
; %bb.758:
	v_mov_b32_e32 v21, 0
	ds_read_b32 v21, v21 offset:4416
	ds_read_b32 v22, v16
	s_waitcnt lgkmcnt(0)
	v_fma_f32 v20, -v21, v22, v20
.LBB14_759:
	s_or_b64 exec, exec, s[12:13]
	s_barrier
	s_and_saveexec_b64 s[12:13], s[60:61]
; %bb.760:
	v_xor_b32_e32 v21, 0x80000000, v20
	ds_write_b32 v16, v21
; %bb.761:
	s_or_b64 exec, exec, s[12:13]
	s_waitcnt lgkmcnt(0)
	s_barrier
	s_barrier
	s_and_saveexec_b64 s[12:13], s[8:9]
; %bb.762:
	v_lshlrev_b32_e32 v21, 2, v14
	v_lshl_or_b32 v21, v15, 8, v21
	ds_write_b32 v21, v20 offset:6208
; %bb.763:
	s_or_b64 exec, exec, s[12:13]
	s_waitcnt lgkmcnt(0)
	s_barrier
	s_barrier
	s_and_saveexec_b64 s[12:13], s[78:79]
	s_cbranch_execz .LBB14_765
; %bb.764:
	v_lshlrev_b32_e32 v20, 8, v0
	ds_read_b32 v21, v20 offset:6208
	s_movk_i32 s14, 0xff04
	v_mad_i32_i24 v22, v0, s14, v20
	s_waitcnt lgkmcnt(0)
	ds_write_b32 v22, v21 offset:4192
	ds_read_b32 v21, v20 offset:6212
	s_waitcnt lgkmcnt(0)
	ds_write_b32 v22, v21 offset:4448
	ds_read_b32 v21, v20 offset:6216
	;; [unrolled: 3-line block ×7, first 2 shown]
	s_waitcnt lgkmcnt(0)
	ds_write_b32 v22, v20 offset:5984
.LBB14_765:
	s_or_b64 exec, exec, s[12:13]
	s_waitcnt lgkmcnt(0)
	s_barrier
	s_and_saveexec_b64 s[12:13], vcc
	s_cbranch_execz .LBB14_767
; %bb.766:
	v_mov_b32_e32 v22, 0
	ds_read_b32 v21, v22 offset:5976
	v_mov_b32_e32 v20, 1.0
	ds_write_b32 v22, v20 offset:5980
	s_waitcnt lgkmcnt(1)
	ds_write_b64 v22, v[20:21] offset:5720
.LBB14_767:
	s_or_b64 exec, exec, s[12:13]
	v_mov_b32_e32 v20, 0
	s_waitcnt lgkmcnt(0)
	s_barrier
	buffer_wbinvl1_vol
	s_and_saveexec_b64 s[14:15], s[2:3]
	s_cbranch_execz .LBB14_771
; %bb.768:
	v_lshlrev_b32_e32 v20, 8, v3
	v_lshlrev_b32_e32 v21, 2, v2
	ds_read_b32 v22, v21 offset:5712
	ds_read_b32 v20, v20 offset:5720
	v_mov_b32_e32 v21, 0
	v_cmp_gt_u32_e64 s[12:13], 2, v5
	s_waitcnt lgkmcnt(0)
	v_fma_f32 v20, v22, v20, 0
	s_and_saveexec_b64 s[16:17], s[12:13]
	s_cbranch_execz .LBB14_770
; %bb.769:
	v_lshlrev_b32_e32 v22, 2, v0
	ds_read_b32 v22, v22 offset:5968
	ds_read_b32 v21, v21 offset:5980
	s_waitcnt lgkmcnt(0)
	v_fmac_f32_e32 v20, v22, v21
.LBB14_770:
	s_or_b64 exec, exec, s[16:17]
.LBB14_771:
	s_or_b64 exec, exec, s[14:15]
	s_and_saveexec_b64 s[12:13], s[30:31]
; %bb.772:
	v_xor_b32_e32 v21, 0x80000000, v20
	ds_write_b32 v4, v21
; %bb.773:
	s_or_b64 exec, exec, s[12:13]
	s_waitcnt lgkmcnt(0)
	s_barrier
	s_and_saveexec_b64 s[12:13], s[26:27]
	s_cbranch_execz .LBB14_775
; %bb.774:
	v_mov_b32_e32 v21, 0
	ds_read_b32 v21, v21 offset:5456
	ds_read_b32 v22, v4
	s_waitcnt lgkmcnt(0)
	v_fma_f32 v20, -v21, v22, v20
.LBB14_775:
	s_or_b64 exec, exec, s[12:13]
	s_barrier
	s_and_saveexec_b64 s[12:13], s[26:27]
; %bb.776:
	v_xor_b32_e32 v21, 0x80000000, v20
	ds_write_b32 v4, v21
; %bb.777:
	s_or_b64 exec, exec, s[12:13]
	s_waitcnt lgkmcnt(0)
	s_barrier
	s_barrier
	s_and_saveexec_b64 s[12:13], s[2:3]
; %bb.778:
	v_lshlrev_b32_e32 v21, 2, v2
	v_lshl_or_b32 v21, v3, 8, v21
	ds_write_b32 v21, v20 offset:5712
; %bb.779:
	s_or_b64 exec, exec, s[12:13]
	s_waitcnt lgkmcnt(0)
	s_barrier
	s_barrier
	s_and_saveexec_b64 s[12:13], s[34:35]
	s_cbranch_execz .LBB14_781
; %bb.780:
	v_lshlrev_b32_e32 v20, 2, v0
	s_movk_i32 s14, 0xfc
	v_mad_u32_u24 v21, v0, s14, v20
	ds_read_b32 v22, v21 offset:5712
	s_waitcnt lgkmcnt(0)
	ds_write_b32 v20, v22 offset:5208
	ds_read_b32 v21, v21 offset:5716
	s_waitcnt lgkmcnt(0)
	ds_write_b32 v20, v21 offset:5464
.LBB14_781:
	s_or_b64 exec, exec, s[12:13]
	s_waitcnt lgkmcnt(0)
	s_barrier
	s_and_saveexec_b64 s[12:13], vcc
	s_cbranch_execz .LBB14_783
; %bb.782:
	v_mov_b32_e32 v22, 0
	ds_read_b32 v21, v22 offset:5456
	v_mov_b32_e32 v20, 1.0
	ds_write_b32 v22, v20 offset:5460
	s_waitcnt lgkmcnt(1)
	ds_write_b64 v22, v[20:21] offset:5200
.LBB14_783:
	s_or_b64 exec, exec, s[12:13]
	v_mov_b32_e32 v20, 0
	s_waitcnt lgkmcnt(0)
	s_barrier
	buffer_wbinvl1_vol
	s_and_saveexec_b64 s[14:15], s[18:19]
	s_cbranch_execz .LBB14_789
; %bb.784:
	v_lshlrev_b32_e32 v22, 2, v11
	v_lshlrev_b32_e32 v21, 8, v12
	ds_read_b32 v20, v22 offset:5184
	ds_read_b32 v23, v21 offset:5200
	v_cmp_gt_u32_e64 s[12:13], 12, v5
	s_waitcnt lgkmcnt(0)
	v_fma_f32 v20, v20, v23, 0
	s_and_saveexec_b64 s[16:17], s[12:13]
	s_cbranch_execnz .LBB14_1206
; %bb.785:
	s_or_b64 exec, exec, s[16:17]
	v_cmp_gt_u32_e64 s[12:13], 8, v5
	s_and_saveexec_b64 s[16:17], s[12:13]
	s_cbranch_execnz .LBB14_1207
.LBB14_786:
	s_or_b64 exec, exec, s[16:17]
	v_cmp_gt_u32_e64 s[12:13], 4, v5
	s_and_saveexec_b64 s[16:17], s[12:13]
	s_cbranch_execz .LBB14_788
.LBB14_787:
	v_lshlrev_b32_e32 v21, 2, v0
	v_mov_b32_e32 v22, 0
	ds_read_b32 v21, v21 offset:5952
	ds_read_b32 v22, v22 offset:5980
	s_waitcnt lgkmcnt(0)
	v_fmac_f32_e32 v20, v21, v22
.LBB14_788:
	s_or_b64 exec, exec, s[16:17]
.LBB14_789:
	s_or_b64 exec, exec, s[14:15]
	s_and_saveexec_b64 s[12:13], s[38:39]
; %bb.790:
	v_xor_b32_e32 v21, 0x80000000, v20
	ds_write_b32 v13, v21
; %bb.791:
	s_or_b64 exec, exec, s[12:13]
	s_waitcnt lgkmcnt(0)
	s_barrier
	s_and_saveexec_b64 s[12:13], s[40:41]
	s_cbranch_execz .LBB14_793
; %bb.792:
	v_lshlrev_b32_e32 v21, 2, v11
	ds_read_b32 v21, v21 offset:4928
	ds_read_b32 v22, v13
	s_waitcnt lgkmcnt(0)
	v_fma_f32 v20, -v21, v22, v20
.LBB14_793:
	s_or_b64 exec, exec, s[12:13]
	s_barrier
	s_and_saveexec_b64 s[12:13], s[42:43]
; %bb.794:
	v_xor_b32_e32 v21, 0x80000000, v20
	ds_write_b32 v13, v21
; %bb.795:
	s_or_b64 exec, exec, s[12:13]
	s_waitcnt lgkmcnt(0)
	s_barrier
	s_and_saveexec_b64 s[12:13], s[44:45]
	s_cbranch_execz .LBB14_797
; %bb.796:
	v_lshlrev_b32_e32 v21, 2, v11
	ds_read_b32 v21, v21 offset:4672
	ds_read_b32 v22, v13
	s_waitcnt lgkmcnt(0)
	v_fma_f32 v20, -v21, v22, v20
.LBB14_797:
	s_or_b64 exec, exec, s[12:13]
	s_barrier
	s_and_saveexec_b64 s[12:13], s[46:47]
; %bb.798:
	v_xor_b32_e32 v21, 0x80000000, v20
	ds_write_b32 v13, v21
; %bb.799:
	s_or_b64 exec, exec, s[12:13]
	s_waitcnt lgkmcnt(0)
	s_barrier
	s_and_saveexec_b64 s[12:13], s[36:37]
	s_cbranch_execz .LBB14_801
; %bb.800:
	v_mov_b32_e32 v21, 0
	ds_read_b32 v21, v21 offset:4416
	ds_read_b32 v22, v13
	s_waitcnt lgkmcnt(0)
	v_fma_f32 v20, -v21, v22, v20
.LBB14_801:
	s_or_b64 exec, exec, s[12:13]
	s_barrier
	s_and_saveexec_b64 s[12:13], s[36:37]
; %bb.802:
	v_xor_b32_e32 v21, 0x80000000, v20
	ds_write_b32 v13, v21
; %bb.803:
	s_or_b64 exec, exec, s[12:13]
	s_waitcnt lgkmcnt(0)
	s_barrier
	s_barrier
	s_and_saveexec_b64 s[12:13], s[18:19]
; %bb.804:
	v_lshlrev_b32_e32 v21, 2, v11
	v_lshl_or_b32 v21, v12, 8, v21
	ds_write_b32 v21, v20 offset:5184
; %bb.805:
	s_or_b64 exec, exec, s[12:13]
	s_waitcnt lgkmcnt(0)
	s_barrier
	s_barrier
	s_and_saveexec_b64 s[12:13], s[48:49]
	s_cbranch_execz .LBB14_807
; %bb.806:
	v_lshlrev_b32_e32 v20, 8, v0
	ds_read_b32 v21, v20 offset:5184
	s_movk_i32 s14, 0xff04
	v_mad_i32_i24 v22, v0, s14, v20
	s_waitcnt lgkmcnt(0)
	ds_write_b32 v22, v21 offset:4176
	ds_read_b32 v21, v20 offset:5188
	s_waitcnt lgkmcnt(0)
	ds_write_b32 v22, v21 offset:4432
	ds_read_b32 v21, v20 offset:5192
	;; [unrolled: 3-line block ×3, first 2 shown]
	s_waitcnt lgkmcnt(0)
	ds_write_b32 v22, v20 offset:4944
.LBB14_807:
	s_or_b64 exec, exec, s[12:13]
	s_waitcnt lgkmcnt(0)
	s_barrier
	s_and_saveexec_b64 s[12:13], vcc
	s_cbranch_execz .LBB14_809
; %bb.808:
	v_mov_b32_e32 v22, 0
	ds_read_b32 v21, v22 offset:4936
	v_mov_b32_e32 v20, 1.0
	ds_write_b32 v22, v20 offset:4940
	s_waitcnt lgkmcnt(1)
	ds_write_b64 v22, v[20:21] offset:4680
.LBB14_809:
	s_or_b64 exec, exec, s[12:13]
	v_mov_b32_e32 v20, 0
	s_waitcnt lgkmcnt(0)
	s_barrier
	buffer_wbinvl1_vol
	s_and_saveexec_b64 s[14:15], s[2:3]
	s_cbranch_execz .LBB14_813
; %bb.810:
	v_lshlrev_b32_e32 v20, 8, v3
	v_lshlrev_b32_e32 v21, 2, v2
	ds_read_b32 v22, v21 offset:4672
	ds_read_b32 v20, v20 offset:4680
	v_mov_b32_e32 v21, 0
	v_cmp_gt_u32_e64 s[12:13], 2, v5
	s_waitcnt lgkmcnt(0)
	v_fma_f32 v20, v22, v20, 0
	s_and_saveexec_b64 s[16:17], s[12:13]
	s_cbranch_execz .LBB14_812
; %bb.811:
	v_lshlrev_b32_e32 v22, 2, v0
	ds_read_b32 v22, v22 offset:4928
	ds_read_b32 v21, v21 offset:4940
	s_waitcnt lgkmcnt(0)
	v_fmac_f32_e32 v20, v22, v21
.LBB14_812:
	s_or_b64 exec, exec, s[16:17]
.LBB14_813:
	s_or_b64 exec, exec, s[14:15]
	s_and_saveexec_b64 s[12:13], s[30:31]
; %bb.814:
	v_xor_b32_e32 v21, 0x80000000, v20
	ds_write_b32 v4, v21
; %bb.815:
	s_or_b64 exec, exec, s[12:13]
	s_waitcnt lgkmcnt(0)
	s_barrier
	s_and_saveexec_b64 s[12:13], s[26:27]
	s_cbranch_execz .LBB14_817
; %bb.816:
	v_mov_b32_e32 v21, 0
	ds_read_b32 v21, v21 offset:4416
	ds_read_b32 v22, v4
	s_waitcnt lgkmcnt(0)
	v_fma_f32 v20, -v21, v22, v20
.LBB14_817:
	s_or_b64 exec, exec, s[12:13]
	s_barrier
	s_and_saveexec_b64 s[12:13], s[26:27]
; %bb.818:
	v_xor_b32_e32 v21, 0x80000000, v20
	ds_write_b32 v4, v21
; %bb.819:
	s_or_b64 exec, exec, s[12:13]
	s_waitcnt lgkmcnt(0)
	s_barrier
	s_barrier
	s_and_saveexec_b64 s[12:13], s[2:3]
; %bb.820:
	v_lshlrev_b32_e32 v21, 2, v2
	v_lshl_or_b32 v21, v3, 8, v21
	ds_write_b32 v21, v20 offset:4672
; %bb.821:
	s_or_b64 exec, exec, s[12:13]
	s_waitcnt lgkmcnt(0)
	s_barrier
	s_barrier
	s_and_saveexec_b64 s[12:13], s[34:35]
	s_cbranch_execz .LBB14_823
; %bb.822:
	v_lshlrev_b32_e32 v20, 2, v0
	s_movk_i32 s14, 0xfc
	v_mad_u32_u24 v21, v0, s14, v20
	ds_read_b32 v22, v21 offset:4672
	s_waitcnt lgkmcnt(0)
	ds_write_b32 v20, v22 offset:4168
	ds_read_b32 v21, v21 offset:4676
	s_waitcnt lgkmcnt(0)
	ds_write_b32 v20, v21 offset:4424
.LBB14_823:
	s_or_b64 exec, exec, s[12:13]
	s_waitcnt lgkmcnt(0)
	s_barrier
	s_and_saveexec_b64 s[12:13], vcc
	s_cbranch_execz .LBB14_825
; %bb.824:
	v_mov_b32_e32 v22, 0
	ds_read_b32 v21, v22 offset:4416
	v_mov_b32_e32 v20, 1.0
	ds_write_b32 v22, v20 offset:4420
	s_waitcnt lgkmcnt(1)
	ds_write_b64 v22, v[20:21] offset:4160
.LBB14_825:
	s_or_b64 exec, exec, s[12:13]
	v_mov_b32_e32 v20, 0
	s_waitcnt lgkmcnt(0)
	s_barrier
	buffer_wbinvl1_vol
	s_and_saveexec_b64 s[14:15], s[10:11]
	s_cbranch_execz .LBB14_853
; %bb.826:
	v_lshlrev_b32_e32 v22, 2, v17
	v_lshlrev_b32_e32 v21, 8, v18
	ds_read_b32 v20, v22 offset:4096
	ds_read_b32 v23, v21 offset:4160
	s_movk_i32 s12, 0xf0
	v_cmp_gt_u32_e64 s[12:13], s12, v5
	s_waitcnt lgkmcnt(0)
	v_fma_f32 v20, v20, v23, 0
	s_and_saveexec_b64 s[16:17], s[12:13]
	s_cbranch_execz .LBB14_828
; %bb.827:
	ds_read_b32 v23, v22 offset:4352
	ds_read_b32 v24, v21 offset:4164
	s_waitcnt lgkmcnt(0)
	v_fmac_f32_e32 v20, v23, v24
.LBB14_828:
	s_or_b64 exec, exec, s[16:17]
	s_movk_i32 s12, 0xe0
	v_cmp_gt_u32_e64 s[12:13], s12, v5
	s_and_saveexec_b64 s[16:17], s[12:13]
	s_cbranch_execz .LBB14_830
; %bb.829:
	ds_read_b32 v23, v22 offset:4608
	ds_read_b32 v24, v21 offset:4168
	s_waitcnt lgkmcnt(0)
	v_fmac_f32_e32 v20, v23, v24
.LBB14_830:
	s_or_b64 exec, exec, s[16:17]
	s_movk_i32 s12, 0xd0
	v_cmp_gt_u32_e64 s[12:13], s12, v5
	;; [unrolled: 11-line block ×10, first 2 shown]
	s_and_saveexec_b64 s[16:17], s[12:13]
	s_cbranch_execnz .LBB14_1208
; %bb.847:
	s_or_b64 exec, exec, s[16:17]
	s_and_saveexec_b64 s[12:13], s[8:9]
	s_cbranch_execnz .LBB14_1209
.LBB14_848:
	s_or_b64 exec, exec, s[12:13]
	v_cmp_gt_u32_e64 s[12:13], 48, v5
	s_and_saveexec_b64 s[16:17], s[12:13]
	s_cbranch_execnz .LBB14_1210
.LBB14_849:
	s_or_b64 exec, exec, s[16:17]
	v_cmp_gt_u32_e64 s[12:13], 32, v5
	s_and_saveexec_b64 s[16:17], s[12:13]
	s_cbranch_execnz .LBB14_1211
.LBB14_850:
	s_or_b64 exec, exec, s[16:17]
	v_cmp_gt_u32_e64 s[12:13], 16, v5
	s_and_saveexec_b64 s[16:17], s[12:13]
	s_cbranch_execz .LBB14_852
.LBB14_851:
	v_lshlrev_b32_e32 v21, 2, v0
	v_mov_b32_e32 v22, 0
	ds_read_b32 v21, v21 offset:7936
	ds_read_b32 v22, v22 offset:8060
	s_waitcnt lgkmcnt(0)
	v_fmac_f32_e32 v20, v21, v22
.LBB14_852:
	s_or_b64 exec, exec, s[16:17]
.LBB14_853:
	s_or_b64 exec, exec, s[14:15]
	s_mov_b64 s[12:13], exec
	v_readlane_b32 s14, v28, 2
	v_readlane_b32 s15, v28, 3
	s_and_b64 s[14:15], s[12:13], s[14:15]
	s_mov_b64 exec, s[14:15]
; %bb.854:
	v_xor_b32_e32 v21, 0x80000000, v20
	ds_write_b32 v19, v21
; %bb.855:
	s_or_b64 exec, exec, s[12:13]
	s_waitcnt lgkmcnt(0)
	s_barrier
	s_mov_b64 s[12:13], exec
	v_readlane_b32 s14, v28, 4
	v_readlane_b32 s15, v28, 5
	s_and_b64 s[14:15], s[12:13], s[14:15]
	s_mov_b64 exec, s[14:15]
	s_cbranch_execz .LBB14_857
; %bb.856:
	v_lshlrev_b32_e32 v21, 2, v17
	ds_read_b32 v21, v21 offset:3840
	ds_read_b32 v22, v19
	s_waitcnt lgkmcnt(0)
	v_fma_f32 v20, -v21, v22, v20
.LBB14_857:
	s_or_b64 exec, exec, s[12:13]
	s_barrier
	s_mov_b64 s[12:13], exec
	v_readlane_b32 s14, v28, 6
	v_readlane_b32 s15, v28, 7
	s_and_b64 s[14:15], s[12:13], s[14:15]
	s_mov_b64 exec, s[14:15]
; %bb.858:
	v_xor_b32_e32 v21, 0x80000000, v20
	ds_write_b32 v19, v21
; %bb.859:
	s_or_b64 exec, exec, s[12:13]
	s_waitcnt lgkmcnt(0)
	s_barrier
	s_mov_b64 s[12:13], exec
	v_readlane_b32 s14, v28, 8
	v_readlane_b32 s15, v28, 9
	s_and_b64 s[14:15], s[12:13], s[14:15]
	s_mov_b64 exec, s[14:15]
	s_cbranch_execz .LBB14_861
; %bb.860:
	v_lshlrev_b32_e32 v21, 2, v17
	ds_read_b32 v21, v21 offset:3584
	ds_read_b32 v22, v19
	s_waitcnt lgkmcnt(0)
	v_fma_f32 v20, -v21, v22, v20
.LBB14_861:
	s_or_b64 exec, exec, s[12:13]
	s_barrier
	;; [unrolled: 27-line block ×12, first 2 shown]
	s_mov_b64 s[12:13], exec
	v_readlane_b32 s14, v28, 50
	v_readlane_b32 s15, v28, 51
	s_and_b64 s[14:15], s[12:13], s[14:15]
	s_mov_b64 exec, s[14:15]
; %bb.902:
	v_xor_b32_e32 v21, 0x80000000, v20
	ds_write_b32 v19, v21
; %bb.903:
	s_or_b64 exec, exec, s[12:13]
	s_waitcnt lgkmcnt(0)
	s_barrier
	s_and_saveexec_b64 s[12:13], s[0:1]
	s_cbranch_execz .LBB14_905
; %bb.904:
	v_lshlrev_b32_e32 v21, 2, v17
	ds_read_b32 v21, v21 offset:768
	ds_read_b32 v22, v19
	s_waitcnt lgkmcnt(0)
	v_fma_f32 v20, -v21, v22, v20
.LBB14_905:
	s_or_b64 exec, exec, s[12:13]
	s_barrier
	s_and_saveexec_b64 s[0:1], s[80:81]
; %bb.906:
	v_xor_b32_e32 v21, 0x80000000, v20
	ds_write_b32 v19, v21
; %bb.907:
	s_or_b64 exec, exec, s[0:1]
	s_waitcnt lgkmcnt(0)
	s_barrier
	s_and_saveexec_b64 s[0:1], s[82:83]
	s_cbranch_execz .LBB14_909
; %bb.908:
	v_lshlrev_b32_e32 v21, 2, v17
	ds_read_b32 v21, v21 offset:512
	ds_read_b32 v22, v19
	s_waitcnt lgkmcnt(0)
	v_fma_f32 v20, -v21, v22, v20
.LBB14_909:
	s_or_b64 exec, exec, s[0:1]
	s_barrier
	s_and_saveexec_b64 s[0:1], s[84:85]
; %bb.910:
	v_xor_b32_e32 v21, 0x80000000, v20
	ds_write_b32 v19, v21
; %bb.911:
	s_or_b64 exec, exec, s[0:1]
	s_waitcnt lgkmcnt(0)
	s_barrier
	s_and_saveexec_b64 s[0:1], s[86:87]
	s_cbranch_execz .LBB14_913
; %bb.912:
	v_mov_b32_e32 v21, 0
	ds_read_b32 v21, v21 offset:256
	ds_read_b32 v22, v19
	s_waitcnt lgkmcnt(0)
	v_fma_f32 v20, -v21, v22, v20
.LBB14_913:
	s_or_b64 exec, exec, s[0:1]
	s_barrier
	s_and_saveexec_b64 s[0:1], s[86:87]
; %bb.914:
	v_xor_b32_e32 v21, 0x80000000, v20
	ds_write_b32 v19, v21
; %bb.915:
	s_or_b64 exec, exec, s[0:1]
	s_waitcnt lgkmcnt(0)
	s_barrier
	s_barrier
	s_and_saveexec_b64 s[0:1], s[10:11]
; %bb.916:
	v_lshlrev_b32_e32 v17, 2, v17
	v_lshl_or_b32 v17, v18, 8, v17
	ds_write_b32 v17, v20 offset:4096
; %bb.917:
	s_or_b64 exec, exec, s[0:1]
	s_waitcnt lgkmcnt(0)
	s_barrier
	s_barrier
	s_and_saveexec_b64 s[0:1], s[88:89]
	s_cbranch_execz .LBB14_919
; %bb.918:
	v_lshlrev_b32_e32 v17, 8, v0
	ds_read_b32 v18, v17 offset:4096
	s_movk_i32 s10, 0xff04
	v_mad_i32_i24 v19, v0, s10, v17
	s_waitcnt lgkmcnt(0)
	ds_write_b32 v19, v18 offset:64
	ds_read_b32 v18, v17 offset:4100
	s_waitcnt lgkmcnt(0)
	ds_write_b32 v19, v18 offset:320
	ds_read_b32 v18, v17 offset:4104
	;; [unrolled: 3-line block ×15, first 2 shown]
	s_waitcnt lgkmcnt(0)
	ds_write_b32 v19, v17 offset:3904
.LBB14_919:
	s_or_b64 exec, exec, s[0:1]
	s_waitcnt lgkmcnt(0)
	s_barrier
	s_and_saveexec_b64 s[0:1], vcc
	s_cbranch_execz .LBB14_921
; %bb.920:
	v_mov_b32_e32 v19, 0
	ds_read_b32 v18, v19 offset:3896
	v_mov_b32_e32 v17, 1.0
	ds_write_b32 v19, v17 offset:3900
	s_waitcnt lgkmcnt(1)
	ds_write_b64 v19, v[17:18] offset:3640
.LBB14_921:
	s_or_b64 exec, exec, s[0:1]
	v_mov_b32_e32 v17, 0
	s_waitcnt lgkmcnt(0)
	s_barrier
	buffer_wbinvl1_vol
	s_and_saveexec_b64 s[0:1], s[2:3]
	s_cbranch_execz .LBB14_925
; %bb.922:
	v_lshlrev_b32_e32 v17, 8, v3
	v_lshlrev_b32_e32 v18, 2, v2
	ds_read_b32 v19, v18 offset:3632
	ds_read_b32 v17, v17 offset:3640
	v_mov_b32_e32 v18, 0
	v_cmp_gt_u32_e64 s[10:11], 2, v5
	s_waitcnt lgkmcnt(0)
	v_fma_f32 v17, v19, v17, 0
	s_and_saveexec_b64 s[12:13], s[10:11]
	s_cbranch_execz .LBB14_924
; %bb.923:
	v_lshlrev_b32_e32 v19, 2, v0
	ds_read_b32 v19, v19 offset:3888
	ds_read_b32 v18, v18 offset:3900
	s_waitcnt lgkmcnt(0)
	v_fmac_f32_e32 v17, v19, v18
.LBB14_924:
	s_or_b64 exec, exec, s[12:13]
.LBB14_925:
	s_or_b64 exec, exec, s[0:1]
	s_and_saveexec_b64 s[0:1], s[30:31]
; %bb.926:
	v_xor_b32_e32 v18, 0x80000000, v17
	ds_write_b32 v4, v18
; %bb.927:
	s_or_b64 exec, exec, s[0:1]
	s_waitcnt lgkmcnt(0)
	s_barrier
	s_and_saveexec_b64 s[0:1], s[26:27]
	s_cbranch_execz .LBB14_929
; %bb.928:
	v_mov_b32_e32 v18, 0
	ds_read_b32 v18, v18 offset:3376
	ds_read_b32 v19, v4
	s_waitcnt lgkmcnt(0)
	v_fma_f32 v17, -v18, v19, v17
.LBB14_929:
	s_or_b64 exec, exec, s[0:1]
	s_barrier
	s_and_saveexec_b64 s[0:1], s[26:27]
; %bb.930:
	v_xor_b32_e32 v18, 0x80000000, v17
	ds_write_b32 v4, v18
; %bb.931:
	s_or_b64 exec, exec, s[0:1]
	s_waitcnt lgkmcnt(0)
	s_barrier
	s_barrier
	s_and_saveexec_b64 s[0:1], s[2:3]
; %bb.932:
	v_lshlrev_b32_e32 v18, 2, v2
	v_lshl_or_b32 v18, v3, 8, v18
	ds_write_b32 v18, v17 offset:3632
; %bb.933:
	s_or_b64 exec, exec, s[0:1]
	s_waitcnt lgkmcnt(0)
	s_barrier
	s_barrier
	s_and_saveexec_b64 s[0:1], s[34:35]
	s_cbranch_execz .LBB14_935
; %bb.934:
	v_lshlrev_b32_e32 v17, 2, v0
	s_movk_i32 s10, 0xfc
	v_mad_u32_u24 v18, v0, s10, v17
	ds_read_b32 v19, v18 offset:3632
	s_waitcnt lgkmcnt(0)
	ds_write_b32 v17, v19 offset:3128
	ds_read_b32 v18, v18 offset:3636
	s_waitcnt lgkmcnt(0)
	ds_write_b32 v17, v18 offset:3384
.LBB14_935:
	s_or_b64 exec, exec, s[0:1]
	s_waitcnt lgkmcnt(0)
	s_barrier
	s_and_saveexec_b64 s[0:1], vcc
	s_cbranch_execz .LBB14_937
; %bb.936:
	v_mov_b32_e32 v19, 0
	ds_read_b32 v18, v19 offset:3376
	v_mov_b32_e32 v17, 1.0
	ds_write_b32 v19, v17 offset:3380
	s_waitcnt lgkmcnt(1)
	ds_write_b64 v19, v[17:18] offset:3120
.LBB14_937:
	s_or_b64 exec, exec, s[0:1]
	v_mov_b32_e32 v17, 0
	s_waitcnt lgkmcnt(0)
	s_barrier
	buffer_wbinvl1_vol
	s_and_saveexec_b64 s[0:1], s[18:19]
	s_cbranch_execz .LBB14_943
; %bb.938:
	v_lshlrev_b32_e32 v19, 2, v11
	v_lshlrev_b32_e32 v18, 8, v12
	ds_read_b32 v17, v19 offset:3104
	ds_read_b32 v20, v18 offset:3120
	v_cmp_gt_u32_e64 s[10:11], 12, v5
	s_waitcnt lgkmcnt(0)
	v_fma_f32 v17, v17, v20, 0
	s_and_saveexec_b64 s[12:13], s[10:11]
	s_cbranch_execnz .LBB14_1212
; %bb.939:
	s_or_b64 exec, exec, s[12:13]
	v_cmp_gt_u32_e64 s[10:11], 8, v5
	s_and_saveexec_b64 s[12:13], s[10:11]
	s_cbranch_execnz .LBB14_1213
.LBB14_940:
	s_or_b64 exec, exec, s[12:13]
	v_cmp_gt_u32_e64 s[10:11], 4, v5
	s_and_saveexec_b64 s[12:13], s[10:11]
	s_cbranch_execz .LBB14_942
.LBB14_941:
	v_lshlrev_b32_e32 v18, 2, v0
	v_mov_b32_e32 v19, 0
	ds_read_b32 v18, v18 offset:3872
	ds_read_b32 v19, v19 offset:3900
	s_waitcnt lgkmcnt(0)
	v_fmac_f32_e32 v17, v18, v19
.LBB14_942:
	s_or_b64 exec, exec, s[12:13]
.LBB14_943:
	s_or_b64 exec, exec, s[0:1]
	s_and_saveexec_b64 s[0:1], s[38:39]
; %bb.944:
	v_xor_b32_e32 v18, 0x80000000, v17
	ds_write_b32 v13, v18
; %bb.945:
	s_or_b64 exec, exec, s[0:1]
	s_waitcnt lgkmcnt(0)
	s_barrier
	s_and_saveexec_b64 s[0:1], s[40:41]
	s_cbranch_execz .LBB14_947
; %bb.946:
	v_lshlrev_b32_e32 v18, 2, v11
	ds_read_b32 v18, v18 offset:2848
	ds_read_b32 v19, v13
	s_waitcnt lgkmcnt(0)
	v_fma_f32 v17, -v18, v19, v17
.LBB14_947:
	s_or_b64 exec, exec, s[0:1]
	s_barrier
	s_and_saveexec_b64 s[0:1], s[42:43]
; %bb.948:
	v_xor_b32_e32 v18, 0x80000000, v17
	ds_write_b32 v13, v18
; %bb.949:
	s_or_b64 exec, exec, s[0:1]
	s_waitcnt lgkmcnt(0)
	s_barrier
	s_and_saveexec_b64 s[0:1], s[44:45]
	s_cbranch_execz .LBB14_951
; %bb.950:
	v_lshlrev_b32_e32 v18, 2, v11
	ds_read_b32 v18, v18 offset:2592
	ds_read_b32 v19, v13
	s_waitcnt lgkmcnt(0)
	v_fma_f32 v17, -v18, v19, v17
.LBB14_951:
	s_or_b64 exec, exec, s[0:1]
	s_barrier
	s_and_saveexec_b64 s[0:1], s[46:47]
; %bb.952:
	v_xor_b32_e32 v18, 0x80000000, v17
	ds_write_b32 v13, v18
; %bb.953:
	s_or_b64 exec, exec, s[0:1]
	s_waitcnt lgkmcnt(0)
	s_barrier
	s_and_saveexec_b64 s[0:1], s[36:37]
	s_cbranch_execz .LBB14_955
; %bb.954:
	v_mov_b32_e32 v18, 0
	ds_read_b32 v18, v18 offset:2336
	ds_read_b32 v19, v13
	s_waitcnt lgkmcnt(0)
	v_fma_f32 v17, -v18, v19, v17
.LBB14_955:
	s_or_b64 exec, exec, s[0:1]
	s_barrier
	s_and_saveexec_b64 s[0:1], s[36:37]
; %bb.956:
	v_xor_b32_e32 v18, 0x80000000, v17
	ds_write_b32 v13, v18
; %bb.957:
	s_or_b64 exec, exec, s[0:1]
	s_waitcnt lgkmcnt(0)
	s_barrier
	s_barrier
	s_and_saveexec_b64 s[0:1], s[18:19]
; %bb.958:
	v_lshlrev_b32_e32 v18, 2, v11
	v_lshl_or_b32 v18, v12, 8, v18
	ds_write_b32 v18, v17 offset:3104
; %bb.959:
	s_or_b64 exec, exec, s[0:1]
	s_waitcnt lgkmcnt(0)
	s_barrier
	s_barrier
	s_and_saveexec_b64 s[0:1], s[48:49]
	s_cbranch_execz .LBB14_961
; %bb.960:
	v_lshlrev_b32_e32 v17, 8, v0
	ds_read_b32 v18, v17 offset:3104
	s_movk_i32 s10, 0xff04
	v_mad_i32_i24 v19, v0, s10, v17
	s_waitcnt lgkmcnt(0)
	ds_write_b32 v19, v18 offset:2096
	ds_read_b32 v18, v17 offset:3108
	s_waitcnt lgkmcnt(0)
	ds_write_b32 v19, v18 offset:2352
	ds_read_b32 v18, v17 offset:3112
	;; [unrolled: 3-line block ×3, first 2 shown]
	s_waitcnt lgkmcnt(0)
	ds_write_b32 v19, v17 offset:2864
.LBB14_961:
	s_or_b64 exec, exec, s[0:1]
	s_waitcnt lgkmcnt(0)
	s_barrier
	s_and_saveexec_b64 s[0:1], vcc
	s_cbranch_execz .LBB14_963
; %bb.962:
	v_mov_b32_e32 v19, 0
	ds_read_b32 v18, v19 offset:2856
	v_mov_b32_e32 v17, 1.0
	ds_write_b32 v19, v17 offset:2860
	s_waitcnt lgkmcnt(1)
	ds_write_b64 v19, v[17:18] offset:2600
.LBB14_963:
	s_or_b64 exec, exec, s[0:1]
	v_mov_b32_e32 v17, 0
	s_waitcnt lgkmcnt(0)
	s_barrier
	buffer_wbinvl1_vol
	s_and_saveexec_b64 s[0:1], s[2:3]
	s_cbranch_execz .LBB14_967
; %bb.964:
	v_lshlrev_b32_e32 v17, 8, v3
	v_lshlrev_b32_e32 v18, 2, v2
	ds_read_b32 v19, v18 offset:2592
	ds_read_b32 v17, v17 offset:2600
	v_mov_b32_e32 v18, 0
	v_cmp_gt_u32_e64 s[10:11], 2, v5
	s_waitcnt lgkmcnt(0)
	v_fma_f32 v17, v19, v17, 0
	s_and_saveexec_b64 s[12:13], s[10:11]
	s_cbranch_execz .LBB14_966
; %bb.965:
	v_lshlrev_b32_e32 v19, 2, v0
	ds_read_b32 v19, v19 offset:2848
	ds_read_b32 v18, v18 offset:2860
	s_waitcnt lgkmcnt(0)
	v_fmac_f32_e32 v17, v19, v18
.LBB14_966:
	s_or_b64 exec, exec, s[12:13]
.LBB14_967:
	s_or_b64 exec, exec, s[0:1]
	s_and_saveexec_b64 s[0:1], s[30:31]
; %bb.968:
	v_xor_b32_e32 v18, 0x80000000, v17
	ds_write_b32 v4, v18
; %bb.969:
	s_or_b64 exec, exec, s[0:1]
	s_waitcnt lgkmcnt(0)
	s_barrier
	s_and_saveexec_b64 s[0:1], s[26:27]
	s_cbranch_execz .LBB14_971
; %bb.970:
	v_mov_b32_e32 v18, 0
	ds_read_b32 v18, v18 offset:2336
	ds_read_b32 v19, v4
	s_waitcnt lgkmcnt(0)
	v_fma_f32 v17, -v18, v19, v17
.LBB14_971:
	s_or_b64 exec, exec, s[0:1]
	s_barrier
	s_and_saveexec_b64 s[0:1], s[26:27]
; %bb.972:
	v_xor_b32_e32 v18, 0x80000000, v17
	ds_write_b32 v4, v18
; %bb.973:
	s_or_b64 exec, exec, s[0:1]
	s_waitcnt lgkmcnt(0)
	s_barrier
	s_barrier
	s_and_saveexec_b64 s[0:1], s[2:3]
; %bb.974:
	v_lshlrev_b32_e32 v18, 2, v2
	v_lshl_or_b32 v18, v3, 8, v18
	ds_write_b32 v18, v17 offset:2592
; %bb.975:
	s_or_b64 exec, exec, s[0:1]
	s_waitcnt lgkmcnt(0)
	s_barrier
	s_barrier
	s_and_saveexec_b64 s[0:1], s[34:35]
	s_cbranch_execz .LBB14_977
; %bb.976:
	v_lshlrev_b32_e32 v17, 2, v0
	s_movk_i32 s10, 0xfc
	v_mad_u32_u24 v18, v0, s10, v17
	ds_read_b32 v19, v18 offset:2592
	s_waitcnt lgkmcnt(0)
	ds_write_b32 v17, v19 offset:2088
	ds_read_b32 v18, v18 offset:2596
	s_waitcnt lgkmcnt(0)
	ds_write_b32 v17, v18 offset:2344
.LBB14_977:
	s_or_b64 exec, exec, s[0:1]
	s_waitcnt lgkmcnt(0)
	s_barrier
	s_and_saveexec_b64 s[0:1], vcc
	s_cbranch_execz .LBB14_979
; %bb.978:
	v_mov_b32_e32 v19, 0
	ds_read_b32 v18, v19 offset:2336
	v_mov_b32_e32 v17, 1.0
	ds_write_b32 v19, v17 offset:2340
	s_waitcnt lgkmcnt(1)
	ds_write_b64 v19, v[17:18] offset:2080
.LBB14_979:
	s_or_b64 exec, exec, s[0:1]
	v_mov_b32_e32 v17, 0
	s_waitcnt lgkmcnt(0)
	s_barrier
	buffer_wbinvl1_vol
	s_and_saveexec_b64 s[0:1], s[8:9]
	s_cbranch_execz .LBB14_989
; %bb.980:
	v_lshlrev_b32_e32 v19, 2, v14
	v_lshlrev_b32_e32 v18, 8, v15
	ds_read_b32 v17, v19 offset:2048
	ds_read_b32 v20, v18 offset:2080
	v_cmp_gt_u32_e64 s[10:11], 56, v5
	s_waitcnt lgkmcnt(0)
	v_fma_f32 v17, v17, v20, 0
	s_and_saveexec_b64 s[12:13], s[10:11]
	s_cbranch_execnz .LBB14_1214
; %bb.981:
	s_or_b64 exec, exec, s[12:13]
	v_cmp_gt_u32_e64 s[10:11], 48, v5
	s_and_saveexec_b64 s[12:13], s[10:11]
	s_cbranch_execnz .LBB14_1215
.LBB14_982:
	s_or_b64 exec, exec, s[12:13]
	v_cmp_gt_u32_e64 s[10:11], 40, v5
	s_and_saveexec_b64 s[12:13], s[10:11]
	s_cbranch_execnz .LBB14_1216
.LBB14_983:
	s_or_b64 exec, exec, s[12:13]
	v_cmp_gt_u32_e64 s[10:11], 32, v5
	s_and_saveexec_b64 s[12:13], s[10:11]
	s_cbranch_execnz .LBB14_1217
.LBB14_984:
	s_or_b64 exec, exec, s[12:13]
	v_cmp_gt_u32_e64 s[10:11], 24, v5
	s_and_saveexec_b64 s[12:13], s[10:11]
	s_cbranch_execnz .LBB14_1218
.LBB14_985:
	s_or_b64 exec, exec, s[12:13]
	s_and_saveexec_b64 s[10:11], s[18:19]
	s_cbranch_execnz .LBB14_1219
.LBB14_986:
	s_or_b64 exec, exec, s[10:11]
	v_cmp_gt_u32_e64 s[10:11], 8, v5
	s_and_saveexec_b64 s[12:13], s[10:11]
	s_cbranch_execz .LBB14_988
.LBB14_987:
	v_lshlrev_b32_e32 v18, 2, v0
	v_mov_b32_e32 v19, 0
	ds_read_b32 v18, v18 offset:3840
	ds_read_b32 v19, v19 offset:3900
	s_waitcnt lgkmcnt(0)
	v_fmac_f32_e32 v17, v18, v19
.LBB14_988:
	s_or_b64 exec, exec, s[12:13]
.LBB14_989:
	s_or_b64 exec, exec, s[0:1]
	s_and_saveexec_b64 s[0:1], s[50:51]
; %bb.990:
	v_xor_b32_e32 v18, 0x80000000, v17
	ds_write_b32 v16, v18
; %bb.991:
	s_or_b64 exec, exec, s[0:1]
	s_waitcnt lgkmcnt(0)
	s_barrier
	s_and_saveexec_b64 s[0:1], s[52:53]
	s_cbranch_execz .LBB14_993
; %bb.992:
	v_lshlrev_b32_e32 v18, 2, v14
	ds_read_b32 v18, v18 offset:1792
	ds_read_b32 v19, v16
	s_waitcnt lgkmcnt(0)
	v_fma_f32 v17, -v18, v19, v17
.LBB14_993:
	s_or_b64 exec, exec, s[0:1]
	s_barrier
	s_and_saveexec_b64 s[0:1], s[54:55]
; %bb.994:
	v_xor_b32_e32 v18, 0x80000000, v17
	ds_write_b32 v16, v18
; %bb.995:
	s_or_b64 exec, exec, s[0:1]
	s_waitcnt lgkmcnt(0)
	s_barrier
	s_and_saveexec_b64 s[0:1], s[56:57]
	s_cbranch_execz .LBB14_997
; %bb.996:
	v_lshlrev_b32_e32 v18, 2, v14
	ds_read_b32 v18, v18 offset:1536
	ds_read_b32 v19, v16
	s_waitcnt lgkmcnt(0)
	v_fma_f32 v17, -v18, v19, v17
.LBB14_997:
	s_or_b64 exec, exec, s[0:1]
	s_barrier
	;; [unrolled: 19-line block ×6, first 2 shown]
	s_and_saveexec_b64 s[0:1], s[76:77]
; %bb.1014:
	v_xor_b32_e32 v18, 0x80000000, v17
	ds_write_b32 v16, v18
; %bb.1015:
	s_or_b64 exec, exec, s[0:1]
	s_waitcnt lgkmcnt(0)
	s_barrier
	s_and_saveexec_b64 s[0:1], s[60:61]
	s_cbranch_execz .LBB14_1017
; %bb.1016:
	v_mov_b32_e32 v18, 0
	ds_read_b32 v18, v18 offset:256
	ds_read_b32 v19, v16
	s_waitcnt lgkmcnt(0)
	v_fma_f32 v17, -v18, v19, v17
.LBB14_1017:
	s_or_b64 exec, exec, s[0:1]
	s_barrier
	s_and_saveexec_b64 s[0:1], s[60:61]
; %bb.1018:
	v_xor_b32_e32 v18, 0x80000000, v17
	ds_write_b32 v16, v18
; %bb.1019:
	s_or_b64 exec, exec, s[0:1]
	s_waitcnt lgkmcnt(0)
	s_barrier
	s_barrier
	s_and_saveexec_b64 s[0:1], s[8:9]
; %bb.1020:
	v_lshlrev_b32_e32 v14, 2, v14
	v_lshl_or_b32 v14, v15, 8, v14
	ds_write_b32 v14, v17 offset:2048
; %bb.1021:
	s_or_b64 exec, exec, s[0:1]
	s_waitcnt lgkmcnt(0)
	s_barrier
	s_barrier
	s_and_saveexec_b64 s[0:1], s[78:79]
	s_cbranch_execz .LBB14_1023
; %bb.1022:
	v_lshlrev_b32_e32 v14, 8, v0
	ds_read_b32 v15, v14 offset:2048
	s_movk_i32 s8, 0xff04
	v_mad_i32_i24 v16, v0, s8, v14
	s_waitcnt lgkmcnt(0)
	ds_write_b32 v16, v15 offset:32
	ds_read_b32 v15, v14 offset:2052
	s_waitcnt lgkmcnt(0)
	ds_write_b32 v16, v15 offset:288
	ds_read_b32 v15, v14 offset:2056
	;; [unrolled: 3-line block ×7, first 2 shown]
	s_waitcnt lgkmcnt(0)
	ds_write_b32 v16, v14 offset:1824
.LBB14_1023:
	s_or_b64 exec, exec, s[0:1]
	s_waitcnt lgkmcnt(0)
	s_barrier
	s_and_saveexec_b64 s[0:1], vcc
	s_cbranch_execz .LBB14_1025
; %bb.1024:
	v_mov_b32_e32 v16, 0
	ds_read_b32 v15, v16 offset:1816
	v_mov_b32_e32 v14, 1.0
	ds_write_b32 v16, v14 offset:1820
	s_waitcnt lgkmcnt(1)
	ds_write_b64 v16, v[14:15] offset:1560
.LBB14_1025:
	s_or_b64 exec, exec, s[0:1]
	v_mov_b32_e32 v14, 0
	s_waitcnt lgkmcnt(0)
	s_barrier
	buffer_wbinvl1_vol
	s_and_saveexec_b64 s[0:1], s[2:3]
	s_cbranch_execz .LBB14_1029
; %bb.1026:
	v_lshlrev_b32_e32 v14, 8, v3
	v_lshlrev_b32_e32 v15, 2, v2
	ds_read_b32 v16, v15 offset:1552
	ds_read_b32 v14, v14 offset:1560
	v_mov_b32_e32 v15, 0
	v_cmp_gt_u32_e64 s[8:9], 2, v5
	s_waitcnt lgkmcnt(0)
	v_fma_f32 v14, v16, v14, 0
	s_and_saveexec_b64 s[10:11], s[8:9]
	s_cbranch_execz .LBB14_1028
; %bb.1027:
	v_lshlrev_b32_e32 v16, 2, v0
	ds_read_b32 v16, v16 offset:1808
	ds_read_b32 v15, v15 offset:1820
	s_waitcnt lgkmcnt(0)
	v_fmac_f32_e32 v14, v16, v15
.LBB14_1028:
	s_or_b64 exec, exec, s[10:11]
.LBB14_1029:
	s_or_b64 exec, exec, s[0:1]
	s_and_saveexec_b64 s[0:1], s[30:31]
; %bb.1030:
	v_xor_b32_e32 v15, 0x80000000, v14
	ds_write_b32 v4, v15
; %bb.1031:
	s_or_b64 exec, exec, s[0:1]
	s_waitcnt lgkmcnt(0)
	s_barrier
	s_and_saveexec_b64 s[0:1], s[26:27]
	s_cbranch_execz .LBB14_1033
; %bb.1032:
	v_mov_b32_e32 v15, 0
	ds_read_b32 v15, v15 offset:1296
	ds_read_b32 v16, v4
	s_waitcnt lgkmcnt(0)
	v_fma_f32 v14, -v15, v16, v14
.LBB14_1033:
	s_or_b64 exec, exec, s[0:1]
	s_barrier
	s_and_saveexec_b64 s[0:1], s[26:27]
; %bb.1034:
	v_xor_b32_e32 v15, 0x80000000, v14
	ds_write_b32 v4, v15
; %bb.1035:
	s_or_b64 exec, exec, s[0:1]
	s_waitcnt lgkmcnt(0)
	s_barrier
	s_barrier
	s_and_saveexec_b64 s[0:1], s[2:3]
; %bb.1036:
	v_lshlrev_b32_e32 v15, 2, v2
	v_lshl_or_b32 v15, v3, 8, v15
	ds_write_b32 v15, v14 offset:1552
; %bb.1037:
	s_or_b64 exec, exec, s[0:1]
	s_waitcnt lgkmcnt(0)
	s_barrier
	s_barrier
	s_and_saveexec_b64 s[0:1], s[34:35]
	s_cbranch_execz .LBB14_1039
; %bb.1038:
	v_lshlrev_b32_e32 v14, 2, v0
	s_movk_i32 s8, 0xfc
	v_mad_u32_u24 v15, v0, s8, v14
	ds_read_b32 v16, v15 offset:1552
	s_waitcnt lgkmcnt(0)
	ds_write_b32 v14, v16 offset:1048
	ds_read_b32 v15, v15 offset:1556
	s_waitcnt lgkmcnt(0)
	ds_write_b32 v14, v15 offset:1304
.LBB14_1039:
	s_or_b64 exec, exec, s[0:1]
	s_waitcnt lgkmcnt(0)
	s_barrier
	s_and_saveexec_b64 s[0:1], vcc
	s_cbranch_execz .LBB14_1041
; %bb.1040:
	v_mov_b32_e32 v16, 0
	ds_read_b32 v15, v16 offset:1296
	v_mov_b32_e32 v14, 1.0
	ds_write_b32 v16, v14 offset:1300
	s_waitcnt lgkmcnt(1)
	ds_write_b64 v16, v[14:15] offset:1040
.LBB14_1041:
	s_or_b64 exec, exec, s[0:1]
	v_mov_b32_e32 v14, 0
	s_waitcnt lgkmcnt(0)
	s_barrier
	buffer_wbinvl1_vol
	s_and_saveexec_b64 s[0:1], s[18:19]
	s_cbranch_execz .LBB14_1047
; %bb.1042:
	v_lshlrev_b32_e32 v16, 2, v11
	v_lshlrev_b32_e32 v15, 8, v12
	ds_read_b32 v14, v16 offset:1024
	ds_read_b32 v17, v15 offset:1040
	v_cmp_gt_u32_e64 s[8:9], 12, v5
	s_waitcnt lgkmcnt(0)
	v_fma_f32 v14, v14, v17, 0
	s_and_saveexec_b64 s[10:11], s[8:9]
	s_cbranch_execnz .LBB14_1220
; %bb.1043:
	s_or_b64 exec, exec, s[10:11]
	v_cmp_gt_u32_e64 s[8:9], 8, v5
	s_and_saveexec_b64 s[10:11], s[8:9]
	s_cbranch_execnz .LBB14_1221
.LBB14_1044:
	s_or_b64 exec, exec, s[10:11]
	v_cmp_gt_u32_e64 s[8:9], 4, v5
	s_and_saveexec_b64 s[10:11], s[8:9]
	s_cbranch_execz .LBB14_1046
.LBB14_1045:
	v_lshlrev_b32_e32 v15, 2, v0
	v_mov_b32_e32 v16, 0
	ds_read_b32 v15, v15 offset:1792
	ds_read_b32 v16, v16 offset:1820
	s_waitcnt lgkmcnt(0)
	v_fmac_f32_e32 v14, v15, v16
.LBB14_1046:
	s_or_b64 exec, exec, s[10:11]
.LBB14_1047:
	s_or_b64 exec, exec, s[0:1]
	s_and_saveexec_b64 s[0:1], s[38:39]
; %bb.1048:
	v_xor_b32_e32 v15, 0x80000000, v14
	ds_write_b32 v13, v15
; %bb.1049:
	s_or_b64 exec, exec, s[0:1]
	s_waitcnt lgkmcnt(0)
	s_barrier
	s_and_saveexec_b64 s[0:1], s[40:41]
	s_load_dword s20, s[4:5], 0x6c
	v_readlane_b32 s38, v28, 0
	v_readlane_b32 s39, v28, 1
	s_cbranch_execz .LBB14_1051
; %bb.1050:
	v_lshlrev_b32_e32 v15, 2, v11
	ds_read_b32 v15, v15 offset:768
	ds_read_b32 v16, v13
	s_waitcnt lgkmcnt(0)
	v_fma_f32 v14, -v15, v16, v14
.LBB14_1051:
	s_or_b64 exec, exec, s[0:1]
	s_waitcnt lgkmcnt(0)
	s_barrier
	s_and_saveexec_b64 s[0:1], s[42:43]
; %bb.1052:
	v_xor_b32_e32 v15, 0x80000000, v14
	ds_write_b32 v13, v15
; %bb.1053:
	s_or_b64 exec, exec, s[0:1]
	s_waitcnt lgkmcnt(0)
	s_barrier
	s_and_saveexec_b64 s[0:1], s[44:45]
	s_cbranch_execz .LBB14_1055
; %bb.1054:
	v_lshlrev_b32_e32 v15, 2, v11
	ds_read_b32 v15, v15 offset:512
	ds_read_b32 v16, v13
	s_waitcnt lgkmcnt(0)
	v_fma_f32 v14, -v15, v16, v14
.LBB14_1055:
	s_or_b64 exec, exec, s[0:1]
	s_barrier
	s_and_saveexec_b64 s[0:1], s[46:47]
; %bb.1056:
	v_xor_b32_e32 v15, 0x80000000, v14
	ds_write_b32 v13, v15
; %bb.1057:
	s_or_b64 exec, exec, s[0:1]
	s_waitcnt lgkmcnt(0)
	s_barrier
	s_and_saveexec_b64 s[0:1], s[36:37]
	s_cbranch_execz .LBB14_1059
; %bb.1058:
	v_mov_b32_e32 v15, 0
	ds_read_b32 v15, v15 offset:256
	ds_read_b32 v16, v13
	s_waitcnt lgkmcnt(0)
	v_fma_f32 v14, -v15, v16, v14
.LBB14_1059:
	s_or_b64 exec, exec, s[0:1]
	s_barrier
	s_and_saveexec_b64 s[0:1], s[36:37]
; %bb.1060:
	v_xor_b32_e32 v15, 0x80000000, v14
	ds_write_b32 v13, v15
; %bb.1061:
	s_or_b64 exec, exec, s[0:1]
	s_waitcnt lgkmcnt(0)
	s_barrier
	s_barrier
	s_and_saveexec_b64 s[0:1], s[18:19]
; %bb.1062:
	v_lshlrev_b32_e32 v11, 2, v11
	v_lshl_or_b32 v11, v12, 8, v11
	ds_write_b32 v11, v14 offset:1024
; %bb.1063:
	s_or_b64 exec, exec, s[0:1]
	s_waitcnt lgkmcnt(0)
	s_barrier
	s_barrier
	s_and_saveexec_b64 s[0:1], s[48:49]
	s_cbranch_execz .LBB14_1065
; %bb.1064:
	v_lshlrev_b32_e32 v11, 8, v0
	ds_read_b32 v12, v11 offset:1024
	s_movk_i32 s8, 0xff04
	v_mad_i32_i24 v13, v0, s8, v11
	s_waitcnt lgkmcnt(0)
	ds_write_b32 v13, v12 offset:16
	ds_read_b32 v12, v11 offset:1028
	s_waitcnt lgkmcnt(0)
	ds_write_b32 v13, v12 offset:272
	ds_read_b32 v12, v11 offset:1032
	;; [unrolled: 3-line block ×3, first 2 shown]
	s_waitcnt lgkmcnt(0)
	ds_write_b32 v13, v11 offset:784
.LBB14_1065:
	s_or_b64 exec, exec, s[0:1]
	s_waitcnt lgkmcnt(0)
	s_barrier
	s_and_saveexec_b64 s[0:1], vcc
	s_cbranch_execz .LBB14_1067
; %bb.1066:
	v_mov_b32_e32 v13, 0
	ds_read_b32 v12, v13 offset:776
	v_mov_b32_e32 v11, 1.0
	ds_write_b32 v13, v11 offset:780
	s_waitcnt lgkmcnt(1)
	ds_write_b64 v13, v[11:12] offset:520
.LBB14_1067:
	s_or_b64 exec, exec, s[0:1]
	v_mov_b32_e32 v11, 0
	s_waitcnt lgkmcnt(0)
	s_barrier
	buffer_wbinvl1_vol
	s_and_saveexec_b64 s[0:1], s[2:3]
	s_cbranch_execz .LBB14_1071
; %bb.1068:
	v_lshlrev_b32_e32 v11, 8, v3
	v_lshlrev_b32_e32 v12, 2, v2
	ds_read_b32 v13, v12 offset:512
	ds_read_b32 v11, v11 offset:520
	v_mov_b32_e32 v12, 0
	v_cmp_gt_u32_e64 s[8:9], 2, v5
	s_waitcnt lgkmcnt(0)
	v_fma_f32 v11, v13, v11, 0
	s_and_saveexec_b64 s[10:11], s[8:9]
	s_cbranch_execz .LBB14_1070
; %bb.1069:
	v_lshlrev_b32_e32 v5, 2, v0
	ds_read_b32 v5, v5 offset:768
	ds_read_b32 v12, v12 offset:780
	s_waitcnt lgkmcnt(0)
	v_fmac_f32_e32 v11, v5, v12
.LBB14_1070:
	s_or_b64 exec, exec, s[10:11]
.LBB14_1071:
	s_or_b64 exec, exec, s[0:1]
	s_and_saveexec_b64 s[0:1], s[30:31]
; %bb.1072:
	v_xor_b32_e32 v5, 0x80000000, v11
	ds_write_b32 v4, v5
; %bb.1073:
	s_or_b64 exec, exec, s[0:1]
	s_waitcnt lgkmcnt(0)
	s_barrier
	s_and_saveexec_b64 s[0:1], s[26:27]
	s_cbranch_execz .LBB14_1075
; %bb.1074:
	v_mov_b32_e32 v5, 0
	ds_read_b32 v5, v5 offset:256
	ds_read_b32 v12, v4
	s_waitcnt lgkmcnt(0)
	v_fma_f32 v11, -v5, v12, v11
.LBB14_1075:
	s_or_b64 exec, exec, s[0:1]
	s_barrier
	s_and_saveexec_b64 s[0:1], s[26:27]
; %bb.1076:
	v_xor_b32_e32 v5, 0x80000000, v11
	ds_write_b32 v4, v5
; %bb.1077:
	s_or_b64 exec, exec, s[0:1]
	s_waitcnt lgkmcnt(0)
	s_barrier
	s_barrier
	s_and_saveexec_b64 s[0:1], s[2:3]
; %bb.1078:
	v_lshlrev_b32_e32 v2, 2, v2
	v_lshl_or_b32 v2, v3, 8, v2
	ds_write_b32 v2, v11 offset:512
; %bb.1079:
	s_or_b64 exec, exec, s[0:1]
	s_waitcnt lgkmcnt(0)
	s_barrier
	s_barrier
	s_and_saveexec_b64 s[0:1], s[34:35]
	s_cbranch_execz .LBB14_1081
; %bb.1080:
	v_lshlrev_b32_e32 v2, 2, v0
	s_movk_i32 s2, 0xfc
	v_mad_u32_u24 v3, v0, s2, v2
	ds_read_b32 v4, v3 offset:512
	s_waitcnt lgkmcnt(0)
	ds_write_b32 v2, v4 offset:8
	ds_read_b32 v3, v3 offset:516
	s_waitcnt lgkmcnt(0)
	ds_write_b32 v2, v3 offset:264
.LBB14_1081:
	s_or_b64 exec, exec, s[0:1]
	s_waitcnt lgkmcnt(0)
	s_barrier
	s_and_saveexec_b64 s[0:1], vcc
	s_cbranch_execz .LBB14_1083
; %bb.1082:
	v_mov_b32_e32 v4, 0
	ds_read_b32 v3, v4 offset:256
	v_mov_b32_e32 v2, 1.0
	ds_write_b32 v4, v2 offset:260
	s_waitcnt lgkmcnt(1)
	ds_write_b64 v4, v[2:3]
.LBB14_1083:
	s_or_b64 exec, exec, s[0:1]
.LBB14_1084:
	s_load_dwordx8 s[12:19], s[4:5], 0x30
	s_load_dwordx2 s[0:1], s[4:5], 0x50
	v_cmp_le_i32_e32 vcc, s7, v0
	v_mov_b32_e32 v12, 0
	v_lshl_add_u32 v2, s6, 6, v0
	s_waitcnt lgkmcnt(0)
	s_mul_i32 s3, s19, s28
	s_mul_hi_u32 s8, s18, s28
	s_mul_i32 s2, s18, s28
	s_add_i32 s3, s8, s3
	s_lshl_b64 s[2:3], s[2:3], 2
	s_add_u32 s8, s12, s2
	s_addc_u32 s9, s13, s3
	s_lshl_b64 s[2:3], s[14:15], 2
	s_add_u32 s26, s8, s2
	s_addc_u32 s27, s9, s3
	s_and_b64 s[14:15], vcc, s[22:23]
	v_cmp_eq_u32_e64 s[2:3], 0, v1
	s_xor_b64 s[8:9], s[14:15], -1
	s_and_b64 s[10:11], s[2:3], s[8:9]
	s_barrier
	s_and_saveexec_b64 s[8:9], s[10:11]
	s_cbranch_execz .LBB14_1086
; %bb.1085:
	v_ashrrev_i32_e32 v5, 31, v2
	v_mul_lo_u32 v11, s17, v2
	v_mad_u64_u32 v[3:4], s[10:11], s16, v2, 0
	v_mul_lo_u32 v5, s16, v5
	s_load_dword s4, s[4:5], 0x28
	v_add3_u32 v4, v4, v5, v11
	v_lshlrev_b64 v[3:4], 2, v[3:4]
	v_mov_b32_e32 v5, s27
	v_add_co_u32_e32 v3, vcc, s26, v3
	v_addc_co_u32_e32 v4, vcc, v5, v4, vcc
	global_load_dword v3, v[3:4], off
	s_waitcnt vmcnt(0) lgkmcnt(0)
	v_mul_f32_e64 v12, v3, -s4
.LBB14_1086:
	s_or_b64 exec, exec, s[8:9]
	s_and_b32 s4, 0xffff, s20
	v_mad_u32_u24 v11, v1, s4, v0
	s_cmp_lt_i32 s6, 1
	v_cmp_eq_u32_e64 s[4:5], 0, v11
	s_cbranch_scc1 .LBB14_1112
; %bb.1087:
	v_mad_u64_u32 v[3:4], s[8:9], s24, v2, 0
	s_mov_b32 s24, 0
	v_cmp_gt_u32_e64 s[12:13], 64, v11
	v_mad_u64_u32 v[4:5], s[8:9], s25, v2, v[4:5]
	s_lshl_b64 s[8:9], s[28:29], 2
	s_add_u32 s18, s0, s8
	s_addc_u32 s19, s1, s9
	v_cmp_gt_i32_e64 s[8:9], s33, v2
	v_lshlrev_b64 v[2:3], 2, v[3:4]
	v_mov_b32_e32 v5, 0x5000
	v_mov_b32_e32 v4, s95
	v_add_co_u32_e32 v15, vcc, s94, v2
	v_lshl_add_u32 v13, v11, 2, v5
	v_lshl_or_b32 v14, v1, 2, v5
	s_add_i32 s25, s6, -1
	v_addc_co_u32_e32 v16, vcc, v4, v3, vcc
	v_mov_b32_e32 v17, -1
	v_mov_b32_e32 v3, 0
	s_branch .LBB14_1090
.LBB14_1088:                            ;   in Loop: Header=BB14_1090 Depth=1
	ds_read_b32 v4, v14 offset:192
	s_waitcnt vmcnt(0) lgkmcnt(0)
	v_fmac_f32_e32 v12, v2, v4
.LBB14_1089:                            ;   in Loop: Header=BB14_1090 Depth=1
	s_or_b64 exec, exec, s[20:21]
	s_add_i32 s24, s24, 1
	s_cmp_eq_u32 s24, s6
	s_cbranch_scc1 .LBB14_1112
.LBB14_1090:                            ; =>This Loop Header: Depth=1
                                        ;     Child Loop BB14_1092 Depth 2
	v_cmp_gt_i32_e32 vcc, s24, v17
	s_and_b64 s[20:21], s[4:5], vcc
	s_and_saveexec_b64 s[10:11], s[20:21]
	s_cbranch_execz .LBB14_1093
; %bb.1091:                             ;   in Loop: Header=BB14_1090 Depth=1
	global_load_dword v17, v3, s[18:19]
	s_waitcnt vmcnt(0)
	v_cmp_le_i32_e32 vcc, s24, v17
	s_cbranch_vccnz .LBB14_1093
.LBB14_1092:                            ;   Parent Loop BB14_1090 Depth=1
                                        ; =>  This Inner Loop Header: Depth=2
	buffer_wbinvl1_vol
	global_load_dword v17, v3, s[18:19]
	s_waitcnt vmcnt(0)
	v_cmp_gt_i32_e32 vcc, s24, v17
	s_cbranch_vccnz .LBB14_1092
.LBB14_1093:                            ;   in Loop: Header=BB14_1090 Depth=1
	s_or_b64 exec, exec, s[10:11]
	s_lshl_b32 s30, s24, 6
	buffer_wbinvl1_vol
	s_barrier
	s_and_saveexec_b64 s[10:11], s[12:13]
	s_cbranch_execz .LBB14_1097
; %bb.1094:                             ;   in Loop: Header=BB14_1090 Depth=1
	v_or_b32_e32 v4, s30, v11
	v_cmp_gt_i32_e32 vcc, s33, v4
	v_mov_b32_e32 v2, 0
	s_and_saveexec_b64 s[20:21], vcc
	s_cbranch_execz .LBB14_1096
; %bb.1095:                             ;   in Loop: Header=BB14_1090 Depth=1
	v_mad_u64_u32 v[18:19], s[34:35], s16, v4, 0
	v_mov_b32_e32 v2, v19
	v_mad_u64_u32 v[4:5], s[34:35], s17, v4, v[2:3]
	v_mov_b32_e32 v2, s27
	v_mov_b32_e32 v19, v4
	v_lshlrev_b64 v[4:5], 2, v[18:19]
	v_add_co_u32_e32 v4, vcc, s26, v4
	v_addc_co_u32_e32 v5, vcc, v2, v5, vcc
	global_load_dword v2, v[4:5], off
.LBB14_1096:                            ;   in Loop: Header=BB14_1090 Depth=1
	s_or_b64 exec, exec, s[20:21]
	s_waitcnt vmcnt(0)
	ds_write_b32 v13, v2
.LBB14_1097:                            ;   in Loop: Header=BB14_1090 Depth=1
	s_or_b64 exec, exec, s[10:11]
	v_add_u32_e32 v2, s30, v1
	v_lshlrev_b64 v[4:5], 2, v[2:3]
	s_cmp_lg_u32 s24, s25
	v_add_co_u32_e32 v4, vcc, v15, v4
	s_cselect_b64 s[10:11], -1, 0
	v_addc_co_u32_e32 v5, vcc, v16, v5, vcc
	v_cmp_gt_i32_e32 vcc, s33, v2
	v_cndmask_b32_e64 v18, 0, 1, s[10:11]
	s_and_b64 s[30:31], vcc, s[8:9]
	v_cmp_ne_u32_e64 s[10:11], 1, v18
	s_waitcnt lgkmcnt(0)
	s_barrier
	s_and_saveexec_b64 s[20:21], s[30:31]
	s_cbranch_execz .LBB14_1101
; %bb.1098:                             ;   in Loop: Header=BB14_1090 Depth=1
	s_and_b64 vcc, exec, s[10:11]
	v_mov_b32_e32 v18, v8
	s_cbranch_vccnz .LBB14_1100
; %bb.1099:                             ;   in Loop: Header=BB14_1090 Depth=1
	global_load_dword v18, v[4:5], off
.LBB14_1100:                            ;   in Loop: Header=BB14_1090 Depth=1
	ds_read_b32 v19, v14
	s_waitcnt vmcnt(0) lgkmcnt(0)
	v_fmac_f32_e32 v12, v18, v19
.LBB14_1101:                            ;   in Loop: Header=BB14_1090 Depth=1
	s_or_b64 exec, exec, s[20:21]
	v_add_u32_e32 v18, 16, v2
	v_cmp_gt_i32_e32 vcc, s33, v18
	s_and_b64 s[30:31], vcc, s[8:9]
	s_and_saveexec_b64 s[20:21], s[30:31]
	s_cbranch_execz .LBB14_1105
; %bb.1102:                             ;   in Loop: Header=BB14_1090 Depth=1
	s_and_b64 vcc, exec, s[10:11]
	v_mov_b32_e32 v18, v7
	s_cbranch_vccnz .LBB14_1104
; %bb.1103:                             ;   in Loop: Header=BB14_1090 Depth=1
	global_load_dword v18, v[4:5], off offset:64
.LBB14_1104:                            ;   in Loop: Header=BB14_1090 Depth=1
	ds_read_b32 v19, v14 offset:64
	s_waitcnt vmcnt(0) lgkmcnt(0)
	v_fmac_f32_e32 v12, v18, v19
.LBB14_1105:                            ;   in Loop: Header=BB14_1090 Depth=1
	s_or_b64 exec, exec, s[20:21]
	v_add_u32_e32 v18, 32, v2
	v_cmp_gt_i32_e32 vcc, s33, v18
	s_and_b64 s[30:31], vcc, s[8:9]
	s_and_saveexec_b64 s[20:21], s[30:31]
	s_cbranch_execz .LBB14_1109
; %bb.1106:                             ;   in Loop: Header=BB14_1090 Depth=1
	s_and_b64 vcc, exec, s[10:11]
	v_mov_b32_e32 v18, v10
	s_cbranch_vccnz .LBB14_1108
; %bb.1107:                             ;   in Loop: Header=BB14_1090 Depth=1
	global_load_dword v18, v[4:5], off offset:128
.LBB14_1108:                            ;   in Loop: Header=BB14_1090 Depth=1
	ds_read_b32 v19, v14 offset:128
	s_waitcnt vmcnt(0) lgkmcnt(0)
	v_fmac_f32_e32 v12, v18, v19
.LBB14_1109:                            ;   in Loop: Header=BB14_1090 Depth=1
	s_or_b64 exec, exec, s[20:21]
	v_add_u32_e32 v2, 48, v2
	v_cmp_gt_i32_e32 vcc, s33, v2
	s_and_b64 s[30:31], vcc, s[8:9]
	s_and_saveexec_b64 s[20:21], s[30:31]
	s_cbranch_execz .LBB14_1089
; %bb.1110:                             ;   in Loop: Header=BB14_1090 Depth=1
	s_and_b64 vcc, exec, s[10:11]
	v_mov_b32_e32 v2, v9
	s_cbranch_vccnz .LBB14_1088
; %bb.1111:                             ;   in Loop: Header=BB14_1090 Depth=1
	global_load_dword v2, v[4:5], off offset:192
	s_branch .LBB14_1088
.LBB14_1112:
	v_lshl_add_u32 v2, v1, 6, v0
	s_xor_b64 s[4:5], s[22:23], -1
	v_lshlrev_b32_e32 v2, 2, v2
	ds_write_b32 v2, v12 offset:16384
	s_waitcnt lgkmcnt(0)
	s_barrier
	s_and_saveexec_b64 s[8:9], s[2:3]
	s_cbranch_execz .LBB14_1114
; %bb.1113:
	v_lshlrev_b32_e32 v5, 2, v0
	ds_read2st64_b32 v[3:4], v5 offset0:65 offset1:66
	ds_read2st64_b32 v[7:8], v5 offset0:67 offset1:68
	;; [unrolled: 1-line block ×5, first 2 shown]
	s_waitcnt lgkmcnt(4)
	v_add_f32_e32 v3, v12, v3
	v_add_f32_e32 v3, v3, v4
	s_waitcnt lgkmcnt(3)
	v_add_f32_e32 v3, v3, v7
	v_add_f32_e32 v3, v3, v8
	;; [unrolled: 3-line block ×4, first 2 shown]
	ds_read2st64_b32 v[3:4], v5 offset0:75 offset1:76
	ds_read2st64_b32 v[7:8], v5 offset0:77 offset1:78
	ds_read_b32 v5, v5 offset:20224
	s_waitcnt lgkmcnt(3)
	v_add_f32_e32 v9, v9, v15
	v_add_f32_e32 v9, v9, v16
	s_waitcnt lgkmcnt(2)
	v_add_f32_e32 v3, v9, v3
	v_add_f32_e32 v3, v3, v4
	;; [unrolled: 3-line block ×3, first 2 shown]
	s_waitcnt lgkmcnt(0)
	v_add_f32_e32 v3, v3, v5
	v_cndmask_b32_e64 v12, -v3, 0, s[14:15]
.LBB14_1114:
	s_or_b64 exec, exec, s[8:9]
	s_and_b64 vcc, exec, s[38:39]
	s_cbranch_vccnz .LBB14_1128
; %bb.1115:
	v_mov_b32_e32 v3, 0x5000
	v_lshl_or_b32 v4, v1, 2, v3
	s_and_saveexec_b64 s[8:9], s[2:3]
; %bb.1116:
	v_lshl_add_u32 v3, v0, 2, v4
	ds_write_b32 v3, v12
; %bb.1117:
	s_or_b64 exec, exec, s[8:9]
	v_cmp_le_u32_e32 vcc, v1, v0
	v_mov_b32_e32 v3, 0
	s_waitcnt lgkmcnt(0)
	s_barrier
	s_and_saveexec_b64 s[8:9], vcc
	s_cbranch_execz .LBB14_1119
; %bb.1118:
	ds_read_b32 v3, v2
	ds_read_b32 v5, v4
	s_waitcnt lgkmcnt(0)
	v_fma_f32 v3, v3, v5, 0
.LBB14_1119:
	s_or_b64 exec, exec, s[8:9]
	v_add_u32_e32 v5, 16, v1
	v_cmp_ge_u32_e32 vcc, v0, v5
	s_and_saveexec_b64 s[8:9], vcc
	s_cbranch_execz .LBB14_1121
; %bb.1120:
	ds_read_b32 v5, v2 offset:4096
	ds_read_b32 v7, v4 offset:64
	s_waitcnt lgkmcnt(0)
	v_fmac_f32_e32 v3, v5, v7
.LBB14_1121:
	s_or_b64 exec, exec, s[8:9]
	v_add_u32_e32 v5, 32, v1
	v_cmp_ge_u32_e32 vcc, v0, v5
	s_and_saveexec_b64 s[8:9], vcc
	s_cbranch_execz .LBB14_1123
; %bb.1122:
	ds_read_b32 v5, v2 offset:8192
	ds_read_b32 v7, v4 offset:128
	s_waitcnt lgkmcnt(0)
	v_fmac_f32_e32 v3, v5, v7
.LBB14_1123:
	s_or_b64 exec, exec, s[8:9]
	v_add_u32_e32 v1, 48, v1
	v_add_u32_e32 v5, 0x4000, v2
	v_cmp_ge_u32_e32 vcc, v0, v1
	s_and_saveexec_b64 s[8:9], vcc
	s_cbranch_execz .LBB14_1125
; %bb.1124:
	ds_read_b32 v1, v2 offset:12288
	ds_read_b32 v2, v4 offset:192
	s_waitcnt lgkmcnt(0)
	v_fmac_f32_e32 v3, v1, v2
.LBB14_1125:
	s_or_b64 exec, exec, s[8:9]
	s_mov_b64 s[10:11], 0
	s_mov_b64 s[8:9], 0
	ds_write_b32 v5, v3
	s_waitcnt lgkmcnt(0)
	s_barrier
                                        ; implicit-def: $vgpr4
                                        ; implicit-def: $vgpr1_vgpr2
	s_and_saveexec_b64 s[12:13], s[2:3]
	s_cbranch_execz .LBB14_1161
; %bb.1126:
	v_lshlrev_b32_e32 v13, 2, v0
	ds_read2st64_b32 v[1:2], v13 offset0:65 offset1:66
	ds_read2st64_b32 v[4:5], v13 offset0:67 offset1:68
	ds_read2st64_b32 v[7:8], v13 offset0:69 offset1:70
	ds_read2st64_b32 v[9:10], v13 offset0:71 offset1:72
	s_mov_b64 s[8:9], exec
	s_waitcnt lgkmcnt(3)
	v_add_f32_e32 v1, v3, v1
	v_add_f32_e32 v1, v2, v1
	s_waitcnt lgkmcnt(2)
	v_add_f32_e32 v1, v4, v1
	v_add_f32_e32 v1, v5, v1
	ds_read2st64_b32 v[2:3], v13 offset0:73 offset1:74
	s_waitcnt lgkmcnt(2)
	v_add_f32_e32 v1, v7, v1
	v_add_f32_e32 v1, v8, v1
	s_waitcnt lgkmcnt(1)
	v_add_f32_e32 v1, v9, v1
	v_add_f32_e32 v1, v10, v1
	ds_read2st64_b32 v[4:5], v13 offset0:75 offset1:76
	ds_read2st64_b32 v[7:8], v13 offset0:77 offset1:78
	ds_read_b32 v9, v13 offset:20224
	v_lshl_add_u32 v13, s6, 6, v11
	s_waitcnt lgkmcnt(3)
	v_add_f32_e32 v10, v2, v1
	v_mad_u64_u32 v[1:2], s[14:15], s16, v13, 0
	v_add_f32_e32 v3, v3, v10
	s_waitcnt lgkmcnt(2)
	v_add_f32_e32 v3, v4, v3
	v_add_f32_e32 v4, v5, v3
	v_mad_u64_u32 v[2:3], s[14:15], s17, v13, v[2:3]
	s_waitcnt lgkmcnt(1)
	v_add_f32_e32 v3, v7, v4
	v_add_f32_e32 v3, v8, v3
	s_waitcnt lgkmcnt(0)
	v_add_f32_e32 v4, v9, v3
	s_or_b64 exec, exec, s[12:13]
	s_and_b64 vcc, exec, s[10:11]
	s_cbranch_vccnz .LBB14_1129
	s_branch .LBB14_1162
.LBB14_1127:
	v_mad_u64_u32 v[12:13], s[2:3], s24, v5, 0
	s_or_b64 s[10:11], s[10:11], exec
	v_mov_b32_e32 v4, v13
	v_mad_u64_u32 v[4:5], s[2:3], s25, v5, v[4:5]
	v_mov_b32_e32 v13, v4
	v_lshlrev_b64 v[4:5], 2, v[12:13]
	v_add_co_u32_e32 v2, vcc, v2, v4
	v_addc_co_u32_e32 v3, vcc, v3, v5, vcc
	global_load_dword v2, v[2:3], off
	s_waitcnt vmcnt(0)
	v_xor_b32_e32 v4, 0x80000000, v2
	s_or_b64 exec, exec, s[8:9]
	s_xor_b64 s[0:1], s[0:1], -1
	s_and_saveexec_b64 s[2:3], s[10:11]
	s_cbranch_execnz .LBB14_45
	s_branch .LBB14_46
.LBB14_1128:
	s_mov_b64 s[8:9], 0
                                        ; implicit-def: $vgpr4
                                        ; implicit-def: $vgpr1_vgpr2
	s_cbranch_execz .LBB14_1162
.LBB14_1129:
	s_mov_b32 s12, 0
	v_mov_b32_e32 v1, 0
	v_mov_b32_e32 v2, v0
	s_branch .LBB14_1131
.LBB14_1130:                            ;   in Loop: Header=BB14_1131 Depth=1
	s_or_b64 exec, exec, s[10:11]
	s_add_i32 s12, s12, 4
	v_add_u32_e32 v6, 0x400, v6
	s_cmp_lg_u32 s12, 64
	v_add_u32_e32 v2, -4, v2
	s_barrier
	s_cbranch_scc0 .LBB14_1147
.LBB14_1131:                            ; =>This Inner Loop Header: Depth=1
	v_cmp_eq_u32_e32 vcc, 0, v2
	s_and_b64 s[14:15], s[2:3], vcc
	s_and_saveexec_b64 s[10:11], s[14:15]
; %bb.1132:                             ;   in Loop: Header=BB14_1131 Depth=1
	ds_write_b32 v1, v12 offset:20736
; %bb.1133:                             ;   in Loop: Header=BB14_1131 Depth=1
	s_or_b64 exec, exec, s[10:11]
	v_cmp_lt_u32_e32 vcc, s12, v0
	s_and_b64 s[14:15], s[2:3], vcc
	s_waitcnt lgkmcnt(0)
	s_barrier
	s_and_saveexec_b64 s[10:11], s[14:15]
	s_cbranch_execz .LBB14_1135
; %bb.1134:                             ;   in Loop: Header=BB14_1131 Depth=1
	ds_read_b32 v3, v6
	ds_read_b32 v4, v1 offset:20736
	s_waitcnt lgkmcnt(0)
	v_fmac_f32_e32 v12, v3, v4
.LBB14_1135:                            ;   in Loop: Header=BB14_1131 Depth=1
	s_or_b64 exec, exec, s[10:11]
	s_or_b32 s13, s12, 1
	v_cmp_eq_u32_e32 vcc, s13, v0
	s_and_b64 s[14:15], s[2:3], vcc
	s_barrier
	s_and_saveexec_b64 s[10:11], s[14:15]
; %bb.1136:                             ;   in Loop: Header=BB14_1131 Depth=1
	ds_write_b32 v1, v12 offset:20736
; %bb.1137:                             ;   in Loop: Header=BB14_1131 Depth=1
	s_or_b64 exec, exec, s[10:11]
	v_cmp_lt_u32_e32 vcc, s13, v0
	s_and_b64 s[14:15], s[2:3], vcc
	s_waitcnt lgkmcnt(0)
	s_barrier
	s_and_saveexec_b64 s[10:11], s[14:15]
	s_cbranch_execz .LBB14_1139
; %bb.1138:                             ;   in Loop: Header=BB14_1131 Depth=1
	ds_read_b32 v3, v6 offset:256
	ds_read_b32 v4, v1 offset:20736
	s_waitcnt lgkmcnt(0)
	v_fmac_f32_e32 v12, v3, v4
.LBB14_1139:                            ;   in Loop: Header=BB14_1131 Depth=1
	s_or_b64 exec, exec, s[10:11]
	s_or_b32 s13, s12, 2
	v_cmp_eq_u32_e32 vcc, s13, v0
	s_and_b64 s[14:15], s[2:3], vcc
	s_barrier
	s_and_saveexec_b64 s[10:11], s[14:15]
; %bb.1140:                             ;   in Loop: Header=BB14_1131 Depth=1
	ds_write_b32 v1, v12 offset:20736
; %bb.1141:                             ;   in Loop: Header=BB14_1131 Depth=1
	s_or_b64 exec, exec, s[10:11]
	v_cmp_lt_u32_e32 vcc, s13, v0
	s_and_b64 s[14:15], s[2:3], vcc
	s_waitcnt lgkmcnt(0)
	s_barrier
	s_and_saveexec_b64 s[10:11], s[14:15]
	s_cbranch_execz .LBB14_1143
; %bb.1142:                             ;   in Loop: Header=BB14_1131 Depth=1
	ds_read_b32 v3, v6 offset:512
	ds_read_b32 v4, v1 offset:20736
	s_waitcnt lgkmcnt(0)
	v_fmac_f32_e32 v12, v3, v4
.LBB14_1143:                            ;   in Loop: Header=BB14_1131 Depth=1
	s_or_b64 exec, exec, s[10:11]
	s_or_b32 s13, s12, 3
	v_cmp_eq_u32_e32 vcc, s13, v0
	s_and_b64 s[14:15], s[2:3], vcc
	s_barrier
	s_and_saveexec_b64 s[10:11], s[14:15]
; %bb.1144:                             ;   in Loop: Header=BB14_1131 Depth=1
	ds_write_b32 v1, v12 offset:20736
; %bb.1145:                             ;   in Loop: Header=BB14_1131 Depth=1
	s_or_b64 exec, exec, s[10:11]
	v_cmp_lt_u32_e32 vcc, s13, v0
	s_and_b64 s[14:15], s[2:3], vcc
	s_waitcnt lgkmcnt(0)
	s_barrier
	s_and_saveexec_b64 s[10:11], s[14:15]
	s_cbranch_execz .LBB14_1130
; %bb.1146:                             ;   in Loop: Header=BB14_1131 Depth=1
	ds_read_b32 v3, v6 offset:768
	ds_read_b32 v4, v1 offset:20736
	s_waitcnt lgkmcnt(0)
	v_fmac_f32_e32 v12, v3, v4
	s_branch .LBB14_1130
.LBB14_1147:
	s_and_b64 vcc, exec, s[4:5]
	s_cbranch_vccz .LBB14_1163
; %bb.1148:
	s_and_b64 s[4:5], s[2:3], exec
	s_cbranch_execz .LBB14_1164
	s_branch .LBB14_1165
.LBB14_1149:
	v_or_b32_e32 v11, v1, v0
	v_cmp_gt_u32_e32 vcc, 64, v11
	s_and_b64 s[10:11], vcc, exec
	s_andn2_saveexec_b64 s[8:9], s[8:9]
	s_cbranch_execz .LBB14_14
.LBB14_1150:
	v_mad_u64_u32 v[11:12], s[12:13], s24, v1, 0
	s_or_b64 s[10:11], s[10:11], exec
	v_mov_b32_e32 v5, v12
	v_mad_u64_u32 v[12:13], s[12:13], s25, v1, v[5:6]
	v_lshlrev_b64 v[11:12], 2, v[11:12]
	v_add_co_u32_e32 v11, vcc, v2, v11
	v_addc_co_u32_e32 v12, vcc, v3, v12, vcc
	global_load_dword v5, v[11:12], off
	s_waitcnt vmcnt(0)
	v_xor_b32_e32 v5, 0x80000000, v5
	s_or_b64 exec, exec, s[8:9]
	s_and_saveexec_b64 s[8:9], s[10:11]
	s_cbranch_execnz .LBB14_15
	s_branch .LBB14_16
.LBB14_1151:
	v_or_b32_e32 v11, v5, v0
	v_cmp_gt_u32_e32 vcc, 64, v11
	s_and_b64 s[2:3], vcc, exec
	s_or_saveexec_b64 s[8:9], s[8:9]
	v_mov_b32_e32 v11, 0
	s_xor_b64 exec, exec, s[8:9]
	s_cbranch_execz .LBB14_18
.LBB14_1152:
	v_mad_u64_u32 v[11:12], s[10:11], s24, v5, 0
	s_or_b64 s[2:3], s[2:3], exec
	v_mad_u64_u32 v[12:13], s[10:11], s25, v5, v[12:13]
	v_lshlrev_b64 v[11:12], 2, v[11:12]
	v_add_co_u32_e32 v11, vcc, v2, v11
	v_addc_co_u32_e32 v12, vcc, v3, v12, vcc
	global_load_dword v11, v[11:12], off
	s_waitcnt vmcnt(0)
	v_xor_b32_e32 v11, 0x80000000, v11
	s_or_b64 exec, exec, s[8:9]
	s_and_saveexec_b64 s[8:9], s[2:3]
	s_cbranch_execnz .LBB14_19
	s_branch .LBB14_20
.LBB14_1153:
	v_or_b32_e32 v11, v5, v0
	v_cmp_gt_u32_e32 vcc, 64, v11
	s_and_b64 s[2:3], vcc, exec
	s_or_saveexec_b64 s[8:9], s[8:9]
	v_mov_b32_e32 v11, 0
	s_xor_b64 exec, exec, s[8:9]
	s_cbranch_execz .LBB14_22
.LBB14_1154:
	v_mad_u64_u32 v[11:12], s[10:11], s24, v5, 0
	s_or_b64 s[2:3], s[2:3], exec
	v_mad_u64_u32 v[12:13], s[10:11], s25, v5, v[12:13]
	v_lshlrev_b64 v[11:12], 2, v[11:12]
	v_add_co_u32_e32 v11, vcc, v2, v11
	v_addc_co_u32_e32 v12, vcc, v3, v12, vcc
	global_load_dword v11, v[11:12], off
	s_waitcnt vmcnt(0)
	v_xor_b32_e32 v11, 0x80000000, v11
	s_or_b64 exec, exec, s[8:9]
	s_and_saveexec_b64 s[8:9], s[2:3]
	s_cbranch_execnz .LBB14_23
	s_branch .LBB14_24
.LBB14_1155:
	v_or_b32_e32 v11, v1, v0
	v_cmp_gt_u32_e64 s[2:3], 64, v11
	s_and_b64 s[8:9], s[2:3], exec
	s_andn2_saveexec_b64 s[12:13], s[12:13]
	s_cbranch_execz .LBB14_30
.LBB14_1156:
	v_mad_u64_u32 v[11:12], s[2:3], s24, v1, 0
	s_or_b64 s[8:9], s[8:9], exec
	v_mov_b32_e32 v5, v12
	v_mad_u64_u32 v[12:13], s[2:3], s25, v1, v[5:6]
	v_lshlrev_b64 v[11:12], 2, v[11:12]
	v_add_co_u32_e64 v11, s[2:3], v2, v11
	v_addc_co_u32_e64 v12, s[2:3], v3, v12, s[2:3]
	global_load_dword v5, v[11:12], off
	s_waitcnt vmcnt(0)
	v_xor_b32_e32 v5, 0x80000000, v5
	s_or_b64 exec, exec, s[12:13]
	s_and_saveexec_b64 s[2:3], s[8:9]
	s_cbranch_execnz .LBB14_31
	s_branch .LBB14_32
.LBB14_1157:
	v_or_b32_e32 v11, v5, v0
	v_cmp_gt_u32_e64 s[2:3], 64, v11
	s_and_b64 s[8:9], s[2:3], exec
	s_or_saveexec_b64 s[12:13], s[12:13]
	v_mov_b32_e32 v11, 0
	s_xor_b64 exec, exec, s[12:13]
	s_cbranch_execz .LBB14_34
.LBB14_1158:
	v_mad_u64_u32 v[11:12], s[2:3], s24, v5, 0
	s_or_b64 s[8:9], s[8:9], exec
	v_mad_u64_u32 v[12:13], s[2:3], s25, v5, v[12:13]
	v_lshlrev_b64 v[11:12], 2, v[11:12]
	v_add_co_u32_e64 v11, s[2:3], v2, v11
	v_addc_co_u32_e64 v12, s[2:3], v3, v12, s[2:3]
	global_load_dword v11, v[11:12], off
	s_waitcnt vmcnt(0)
	v_xor_b32_e32 v11, 0x80000000, v11
	s_or_b64 exec, exec, s[12:13]
	s_and_saveexec_b64 s[2:3], s[8:9]
	s_cbranch_execnz .LBB14_35
	s_branch .LBB14_36
.LBB14_1159:
	v_or_b32_e32 v11, v5, v0
	v_cmp_gt_u32_e64 s[2:3], 64, v11
	s_and_b64 s[8:9], s[2:3], exec
	s_or_saveexec_b64 s[12:13], s[12:13]
	v_mov_b32_e32 v11, 0
	s_xor_b64 exec, exec, s[12:13]
	s_cbranch_execz .LBB14_38
.LBB14_1160:
	v_mad_u64_u32 v[11:12], s[2:3], s24, v5, 0
	s_or_b64 s[8:9], s[8:9], exec
	v_mad_u64_u32 v[12:13], s[2:3], s25, v5, v[12:13]
	v_lshlrev_b64 v[11:12], 2, v[11:12]
	v_add_co_u32_e64 v11, s[2:3], v2, v11
	v_addc_co_u32_e64 v12, s[2:3], v3, v12, s[2:3]
	global_load_dword v11, v[11:12], off
	s_waitcnt vmcnt(0)
	v_xor_b32_e32 v11, 0x80000000, v11
	s_or_b64 exec, exec, s[12:13]
	s_and_saveexec_b64 s[2:3], s[8:9]
	s_cbranch_execnz .LBB14_39
	s_branch .LBB14_40
.LBB14_1161:
	s_or_b64 exec, exec, s[12:13]
	s_and_b64 vcc, exec, s[10:11]
	s_cbranch_vccnz .LBB14_1129
.LBB14_1162:
	v_mov_b32_e32 v12, v4
	s_and_saveexec_b64 s[2:3], s[8:9]
	s_cbranch_execnz .LBB14_1168
	s_branch .LBB14_1169
.LBB14_1163:
	s_mov_b64 s[4:5], 0
.LBB14_1164:
	v_cmp_gt_i32_e32 vcc, s7, v0
	s_and_b64 s[2:3], s[2:3], vcc
	s_andn2_b64 s[4:5], s[4:5], exec
	s_and_b64 s[2:3], s[2:3], exec
	s_or_b64 s[4:5], s[4:5], s[2:3]
.LBB14_1165:
                                        ; implicit-def: $vgpr1_vgpr2
	s_and_saveexec_b64 s[2:3], s[4:5]
	s_cbranch_execz .LBB14_1167
; %bb.1166:
	s_lshl_b32 s4, s6, 6
	s_ashr_i32 s5, s4, 31
	v_mov_b32_e32 v0, s5
	v_add_co_u32_e32 v1, vcc, s4, v11
	v_addc_co_u32_e32 v0, vcc, 0, v0, vcc
	v_mul_lo_u32 v0, v0, s16
	v_mul_lo_u32 v3, v1, s17
	v_mad_u64_u32 v[1:2], s[4:5], v1, s16, 0
	s_or_b64 s[8:9], s[8:9], exec
	v_add3_u32 v2, v2, v3, v0
.LBB14_1167:
	s_or_b64 exec, exec, s[2:3]
	s_and_saveexec_b64 s[2:3], s[8:9]
	s_cbranch_execz .LBB14_1169
.LBB14_1168:
	v_lshlrev_b64 v[0:1], 2, v[1:2]
	v_mov_b32_e32 v2, s27
	v_add_co_u32_e32 v0, vcc, s26, v0
	v_addc_co_u32_e32 v1, vcc, v2, v1, vcc
	global_store_dword v[0:1], v12, off
.LBB14_1169:
	s_or_b64 exec, exec, s[2:3]
	v_cmp_eq_u32_e32 vcc, 0, v11
	s_waitcnt vmcnt(0)
	buffer_wbinvl1_vol
	s_barrier
	s_and_saveexec_b64 s[2:3], vcc
	s_cbranch_execz .LBB14_1171
; %bb.1170:
	s_lshl_b64 s[4:5], s[28:29], 2
	s_add_u32 s0, s0, s4
	s_addc_u32 s1, s1, s5
	v_mov_b32_e32 v0, 0
	global_load_dword v1, v0, s[0:1]
	s_waitcnt vmcnt(0)
	v_add_u32_e32 v1, 1, v1
	global_store_dword v0, v1, s[0:1]
.LBB14_1171:
	s_or_b64 exec, exec, s[2:3]
	s_waitcnt vmcnt(0)
	buffer_wbinvl1_vol
	s_endpgm
.LBB14_1172:
	ds_read_b32 v17, v16 offset:15840
	ds_read_b32 v18, v15 offset:15604
	s_waitcnt lgkmcnt(0)
	v_fmac_f32_e32 v14, v17, v18
	s_or_b64 exec, exec, s[14:15]
	v_cmp_gt_u32_e64 s[10:11], 8, v5
	s_and_saveexec_b64 s[14:15], s[10:11]
	s_cbranch_execz .LBB14_68
.LBB14_1173:
	ds_read_b32 v16, v16 offset:16096
	ds_read_b32 v15, v15 offset:15608
	s_waitcnt lgkmcnt(0)
	v_fmac_f32_e32 v14, v16, v15
	s_or_b64 exec, exec, s[14:15]
	v_cmp_gt_u32_e64 s[10:11], 4, v5
	s_and_saveexec_b64 s[14:15], s[10:11]
	s_cbranch_execnz .LBB14_69
	s_branch .LBB14_70
.LBB14_1174:
	ds_read_b32 v20, v19 offset:14784
	ds_read_b32 v21, v18 offset:14564
	s_waitcnt lgkmcnt(0)
	v_fmac_f32_e32 v17, v20, v21
	s_or_b64 exec, exec, s[16:17]
	v_cmp_gt_u32_e64 s[14:15], 48, v5
	s_and_saveexec_b64 s[16:17], s[14:15]
	s_cbranch_execz .LBB14_110
.LBB14_1175:
	ds_read_b32 v20, v19 offset:15040
	ds_read_b32 v21, v18 offset:14568
	s_waitcnt lgkmcnt(0)
	v_fmac_f32_e32 v17, v20, v21
	s_or_b64 exec, exec, s[16:17]
	v_cmp_gt_u32_e64 s[14:15], 40, v5
	s_and_saveexec_b64 s[16:17], s[14:15]
	s_cbranch_execz .LBB14_111
.LBB14_1176:
	ds_read_b32 v20, v19 offset:15296
	ds_read_b32 v21, v18 offset:14572
	s_waitcnt lgkmcnt(0)
	v_fmac_f32_e32 v17, v20, v21
	s_or_b64 exec, exec, s[16:17]
	v_cmp_gt_u32_e64 s[14:15], 32, v5
	s_and_saveexec_b64 s[16:17], s[14:15]
	s_cbranch_execz .LBB14_112
.LBB14_1177:
	ds_read_b32 v20, v19 offset:15552
	ds_read_b32 v21, v18 offset:14576
	s_waitcnt lgkmcnt(0)
	v_fmac_f32_e32 v17, v20, v21
	s_or_b64 exec, exec, s[16:17]
	v_cmp_gt_u32_e64 s[14:15], 24, v5
	s_and_saveexec_b64 s[16:17], s[14:15]
	s_cbranch_execz .LBB14_113
.LBB14_1178:
	ds_read_b32 v20, v19 offset:15808
	ds_read_b32 v21, v18 offset:14580
	s_waitcnt lgkmcnt(0)
	v_fmac_f32_e32 v17, v20, v21
	s_or_b64 exec, exec, s[16:17]
	s_and_saveexec_b64 s[14:15], s[18:19]
	s_cbranch_execz .LBB14_114
.LBB14_1179:
	ds_read_b32 v19, v19 offset:16064
	ds_read_b32 v18, v18 offset:14584
	s_waitcnt lgkmcnt(0)
	v_fmac_f32_e32 v17, v19, v18
	s_or_b64 exec, exec, s[14:15]
	v_cmp_gt_u32_e64 s[14:15], 8, v5
	s_and_saveexec_b64 s[16:17], s[14:15]
	s_cbranch_execnz .LBB14_115
	s_branch .LBB14_116
.LBB14_1180:
	ds_read_b32 v20, v19 offset:13760
	ds_read_b32 v21, v18 offset:13524
	s_waitcnt lgkmcnt(0)
	v_fmac_f32_e32 v17, v20, v21
	s_or_b64 exec, exec, s[14:15]
	v_cmp_gt_u32_e64 s[10:11], 8, v5
	s_and_saveexec_b64 s[14:15], s[10:11]
	s_cbranch_execz .LBB14_172
.LBB14_1181:
	ds_read_b32 v19, v19 offset:14016
	ds_read_b32 v18, v18 offset:13528
	s_waitcnt lgkmcnt(0)
	v_fmac_f32_e32 v17, v19, v18
	s_or_b64 exec, exec, s[14:15]
	v_cmp_gt_u32_e64 s[10:11], 4, v5
	s_and_saveexec_b64 s[14:15], s[10:11]
	s_cbranch_execnz .LBB14_173
	s_branch .LBB14_174
.LBB14_1182:
	ds_read_b32 v23, v22 offset:15232
	ds_read_b32 v24, v21 offset:12524
	s_waitcnt lgkmcnt(0)
	v_fmac_f32_e32 v20, v23, v24
	s_or_b64 exec, exec, s[20:21]
	s_and_saveexec_b64 s[16:17], s[8:9]
	s_cbranch_execz .LBB14_234
.LBB14_1183:
	ds_read_b32 v23, v22 offset:15488
	ds_read_b32 v24, v21 offset:12528
	s_waitcnt lgkmcnt(0)
	v_fmac_f32_e32 v20, v23, v24
	s_or_b64 exec, exec, s[16:17]
	v_cmp_gt_u32_e64 s[16:17], 48, v5
	s_and_saveexec_b64 s[20:21], s[16:17]
	s_cbranch_execz .LBB14_235
.LBB14_1184:
	ds_read_b32 v23, v22 offset:15744
	ds_read_b32 v24, v21 offset:12532
	s_waitcnt lgkmcnt(0)
	v_fmac_f32_e32 v20, v23, v24
	s_or_b64 exec, exec, s[20:21]
	v_cmp_gt_u32_e64 s[16:17], 32, v5
	s_and_saveexec_b64 s[20:21], s[16:17]
	s_cbranch_execz .LBB14_236
.LBB14_1185:
	ds_read_b32 v22, v22 offset:16000
	ds_read_b32 v21, v21 offset:12536
	s_waitcnt lgkmcnt(0)
	v_fmac_f32_e32 v20, v22, v21
	s_or_b64 exec, exec, s[20:21]
	v_cmp_gt_u32_e64 s[16:17], 16, v5
	s_and_saveexec_b64 s[20:21], s[16:17]
	s_cbranch_execnz .LBB14_237
	s_branch .LBB14_238
.LBB14_1186:
	ds_read_b32 v23, v22 offset:11680
	ds_read_b32 v24, v21 offset:11444
	s_waitcnt lgkmcnt(0)
	v_fmac_f32_e32 v20, v23, v24
	s_or_b64 exec, exec, s[20:21]
	v_cmp_gt_u32_e64 s[14:15], 8, v5
	s_and_saveexec_b64 s[20:21], s[14:15]
	s_cbranch_execz .LBB14_326
.LBB14_1187:
	ds_read_b32 v22, v22 offset:11936
	ds_read_b32 v21, v21 offset:11448
	s_waitcnt lgkmcnt(0)
	v_fmac_f32_e32 v20, v22, v21
	s_or_b64 exec, exec, s[20:21]
	v_cmp_gt_u32_e64 s[14:15], 4, v5
	s_and_saveexec_b64 s[20:21], s[14:15]
	s_cbranch_execnz .LBB14_327
	s_branch .LBB14_328
.LBB14_1188:
	ds_read_b32 v23, v22 offset:10624
	ds_read_b32 v24, v21 offset:10404
	s_waitcnt lgkmcnt(0)
	v_fmac_f32_e32 v20, v23, v24
	s_or_b64 exec, exec, s[20:21]
	v_cmp_gt_u32_e64 s[14:15], 48, v5
	s_and_saveexec_b64 s[20:21], s[14:15]
	s_cbranch_execz .LBB14_368
.LBB14_1189:
	ds_read_b32 v23, v22 offset:10880
	ds_read_b32 v24, v21 offset:10408
	s_waitcnt lgkmcnt(0)
	v_fmac_f32_e32 v20, v23, v24
	s_or_b64 exec, exec, s[20:21]
	v_cmp_gt_u32_e64 s[14:15], 40, v5
	s_and_saveexec_b64 s[20:21], s[14:15]
	s_cbranch_execz .LBB14_369
.LBB14_1190:
	ds_read_b32 v23, v22 offset:11136
	ds_read_b32 v24, v21 offset:10412
	s_waitcnt lgkmcnt(0)
	v_fmac_f32_e32 v20, v23, v24
	s_or_b64 exec, exec, s[20:21]
	v_cmp_gt_u32_e64 s[14:15], 32, v5
	s_and_saveexec_b64 s[20:21], s[14:15]
	s_cbranch_execz .LBB14_370
.LBB14_1191:
	ds_read_b32 v23, v22 offset:11392
	ds_read_b32 v24, v21 offset:10416
	s_waitcnt lgkmcnt(0)
	v_fmac_f32_e32 v20, v23, v24
	s_or_b64 exec, exec, s[20:21]
	v_cmp_gt_u32_e64 s[14:15], 24, v5
	s_and_saveexec_b64 s[20:21], s[14:15]
	s_cbranch_execz .LBB14_371
.LBB14_1192:
	ds_read_b32 v23, v22 offset:11648
	ds_read_b32 v24, v21 offset:10420
	s_waitcnt lgkmcnt(0)
	v_fmac_f32_e32 v20, v23, v24
	s_or_b64 exec, exec, s[20:21]
	s_and_saveexec_b64 s[14:15], s[18:19]
	s_cbranch_execz .LBB14_372
.LBB14_1193:
	ds_read_b32 v22, v22 offset:11904
	ds_read_b32 v21, v21 offset:10424
	s_waitcnt lgkmcnt(0)
	v_fmac_f32_e32 v20, v22, v21
	s_or_b64 exec, exec, s[14:15]
	v_cmp_gt_u32_e64 s[14:15], 8, v5
	s_and_saveexec_b64 s[20:21], s[14:15]
	s_cbranch_execnz .LBB14_373
	s_branch .LBB14_374
.LBB14_1194:
	ds_read_b32 v23, v22 offset:9600
	ds_read_b32 v24, v21 offset:9364
	s_waitcnt lgkmcnt(0)
	v_fmac_f32_e32 v20, v23, v24
	s_or_b64 exec, exec, s[20:21]
	v_cmp_gt_u32_e64 s[14:15], 8, v5
	s_and_saveexec_b64 s[20:21], s[14:15]
	s_cbranch_execz .LBB14_430
.LBB14_1195:
	ds_read_b32 v22, v22 offset:9856
	ds_read_b32 v21, v21 offset:9368
	s_waitcnt lgkmcnt(0)
	v_fmac_f32_e32 v20, v22, v21
	s_or_b64 exec, exec, s[20:21]
	v_cmp_gt_u32_e64 s[14:15], 4, v5
	s_and_saveexec_b64 s[20:21], s[14:15]
	s_cbranch_execnz .LBB14_431
	s_branch .LBB14_432
.LBB14_1196:
	ds_read_b32 v26, v25 offset:15616
	ds_read_b32 v27, v24 offset:8436
	s_waitcnt lgkmcnt(0)
	v_fmac_f32_e32 v22, v26, v27
	s_or_b64 exec, exec, s[92:93]
	s_and_saveexec_b64 s[20:21], s[8:9]
	s_cbranch_execz .LBB14_528
.LBB14_1197:
	ds_read_b32 v25, v25 offset:15872
	ds_read_b32 v24, v24 offset:8440
	s_waitcnt lgkmcnt(0)
	v_fmac_f32_e32 v22, v25, v24
	s_or_b64 exec, exec, s[20:21]
	v_cmp_gt_u32_e64 s[20:21], 32, v5
	s_and_saveexec_b64 s[92:93], s[20:21]
	s_cbranch_execnz .LBB14_529
	s_branch .LBB14_530
.LBB14_1198:
	ds_read_b32 v23, v22 offset:7520
	ds_read_b32 v24, v21 offset:7284
	s_waitcnt lgkmcnt(0)
	v_fmac_f32_e32 v20, v23, v24
	s_or_b64 exec, exec, s[16:17]
	v_cmp_gt_u32_e64 s[12:13], 8, v5
	s_and_saveexec_b64 s[16:17], s[12:13]
	s_cbranch_execz .LBB14_682
.LBB14_1199:
	ds_read_b32 v22, v22 offset:7776
	ds_read_b32 v21, v21 offset:7288
	s_waitcnt lgkmcnt(0)
	v_fmac_f32_e32 v20, v22, v21
	s_or_b64 exec, exec, s[16:17]
	v_cmp_gt_u32_e64 s[12:13], 4, v5
	s_and_saveexec_b64 s[16:17], s[12:13]
	s_cbranch_execnz .LBB14_683
	s_branch .LBB14_684
.LBB14_1200:
	ds_read_b32 v23, v22 offset:6464
	ds_read_b32 v24, v21 offset:6244
	s_waitcnt lgkmcnt(0)
	v_fmac_f32_e32 v20, v23, v24
	s_or_b64 exec, exec, s[16:17]
	v_cmp_gt_u32_e64 s[12:13], 48, v5
	s_and_saveexec_b64 s[16:17], s[12:13]
	s_cbranch_execz .LBB14_724
.LBB14_1201:
	ds_read_b32 v23, v22 offset:6720
	ds_read_b32 v24, v21 offset:6248
	s_waitcnt lgkmcnt(0)
	v_fmac_f32_e32 v20, v23, v24
	s_or_b64 exec, exec, s[16:17]
	v_cmp_gt_u32_e64 s[12:13], 40, v5
	s_and_saveexec_b64 s[16:17], s[12:13]
	s_cbranch_execz .LBB14_725
.LBB14_1202:
	ds_read_b32 v23, v22 offset:6976
	ds_read_b32 v24, v21 offset:6252
	s_waitcnt lgkmcnt(0)
	v_fmac_f32_e32 v20, v23, v24
	s_or_b64 exec, exec, s[16:17]
	v_cmp_gt_u32_e64 s[12:13], 32, v5
	s_and_saveexec_b64 s[16:17], s[12:13]
	s_cbranch_execz .LBB14_726
.LBB14_1203:
	ds_read_b32 v23, v22 offset:7232
	ds_read_b32 v24, v21 offset:6256
	s_waitcnt lgkmcnt(0)
	v_fmac_f32_e32 v20, v23, v24
	s_or_b64 exec, exec, s[16:17]
	v_cmp_gt_u32_e64 s[12:13], 24, v5
	s_and_saveexec_b64 s[16:17], s[12:13]
	s_cbranch_execz .LBB14_727
.LBB14_1204:
	ds_read_b32 v23, v22 offset:7488
	ds_read_b32 v24, v21 offset:6260
	s_waitcnt lgkmcnt(0)
	v_fmac_f32_e32 v20, v23, v24
	s_or_b64 exec, exec, s[16:17]
	s_and_saveexec_b64 s[12:13], s[18:19]
	s_cbranch_execz .LBB14_728
.LBB14_1205:
	ds_read_b32 v22, v22 offset:7744
	ds_read_b32 v21, v21 offset:6264
	s_waitcnt lgkmcnt(0)
	v_fmac_f32_e32 v20, v22, v21
	s_or_b64 exec, exec, s[12:13]
	v_cmp_gt_u32_e64 s[12:13], 8, v5
	s_and_saveexec_b64 s[16:17], s[12:13]
	s_cbranch_execnz .LBB14_729
	s_branch .LBB14_730
.LBB14_1206:
	ds_read_b32 v23, v22 offset:5440
	ds_read_b32 v24, v21 offset:5204
	s_waitcnt lgkmcnt(0)
	v_fmac_f32_e32 v20, v23, v24
	s_or_b64 exec, exec, s[16:17]
	v_cmp_gt_u32_e64 s[12:13], 8, v5
	s_and_saveexec_b64 s[16:17], s[12:13]
	s_cbranch_execz .LBB14_786
.LBB14_1207:
	ds_read_b32 v22, v22 offset:5696
	ds_read_b32 v21, v21 offset:5208
	s_waitcnt lgkmcnt(0)
	v_fmac_f32_e32 v20, v22, v21
	s_or_b64 exec, exec, s[16:17]
	v_cmp_gt_u32_e64 s[12:13], 4, v5
	s_and_saveexec_b64 s[16:17], s[12:13]
	s_cbranch_execnz .LBB14_787
	s_branch .LBB14_788
.LBB14_1208:
	ds_read_b32 v23, v22 offset:6912
	ds_read_b32 v24, v21 offset:4204
	s_waitcnt lgkmcnt(0)
	v_fmac_f32_e32 v20, v23, v24
	s_or_b64 exec, exec, s[16:17]
	s_and_saveexec_b64 s[12:13], s[8:9]
	s_cbranch_execz .LBB14_848
.LBB14_1209:
	ds_read_b32 v23, v22 offset:7168
	ds_read_b32 v24, v21 offset:4208
	s_waitcnt lgkmcnt(0)
	v_fmac_f32_e32 v20, v23, v24
	s_or_b64 exec, exec, s[12:13]
	v_cmp_gt_u32_e64 s[12:13], 48, v5
	s_and_saveexec_b64 s[16:17], s[12:13]
	s_cbranch_execz .LBB14_849
.LBB14_1210:
	ds_read_b32 v23, v22 offset:7424
	ds_read_b32 v24, v21 offset:4212
	s_waitcnt lgkmcnt(0)
	v_fmac_f32_e32 v20, v23, v24
	s_or_b64 exec, exec, s[16:17]
	v_cmp_gt_u32_e64 s[12:13], 32, v5
	s_and_saveexec_b64 s[16:17], s[12:13]
	s_cbranch_execz .LBB14_850
.LBB14_1211:
	ds_read_b32 v22, v22 offset:7680
	ds_read_b32 v21, v21 offset:4216
	s_waitcnt lgkmcnt(0)
	v_fmac_f32_e32 v20, v22, v21
	s_or_b64 exec, exec, s[16:17]
	v_cmp_gt_u32_e64 s[12:13], 16, v5
	s_and_saveexec_b64 s[16:17], s[12:13]
	s_cbranch_execnz .LBB14_851
	s_branch .LBB14_852
.LBB14_1212:
	ds_read_b32 v20, v19 offset:3360
	ds_read_b32 v21, v18 offset:3124
	s_waitcnt lgkmcnt(0)
	v_fmac_f32_e32 v17, v20, v21
	s_or_b64 exec, exec, s[12:13]
	v_cmp_gt_u32_e64 s[10:11], 8, v5
	s_and_saveexec_b64 s[12:13], s[10:11]
	s_cbranch_execz .LBB14_940
.LBB14_1213:
	ds_read_b32 v19, v19 offset:3616
	ds_read_b32 v18, v18 offset:3128
	s_waitcnt lgkmcnt(0)
	v_fmac_f32_e32 v17, v19, v18
	s_or_b64 exec, exec, s[12:13]
	v_cmp_gt_u32_e64 s[10:11], 4, v5
	s_and_saveexec_b64 s[12:13], s[10:11]
	s_cbranch_execnz .LBB14_941
	s_branch .LBB14_942
.LBB14_1214:
	ds_read_b32 v20, v19 offset:2304
	ds_read_b32 v21, v18 offset:2084
	s_waitcnt lgkmcnt(0)
	v_fmac_f32_e32 v17, v20, v21
	s_or_b64 exec, exec, s[12:13]
	v_cmp_gt_u32_e64 s[10:11], 48, v5
	s_and_saveexec_b64 s[12:13], s[10:11]
	s_cbranch_execz .LBB14_982
.LBB14_1215:
	ds_read_b32 v20, v19 offset:2560
	ds_read_b32 v21, v18 offset:2088
	s_waitcnt lgkmcnt(0)
	v_fmac_f32_e32 v17, v20, v21
	s_or_b64 exec, exec, s[12:13]
	v_cmp_gt_u32_e64 s[10:11], 40, v5
	s_and_saveexec_b64 s[12:13], s[10:11]
	s_cbranch_execz .LBB14_983
.LBB14_1216:
	ds_read_b32 v20, v19 offset:2816
	ds_read_b32 v21, v18 offset:2092
	s_waitcnt lgkmcnt(0)
	v_fmac_f32_e32 v17, v20, v21
	s_or_b64 exec, exec, s[12:13]
	v_cmp_gt_u32_e64 s[10:11], 32, v5
	s_and_saveexec_b64 s[12:13], s[10:11]
	s_cbranch_execz .LBB14_984
.LBB14_1217:
	ds_read_b32 v20, v19 offset:3072
	ds_read_b32 v21, v18 offset:2096
	s_waitcnt lgkmcnt(0)
	v_fmac_f32_e32 v17, v20, v21
	s_or_b64 exec, exec, s[12:13]
	v_cmp_gt_u32_e64 s[10:11], 24, v5
	s_and_saveexec_b64 s[12:13], s[10:11]
	s_cbranch_execz .LBB14_985
.LBB14_1218:
	ds_read_b32 v20, v19 offset:3328
	ds_read_b32 v21, v18 offset:2100
	s_waitcnt lgkmcnt(0)
	v_fmac_f32_e32 v17, v20, v21
	s_or_b64 exec, exec, s[12:13]
	s_and_saveexec_b64 s[10:11], s[18:19]
	s_cbranch_execz .LBB14_986
.LBB14_1219:
	ds_read_b32 v19, v19 offset:3584
	ds_read_b32 v18, v18 offset:2104
	s_waitcnt lgkmcnt(0)
	v_fmac_f32_e32 v17, v19, v18
	s_or_b64 exec, exec, s[10:11]
	v_cmp_gt_u32_e64 s[10:11], 8, v5
	s_and_saveexec_b64 s[12:13], s[10:11]
	s_cbranch_execnz .LBB14_987
	s_branch .LBB14_988
.LBB14_1220:
	ds_read_b32 v17, v16 offset:1280
	ds_read_b32 v18, v15 offset:1044
	s_waitcnt lgkmcnt(0)
	v_fmac_f32_e32 v14, v17, v18
	s_or_b64 exec, exec, s[10:11]
	v_cmp_gt_u32_e64 s[8:9], 8, v5
	s_and_saveexec_b64 s[10:11], s[8:9]
	s_cbranch_execz .LBB14_1044
.LBB14_1221:
	ds_read_b32 v16, v16 offset:1536
	ds_read_b32 v15, v15 offset:1048
	s_waitcnt lgkmcnt(0)
	v_fmac_f32_e32 v14, v16, v15
	s_or_b64 exec, exec, s[10:11]
	v_cmp_gt_u32_e64 s[8:9], 4, v5
	s_and_saveexec_b64 s[10:11], s[8:9]
	s_cbranch_execnz .LBB14_1045
	s_branch .LBB14_1046
	.section	.rodata,"a",@progbits
	.p2align	6, 0x0
	.amdhsa_kernel _ZL19rocblas_trsv_deviceILi64ELi16ELb0ELb1ELb0ELb1EffPKfPfEviT7_lllT6_T8_lllPii
		.amdhsa_group_segment_fixed_size 20740
		.amdhsa_private_segment_fixed_size 0
		.amdhsa_kernarg_size 352
		.amdhsa_user_sgpr_count 6
		.amdhsa_user_sgpr_private_segment_buffer 1
		.amdhsa_user_sgpr_dispatch_ptr 0
		.amdhsa_user_sgpr_queue_ptr 0
		.amdhsa_user_sgpr_kernarg_segment_ptr 1
		.amdhsa_user_sgpr_dispatch_id 0
		.amdhsa_user_sgpr_flat_scratch_init 0
		.amdhsa_user_sgpr_private_segment_size 0
		.amdhsa_uses_dynamic_stack 0
		.amdhsa_system_sgpr_private_segment_wavefront_offset 0
		.amdhsa_system_sgpr_workgroup_id_x 1
		.amdhsa_system_sgpr_workgroup_id_y 0
		.amdhsa_system_sgpr_workgroup_id_z 1
		.amdhsa_system_sgpr_workgroup_info 0
		.amdhsa_system_vgpr_workitem_id 1
		.amdhsa_next_free_vgpr 29
		.amdhsa_next_free_sgpr 96
		.amdhsa_reserve_vcc 1
		.amdhsa_reserve_flat_scratch 0
		.amdhsa_float_round_mode_32 0
		.amdhsa_float_round_mode_16_64 0
		.amdhsa_float_denorm_mode_32 3
		.amdhsa_float_denorm_mode_16_64 3
		.amdhsa_dx10_clamp 1
		.amdhsa_ieee_mode 1
		.amdhsa_fp16_overflow 0
		.amdhsa_exception_fp_ieee_invalid_op 0
		.amdhsa_exception_fp_denorm_src 0
		.amdhsa_exception_fp_ieee_div_zero 0
		.amdhsa_exception_fp_ieee_overflow 0
		.amdhsa_exception_fp_ieee_underflow 0
		.amdhsa_exception_fp_ieee_inexact 0
		.amdhsa_exception_int_div_zero 0
	.end_amdhsa_kernel
	.section	.text._ZL19rocblas_trsv_deviceILi64ELi16ELb0ELb1ELb0ELb1EffPKfPfEviT7_lllT6_T8_lllPii,"axG",@progbits,_ZL19rocblas_trsv_deviceILi64ELi16ELb0ELb1ELb0ELb1EffPKfPfEviT7_lllT6_T8_lllPii,comdat
.Lfunc_end14:
	.size	_ZL19rocblas_trsv_deviceILi64ELi16ELb0ELb1ELb0ELb1EffPKfPfEviT7_lllT6_T8_lllPii, .Lfunc_end14-_ZL19rocblas_trsv_deviceILi64ELi16ELb0ELb1ELb0ELb1EffPKfPfEviT7_lllT6_T8_lllPii
                                        ; -- End function
	.set _ZL19rocblas_trsv_deviceILi64ELi16ELb0ELb1ELb0ELb1EffPKfPfEviT7_lllT6_T8_lllPii.num_vgpr, 29
	.set _ZL19rocblas_trsv_deviceILi64ELi16ELb0ELb1ELb0ELb1EffPKfPfEviT7_lllT6_T8_lllPii.num_agpr, 0
	.set _ZL19rocblas_trsv_deviceILi64ELi16ELb0ELb1ELb0ELb1EffPKfPfEviT7_lllT6_T8_lllPii.numbered_sgpr, 96
	.set _ZL19rocblas_trsv_deviceILi64ELi16ELb0ELb1ELb0ELb1EffPKfPfEviT7_lllT6_T8_lllPii.num_named_barrier, 0
	.set _ZL19rocblas_trsv_deviceILi64ELi16ELb0ELb1ELb0ELb1EffPKfPfEviT7_lllT6_T8_lllPii.private_seg_size, 0
	.set _ZL19rocblas_trsv_deviceILi64ELi16ELb0ELb1ELb0ELb1EffPKfPfEviT7_lllT6_T8_lllPii.uses_vcc, 1
	.set _ZL19rocblas_trsv_deviceILi64ELi16ELb0ELb1ELb0ELb1EffPKfPfEviT7_lllT6_T8_lllPii.uses_flat_scratch, 0
	.set _ZL19rocblas_trsv_deviceILi64ELi16ELb0ELb1ELb0ELb1EffPKfPfEviT7_lllT6_T8_lllPii.has_dyn_sized_stack, 0
	.set _ZL19rocblas_trsv_deviceILi64ELi16ELb0ELb1ELb0ELb1EffPKfPfEviT7_lllT6_T8_lllPii.has_recursion, 0
	.set _ZL19rocblas_trsv_deviceILi64ELi16ELb0ELb1ELb0ELb1EffPKfPfEviT7_lllT6_T8_lllPii.has_indirect_call, 0
	.section	.AMDGPU.csdata,"",@progbits
; Kernel info:
; codeLenInByte = 34976
; TotalNumSgprs: 100
; NumVgprs: 29
; ScratchSize: 0
; MemoryBound: 0
; FloatMode: 240
; IeeeMode: 1
; LDSByteSize: 20740 bytes/workgroup (compile time only)
; SGPRBlocks: 12
; VGPRBlocks: 7
; NumSGPRsForWavesPerEU: 100
; NumVGPRsForWavesPerEU: 29
; Occupancy: 8
; WaveLimiterHint : 0
; COMPUTE_PGM_RSRC2:SCRATCH_EN: 0
; COMPUTE_PGM_RSRC2:USER_SGPR: 6
; COMPUTE_PGM_RSRC2:TRAP_HANDLER: 0
; COMPUTE_PGM_RSRC2:TGID_X_EN: 1
; COMPUTE_PGM_RSRC2:TGID_Y_EN: 0
; COMPUTE_PGM_RSRC2:TGID_Z_EN: 1
; COMPUTE_PGM_RSRC2:TIDIG_COMP_CNT: 1
	.section	.text._ZL19rocblas_trsv_deviceILi64ELi16ELb0ELb1ELb1ELb1EffPKfPfEviT7_lllT6_T8_lllPii,"axG",@progbits,_ZL19rocblas_trsv_deviceILi64ELi16ELb0ELb1ELb1ELb1EffPKfPfEviT7_lllT6_T8_lllPii,comdat
	.globl	_ZL19rocblas_trsv_deviceILi64ELi16ELb0ELb1ELb1ELb1EffPKfPfEviT7_lllT6_T8_lllPii ; -- Begin function _ZL19rocblas_trsv_deviceILi64ELi16ELb0ELb1ELb1ELb1EffPKfPfEviT7_lllT6_T8_lllPii
	.p2align	8
	.type	_ZL19rocblas_trsv_deviceILi64ELi16ELb0ELb1ELb1ELb1EffPKfPfEviT7_lllT6_T8_lllPii,@function
_ZL19rocblas_trsv_deviceILi64ELi16ELb0ELb1ELb1ELb1EffPKfPfEviT7_lllT6_T8_lllPii: ; @_ZL19rocblas_trsv_deviceILi64ELi16ELb0ELb1ELb1ELb1EffPKfPfEviT7_lllT6_T8_lllPii
; %bb.0:
	s_load_dwordx8 s[20:27], s[4:5], 0x8
	s_load_dword s33, s[4:5], 0x0
	s_mov_b32 s28, s7
	s_mov_b32 s29, 0
	s_waitcnt lgkmcnt(0)
	s_mul_i32 s0, s27, s7
	s_mul_hi_u32 s1, s26, s7
	s_add_i32 s1, s1, s0
	s_mul_i32 s0, s26, s7
	s_lshl_b64 s[0:1], s[0:1], 2
	s_add_u32 s2, s20, s0
	s_load_dword s20, s[4:5], 0x6c
	s_addc_u32 s3, s21, s1
	s_lshl_b64 s[0:1], s[22:23], 2
	s_add_u32 s94, s2, s0
	s_addc_u32 s95, s3, s1
	s_cmp_eq_u32 s6, 0
	s_cbranch_scc1 .LBB15_10
; %bb.1:
	s_lshl_b32 s2, s6, 6
	v_add_u32_e32 v6, s2, v0
	v_ashrrev_i32_e32 v2, 31, v6
	v_mul_lo_u32 v7, s24, v2
	v_mul_lo_u32 v8, s25, v6
	v_mad_u64_u32 v[4:5], s[0:1], s24, v6, 0
	v_add_u32_e32 v2, s2, v1
	v_subrev_u32_e32 v2, 64, v2
	v_add3_u32 v5, v5, v7, v8
	v_lshlrev_b64 v[4:5], 2, v[4:5]
	v_ashrrev_i32_e32 v3, 31, v2
	v_cmp_gt_i32_e32 vcc, s33, v6
	v_mov_b32_e32 v6, s95
	v_add_co_u32_e64 v7, s[0:1], s94, v4
	v_lshlrev_b64 v[3:4], 2, v[2:3]
	v_addc_co_u32_e64 v5, s[0:1], v6, v5, s[0:1]
	v_add_co_u32_e64 v3, s[0:1], v7, v3
	v_addc_co_u32_e64 v4, s[0:1], v5, v4, s[0:1]
	v_cmp_gt_i32_e64 s[0:1], s33, v2
	s_and_b64 s[2:3], s[0:1], vcc
	v_mov_b32_e32 v7, 0
	v_mov_b32_e32 v8, 0
	s_waitcnt lgkmcnt(0)
	s_barrier
	s_and_saveexec_b64 s[0:1], s[2:3]
	s_cbranch_execz .LBB15_3
; %bb.2:
	global_load_dword v8, v[3:4], off
.LBB15_3:
	s_or_b64 exec, exec, s[0:1]
	v_add_u32_e32 v5, 16, v2
	v_cmp_gt_i32_e64 s[0:1], s33, v5
	s_and_b64 s[2:3], s[0:1], vcc
	s_waitcnt vmcnt(0)
	s_barrier
	s_and_saveexec_b64 s[0:1], s[2:3]
	s_cbranch_execz .LBB15_5
; %bb.4:
	global_load_dword v7, v[3:4], off offset:64
.LBB15_5:
	s_or_b64 exec, exec, s[0:1]
	v_add_u32_e32 v5, 32, v2
	v_cmp_gt_i32_e64 s[0:1], s33, v5
	s_and_b64 s[2:3], s[0:1], vcc
	v_mov_b32_e32 v9, 0
	v_mov_b32_e32 v10, 0
	s_waitcnt vmcnt(0)
	s_barrier
	s_and_saveexec_b64 s[0:1], s[2:3]
	s_cbranch_execz .LBB15_7
; %bb.6:
	global_load_dword v10, v[3:4], off offset:128
.LBB15_7:
	s_or_b64 exec, exec, s[0:1]
	v_add_u32_e32 v2, 48, v2
	v_cmp_gt_i32_e64 s[0:1], s33, v2
	s_and_b64 s[2:3], s[0:1], vcc
	s_waitcnt vmcnt(0)
	s_barrier
	s_and_saveexec_b64 s[0:1], s[2:3]
	s_cbranch_execz .LBB15_9
; %bb.8:
	global_load_dword v9, v[3:4], off offset:192
.LBB15_9:
	s_or_b64 exec, exec, s[0:1]
	s_branch .LBB15_11
.LBB15_10:
                                        ; implicit-def: $vgpr9
                                        ; implicit-def: $vgpr10
                                        ; implicit-def: $vgpr7
                                        ; implicit-def: $vgpr8
.LBB15_11:
	s_ashr_i32 s0, s33, 31
	s_lshr_b32 s0, s0, 26
	s_add_i32 s0, s33, s0
	s_andn2_b32 s0, s0, 63
	s_sub_i32 s7, s33, s0
	s_add_i32 s0, s33, -1
	s_ashr_i32 s1, s0, 31
	s_lshr_b32 s1, s1, 26
	s_add_i32 s0, s0, s1
	s_ashr_i32 s0, s0, 6
	s_cmp_eq_u32 s0, s6
	s_cselect_b64 s[0:1], -1, 0
	s_cmp_lg_u32 s7, 0
	s_cselect_b64 s[2:3], -1, 0
	s_and_b64 s[22:23], s[2:3], s[0:1]
	s_cmp_lt_i32 s6, 5
	s_cselect_b64 s[2:3], -1, 0
	s_mov_b64 s[12:13], -1
	s_or_b64 s[0:1], s[2:3], s[22:23]
	v_lshlrev_b32_e32 v4, 6, v0
	s_and_b64 vcc, exec, s[22:23]
	v_cmp_le_u32_e64 s[8:9], v1, v0
	v_lshlrev_b32_e32 v6, 2, v0
	s_cbranch_vccnz .LBB15_27
; %bb.12:
	s_add_u32 s10, s24, 1
	s_addc_u32 s11, s25, 0
	s_lshl_b32 s12, s6, 6
	s_ashr_i32 s13, s12, 31
	s_mul_hi_u32 s14, s10, s12
	s_mul_i32 s13, s10, s13
	s_add_i32 s13, s14, s13
	s_mul_i32 s11, s11, s12
	s_add_i32 s11, s13, s11
	s_mul_i32 s10, s10, s12
	s_lshl_b64 s[10:11], s[10:11], 2
	s_add_u32 s10, s94, s10
	s_addc_u32 s11, s95, s11
	v_lshlrev_b32_e32 v2, 2, v0
	v_mov_b32_e32 v3, s11
	v_add_co_u32_e32 v2, vcc, s10, v2
	v_mov_b32_e32 v5, 0
	v_addc_co_u32_e32 v3, vcc, 0, v3, vcc
	s_mov_b64 s[10:11], 0
	s_and_saveexec_b64 s[12:13], s[8:9]
	s_xor_b64 s[8:9], exec, s[12:13]
	s_cbranch_execnz .LBB15_1149
; %bb.13:
	s_andn2_saveexec_b64 s[8:9], s[8:9]
	s_cbranch_execnz .LBB15_1150
.LBB15_14:
	s_or_b64 exec, exec, s[8:9]
	s_and_saveexec_b64 s[8:9], s[10:11]
.LBB15_15:
	v_add_u32_e32 v11, v1, v4
	v_lshl_add_u32 v12, v1, 6, v0
	v_cndmask_b32_e64 v11, v12, v11, s[2:3]
	v_lshlrev_b32_e32 v11, 2, v11
	ds_write_b32 v11, v5
.LBB15_16:
	s_or_b64 exec, exec, s[8:9]
	v_add_u32_e32 v5, 16, v1
	v_cmp_le_u32_e32 vcc, v5, v0
	s_mov_b64 s[2:3], 0
	s_and_saveexec_b64 s[8:9], vcc
	s_xor_b64 s[8:9], exec, s[8:9]
	s_cbranch_execnz .LBB15_1151
; %bb.17:
	s_or_saveexec_b64 s[8:9], s[8:9]
	v_mov_b32_e32 v11, 0
	s_xor_b64 exec, exec, s[8:9]
	s_cbranch_execnz .LBB15_1152
.LBB15_18:
	s_or_b64 exec, exec, s[8:9]
	s_and_saveexec_b64 s[8:9], s[2:3]
.LBB15_19:
	v_add_u32_e32 v12, v5, v4
	v_lshl_add_u32 v5, v5, 6, v0
	v_cndmask_b32_e64 v5, v5, v12, s[0:1]
	v_lshlrev_b32_e32 v5, 2, v5
	ds_write_b32 v5, v11
.LBB15_20:
	s_or_b64 exec, exec, s[8:9]
	v_add_u32_e32 v5, 32, v1
	v_cmp_le_u32_e32 vcc, v5, v0
	s_mov_b64 s[2:3], 0
	s_and_saveexec_b64 s[8:9], vcc
	s_xor_b64 s[8:9], exec, s[8:9]
	s_cbranch_execnz .LBB15_1153
; %bb.21:
	s_or_saveexec_b64 s[8:9], s[8:9]
	v_mov_b32_e32 v11, 0
	s_xor_b64 exec, exec, s[8:9]
	s_cbranch_execnz .LBB15_1154
.LBB15_22:
	s_or_b64 exec, exec, s[8:9]
	s_and_saveexec_b64 s[8:9], s[2:3]
.LBB15_23:
	v_add_u32_e32 v12, v5, v4
	v_lshl_add_u32 v5, v5, 6, v0
	v_cndmask_b32_e64 v5, v5, v12, s[0:1]
	v_lshlrev_b32_e32 v5, 2, v5
	ds_write_b32 v5, v11
.LBB15_24:
	s_or_b64 exec, exec, s[8:9]
	v_add_u32_e32 v5, 48, v1
	v_add_u32_e32 v11, v5, v4
	v_lshl_add_u32 v12, v5, 6, v0
	v_cmp_le_u32_e32 vcc, v5, v0
	s_mov_b64 s[2:3], -1
	s_mov_b64 s[12:13], 0
	s_mov_b64 s[10:11], 0
	s_and_saveexec_b64 s[8:9], vcc
	s_xor_b64 s[8:9], exec, s[8:9]
; %bb.25:
	v_or_b32_e32 v13, v5, v0
	v_cmp_gt_u32_e32 vcc, 64, v13
	s_and_b64 s[10:11], vcc, exec
	s_xor_b64 s[2:3], exec, -1
; %bb.26:
	s_or_b64 exec, exec, s[8:9]
	v_cndmask_b32_e64 v11, v12, v11, s[0:1]
	s_and_b64 vcc, exec, s[12:13]
	s_cbranch_vccnz .LBB15_28
	s_branch .LBB15_43
.LBB15_27:
	s_mov_b64 s[2:3], 0
	s_mov_b64 s[10:11], 0
                                        ; implicit-def: $vgpr11
                                        ; implicit-def: $vgpr2_vgpr3
                                        ; implicit-def: $vgpr5
	s_and_b64 vcc, exec, s[12:13]
	s_cbranch_vccz .LBB15_43
.LBB15_28:
	s_add_u32 s2, s24, 1
	s_addc_u32 s3, s25, 0
	s_lshl_b32 s8, s6, 6
	s_ashr_i32 s9, s8, 31
	s_mul_hi_u32 s12, s2, s8
	s_mul_i32 s9, s2, s9
	s_add_i32 s9, s12, s9
	s_mul_i32 s3, s3, s8
	s_add_i32 s3, s9, s3
	s_mul_i32 s2, s2, s8
	s_lshl_b64 s[2:3], s[2:3], 2
	s_add_u32 s2, s94, s2
	s_addc_u32 s3, s95, s3
	v_lshlrev_b32_e32 v2, 2, v0
	v_mov_b32_e32 v3, s3
	v_add_co_u32_e64 v2, s[2:3], s2, v2
	v_addc_co_u32_e64 v3, s[2:3], 0, v3, s[2:3]
	v_max_i32_e32 v11, v1, v0
	v_cmp_le_u32_e64 s[2:3], v1, v0
	v_cmp_le_i32_e64 s[8:9], s7, v11
	v_cmp_gt_i32_e32 vcc, s7, v0
	v_mov_b32_e32 v5, 0
	s_or_b64 s[2:3], s[8:9], s[2:3]
	s_mov_b64 s[8:9], 0
	s_and_saveexec_b64 s[12:13], s[2:3]
	s_xor_b64 s[12:13], exec, s[12:13]
	s_cbranch_execnz .LBB15_1155
; %bb.29:
	s_andn2_saveexec_b64 s[12:13], s[12:13]
	s_cbranch_execnz .LBB15_1156
.LBB15_30:
	s_or_b64 exec, exec, s[12:13]
	s_and_saveexec_b64 s[2:3], s[8:9]
.LBB15_31:
	v_lshlrev_b32_e32 v11, 2, v4
	v_lshl_add_u32 v11, v1, 2, v11
	ds_write_b32 v11, v5
.LBB15_32:
	s_or_b64 exec, exec, s[2:3]
	v_add_u32_e32 v5, 16, v1
	v_cmp_gt_u32_e64 s[2:3], v5, v0
	v_cmp_gt_i32_e64 s[8:9], s7, v5
	s_and_b64 s[2:3], s[2:3], s[8:9]
	s_and_b64 s[2:3], s[2:3], vcc
	s_xor_b64 s[2:3], s[2:3], -1
	s_mov_b64 s[8:9], 0
	s_and_saveexec_b64 s[12:13], s[2:3]
	s_xor_b64 s[12:13], exec, s[12:13]
	s_cbranch_execnz .LBB15_1157
; %bb.33:
	s_or_saveexec_b64 s[12:13], s[12:13]
	v_mov_b32_e32 v11, 0
	s_xor_b64 exec, exec, s[12:13]
	s_cbranch_execnz .LBB15_1158
.LBB15_34:
	s_or_b64 exec, exec, s[12:13]
	s_and_saveexec_b64 s[2:3], s[8:9]
.LBB15_35:
	v_add_u32_e32 v12, v5, v4
	v_lshl_add_u32 v5, v5, 6, v0
	v_cndmask_b32_e64 v5, v5, v12, s[0:1]
	v_lshlrev_b32_e32 v5, 2, v5
	ds_write_b32 v5, v11
.LBB15_36:
	s_or_b64 exec, exec, s[2:3]
	v_add_u32_e32 v5, 32, v1
	v_cmp_gt_u32_e64 s[2:3], v5, v0
	v_cmp_gt_i32_e64 s[8:9], s7, v5
	s_and_b64 s[2:3], s[2:3], s[8:9]
	s_and_b64 s[2:3], s[2:3], vcc
	s_xor_b64 s[2:3], s[2:3], -1
	s_mov_b64 s[8:9], 0
	s_and_saveexec_b64 s[12:13], s[2:3]
	s_xor_b64 s[12:13], exec, s[12:13]
	s_cbranch_execnz .LBB15_1159
; %bb.37:
	s_or_saveexec_b64 s[12:13], s[12:13]
	v_mov_b32_e32 v11, 0
	s_xor_b64 exec, exec, s[12:13]
	s_cbranch_execnz .LBB15_1160
.LBB15_38:
	s_or_b64 exec, exec, s[12:13]
	s_and_saveexec_b64 s[2:3], s[8:9]
.LBB15_39:
	v_add_u32_e32 v12, v5, v4
	v_lshl_add_u32 v5, v5, 6, v0
	v_cndmask_b32_e64 v5, v5, v12, s[0:1]
	v_lshlrev_b32_e32 v5, 2, v5
	ds_write_b32 v5, v11
.LBB15_40:
	s_or_b64 exec, exec, s[2:3]
	v_add_u32_e32 v5, 48, v1
	v_cmp_gt_u32_e64 s[2:3], v5, v0
	v_cmp_gt_i32_e64 s[8:9], s7, v5
	s_and_b64 s[2:3], s[2:3], s[8:9]
	s_and_b64 s[8:9], s[2:3], vcc
	v_add_u32_e32 v4, v5, v4
	v_lshl_add_u32 v11, v5, 6, v0
	s_mov_b64 s[2:3], -1
	s_xor_b64 s[12:13], s[8:9], -1
	s_and_saveexec_b64 s[8:9], s[12:13]
; %bb.41:
	v_or_b32_e32 v12, v5, v0
	v_cmp_gt_u32_e32 vcc, 64, v12
	s_andn2_b64 s[2:3], s[10:11], exec
	s_and_b64 s[10:11], vcc, exec
	s_or_b64 s[10:11], s[2:3], s[10:11]
	s_xor_b64 s[2:3], exec, -1
; %bb.42:
	s_or_b64 exec, exec, s[8:9]
	v_cndmask_b32_e64 v11, v11, v4, s[0:1]
.LBB15_43:
	v_mov_b32_e32 v4, 0
	s_and_saveexec_b64 s[8:9], s[2:3]
	s_cbranch_execnz .LBB15_1127
; %bb.44:
	s_or_b64 exec, exec, s[8:9]
	s_xor_b64 s[0:1], s[0:1], -1
	s_and_saveexec_b64 s[2:3], s[10:11]
.LBB15_45:
	v_lshlrev_b32_e32 v2, 2, v11
	ds_write_b32 v2, v4
.LBB15_46:
	s_or_b64 exec, exec, s[2:3]
	v_cndmask_b32_e64 v2, 0, 1, s[0:1]
	v_cmp_ne_u32_e64 s[38:39], 1, v2
	s_andn2_b64 vcc, exec, s[0:1]
	s_waitcnt vmcnt(0) lgkmcnt(0)
	s_barrier
	s_cbranch_vccnz .LBB15_1084
; %bb.47:
	v_or_b32_e32 v2, v0, v1
	v_cmp_eq_u32_e32 vcc, 0, v2
	s_and_saveexec_b64 s[0:1], vcc
	s_cbranch_execz .LBB15_49
; %bb.48:
	v_mov_b32_e32 v4, 0
	ds_read_b32 v3, v4 offset:16376
	v_mov_b32_e32 v2, 1.0
	ds_write_b32 v4, v2 offset:16380
	s_waitcnt lgkmcnt(1)
	ds_write_b64 v4, v[2:3] offset:16120
.LBB15_49:
	s_or_b64 exec, exec, s[0:1]
	v_lshlrev_b32_e32 v3, 6, v1
	v_add_u32_e32 v5, v3, v0
	v_and_b32_e32 v4, v3, v0
	v_xor_b32_e32 v3, v3, v0
	v_lshrrev_b16_e32 v3, 1, v3
	v_add_u16_e32 v4, v4, v3
	v_and_b32_e32 v2, 1, v0
	v_sub_u32_e32 v3, 1, v4
	v_cmp_lt_u32_e64 s[8:9], 3, v5
	v_cmp_gt_u32_e64 s[2:3], 4, v5
	v_mov_b32_e32 v11, 0
	s_waitcnt lgkmcnt(0)
	s_barrier
	buffer_wbinvl1_vol
	s_and_saveexec_b64 s[0:1], s[2:3]
	s_cbranch_execz .LBB15_53
; %bb.50:
	v_lshlrev_b32_e32 v11, 8, v3
	v_lshlrev_b32_e32 v12, 2, v2
	ds_read_b32 v13, v12 offset:16112
	ds_read_b32 v11, v11 offset:16120
	v_mov_b32_e32 v12, 0
	v_cmp_gt_u32_e64 s[10:11], 2, v5
	s_waitcnt lgkmcnt(0)
	v_fma_f32 v11, v13, v11, 0
	s_and_saveexec_b64 s[12:13], s[10:11]
	s_cbranch_execz .LBB15_52
; %bb.51:
	v_lshlrev_b32_e32 v13, 2, v0
	ds_read_b32 v13, v13 offset:16368
	ds_read_b32 v12, v12 offset:16380
	s_waitcnt lgkmcnt(0)
	v_fmac_f32_e32 v11, v13, v12
.LBB15_52:
	s_or_b64 exec, exec, s[12:13]
.LBB15_53:
	s_or_b64 exec, exec, s[0:1]
	v_mov_b32_e32 v12, 0x4000
	v_cmp_ne_u32_e64 s[10:11], 0, v2
	s_xor_b64 s[0:1], s[8:9], -1
	v_lshl_add_u32 v4, v4, 2, v12
	s_and_b64 s[30:31], s[10:11], s[0:1]
	s_and_saveexec_b64 s[8:9], s[30:31]
; %bb.54:
	v_xor_b32_e32 v12, 0x80000000, v11
	ds_write_b32 v4, v12
; %bb.55:
	s_or_b64 exec, exec, s[8:9]
	v_cmp_eq_u32_e64 s[8:9], 0, v2
	s_and_b64 s[26:27], s[8:9], s[0:1]
	s_waitcnt lgkmcnt(0)
	s_barrier
	s_and_saveexec_b64 s[0:1], s[26:27]
	s_cbranch_execz .LBB15_57
; %bb.56:
	v_mov_b32_e32 v12, 0
	ds_read_b32 v12, v12 offset:15856
	ds_read_b32 v13, v4
	s_waitcnt lgkmcnt(0)
	v_fma_f32 v11, -v12, v13, v11
.LBB15_57:
	s_or_b64 exec, exec, s[0:1]
	s_barrier
	s_and_saveexec_b64 s[0:1], s[26:27]
; %bb.58:
	v_xor_b32_e32 v12, 0x80000000, v11
	ds_write_b32 v4, v12
; %bb.59:
	s_or_b64 exec, exec, s[0:1]
	s_waitcnt lgkmcnt(0)
	s_barrier
	s_barrier
	s_and_saveexec_b64 s[0:1], s[2:3]
; %bb.60:
	v_lshlrev_b32_e32 v12, 2, v2
	v_lshl_or_b32 v12, v3, 8, v12
	ds_write_b32 v12, v11 offset:16112
; %bb.61:
	s_or_b64 exec, exec, s[0:1]
	v_cmp_eq_u32_e64 s[12:13], 0, v1
	v_cmp_gt_u32_e64 s[8:9], 2, v0
	s_and_b64 s[34:35], s[12:13], s[8:9]
	s_waitcnt lgkmcnt(0)
	s_barrier
	s_barrier
	s_and_saveexec_b64 s[0:1], s[34:35]
	s_cbranch_execz .LBB15_63
; %bb.62:
	v_lshlrev_b32_e32 v11, 2, v0
	s_movk_i32 s8, 0xfc
	v_mad_u32_u24 v12, v0, s8, v11
	ds_read_b32 v13, v12 offset:16112
	s_waitcnt lgkmcnt(0)
	ds_write_b32 v11, v13 offset:15608
	ds_read_b32 v12, v12 offset:16116
	s_waitcnt lgkmcnt(0)
	ds_write_b32 v11, v12 offset:15864
.LBB15_63:
	s_or_b64 exec, exec, s[0:1]
	s_waitcnt lgkmcnt(0)
	s_barrier
	s_and_saveexec_b64 s[0:1], vcc
	s_cbranch_execz .LBB15_65
; %bb.64:
	v_mov_b32_e32 v13, 0
	ds_read_b32 v12, v13 offset:15856
	v_mov_b32_e32 v11, 1.0
	ds_write_b32 v13, v11 offset:15860
	s_waitcnt lgkmcnt(1)
	ds_write_b64 v13, v[11:12] offset:15600
.LBB15_65:
	s_or_b64 exec, exec, s[0:1]
	v_lshrrev_b32_e32 v13, 2, v5
	v_and_b32_e32 v11, 3, v0
	v_sub_u32_e32 v12, 3, v13
	v_cmp_lt_u32_e64 s[8:9], 15, v5
	v_cmp_gt_u32_e64 s[18:19], 16, v5
	v_mov_b32_e32 v14, 0
	s_waitcnt lgkmcnt(0)
	s_barrier
	buffer_wbinvl1_vol
	s_and_saveexec_b64 s[0:1], s[18:19]
	s_cbranch_execz .LBB15_71
; %bb.66:
	v_lshlrev_b32_e32 v16, 2, v11
	v_lshlrev_b32_e32 v15, 8, v12
	ds_read_b32 v14, v16 offset:15584
	ds_read_b32 v17, v15 offset:15600
	v_cmp_gt_u32_e64 s[10:11], 12, v5
	s_waitcnt lgkmcnt(0)
	v_fma_f32 v14, v14, v17, 0
	s_and_saveexec_b64 s[14:15], s[10:11]
	s_cbranch_execnz .LBB15_1172
; %bb.67:
	s_or_b64 exec, exec, s[14:15]
	v_cmp_gt_u32_e64 s[10:11], 8, v5
	s_and_saveexec_b64 s[14:15], s[10:11]
	s_cbranch_execnz .LBB15_1173
.LBB15_68:
	s_or_b64 exec, exec, s[14:15]
	v_cmp_gt_u32_e64 s[10:11], 4, v5
	s_and_saveexec_b64 s[14:15], s[10:11]
	s_cbranch_execz .LBB15_70
.LBB15_69:
	v_lshlrev_b32_e32 v15, 2, v0
	v_mov_b32_e32 v16, 0
	ds_read_b32 v15, v15 offset:16352
	ds_read_b32 v16, v16 offset:16380
	s_waitcnt lgkmcnt(0)
	v_fmac_f32_e32 v14, v15, v16
.LBB15_70:
	s_or_b64 exec, exec, s[14:15]
.LBB15_71:
                                        ; implicit-def: $vgpr28 : SGPR spill to VGPR lane
	v_writelane_b32 v28, s38, 0
	v_writelane_b32 v28, s39, 1
	s_or_b64 exec, exec, s[0:1]
	v_mov_b32_e32 v15, 0x4000
	v_cmp_eq_u32_e64 s[10:11], 3, v11
	s_xor_b64 s[0:1], s[8:9], -1
	v_lshl_add_u32 v13, v13, 2, v15
	s_and_b64 s[38:39], s[10:11], s[0:1]
	s_and_saveexec_b64 s[8:9], s[38:39]
; %bb.72:
	v_xor_b32_e32 v15, 0x80000000, v14
	ds_write_b32 v13, v15
; %bb.73:
	s_or_b64 exec, exec, s[8:9]
	v_cmp_ne_u32_e64 s[8:9], 3, v11
	s_and_b64 s[40:41], s[8:9], s[0:1]
	s_waitcnt lgkmcnt(0)
	s_barrier
	s_and_saveexec_b64 s[8:9], s[40:41]
	s_cbranch_execz .LBB15_75
; %bb.74:
	v_lshlrev_b32_e32 v15, 2, v11
	ds_read_b32 v15, v15 offset:15328
	ds_read_b32 v16, v13
	s_waitcnt lgkmcnt(0)
	v_fma_f32 v14, -v15, v16, v14
.LBB15_75:
	s_or_b64 exec, exec, s[8:9]
	v_cmp_eq_u32_e64 s[8:9], 2, v11
	s_and_b64 s[42:43], s[8:9], s[0:1]
	s_barrier
	s_and_saveexec_b64 s[8:9], s[42:43]
; %bb.76:
	v_xor_b32_e32 v15, 0x80000000, v14
	ds_write_b32 v13, v15
; %bb.77:
	s_or_b64 exec, exec, s[8:9]
	v_cmp_gt_u32_e64 s[8:9], 2, v11
	s_and_b64 s[44:45], s[8:9], s[0:1]
	s_waitcnt lgkmcnt(0)
	s_barrier
	s_and_saveexec_b64 s[8:9], s[44:45]
	s_cbranch_execz .LBB15_79
; %bb.78:
	v_lshlrev_b32_e32 v15, 2, v11
	ds_read_b32 v15, v15 offset:15072
	ds_read_b32 v16, v13
	s_waitcnt lgkmcnt(0)
	v_fma_f32 v14, -v15, v16, v14
.LBB15_79:
	s_or_b64 exec, exec, s[8:9]
	v_cmp_eq_u32_e64 s[8:9], 1, v11
	s_and_b64 s[46:47], s[8:9], s[0:1]
	s_barrier
	s_and_saveexec_b64 s[8:9], s[46:47]
; %bb.80:
	v_xor_b32_e32 v15, 0x80000000, v14
	ds_write_b32 v13, v15
; %bb.81:
	s_or_b64 exec, exec, s[8:9]
	v_cmp_eq_u32_e64 s[8:9], 0, v11
	s_and_b64 s[36:37], s[8:9], s[0:1]
	s_waitcnt lgkmcnt(0)
	s_barrier
	s_and_saveexec_b64 s[0:1], s[36:37]
	s_cbranch_execz .LBB15_83
; %bb.82:
	v_mov_b32_e32 v15, 0
	ds_read_b32 v15, v15 offset:14816
	ds_read_b32 v16, v13
	s_waitcnt lgkmcnt(0)
	v_fma_f32 v14, -v15, v16, v14
.LBB15_83:
	s_or_b64 exec, exec, s[0:1]
	s_barrier
	s_and_saveexec_b64 s[0:1], s[36:37]
; %bb.84:
	v_xor_b32_e32 v15, 0x80000000, v14
	ds_write_b32 v13, v15
; %bb.85:
	s_or_b64 exec, exec, s[0:1]
	s_waitcnt lgkmcnt(0)
	s_barrier
	s_barrier
	s_and_saveexec_b64 s[0:1], s[18:19]
; %bb.86:
	v_lshlrev_b32_e32 v15, 2, v11
	v_lshl_or_b32 v15, v12, 8, v15
	ds_write_b32 v15, v14 offset:15584
; %bb.87:
	s_or_b64 exec, exec, s[0:1]
	v_cmp_gt_u32_e64 s[8:9], 4, v0
	s_and_b64 s[48:49], s[12:13], s[8:9]
	s_waitcnt lgkmcnt(0)
	s_barrier
	s_barrier
	s_and_saveexec_b64 s[0:1], s[48:49]
	s_cbranch_execz .LBB15_89
; %bb.88:
	v_lshlrev_b32_e32 v14, 8, v0
	ds_read_b32 v15, v14 offset:15584
	s_movk_i32 s8, 0xff04
	v_mad_i32_i24 v16, v0, s8, v14
	s_waitcnt lgkmcnt(0)
	ds_write_b32 v16, v15 offset:14576
	ds_read_b32 v15, v14 offset:15588
	s_waitcnt lgkmcnt(0)
	ds_write_b32 v16, v15 offset:14832
	ds_read_b32 v15, v14 offset:15592
	;; [unrolled: 3-line block ×3, first 2 shown]
	s_waitcnt lgkmcnt(0)
	ds_write_b32 v16, v14 offset:15344
.LBB15_89:
	s_or_b64 exec, exec, s[0:1]
	s_waitcnt lgkmcnt(0)
	s_barrier
	s_and_saveexec_b64 s[0:1], vcc
	s_cbranch_execz .LBB15_91
; %bb.90:
	v_mov_b32_e32 v16, 0
	ds_read_b32 v15, v16 offset:15336
	v_mov_b32_e32 v14, 1.0
	ds_write_b32 v16, v14 offset:15340
	s_waitcnt lgkmcnt(1)
	ds_write_b64 v16, v[14:15] offset:15080
.LBB15_91:
	s_or_b64 exec, exec, s[0:1]
	v_mov_b32_e32 v14, 0
	s_waitcnt lgkmcnt(0)
	s_barrier
	buffer_wbinvl1_vol
	s_and_saveexec_b64 s[0:1], s[2:3]
	s_cbranch_execz .LBB15_95
; %bb.92:
	v_lshlrev_b32_e32 v14, 8, v3
	v_lshlrev_b32_e32 v15, 2, v2
	ds_read_b32 v16, v15 offset:15072
	ds_read_b32 v14, v14 offset:15080
	v_mov_b32_e32 v15, 0
	v_cmp_gt_u32_e64 s[8:9], 2, v5
	s_waitcnt lgkmcnt(0)
	v_fma_f32 v14, v16, v14, 0
	s_and_saveexec_b64 s[10:11], s[8:9]
	s_cbranch_execz .LBB15_94
; %bb.93:
	v_lshlrev_b32_e32 v16, 2, v0
	ds_read_b32 v16, v16 offset:15328
	ds_read_b32 v15, v15 offset:15340
	s_waitcnt lgkmcnt(0)
	v_fmac_f32_e32 v14, v16, v15
.LBB15_94:
	s_or_b64 exec, exec, s[10:11]
.LBB15_95:
	s_or_b64 exec, exec, s[0:1]
	s_and_saveexec_b64 s[0:1], s[30:31]
; %bb.96:
	v_xor_b32_e32 v15, 0x80000000, v14
	ds_write_b32 v4, v15
; %bb.97:
	s_or_b64 exec, exec, s[0:1]
	s_waitcnt lgkmcnt(0)
	s_barrier
	s_and_saveexec_b64 s[0:1], s[26:27]
	s_cbranch_execz .LBB15_99
; %bb.98:
	v_mov_b32_e32 v15, 0
	ds_read_b32 v15, v15 offset:14816
	ds_read_b32 v16, v4
	s_waitcnt lgkmcnt(0)
	v_fma_f32 v14, -v15, v16, v14
.LBB15_99:
	s_or_b64 exec, exec, s[0:1]
	s_barrier
	s_and_saveexec_b64 s[0:1], s[26:27]
; %bb.100:
	v_xor_b32_e32 v15, 0x80000000, v14
	ds_write_b32 v4, v15
; %bb.101:
	s_or_b64 exec, exec, s[0:1]
	s_waitcnt lgkmcnt(0)
	s_barrier
	s_barrier
	s_and_saveexec_b64 s[0:1], s[2:3]
; %bb.102:
	v_lshlrev_b32_e32 v15, 2, v2
	v_lshl_or_b32 v15, v3, 8, v15
	ds_write_b32 v15, v14 offset:15072
; %bb.103:
	s_or_b64 exec, exec, s[0:1]
	s_waitcnt lgkmcnt(0)
	s_barrier
	s_barrier
	s_and_saveexec_b64 s[0:1], s[34:35]
	s_cbranch_execz .LBB15_105
; %bb.104:
	v_lshlrev_b32_e32 v14, 2, v0
	s_movk_i32 s8, 0xfc
	v_mad_u32_u24 v15, v0, s8, v14
	ds_read_b32 v16, v15 offset:15072
	s_waitcnt lgkmcnt(0)
	ds_write_b32 v14, v16 offset:14568
	ds_read_b32 v15, v15 offset:15076
	s_waitcnt lgkmcnt(0)
	ds_write_b32 v14, v15 offset:14824
.LBB15_105:
	s_or_b64 exec, exec, s[0:1]
	s_waitcnt lgkmcnt(0)
	s_barrier
	s_and_saveexec_b64 s[0:1], vcc
	s_cbranch_execz .LBB15_107
; %bb.106:
	v_mov_b32_e32 v16, 0
	ds_read_b32 v15, v16 offset:14816
	v_mov_b32_e32 v14, 1.0
	ds_write_b32 v16, v14 offset:14820
	s_waitcnt lgkmcnt(1)
	ds_write_b64 v16, v[14:15] offset:14560
.LBB15_107:
	s_or_b64 exec, exec, s[0:1]
	v_lshrrev_b32_e32 v16, 3, v5
	v_and_b32_e32 v14, 7, v0
	v_sub_u32_e32 v15, 7, v16
	v_cmp_lt_u32_e64 s[10:11], 63, v5
	v_cmp_gt_u32_e64 s[8:9], 64, v5
	v_mov_b32_e32 v17, 0
	s_waitcnt lgkmcnt(0)
	s_barrier
	buffer_wbinvl1_vol
	s_and_saveexec_b64 s[0:1], s[8:9]
	s_cbranch_execz .LBB15_117
; %bb.108:
	v_lshlrev_b32_e32 v19, 2, v14
	v_lshlrev_b32_e32 v18, 8, v15
	ds_read_b32 v17, v19 offset:14528
	ds_read_b32 v20, v18 offset:14560
	v_cmp_gt_u32_e64 s[14:15], 56, v5
	s_waitcnt lgkmcnt(0)
	v_fma_f32 v17, v17, v20, 0
	s_and_saveexec_b64 s[16:17], s[14:15]
	s_cbranch_execnz .LBB15_1174
; %bb.109:
	s_or_b64 exec, exec, s[16:17]
	v_cmp_gt_u32_e64 s[14:15], 48, v5
	s_and_saveexec_b64 s[16:17], s[14:15]
	s_cbranch_execnz .LBB15_1175
.LBB15_110:
	s_or_b64 exec, exec, s[16:17]
	v_cmp_gt_u32_e64 s[14:15], 40, v5
	s_and_saveexec_b64 s[16:17], s[14:15]
	s_cbranch_execnz .LBB15_1176
.LBB15_111:
	s_or_b64 exec, exec, s[16:17]
	v_cmp_gt_u32_e64 s[14:15], 32, v5
	s_and_saveexec_b64 s[16:17], s[14:15]
	s_cbranch_execnz .LBB15_1177
.LBB15_112:
	s_or_b64 exec, exec, s[16:17]
	v_cmp_gt_u32_e64 s[14:15], 24, v5
	s_and_saveexec_b64 s[16:17], s[14:15]
	s_cbranch_execnz .LBB15_1178
.LBB15_113:
	s_or_b64 exec, exec, s[16:17]
	s_and_saveexec_b64 s[14:15], s[18:19]
	s_cbranch_execnz .LBB15_1179
.LBB15_114:
	s_or_b64 exec, exec, s[14:15]
	v_cmp_gt_u32_e64 s[14:15], 8, v5
	s_and_saveexec_b64 s[16:17], s[14:15]
	s_cbranch_execz .LBB15_116
.LBB15_115:
	v_lshlrev_b32_e32 v18, 2, v0
	v_mov_b32_e32 v19, 0
	ds_read_b32 v18, v18 offset:16320
	ds_read_b32 v19, v19 offset:16380
	s_waitcnt lgkmcnt(0)
	v_fmac_f32_e32 v17, v18, v19
.LBB15_116:
	s_or_b64 exec, exec, s[16:17]
.LBB15_117:
	s_or_b64 exec, exec, s[0:1]
	v_mov_b32_e32 v18, 0x4000
	v_cmp_eq_u32_e64 s[14:15], 7, v14
	s_xor_b64 s[0:1], s[10:11], -1
	v_lshl_add_u32 v16, v16, 2, v18
	s_and_b64 s[50:51], s[14:15], s[0:1]
	s_and_saveexec_b64 s[10:11], s[50:51]
; %bb.118:
	v_xor_b32_e32 v18, 0x80000000, v17
	ds_write_b32 v16, v18
; %bb.119:
	s_or_b64 exec, exec, s[10:11]
	v_cmp_ne_u32_e64 s[10:11], 7, v14
	s_and_b64 s[52:53], s[10:11], s[0:1]
	s_waitcnt lgkmcnt(0)
	s_barrier
	s_and_saveexec_b64 s[10:11], s[52:53]
	s_cbranch_execz .LBB15_121
; %bb.120:
	v_lshlrev_b32_e32 v18, 2, v14
	ds_read_b32 v18, v18 offset:14272
	ds_read_b32 v19, v16
	s_waitcnt lgkmcnt(0)
	v_fma_f32 v17, -v18, v19, v17
.LBB15_121:
	s_or_b64 exec, exec, s[10:11]
	v_cmp_eq_u32_e64 s[10:11], 6, v14
	s_and_b64 s[54:55], s[10:11], s[0:1]
	s_barrier
	s_and_saveexec_b64 s[10:11], s[54:55]
; %bb.122:
	v_xor_b32_e32 v18, 0x80000000, v17
	ds_write_b32 v16, v18
; %bb.123:
	s_or_b64 exec, exec, s[10:11]
	v_cmp_gt_u32_e64 s[10:11], 6, v14
	s_and_b64 s[56:57], s[10:11], s[0:1]
	s_waitcnt lgkmcnt(0)
	s_barrier
	s_and_saveexec_b64 s[10:11], s[56:57]
	s_cbranch_execz .LBB15_125
; %bb.124:
	v_lshlrev_b32_e32 v18, 2, v14
	ds_read_b32 v18, v18 offset:14016
	ds_read_b32 v19, v16
	s_waitcnt lgkmcnt(0)
	v_fma_f32 v17, -v18, v19, v17
.LBB15_125:
	s_or_b64 exec, exec, s[10:11]
	v_cmp_eq_u32_e64 s[10:11], 5, v14
	s_and_b64 s[58:59], s[10:11], s[0:1]
	s_barrier
	s_and_saveexec_b64 s[10:11], s[58:59]
; %bb.126:
	v_xor_b32_e32 v18, 0x80000000, v17
	ds_write_b32 v16, v18
; %bb.127:
	s_or_b64 exec, exec, s[10:11]
	v_cmp_gt_u32_e64 s[10:11], 5, v14
	;; [unrolled: 23-line block ×5, first 2 shown]
	s_and_b64 s[74:75], s[10:11], s[0:1]
	s_waitcnt lgkmcnt(0)
	s_barrier
	s_and_saveexec_b64 s[10:11], s[74:75]
	s_cbranch_execz .LBB15_141
; %bb.140:
	v_lshlrev_b32_e32 v18, 2, v14
	ds_read_b32 v18, v18 offset:12992
	ds_read_b32 v19, v16
	s_waitcnt lgkmcnt(0)
	v_fma_f32 v17, -v18, v19, v17
.LBB15_141:
	s_or_b64 exec, exec, s[10:11]
	v_cmp_eq_u32_e64 s[10:11], 1, v14
	s_and_b64 s[76:77], s[10:11], s[0:1]
	s_barrier
	s_and_saveexec_b64 s[10:11], s[76:77]
; %bb.142:
	v_xor_b32_e32 v18, 0x80000000, v17
	ds_write_b32 v16, v18
; %bb.143:
	s_or_b64 exec, exec, s[10:11]
	v_cmp_eq_u32_e64 s[10:11], 0, v14
	s_and_b64 s[60:61], s[10:11], s[0:1]
	s_waitcnt lgkmcnt(0)
	s_barrier
	s_and_saveexec_b64 s[0:1], s[60:61]
	s_cbranch_execz .LBB15_145
; %bb.144:
	v_mov_b32_e32 v18, 0
	ds_read_b32 v18, v18 offset:12736
	ds_read_b32 v19, v16
	s_waitcnt lgkmcnt(0)
	v_fma_f32 v17, -v18, v19, v17
.LBB15_145:
	s_or_b64 exec, exec, s[0:1]
	s_barrier
	s_and_saveexec_b64 s[0:1], s[60:61]
; %bb.146:
	v_xor_b32_e32 v18, 0x80000000, v17
	ds_write_b32 v16, v18
; %bb.147:
	s_or_b64 exec, exec, s[0:1]
	s_waitcnt lgkmcnt(0)
	s_barrier
	s_barrier
	s_and_saveexec_b64 s[0:1], s[8:9]
; %bb.148:
	v_lshlrev_b32_e32 v18, 2, v14
	v_lshl_or_b32 v18, v15, 8, v18
	ds_write_b32 v18, v17 offset:14528
; %bb.149:
	s_or_b64 exec, exec, s[0:1]
	v_cmp_gt_u32_e64 s[10:11], 8, v0
	s_and_b64 s[78:79], s[12:13], s[10:11]
	s_waitcnt lgkmcnt(0)
	s_barrier
	s_barrier
	s_and_saveexec_b64 s[0:1], s[78:79]
	s_cbranch_execz .LBB15_151
; %bb.150:
	v_lshlrev_b32_e32 v17, 8, v0
	ds_read_b32 v18, v17 offset:14528
	s_movk_i32 s10, 0xff04
	v_mad_i32_i24 v19, v0, s10, v17
	s_waitcnt lgkmcnt(0)
	ds_write_b32 v19, v18 offset:12512
	ds_read_b32 v18, v17 offset:14532
	s_waitcnt lgkmcnt(0)
	ds_write_b32 v19, v18 offset:12768
	ds_read_b32 v18, v17 offset:14536
	;; [unrolled: 3-line block ×7, first 2 shown]
	s_waitcnt lgkmcnt(0)
	ds_write_b32 v19, v17 offset:14304
.LBB15_151:
	s_or_b64 exec, exec, s[0:1]
	s_waitcnt lgkmcnt(0)
	s_barrier
	s_and_saveexec_b64 s[0:1], vcc
	s_cbranch_execz .LBB15_153
; %bb.152:
	v_mov_b32_e32 v19, 0
	ds_read_b32 v18, v19 offset:14296
	v_mov_b32_e32 v17, 1.0
	ds_write_b32 v19, v17 offset:14300
	s_waitcnt lgkmcnt(1)
	ds_write_b64 v19, v[17:18] offset:14040
.LBB15_153:
	s_or_b64 exec, exec, s[0:1]
	v_mov_b32_e32 v17, 0
	s_waitcnt lgkmcnt(0)
	s_barrier
	buffer_wbinvl1_vol
	s_and_saveexec_b64 s[0:1], s[2:3]
	s_cbranch_execz .LBB15_157
; %bb.154:
	v_lshlrev_b32_e32 v17, 8, v3
	v_lshlrev_b32_e32 v18, 2, v2
	ds_read_b32 v19, v18 offset:14032
	ds_read_b32 v17, v17 offset:14040
	v_mov_b32_e32 v18, 0
	v_cmp_gt_u32_e64 s[10:11], 2, v5
	s_waitcnt lgkmcnt(0)
	v_fma_f32 v17, v19, v17, 0
	s_and_saveexec_b64 s[14:15], s[10:11]
	s_cbranch_execz .LBB15_156
; %bb.155:
	v_lshlrev_b32_e32 v19, 2, v0
	ds_read_b32 v19, v19 offset:14288
	ds_read_b32 v18, v18 offset:14300
	s_waitcnt lgkmcnt(0)
	v_fmac_f32_e32 v17, v19, v18
.LBB15_156:
	s_or_b64 exec, exec, s[14:15]
.LBB15_157:
	s_or_b64 exec, exec, s[0:1]
	s_and_saveexec_b64 s[0:1], s[30:31]
; %bb.158:
	v_xor_b32_e32 v18, 0x80000000, v17
	ds_write_b32 v4, v18
; %bb.159:
	s_or_b64 exec, exec, s[0:1]
	s_waitcnt lgkmcnt(0)
	s_barrier
	s_and_saveexec_b64 s[0:1], s[26:27]
	s_cbranch_execz .LBB15_161
; %bb.160:
	v_mov_b32_e32 v18, 0
	ds_read_b32 v18, v18 offset:13776
	ds_read_b32 v19, v4
	s_waitcnt lgkmcnt(0)
	v_fma_f32 v17, -v18, v19, v17
.LBB15_161:
	s_or_b64 exec, exec, s[0:1]
	s_barrier
	s_and_saveexec_b64 s[0:1], s[26:27]
; %bb.162:
	v_xor_b32_e32 v18, 0x80000000, v17
	ds_write_b32 v4, v18
; %bb.163:
	s_or_b64 exec, exec, s[0:1]
	s_waitcnt lgkmcnt(0)
	s_barrier
	s_barrier
	s_and_saveexec_b64 s[0:1], s[2:3]
; %bb.164:
	v_lshlrev_b32_e32 v18, 2, v2
	v_lshl_or_b32 v18, v3, 8, v18
	ds_write_b32 v18, v17 offset:14032
; %bb.165:
	s_or_b64 exec, exec, s[0:1]
	s_waitcnt lgkmcnt(0)
	s_barrier
	s_barrier
	s_and_saveexec_b64 s[0:1], s[34:35]
	s_cbranch_execz .LBB15_167
; %bb.166:
	v_lshlrev_b32_e32 v17, 2, v0
	s_movk_i32 s10, 0xfc
	v_mad_u32_u24 v18, v0, s10, v17
	ds_read_b32 v19, v18 offset:14032
	s_waitcnt lgkmcnt(0)
	ds_write_b32 v17, v19 offset:13528
	ds_read_b32 v18, v18 offset:14036
	s_waitcnt lgkmcnt(0)
	ds_write_b32 v17, v18 offset:13784
.LBB15_167:
	s_or_b64 exec, exec, s[0:1]
	s_waitcnt lgkmcnt(0)
	s_barrier
	s_and_saveexec_b64 s[0:1], vcc
	s_cbranch_execz .LBB15_169
; %bb.168:
	v_mov_b32_e32 v19, 0
	ds_read_b32 v18, v19 offset:13776
	v_mov_b32_e32 v17, 1.0
	ds_write_b32 v19, v17 offset:13780
	s_waitcnt lgkmcnt(1)
	ds_write_b64 v19, v[17:18] offset:13520
.LBB15_169:
	s_or_b64 exec, exec, s[0:1]
	v_mov_b32_e32 v17, 0
	s_waitcnt lgkmcnt(0)
	s_barrier
	buffer_wbinvl1_vol
	s_and_saveexec_b64 s[0:1], s[18:19]
	s_cbranch_execz .LBB15_175
; %bb.170:
	v_lshlrev_b32_e32 v19, 2, v11
	v_lshlrev_b32_e32 v18, 8, v12
	ds_read_b32 v17, v19 offset:13504
	ds_read_b32 v20, v18 offset:13520
	v_cmp_gt_u32_e64 s[10:11], 12, v5
	s_waitcnt lgkmcnt(0)
	v_fma_f32 v17, v17, v20, 0
	s_and_saveexec_b64 s[14:15], s[10:11]
	s_cbranch_execnz .LBB15_1180
; %bb.171:
	s_or_b64 exec, exec, s[14:15]
	v_cmp_gt_u32_e64 s[10:11], 8, v5
	s_and_saveexec_b64 s[14:15], s[10:11]
	s_cbranch_execnz .LBB15_1181
.LBB15_172:
	s_or_b64 exec, exec, s[14:15]
	v_cmp_gt_u32_e64 s[10:11], 4, v5
	s_and_saveexec_b64 s[14:15], s[10:11]
	s_cbranch_execz .LBB15_174
.LBB15_173:
	v_lshlrev_b32_e32 v18, 2, v0
	v_mov_b32_e32 v19, 0
	ds_read_b32 v18, v18 offset:14272
	ds_read_b32 v19, v19 offset:14300
	s_waitcnt lgkmcnt(0)
	v_fmac_f32_e32 v17, v18, v19
.LBB15_174:
	s_or_b64 exec, exec, s[14:15]
.LBB15_175:
	s_or_b64 exec, exec, s[0:1]
	s_and_saveexec_b64 s[0:1], s[38:39]
; %bb.176:
	v_xor_b32_e32 v18, 0x80000000, v17
	ds_write_b32 v13, v18
; %bb.177:
	s_or_b64 exec, exec, s[0:1]
	s_waitcnt lgkmcnt(0)
	s_barrier
	s_and_saveexec_b64 s[0:1], s[40:41]
	s_cbranch_execz .LBB15_179
; %bb.178:
	v_lshlrev_b32_e32 v18, 2, v11
	ds_read_b32 v18, v18 offset:13248
	ds_read_b32 v19, v13
	s_waitcnt lgkmcnt(0)
	v_fma_f32 v17, -v18, v19, v17
.LBB15_179:
	s_or_b64 exec, exec, s[0:1]
	s_barrier
	s_and_saveexec_b64 s[0:1], s[42:43]
; %bb.180:
	v_xor_b32_e32 v18, 0x80000000, v17
	ds_write_b32 v13, v18
; %bb.181:
	s_or_b64 exec, exec, s[0:1]
	s_waitcnt lgkmcnt(0)
	s_barrier
	s_and_saveexec_b64 s[0:1], s[44:45]
	s_cbranch_execz .LBB15_183
; %bb.182:
	v_lshlrev_b32_e32 v18, 2, v11
	ds_read_b32 v18, v18 offset:12992
	ds_read_b32 v19, v13
	s_waitcnt lgkmcnt(0)
	v_fma_f32 v17, -v18, v19, v17
.LBB15_183:
	s_or_b64 exec, exec, s[0:1]
	s_barrier
	s_and_saveexec_b64 s[0:1], s[46:47]
; %bb.184:
	v_xor_b32_e32 v18, 0x80000000, v17
	ds_write_b32 v13, v18
; %bb.185:
	s_or_b64 exec, exec, s[0:1]
	s_waitcnt lgkmcnt(0)
	s_barrier
	s_and_saveexec_b64 s[0:1], s[36:37]
	s_cbranch_execz .LBB15_187
; %bb.186:
	v_mov_b32_e32 v18, 0
	ds_read_b32 v18, v18 offset:12736
	ds_read_b32 v19, v13
	s_waitcnt lgkmcnt(0)
	v_fma_f32 v17, -v18, v19, v17
.LBB15_187:
	s_or_b64 exec, exec, s[0:1]
	s_barrier
	s_and_saveexec_b64 s[0:1], s[36:37]
; %bb.188:
	v_xor_b32_e32 v18, 0x80000000, v17
	ds_write_b32 v13, v18
; %bb.189:
	s_or_b64 exec, exec, s[0:1]
	s_waitcnt lgkmcnt(0)
	s_barrier
	s_barrier
	s_and_saveexec_b64 s[0:1], s[18:19]
; %bb.190:
	v_lshlrev_b32_e32 v18, 2, v11
	v_lshl_or_b32 v18, v12, 8, v18
	ds_write_b32 v18, v17 offset:13504
; %bb.191:
	s_or_b64 exec, exec, s[0:1]
	s_waitcnt lgkmcnt(0)
	s_barrier
	s_barrier
	s_and_saveexec_b64 s[0:1], s[48:49]
	s_cbranch_execz .LBB15_193
; %bb.192:
	v_lshlrev_b32_e32 v17, 8, v0
	ds_read_b32 v18, v17 offset:13504
	s_movk_i32 s10, 0xff04
	v_mad_i32_i24 v19, v0, s10, v17
	s_waitcnt lgkmcnt(0)
	ds_write_b32 v19, v18 offset:12496
	ds_read_b32 v18, v17 offset:13508
	s_waitcnt lgkmcnt(0)
	ds_write_b32 v19, v18 offset:12752
	ds_read_b32 v18, v17 offset:13512
	;; [unrolled: 3-line block ×3, first 2 shown]
	s_waitcnt lgkmcnt(0)
	ds_write_b32 v19, v17 offset:13264
.LBB15_193:
	s_or_b64 exec, exec, s[0:1]
	s_waitcnt lgkmcnt(0)
	s_barrier
	s_and_saveexec_b64 s[0:1], vcc
	s_cbranch_execz .LBB15_195
; %bb.194:
	v_mov_b32_e32 v19, 0
	ds_read_b32 v18, v19 offset:13256
	v_mov_b32_e32 v17, 1.0
	ds_write_b32 v19, v17 offset:13260
	s_waitcnt lgkmcnt(1)
	ds_write_b64 v19, v[17:18] offset:13000
.LBB15_195:
	s_or_b64 exec, exec, s[0:1]
	v_mov_b32_e32 v17, 0
	s_waitcnt lgkmcnt(0)
	s_barrier
	buffer_wbinvl1_vol
	s_and_saveexec_b64 s[0:1], s[2:3]
	s_cbranch_execz .LBB15_199
; %bb.196:
	v_lshlrev_b32_e32 v17, 8, v3
	v_lshlrev_b32_e32 v18, 2, v2
	ds_read_b32 v19, v18 offset:12992
	ds_read_b32 v17, v17 offset:13000
	v_mov_b32_e32 v18, 0
	v_cmp_gt_u32_e64 s[10:11], 2, v5
	s_waitcnt lgkmcnt(0)
	v_fma_f32 v17, v19, v17, 0
	s_and_saveexec_b64 s[14:15], s[10:11]
	s_cbranch_execz .LBB15_198
; %bb.197:
	v_lshlrev_b32_e32 v19, 2, v0
	ds_read_b32 v19, v19 offset:13248
	ds_read_b32 v18, v18 offset:13260
	s_waitcnt lgkmcnt(0)
	v_fmac_f32_e32 v17, v19, v18
.LBB15_198:
	s_or_b64 exec, exec, s[14:15]
.LBB15_199:
	s_or_b64 exec, exec, s[0:1]
	s_and_saveexec_b64 s[0:1], s[30:31]
; %bb.200:
	v_xor_b32_e32 v18, 0x80000000, v17
	ds_write_b32 v4, v18
; %bb.201:
	s_or_b64 exec, exec, s[0:1]
	s_waitcnt lgkmcnt(0)
	s_barrier
	s_and_saveexec_b64 s[0:1], s[26:27]
	s_cbranch_execz .LBB15_203
; %bb.202:
	v_mov_b32_e32 v18, 0
	ds_read_b32 v18, v18 offset:12736
	ds_read_b32 v19, v4
	s_waitcnt lgkmcnt(0)
	v_fma_f32 v17, -v18, v19, v17
.LBB15_203:
	s_or_b64 exec, exec, s[0:1]
	s_barrier
	s_and_saveexec_b64 s[0:1], s[26:27]
; %bb.204:
	v_xor_b32_e32 v18, 0x80000000, v17
	ds_write_b32 v4, v18
; %bb.205:
	s_or_b64 exec, exec, s[0:1]
	s_waitcnt lgkmcnt(0)
	s_barrier
	s_barrier
	s_and_saveexec_b64 s[0:1], s[2:3]
; %bb.206:
	v_lshlrev_b32_e32 v18, 2, v2
	v_lshl_or_b32 v18, v3, 8, v18
	ds_write_b32 v18, v17 offset:12992
; %bb.207:
	s_or_b64 exec, exec, s[0:1]
	s_waitcnt lgkmcnt(0)
	s_barrier
	s_barrier
	s_and_saveexec_b64 s[0:1], s[34:35]
	s_cbranch_execz .LBB15_209
; %bb.208:
	v_lshlrev_b32_e32 v17, 2, v0
	s_movk_i32 s10, 0xfc
	v_mad_u32_u24 v18, v0, s10, v17
	ds_read_b32 v19, v18 offset:12992
	s_waitcnt lgkmcnt(0)
	ds_write_b32 v17, v19 offset:12488
	ds_read_b32 v18, v18 offset:12996
	s_waitcnt lgkmcnt(0)
	ds_write_b32 v17, v18 offset:12744
.LBB15_209:
	s_or_b64 exec, exec, s[0:1]
	s_waitcnt lgkmcnt(0)
	s_barrier
	s_and_saveexec_b64 s[0:1], vcc
	s_cbranch_execz .LBB15_211
; %bb.210:
	v_mov_b32_e32 v19, 0
	ds_read_b32 v18, v19 offset:12736
	v_mov_b32_e32 v17, 1.0
	ds_write_b32 v19, v17 offset:12740
	s_waitcnt lgkmcnt(1)
	ds_write_b64 v19, v[17:18] offset:12480
.LBB15_211:
	s_or_b64 exec, exec, s[0:1]
	s_movk_i32 s0, 0xff
	v_lshrrev_b32_e32 v19, 4, v5
	v_cmp_lt_u32_e64 s[14:15], s0, v5
	s_movk_i32 s0, 0x100
	v_and_b32_e32 v17, 15, v0
	v_sub_u32_e32 v18, 15, v19
	v_cmp_gt_u32_e64 s[10:11], s0, v5
	v_mov_b32_e32 v20, 0
	s_waitcnt lgkmcnt(0)
	s_barrier
	buffer_wbinvl1_vol
	s_and_saveexec_b64 s[0:1], s[10:11]
	s_cbranch_execz .LBB15_239
; %bb.212:
	v_lshlrev_b32_e32 v22, 2, v17
	v_lshlrev_b32_e32 v21, 8, v18
	ds_read_b32 v20, v22 offset:12416
	ds_read_b32 v23, v21 offset:12480
	s_movk_i32 s16, 0xf0
	v_cmp_gt_u32_e64 s[16:17], s16, v5
	s_waitcnt lgkmcnt(0)
	v_fma_f32 v20, v20, v23, 0
	s_and_saveexec_b64 s[20:21], s[16:17]
	s_cbranch_execz .LBB15_214
; %bb.213:
	ds_read_b32 v23, v22 offset:12672
	ds_read_b32 v24, v21 offset:12484
	s_waitcnt lgkmcnt(0)
	v_fmac_f32_e32 v20, v23, v24
.LBB15_214:
	s_or_b64 exec, exec, s[20:21]
	s_movk_i32 s16, 0xe0
	v_cmp_gt_u32_e64 s[16:17], s16, v5
	s_and_saveexec_b64 s[20:21], s[16:17]
	s_cbranch_execz .LBB15_216
; %bb.215:
	ds_read_b32 v23, v22 offset:12928
	ds_read_b32 v24, v21 offset:12488
	s_waitcnt lgkmcnt(0)
	v_fmac_f32_e32 v20, v23, v24
.LBB15_216:
	s_or_b64 exec, exec, s[20:21]
	s_movk_i32 s16, 0xd0
	v_cmp_gt_u32_e64 s[16:17], s16, v5
	;; [unrolled: 11-line block ×10, first 2 shown]
	s_and_saveexec_b64 s[20:21], s[16:17]
	s_cbranch_execnz .LBB15_1182
; %bb.233:
	s_or_b64 exec, exec, s[20:21]
	s_and_saveexec_b64 s[16:17], s[8:9]
	s_cbranch_execnz .LBB15_1183
.LBB15_234:
	s_or_b64 exec, exec, s[16:17]
	v_cmp_gt_u32_e64 s[16:17], 48, v5
	s_and_saveexec_b64 s[20:21], s[16:17]
	s_cbranch_execnz .LBB15_1184
.LBB15_235:
	s_or_b64 exec, exec, s[20:21]
	v_cmp_gt_u32_e64 s[16:17], 32, v5
	s_and_saveexec_b64 s[20:21], s[16:17]
	s_cbranch_execnz .LBB15_1185
.LBB15_236:
	s_or_b64 exec, exec, s[20:21]
	v_cmp_gt_u32_e64 s[16:17], 16, v5
	s_and_saveexec_b64 s[20:21], s[16:17]
	s_cbranch_execz .LBB15_238
.LBB15_237:
	v_lshlrev_b32_e32 v21, 2, v0
	v_mov_b32_e32 v22, 0
	ds_read_b32 v21, v21 offset:16256
	ds_read_b32 v22, v22 offset:16380
	s_waitcnt lgkmcnt(0)
	v_fmac_f32_e32 v20, v21, v22
.LBB15_238:
	s_or_b64 exec, exec, s[20:21]
.LBB15_239:
	s_or_b64 exec, exec, s[0:1]
	v_mov_b32_e32 v21, 0x4000
	v_lshl_add_u32 v19, v19, 2, v21
	v_cmp_eq_u32_e64 s[16:17], 15, v17
	s_xor_b64 s[20:21], s[14:15], -1
	s_and_b64 s[14:15], s[16:17], s[20:21]
	s_mov_b64 s[0:1], exec
	v_writelane_b32 v28, s14, 2
	v_writelane_b32 v28, s15, 3
	s_and_b64 s[14:15], s[0:1], s[14:15]
	s_mov_b64 exec, s[14:15]
; %bb.240:
	v_xor_b32_e32 v21, 0x80000000, v20
	ds_write_b32 v19, v21
; %bb.241:
	s_or_b64 exec, exec, s[0:1]
	v_cmp_ne_u32_e64 s[14:15], 15, v17
	s_waitcnt lgkmcnt(0)
	s_barrier
	s_and_b64 s[14:15], s[14:15], s[20:21]
	s_mov_b64 s[0:1], exec
	v_writelane_b32 v28, s14, 4
	v_writelane_b32 v28, s15, 5
	s_and_b64 s[14:15], s[0:1], s[14:15]
	s_mov_b64 exec, s[14:15]
	s_cbranch_execz .LBB15_243
; %bb.242:
	v_lshlrev_b32_e32 v21, 2, v17
	ds_read_b32 v21, v21 offset:12160
	ds_read_b32 v22, v19
	s_waitcnt lgkmcnt(0)
	v_fma_f32 v20, -v21, v22, v20
.LBB15_243:
	s_or_b64 exec, exec, s[0:1]
	v_cmp_eq_u32_e64 s[14:15], 14, v17
	s_barrier
	s_and_b64 s[14:15], s[14:15], s[20:21]
	s_mov_b64 s[0:1], exec
	v_writelane_b32 v28, s14, 6
	v_writelane_b32 v28, s15, 7
	s_and_b64 s[14:15], s[0:1], s[14:15]
	s_mov_b64 exec, s[14:15]
; %bb.244:
	v_xor_b32_e32 v21, 0x80000000, v20
	ds_write_b32 v19, v21
; %bb.245:
	s_or_b64 exec, exec, s[0:1]
	v_cmp_gt_u32_e64 s[14:15], 14, v17
	s_waitcnt lgkmcnt(0)
	s_barrier
	s_and_b64 s[14:15], s[14:15], s[20:21]
	s_mov_b64 s[0:1], exec
	v_writelane_b32 v28, s14, 8
	v_writelane_b32 v28, s15, 9
	s_and_b64 s[14:15], s[0:1], s[14:15]
	s_mov_b64 exec, s[14:15]
	s_cbranch_execz .LBB15_247
; %bb.246:
	v_lshlrev_b32_e32 v21, 2, v17
	ds_read_b32 v21, v21 offset:11904
	ds_read_b32 v22, v19
	s_waitcnt lgkmcnt(0)
	v_fma_f32 v20, -v21, v22, v20
.LBB15_247:
	s_or_b64 exec, exec, s[0:1]
	v_cmp_eq_u32_e64 s[14:15], 13, v17
	s_barrier
	s_and_b64 s[14:15], s[14:15], s[20:21]
	s_mov_b64 s[0:1], exec
	v_writelane_b32 v28, s14, 10
	v_writelane_b32 v28, s15, 11
	s_and_b64 s[14:15], s[0:1], s[14:15]
	s_mov_b64 exec, s[14:15]
; %bb.248:
	v_xor_b32_e32 v21, 0x80000000, v20
	ds_write_b32 v19, v21
; %bb.249:
	s_or_b64 exec, exec, s[0:1]
	v_cmp_gt_u32_e64 s[14:15], 13, v17
	;; [unrolled: 31-line block ×12, first 2 shown]
	s_and_b64 s[0:1], s[14:15], s[20:21]
	s_waitcnt lgkmcnt(0)
	s_barrier
	s_and_saveexec_b64 s[14:15], s[0:1]
	s_cbranch_execz .LBB15_291
; %bb.290:
	v_lshlrev_b32_e32 v21, 2, v17
	ds_read_b32 v21, v21 offset:9088
	ds_read_b32 v22, v19
	s_waitcnt lgkmcnt(0)
	v_fma_f32 v20, -v21, v22, v20
.LBB15_291:
	s_or_b64 exec, exec, s[14:15]
	v_cmp_eq_u32_e64 s[14:15], 2, v17
	s_and_b64 s[80:81], s[14:15], s[20:21]
	s_barrier
	s_and_saveexec_b64 s[14:15], s[80:81]
; %bb.292:
	v_xor_b32_e32 v21, 0x80000000, v20
	ds_write_b32 v19, v21
; %bb.293:
	s_or_b64 exec, exec, s[14:15]
	v_cmp_gt_u32_e64 s[14:15], 2, v17
	s_and_b64 s[82:83], s[14:15], s[20:21]
	s_waitcnt lgkmcnt(0)
	s_barrier
	s_and_saveexec_b64 s[14:15], s[82:83]
	s_cbranch_execz .LBB15_295
; %bb.294:
	v_lshlrev_b32_e32 v21, 2, v17
	ds_read_b32 v21, v21 offset:8832
	ds_read_b32 v22, v19
	s_waitcnt lgkmcnt(0)
	v_fma_f32 v20, -v21, v22, v20
.LBB15_295:
	s_or_b64 exec, exec, s[14:15]
	v_cmp_eq_u32_e64 s[14:15], 1, v17
	s_and_b64 s[84:85], s[14:15], s[20:21]
	s_barrier
	s_and_saveexec_b64 s[14:15], s[84:85]
; %bb.296:
	v_xor_b32_e32 v21, 0x80000000, v20
	ds_write_b32 v19, v21
; %bb.297:
	s_or_b64 exec, exec, s[14:15]
	v_cmp_eq_u32_e64 s[14:15], 0, v17
	s_and_b64 s[86:87], s[14:15], s[20:21]
	s_waitcnt lgkmcnt(0)
	s_barrier
	s_and_saveexec_b64 s[14:15], s[86:87]
	s_cbranch_execz .LBB15_299
; %bb.298:
	v_mov_b32_e32 v21, 0
	ds_read_b32 v21, v21 offset:8576
	ds_read_b32 v22, v19
	s_waitcnt lgkmcnt(0)
	v_fma_f32 v20, -v21, v22, v20
.LBB15_299:
	s_or_b64 exec, exec, s[14:15]
	s_barrier
	s_and_saveexec_b64 s[14:15], s[86:87]
; %bb.300:
	v_xor_b32_e32 v21, 0x80000000, v20
	ds_write_b32 v19, v21
; %bb.301:
	s_or_b64 exec, exec, s[14:15]
	s_waitcnt lgkmcnt(0)
	s_barrier
	s_barrier
	s_and_saveexec_b64 s[14:15], s[10:11]
; %bb.302:
	v_lshlrev_b32_e32 v21, 2, v17
	v_lshl_or_b32 v21, v18, 8, v21
	ds_write_b32 v21, v20 offset:12416
; %bb.303:
	s_or_b64 exec, exec, s[14:15]
	v_cmp_gt_u32_e64 s[14:15], 16, v0
	s_and_b64 s[88:89], s[12:13], s[14:15]
	s_waitcnt lgkmcnt(0)
	s_barrier
	s_barrier
	s_and_saveexec_b64 s[14:15], s[88:89]
	s_cbranch_execz .LBB15_305
; %bb.304:
	v_lshlrev_b32_e32 v20, 8, v0
	ds_read_b32 v21, v20 offset:12416
	s_movk_i32 s16, 0xff04
	v_mad_i32_i24 v22, v0, s16, v20
	s_waitcnt lgkmcnt(0)
	ds_write_b32 v22, v21 offset:8384
	ds_read_b32 v21, v20 offset:12420
	s_waitcnt lgkmcnt(0)
	ds_write_b32 v22, v21 offset:8640
	ds_read_b32 v21, v20 offset:12424
	;; [unrolled: 3-line block ×15, first 2 shown]
	s_waitcnt lgkmcnt(0)
	ds_write_b32 v22, v20 offset:12224
.LBB15_305:
	s_or_b64 exec, exec, s[14:15]
	s_waitcnt lgkmcnt(0)
	s_barrier
	s_and_saveexec_b64 s[14:15], vcc
	s_cbranch_execz .LBB15_307
; %bb.306:
	v_mov_b32_e32 v22, 0
	ds_read_b32 v21, v22 offset:12216
	v_mov_b32_e32 v20, 1.0
	ds_write_b32 v22, v20 offset:12220
	s_waitcnt lgkmcnt(1)
	ds_write_b64 v22, v[20:21] offset:11960
.LBB15_307:
	s_or_b64 exec, exec, s[14:15]
	v_mov_b32_e32 v20, 0
	s_waitcnt lgkmcnt(0)
	s_barrier
	buffer_wbinvl1_vol
	s_and_saveexec_b64 s[16:17], s[2:3]
	s_cbranch_execz .LBB15_311
; %bb.308:
	v_lshlrev_b32_e32 v20, 8, v3
	v_lshlrev_b32_e32 v21, 2, v2
	ds_read_b32 v22, v21 offset:11952
	ds_read_b32 v20, v20 offset:11960
	v_mov_b32_e32 v21, 0
	v_cmp_gt_u32_e64 s[14:15], 2, v5
	s_waitcnt lgkmcnt(0)
	v_fma_f32 v20, v22, v20, 0
	s_and_saveexec_b64 s[20:21], s[14:15]
	s_cbranch_execz .LBB15_310
; %bb.309:
	v_lshlrev_b32_e32 v22, 2, v0
	ds_read_b32 v22, v22 offset:12208
	ds_read_b32 v21, v21 offset:12220
	s_waitcnt lgkmcnt(0)
	v_fmac_f32_e32 v20, v22, v21
.LBB15_310:
	s_or_b64 exec, exec, s[20:21]
.LBB15_311:
	s_or_b64 exec, exec, s[16:17]
	s_and_saveexec_b64 s[14:15], s[30:31]
; %bb.312:
	v_xor_b32_e32 v21, 0x80000000, v20
	ds_write_b32 v4, v21
; %bb.313:
	s_or_b64 exec, exec, s[14:15]
	s_waitcnt lgkmcnt(0)
	s_barrier
	s_and_saveexec_b64 s[14:15], s[26:27]
	s_cbranch_execz .LBB15_315
; %bb.314:
	v_mov_b32_e32 v21, 0
	ds_read_b32 v21, v21 offset:11696
	ds_read_b32 v22, v4
	s_waitcnt lgkmcnt(0)
	v_fma_f32 v20, -v21, v22, v20
.LBB15_315:
	s_or_b64 exec, exec, s[14:15]
	s_barrier
	s_and_saveexec_b64 s[14:15], s[26:27]
; %bb.316:
	v_xor_b32_e32 v21, 0x80000000, v20
	ds_write_b32 v4, v21
; %bb.317:
	s_or_b64 exec, exec, s[14:15]
	s_waitcnt lgkmcnt(0)
	s_barrier
	s_barrier
	s_and_saveexec_b64 s[14:15], s[2:3]
; %bb.318:
	v_lshlrev_b32_e32 v21, 2, v2
	v_lshl_or_b32 v21, v3, 8, v21
	ds_write_b32 v21, v20 offset:11952
; %bb.319:
	s_or_b64 exec, exec, s[14:15]
	s_waitcnt lgkmcnt(0)
	s_barrier
	s_barrier
	s_and_saveexec_b64 s[14:15], s[34:35]
	s_cbranch_execz .LBB15_321
; %bb.320:
	v_lshlrev_b32_e32 v20, 2, v0
	s_movk_i32 s16, 0xfc
	v_mad_u32_u24 v21, v0, s16, v20
	ds_read_b32 v22, v21 offset:11952
	s_waitcnt lgkmcnt(0)
	ds_write_b32 v20, v22 offset:11448
	ds_read_b32 v21, v21 offset:11956
	s_waitcnt lgkmcnt(0)
	ds_write_b32 v20, v21 offset:11704
.LBB15_321:
	s_or_b64 exec, exec, s[14:15]
	s_waitcnt lgkmcnt(0)
	s_barrier
	s_and_saveexec_b64 s[14:15], vcc
	s_cbranch_execz .LBB15_323
; %bb.322:
	v_mov_b32_e32 v22, 0
	ds_read_b32 v21, v22 offset:11696
	v_mov_b32_e32 v20, 1.0
	ds_write_b32 v22, v20 offset:11700
	s_waitcnt lgkmcnt(1)
	ds_write_b64 v22, v[20:21] offset:11440
.LBB15_323:
	s_or_b64 exec, exec, s[14:15]
	v_mov_b32_e32 v20, 0
	s_waitcnt lgkmcnt(0)
	s_barrier
	buffer_wbinvl1_vol
	s_and_saveexec_b64 s[16:17], s[18:19]
	s_cbranch_execz .LBB15_329
; %bb.324:
	v_lshlrev_b32_e32 v22, 2, v11
	v_lshlrev_b32_e32 v21, 8, v12
	ds_read_b32 v20, v22 offset:11424
	ds_read_b32 v23, v21 offset:11440
	v_cmp_gt_u32_e64 s[14:15], 12, v5
	s_waitcnt lgkmcnt(0)
	v_fma_f32 v20, v20, v23, 0
	s_and_saveexec_b64 s[20:21], s[14:15]
	s_cbranch_execnz .LBB15_1186
; %bb.325:
	s_or_b64 exec, exec, s[20:21]
	v_cmp_gt_u32_e64 s[14:15], 8, v5
	s_and_saveexec_b64 s[20:21], s[14:15]
	s_cbranch_execnz .LBB15_1187
.LBB15_326:
	s_or_b64 exec, exec, s[20:21]
	v_cmp_gt_u32_e64 s[14:15], 4, v5
	s_and_saveexec_b64 s[20:21], s[14:15]
	s_cbranch_execz .LBB15_328
.LBB15_327:
	v_lshlrev_b32_e32 v21, 2, v0
	v_mov_b32_e32 v22, 0
	ds_read_b32 v21, v21 offset:12192
	ds_read_b32 v22, v22 offset:12220
	s_waitcnt lgkmcnt(0)
	v_fmac_f32_e32 v20, v21, v22
.LBB15_328:
	s_or_b64 exec, exec, s[20:21]
.LBB15_329:
	s_or_b64 exec, exec, s[16:17]
	s_and_saveexec_b64 s[14:15], s[38:39]
; %bb.330:
	v_xor_b32_e32 v21, 0x80000000, v20
	ds_write_b32 v13, v21
; %bb.331:
	s_or_b64 exec, exec, s[14:15]
	s_waitcnt lgkmcnt(0)
	s_barrier
	s_and_saveexec_b64 s[14:15], s[40:41]
	s_cbranch_execz .LBB15_333
; %bb.332:
	v_lshlrev_b32_e32 v21, 2, v11
	ds_read_b32 v21, v21 offset:11168
	ds_read_b32 v22, v13
	s_waitcnt lgkmcnt(0)
	v_fma_f32 v20, -v21, v22, v20
.LBB15_333:
	s_or_b64 exec, exec, s[14:15]
	s_barrier
	s_and_saveexec_b64 s[14:15], s[42:43]
; %bb.334:
	v_xor_b32_e32 v21, 0x80000000, v20
	ds_write_b32 v13, v21
; %bb.335:
	s_or_b64 exec, exec, s[14:15]
	s_waitcnt lgkmcnt(0)
	s_barrier
	s_and_saveexec_b64 s[14:15], s[44:45]
	s_cbranch_execz .LBB15_337
; %bb.336:
	v_lshlrev_b32_e32 v21, 2, v11
	ds_read_b32 v21, v21 offset:10912
	ds_read_b32 v22, v13
	s_waitcnt lgkmcnt(0)
	v_fma_f32 v20, -v21, v22, v20
.LBB15_337:
	s_or_b64 exec, exec, s[14:15]
	s_barrier
	s_and_saveexec_b64 s[14:15], s[46:47]
; %bb.338:
	v_xor_b32_e32 v21, 0x80000000, v20
	ds_write_b32 v13, v21
; %bb.339:
	s_or_b64 exec, exec, s[14:15]
	s_waitcnt lgkmcnt(0)
	s_barrier
	s_and_saveexec_b64 s[14:15], s[36:37]
	s_cbranch_execz .LBB15_341
; %bb.340:
	v_mov_b32_e32 v21, 0
	ds_read_b32 v21, v21 offset:10656
	ds_read_b32 v22, v13
	s_waitcnt lgkmcnt(0)
	v_fma_f32 v20, -v21, v22, v20
.LBB15_341:
	s_or_b64 exec, exec, s[14:15]
	s_barrier
	s_and_saveexec_b64 s[14:15], s[36:37]
; %bb.342:
	v_xor_b32_e32 v21, 0x80000000, v20
	ds_write_b32 v13, v21
; %bb.343:
	s_or_b64 exec, exec, s[14:15]
	s_waitcnt lgkmcnt(0)
	s_barrier
	s_barrier
	s_and_saveexec_b64 s[14:15], s[18:19]
; %bb.344:
	v_lshlrev_b32_e32 v21, 2, v11
	v_lshl_or_b32 v21, v12, 8, v21
	ds_write_b32 v21, v20 offset:11424
; %bb.345:
	s_or_b64 exec, exec, s[14:15]
	s_waitcnt lgkmcnt(0)
	s_barrier
	s_barrier
	s_and_saveexec_b64 s[14:15], s[48:49]
	s_cbranch_execz .LBB15_347
; %bb.346:
	v_lshlrev_b32_e32 v20, 8, v0
	ds_read_b32 v21, v20 offset:11424
	s_movk_i32 s16, 0xff04
	v_mad_i32_i24 v22, v0, s16, v20
	s_waitcnt lgkmcnt(0)
	ds_write_b32 v22, v21 offset:10416
	ds_read_b32 v21, v20 offset:11428
	s_waitcnt lgkmcnt(0)
	ds_write_b32 v22, v21 offset:10672
	ds_read_b32 v21, v20 offset:11432
	;; [unrolled: 3-line block ×3, first 2 shown]
	s_waitcnt lgkmcnt(0)
	ds_write_b32 v22, v20 offset:11184
.LBB15_347:
	s_or_b64 exec, exec, s[14:15]
	s_waitcnt lgkmcnt(0)
	s_barrier
	s_and_saveexec_b64 s[14:15], vcc
	s_cbranch_execz .LBB15_349
; %bb.348:
	v_mov_b32_e32 v22, 0
	ds_read_b32 v21, v22 offset:11176
	v_mov_b32_e32 v20, 1.0
	ds_write_b32 v22, v20 offset:11180
	s_waitcnt lgkmcnt(1)
	ds_write_b64 v22, v[20:21] offset:10920
.LBB15_349:
	s_or_b64 exec, exec, s[14:15]
	v_mov_b32_e32 v20, 0
	s_waitcnt lgkmcnt(0)
	s_barrier
	buffer_wbinvl1_vol
	s_and_saveexec_b64 s[16:17], s[2:3]
	s_cbranch_execz .LBB15_353
; %bb.350:
	v_lshlrev_b32_e32 v20, 8, v3
	v_lshlrev_b32_e32 v21, 2, v2
	ds_read_b32 v22, v21 offset:10912
	ds_read_b32 v20, v20 offset:10920
	v_mov_b32_e32 v21, 0
	v_cmp_gt_u32_e64 s[14:15], 2, v5
	s_waitcnt lgkmcnt(0)
	v_fma_f32 v20, v22, v20, 0
	s_and_saveexec_b64 s[20:21], s[14:15]
	s_cbranch_execz .LBB15_352
; %bb.351:
	v_lshlrev_b32_e32 v22, 2, v0
	ds_read_b32 v22, v22 offset:11168
	ds_read_b32 v21, v21 offset:11180
	s_waitcnt lgkmcnt(0)
	v_fmac_f32_e32 v20, v22, v21
.LBB15_352:
	s_or_b64 exec, exec, s[20:21]
.LBB15_353:
	s_or_b64 exec, exec, s[16:17]
	s_and_saveexec_b64 s[14:15], s[30:31]
; %bb.354:
	v_xor_b32_e32 v21, 0x80000000, v20
	ds_write_b32 v4, v21
; %bb.355:
	s_or_b64 exec, exec, s[14:15]
	s_waitcnt lgkmcnt(0)
	s_barrier
	s_and_saveexec_b64 s[14:15], s[26:27]
	s_cbranch_execz .LBB15_357
; %bb.356:
	v_mov_b32_e32 v21, 0
	ds_read_b32 v21, v21 offset:10656
	ds_read_b32 v22, v4
	s_waitcnt lgkmcnt(0)
	v_fma_f32 v20, -v21, v22, v20
.LBB15_357:
	s_or_b64 exec, exec, s[14:15]
	s_barrier
	s_and_saveexec_b64 s[14:15], s[26:27]
; %bb.358:
	v_xor_b32_e32 v21, 0x80000000, v20
	ds_write_b32 v4, v21
; %bb.359:
	s_or_b64 exec, exec, s[14:15]
	s_waitcnt lgkmcnt(0)
	s_barrier
	s_barrier
	s_and_saveexec_b64 s[14:15], s[2:3]
; %bb.360:
	v_lshlrev_b32_e32 v21, 2, v2
	v_lshl_or_b32 v21, v3, 8, v21
	ds_write_b32 v21, v20 offset:10912
; %bb.361:
	s_or_b64 exec, exec, s[14:15]
	s_waitcnt lgkmcnt(0)
	s_barrier
	s_barrier
	s_and_saveexec_b64 s[14:15], s[34:35]
	s_cbranch_execz .LBB15_363
; %bb.362:
	v_lshlrev_b32_e32 v20, 2, v0
	s_movk_i32 s16, 0xfc
	v_mad_u32_u24 v21, v0, s16, v20
	ds_read_b32 v22, v21 offset:10912
	s_waitcnt lgkmcnt(0)
	ds_write_b32 v20, v22 offset:10408
	ds_read_b32 v21, v21 offset:10916
	s_waitcnt lgkmcnt(0)
	ds_write_b32 v20, v21 offset:10664
.LBB15_363:
	s_or_b64 exec, exec, s[14:15]
	s_waitcnt lgkmcnt(0)
	s_barrier
	s_and_saveexec_b64 s[14:15], vcc
	s_cbranch_execz .LBB15_365
; %bb.364:
	v_mov_b32_e32 v22, 0
	ds_read_b32 v21, v22 offset:10656
	v_mov_b32_e32 v20, 1.0
	ds_write_b32 v22, v20 offset:10660
	s_waitcnt lgkmcnt(1)
	ds_write_b64 v22, v[20:21] offset:10400
.LBB15_365:
	s_or_b64 exec, exec, s[14:15]
	v_mov_b32_e32 v20, 0
	s_waitcnt lgkmcnt(0)
	s_barrier
	buffer_wbinvl1_vol
	s_and_saveexec_b64 s[16:17], s[8:9]
	s_cbranch_execz .LBB15_375
; %bb.366:
	v_lshlrev_b32_e32 v22, 2, v14
	v_lshlrev_b32_e32 v21, 8, v15
	ds_read_b32 v20, v22 offset:10368
	ds_read_b32 v23, v21 offset:10400
	v_cmp_gt_u32_e64 s[14:15], 56, v5
	s_waitcnt lgkmcnt(0)
	v_fma_f32 v20, v20, v23, 0
	s_and_saveexec_b64 s[20:21], s[14:15]
	s_cbranch_execnz .LBB15_1188
; %bb.367:
	s_or_b64 exec, exec, s[20:21]
	v_cmp_gt_u32_e64 s[14:15], 48, v5
	s_and_saveexec_b64 s[20:21], s[14:15]
	s_cbranch_execnz .LBB15_1189
.LBB15_368:
	s_or_b64 exec, exec, s[20:21]
	v_cmp_gt_u32_e64 s[14:15], 40, v5
	s_and_saveexec_b64 s[20:21], s[14:15]
	s_cbranch_execnz .LBB15_1190
.LBB15_369:
	s_or_b64 exec, exec, s[20:21]
	v_cmp_gt_u32_e64 s[14:15], 32, v5
	s_and_saveexec_b64 s[20:21], s[14:15]
	s_cbranch_execnz .LBB15_1191
.LBB15_370:
	s_or_b64 exec, exec, s[20:21]
	v_cmp_gt_u32_e64 s[14:15], 24, v5
	s_and_saveexec_b64 s[20:21], s[14:15]
	s_cbranch_execnz .LBB15_1192
.LBB15_371:
	s_or_b64 exec, exec, s[20:21]
	s_and_saveexec_b64 s[14:15], s[18:19]
	s_cbranch_execnz .LBB15_1193
.LBB15_372:
	s_or_b64 exec, exec, s[14:15]
	v_cmp_gt_u32_e64 s[14:15], 8, v5
	s_and_saveexec_b64 s[20:21], s[14:15]
	s_cbranch_execz .LBB15_374
.LBB15_373:
	v_lshlrev_b32_e32 v21, 2, v0
	v_mov_b32_e32 v22, 0
	ds_read_b32 v21, v21 offset:12160
	ds_read_b32 v22, v22 offset:12220
	s_waitcnt lgkmcnt(0)
	v_fmac_f32_e32 v20, v21, v22
.LBB15_374:
	s_or_b64 exec, exec, s[20:21]
.LBB15_375:
	s_or_b64 exec, exec, s[16:17]
	s_and_saveexec_b64 s[14:15], s[50:51]
; %bb.376:
	v_xor_b32_e32 v21, 0x80000000, v20
	ds_write_b32 v16, v21
; %bb.377:
	s_or_b64 exec, exec, s[14:15]
	s_waitcnt lgkmcnt(0)
	s_barrier
	s_and_saveexec_b64 s[14:15], s[52:53]
	s_cbranch_execz .LBB15_379
; %bb.378:
	v_lshlrev_b32_e32 v21, 2, v14
	ds_read_b32 v21, v21 offset:10112
	ds_read_b32 v22, v16
	s_waitcnt lgkmcnt(0)
	v_fma_f32 v20, -v21, v22, v20
.LBB15_379:
	s_or_b64 exec, exec, s[14:15]
	s_barrier
	s_and_saveexec_b64 s[14:15], s[54:55]
; %bb.380:
	v_xor_b32_e32 v21, 0x80000000, v20
	ds_write_b32 v16, v21
; %bb.381:
	s_or_b64 exec, exec, s[14:15]
	s_waitcnt lgkmcnt(0)
	s_barrier
	s_and_saveexec_b64 s[14:15], s[56:57]
	s_cbranch_execz .LBB15_383
; %bb.382:
	v_lshlrev_b32_e32 v21, 2, v14
	ds_read_b32 v21, v21 offset:9856
	ds_read_b32 v22, v16
	s_waitcnt lgkmcnt(0)
	v_fma_f32 v20, -v21, v22, v20
.LBB15_383:
	s_or_b64 exec, exec, s[14:15]
	s_barrier
	;; [unrolled: 19-line block ×6, first 2 shown]
	s_and_saveexec_b64 s[14:15], s[76:77]
; %bb.400:
	v_xor_b32_e32 v21, 0x80000000, v20
	ds_write_b32 v16, v21
; %bb.401:
	s_or_b64 exec, exec, s[14:15]
	s_waitcnt lgkmcnt(0)
	s_barrier
	s_and_saveexec_b64 s[14:15], s[60:61]
	s_cbranch_execz .LBB15_403
; %bb.402:
	v_mov_b32_e32 v21, 0
	ds_read_b32 v21, v21 offset:8576
	ds_read_b32 v22, v16
	s_waitcnt lgkmcnt(0)
	v_fma_f32 v20, -v21, v22, v20
.LBB15_403:
	s_or_b64 exec, exec, s[14:15]
	s_barrier
	s_and_saveexec_b64 s[14:15], s[60:61]
; %bb.404:
	v_xor_b32_e32 v21, 0x80000000, v20
	ds_write_b32 v16, v21
; %bb.405:
	s_or_b64 exec, exec, s[14:15]
	s_waitcnt lgkmcnt(0)
	s_barrier
	s_barrier
	s_and_saveexec_b64 s[14:15], s[8:9]
; %bb.406:
	v_lshlrev_b32_e32 v21, 2, v14
	v_lshl_or_b32 v21, v15, 8, v21
	ds_write_b32 v21, v20 offset:10368
; %bb.407:
	s_or_b64 exec, exec, s[14:15]
	s_waitcnt lgkmcnt(0)
	s_barrier
	s_barrier
	s_and_saveexec_b64 s[14:15], s[78:79]
	s_cbranch_execz .LBB15_409
; %bb.408:
	v_lshlrev_b32_e32 v20, 8, v0
	ds_read_b32 v21, v20 offset:10368
	s_movk_i32 s16, 0xff04
	v_mad_i32_i24 v22, v0, s16, v20
	s_waitcnt lgkmcnt(0)
	ds_write_b32 v22, v21 offset:8352
	ds_read_b32 v21, v20 offset:10372
	s_waitcnt lgkmcnt(0)
	ds_write_b32 v22, v21 offset:8608
	ds_read_b32 v21, v20 offset:10376
	;; [unrolled: 3-line block ×7, first 2 shown]
	s_waitcnt lgkmcnt(0)
	ds_write_b32 v22, v20 offset:10144
.LBB15_409:
	s_or_b64 exec, exec, s[14:15]
	s_waitcnt lgkmcnt(0)
	s_barrier
	s_and_saveexec_b64 s[14:15], vcc
	s_cbranch_execz .LBB15_411
; %bb.410:
	v_mov_b32_e32 v22, 0
	ds_read_b32 v21, v22 offset:10136
	v_mov_b32_e32 v20, 1.0
	ds_write_b32 v22, v20 offset:10140
	s_waitcnt lgkmcnt(1)
	ds_write_b64 v22, v[20:21] offset:9880
.LBB15_411:
	s_or_b64 exec, exec, s[14:15]
	v_mov_b32_e32 v20, 0
	s_waitcnt lgkmcnt(0)
	s_barrier
	buffer_wbinvl1_vol
	s_and_saveexec_b64 s[16:17], s[2:3]
	s_cbranch_execz .LBB15_415
; %bb.412:
	v_lshlrev_b32_e32 v20, 8, v3
	v_lshlrev_b32_e32 v21, 2, v2
	ds_read_b32 v22, v21 offset:9872
	ds_read_b32 v20, v20 offset:9880
	v_mov_b32_e32 v21, 0
	v_cmp_gt_u32_e64 s[14:15], 2, v5
	s_waitcnt lgkmcnt(0)
	v_fma_f32 v20, v22, v20, 0
	s_and_saveexec_b64 s[20:21], s[14:15]
	s_cbranch_execz .LBB15_414
; %bb.413:
	v_lshlrev_b32_e32 v22, 2, v0
	ds_read_b32 v22, v22 offset:10128
	ds_read_b32 v21, v21 offset:10140
	s_waitcnt lgkmcnt(0)
	v_fmac_f32_e32 v20, v22, v21
.LBB15_414:
	s_or_b64 exec, exec, s[20:21]
.LBB15_415:
	s_or_b64 exec, exec, s[16:17]
	s_and_saveexec_b64 s[14:15], s[30:31]
; %bb.416:
	v_xor_b32_e32 v21, 0x80000000, v20
	ds_write_b32 v4, v21
; %bb.417:
	s_or_b64 exec, exec, s[14:15]
	s_waitcnt lgkmcnt(0)
	s_barrier
	s_and_saveexec_b64 s[14:15], s[26:27]
	s_cbranch_execz .LBB15_419
; %bb.418:
	v_mov_b32_e32 v21, 0
	ds_read_b32 v21, v21 offset:9616
	ds_read_b32 v22, v4
	s_waitcnt lgkmcnt(0)
	v_fma_f32 v20, -v21, v22, v20
.LBB15_419:
	s_or_b64 exec, exec, s[14:15]
	s_barrier
	s_and_saveexec_b64 s[14:15], s[26:27]
; %bb.420:
	v_xor_b32_e32 v21, 0x80000000, v20
	ds_write_b32 v4, v21
; %bb.421:
	s_or_b64 exec, exec, s[14:15]
	s_waitcnt lgkmcnt(0)
	s_barrier
	s_barrier
	s_and_saveexec_b64 s[14:15], s[2:3]
; %bb.422:
	v_lshlrev_b32_e32 v21, 2, v2
	v_lshl_or_b32 v21, v3, 8, v21
	ds_write_b32 v21, v20 offset:9872
; %bb.423:
	s_or_b64 exec, exec, s[14:15]
	s_waitcnt lgkmcnt(0)
	s_barrier
	s_barrier
	s_and_saveexec_b64 s[14:15], s[34:35]
	s_cbranch_execz .LBB15_425
; %bb.424:
	v_lshlrev_b32_e32 v20, 2, v0
	s_movk_i32 s16, 0xfc
	v_mad_u32_u24 v21, v0, s16, v20
	ds_read_b32 v22, v21 offset:9872
	s_waitcnt lgkmcnt(0)
	ds_write_b32 v20, v22 offset:9368
	ds_read_b32 v21, v21 offset:9876
	s_waitcnt lgkmcnt(0)
	ds_write_b32 v20, v21 offset:9624
.LBB15_425:
	s_or_b64 exec, exec, s[14:15]
	s_waitcnt lgkmcnt(0)
	s_barrier
	s_and_saveexec_b64 s[14:15], vcc
	s_cbranch_execz .LBB15_427
; %bb.426:
	v_mov_b32_e32 v22, 0
	ds_read_b32 v21, v22 offset:9616
	v_mov_b32_e32 v20, 1.0
	ds_write_b32 v22, v20 offset:9620
	s_waitcnt lgkmcnt(1)
	ds_write_b64 v22, v[20:21] offset:9360
.LBB15_427:
	s_or_b64 exec, exec, s[14:15]
	v_mov_b32_e32 v20, 0
	s_waitcnt lgkmcnt(0)
	s_barrier
	buffer_wbinvl1_vol
	s_and_saveexec_b64 s[16:17], s[18:19]
	s_cbranch_execz .LBB15_433
; %bb.428:
	v_lshlrev_b32_e32 v22, 2, v11
	v_lshlrev_b32_e32 v21, 8, v12
	ds_read_b32 v20, v22 offset:9344
	ds_read_b32 v23, v21 offset:9360
	v_cmp_gt_u32_e64 s[14:15], 12, v5
	s_waitcnt lgkmcnt(0)
	v_fma_f32 v20, v20, v23, 0
	s_and_saveexec_b64 s[20:21], s[14:15]
	s_cbranch_execnz .LBB15_1194
; %bb.429:
	s_or_b64 exec, exec, s[20:21]
	v_cmp_gt_u32_e64 s[14:15], 8, v5
	s_and_saveexec_b64 s[20:21], s[14:15]
	s_cbranch_execnz .LBB15_1195
.LBB15_430:
	s_or_b64 exec, exec, s[20:21]
	v_cmp_gt_u32_e64 s[14:15], 4, v5
	s_and_saveexec_b64 s[20:21], s[14:15]
	s_cbranch_execz .LBB15_432
.LBB15_431:
	v_lshlrev_b32_e32 v21, 2, v0
	v_mov_b32_e32 v22, 0
	ds_read_b32 v21, v21 offset:10112
	ds_read_b32 v22, v22 offset:10140
	s_waitcnt lgkmcnt(0)
	v_fmac_f32_e32 v20, v21, v22
.LBB15_432:
	s_or_b64 exec, exec, s[20:21]
.LBB15_433:
	s_or_b64 exec, exec, s[16:17]
	s_and_saveexec_b64 s[14:15], s[38:39]
; %bb.434:
	v_xor_b32_e32 v21, 0x80000000, v20
	ds_write_b32 v13, v21
; %bb.435:
	s_or_b64 exec, exec, s[14:15]
	s_waitcnt lgkmcnt(0)
	s_barrier
	s_and_saveexec_b64 s[14:15], s[40:41]
	s_cbranch_execz .LBB15_437
; %bb.436:
	v_lshlrev_b32_e32 v21, 2, v11
	ds_read_b32 v21, v21 offset:9088
	ds_read_b32 v22, v13
	s_waitcnt lgkmcnt(0)
	v_fma_f32 v20, -v21, v22, v20
.LBB15_437:
	s_or_b64 exec, exec, s[14:15]
	s_barrier
	s_and_saveexec_b64 s[14:15], s[42:43]
; %bb.438:
	v_xor_b32_e32 v21, 0x80000000, v20
	ds_write_b32 v13, v21
; %bb.439:
	s_or_b64 exec, exec, s[14:15]
	s_waitcnt lgkmcnt(0)
	s_barrier
	s_and_saveexec_b64 s[14:15], s[44:45]
	s_cbranch_execz .LBB15_441
; %bb.440:
	v_lshlrev_b32_e32 v21, 2, v11
	ds_read_b32 v21, v21 offset:8832
	ds_read_b32 v22, v13
	s_waitcnt lgkmcnt(0)
	v_fma_f32 v20, -v21, v22, v20
.LBB15_441:
	s_or_b64 exec, exec, s[14:15]
	s_barrier
	s_and_saveexec_b64 s[14:15], s[46:47]
; %bb.442:
	v_xor_b32_e32 v21, 0x80000000, v20
	ds_write_b32 v13, v21
; %bb.443:
	s_or_b64 exec, exec, s[14:15]
	s_waitcnt lgkmcnt(0)
	s_barrier
	s_and_saveexec_b64 s[14:15], s[36:37]
	s_cbranch_execz .LBB15_445
; %bb.444:
	v_mov_b32_e32 v21, 0
	ds_read_b32 v21, v21 offset:8576
	ds_read_b32 v22, v13
	s_waitcnt lgkmcnt(0)
	v_fma_f32 v20, -v21, v22, v20
.LBB15_445:
	s_or_b64 exec, exec, s[14:15]
	s_barrier
	s_and_saveexec_b64 s[14:15], s[36:37]
; %bb.446:
	v_xor_b32_e32 v21, 0x80000000, v20
	ds_write_b32 v13, v21
; %bb.447:
	s_or_b64 exec, exec, s[14:15]
	s_waitcnt lgkmcnt(0)
	s_barrier
	s_barrier
	s_and_saveexec_b64 s[14:15], s[18:19]
; %bb.448:
	v_lshlrev_b32_e32 v21, 2, v11
	v_lshl_or_b32 v21, v12, 8, v21
	ds_write_b32 v21, v20 offset:9344
; %bb.449:
	s_or_b64 exec, exec, s[14:15]
	s_waitcnt lgkmcnt(0)
	s_barrier
	s_barrier
	s_and_saveexec_b64 s[14:15], s[48:49]
	s_cbranch_execz .LBB15_451
; %bb.450:
	v_lshlrev_b32_e32 v20, 8, v0
	ds_read_b32 v21, v20 offset:9344
	s_movk_i32 s16, 0xff04
	v_mad_i32_i24 v22, v0, s16, v20
	s_waitcnt lgkmcnt(0)
	ds_write_b32 v22, v21 offset:8336
	ds_read_b32 v21, v20 offset:9348
	s_waitcnt lgkmcnt(0)
	ds_write_b32 v22, v21 offset:8592
	ds_read_b32 v21, v20 offset:9352
	;; [unrolled: 3-line block ×3, first 2 shown]
	s_waitcnt lgkmcnt(0)
	ds_write_b32 v22, v20 offset:9104
.LBB15_451:
	s_or_b64 exec, exec, s[14:15]
	s_waitcnt lgkmcnt(0)
	s_barrier
	s_and_saveexec_b64 s[14:15], vcc
	s_cbranch_execz .LBB15_453
; %bb.452:
	v_mov_b32_e32 v22, 0
	ds_read_b32 v21, v22 offset:9096
	v_mov_b32_e32 v20, 1.0
	ds_write_b32 v22, v20 offset:9100
	s_waitcnt lgkmcnt(1)
	ds_write_b64 v22, v[20:21] offset:8840
.LBB15_453:
	s_or_b64 exec, exec, s[14:15]
	v_mov_b32_e32 v20, 0
	s_waitcnt lgkmcnt(0)
	s_barrier
	buffer_wbinvl1_vol
	s_and_saveexec_b64 s[16:17], s[2:3]
	s_cbranch_execz .LBB15_457
; %bb.454:
	v_lshlrev_b32_e32 v20, 8, v3
	v_lshlrev_b32_e32 v21, 2, v2
	ds_read_b32 v22, v21 offset:8832
	ds_read_b32 v20, v20 offset:8840
	v_mov_b32_e32 v21, 0
	v_cmp_gt_u32_e64 s[14:15], 2, v5
	s_waitcnt lgkmcnt(0)
	v_fma_f32 v20, v22, v20, 0
	s_and_saveexec_b64 s[20:21], s[14:15]
	s_cbranch_execz .LBB15_456
; %bb.455:
	v_lshlrev_b32_e32 v22, 2, v0
	ds_read_b32 v22, v22 offset:9088
	ds_read_b32 v21, v21 offset:9100
	s_waitcnt lgkmcnt(0)
	v_fmac_f32_e32 v20, v22, v21
.LBB15_456:
	s_or_b64 exec, exec, s[20:21]
.LBB15_457:
	s_or_b64 exec, exec, s[16:17]
	s_and_saveexec_b64 s[14:15], s[30:31]
; %bb.458:
	v_xor_b32_e32 v21, 0x80000000, v20
	ds_write_b32 v4, v21
; %bb.459:
	s_or_b64 exec, exec, s[14:15]
	s_waitcnt lgkmcnt(0)
	s_barrier
	s_and_saveexec_b64 s[14:15], s[26:27]
	s_cbranch_execz .LBB15_461
; %bb.460:
	v_mov_b32_e32 v21, 0
	ds_read_b32 v21, v21 offset:8576
	ds_read_b32 v22, v4
	s_waitcnt lgkmcnt(0)
	v_fma_f32 v20, -v21, v22, v20
.LBB15_461:
	s_or_b64 exec, exec, s[14:15]
	s_barrier
	s_and_saveexec_b64 s[14:15], s[26:27]
; %bb.462:
	v_xor_b32_e32 v21, 0x80000000, v20
	ds_write_b32 v4, v21
; %bb.463:
	s_or_b64 exec, exec, s[14:15]
	s_waitcnt lgkmcnt(0)
	s_barrier
	s_barrier
	s_and_saveexec_b64 s[14:15], s[2:3]
; %bb.464:
	v_lshlrev_b32_e32 v21, 2, v2
	v_lshl_or_b32 v21, v3, 8, v21
	ds_write_b32 v21, v20 offset:8832
; %bb.465:
	s_or_b64 exec, exec, s[14:15]
	s_waitcnt lgkmcnt(0)
	s_barrier
	s_barrier
	s_and_saveexec_b64 s[14:15], s[34:35]
	s_cbranch_execz .LBB15_467
; %bb.466:
	v_lshlrev_b32_e32 v20, 2, v0
	s_movk_i32 s16, 0xfc
	v_mad_u32_u24 v21, v0, s16, v20
	ds_read_b32 v22, v21 offset:8832
	s_waitcnt lgkmcnt(0)
	ds_write_b32 v20, v22 offset:8328
	ds_read_b32 v21, v21 offset:8836
	s_waitcnt lgkmcnt(0)
	ds_write_b32 v20, v21 offset:8584
.LBB15_467:
	s_or_b64 exec, exec, s[14:15]
	s_waitcnt lgkmcnt(0)
	s_barrier
	s_and_saveexec_b64 s[14:15], vcc
	s_cbranch_execz .LBB15_469
; %bb.468:
	v_mov_b32_e32 v22, 0
	ds_read_b32 v21, v22 offset:8576
	v_mov_b32_e32 v20, 1.0
	ds_write_b32 v22, v20 offset:8580
	s_waitcnt lgkmcnt(1)
	ds_write_b64 v22, v[20:21] offset:8320
.LBB15_469:
	s_or_b64 exec, exec, s[14:15]
	s_movk_i32 s14, 0x3ff
	v_lshrrev_b32_e32 v23, 5, v5
	v_cmp_lt_u32_e64 s[16:17], s14, v5
	s_movk_i32 s14, 0x400
	v_and_b32_e32 v20, 31, v0
	v_sub_u32_e32 v21, 31, v23
	v_cmp_gt_u32_e64 s[14:15], s14, v5
	v_mov_b32_e32 v22, 0
	s_waitcnt lgkmcnt(0)
	s_barrier
	buffer_wbinvl1_vol
	s_and_saveexec_b64 s[90:91], s[14:15]
	s_cbranch_execz .LBB15_531
; %bb.470:
	v_lshlrev_b32_e32 v25, 2, v20
	v_lshlrev_b32_e32 v24, 8, v21
	ds_read_b32 v22, v25 offset:8192
	ds_read_b32 v26, v24 offset:8320
	s_movk_i32 s20, 0x3e0
	v_cmp_gt_u32_e64 s[20:21], s20, v5
	s_waitcnt lgkmcnt(0)
	v_fma_f32 v22, v22, v26, 0
	s_and_saveexec_b64 s[92:93], s[20:21]
	s_cbranch_execz .LBB15_472
; %bb.471:
	ds_read_b32 v26, v25 offset:8448
	ds_read_b32 v27, v24 offset:8324
	s_waitcnt lgkmcnt(0)
	v_fmac_f32_e32 v22, v26, v27
.LBB15_472:
	s_or_b64 exec, exec, s[92:93]
	s_movk_i32 s20, 0x3c0
	v_cmp_gt_u32_e64 s[20:21], s20, v5
	s_and_saveexec_b64 s[92:93], s[20:21]
	s_cbranch_execz .LBB15_474
; %bb.473:
	ds_read_b32 v26, v25 offset:8704
	ds_read_b32 v27, v24 offset:8328
	s_waitcnt lgkmcnt(0)
	v_fmac_f32_e32 v22, v26, v27
.LBB15_474:
	s_or_b64 exec, exec, s[92:93]
	s_movk_i32 s20, 0x3a0
	v_cmp_gt_u32_e64 s[20:21], s20, v5
	;; [unrolled: 11-line block ×22, first 2 shown]
	s_and_saveexec_b64 s[92:93], s[20:21]
	s_cbranch_execz .LBB15_516
; %bb.515:
	ds_read_b32 v26, v25 offset:14080
	ds_read_b32 v27, v24 offset:8412
	s_waitcnt lgkmcnt(0)
	v_fmac_f32_e32 v22, v26, v27
.LBB15_516:
	s_or_b64 exec, exec, s[92:93]
	s_and_saveexec_b64 s[20:21], s[10:11]
	s_cbranch_execz .LBB15_518
; %bb.517:
	ds_read_b32 v26, v25 offset:14336
	ds_read_b32 v27, v24 offset:8416
	s_waitcnt lgkmcnt(0)
	v_fmac_f32_e32 v22, v26, v27
.LBB15_518:
	s_or_b64 exec, exec, s[20:21]
	s_movk_i32 s20, 0xe0
	v_cmp_gt_u32_e64 s[20:21], s20, v5
	s_and_saveexec_b64 s[92:93], s[20:21]
	s_cbranch_execz .LBB15_520
; %bb.519:
	ds_read_b32 v26, v25 offset:14592
	ds_read_b32 v27, v24 offset:8420
	s_waitcnt lgkmcnt(0)
	v_fmac_f32_e32 v22, v26, v27
.LBB15_520:
	s_or_b64 exec, exec, s[92:93]
	s_movk_i32 s20, 0xc0
	v_cmp_gt_u32_e64 s[20:21], s20, v5
	s_and_saveexec_b64 s[92:93], s[20:21]
	s_cbranch_execz .LBB15_522
; %bb.521:
	ds_read_b32 v26, v25 offset:14848
	ds_read_b32 v27, v24 offset:8424
	s_waitcnt lgkmcnt(0)
	v_fmac_f32_e32 v22, v26, v27
.LBB15_522:
	s_or_b64 exec, exec, s[92:93]
	s_movk_i32 s20, 0xa0
	v_cmp_gt_u32_e64 s[20:21], s20, v5
	s_and_saveexec_b64 s[92:93], s[20:21]
	s_cbranch_execz .LBB15_524
; %bb.523:
	ds_read_b32 v26, v25 offset:15104
	ds_read_b32 v27, v24 offset:8428
	s_waitcnt lgkmcnt(0)
	v_fmac_f32_e32 v22, v26, v27
.LBB15_524:
	s_or_b64 exec, exec, s[92:93]
	s_movk_i32 s20, 0x80
	v_cmp_gt_u32_e64 s[20:21], s20, v5
	s_and_saveexec_b64 s[92:93], s[20:21]
	s_cbranch_execz .LBB15_526
; %bb.525:
	ds_read_b32 v26, v25 offset:15360
	ds_read_b32 v27, v24 offset:8432
	s_waitcnt lgkmcnt(0)
	v_fmac_f32_e32 v22, v26, v27
.LBB15_526:
	s_or_b64 exec, exec, s[92:93]
	s_movk_i32 s20, 0x60
	v_cmp_gt_u32_e64 s[20:21], s20, v5
	s_and_saveexec_b64 s[92:93], s[20:21]
	s_cbranch_execnz .LBB15_1196
; %bb.527:
	s_or_b64 exec, exec, s[92:93]
	s_and_saveexec_b64 s[20:21], s[8:9]
	s_cbranch_execnz .LBB15_1197
.LBB15_528:
	s_or_b64 exec, exec, s[20:21]
	v_cmp_gt_u32_e64 s[20:21], 32, v5
	s_and_saveexec_b64 s[92:93], s[20:21]
	s_cbranch_execz .LBB15_530
.LBB15_529:
	v_lshlrev_b32_e32 v24, 2, v0
	v_mov_b32_e32 v25, 0
	ds_read_b32 v24, v24 offset:16128
	ds_read_b32 v25, v25 offset:16380
	s_waitcnt lgkmcnt(0)
	v_fmac_f32_e32 v22, v24, v25
.LBB15_530:
	s_or_b64 exec, exec, s[92:93]
.LBB15_531:
	s_or_b64 exec, exec, s[90:91]
	v_mov_b32_e32 v24, 0x4000
	v_cmp_eq_u32_e64 s[20:21], 31, v20
	s_xor_b64 s[90:91], s[16:17], -1
	v_lshl_add_u32 v23, v23, 2, v24
	s_and_b64 s[20:21], s[20:21], s[90:91]
	s_and_saveexec_b64 s[16:17], s[20:21]
; %bb.532:
	v_xor_b32_e32 v24, 0x80000000, v22
	ds_write_b32 v23, v24
; %bb.533:
	s_or_b64 exec, exec, s[16:17]
	v_cmp_ne_u32_e64 s[16:17], 31, v20
	s_and_b64 s[20:21], s[16:17], s[90:91]
	s_waitcnt lgkmcnt(0)
	s_barrier
	s_and_saveexec_b64 s[16:17], s[20:21]
	s_cbranch_execz .LBB15_535
; %bb.534:
	v_lshlrev_b32_e32 v24, 2, v20
	ds_read_b32 v24, v24 offset:7936
	ds_read_b32 v25, v23
	s_waitcnt lgkmcnt(0)
	v_fma_f32 v22, -v24, v25, v22
.LBB15_535:
	s_or_b64 exec, exec, s[16:17]
	v_cmp_eq_u32_e64 s[16:17], 30, v20
	s_and_b64 s[20:21], s[16:17], s[90:91]
	s_barrier
	s_and_saveexec_b64 s[16:17], s[20:21]
; %bb.536:
	v_xor_b32_e32 v24, 0x80000000, v22
	ds_write_b32 v23, v24
; %bb.537:
	s_or_b64 exec, exec, s[16:17]
	v_cmp_gt_u32_e64 s[16:17], 30, v20
	s_and_b64 s[20:21], s[16:17], s[90:91]
	s_waitcnt lgkmcnt(0)
	s_barrier
	s_and_saveexec_b64 s[16:17], s[20:21]
	s_cbranch_execz .LBB15_539
; %bb.538:
	v_lshlrev_b32_e32 v24, 2, v20
	ds_read_b32 v24, v24 offset:7680
	ds_read_b32 v25, v23
	s_waitcnt lgkmcnt(0)
	v_fma_f32 v22, -v24, v25, v22
.LBB15_539:
	s_or_b64 exec, exec, s[16:17]
	v_cmp_eq_u32_e64 s[16:17], 29, v20
	s_and_b64 s[20:21], s[16:17], s[90:91]
	s_barrier
	s_and_saveexec_b64 s[16:17], s[20:21]
; %bb.540:
	v_xor_b32_e32 v24, 0x80000000, v22
	ds_write_b32 v23, v24
; %bb.541:
	s_or_b64 exec, exec, s[16:17]
	v_cmp_gt_u32_e64 s[16:17], 29, v20
	;; [unrolled: 23-line block ×29, first 2 shown]
	s_and_b64 s[20:21], s[16:17], s[90:91]
	s_waitcnt lgkmcnt(0)
	s_barrier
	s_and_saveexec_b64 s[16:17], s[20:21]
	s_cbranch_execz .LBB15_651
; %bb.650:
	v_lshlrev_b32_e32 v24, 2, v20
	ds_read_b32 v24, v24 offset:512
	ds_read_b32 v25, v23
	s_waitcnt lgkmcnt(0)
	v_fma_f32 v22, -v24, v25, v22
.LBB15_651:
	s_or_b64 exec, exec, s[16:17]
	v_cmp_eq_u32_e64 s[16:17], 1, v20
	s_and_b64 s[20:21], s[16:17], s[90:91]
	s_barrier
	s_and_saveexec_b64 s[16:17], s[20:21]
; %bb.652:
	v_xor_b32_e32 v24, 0x80000000, v22
	ds_write_b32 v23, v24
; %bb.653:
	s_or_b64 exec, exec, s[16:17]
	v_cmp_eq_u32_e64 s[16:17], 0, v20
	s_and_b64 s[16:17], s[16:17], s[90:91]
	s_waitcnt lgkmcnt(0)
	s_barrier
	s_and_saveexec_b64 s[20:21], s[16:17]
	s_cbranch_execz .LBB15_655
; %bb.654:
	v_mov_b32_e32 v24, 0
	ds_read_b32 v24, v24 offset:256
	ds_read_b32 v25, v23
	s_waitcnt lgkmcnt(0)
	v_fma_f32 v22, -v24, v25, v22
.LBB15_655:
	s_or_b64 exec, exec, s[20:21]
	s_barrier
	s_and_saveexec_b64 s[20:21], s[16:17]
; %bb.656:
	v_xor_b32_e32 v24, 0x80000000, v22
	ds_write_b32 v23, v24
; %bb.657:
	s_or_b64 exec, exec, s[20:21]
	s_waitcnt lgkmcnt(0)
	s_barrier
	s_barrier
	s_and_saveexec_b64 s[16:17], s[14:15]
; %bb.658:
	v_lshlrev_b32_e32 v20, 2, v20
	v_lshl_or_b32 v20, v21, 8, v20
	ds_write_b32 v20, v22 offset:8192
; %bb.659:
	s_or_b64 exec, exec, s[16:17]
	v_cmp_gt_u32_e64 s[14:15], 32, v0
	s_and_b64 s[14:15], s[12:13], s[14:15]
	s_waitcnt lgkmcnt(0)
	s_barrier
	s_barrier
	s_and_saveexec_b64 s[12:13], s[14:15]
	s_cbranch_execz .LBB15_661
; %bb.660:
	v_lshlrev_b32_e32 v20, 8, v0
	ds_read_b32 v21, v20 offset:8192
	s_movk_i32 s14, 0xff04
	v_mad_i32_i24 v22, v0, s14, v20
	s_waitcnt lgkmcnt(0)
	ds_write_b32 v22, v21 offset:128
	ds_read_b32 v21, v20 offset:8196
	s_waitcnt lgkmcnt(0)
	ds_write_b32 v22, v21 offset:384
	ds_read_b32 v21, v20 offset:8200
	;; [unrolled: 3-line block ×31, first 2 shown]
	s_waitcnt lgkmcnt(0)
	ds_write_b32 v22, v20 offset:8064
.LBB15_661:
	s_or_b64 exec, exec, s[12:13]
	s_waitcnt lgkmcnt(0)
	s_barrier
	s_and_saveexec_b64 s[12:13], vcc
	s_cbranch_execz .LBB15_663
; %bb.662:
	v_mov_b32_e32 v22, 0
	ds_read_b32 v21, v22 offset:8056
	v_mov_b32_e32 v20, 1.0
	ds_write_b32 v22, v20 offset:8060
	s_waitcnt lgkmcnt(1)
	ds_write_b64 v22, v[20:21] offset:7800
.LBB15_663:
	s_or_b64 exec, exec, s[12:13]
	v_mov_b32_e32 v20, 0
	s_waitcnt lgkmcnt(0)
	s_barrier
	buffer_wbinvl1_vol
	s_and_saveexec_b64 s[14:15], s[2:3]
	s_cbranch_execz .LBB15_667
; %bb.664:
	v_lshlrev_b32_e32 v20, 8, v3
	v_lshlrev_b32_e32 v21, 2, v2
	ds_read_b32 v22, v21 offset:7792
	ds_read_b32 v20, v20 offset:7800
	v_mov_b32_e32 v21, 0
	v_cmp_gt_u32_e64 s[12:13], 2, v5
	s_waitcnt lgkmcnt(0)
	v_fma_f32 v20, v22, v20, 0
	s_and_saveexec_b64 s[16:17], s[12:13]
	s_cbranch_execz .LBB15_666
; %bb.665:
	v_lshlrev_b32_e32 v22, 2, v0
	ds_read_b32 v22, v22 offset:8048
	ds_read_b32 v21, v21 offset:8060
	s_waitcnt lgkmcnt(0)
	v_fmac_f32_e32 v20, v22, v21
.LBB15_666:
	s_or_b64 exec, exec, s[16:17]
.LBB15_667:
	s_or_b64 exec, exec, s[14:15]
	s_and_saveexec_b64 s[12:13], s[30:31]
; %bb.668:
	v_xor_b32_e32 v21, 0x80000000, v20
	ds_write_b32 v4, v21
; %bb.669:
	s_or_b64 exec, exec, s[12:13]
	s_waitcnt lgkmcnt(0)
	s_barrier
	s_and_saveexec_b64 s[12:13], s[26:27]
	s_cbranch_execz .LBB15_671
; %bb.670:
	v_mov_b32_e32 v21, 0
	ds_read_b32 v21, v21 offset:7536
	ds_read_b32 v22, v4
	s_waitcnt lgkmcnt(0)
	v_fma_f32 v20, -v21, v22, v20
.LBB15_671:
	s_or_b64 exec, exec, s[12:13]
	s_barrier
	s_and_saveexec_b64 s[12:13], s[26:27]
; %bb.672:
	v_xor_b32_e32 v21, 0x80000000, v20
	ds_write_b32 v4, v21
; %bb.673:
	s_or_b64 exec, exec, s[12:13]
	s_waitcnt lgkmcnt(0)
	s_barrier
	s_barrier
	s_and_saveexec_b64 s[12:13], s[2:3]
; %bb.674:
	v_lshlrev_b32_e32 v21, 2, v2
	v_lshl_or_b32 v21, v3, 8, v21
	ds_write_b32 v21, v20 offset:7792
; %bb.675:
	s_or_b64 exec, exec, s[12:13]
	s_waitcnt lgkmcnt(0)
	s_barrier
	s_barrier
	s_and_saveexec_b64 s[12:13], s[34:35]
	s_cbranch_execz .LBB15_677
; %bb.676:
	v_lshlrev_b32_e32 v20, 2, v0
	s_movk_i32 s14, 0xfc
	v_mad_u32_u24 v21, v0, s14, v20
	ds_read_b32 v22, v21 offset:7792
	s_waitcnt lgkmcnt(0)
	ds_write_b32 v20, v22 offset:7288
	ds_read_b32 v21, v21 offset:7796
	s_waitcnt lgkmcnt(0)
	ds_write_b32 v20, v21 offset:7544
.LBB15_677:
	s_or_b64 exec, exec, s[12:13]
	s_waitcnt lgkmcnt(0)
	s_barrier
	s_and_saveexec_b64 s[12:13], vcc
	s_cbranch_execz .LBB15_679
; %bb.678:
	v_mov_b32_e32 v22, 0
	ds_read_b32 v21, v22 offset:7536
	v_mov_b32_e32 v20, 1.0
	ds_write_b32 v22, v20 offset:7540
	s_waitcnt lgkmcnt(1)
	ds_write_b64 v22, v[20:21] offset:7280
.LBB15_679:
	s_or_b64 exec, exec, s[12:13]
	v_mov_b32_e32 v20, 0
	s_waitcnt lgkmcnt(0)
	s_barrier
	buffer_wbinvl1_vol
	s_and_saveexec_b64 s[14:15], s[18:19]
	s_cbranch_execz .LBB15_685
; %bb.680:
	v_lshlrev_b32_e32 v22, 2, v11
	v_lshlrev_b32_e32 v21, 8, v12
	ds_read_b32 v20, v22 offset:7264
	ds_read_b32 v23, v21 offset:7280
	v_cmp_gt_u32_e64 s[12:13], 12, v5
	s_waitcnt lgkmcnt(0)
	v_fma_f32 v20, v20, v23, 0
	s_and_saveexec_b64 s[16:17], s[12:13]
	s_cbranch_execnz .LBB15_1198
; %bb.681:
	s_or_b64 exec, exec, s[16:17]
	v_cmp_gt_u32_e64 s[12:13], 8, v5
	s_and_saveexec_b64 s[16:17], s[12:13]
	s_cbranch_execnz .LBB15_1199
.LBB15_682:
	s_or_b64 exec, exec, s[16:17]
	v_cmp_gt_u32_e64 s[12:13], 4, v5
	s_and_saveexec_b64 s[16:17], s[12:13]
	s_cbranch_execz .LBB15_684
.LBB15_683:
	v_lshlrev_b32_e32 v21, 2, v0
	v_mov_b32_e32 v22, 0
	ds_read_b32 v21, v21 offset:8032
	ds_read_b32 v22, v22 offset:8060
	s_waitcnt lgkmcnt(0)
	v_fmac_f32_e32 v20, v21, v22
.LBB15_684:
	s_or_b64 exec, exec, s[16:17]
.LBB15_685:
	s_or_b64 exec, exec, s[14:15]
	s_and_saveexec_b64 s[12:13], s[38:39]
; %bb.686:
	v_xor_b32_e32 v21, 0x80000000, v20
	ds_write_b32 v13, v21
; %bb.687:
	s_or_b64 exec, exec, s[12:13]
	s_waitcnt lgkmcnt(0)
	s_barrier
	s_and_saveexec_b64 s[12:13], s[40:41]
	s_cbranch_execz .LBB15_689
; %bb.688:
	v_lshlrev_b32_e32 v21, 2, v11
	ds_read_b32 v21, v21 offset:7008
	ds_read_b32 v22, v13
	s_waitcnt lgkmcnt(0)
	v_fma_f32 v20, -v21, v22, v20
.LBB15_689:
	s_or_b64 exec, exec, s[12:13]
	s_barrier
	s_and_saveexec_b64 s[12:13], s[42:43]
; %bb.690:
	v_xor_b32_e32 v21, 0x80000000, v20
	ds_write_b32 v13, v21
; %bb.691:
	s_or_b64 exec, exec, s[12:13]
	s_waitcnt lgkmcnt(0)
	s_barrier
	s_and_saveexec_b64 s[12:13], s[44:45]
	s_cbranch_execz .LBB15_693
; %bb.692:
	v_lshlrev_b32_e32 v21, 2, v11
	ds_read_b32 v21, v21 offset:6752
	ds_read_b32 v22, v13
	s_waitcnt lgkmcnt(0)
	v_fma_f32 v20, -v21, v22, v20
.LBB15_693:
	s_or_b64 exec, exec, s[12:13]
	s_barrier
	s_and_saveexec_b64 s[12:13], s[46:47]
; %bb.694:
	v_xor_b32_e32 v21, 0x80000000, v20
	ds_write_b32 v13, v21
; %bb.695:
	s_or_b64 exec, exec, s[12:13]
	s_waitcnt lgkmcnt(0)
	s_barrier
	s_and_saveexec_b64 s[12:13], s[36:37]
	s_cbranch_execz .LBB15_697
; %bb.696:
	v_mov_b32_e32 v21, 0
	ds_read_b32 v21, v21 offset:6496
	ds_read_b32 v22, v13
	s_waitcnt lgkmcnt(0)
	v_fma_f32 v20, -v21, v22, v20
.LBB15_697:
	s_or_b64 exec, exec, s[12:13]
	s_barrier
	s_and_saveexec_b64 s[12:13], s[36:37]
; %bb.698:
	v_xor_b32_e32 v21, 0x80000000, v20
	ds_write_b32 v13, v21
; %bb.699:
	s_or_b64 exec, exec, s[12:13]
	s_waitcnt lgkmcnt(0)
	s_barrier
	s_barrier
	s_and_saveexec_b64 s[12:13], s[18:19]
; %bb.700:
	v_lshlrev_b32_e32 v21, 2, v11
	v_lshl_or_b32 v21, v12, 8, v21
	ds_write_b32 v21, v20 offset:7264
; %bb.701:
	s_or_b64 exec, exec, s[12:13]
	s_waitcnt lgkmcnt(0)
	s_barrier
	s_barrier
	s_and_saveexec_b64 s[12:13], s[48:49]
	s_cbranch_execz .LBB15_703
; %bb.702:
	v_lshlrev_b32_e32 v20, 8, v0
	ds_read_b32 v21, v20 offset:7264
	s_movk_i32 s14, 0xff04
	v_mad_i32_i24 v22, v0, s14, v20
	s_waitcnt lgkmcnt(0)
	ds_write_b32 v22, v21 offset:6256
	ds_read_b32 v21, v20 offset:7268
	s_waitcnt lgkmcnt(0)
	ds_write_b32 v22, v21 offset:6512
	ds_read_b32 v21, v20 offset:7272
	;; [unrolled: 3-line block ×3, first 2 shown]
	s_waitcnt lgkmcnt(0)
	ds_write_b32 v22, v20 offset:7024
.LBB15_703:
	s_or_b64 exec, exec, s[12:13]
	s_waitcnt lgkmcnt(0)
	s_barrier
	s_and_saveexec_b64 s[12:13], vcc
	s_cbranch_execz .LBB15_705
; %bb.704:
	v_mov_b32_e32 v22, 0
	ds_read_b32 v21, v22 offset:7016
	v_mov_b32_e32 v20, 1.0
	ds_write_b32 v22, v20 offset:7020
	s_waitcnt lgkmcnt(1)
	ds_write_b64 v22, v[20:21] offset:6760
.LBB15_705:
	s_or_b64 exec, exec, s[12:13]
	v_mov_b32_e32 v20, 0
	s_waitcnt lgkmcnt(0)
	s_barrier
	buffer_wbinvl1_vol
	s_and_saveexec_b64 s[14:15], s[2:3]
	s_cbranch_execz .LBB15_709
; %bb.706:
	v_lshlrev_b32_e32 v20, 8, v3
	v_lshlrev_b32_e32 v21, 2, v2
	ds_read_b32 v22, v21 offset:6752
	ds_read_b32 v20, v20 offset:6760
	v_mov_b32_e32 v21, 0
	v_cmp_gt_u32_e64 s[12:13], 2, v5
	s_waitcnt lgkmcnt(0)
	v_fma_f32 v20, v22, v20, 0
	s_and_saveexec_b64 s[16:17], s[12:13]
	s_cbranch_execz .LBB15_708
; %bb.707:
	v_lshlrev_b32_e32 v22, 2, v0
	ds_read_b32 v22, v22 offset:7008
	ds_read_b32 v21, v21 offset:7020
	s_waitcnt lgkmcnt(0)
	v_fmac_f32_e32 v20, v22, v21
.LBB15_708:
	s_or_b64 exec, exec, s[16:17]
.LBB15_709:
	s_or_b64 exec, exec, s[14:15]
	s_and_saveexec_b64 s[12:13], s[30:31]
; %bb.710:
	v_xor_b32_e32 v21, 0x80000000, v20
	ds_write_b32 v4, v21
; %bb.711:
	s_or_b64 exec, exec, s[12:13]
	s_waitcnt lgkmcnt(0)
	s_barrier
	s_and_saveexec_b64 s[12:13], s[26:27]
	s_cbranch_execz .LBB15_713
; %bb.712:
	v_mov_b32_e32 v21, 0
	ds_read_b32 v21, v21 offset:6496
	ds_read_b32 v22, v4
	s_waitcnt lgkmcnt(0)
	v_fma_f32 v20, -v21, v22, v20
.LBB15_713:
	s_or_b64 exec, exec, s[12:13]
	s_barrier
	s_and_saveexec_b64 s[12:13], s[26:27]
; %bb.714:
	v_xor_b32_e32 v21, 0x80000000, v20
	ds_write_b32 v4, v21
; %bb.715:
	s_or_b64 exec, exec, s[12:13]
	s_waitcnt lgkmcnt(0)
	s_barrier
	s_barrier
	s_and_saveexec_b64 s[12:13], s[2:3]
; %bb.716:
	v_lshlrev_b32_e32 v21, 2, v2
	v_lshl_or_b32 v21, v3, 8, v21
	ds_write_b32 v21, v20 offset:6752
; %bb.717:
	s_or_b64 exec, exec, s[12:13]
	s_waitcnt lgkmcnt(0)
	s_barrier
	s_barrier
	s_and_saveexec_b64 s[12:13], s[34:35]
	s_cbranch_execz .LBB15_719
; %bb.718:
	v_lshlrev_b32_e32 v20, 2, v0
	s_movk_i32 s14, 0xfc
	v_mad_u32_u24 v21, v0, s14, v20
	ds_read_b32 v22, v21 offset:6752
	s_waitcnt lgkmcnt(0)
	ds_write_b32 v20, v22 offset:6248
	ds_read_b32 v21, v21 offset:6756
	s_waitcnt lgkmcnt(0)
	ds_write_b32 v20, v21 offset:6504
.LBB15_719:
	s_or_b64 exec, exec, s[12:13]
	s_waitcnt lgkmcnt(0)
	s_barrier
	s_and_saveexec_b64 s[12:13], vcc
	s_cbranch_execz .LBB15_721
; %bb.720:
	v_mov_b32_e32 v22, 0
	ds_read_b32 v21, v22 offset:6496
	v_mov_b32_e32 v20, 1.0
	ds_write_b32 v22, v20 offset:6500
	s_waitcnt lgkmcnt(1)
	ds_write_b64 v22, v[20:21] offset:6240
.LBB15_721:
	s_or_b64 exec, exec, s[12:13]
	v_mov_b32_e32 v20, 0
	s_waitcnt lgkmcnt(0)
	s_barrier
	buffer_wbinvl1_vol
	s_and_saveexec_b64 s[14:15], s[8:9]
	s_cbranch_execz .LBB15_731
; %bb.722:
	v_lshlrev_b32_e32 v22, 2, v14
	v_lshlrev_b32_e32 v21, 8, v15
	ds_read_b32 v20, v22 offset:6208
	ds_read_b32 v23, v21 offset:6240
	v_cmp_gt_u32_e64 s[12:13], 56, v5
	s_waitcnt lgkmcnt(0)
	v_fma_f32 v20, v20, v23, 0
	s_and_saveexec_b64 s[16:17], s[12:13]
	s_cbranch_execnz .LBB15_1200
; %bb.723:
	s_or_b64 exec, exec, s[16:17]
	v_cmp_gt_u32_e64 s[12:13], 48, v5
	s_and_saveexec_b64 s[16:17], s[12:13]
	s_cbranch_execnz .LBB15_1201
.LBB15_724:
	s_or_b64 exec, exec, s[16:17]
	v_cmp_gt_u32_e64 s[12:13], 40, v5
	s_and_saveexec_b64 s[16:17], s[12:13]
	s_cbranch_execnz .LBB15_1202
.LBB15_725:
	s_or_b64 exec, exec, s[16:17]
	v_cmp_gt_u32_e64 s[12:13], 32, v5
	s_and_saveexec_b64 s[16:17], s[12:13]
	s_cbranch_execnz .LBB15_1203
.LBB15_726:
	s_or_b64 exec, exec, s[16:17]
	v_cmp_gt_u32_e64 s[12:13], 24, v5
	s_and_saveexec_b64 s[16:17], s[12:13]
	s_cbranch_execnz .LBB15_1204
.LBB15_727:
	s_or_b64 exec, exec, s[16:17]
	s_and_saveexec_b64 s[12:13], s[18:19]
	s_cbranch_execnz .LBB15_1205
.LBB15_728:
	s_or_b64 exec, exec, s[12:13]
	v_cmp_gt_u32_e64 s[12:13], 8, v5
	s_and_saveexec_b64 s[16:17], s[12:13]
	s_cbranch_execz .LBB15_730
.LBB15_729:
	v_lshlrev_b32_e32 v21, 2, v0
	v_mov_b32_e32 v22, 0
	ds_read_b32 v21, v21 offset:8000
	ds_read_b32 v22, v22 offset:8060
	s_waitcnt lgkmcnt(0)
	v_fmac_f32_e32 v20, v21, v22
.LBB15_730:
	s_or_b64 exec, exec, s[16:17]
.LBB15_731:
	s_or_b64 exec, exec, s[14:15]
	s_and_saveexec_b64 s[12:13], s[50:51]
; %bb.732:
	v_xor_b32_e32 v21, 0x80000000, v20
	ds_write_b32 v16, v21
; %bb.733:
	s_or_b64 exec, exec, s[12:13]
	s_waitcnt lgkmcnt(0)
	s_barrier
	s_and_saveexec_b64 s[12:13], s[52:53]
	s_cbranch_execz .LBB15_735
; %bb.734:
	v_lshlrev_b32_e32 v21, 2, v14
	ds_read_b32 v21, v21 offset:5952
	ds_read_b32 v22, v16
	s_waitcnt lgkmcnt(0)
	v_fma_f32 v20, -v21, v22, v20
.LBB15_735:
	s_or_b64 exec, exec, s[12:13]
	s_barrier
	s_and_saveexec_b64 s[12:13], s[54:55]
; %bb.736:
	v_xor_b32_e32 v21, 0x80000000, v20
	ds_write_b32 v16, v21
; %bb.737:
	s_or_b64 exec, exec, s[12:13]
	s_waitcnt lgkmcnt(0)
	s_barrier
	s_and_saveexec_b64 s[12:13], s[56:57]
	s_cbranch_execz .LBB15_739
; %bb.738:
	v_lshlrev_b32_e32 v21, 2, v14
	ds_read_b32 v21, v21 offset:5696
	ds_read_b32 v22, v16
	s_waitcnt lgkmcnt(0)
	v_fma_f32 v20, -v21, v22, v20
.LBB15_739:
	s_or_b64 exec, exec, s[12:13]
	s_barrier
	;; [unrolled: 19-line block ×6, first 2 shown]
	s_and_saveexec_b64 s[12:13], s[76:77]
; %bb.756:
	v_xor_b32_e32 v21, 0x80000000, v20
	ds_write_b32 v16, v21
; %bb.757:
	s_or_b64 exec, exec, s[12:13]
	s_waitcnt lgkmcnt(0)
	s_barrier
	s_and_saveexec_b64 s[12:13], s[60:61]
	s_cbranch_execz .LBB15_759
; %bb.758:
	v_mov_b32_e32 v21, 0
	ds_read_b32 v21, v21 offset:4416
	ds_read_b32 v22, v16
	s_waitcnt lgkmcnt(0)
	v_fma_f32 v20, -v21, v22, v20
.LBB15_759:
	s_or_b64 exec, exec, s[12:13]
	s_barrier
	s_and_saveexec_b64 s[12:13], s[60:61]
; %bb.760:
	v_xor_b32_e32 v21, 0x80000000, v20
	ds_write_b32 v16, v21
; %bb.761:
	s_or_b64 exec, exec, s[12:13]
	s_waitcnt lgkmcnt(0)
	s_barrier
	s_barrier
	s_and_saveexec_b64 s[12:13], s[8:9]
; %bb.762:
	v_lshlrev_b32_e32 v21, 2, v14
	v_lshl_or_b32 v21, v15, 8, v21
	ds_write_b32 v21, v20 offset:6208
; %bb.763:
	s_or_b64 exec, exec, s[12:13]
	s_waitcnt lgkmcnt(0)
	s_barrier
	s_barrier
	s_and_saveexec_b64 s[12:13], s[78:79]
	s_cbranch_execz .LBB15_765
; %bb.764:
	v_lshlrev_b32_e32 v20, 8, v0
	ds_read_b32 v21, v20 offset:6208
	s_movk_i32 s14, 0xff04
	v_mad_i32_i24 v22, v0, s14, v20
	s_waitcnt lgkmcnt(0)
	ds_write_b32 v22, v21 offset:4192
	ds_read_b32 v21, v20 offset:6212
	s_waitcnt lgkmcnt(0)
	ds_write_b32 v22, v21 offset:4448
	ds_read_b32 v21, v20 offset:6216
	;; [unrolled: 3-line block ×7, first 2 shown]
	s_waitcnt lgkmcnt(0)
	ds_write_b32 v22, v20 offset:5984
.LBB15_765:
	s_or_b64 exec, exec, s[12:13]
	s_waitcnt lgkmcnt(0)
	s_barrier
	s_and_saveexec_b64 s[12:13], vcc
	s_cbranch_execz .LBB15_767
; %bb.766:
	v_mov_b32_e32 v22, 0
	ds_read_b32 v21, v22 offset:5976
	v_mov_b32_e32 v20, 1.0
	ds_write_b32 v22, v20 offset:5980
	s_waitcnt lgkmcnt(1)
	ds_write_b64 v22, v[20:21] offset:5720
.LBB15_767:
	s_or_b64 exec, exec, s[12:13]
	v_mov_b32_e32 v20, 0
	s_waitcnt lgkmcnt(0)
	s_barrier
	buffer_wbinvl1_vol
	s_and_saveexec_b64 s[14:15], s[2:3]
	s_cbranch_execz .LBB15_771
; %bb.768:
	v_lshlrev_b32_e32 v20, 8, v3
	v_lshlrev_b32_e32 v21, 2, v2
	ds_read_b32 v22, v21 offset:5712
	ds_read_b32 v20, v20 offset:5720
	v_mov_b32_e32 v21, 0
	v_cmp_gt_u32_e64 s[12:13], 2, v5
	s_waitcnt lgkmcnt(0)
	v_fma_f32 v20, v22, v20, 0
	s_and_saveexec_b64 s[16:17], s[12:13]
	s_cbranch_execz .LBB15_770
; %bb.769:
	v_lshlrev_b32_e32 v22, 2, v0
	ds_read_b32 v22, v22 offset:5968
	ds_read_b32 v21, v21 offset:5980
	s_waitcnt lgkmcnt(0)
	v_fmac_f32_e32 v20, v22, v21
.LBB15_770:
	s_or_b64 exec, exec, s[16:17]
.LBB15_771:
	s_or_b64 exec, exec, s[14:15]
	s_and_saveexec_b64 s[12:13], s[30:31]
; %bb.772:
	v_xor_b32_e32 v21, 0x80000000, v20
	ds_write_b32 v4, v21
; %bb.773:
	s_or_b64 exec, exec, s[12:13]
	s_waitcnt lgkmcnt(0)
	s_barrier
	s_and_saveexec_b64 s[12:13], s[26:27]
	s_cbranch_execz .LBB15_775
; %bb.774:
	v_mov_b32_e32 v21, 0
	ds_read_b32 v21, v21 offset:5456
	ds_read_b32 v22, v4
	s_waitcnt lgkmcnt(0)
	v_fma_f32 v20, -v21, v22, v20
.LBB15_775:
	s_or_b64 exec, exec, s[12:13]
	s_barrier
	s_and_saveexec_b64 s[12:13], s[26:27]
; %bb.776:
	v_xor_b32_e32 v21, 0x80000000, v20
	ds_write_b32 v4, v21
; %bb.777:
	s_or_b64 exec, exec, s[12:13]
	s_waitcnt lgkmcnt(0)
	s_barrier
	s_barrier
	s_and_saveexec_b64 s[12:13], s[2:3]
; %bb.778:
	v_lshlrev_b32_e32 v21, 2, v2
	v_lshl_or_b32 v21, v3, 8, v21
	ds_write_b32 v21, v20 offset:5712
; %bb.779:
	s_or_b64 exec, exec, s[12:13]
	s_waitcnt lgkmcnt(0)
	s_barrier
	s_barrier
	s_and_saveexec_b64 s[12:13], s[34:35]
	s_cbranch_execz .LBB15_781
; %bb.780:
	v_lshlrev_b32_e32 v20, 2, v0
	s_movk_i32 s14, 0xfc
	v_mad_u32_u24 v21, v0, s14, v20
	ds_read_b32 v22, v21 offset:5712
	s_waitcnt lgkmcnt(0)
	ds_write_b32 v20, v22 offset:5208
	ds_read_b32 v21, v21 offset:5716
	s_waitcnt lgkmcnt(0)
	ds_write_b32 v20, v21 offset:5464
.LBB15_781:
	s_or_b64 exec, exec, s[12:13]
	s_waitcnt lgkmcnt(0)
	s_barrier
	s_and_saveexec_b64 s[12:13], vcc
	s_cbranch_execz .LBB15_783
; %bb.782:
	v_mov_b32_e32 v22, 0
	ds_read_b32 v21, v22 offset:5456
	v_mov_b32_e32 v20, 1.0
	ds_write_b32 v22, v20 offset:5460
	s_waitcnt lgkmcnt(1)
	ds_write_b64 v22, v[20:21] offset:5200
.LBB15_783:
	s_or_b64 exec, exec, s[12:13]
	v_mov_b32_e32 v20, 0
	s_waitcnt lgkmcnt(0)
	s_barrier
	buffer_wbinvl1_vol
	s_and_saveexec_b64 s[14:15], s[18:19]
	s_cbranch_execz .LBB15_789
; %bb.784:
	v_lshlrev_b32_e32 v22, 2, v11
	v_lshlrev_b32_e32 v21, 8, v12
	ds_read_b32 v20, v22 offset:5184
	ds_read_b32 v23, v21 offset:5200
	v_cmp_gt_u32_e64 s[12:13], 12, v5
	s_waitcnt lgkmcnt(0)
	v_fma_f32 v20, v20, v23, 0
	s_and_saveexec_b64 s[16:17], s[12:13]
	s_cbranch_execnz .LBB15_1206
; %bb.785:
	s_or_b64 exec, exec, s[16:17]
	v_cmp_gt_u32_e64 s[12:13], 8, v5
	s_and_saveexec_b64 s[16:17], s[12:13]
	s_cbranch_execnz .LBB15_1207
.LBB15_786:
	s_or_b64 exec, exec, s[16:17]
	v_cmp_gt_u32_e64 s[12:13], 4, v5
	s_and_saveexec_b64 s[16:17], s[12:13]
	s_cbranch_execz .LBB15_788
.LBB15_787:
	v_lshlrev_b32_e32 v21, 2, v0
	v_mov_b32_e32 v22, 0
	ds_read_b32 v21, v21 offset:5952
	ds_read_b32 v22, v22 offset:5980
	s_waitcnt lgkmcnt(0)
	v_fmac_f32_e32 v20, v21, v22
.LBB15_788:
	s_or_b64 exec, exec, s[16:17]
.LBB15_789:
	s_or_b64 exec, exec, s[14:15]
	s_and_saveexec_b64 s[12:13], s[38:39]
; %bb.790:
	v_xor_b32_e32 v21, 0x80000000, v20
	ds_write_b32 v13, v21
; %bb.791:
	s_or_b64 exec, exec, s[12:13]
	s_waitcnt lgkmcnt(0)
	s_barrier
	s_and_saveexec_b64 s[12:13], s[40:41]
	s_cbranch_execz .LBB15_793
; %bb.792:
	v_lshlrev_b32_e32 v21, 2, v11
	ds_read_b32 v21, v21 offset:4928
	ds_read_b32 v22, v13
	s_waitcnt lgkmcnt(0)
	v_fma_f32 v20, -v21, v22, v20
.LBB15_793:
	s_or_b64 exec, exec, s[12:13]
	s_barrier
	s_and_saveexec_b64 s[12:13], s[42:43]
; %bb.794:
	v_xor_b32_e32 v21, 0x80000000, v20
	ds_write_b32 v13, v21
; %bb.795:
	s_or_b64 exec, exec, s[12:13]
	s_waitcnt lgkmcnt(0)
	s_barrier
	s_and_saveexec_b64 s[12:13], s[44:45]
	s_cbranch_execz .LBB15_797
; %bb.796:
	v_lshlrev_b32_e32 v21, 2, v11
	ds_read_b32 v21, v21 offset:4672
	ds_read_b32 v22, v13
	s_waitcnt lgkmcnt(0)
	v_fma_f32 v20, -v21, v22, v20
.LBB15_797:
	s_or_b64 exec, exec, s[12:13]
	s_barrier
	s_and_saveexec_b64 s[12:13], s[46:47]
; %bb.798:
	v_xor_b32_e32 v21, 0x80000000, v20
	ds_write_b32 v13, v21
; %bb.799:
	s_or_b64 exec, exec, s[12:13]
	s_waitcnt lgkmcnt(0)
	s_barrier
	s_and_saveexec_b64 s[12:13], s[36:37]
	s_cbranch_execz .LBB15_801
; %bb.800:
	v_mov_b32_e32 v21, 0
	ds_read_b32 v21, v21 offset:4416
	ds_read_b32 v22, v13
	s_waitcnt lgkmcnt(0)
	v_fma_f32 v20, -v21, v22, v20
.LBB15_801:
	s_or_b64 exec, exec, s[12:13]
	s_barrier
	s_and_saveexec_b64 s[12:13], s[36:37]
; %bb.802:
	v_xor_b32_e32 v21, 0x80000000, v20
	ds_write_b32 v13, v21
; %bb.803:
	s_or_b64 exec, exec, s[12:13]
	s_waitcnt lgkmcnt(0)
	s_barrier
	s_barrier
	s_and_saveexec_b64 s[12:13], s[18:19]
; %bb.804:
	v_lshlrev_b32_e32 v21, 2, v11
	v_lshl_or_b32 v21, v12, 8, v21
	ds_write_b32 v21, v20 offset:5184
; %bb.805:
	s_or_b64 exec, exec, s[12:13]
	s_waitcnt lgkmcnt(0)
	s_barrier
	s_barrier
	s_and_saveexec_b64 s[12:13], s[48:49]
	s_cbranch_execz .LBB15_807
; %bb.806:
	v_lshlrev_b32_e32 v20, 8, v0
	ds_read_b32 v21, v20 offset:5184
	s_movk_i32 s14, 0xff04
	v_mad_i32_i24 v22, v0, s14, v20
	s_waitcnt lgkmcnt(0)
	ds_write_b32 v22, v21 offset:4176
	ds_read_b32 v21, v20 offset:5188
	s_waitcnt lgkmcnt(0)
	ds_write_b32 v22, v21 offset:4432
	ds_read_b32 v21, v20 offset:5192
	;; [unrolled: 3-line block ×3, first 2 shown]
	s_waitcnt lgkmcnt(0)
	ds_write_b32 v22, v20 offset:4944
.LBB15_807:
	s_or_b64 exec, exec, s[12:13]
	s_waitcnt lgkmcnt(0)
	s_barrier
	s_and_saveexec_b64 s[12:13], vcc
	s_cbranch_execz .LBB15_809
; %bb.808:
	v_mov_b32_e32 v22, 0
	ds_read_b32 v21, v22 offset:4936
	v_mov_b32_e32 v20, 1.0
	ds_write_b32 v22, v20 offset:4940
	s_waitcnt lgkmcnt(1)
	ds_write_b64 v22, v[20:21] offset:4680
.LBB15_809:
	s_or_b64 exec, exec, s[12:13]
	v_mov_b32_e32 v20, 0
	s_waitcnt lgkmcnt(0)
	s_barrier
	buffer_wbinvl1_vol
	s_and_saveexec_b64 s[14:15], s[2:3]
	s_cbranch_execz .LBB15_813
; %bb.810:
	v_lshlrev_b32_e32 v20, 8, v3
	v_lshlrev_b32_e32 v21, 2, v2
	ds_read_b32 v22, v21 offset:4672
	ds_read_b32 v20, v20 offset:4680
	v_mov_b32_e32 v21, 0
	v_cmp_gt_u32_e64 s[12:13], 2, v5
	s_waitcnt lgkmcnt(0)
	v_fma_f32 v20, v22, v20, 0
	s_and_saveexec_b64 s[16:17], s[12:13]
	s_cbranch_execz .LBB15_812
; %bb.811:
	v_lshlrev_b32_e32 v22, 2, v0
	ds_read_b32 v22, v22 offset:4928
	ds_read_b32 v21, v21 offset:4940
	s_waitcnt lgkmcnt(0)
	v_fmac_f32_e32 v20, v22, v21
.LBB15_812:
	s_or_b64 exec, exec, s[16:17]
.LBB15_813:
	s_or_b64 exec, exec, s[14:15]
	s_and_saveexec_b64 s[12:13], s[30:31]
; %bb.814:
	v_xor_b32_e32 v21, 0x80000000, v20
	ds_write_b32 v4, v21
; %bb.815:
	s_or_b64 exec, exec, s[12:13]
	s_waitcnt lgkmcnt(0)
	s_barrier
	s_and_saveexec_b64 s[12:13], s[26:27]
	s_cbranch_execz .LBB15_817
; %bb.816:
	v_mov_b32_e32 v21, 0
	ds_read_b32 v21, v21 offset:4416
	ds_read_b32 v22, v4
	s_waitcnt lgkmcnt(0)
	v_fma_f32 v20, -v21, v22, v20
.LBB15_817:
	s_or_b64 exec, exec, s[12:13]
	s_barrier
	s_and_saveexec_b64 s[12:13], s[26:27]
; %bb.818:
	v_xor_b32_e32 v21, 0x80000000, v20
	ds_write_b32 v4, v21
; %bb.819:
	s_or_b64 exec, exec, s[12:13]
	s_waitcnt lgkmcnt(0)
	s_barrier
	s_barrier
	s_and_saveexec_b64 s[12:13], s[2:3]
; %bb.820:
	v_lshlrev_b32_e32 v21, 2, v2
	v_lshl_or_b32 v21, v3, 8, v21
	ds_write_b32 v21, v20 offset:4672
; %bb.821:
	s_or_b64 exec, exec, s[12:13]
	s_waitcnt lgkmcnt(0)
	s_barrier
	s_barrier
	s_and_saveexec_b64 s[12:13], s[34:35]
	s_cbranch_execz .LBB15_823
; %bb.822:
	v_lshlrev_b32_e32 v20, 2, v0
	s_movk_i32 s14, 0xfc
	v_mad_u32_u24 v21, v0, s14, v20
	ds_read_b32 v22, v21 offset:4672
	s_waitcnt lgkmcnt(0)
	ds_write_b32 v20, v22 offset:4168
	ds_read_b32 v21, v21 offset:4676
	s_waitcnt lgkmcnt(0)
	ds_write_b32 v20, v21 offset:4424
.LBB15_823:
	s_or_b64 exec, exec, s[12:13]
	s_waitcnt lgkmcnt(0)
	s_barrier
	s_and_saveexec_b64 s[12:13], vcc
	s_cbranch_execz .LBB15_825
; %bb.824:
	v_mov_b32_e32 v22, 0
	ds_read_b32 v21, v22 offset:4416
	v_mov_b32_e32 v20, 1.0
	ds_write_b32 v22, v20 offset:4420
	s_waitcnt lgkmcnt(1)
	ds_write_b64 v22, v[20:21] offset:4160
.LBB15_825:
	s_or_b64 exec, exec, s[12:13]
	v_mov_b32_e32 v20, 0
	s_waitcnt lgkmcnt(0)
	s_barrier
	buffer_wbinvl1_vol
	s_and_saveexec_b64 s[14:15], s[10:11]
	s_cbranch_execz .LBB15_853
; %bb.826:
	v_lshlrev_b32_e32 v22, 2, v17
	v_lshlrev_b32_e32 v21, 8, v18
	ds_read_b32 v20, v22 offset:4096
	ds_read_b32 v23, v21 offset:4160
	s_movk_i32 s12, 0xf0
	v_cmp_gt_u32_e64 s[12:13], s12, v5
	s_waitcnt lgkmcnt(0)
	v_fma_f32 v20, v20, v23, 0
	s_and_saveexec_b64 s[16:17], s[12:13]
	s_cbranch_execz .LBB15_828
; %bb.827:
	ds_read_b32 v23, v22 offset:4352
	ds_read_b32 v24, v21 offset:4164
	s_waitcnt lgkmcnt(0)
	v_fmac_f32_e32 v20, v23, v24
.LBB15_828:
	s_or_b64 exec, exec, s[16:17]
	s_movk_i32 s12, 0xe0
	v_cmp_gt_u32_e64 s[12:13], s12, v5
	s_and_saveexec_b64 s[16:17], s[12:13]
	s_cbranch_execz .LBB15_830
; %bb.829:
	ds_read_b32 v23, v22 offset:4608
	ds_read_b32 v24, v21 offset:4168
	s_waitcnt lgkmcnt(0)
	v_fmac_f32_e32 v20, v23, v24
.LBB15_830:
	s_or_b64 exec, exec, s[16:17]
	s_movk_i32 s12, 0xd0
	v_cmp_gt_u32_e64 s[12:13], s12, v5
	;; [unrolled: 11-line block ×10, first 2 shown]
	s_and_saveexec_b64 s[16:17], s[12:13]
	s_cbranch_execnz .LBB15_1208
; %bb.847:
	s_or_b64 exec, exec, s[16:17]
	s_and_saveexec_b64 s[12:13], s[8:9]
	s_cbranch_execnz .LBB15_1209
.LBB15_848:
	s_or_b64 exec, exec, s[12:13]
	v_cmp_gt_u32_e64 s[12:13], 48, v5
	s_and_saveexec_b64 s[16:17], s[12:13]
	s_cbranch_execnz .LBB15_1210
.LBB15_849:
	s_or_b64 exec, exec, s[16:17]
	v_cmp_gt_u32_e64 s[12:13], 32, v5
	s_and_saveexec_b64 s[16:17], s[12:13]
	s_cbranch_execnz .LBB15_1211
.LBB15_850:
	s_or_b64 exec, exec, s[16:17]
	v_cmp_gt_u32_e64 s[12:13], 16, v5
	s_and_saveexec_b64 s[16:17], s[12:13]
	s_cbranch_execz .LBB15_852
.LBB15_851:
	v_lshlrev_b32_e32 v21, 2, v0
	v_mov_b32_e32 v22, 0
	ds_read_b32 v21, v21 offset:7936
	ds_read_b32 v22, v22 offset:8060
	s_waitcnt lgkmcnt(0)
	v_fmac_f32_e32 v20, v21, v22
.LBB15_852:
	s_or_b64 exec, exec, s[16:17]
.LBB15_853:
	s_or_b64 exec, exec, s[14:15]
	s_mov_b64 s[12:13], exec
	v_readlane_b32 s14, v28, 2
	v_readlane_b32 s15, v28, 3
	s_and_b64 s[14:15], s[12:13], s[14:15]
	s_mov_b64 exec, s[14:15]
; %bb.854:
	v_xor_b32_e32 v21, 0x80000000, v20
	ds_write_b32 v19, v21
; %bb.855:
	s_or_b64 exec, exec, s[12:13]
	s_waitcnt lgkmcnt(0)
	s_barrier
	s_mov_b64 s[12:13], exec
	v_readlane_b32 s14, v28, 4
	v_readlane_b32 s15, v28, 5
	s_and_b64 s[14:15], s[12:13], s[14:15]
	s_mov_b64 exec, s[14:15]
	s_cbranch_execz .LBB15_857
; %bb.856:
	v_lshlrev_b32_e32 v21, 2, v17
	ds_read_b32 v21, v21 offset:3840
	ds_read_b32 v22, v19
	s_waitcnt lgkmcnt(0)
	v_fma_f32 v20, -v21, v22, v20
.LBB15_857:
	s_or_b64 exec, exec, s[12:13]
	s_barrier
	s_mov_b64 s[12:13], exec
	v_readlane_b32 s14, v28, 6
	v_readlane_b32 s15, v28, 7
	s_and_b64 s[14:15], s[12:13], s[14:15]
	s_mov_b64 exec, s[14:15]
; %bb.858:
	v_xor_b32_e32 v21, 0x80000000, v20
	ds_write_b32 v19, v21
; %bb.859:
	s_or_b64 exec, exec, s[12:13]
	s_waitcnt lgkmcnt(0)
	s_barrier
	s_mov_b64 s[12:13], exec
	v_readlane_b32 s14, v28, 8
	v_readlane_b32 s15, v28, 9
	s_and_b64 s[14:15], s[12:13], s[14:15]
	s_mov_b64 exec, s[14:15]
	s_cbranch_execz .LBB15_861
; %bb.860:
	v_lshlrev_b32_e32 v21, 2, v17
	ds_read_b32 v21, v21 offset:3584
	ds_read_b32 v22, v19
	s_waitcnt lgkmcnt(0)
	v_fma_f32 v20, -v21, v22, v20
.LBB15_861:
	s_or_b64 exec, exec, s[12:13]
	s_barrier
	;; [unrolled: 27-line block ×12, first 2 shown]
	s_mov_b64 s[12:13], exec
	v_readlane_b32 s14, v28, 50
	v_readlane_b32 s15, v28, 51
	s_and_b64 s[14:15], s[12:13], s[14:15]
	s_mov_b64 exec, s[14:15]
; %bb.902:
	v_xor_b32_e32 v21, 0x80000000, v20
	ds_write_b32 v19, v21
; %bb.903:
	s_or_b64 exec, exec, s[12:13]
	s_waitcnt lgkmcnt(0)
	s_barrier
	s_and_saveexec_b64 s[12:13], s[0:1]
	s_cbranch_execz .LBB15_905
; %bb.904:
	v_lshlrev_b32_e32 v21, 2, v17
	ds_read_b32 v21, v21 offset:768
	ds_read_b32 v22, v19
	s_waitcnt lgkmcnt(0)
	v_fma_f32 v20, -v21, v22, v20
.LBB15_905:
	s_or_b64 exec, exec, s[12:13]
	s_barrier
	s_and_saveexec_b64 s[0:1], s[80:81]
; %bb.906:
	v_xor_b32_e32 v21, 0x80000000, v20
	ds_write_b32 v19, v21
; %bb.907:
	s_or_b64 exec, exec, s[0:1]
	s_waitcnt lgkmcnt(0)
	s_barrier
	s_and_saveexec_b64 s[0:1], s[82:83]
	s_cbranch_execz .LBB15_909
; %bb.908:
	v_lshlrev_b32_e32 v21, 2, v17
	ds_read_b32 v21, v21 offset:512
	ds_read_b32 v22, v19
	s_waitcnt lgkmcnt(0)
	v_fma_f32 v20, -v21, v22, v20
.LBB15_909:
	s_or_b64 exec, exec, s[0:1]
	s_barrier
	s_and_saveexec_b64 s[0:1], s[84:85]
; %bb.910:
	v_xor_b32_e32 v21, 0x80000000, v20
	ds_write_b32 v19, v21
; %bb.911:
	s_or_b64 exec, exec, s[0:1]
	s_waitcnt lgkmcnt(0)
	s_barrier
	s_and_saveexec_b64 s[0:1], s[86:87]
	s_cbranch_execz .LBB15_913
; %bb.912:
	v_mov_b32_e32 v21, 0
	ds_read_b32 v21, v21 offset:256
	ds_read_b32 v22, v19
	s_waitcnt lgkmcnt(0)
	v_fma_f32 v20, -v21, v22, v20
.LBB15_913:
	s_or_b64 exec, exec, s[0:1]
	s_barrier
	s_and_saveexec_b64 s[0:1], s[86:87]
; %bb.914:
	v_xor_b32_e32 v21, 0x80000000, v20
	ds_write_b32 v19, v21
; %bb.915:
	s_or_b64 exec, exec, s[0:1]
	s_waitcnt lgkmcnt(0)
	s_barrier
	s_barrier
	s_and_saveexec_b64 s[0:1], s[10:11]
; %bb.916:
	v_lshlrev_b32_e32 v17, 2, v17
	v_lshl_or_b32 v17, v18, 8, v17
	ds_write_b32 v17, v20 offset:4096
; %bb.917:
	s_or_b64 exec, exec, s[0:1]
	s_waitcnt lgkmcnt(0)
	s_barrier
	s_barrier
	s_and_saveexec_b64 s[0:1], s[88:89]
	s_cbranch_execz .LBB15_919
; %bb.918:
	v_lshlrev_b32_e32 v17, 8, v0
	ds_read_b32 v18, v17 offset:4096
	s_movk_i32 s10, 0xff04
	v_mad_i32_i24 v19, v0, s10, v17
	s_waitcnt lgkmcnt(0)
	ds_write_b32 v19, v18 offset:64
	ds_read_b32 v18, v17 offset:4100
	s_waitcnt lgkmcnt(0)
	ds_write_b32 v19, v18 offset:320
	ds_read_b32 v18, v17 offset:4104
	;; [unrolled: 3-line block ×15, first 2 shown]
	s_waitcnt lgkmcnt(0)
	ds_write_b32 v19, v17 offset:3904
.LBB15_919:
	s_or_b64 exec, exec, s[0:1]
	s_waitcnt lgkmcnt(0)
	s_barrier
	s_and_saveexec_b64 s[0:1], vcc
	s_cbranch_execz .LBB15_921
; %bb.920:
	v_mov_b32_e32 v19, 0
	ds_read_b32 v18, v19 offset:3896
	v_mov_b32_e32 v17, 1.0
	ds_write_b32 v19, v17 offset:3900
	s_waitcnt lgkmcnt(1)
	ds_write_b64 v19, v[17:18] offset:3640
.LBB15_921:
	s_or_b64 exec, exec, s[0:1]
	v_mov_b32_e32 v17, 0
	s_waitcnt lgkmcnt(0)
	s_barrier
	buffer_wbinvl1_vol
	s_and_saveexec_b64 s[0:1], s[2:3]
	s_cbranch_execz .LBB15_925
; %bb.922:
	v_lshlrev_b32_e32 v17, 8, v3
	v_lshlrev_b32_e32 v18, 2, v2
	ds_read_b32 v19, v18 offset:3632
	ds_read_b32 v17, v17 offset:3640
	v_mov_b32_e32 v18, 0
	v_cmp_gt_u32_e64 s[10:11], 2, v5
	s_waitcnt lgkmcnt(0)
	v_fma_f32 v17, v19, v17, 0
	s_and_saveexec_b64 s[12:13], s[10:11]
	s_cbranch_execz .LBB15_924
; %bb.923:
	v_lshlrev_b32_e32 v19, 2, v0
	ds_read_b32 v19, v19 offset:3888
	ds_read_b32 v18, v18 offset:3900
	s_waitcnt lgkmcnt(0)
	v_fmac_f32_e32 v17, v19, v18
.LBB15_924:
	s_or_b64 exec, exec, s[12:13]
.LBB15_925:
	s_or_b64 exec, exec, s[0:1]
	s_and_saveexec_b64 s[0:1], s[30:31]
; %bb.926:
	v_xor_b32_e32 v18, 0x80000000, v17
	ds_write_b32 v4, v18
; %bb.927:
	s_or_b64 exec, exec, s[0:1]
	s_waitcnt lgkmcnt(0)
	s_barrier
	s_and_saveexec_b64 s[0:1], s[26:27]
	s_cbranch_execz .LBB15_929
; %bb.928:
	v_mov_b32_e32 v18, 0
	ds_read_b32 v18, v18 offset:3376
	ds_read_b32 v19, v4
	s_waitcnt lgkmcnt(0)
	v_fma_f32 v17, -v18, v19, v17
.LBB15_929:
	s_or_b64 exec, exec, s[0:1]
	s_barrier
	s_and_saveexec_b64 s[0:1], s[26:27]
; %bb.930:
	v_xor_b32_e32 v18, 0x80000000, v17
	ds_write_b32 v4, v18
; %bb.931:
	s_or_b64 exec, exec, s[0:1]
	s_waitcnt lgkmcnt(0)
	s_barrier
	s_barrier
	s_and_saveexec_b64 s[0:1], s[2:3]
; %bb.932:
	v_lshlrev_b32_e32 v18, 2, v2
	v_lshl_or_b32 v18, v3, 8, v18
	ds_write_b32 v18, v17 offset:3632
; %bb.933:
	s_or_b64 exec, exec, s[0:1]
	s_waitcnt lgkmcnt(0)
	s_barrier
	s_barrier
	s_and_saveexec_b64 s[0:1], s[34:35]
	s_cbranch_execz .LBB15_935
; %bb.934:
	v_lshlrev_b32_e32 v17, 2, v0
	s_movk_i32 s10, 0xfc
	v_mad_u32_u24 v18, v0, s10, v17
	ds_read_b32 v19, v18 offset:3632
	s_waitcnt lgkmcnt(0)
	ds_write_b32 v17, v19 offset:3128
	ds_read_b32 v18, v18 offset:3636
	s_waitcnt lgkmcnt(0)
	ds_write_b32 v17, v18 offset:3384
.LBB15_935:
	s_or_b64 exec, exec, s[0:1]
	s_waitcnt lgkmcnt(0)
	s_barrier
	s_and_saveexec_b64 s[0:1], vcc
	s_cbranch_execz .LBB15_937
; %bb.936:
	v_mov_b32_e32 v19, 0
	ds_read_b32 v18, v19 offset:3376
	v_mov_b32_e32 v17, 1.0
	ds_write_b32 v19, v17 offset:3380
	s_waitcnt lgkmcnt(1)
	ds_write_b64 v19, v[17:18] offset:3120
.LBB15_937:
	s_or_b64 exec, exec, s[0:1]
	v_mov_b32_e32 v17, 0
	s_waitcnt lgkmcnt(0)
	s_barrier
	buffer_wbinvl1_vol
	s_and_saveexec_b64 s[0:1], s[18:19]
	s_cbranch_execz .LBB15_943
; %bb.938:
	v_lshlrev_b32_e32 v19, 2, v11
	v_lshlrev_b32_e32 v18, 8, v12
	ds_read_b32 v17, v19 offset:3104
	ds_read_b32 v20, v18 offset:3120
	v_cmp_gt_u32_e64 s[10:11], 12, v5
	s_waitcnt lgkmcnt(0)
	v_fma_f32 v17, v17, v20, 0
	s_and_saveexec_b64 s[12:13], s[10:11]
	s_cbranch_execnz .LBB15_1212
; %bb.939:
	s_or_b64 exec, exec, s[12:13]
	v_cmp_gt_u32_e64 s[10:11], 8, v5
	s_and_saveexec_b64 s[12:13], s[10:11]
	s_cbranch_execnz .LBB15_1213
.LBB15_940:
	s_or_b64 exec, exec, s[12:13]
	v_cmp_gt_u32_e64 s[10:11], 4, v5
	s_and_saveexec_b64 s[12:13], s[10:11]
	s_cbranch_execz .LBB15_942
.LBB15_941:
	v_lshlrev_b32_e32 v18, 2, v0
	v_mov_b32_e32 v19, 0
	ds_read_b32 v18, v18 offset:3872
	ds_read_b32 v19, v19 offset:3900
	s_waitcnt lgkmcnt(0)
	v_fmac_f32_e32 v17, v18, v19
.LBB15_942:
	s_or_b64 exec, exec, s[12:13]
.LBB15_943:
	s_or_b64 exec, exec, s[0:1]
	s_and_saveexec_b64 s[0:1], s[38:39]
; %bb.944:
	v_xor_b32_e32 v18, 0x80000000, v17
	ds_write_b32 v13, v18
; %bb.945:
	s_or_b64 exec, exec, s[0:1]
	s_waitcnt lgkmcnt(0)
	s_barrier
	s_and_saveexec_b64 s[0:1], s[40:41]
	s_cbranch_execz .LBB15_947
; %bb.946:
	v_lshlrev_b32_e32 v18, 2, v11
	ds_read_b32 v18, v18 offset:2848
	ds_read_b32 v19, v13
	s_waitcnt lgkmcnt(0)
	v_fma_f32 v17, -v18, v19, v17
.LBB15_947:
	s_or_b64 exec, exec, s[0:1]
	s_barrier
	s_and_saveexec_b64 s[0:1], s[42:43]
; %bb.948:
	v_xor_b32_e32 v18, 0x80000000, v17
	ds_write_b32 v13, v18
; %bb.949:
	s_or_b64 exec, exec, s[0:1]
	s_waitcnt lgkmcnt(0)
	s_barrier
	s_and_saveexec_b64 s[0:1], s[44:45]
	s_cbranch_execz .LBB15_951
; %bb.950:
	v_lshlrev_b32_e32 v18, 2, v11
	ds_read_b32 v18, v18 offset:2592
	ds_read_b32 v19, v13
	s_waitcnt lgkmcnt(0)
	v_fma_f32 v17, -v18, v19, v17
.LBB15_951:
	s_or_b64 exec, exec, s[0:1]
	s_barrier
	s_and_saveexec_b64 s[0:1], s[46:47]
; %bb.952:
	v_xor_b32_e32 v18, 0x80000000, v17
	ds_write_b32 v13, v18
; %bb.953:
	s_or_b64 exec, exec, s[0:1]
	s_waitcnt lgkmcnt(0)
	s_barrier
	s_and_saveexec_b64 s[0:1], s[36:37]
	s_cbranch_execz .LBB15_955
; %bb.954:
	v_mov_b32_e32 v18, 0
	ds_read_b32 v18, v18 offset:2336
	ds_read_b32 v19, v13
	s_waitcnt lgkmcnt(0)
	v_fma_f32 v17, -v18, v19, v17
.LBB15_955:
	s_or_b64 exec, exec, s[0:1]
	s_barrier
	s_and_saveexec_b64 s[0:1], s[36:37]
; %bb.956:
	v_xor_b32_e32 v18, 0x80000000, v17
	ds_write_b32 v13, v18
; %bb.957:
	s_or_b64 exec, exec, s[0:1]
	s_waitcnt lgkmcnt(0)
	s_barrier
	s_barrier
	s_and_saveexec_b64 s[0:1], s[18:19]
; %bb.958:
	v_lshlrev_b32_e32 v18, 2, v11
	v_lshl_or_b32 v18, v12, 8, v18
	ds_write_b32 v18, v17 offset:3104
; %bb.959:
	s_or_b64 exec, exec, s[0:1]
	s_waitcnt lgkmcnt(0)
	s_barrier
	s_barrier
	s_and_saveexec_b64 s[0:1], s[48:49]
	s_cbranch_execz .LBB15_961
; %bb.960:
	v_lshlrev_b32_e32 v17, 8, v0
	ds_read_b32 v18, v17 offset:3104
	s_movk_i32 s10, 0xff04
	v_mad_i32_i24 v19, v0, s10, v17
	s_waitcnt lgkmcnt(0)
	ds_write_b32 v19, v18 offset:2096
	ds_read_b32 v18, v17 offset:3108
	s_waitcnt lgkmcnt(0)
	ds_write_b32 v19, v18 offset:2352
	ds_read_b32 v18, v17 offset:3112
	;; [unrolled: 3-line block ×3, first 2 shown]
	s_waitcnt lgkmcnt(0)
	ds_write_b32 v19, v17 offset:2864
.LBB15_961:
	s_or_b64 exec, exec, s[0:1]
	s_waitcnt lgkmcnt(0)
	s_barrier
	s_and_saveexec_b64 s[0:1], vcc
	s_cbranch_execz .LBB15_963
; %bb.962:
	v_mov_b32_e32 v19, 0
	ds_read_b32 v18, v19 offset:2856
	v_mov_b32_e32 v17, 1.0
	ds_write_b32 v19, v17 offset:2860
	s_waitcnt lgkmcnt(1)
	ds_write_b64 v19, v[17:18] offset:2600
.LBB15_963:
	s_or_b64 exec, exec, s[0:1]
	v_mov_b32_e32 v17, 0
	s_waitcnt lgkmcnt(0)
	s_barrier
	buffer_wbinvl1_vol
	s_and_saveexec_b64 s[0:1], s[2:3]
	s_cbranch_execz .LBB15_967
; %bb.964:
	v_lshlrev_b32_e32 v17, 8, v3
	v_lshlrev_b32_e32 v18, 2, v2
	ds_read_b32 v19, v18 offset:2592
	ds_read_b32 v17, v17 offset:2600
	v_mov_b32_e32 v18, 0
	v_cmp_gt_u32_e64 s[10:11], 2, v5
	s_waitcnt lgkmcnt(0)
	v_fma_f32 v17, v19, v17, 0
	s_and_saveexec_b64 s[12:13], s[10:11]
	s_cbranch_execz .LBB15_966
; %bb.965:
	v_lshlrev_b32_e32 v19, 2, v0
	ds_read_b32 v19, v19 offset:2848
	ds_read_b32 v18, v18 offset:2860
	s_waitcnt lgkmcnt(0)
	v_fmac_f32_e32 v17, v19, v18
.LBB15_966:
	s_or_b64 exec, exec, s[12:13]
.LBB15_967:
	s_or_b64 exec, exec, s[0:1]
	s_and_saveexec_b64 s[0:1], s[30:31]
; %bb.968:
	v_xor_b32_e32 v18, 0x80000000, v17
	ds_write_b32 v4, v18
; %bb.969:
	s_or_b64 exec, exec, s[0:1]
	s_waitcnt lgkmcnt(0)
	s_barrier
	s_and_saveexec_b64 s[0:1], s[26:27]
	s_cbranch_execz .LBB15_971
; %bb.970:
	v_mov_b32_e32 v18, 0
	ds_read_b32 v18, v18 offset:2336
	ds_read_b32 v19, v4
	s_waitcnt lgkmcnt(0)
	v_fma_f32 v17, -v18, v19, v17
.LBB15_971:
	s_or_b64 exec, exec, s[0:1]
	s_barrier
	s_and_saveexec_b64 s[0:1], s[26:27]
; %bb.972:
	v_xor_b32_e32 v18, 0x80000000, v17
	ds_write_b32 v4, v18
; %bb.973:
	s_or_b64 exec, exec, s[0:1]
	s_waitcnt lgkmcnt(0)
	s_barrier
	s_barrier
	s_and_saveexec_b64 s[0:1], s[2:3]
; %bb.974:
	v_lshlrev_b32_e32 v18, 2, v2
	v_lshl_or_b32 v18, v3, 8, v18
	ds_write_b32 v18, v17 offset:2592
; %bb.975:
	s_or_b64 exec, exec, s[0:1]
	s_waitcnt lgkmcnt(0)
	s_barrier
	s_barrier
	s_and_saveexec_b64 s[0:1], s[34:35]
	s_cbranch_execz .LBB15_977
; %bb.976:
	v_lshlrev_b32_e32 v17, 2, v0
	s_movk_i32 s10, 0xfc
	v_mad_u32_u24 v18, v0, s10, v17
	ds_read_b32 v19, v18 offset:2592
	s_waitcnt lgkmcnt(0)
	ds_write_b32 v17, v19 offset:2088
	ds_read_b32 v18, v18 offset:2596
	s_waitcnt lgkmcnt(0)
	ds_write_b32 v17, v18 offset:2344
.LBB15_977:
	s_or_b64 exec, exec, s[0:1]
	s_waitcnt lgkmcnt(0)
	s_barrier
	s_and_saveexec_b64 s[0:1], vcc
	s_cbranch_execz .LBB15_979
; %bb.978:
	v_mov_b32_e32 v19, 0
	ds_read_b32 v18, v19 offset:2336
	v_mov_b32_e32 v17, 1.0
	ds_write_b32 v19, v17 offset:2340
	s_waitcnt lgkmcnt(1)
	ds_write_b64 v19, v[17:18] offset:2080
.LBB15_979:
	s_or_b64 exec, exec, s[0:1]
	v_mov_b32_e32 v17, 0
	s_waitcnt lgkmcnt(0)
	s_barrier
	buffer_wbinvl1_vol
	s_and_saveexec_b64 s[0:1], s[8:9]
	s_cbranch_execz .LBB15_989
; %bb.980:
	v_lshlrev_b32_e32 v19, 2, v14
	v_lshlrev_b32_e32 v18, 8, v15
	ds_read_b32 v17, v19 offset:2048
	ds_read_b32 v20, v18 offset:2080
	v_cmp_gt_u32_e64 s[10:11], 56, v5
	s_waitcnt lgkmcnt(0)
	v_fma_f32 v17, v17, v20, 0
	s_and_saveexec_b64 s[12:13], s[10:11]
	s_cbranch_execnz .LBB15_1214
; %bb.981:
	s_or_b64 exec, exec, s[12:13]
	v_cmp_gt_u32_e64 s[10:11], 48, v5
	s_and_saveexec_b64 s[12:13], s[10:11]
	s_cbranch_execnz .LBB15_1215
.LBB15_982:
	s_or_b64 exec, exec, s[12:13]
	v_cmp_gt_u32_e64 s[10:11], 40, v5
	s_and_saveexec_b64 s[12:13], s[10:11]
	s_cbranch_execnz .LBB15_1216
.LBB15_983:
	s_or_b64 exec, exec, s[12:13]
	v_cmp_gt_u32_e64 s[10:11], 32, v5
	s_and_saveexec_b64 s[12:13], s[10:11]
	s_cbranch_execnz .LBB15_1217
.LBB15_984:
	s_or_b64 exec, exec, s[12:13]
	v_cmp_gt_u32_e64 s[10:11], 24, v5
	s_and_saveexec_b64 s[12:13], s[10:11]
	s_cbranch_execnz .LBB15_1218
.LBB15_985:
	s_or_b64 exec, exec, s[12:13]
	s_and_saveexec_b64 s[10:11], s[18:19]
	s_cbranch_execnz .LBB15_1219
.LBB15_986:
	s_or_b64 exec, exec, s[10:11]
	v_cmp_gt_u32_e64 s[10:11], 8, v5
	s_and_saveexec_b64 s[12:13], s[10:11]
	s_cbranch_execz .LBB15_988
.LBB15_987:
	v_lshlrev_b32_e32 v18, 2, v0
	v_mov_b32_e32 v19, 0
	ds_read_b32 v18, v18 offset:3840
	ds_read_b32 v19, v19 offset:3900
	s_waitcnt lgkmcnt(0)
	v_fmac_f32_e32 v17, v18, v19
.LBB15_988:
	s_or_b64 exec, exec, s[12:13]
.LBB15_989:
	s_or_b64 exec, exec, s[0:1]
	s_and_saveexec_b64 s[0:1], s[50:51]
; %bb.990:
	v_xor_b32_e32 v18, 0x80000000, v17
	ds_write_b32 v16, v18
; %bb.991:
	s_or_b64 exec, exec, s[0:1]
	s_waitcnt lgkmcnt(0)
	s_barrier
	s_and_saveexec_b64 s[0:1], s[52:53]
	s_cbranch_execz .LBB15_993
; %bb.992:
	v_lshlrev_b32_e32 v18, 2, v14
	ds_read_b32 v18, v18 offset:1792
	ds_read_b32 v19, v16
	s_waitcnt lgkmcnt(0)
	v_fma_f32 v17, -v18, v19, v17
.LBB15_993:
	s_or_b64 exec, exec, s[0:1]
	s_barrier
	s_and_saveexec_b64 s[0:1], s[54:55]
; %bb.994:
	v_xor_b32_e32 v18, 0x80000000, v17
	ds_write_b32 v16, v18
; %bb.995:
	s_or_b64 exec, exec, s[0:1]
	s_waitcnt lgkmcnt(0)
	s_barrier
	s_and_saveexec_b64 s[0:1], s[56:57]
	s_cbranch_execz .LBB15_997
; %bb.996:
	v_lshlrev_b32_e32 v18, 2, v14
	ds_read_b32 v18, v18 offset:1536
	ds_read_b32 v19, v16
	s_waitcnt lgkmcnt(0)
	v_fma_f32 v17, -v18, v19, v17
.LBB15_997:
	s_or_b64 exec, exec, s[0:1]
	s_barrier
	;; [unrolled: 19-line block ×6, first 2 shown]
	s_and_saveexec_b64 s[0:1], s[76:77]
; %bb.1014:
	v_xor_b32_e32 v18, 0x80000000, v17
	ds_write_b32 v16, v18
; %bb.1015:
	s_or_b64 exec, exec, s[0:1]
	s_waitcnt lgkmcnt(0)
	s_barrier
	s_and_saveexec_b64 s[0:1], s[60:61]
	s_cbranch_execz .LBB15_1017
; %bb.1016:
	v_mov_b32_e32 v18, 0
	ds_read_b32 v18, v18 offset:256
	ds_read_b32 v19, v16
	s_waitcnt lgkmcnt(0)
	v_fma_f32 v17, -v18, v19, v17
.LBB15_1017:
	s_or_b64 exec, exec, s[0:1]
	s_barrier
	s_and_saveexec_b64 s[0:1], s[60:61]
; %bb.1018:
	v_xor_b32_e32 v18, 0x80000000, v17
	ds_write_b32 v16, v18
; %bb.1019:
	s_or_b64 exec, exec, s[0:1]
	s_waitcnt lgkmcnt(0)
	s_barrier
	s_barrier
	s_and_saveexec_b64 s[0:1], s[8:9]
; %bb.1020:
	v_lshlrev_b32_e32 v14, 2, v14
	v_lshl_or_b32 v14, v15, 8, v14
	ds_write_b32 v14, v17 offset:2048
; %bb.1021:
	s_or_b64 exec, exec, s[0:1]
	s_waitcnt lgkmcnt(0)
	s_barrier
	s_barrier
	s_and_saveexec_b64 s[0:1], s[78:79]
	s_cbranch_execz .LBB15_1023
; %bb.1022:
	v_lshlrev_b32_e32 v14, 8, v0
	ds_read_b32 v15, v14 offset:2048
	s_movk_i32 s8, 0xff04
	v_mad_i32_i24 v16, v0, s8, v14
	s_waitcnt lgkmcnt(0)
	ds_write_b32 v16, v15 offset:32
	ds_read_b32 v15, v14 offset:2052
	s_waitcnt lgkmcnt(0)
	ds_write_b32 v16, v15 offset:288
	ds_read_b32 v15, v14 offset:2056
	;; [unrolled: 3-line block ×7, first 2 shown]
	s_waitcnt lgkmcnt(0)
	ds_write_b32 v16, v14 offset:1824
.LBB15_1023:
	s_or_b64 exec, exec, s[0:1]
	s_waitcnt lgkmcnt(0)
	s_barrier
	s_and_saveexec_b64 s[0:1], vcc
	s_cbranch_execz .LBB15_1025
; %bb.1024:
	v_mov_b32_e32 v16, 0
	ds_read_b32 v15, v16 offset:1816
	v_mov_b32_e32 v14, 1.0
	ds_write_b32 v16, v14 offset:1820
	s_waitcnt lgkmcnt(1)
	ds_write_b64 v16, v[14:15] offset:1560
.LBB15_1025:
	s_or_b64 exec, exec, s[0:1]
	v_mov_b32_e32 v14, 0
	s_waitcnt lgkmcnt(0)
	s_barrier
	buffer_wbinvl1_vol
	s_and_saveexec_b64 s[0:1], s[2:3]
	s_cbranch_execz .LBB15_1029
; %bb.1026:
	v_lshlrev_b32_e32 v14, 8, v3
	v_lshlrev_b32_e32 v15, 2, v2
	ds_read_b32 v16, v15 offset:1552
	ds_read_b32 v14, v14 offset:1560
	v_mov_b32_e32 v15, 0
	v_cmp_gt_u32_e64 s[8:9], 2, v5
	s_waitcnt lgkmcnt(0)
	v_fma_f32 v14, v16, v14, 0
	s_and_saveexec_b64 s[10:11], s[8:9]
	s_cbranch_execz .LBB15_1028
; %bb.1027:
	v_lshlrev_b32_e32 v16, 2, v0
	ds_read_b32 v16, v16 offset:1808
	ds_read_b32 v15, v15 offset:1820
	s_waitcnt lgkmcnt(0)
	v_fmac_f32_e32 v14, v16, v15
.LBB15_1028:
	s_or_b64 exec, exec, s[10:11]
.LBB15_1029:
	s_or_b64 exec, exec, s[0:1]
	s_and_saveexec_b64 s[0:1], s[30:31]
; %bb.1030:
	v_xor_b32_e32 v15, 0x80000000, v14
	ds_write_b32 v4, v15
; %bb.1031:
	s_or_b64 exec, exec, s[0:1]
	s_waitcnt lgkmcnt(0)
	s_barrier
	s_and_saveexec_b64 s[0:1], s[26:27]
	s_cbranch_execz .LBB15_1033
; %bb.1032:
	v_mov_b32_e32 v15, 0
	ds_read_b32 v15, v15 offset:1296
	ds_read_b32 v16, v4
	s_waitcnt lgkmcnt(0)
	v_fma_f32 v14, -v15, v16, v14
.LBB15_1033:
	s_or_b64 exec, exec, s[0:1]
	s_barrier
	s_and_saveexec_b64 s[0:1], s[26:27]
; %bb.1034:
	v_xor_b32_e32 v15, 0x80000000, v14
	ds_write_b32 v4, v15
; %bb.1035:
	s_or_b64 exec, exec, s[0:1]
	s_waitcnt lgkmcnt(0)
	s_barrier
	s_barrier
	s_and_saveexec_b64 s[0:1], s[2:3]
; %bb.1036:
	v_lshlrev_b32_e32 v15, 2, v2
	v_lshl_or_b32 v15, v3, 8, v15
	ds_write_b32 v15, v14 offset:1552
; %bb.1037:
	s_or_b64 exec, exec, s[0:1]
	s_waitcnt lgkmcnt(0)
	s_barrier
	s_barrier
	s_and_saveexec_b64 s[0:1], s[34:35]
	s_cbranch_execz .LBB15_1039
; %bb.1038:
	v_lshlrev_b32_e32 v14, 2, v0
	s_movk_i32 s8, 0xfc
	v_mad_u32_u24 v15, v0, s8, v14
	ds_read_b32 v16, v15 offset:1552
	s_waitcnt lgkmcnt(0)
	ds_write_b32 v14, v16 offset:1048
	ds_read_b32 v15, v15 offset:1556
	s_waitcnt lgkmcnt(0)
	ds_write_b32 v14, v15 offset:1304
.LBB15_1039:
	s_or_b64 exec, exec, s[0:1]
	s_waitcnt lgkmcnt(0)
	s_barrier
	s_and_saveexec_b64 s[0:1], vcc
	s_cbranch_execz .LBB15_1041
; %bb.1040:
	v_mov_b32_e32 v16, 0
	ds_read_b32 v15, v16 offset:1296
	v_mov_b32_e32 v14, 1.0
	ds_write_b32 v16, v14 offset:1300
	s_waitcnt lgkmcnt(1)
	ds_write_b64 v16, v[14:15] offset:1040
.LBB15_1041:
	s_or_b64 exec, exec, s[0:1]
	v_mov_b32_e32 v14, 0
	s_waitcnt lgkmcnt(0)
	s_barrier
	buffer_wbinvl1_vol
	s_and_saveexec_b64 s[0:1], s[18:19]
	s_cbranch_execz .LBB15_1047
; %bb.1042:
	v_lshlrev_b32_e32 v16, 2, v11
	v_lshlrev_b32_e32 v15, 8, v12
	ds_read_b32 v14, v16 offset:1024
	ds_read_b32 v17, v15 offset:1040
	v_cmp_gt_u32_e64 s[8:9], 12, v5
	s_waitcnt lgkmcnt(0)
	v_fma_f32 v14, v14, v17, 0
	s_and_saveexec_b64 s[10:11], s[8:9]
	s_cbranch_execnz .LBB15_1220
; %bb.1043:
	s_or_b64 exec, exec, s[10:11]
	v_cmp_gt_u32_e64 s[8:9], 8, v5
	s_and_saveexec_b64 s[10:11], s[8:9]
	s_cbranch_execnz .LBB15_1221
.LBB15_1044:
	s_or_b64 exec, exec, s[10:11]
	v_cmp_gt_u32_e64 s[8:9], 4, v5
	s_and_saveexec_b64 s[10:11], s[8:9]
	s_cbranch_execz .LBB15_1046
.LBB15_1045:
	v_lshlrev_b32_e32 v15, 2, v0
	v_mov_b32_e32 v16, 0
	ds_read_b32 v15, v15 offset:1792
	ds_read_b32 v16, v16 offset:1820
	s_waitcnt lgkmcnt(0)
	v_fmac_f32_e32 v14, v15, v16
.LBB15_1046:
	s_or_b64 exec, exec, s[10:11]
.LBB15_1047:
	s_or_b64 exec, exec, s[0:1]
	s_and_saveexec_b64 s[0:1], s[38:39]
; %bb.1048:
	v_xor_b32_e32 v15, 0x80000000, v14
	ds_write_b32 v13, v15
; %bb.1049:
	s_or_b64 exec, exec, s[0:1]
	s_waitcnt lgkmcnt(0)
	s_barrier
	s_and_saveexec_b64 s[0:1], s[40:41]
	s_load_dword s20, s[4:5], 0x6c
	v_readlane_b32 s38, v28, 0
	v_readlane_b32 s39, v28, 1
	s_cbranch_execz .LBB15_1051
; %bb.1050:
	v_lshlrev_b32_e32 v15, 2, v11
	ds_read_b32 v15, v15 offset:768
	ds_read_b32 v16, v13
	s_waitcnt lgkmcnt(0)
	v_fma_f32 v14, -v15, v16, v14
.LBB15_1051:
	s_or_b64 exec, exec, s[0:1]
	s_waitcnt lgkmcnt(0)
	s_barrier
	s_and_saveexec_b64 s[0:1], s[42:43]
; %bb.1052:
	v_xor_b32_e32 v15, 0x80000000, v14
	ds_write_b32 v13, v15
; %bb.1053:
	s_or_b64 exec, exec, s[0:1]
	s_waitcnt lgkmcnt(0)
	s_barrier
	s_and_saveexec_b64 s[0:1], s[44:45]
	s_cbranch_execz .LBB15_1055
; %bb.1054:
	v_lshlrev_b32_e32 v15, 2, v11
	ds_read_b32 v15, v15 offset:512
	ds_read_b32 v16, v13
	s_waitcnt lgkmcnt(0)
	v_fma_f32 v14, -v15, v16, v14
.LBB15_1055:
	s_or_b64 exec, exec, s[0:1]
	s_barrier
	s_and_saveexec_b64 s[0:1], s[46:47]
; %bb.1056:
	v_xor_b32_e32 v15, 0x80000000, v14
	ds_write_b32 v13, v15
; %bb.1057:
	s_or_b64 exec, exec, s[0:1]
	s_waitcnt lgkmcnt(0)
	s_barrier
	s_and_saveexec_b64 s[0:1], s[36:37]
	s_cbranch_execz .LBB15_1059
; %bb.1058:
	v_mov_b32_e32 v15, 0
	ds_read_b32 v15, v15 offset:256
	ds_read_b32 v16, v13
	s_waitcnt lgkmcnt(0)
	v_fma_f32 v14, -v15, v16, v14
.LBB15_1059:
	s_or_b64 exec, exec, s[0:1]
	s_barrier
	s_and_saveexec_b64 s[0:1], s[36:37]
; %bb.1060:
	v_xor_b32_e32 v15, 0x80000000, v14
	ds_write_b32 v13, v15
; %bb.1061:
	s_or_b64 exec, exec, s[0:1]
	s_waitcnt lgkmcnt(0)
	s_barrier
	s_barrier
	s_and_saveexec_b64 s[0:1], s[18:19]
; %bb.1062:
	v_lshlrev_b32_e32 v11, 2, v11
	v_lshl_or_b32 v11, v12, 8, v11
	ds_write_b32 v11, v14 offset:1024
; %bb.1063:
	s_or_b64 exec, exec, s[0:1]
	s_waitcnt lgkmcnt(0)
	s_barrier
	s_barrier
	s_and_saveexec_b64 s[0:1], s[48:49]
	s_cbranch_execz .LBB15_1065
; %bb.1064:
	v_lshlrev_b32_e32 v11, 8, v0
	ds_read_b32 v12, v11 offset:1024
	s_movk_i32 s8, 0xff04
	v_mad_i32_i24 v13, v0, s8, v11
	s_waitcnt lgkmcnt(0)
	ds_write_b32 v13, v12 offset:16
	ds_read_b32 v12, v11 offset:1028
	s_waitcnt lgkmcnt(0)
	ds_write_b32 v13, v12 offset:272
	ds_read_b32 v12, v11 offset:1032
	;; [unrolled: 3-line block ×3, first 2 shown]
	s_waitcnt lgkmcnt(0)
	ds_write_b32 v13, v11 offset:784
.LBB15_1065:
	s_or_b64 exec, exec, s[0:1]
	s_waitcnt lgkmcnt(0)
	s_barrier
	s_and_saveexec_b64 s[0:1], vcc
	s_cbranch_execz .LBB15_1067
; %bb.1066:
	v_mov_b32_e32 v13, 0
	ds_read_b32 v12, v13 offset:776
	v_mov_b32_e32 v11, 1.0
	ds_write_b32 v13, v11 offset:780
	s_waitcnt lgkmcnt(1)
	ds_write_b64 v13, v[11:12] offset:520
.LBB15_1067:
	s_or_b64 exec, exec, s[0:1]
	v_mov_b32_e32 v11, 0
	s_waitcnt lgkmcnt(0)
	s_barrier
	buffer_wbinvl1_vol
	s_and_saveexec_b64 s[0:1], s[2:3]
	s_cbranch_execz .LBB15_1071
; %bb.1068:
	v_lshlrev_b32_e32 v11, 8, v3
	v_lshlrev_b32_e32 v12, 2, v2
	ds_read_b32 v13, v12 offset:512
	ds_read_b32 v11, v11 offset:520
	v_mov_b32_e32 v12, 0
	v_cmp_gt_u32_e64 s[8:9], 2, v5
	s_waitcnt lgkmcnt(0)
	v_fma_f32 v11, v13, v11, 0
	s_and_saveexec_b64 s[10:11], s[8:9]
	s_cbranch_execz .LBB15_1070
; %bb.1069:
	v_lshlrev_b32_e32 v5, 2, v0
	ds_read_b32 v5, v5 offset:768
	ds_read_b32 v12, v12 offset:780
	s_waitcnt lgkmcnt(0)
	v_fmac_f32_e32 v11, v5, v12
.LBB15_1070:
	s_or_b64 exec, exec, s[10:11]
.LBB15_1071:
	s_or_b64 exec, exec, s[0:1]
	s_and_saveexec_b64 s[0:1], s[30:31]
; %bb.1072:
	v_xor_b32_e32 v5, 0x80000000, v11
	ds_write_b32 v4, v5
; %bb.1073:
	s_or_b64 exec, exec, s[0:1]
	s_waitcnt lgkmcnt(0)
	s_barrier
	s_and_saveexec_b64 s[0:1], s[26:27]
	s_cbranch_execz .LBB15_1075
; %bb.1074:
	v_mov_b32_e32 v5, 0
	ds_read_b32 v5, v5 offset:256
	ds_read_b32 v12, v4
	s_waitcnt lgkmcnt(0)
	v_fma_f32 v11, -v5, v12, v11
.LBB15_1075:
	s_or_b64 exec, exec, s[0:1]
	s_barrier
	s_and_saveexec_b64 s[0:1], s[26:27]
; %bb.1076:
	v_xor_b32_e32 v5, 0x80000000, v11
	ds_write_b32 v4, v5
; %bb.1077:
	s_or_b64 exec, exec, s[0:1]
	s_waitcnt lgkmcnt(0)
	s_barrier
	s_barrier
	s_and_saveexec_b64 s[0:1], s[2:3]
; %bb.1078:
	v_lshlrev_b32_e32 v2, 2, v2
	v_lshl_or_b32 v2, v3, 8, v2
	ds_write_b32 v2, v11 offset:512
; %bb.1079:
	s_or_b64 exec, exec, s[0:1]
	s_waitcnt lgkmcnt(0)
	s_barrier
	s_barrier
	s_and_saveexec_b64 s[0:1], s[34:35]
	s_cbranch_execz .LBB15_1081
; %bb.1080:
	v_lshlrev_b32_e32 v2, 2, v0
	s_movk_i32 s2, 0xfc
	v_mad_u32_u24 v3, v0, s2, v2
	ds_read_b32 v4, v3 offset:512
	s_waitcnt lgkmcnt(0)
	ds_write_b32 v2, v4 offset:8
	ds_read_b32 v3, v3 offset:516
	s_waitcnt lgkmcnt(0)
	ds_write_b32 v2, v3 offset:264
.LBB15_1081:
	s_or_b64 exec, exec, s[0:1]
	s_waitcnt lgkmcnt(0)
	s_barrier
	s_and_saveexec_b64 s[0:1], vcc
	s_cbranch_execz .LBB15_1083
; %bb.1082:
	v_mov_b32_e32 v4, 0
	ds_read_b32 v3, v4 offset:256
	v_mov_b32_e32 v2, 1.0
	ds_write_b32 v4, v2 offset:260
	s_waitcnt lgkmcnt(1)
	ds_write_b64 v4, v[2:3]
.LBB15_1083:
	s_or_b64 exec, exec, s[0:1]
.LBB15_1084:
	s_load_dwordx8 s[12:19], s[4:5], 0x30
	s_load_dwordx2 s[0:1], s[4:5], 0x50
	v_cmp_le_i32_e32 vcc, s7, v0
	v_mov_b32_e32 v12, 0
	v_lshl_add_u32 v2, s6, 6, v0
	s_waitcnt lgkmcnt(0)
	s_mul_i32 s3, s19, s28
	s_mul_hi_u32 s8, s18, s28
	s_mul_i32 s2, s18, s28
	s_add_i32 s3, s8, s3
	s_lshl_b64 s[2:3], s[2:3], 2
	s_add_u32 s8, s12, s2
	s_addc_u32 s9, s13, s3
	s_lshl_b64 s[2:3], s[14:15], 2
	s_add_u32 s26, s8, s2
	s_addc_u32 s27, s9, s3
	s_and_b64 s[14:15], vcc, s[22:23]
	v_cmp_eq_u32_e64 s[2:3], 0, v1
	s_xor_b64 s[8:9], s[14:15], -1
	s_and_b64 s[10:11], s[2:3], s[8:9]
	s_barrier
	s_and_saveexec_b64 s[8:9], s[10:11]
	s_cbranch_execz .LBB15_1086
; %bb.1085:
	v_ashrrev_i32_e32 v5, 31, v2
	v_mul_lo_u32 v11, s17, v2
	v_mad_u64_u32 v[3:4], s[10:11], s16, v2, 0
	v_mul_lo_u32 v5, s16, v5
	s_load_dword s4, s[4:5], 0x28
	v_add3_u32 v4, v4, v5, v11
	v_lshlrev_b64 v[3:4], 2, v[3:4]
	v_mov_b32_e32 v5, s27
	v_add_co_u32_e32 v3, vcc, s26, v3
	v_addc_co_u32_e32 v4, vcc, v5, v4, vcc
	global_load_dword v3, v[3:4], off
	s_waitcnt vmcnt(0) lgkmcnt(0)
	v_mul_f32_e64 v12, v3, -s4
.LBB15_1086:
	s_or_b64 exec, exec, s[8:9]
	s_and_b32 s4, 0xffff, s20
	v_mad_u32_u24 v11, v1, s4, v0
	s_cmp_lt_i32 s6, 1
	v_cmp_eq_u32_e64 s[4:5], 0, v11
	s_cbranch_scc1 .LBB15_1112
; %bb.1087:
	v_mad_u64_u32 v[3:4], s[8:9], s24, v2, 0
	s_mov_b32 s24, 0
	v_cmp_gt_u32_e64 s[12:13], 64, v11
	v_mad_u64_u32 v[4:5], s[8:9], s25, v2, v[4:5]
	s_lshl_b64 s[8:9], s[28:29], 2
	s_add_u32 s18, s0, s8
	s_addc_u32 s19, s1, s9
	v_cmp_gt_i32_e64 s[8:9], s33, v2
	v_lshlrev_b64 v[2:3], 2, v[3:4]
	v_mov_b32_e32 v5, 0x5000
	v_mov_b32_e32 v4, s95
	v_add_co_u32_e32 v15, vcc, s94, v2
	v_lshl_add_u32 v13, v11, 2, v5
	v_lshl_or_b32 v14, v1, 2, v5
	s_add_i32 s25, s6, -1
	v_addc_co_u32_e32 v16, vcc, v4, v3, vcc
	v_mov_b32_e32 v17, -1
	v_mov_b32_e32 v3, 0
	s_branch .LBB15_1090
.LBB15_1088:                            ;   in Loop: Header=BB15_1090 Depth=1
	ds_read_b32 v4, v14 offset:192
	s_waitcnt vmcnt(0) lgkmcnt(0)
	v_fmac_f32_e32 v12, v2, v4
.LBB15_1089:                            ;   in Loop: Header=BB15_1090 Depth=1
	s_or_b64 exec, exec, s[20:21]
	s_add_i32 s24, s24, 1
	s_cmp_eq_u32 s24, s6
	s_cbranch_scc1 .LBB15_1112
.LBB15_1090:                            ; =>This Loop Header: Depth=1
                                        ;     Child Loop BB15_1092 Depth 2
	v_cmp_gt_i32_e32 vcc, s24, v17
	s_and_b64 s[20:21], s[4:5], vcc
	s_and_saveexec_b64 s[10:11], s[20:21]
	s_cbranch_execz .LBB15_1093
; %bb.1091:                             ;   in Loop: Header=BB15_1090 Depth=1
	global_load_dword v17, v3, s[18:19]
	s_waitcnt vmcnt(0)
	v_cmp_le_i32_e32 vcc, s24, v17
	s_cbranch_vccnz .LBB15_1093
.LBB15_1092:                            ;   Parent Loop BB15_1090 Depth=1
                                        ; =>  This Inner Loop Header: Depth=2
	buffer_wbinvl1_vol
	global_load_dword v17, v3, s[18:19]
	s_waitcnt vmcnt(0)
	v_cmp_gt_i32_e32 vcc, s24, v17
	s_cbranch_vccnz .LBB15_1092
.LBB15_1093:                            ;   in Loop: Header=BB15_1090 Depth=1
	s_or_b64 exec, exec, s[10:11]
	s_lshl_b32 s30, s24, 6
	buffer_wbinvl1_vol
	s_barrier
	s_and_saveexec_b64 s[10:11], s[12:13]
	s_cbranch_execz .LBB15_1097
; %bb.1094:                             ;   in Loop: Header=BB15_1090 Depth=1
	v_or_b32_e32 v4, s30, v11
	v_cmp_gt_i32_e32 vcc, s33, v4
	v_mov_b32_e32 v2, 0
	s_and_saveexec_b64 s[20:21], vcc
	s_cbranch_execz .LBB15_1096
; %bb.1095:                             ;   in Loop: Header=BB15_1090 Depth=1
	v_mad_u64_u32 v[18:19], s[34:35], s16, v4, 0
	v_mov_b32_e32 v2, v19
	v_mad_u64_u32 v[4:5], s[34:35], s17, v4, v[2:3]
	v_mov_b32_e32 v2, s27
	v_mov_b32_e32 v19, v4
	v_lshlrev_b64 v[4:5], 2, v[18:19]
	v_add_co_u32_e32 v4, vcc, s26, v4
	v_addc_co_u32_e32 v5, vcc, v2, v5, vcc
	global_load_dword v2, v[4:5], off
.LBB15_1096:                            ;   in Loop: Header=BB15_1090 Depth=1
	s_or_b64 exec, exec, s[20:21]
	s_waitcnt vmcnt(0)
	ds_write_b32 v13, v2
.LBB15_1097:                            ;   in Loop: Header=BB15_1090 Depth=1
	s_or_b64 exec, exec, s[10:11]
	v_add_u32_e32 v2, s30, v1
	v_lshlrev_b64 v[4:5], 2, v[2:3]
	s_cmp_lg_u32 s24, s25
	v_add_co_u32_e32 v4, vcc, v15, v4
	s_cselect_b64 s[10:11], -1, 0
	v_addc_co_u32_e32 v5, vcc, v16, v5, vcc
	v_cmp_gt_i32_e32 vcc, s33, v2
	v_cndmask_b32_e64 v18, 0, 1, s[10:11]
	s_and_b64 s[30:31], vcc, s[8:9]
	v_cmp_ne_u32_e64 s[10:11], 1, v18
	s_waitcnt lgkmcnt(0)
	s_barrier
	s_and_saveexec_b64 s[20:21], s[30:31]
	s_cbranch_execz .LBB15_1101
; %bb.1098:                             ;   in Loop: Header=BB15_1090 Depth=1
	s_and_b64 vcc, exec, s[10:11]
	v_mov_b32_e32 v18, v8
	s_cbranch_vccnz .LBB15_1100
; %bb.1099:                             ;   in Loop: Header=BB15_1090 Depth=1
	global_load_dword v18, v[4:5], off
.LBB15_1100:                            ;   in Loop: Header=BB15_1090 Depth=1
	ds_read_b32 v19, v14
	s_waitcnt vmcnt(0) lgkmcnt(0)
	v_fmac_f32_e32 v12, v18, v19
.LBB15_1101:                            ;   in Loop: Header=BB15_1090 Depth=1
	s_or_b64 exec, exec, s[20:21]
	v_add_u32_e32 v18, 16, v2
	v_cmp_gt_i32_e32 vcc, s33, v18
	s_and_b64 s[30:31], vcc, s[8:9]
	s_and_saveexec_b64 s[20:21], s[30:31]
	s_cbranch_execz .LBB15_1105
; %bb.1102:                             ;   in Loop: Header=BB15_1090 Depth=1
	s_and_b64 vcc, exec, s[10:11]
	v_mov_b32_e32 v18, v7
	s_cbranch_vccnz .LBB15_1104
; %bb.1103:                             ;   in Loop: Header=BB15_1090 Depth=1
	global_load_dword v18, v[4:5], off offset:64
.LBB15_1104:                            ;   in Loop: Header=BB15_1090 Depth=1
	ds_read_b32 v19, v14 offset:64
	s_waitcnt vmcnt(0) lgkmcnt(0)
	v_fmac_f32_e32 v12, v18, v19
.LBB15_1105:                            ;   in Loop: Header=BB15_1090 Depth=1
	s_or_b64 exec, exec, s[20:21]
	v_add_u32_e32 v18, 32, v2
	v_cmp_gt_i32_e32 vcc, s33, v18
	s_and_b64 s[30:31], vcc, s[8:9]
	s_and_saveexec_b64 s[20:21], s[30:31]
	s_cbranch_execz .LBB15_1109
; %bb.1106:                             ;   in Loop: Header=BB15_1090 Depth=1
	s_and_b64 vcc, exec, s[10:11]
	v_mov_b32_e32 v18, v10
	s_cbranch_vccnz .LBB15_1108
; %bb.1107:                             ;   in Loop: Header=BB15_1090 Depth=1
	global_load_dword v18, v[4:5], off offset:128
.LBB15_1108:                            ;   in Loop: Header=BB15_1090 Depth=1
	ds_read_b32 v19, v14 offset:128
	s_waitcnt vmcnt(0) lgkmcnt(0)
	v_fmac_f32_e32 v12, v18, v19
.LBB15_1109:                            ;   in Loop: Header=BB15_1090 Depth=1
	s_or_b64 exec, exec, s[20:21]
	v_add_u32_e32 v2, 48, v2
	v_cmp_gt_i32_e32 vcc, s33, v2
	s_and_b64 s[30:31], vcc, s[8:9]
	s_and_saveexec_b64 s[20:21], s[30:31]
	s_cbranch_execz .LBB15_1089
; %bb.1110:                             ;   in Loop: Header=BB15_1090 Depth=1
	s_and_b64 vcc, exec, s[10:11]
	v_mov_b32_e32 v2, v9
	s_cbranch_vccnz .LBB15_1088
; %bb.1111:                             ;   in Loop: Header=BB15_1090 Depth=1
	global_load_dword v2, v[4:5], off offset:192
	s_branch .LBB15_1088
.LBB15_1112:
	v_lshl_add_u32 v2, v1, 6, v0
	s_xor_b64 s[4:5], s[22:23], -1
	v_lshlrev_b32_e32 v2, 2, v2
	ds_write_b32 v2, v12 offset:16384
	s_waitcnt lgkmcnt(0)
	s_barrier
	s_and_saveexec_b64 s[8:9], s[2:3]
	s_cbranch_execz .LBB15_1114
; %bb.1113:
	v_lshlrev_b32_e32 v5, 2, v0
	ds_read2st64_b32 v[3:4], v5 offset0:65 offset1:66
	ds_read2st64_b32 v[7:8], v5 offset0:67 offset1:68
	;; [unrolled: 1-line block ×5, first 2 shown]
	s_waitcnt lgkmcnt(4)
	v_add_f32_e32 v3, v12, v3
	v_add_f32_e32 v3, v3, v4
	s_waitcnt lgkmcnt(3)
	v_add_f32_e32 v3, v3, v7
	v_add_f32_e32 v3, v3, v8
	;; [unrolled: 3-line block ×4, first 2 shown]
	ds_read2st64_b32 v[3:4], v5 offset0:75 offset1:76
	ds_read2st64_b32 v[7:8], v5 offset0:77 offset1:78
	ds_read_b32 v5, v5 offset:20224
	s_waitcnt lgkmcnt(3)
	v_add_f32_e32 v9, v9, v15
	v_add_f32_e32 v9, v9, v16
	s_waitcnt lgkmcnt(2)
	v_add_f32_e32 v3, v9, v3
	v_add_f32_e32 v3, v3, v4
	;; [unrolled: 3-line block ×3, first 2 shown]
	s_waitcnt lgkmcnt(0)
	v_add_f32_e32 v3, v3, v5
	v_cndmask_b32_e64 v12, -v3, 0, s[14:15]
.LBB15_1114:
	s_or_b64 exec, exec, s[8:9]
	s_and_b64 vcc, exec, s[38:39]
	s_cbranch_vccnz .LBB15_1128
; %bb.1115:
	v_mov_b32_e32 v3, 0x5000
	v_lshl_or_b32 v4, v1, 2, v3
	s_and_saveexec_b64 s[8:9], s[2:3]
; %bb.1116:
	v_lshl_add_u32 v3, v0, 2, v4
	ds_write_b32 v3, v12
; %bb.1117:
	s_or_b64 exec, exec, s[8:9]
	v_cmp_le_u32_e32 vcc, v1, v0
	v_mov_b32_e32 v3, 0
	s_waitcnt lgkmcnt(0)
	s_barrier
	s_and_saveexec_b64 s[8:9], vcc
	s_cbranch_execz .LBB15_1119
; %bb.1118:
	ds_read_b32 v3, v2
	ds_read_b32 v5, v4
	s_waitcnt lgkmcnt(0)
	v_fma_f32 v3, v3, v5, 0
.LBB15_1119:
	s_or_b64 exec, exec, s[8:9]
	v_add_u32_e32 v5, 16, v1
	v_cmp_ge_u32_e32 vcc, v0, v5
	s_and_saveexec_b64 s[8:9], vcc
	s_cbranch_execz .LBB15_1121
; %bb.1120:
	ds_read_b32 v5, v2 offset:4096
	ds_read_b32 v7, v4 offset:64
	s_waitcnt lgkmcnt(0)
	v_fmac_f32_e32 v3, v5, v7
.LBB15_1121:
	s_or_b64 exec, exec, s[8:9]
	v_add_u32_e32 v5, 32, v1
	v_cmp_ge_u32_e32 vcc, v0, v5
	s_and_saveexec_b64 s[8:9], vcc
	s_cbranch_execz .LBB15_1123
; %bb.1122:
	ds_read_b32 v5, v2 offset:8192
	ds_read_b32 v7, v4 offset:128
	s_waitcnt lgkmcnt(0)
	v_fmac_f32_e32 v3, v5, v7
.LBB15_1123:
	s_or_b64 exec, exec, s[8:9]
	v_add_u32_e32 v1, 48, v1
	v_add_u32_e32 v5, 0x4000, v2
	v_cmp_ge_u32_e32 vcc, v0, v1
	s_and_saveexec_b64 s[8:9], vcc
	s_cbranch_execz .LBB15_1125
; %bb.1124:
	ds_read_b32 v1, v2 offset:12288
	ds_read_b32 v2, v4 offset:192
	s_waitcnt lgkmcnt(0)
	v_fmac_f32_e32 v3, v1, v2
.LBB15_1125:
	s_or_b64 exec, exec, s[8:9]
	s_mov_b64 s[10:11], 0
	s_mov_b64 s[8:9], 0
	ds_write_b32 v5, v3
	s_waitcnt lgkmcnt(0)
	s_barrier
                                        ; implicit-def: $vgpr4
                                        ; implicit-def: $vgpr1_vgpr2
	s_and_saveexec_b64 s[12:13], s[2:3]
	s_cbranch_execz .LBB15_1161
; %bb.1126:
	v_lshlrev_b32_e32 v13, 2, v0
	ds_read2st64_b32 v[1:2], v13 offset0:65 offset1:66
	ds_read2st64_b32 v[4:5], v13 offset0:67 offset1:68
	ds_read2st64_b32 v[7:8], v13 offset0:69 offset1:70
	ds_read2st64_b32 v[9:10], v13 offset0:71 offset1:72
	s_mov_b64 s[8:9], exec
	s_waitcnt lgkmcnt(3)
	v_add_f32_e32 v1, v3, v1
	v_add_f32_e32 v1, v2, v1
	s_waitcnt lgkmcnt(2)
	v_add_f32_e32 v1, v4, v1
	v_add_f32_e32 v1, v5, v1
	ds_read2st64_b32 v[2:3], v13 offset0:73 offset1:74
	s_waitcnt lgkmcnt(2)
	v_add_f32_e32 v1, v7, v1
	v_add_f32_e32 v1, v8, v1
	s_waitcnt lgkmcnt(1)
	v_add_f32_e32 v1, v9, v1
	v_add_f32_e32 v1, v10, v1
	ds_read2st64_b32 v[4:5], v13 offset0:75 offset1:76
	ds_read2st64_b32 v[7:8], v13 offset0:77 offset1:78
	ds_read_b32 v9, v13 offset:20224
	v_lshl_add_u32 v13, s6, 6, v11
	s_waitcnt lgkmcnt(3)
	v_add_f32_e32 v10, v2, v1
	v_mad_u64_u32 v[1:2], s[14:15], s16, v13, 0
	v_add_f32_e32 v3, v3, v10
	s_waitcnt lgkmcnt(2)
	v_add_f32_e32 v3, v4, v3
	v_add_f32_e32 v4, v5, v3
	v_mad_u64_u32 v[2:3], s[14:15], s17, v13, v[2:3]
	s_waitcnt lgkmcnt(1)
	v_add_f32_e32 v3, v7, v4
	v_add_f32_e32 v3, v8, v3
	s_waitcnt lgkmcnt(0)
	v_add_f32_e32 v4, v9, v3
	s_or_b64 exec, exec, s[12:13]
	s_and_b64 vcc, exec, s[10:11]
	s_cbranch_vccnz .LBB15_1129
	s_branch .LBB15_1162
.LBB15_1127:
	v_mad_u64_u32 v[12:13], s[2:3], s24, v5, 0
	s_or_b64 s[10:11], s[10:11], exec
	v_mov_b32_e32 v4, v13
	v_mad_u64_u32 v[4:5], s[2:3], s25, v5, v[4:5]
	v_mov_b32_e32 v13, v4
	v_lshlrev_b64 v[4:5], 2, v[12:13]
	v_add_co_u32_e32 v2, vcc, v2, v4
	v_addc_co_u32_e32 v3, vcc, v3, v5, vcc
	global_load_dword v2, v[2:3], off
	s_waitcnt vmcnt(0)
	v_xor_b32_e32 v4, 0x80000000, v2
	s_or_b64 exec, exec, s[8:9]
	s_xor_b64 s[0:1], s[0:1], -1
	s_and_saveexec_b64 s[2:3], s[10:11]
	s_cbranch_execnz .LBB15_45
	s_branch .LBB15_46
.LBB15_1128:
	s_mov_b64 s[8:9], 0
                                        ; implicit-def: $vgpr4
                                        ; implicit-def: $vgpr1_vgpr2
	s_cbranch_execz .LBB15_1162
.LBB15_1129:
	s_mov_b32 s12, 0
	v_mov_b32_e32 v1, 0
	v_mov_b32_e32 v2, v0
	s_branch .LBB15_1131
.LBB15_1130:                            ;   in Loop: Header=BB15_1131 Depth=1
	s_or_b64 exec, exec, s[10:11]
	s_add_i32 s12, s12, 4
	v_add_u32_e32 v6, 0x400, v6
	s_cmp_lg_u32 s12, 64
	v_add_u32_e32 v2, -4, v2
	s_barrier
	s_cbranch_scc0 .LBB15_1147
.LBB15_1131:                            ; =>This Inner Loop Header: Depth=1
	v_cmp_eq_u32_e32 vcc, 0, v2
	s_and_b64 s[14:15], s[2:3], vcc
	s_and_saveexec_b64 s[10:11], s[14:15]
; %bb.1132:                             ;   in Loop: Header=BB15_1131 Depth=1
	ds_write_b32 v1, v12 offset:20736
; %bb.1133:                             ;   in Loop: Header=BB15_1131 Depth=1
	s_or_b64 exec, exec, s[10:11]
	v_cmp_lt_u32_e32 vcc, s12, v0
	s_and_b64 s[14:15], s[2:3], vcc
	s_waitcnt lgkmcnt(0)
	s_barrier
	s_and_saveexec_b64 s[10:11], s[14:15]
	s_cbranch_execz .LBB15_1135
; %bb.1134:                             ;   in Loop: Header=BB15_1131 Depth=1
	ds_read_b32 v3, v6
	ds_read_b32 v4, v1 offset:20736
	s_waitcnt lgkmcnt(0)
	v_fmac_f32_e32 v12, v3, v4
.LBB15_1135:                            ;   in Loop: Header=BB15_1131 Depth=1
	s_or_b64 exec, exec, s[10:11]
	s_or_b32 s13, s12, 1
	v_cmp_eq_u32_e32 vcc, s13, v0
	s_and_b64 s[14:15], s[2:3], vcc
	s_barrier
	s_and_saveexec_b64 s[10:11], s[14:15]
; %bb.1136:                             ;   in Loop: Header=BB15_1131 Depth=1
	ds_write_b32 v1, v12 offset:20736
; %bb.1137:                             ;   in Loop: Header=BB15_1131 Depth=1
	s_or_b64 exec, exec, s[10:11]
	v_cmp_lt_u32_e32 vcc, s13, v0
	s_and_b64 s[14:15], s[2:3], vcc
	s_waitcnt lgkmcnt(0)
	s_barrier
	s_and_saveexec_b64 s[10:11], s[14:15]
	s_cbranch_execz .LBB15_1139
; %bb.1138:                             ;   in Loop: Header=BB15_1131 Depth=1
	ds_read_b32 v3, v6 offset:256
	ds_read_b32 v4, v1 offset:20736
	s_waitcnt lgkmcnt(0)
	v_fmac_f32_e32 v12, v3, v4
.LBB15_1139:                            ;   in Loop: Header=BB15_1131 Depth=1
	s_or_b64 exec, exec, s[10:11]
	s_or_b32 s13, s12, 2
	v_cmp_eq_u32_e32 vcc, s13, v0
	s_and_b64 s[14:15], s[2:3], vcc
	s_barrier
	s_and_saveexec_b64 s[10:11], s[14:15]
; %bb.1140:                             ;   in Loop: Header=BB15_1131 Depth=1
	ds_write_b32 v1, v12 offset:20736
; %bb.1141:                             ;   in Loop: Header=BB15_1131 Depth=1
	s_or_b64 exec, exec, s[10:11]
	v_cmp_lt_u32_e32 vcc, s13, v0
	s_and_b64 s[14:15], s[2:3], vcc
	s_waitcnt lgkmcnt(0)
	s_barrier
	s_and_saveexec_b64 s[10:11], s[14:15]
	s_cbranch_execz .LBB15_1143
; %bb.1142:                             ;   in Loop: Header=BB15_1131 Depth=1
	ds_read_b32 v3, v6 offset:512
	ds_read_b32 v4, v1 offset:20736
	s_waitcnt lgkmcnt(0)
	v_fmac_f32_e32 v12, v3, v4
.LBB15_1143:                            ;   in Loop: Header=BB15_1131 Depth=1
	s_or_b64 exec, exec, s[10:11]
	s_or_b32 s13, s12, 3
	v_cmp_eq_u32_e32 vcc, s13, v0
	s_and_b64 s[14:15], s[2:3], vcc
	s_barrier
	s_and_saveexec_b64 s[10:11], s[14:15]
; %bb.1144:                             ;   in Loop: Header=BB15_1131 Depth=1
	ds_write_b32 v1, v12 offset:20736
; %bb.1145:                             ;   in Loop: Header=BB15_1131 Depth=1
	s_or_b64 exec, exec, s[10:11]
	v_cmp_lt_u32_e32 vcc, s13, v0
	s_and_b64 s[14:15], s[2:3], vcc
	s_waitcnt lgkmcnt(0)
	s_barrier
	s_and_saveexec_b64 s[10:11], s[14:15]
	s_cbranch_execz .LBB15_1130
; %bb.1146:                             ;   in Loop: Header=BB15_1131 Depth=1
	ds_read_b32 v3, v6 offset:768
	ds_read_b32 v4, v1 offset:20736
	s_waitcnt lgkmcnt(0)
	v_fmac_f32_e32 v12, v3, v4
	s_branch .LBB15_1130
.LBB15_1147:
	s_and_b64 vcc, exec, s[4:5]
	s_cbranch_vccz .LBB15_1163
; %bb.1148:
	s_and_b64 s[4:5], s[2:3], exec
	s_cbranch_execz .LBB15_1164
	s_branch .LBB15_1165
.LBB15_1149:
	v_or_b32_e32 v11, v1, v0
	v_cmp_gt_u32_e32 vcc, 64, v11
	s_and_b64 s[10:11], vcc, exec
	s_andn2_saveexec_b64 s[8:9], s[8:9]
	s_cbranch_execz .LBB15_14
.LBB15_1150:
	v_mad_u64_u32 v[11:12], s[12:13], s24, v1, 0
	s_or_b64 s[10:11], s[10:11], exec
	v_mov_b32_e32 v5, v12
	v_mad_u64_u32 v[12:13], s[12:13], s25, v1, v[5:6]
	v_lshlrev_b64 v[11:12], 2, v[11:12]
	v_add_co_u32_e32 v11, vcc, v2, v11
	v_addc_co_u32_e32 v12, vcc, v3, v12, vcc
	global_load_dword v5, v[11:12], off
	s_waitcnt vmcnt(0)
	v_xor_b32_e32 v5, 0x80000000, v5
	s_or_b64 exec, exec, s[8:9]
	s_and_saveexec_b64 s[8:9], s[10:11]
	s_cbranch_execnz .LBB15_15
	s_branch .LBB15_16
.LBB15_1151:
	v_or_b32_e32 v11, v5, v0
	v_cmp_gt_u32_e32 vcc, 64, v11
	s_and_b64 s[2:3], vcc, exec
	s_or_saveexec_b64 s[8:9], s[8:9]
	v_mov_b32_e32 v11, 0
	s_xor_b64 exec, exec, s[8:9]
	s_cbranch_execz .LBB15_18
.LBB15_1152:
	v_mad_u64_u32 v[11:12], s[10:11], s24, v5, 0
	s_or_b64 s[2:3], s[2:3], exec
	v_mad_u64_u32 v[12:13], s[10:11], s25, v5, v[12:13]
	v_lshlrev_b64 v[11:12], 2, v[11:12]
	v_add_co_u32_e32 v11, vcc, v2, v11
	v_addc_co_u32_e32 v12, vcc, v3, v12, vcc
	global_load_dword v11, v[11:12], off
	s_waitcnt vmcnt(0)
	v_xor_b32_e32 v11, 0x80000000, v11
	s_or_b64 exec, exec, s[8:9]
	s_and_saveexec_b64 s[8:9], s[2:3]
	s_cbranch_execnz .LBB15_19
	s_branch .LBB15_20
.LBB15_1153:
	v_or_b32_e32 v11, v5, v0
	v_cmp_gt_u32_e32 vcc, 64, v11
	s_and_b64 s[2:3], vcc, exec
	s_or_saveexec_b64 s[8:9], s[8:9]
	v_mov_b32_e32 v11, 0
	s_xor_b64 exec, exec, s[8:9]
	s_cbranch_execz .LBB15_22
.LBB15_1154:
	v_mad_u64_u32 v[11:12], s[10:11], s24, v5, 0
	s_or_b64 s[2:3], s[2:3], exec
	v_mad_u64_u32 v[12:13], s[10:11], s25, v5, v[12:13]
	v_lshlrev_b64 v[11:12], 2, v[11:12]
	v_add_co_u32_e32 v11, vcc, v2, v11
	v_addc_co_u32_e32 v12, vcc, v3, v12, vcc
	global_load_dword v11, v[11:12], off
	s_waitcnt vmcnt(0)
	v_xor_b32_e32 v11, 0x80000000, v11
	s_or_b64 exec, exec, s[8:9]
	s_and_saveexec_b64 s[8:9], s[2:3]
	s_cbranch_execnz .LBB15_23
	s_branch .LBB15_24
.LBB15_1155:
	v_or_b32_e32 v11, v1, v0
	v_cmp_gt_u32_e64 s[2:3], 64, v11
	s_and_b64 s[8:9], s[2:3], exec
	s_andn2_saveexec_b64 s[12:13], s[12:13]
	s_cbranch_execz .LBB15_30
.LBB15_1156:
	v_mad_u64_u32 v[11:12], s[2:3], s24, v1, 0
	s_or_b64 s[8:9], s[8:9], exec
	v_mov_b32_e32 v5, v12
	v_mad_u64_u32 v[12:13], s[2:3], s25, v1, v[5:6]
	v_lshlrev_b64 v[11:12], 2, v[11:12]
	v_add_co_u32_e64 v11, s[2:3], v2, v11
	v_addc_co_u32_e64 v12, s[2:3], v3, v12, s[2:3]
	global_load_dword v5, v[11:12], off
	s_waitcnt vmcnt(0)
	v_xor_b32_e32 v5, 0x80000000, v5
	s_or_b64 exec, exec, s[12:13]
	s_and_saveexec_b64 s[2:3], s[8:9]
	s_cbranch_execnz .LBB15_31
	s_branch .LBB15_32
.LBB15_1157:
	v_or_b32_e32 v11, v5, v0
	v_cmp_gt_u32_e64 s[2:3], 64, v11
	s_and_b64 s[8:9], s[2:3], exec
	s_or_saveexec_b64 s[12:13], s[12:13]
	v_mov_b32_e32 v11, 0
	s_xor_b64 exec, exec, s[12:13]
	s_cbranch_execz .LBB15_34
.LBB15_1158:
	v_mad_u64_u32 v[11:12], s[2:3], s24, v5, 0
	s_or_b64 s[8:9], s[8:9], exec
	v_mad_u64_u32 v[12:13], s[2:3], s25, v5, v[12:13]
	v_lshlrev_b64 v[11:12], 2, v[11:12]
	v_add_co_u32_e64 v11, s[2:3], v2, v11
	v_addc_co_u32_e64 v12, s[2:3], v3, v12, s[2:3]
	global_load_dword v11, v[11:12], off
	s_waitcnt vmcnt(0)
	v_xor_b32_e32 v11, 0x80000000, v11
	s_or_b64 exec, exec, s[12:13]
	s_and_saveexec_b64 s[2:3], s[8:9]
	s_cbranch_execnz .LBB15_35
	s_branch .LBB15_36
.LBB15_1159:
	v_or_b32_e32 v11, v5, v0
	v_cmp_gt_u32_e64 s[2:3], 64, v11
	s_and_b64 s[8:9], s[2:3], exec
	s_or_saveexec_b64 s[12:13], s[12:13]
	v_mov_b32_e32 v11, 0
	s_xor_b64 exec, exec, s[12:13]
	s_cbranch_execz .LBB15_38
.LBB15_1160:
	v_mad_u64_u32 v[11:12], s[2:3], s24, v5, 0
	s_or_b64 s[8:9], s[8:9], exec
	v_mad_u64_u32 v[12:13], s[2:3], s25, v5, v[12:13]
	v_lshlrev_b64 v[11:12], 2, v[11:12]
	v_add_co_u32_e64 v11, s[2:3], v2, v11
	v_addc_co_u32_e64 v12, s[2:3], v3, v12, s[2:3]
	global_load_dword v11, v[11:12], off
	s_waitcnt vmcnt(0)
	v_xor_b32_e32 v11, 0x80000000, v11
	s_or_b64 exec, exec, s[12:13]
	s_and_saveexec_b64 s[2:3], s[8:9]
	s_cbranch_execnz .LBB15_39
	s_branch .LBB15_40
.LBB15_1161:
	s_or_b64 exec, exec, s[12:13]
	s_and_b64 vcc, exec, s[10:11]
	s_cbranch_vccnz .LBB15_1129
.LBB15_1162:
	v_mov_b32_e32 v12, v4
	s_and_saveexec_b64 s[2:3], s[8:9]
	s_cbranch_execnz .LBB15_1168
	s_branch .LBB15_1169
.LBB15_1163:
	s_mov_b64 s[4:5], 0
.LBB15_1164:
	v_cmp_gt_i32_e32 vcc, s7, v0
	s_and_b64 s[2:3], s[2:3], vcc
	s_andn2_b64 s[4:5], s[4:5], exec
	s_and_b64 s[2:3], s[2:3], exec
	s_or_b64 s[4:5], s[4:5], s[2:3]
.LBB15_1165:
                                        ; implicit-def: $vgpr1_vgpr2
	s_and_saveexec_b64 s[2:3], s[4:5]
	s_cbranch_execz .LBB15_1167
; %bb.1166:
	s_lshl_b32 s4, s6, 6
	s_ashr_i32 s5, s4, 31
	v_mov_b32_e32 v0, s5
	v_add_co_u32_e32 v1, vcc, s4, v11
	v_addc_co_u32_e32 v0, vcc, 0, v0, vcc
	v_mul_lo_u32 v0, v0, s16
	v_mul_lo_u32 v3, v1, s17
	v_mad_u64_u32 v[1:2], s[4:5], v1, s16, 0
	s_or_b64 s[8:9], s[8:9], exec
	v_add3_u32 v2, v2, v3, v0
.LBB15_1167:
	s_or_b64 exec, exec, s[2:3]
	s_and_saveexec_b64 s[2:3], s[8:9]
	s_cbranch_execz .LBB15_1169
.LBB15_1168:
	v_lshlrev_b64 v[0:1], 2, v[1:2]
	v_mov_b32_e32 v2, s27
	v_add_co_u32_e32 v0, vcc, s26, v0
	v_addc_co_u32_e32 v1, vcc, v2, v1, vcc
	global_store_dword v[0:1], v12, off
.LBB15_1169:
	s_or_b64 exec, exec, s[2:3]
	v_cmp_eq_u32_e32 vcc, 0, v11
	s_waitcnt vmcnt(0)
	buffer_wbinvl1_vol
	s_barrier
	s_and_saveexec_b64 s[2:3], vcc
	s_cbranch_execz .LBB15_1171
; %bb.1170:
	s_lshl_b64 s[4:5], s[28:29], 2
	s_add_u32 s0, s0, s4
	s_addc_u32 s1, s1, s5
	v_mov_b32_e32 v0, 0
	global_load_dword v1, v0, s[0:1]
	s_waitcnt vmcnt(0)
	v_add_u32_e32 v1, 1, v1
	global_store_dword v0, v1, s[0:1]
.LBB15_1171:
	s_or_b64 exec, exec, s[2:3]
	s_waitcnt vmcnt(0)
	buffer_wbinvl1_vol
	s_endpgm
.LBB15_1172:
	ds_read_b32 v17, v16 offset:15840
	ds_read_b32 v18, v15 offset:15604
	s_waitcnt lgkmcnt(0)
	v_fmac_f32_e32 v14, v17, v18
	s_or_b64 exec, exec, s[14:15]
	v_cmp_gt_u32_e64 s[10:11], 8, v5
	s_and_saveexec_b64 s[14:15], s[10:11]
	s_cbranch_execz .LBB15_68
.LBB15_1173:
	ds_read_b32 v16, v16 offset:16096
	ds_read_b32 v15, v15 offset:15608
	s_waitcnt lgkmcnt(0)
	v_fmac_f32_e32 v14, v16, v15
	s_or_b64 exec, exec, s[14:15]
	v_cmp_gt_u32_e64 s[10:11], 4, v5
	s_and_saveexec_b64 s[14:15], s[10:11]
	s_cbranch_execnz .LBB15_69
	s_branch .LBB15_70
.LBB15_1174:
	ds_read_b32 v20, v19 offset:14784
	ds_read_b32 v21, v18 offset:14564
	s_waitcnt lgkmcnt(0)
	v_fmac_f32_e32 v17, v20, v21
	s_or_b64 exec, exec, s[16:17]
	v_cmp_gt_u32_e64 s[14:15], 48, v5
	s_and_saveexec_b64 s[16:17], s[14:15]
	s_cbranch_execz .LBB15_110
.LBB15_1175:
	ds_read_b32 v20, v19 offset:15040
	ds_read_b32 v21, v18 offset:14568
	s_waitcnt lgkmcnt(0)
	v_fmac_f32_e32 v17, v20, v21
	s_or_b64 exec, exec, s[16:17]
	v_cmp_gt_u32_e64 s[14:15], 40, v5
	s_and_saveexec_b64 s[16:17], s[14:15]
	s_cbranch_execz .LBB15_111
.LBB15_1176:
	ds_read_b32 v20, v19 offset:15296
	ds_read_b32 v21, v18 offset:14572
	s_waitcnt lgkmcnt(0)
	v_fmac_f32_e32 v17, v20, v21
	s_or_b64 exec, exec, s[16:17]
	v_cmp_gt_u32_e64 s[14:15], 32, v5
	s_and_saveexec_b64 s[16:17], s[14:15]
	s_cbranch_execz .LBB15_112
.LBB15_1177:
	ds_read_b32 v20, v19 offset:15552
	ds_read_b32 v21, v18 offset:14576
	s_waitcnt lgkmcnt(0)
	v_fmac_f32_e32 v17, v20, v21
	s_or_b64 exec, exec, s[16:17]
	v_cmp_gt_u32_e64 s[14:15], 24, v5
	s_and_saveexec_b64 s[16:17], s[14:15]
	s_cbranch_execz .LBB15_113
.LBB15_1178:
	ds_read_b32 v20, v19 offset:15808
	ds_read_b32 v21, v18 offset:14580
	s_waitcnt lgkmcnt(0)
	v_fmac_f32_e32 v17, v20, v21
	s_or_b64 exec, exec, s[16:17]
	s_and_saveexec_b64 s[14:15], s[18:19]
	s_cbranch_execz .LBB15_114
.LBB15_1179:
	ds_read_b32 v19, v19 offset:16064
	ds_read_b32 v18, v18 offset:14584
	s_waitcnt lgkmcnt(0)
	v_fmac_f32_e32 v17, v19, v18
	s_or_b64 exec, exec, s[14:15]
	v_cmp_gt_u32_e64 s[14:15], 8, v5
	s_and_saveexec_b64 s[16:17], s[14:15]
	s_cbranch_execnz .LBB15_115
	s_branch .LBB15_116
.LBB15_1180:
	ds_read_b32 v20, v19 offset:13760
	ds_read_b32 v21, v18 offset:13524
	s_waitcnt lgkmcnt(0)
	v_fmac_f32_e32 v17, v20, v21
	s_or_b64 exec, exec, s[14:15]
	v_cmp_gt_u32_e64 s[10:11], 8, v5
	s_and_saveexec_b64 s[14:15], s[10:11]
	s_cbranch_execz .LBB15_172
.LBB15_1181:
	ds_read_b32 v19, v19 offset:14016
	ds_read_b32 v18, v18 offset:13528
	s_waitcnt lgkmcnt(0)
	v_fmac_f32_e32 v17, v19, v18
	s_or_b64 exec, exec, s[14:15]
	v_cmp_gt_u32_e64 s[10:11], 4, v5
	s_and_saveexec_b64 s[14:15], s[10:11]
	s_cbranch_execnz .LBB15_173
	s_branch .LBB15_174
.LBB15_1182:
	ds_read_b32 v23, v22 offset:15232
	ds_read_b32 v24, v21 offset:12524
	s_waitcnt lgkmcnt(0)
	v_fmac_f32_e32 v20, v23, v24
	s_or_b64 exec, exec, s[20:21]
	s_and_saveexec_b64 s[16:17], s[8:9]
	s_cbranch_execz .LBB15_234
.LBB15_1183:
	ds_read_b32 v23, v22 offset:15488
	ds_read_b32 v24, v21 offset:12528
	s_waitcnt lgkmcnt(0)
	v_fmac_f32_e32 v20, v23, v24
	s_or_b64 exec, exec, s[16:17]
	v_cmp_gt_u32_e64 s[16:17], 48, v5
	s_and_saveexec_b64 s[20:21], s[16:17]
	s_cbranch_execz .LBB15_235
.LBB15_1184:
	ds_read_b32 v23, v22 offset:15744
	ds_read_b32 v24, v21 offset:12532
	s_waitcnt lgkmcnt(0)
	v_fmac_f32_e32 v20, v23, v24
	s_or_b64 exec, exec, s[20:21]
	v_cmp_gt_u32_e64 s[16:17], 32, v5
	s_and_saveexec_b64 s[20:21], s[16:17]
	s_cbranch_execz .LBB15_236
.LBB15_1185:
	ds_read_b32 v22, v22 offset:16000
	ds_read_b32 v21, v21 offset:12536
	s_waitcnt lgkmcnt(0)
	v_fmac_f32_e32 v20, v22, v21
	s_or_b64 exec, exec, s[20:21]
	v_cmp_gt_u32_e64 s[16:17], 16, v5
	s_and_saveexec_b64 s[20:21], s[16:17]
	s_cbranch_execnz .LBB15_237
	s_branch .LBB15_238
.LBB15_1186:
	ds_read_b32 v23, v22 offset:11680
	ds_read_b32 v24, v21 offset:11444
	s_waitcnt lgkmcnt(0)
	v_fmac_f32_e32 v20, v23, v24
	s_or_b64 exec, exec, s[20:21]
	v_cmp_gt_u32_e64 s[14:15], 8, v5
	s_and_saveexec_b64 s[20:21], s[14:15]
	s_cbranch_execz .LBB15_326
.LBB15_1187:
	ds_read_b32 v22, v22 offset:11936
	ds_read_b32 v21, v21 offset:11448
	s_waitcnt lgkmcnt(0)
	v_fmac_f32_e32 v20, v22, v21
	s_or_b64 exec, exec, s[20:21]
	v_cmp_gt_u32_e64 s[14:15], 4, v5
	s_and_saveexec_b64 s[20:21], s[14:15]
	s_cbranch_execnz .LBB15_327
	s_branch .LBB15_328
.LBB15_1188:
	ds_read_b32 v23, v22 offset:10624
	ds_read_b32 v24, v21 offset:10404
	s_waitcnt lgkmcnt(0)
	v_fmac_f32_e32 v20, v23, v24
	s_or_b64 exec, exec, s[20:21]
	v_cmp_gt_u32_e64 s[14:15], 48, v5
	s_and_saveexec_b64 s[20:21], s[14:15]
	s_cbranch_execz .LBB15_368
.LBB15_1189:
	ds_read_b32 v23, v22 offset:10880
	ds_read_b32 v24, v21 offset:10408
	s_waitcnt lgkmcnt(0)
	v_fmac_f32_e32 v20, v23, v24
	s_or_b64 exec, exec, s[20:21]
	v_cmp_gt_u32_e64 s[14:15], 40, v5
	s_and_saveexec_b64 s[20:21], s[14:15]
	s_cbranch_execz .LBB15_369
.LBB15_1190:
	ds_read_b32 v23, v22 offset:11136
	ds_read_b32 v24, v21 offset:10412
	s_waitcnt lgkmcnt(0)
	v_fmac_f32_e32 v20, v23, v24
	s_or_b64 exec, exec, s[20:21]
	v_cmp_gt_u32_e64 s[14:15], 32, v5
	s_and_saveexec_b64 s[20:21], s[14:15]
	s_cbranch_execz .LBB15_370
.LBB15_1191:
	ds_read_b32 v23, v22 offset:11392
	ds_read_b32 v24, v21 offset:10416
	s_waitcnt lgkmcnt(0)
	v_fmac_f32_e32 v20, v23, v24
	s_or_b64 exec, exec, s[20:21]
	v_cmp_gt_u32_e64 s[14:15], 24, v5
	s_and_saveexec_b64 s[20:21], s[14:15]
	s_cbranch_execz .LBB15_371
.LBB15_1192:
	ds_read_b32 v23, v22 offset:11648
	ds_read_b32 v24, v21 offset:10420
	s_waitcnt lgkmcnt(0)
	v_fmac_f32_e32 v20, v23, v24
	s_or_b64 exec, exec, s[20:21]
	s_and_saveexec_b64 s[14:15], s[18:19]
	s_cbranch_execz .LBB15_372
.LBB15_1193:
	ds_read_b32 v22, v22 offset:11904
	ds_read_b32 v21, v21 offset:10424
	s_waitcnt lgkmcnt(0)
	v_fmac_f32_e32 v20, v22, v21
	s_or_b64 exec, exec, s[14:15]
	v_cmp_gt_u32_e64 s[14:15], 8, v5
	s_and_saveexec_b64 s[20:21], s[14:15]
	s_cbranch_execnz .LBB15_373
	s_branch .LBB15_374
.LBB15_1194:
	ds_read_b32 v23, v22 offset:9600
	ds_read_b32 v24, v21 offset:9364
	s_waitcnt lgkmcnt(0)
	v_fmac_f32_e32 v20, v23, v24
	s_or_b64 exec, exec, s[20:21]
	v_cmp_gt_u32_e64 s[14:15], 8, v5
	s_and_saveexec_b64 s[20:21], s[14:15]
	s_cbranch_execz .LBB15_430
.LBB15_1195:
	ds_read_b32 v22, v22 offset:9856
	ds_read_b32 v21, v21 offset:9368
	s_waitcnt lgkmcnt(0)
	v_fmac_f32_e32 v20, v22, v21
	s_or_b64 exec, exec, s[20:21]
	v_cmp_gt_u32_e64 s[14:15], 4, v5
	s_and_saveexec_b64 s[20:21], s[14:15]
	s_cbranch_execnz .LBB15_431
	s_branch .LBB15_432
.LBB15_1196:
	ds_read_b32 v26, v25 offset:15616
	ds_read_b32 v27, v24 offset:8436
	s_waitcnt lgkmcnt(0)
	v_fmac_f32_e32 v22, v26, v27
	s_or_b64 exec, exec, s[92:93]
	s_and_saveexec_b64 s[20:21], s[8:9]
	s_cbranch_execz .LBB15_528
.LBB15_1197:
	ds_read_b32 v25, v25 offset:15872
	ds_read_b32 v24, v24 offset:8440
	s_waitcnt lgkmcnt(0)
	v_fmac_f32_e32 v22, v25, v24
	s_or_b64 exec, exec, s[20:21]
	v_cmp_gt_u32_e64 s[20:21], 32, v5
	s_and_saveexec_b64 s[92:93], s[20:21]
	s_cbranch_execnz .LBB15_529
	s_branch .LBB15_530
.LBB15_1198:
	ds_read_b32 v23, v22 offset:7520
	ds_read_b32 v24, v21 offset:7284
	s_waitcnt lgkmcnt(0)
	v_fmac_f32_e32 v20, v23, v24
	s_or_b64 exec, exec, s[16:17]
	v_cmp_gt_u32_e64 s[12:13], 8, v5
	s_and_saveexec_b64 s[16:17], s[12:13]
	s_cbranch_execz .LBB15_682
.LBB15_1199:
	ds_read_b32 v22, v22 offset:7776
	ds_read_b32 v21, v21 offset:7288
	s_waitcnt lgkmcnt(0)
	v_fmac_f32_e32 v20, v22, v21
	s_or_b64 exec, exec, s[16:17]
	v_cmp_gt_u32_e64 s[12:13], 4, v5
	s_and_saveexec_b64 s[16:17], s[12:13]
	s_cbranch_execnz .LBB15_683
	s_branch .LBB15_684
.LBB15_1200:
	ds_read_b32 v23, v22 offset:6464
	ds_read_b32 v24, v21 offset:6244
	s_waitcnt lgkmcnt(0)
	v_fmac_f32_e32 v20, v23, v24
	s_or_b64 exec, exec, s[16:17]
	v_cmp_gt_u32_e64 s[12:13], 48, v5
	s_and_saveexec_b64 s[16:17], s[12:13]
	s_cbranch_execz .LBB15_724
.LBB15_1201:
	ds_read_b32 v23, v22 offset:6720
	ds_read_b32 v24, v21 offset:6248
	s_waitcnt lgkmcnt(0)
	v_fmac_f32_e32 v20, v23, v24
	s_or_b64 exec, exec, s[16:17]
	v_cmp_gt_u32_e64 s[12:13], 40, v5
	s_and_saveexec_b64 s[16:17], s[12:13]
	s_cbranch_execz .LBB15_725
.LBB15_1202:
	ds_read_b32 v23, v22 offset:6976
	ds_read_b32 v24, v21 offset:6252
	s_waitcnt lgkmcnt(0)
	v_fmac_f32_e32 v20, v23, v24
	s_or_b64 exec, exec, s[16:17]
	v_cmp_gt_u32_e64 s[12:13], 32, v5
	s_and_saveexec_b64 s[16:17], s[12:13]
	s_cbranch_execz .LBB15_726
.LBB15_1203:
	ds_read_b32 v23, v22 offset:7232
	ds_read_b32 v24, v21 offset:6256
	s_waitcnt lgkmcnt(0)
	v_fmac_f32_e32 v20, v23, v24
	s_or_b64 exec, exec, s[16:17]
	v_cmp_gt_u32_e64 s[12:13], 24, v5
	s_and_saveexec_b64 s[16:17], s[12:13]
	s_cbranch_execz .LBB15_727
.LBB15_1204:
	ds_read_b32 v23, v22 offset:7488
	ds_read_b32 v24, v21 offset:6260
	s_waitcnt lgkmcnt(0)
	v_fmac_f32_e32 v20, v23, v24
	s_or_b64 exec, exec, s[16:17]
	s_and_saveexec_b64 s[12:13], s[18:19]
	s_cbranch_execz .LBB15_728
.LBB15_1205:
	ds_read_b32 v22, v22 offset:7744
	ds_read_b32 v21, v21 offset:6264
	s_waitcnt lgkmcnt(0)
	v_fmac_f32_e32 v20, v22, v21
	s_or_b64 exec, exec, s[12:13]
	v_cmp_gt_u32_e64 s[12:13], 8, v5
	s_and_saveexec_b64 s[16:17], s[12:13]
	s_cbranch_execnz .LBB15_729
	s_branch .LBB15_730
.LBB15_1206:
	ds_read_b32 v23, v22 offset:5440
	ds_read_b32 v24, v21 offset:5204
	s_waitcnt lgkmcnt(0)
	v_fmac_f32_e32 v20, v23, v24
	s_or_b64 exec, exec, s[16:17]
	v_cmp_gt_u32_e64 s[12:13], 8, v5
	s_and_saveexec_b64 s[16:17], s[12:13]
	s_cbranch_execz .LBB15_786
.LBB15_1207:
	ds_read_b32 v22, v22 offset:5696
	ds_read_b32 v21, v21 offset:5208
	s_waitcnt lgkmcnt(0)
	v_fmac_f32_e32 v20, v22, v21
	s_or_b64 exec, exec, s[16:17]
	v_cmp_gt_u32_e64 s[12:13], 4, v5
	s_and_saveexec_b64 s[16:17], s[12:13]
	s_cbranch_execnz .LBB15_787
	s_branch .LBB15_788
.LBB15_1208:
	ds_read_b32 v23, v22 offset:6912
	ds_read_b32 v24, v21 offset:4204
	s_waitcnt lgkmcnt(0)
	v_fmac_f32_e32 v20, v23, v24
	s_or_b64 exec, exec, s[16:17]
	s_and_saveexec_b64 s[12:13], s[8:9]
	s_cbranch_execz .LBB15_848
.LBB15_1209:
	ds_read_b32 v23, v22 offset:7168
	ds_read_b32 v24, v21 offset:4208
	s_waitcnt lgkmcnt(0)
	v_fmac_f32_e32 v20, v23, v24
	s_or_b64 exec, exec, s[12:13]
	v_cmp_gt_u32_e64 s[12:13], 48, v5
	s_and_saveexec_b64 s[16:17], s[12:13]
	s_cbranch_execz .LBB15_849
.LBB15_1210:
	ds_read_b32 v23, v22 offset:7424
	ds_read_b32 v24, v21 offset:4212
	s_waitcnt lgkmcnt(0)
	v_fmac_f32_e32 v20, v23, v24
	s_or_b64 exec, exec, s[16:17]
	v_cmp_gt_u32_e64 s[12:13], 32, v5
	s_and_saveexec_b64 s[16:17], s[12:13]
	s_cbranch_execz .LBB15_850
.LBB15_1211:
	ds_read_b32 v22, v22 offset:7680
	ds_read_b32 v21, v21 offset:4216
	s_waitcnt lgkmcnt(0)
	v_fmac_f32_e32 v20, v22, v21
	s_or_b64 exec, exec, s[16:17]
	v_cmp_gt_u32_e64 s[12:13], 16, v5
	s_and_saveexec_b64 s[16:17], s[12:13]
	s_cbranch_execnz .LBB15_851
	s_branch .LBB15_852
.LBB15_1212:
	ds_read_b32 v20, v19 offset:3360
	ds_read_b32 v21, v18 offset:3124
	s_waitcnt lgkmcnt(0)
	v_fmac_f32_e32 v17, v20, v21
	s_or_b64 exec, exec, s[12:13]
	v_cmp_gt_u32_e64 s[10:11], 8, v5
	s_and_saveexec_b64 s[12:13], s[10:11]
	s_cbranch_execz .LBB15_940
.LBB15_1213:
	ds_read_b32 v19, v19 offset:3616
	ds_read_b32 v18, v18 offset:3128
	s_waitcnt lgkmcnt(0)
	v_fmac_f32_e32 v17, v19, v18
	s_or_b64 exec, exec, s[12:13]
	v_cmp_gt_u32_e64 s[10:11], 4, v5
	s_and_saveexec_b64 s[12:13], s[10:11]
	s_cbranch_execnz .LBB15_941
	s_branch .LBB15_942
.LBB15_1214:
	ds_read_b32 v20, v19 offset:2304
	ds_read_b32 v21, v18 offset:2084
	s_waitcnt lgkmcnt(0)
	v_fmac_f32_e32 v17, v20, v21
	s_or_b64 exec, exec, s[12:13]
	v_cmp_gt_u32_e64 s[10:11], 48, v5
	s_and_saveexec_b64 s[12:13], s[10:11]
	s_cbranch_execz .LBB15_982
.LBB15_1215:
	ds_read_b32 v20, v19 offset:2560
	ds_read_b32 v21, v18 offset:2088
	s_waitcnt lgkmcnt(0)
	v_fmac_f32_e32 v17, v20, v21
	s_or_b64 exec, exec, s[12:13]
	v_cmp_gt_u32_e64 s[10:11], 40, v5
	s_and_saveexec_b64 s[12:13], s[10:11]
	s_cbranch_execz .LBB15_983
.LBB15_1216:
	ds_read_b32 v20, v19 offset:2816
	ds_read_b32 v21, v18 offset:2092
	s_waitcnt lgkmcnt(0)
	v_fmac_f32_e32 v17, v20, v21
	s_or_b64 exec, exec, s[12:13]
	v_cmp_gt_u32_e64 s[10:11], 32, v5
	s_and_saveexec_b64 s[12:13], s[10:11]
	s_cbranch_execz .LBB15_984
.LBB15_1217:
	ds_read_b32 v20, v19 offset:3072
	ds_read_b32 v21, v18 offset:2096
	s_waitcnt lgkmcnt(0)
	v_fmac_f32_e32 v17, v20, v21
	s_or_b64 exec, exec, s[12:13]
	v_cmp_gt_u32_e64 s[10:11], 24, v5
	s_and_saveexec_b64 s[12:13], s[10:11]
	s_cbranch_execz .LBB15_985
.LBB15_1218:
	ds_read_b32 v20, v19 offset:3328
	ds_read_b32 v21, v18 offset:2100
	s_waitcnt lgkmcnt(0)
	v_fmac_f32_e32 v17, v20, v21
	s_or_b64 exec, exec, s[12:13]
	s_and_saveexec_b64 s[10:11], s[18:19]
	s_cbranch_execz .LBB15_986
.LBB15_1219:
	ds_read_b32 v19, v19 offset:3584
	ds_read_b32 v18, v18 offset:2104
	s_waitcnt lgkmcnt(0)
	v_fmac_f32_e32 v17, v19, v18
	s_or_b64 exec, exec, s[10:11]
	v_cmp_gt_u32_e64 s[10:11], 8, v5
	s_and_saveexec_b64 s[12:13], s[10:11]
	s_cbranch_execnz .LBB15_987
	s_branch .LBB15_988
.LBB15_1220:
	ds_read_b32 v17, v16 offset:1280
	ds_read_b32 v18, v15 offset:1044
	s_waitcnt lgkmcnt(0)
	v_fmac_f32_e32 v14, v17, v18
	s_or_b64 exec, exec, s[10:11]
	v_cmp_gt_u32_e64 s[8:9], 8, v5
	s_and_saveexec_b64 s[10:11], s[8:9]
	s_cbranch_execz .LBB15_1044
.LBB15_1221:
	ds_read_b32 v16, v16 offset:1536
	ds_read_b32 v15, v15 offset:1048
	s_waitcnt lgkmcnt(0)
	v_fmac_f32_e32 v14, v16, v15
	s_or_b64 exec, exec, s[10:11]
	v_cmp_gt_u32_e64 s[8:9], 4, v5
	s_and_saveexec_b64 s[10:11], s[8:9]
	s_cbranch_execnz .LBB15_1045
	s_branch .LBB15_1046
	.section	.rodata,"a",@progbits
	.p2align	6, 0x0
	.amdhsa_kernel _ZL19rocblas_trsv_deviceILi64ELi16ELb0ELb1ELb1ELb1EffPKfPfEviT7_lllT6_T8_lllPii
		.amdhsa_group_segment_fixed_size 20740
		.amdhsa_private_segment_fixed_size 0
		.amdhsa_kernarg_size 352
		.amdhsa_user_sgpr_count 6
		.amdhsa_user_sgpr_private_segment_buffer 1
		.amdhsa_user_sgpr_dispatch_ptr 0
		.amdhsa_user_sgpr_queue_ptr 0
		.amdhsa_user_sgpr_kernarg_segment_ptr 1
		.amdhsa_user_sgpr_dispatch_id 0
		.amdhsa_user_sgpr_flat_scratch_init 0
		.amdhsa_user_sgpr_private_segment_size 0
		.amdhsa_uses_dynamic_stack 0
		.amdhsa_system_sgpr_private_segment_wavefront_offset 0
		.amdhsa_system_sgpr_workgroup_id_x 1
		.amdhsa_system_sgpr_workgroup_id_y 0
		.amdhsa_system_sgpr_workgroup_id_z 1
		.amdhsa_system_sgpr_workgroup_info 0
		.amdhsa_system_vgpr_workitem_id 1
		.amdhsa_next_free_vgpr 29
		.amdhsa_next_free_sgpr 96
		.amdhsa_reserve_vcc 1
		.amdhsa_reserve_flat_scratch 0
		.amdhsa_float_round_mode_32 0
		.amdhsa_float_round_mode_16_64 0
		.amdhsa_float_denorm_mode_32 3
		.amdhsa_float_denorm_mode_16_64 3
		.amdhsa_dx10_clamp 1
		.amdhsa_ieee_mode 1
		.amdhsa_fp16_overflow 0
		.amdhsa_exception_fp_ieee_invalid_op 0
		.amdhsa_exception_fp_denorm_src 0
		.amdhsa_exception_fp_ieee_div_zero 0
		.amdhsa_exception_fp_ieee_overflow 0
		.amdhsa_exception_fp_ieee_underflow 0
		.amdhsa_exception_fp_ieee_inexact 0
		.amdhsa_exception_int_div_zero 0
	.end_amdhsa_kernel
	.section	.text._ZL19rocblas_trsv_deviceILi64ELi16ELb0ELb1ELb1ELb1EffPKfPfEviT7_lllT6_T8_lllPii,"axG",@progbits,_ZL19rocblas_trsv_deviceILi64ELi16ELb0ELb1ELb1ELb1EffPKfPfEviT7_lllT6_T8_lllPii,comdat
.Lfunc_end15:
	.size	_ZL19rocblas_trsv_deviceILi64ELi16ELb0ELb1ELb1ELb1EffPKfPfEviT7_lllT6_T8_lllPii, .Lfunc_end15-_ZL19rocblas_trsv_deviceILi64ELi16ELb0ELb1ELb1ELb1EffPKfPfEviT7_lllT6_T8_lllPii
                                        ; -- End function
	.set _ZL19rocblas_trsv_deviceILi64ELi16ELb0ELb1ELb1ELb1EffPKfPfEviT7_lllT6_T8_lllPii.num_vgpr, 29
	.set _ZL19rocblas_trsv_deviceILi64ELi16ELb0ELb1ELb1ELb1EffPKfPfEviT7_lllT6_T8_lllPii.num_agpr, 0
	.set _ZL19rocblas_trsv_deviceILi64ELi16ELb0ELb1ELb1ELb1EffPKfPfEviT7_lllT6_T8_lllPii.numbered_sgpr, 96
	.set _ZL19rocblas_trsv_deviceILi64ELi16ELb0ELb1ELb1ELb1EffPKfPfEviT7_lllT6_T8_lllPii.num_named_barrier, 0
	.set _ZL19rocblas_trsv_deviceILi64ELi16ELb0ELb1ELb1ELb1EffPKfPfEviT7_lllT6_T8_lllPii.private_seg_size, 0
	.set _ZL19rocblas_trsv_deviceILi64ELi16ELb0ELb1ELb1ELb1EffPKfPfEviT7_lllT6_T8_lllPii.uses_vcc, 1
	.set _ZL19rocblas_trsv_deviceILi64ELi16ELb0ELb1ELb1ELb1EffPKfPfEviT7_lllT6_T8_lllPii.uses_flat_scratch, 0
	.set _ZL19rocblas_trsv_deviceILi64ELi16ELb0ELb1ELb1ELb1EffPKfPfEviT7_lllT6_T8_lllPii.has_dyn_sized_stack, 0
	.set _ZL19rocblas_trsv_deviceILi64ELi16ELb0ELb1ELb1ELb1EffPKfPfEviT7_lllT6_T8_lllPii.has_recursion, 0
	.set _ZL19rocblas_trsv_deviceILi64ELi16ELb0ELb1ELb1ELb1EffPKfPfEviT7_lllT6_T8_lllPii.has_indirect_call, 0
	.section	.AMDGPU.csdata,"",@progbits
; Kernel info:
; codeLenInByte = 34976
; TotalNumSgprs: 100
; NumVgprs: 29
; ScratchSize: 0
; MemoryBound: 0
; FloatMode: 240
; IeeeMode: 1
; LDSByteSize: 20740 bytes/workgroup (compile time only)
; SGPRBlocks: 12
; VGPRBlocks: 7
; NumSGPRsForWavesPerEU: 100
; NumVGPRsForWavesPerEU: 29
; Occupancy: 8
; WaveLimiterHint : 0
; COMPUTE_PGM_RSRC2:SCRATCH_EN: 0
; COMPUTE_PGM_RSRC2:USER_SGPR: 6
; COMPUTE_PGM_RSRC2:TRAP_HANDLER: 0
; COMPUTE_PGM_RSRC2:TGID_X_EN: 1
; COMPUTE_PGM_RSRC2:TGID_Y_EN: 0
; COMPUTE_PGM_RSRC2:TGID_Z_EN: 1
; COMPUTE_PGM_RSRC2:TIDIG_COMP_CNT: 1
	.section	.text._ZL19rocblas_trsv_deviceILi64ELi16ELb0ELb0ELb0ELb0EffPKfPfEviT7_lllT6_T8_lllPii,"axG",@progbits,_ZL19rocblas_trsv_deviceILi64ELi16ELb0ELb0ELb0ELb0EffPKfPfEviT7_lllT6_T8_lllPii,comdat
	.globl	_ZL19rocblas_trsv_deviceILi64ELi16ELb0ELb0ELb0ELb0EffPKfPfEviT7_lllT6_T8_lllPii ; -- Begin function _ZL19rocblas_trsv_deviceILi64ELi16ELb0ELb0ELb0ELb0EffPKfPfEviT7_lllT6_T8_lllPii
	.p2align	8
	.type	_ZL19rocblas_trsv_deviceILi64ELi16ELb0ELb0ELb0ELb0EffPKfPfEviT7_lllT6_T8_lllPii,@function
_ZL19rocblas_trsv_deviceILi64ELi16ELb0ELb0ELb0ELb0EffPKfPfEviT7_lllT6_T8_lllPii: ; @_ZL19rocblas_trsv_deviceILi64ELi16ELb0ELb0ELb0ELb0EffPKfPfEviT7_lllT6_T8_lllPii
; %bb.0:
	s_load_dwordx8 s[16:23], s[4:5], 0x8
	s_load_dword s26, s[4:5], 0x0
	s_mov_b32 s24, s7
	v_mov_b32_e32 v2, v1
	s_mov_b32 s25, 0
	s_waitcnt lgkmcnt(0)
	s_mul_i32 s0, s23, s7
	s_mul_hi_u32 s1, s22, s7
	s_add_i32 s1, s1, s0
	s_mul_i32 s0, s22, s7
	s_load_dword s7, s[4:5], 0x60
	s_load_dword s36, s[4:5], 0x6c
	s_lshl_b64 s[0:1], s[0:1], 2
	s_add_u32 s2, s16, s0
	s_addc_u32 s3, s17, s1
	s_lshl_b64 s[0:1], s[18:19], 2
	s_add_u32 s77, s2, s0
	s_addc_u32 s78, s3, s1
	s_waitcnt lgkmcnt(0)
	s_add_i32 s7, s7, -1
	s_sub_i32 s79, s7, s6
	s_cmp_lg_u32 s6, 0
	s_cbranch_scc0 .LBB16_1102
; %bb.1:
	s_lshl_b32 s33, s79, 6
	v_add3_u32 v1, v2, s33, 64
	v_ashrrev_i32_e32 v3, 31, v1
	v_mul_lo_u32 v7, s20, v3
	v_mul_lo_u32 v8, s21, v1
	v_mad_u64_u32 v[3:4], s[0:1], s20, v1, 0
	v_add_u32_e32 v5, s33, v0
	v_ashrrev_i32_e32 v6, 31, v5
	v_add3_u32 v4, v4, v7, v8
	v_lshlrev_b64 v[3:4], 2, v[3:4]
	v_mov_b32_e32 v7, s78
	v_add_co_u32_e64 v8, s[0:1], s77, v3
	v_addc_co_u32_e64 v7, s[0:1], v7, v4, s[0:1]
	v_lshlrev_b64 v[3:4], 2, v[5:6]
	v_cmp_gt_i32_e32 vcc, s26, v5
	v_add_co_u32_e64 v3, s[0:1], v8, v3
	v_addc_co_u32_e64 v4, s[0:1], v7, v4, s[0:1]
	v_cmp_gt_i32_e64 s[0:1], s26, v1
	s_and_b64 s[2:3], vcc, s[0:1]
	v_mov_b32_e32 v8, 0
	v_mov_b32_e32 v7, 0
	s_barrier
	s_and_saveexec_b64 s[0:1], s[2:3]
	s_cbranch_execz .LBB16_3
; %bb.2:
	global_load_dword v7, v[3:4], off
.LBB16_3:
	s_or_b64 exec, exec, s[0:1]
	v_add_u32_e32 v5, 16, v1
	v_cmp_gt_i32_e64 s[0:1], s26, v5
	s_and_b64 s[0:1], vcc, s[0:1]
	s_waitcnt vmcnt(0)
	s_barrier
	s_and_saveexec_b64 s[2:3], s[0:1]
	s_cbranch_execz .LBB16_5
; %bb.4:
	s_lshl_b64 s[0:1], s[20:21], 6
	v_mov_b32_e32 v6, s1
	v_add_co_u32_e64 v5, s[0:1], s0, v3
	v_addc_co_u32_e64 v6, s[0:1], v4, v6, s[0:1]
	global_load_dword v8, v[5:6], off
.LBB16_5:
	s_or_b64 exec, exec, s[2:3]
	v_add_u32_e32 v5, 32, v1
	v_cmp_gt_i32_e64 s[0:1], s26, v5
	s_and_b64 s[0:1], vcc, s[0:1]
	v_mov_b32_e32 v9, 0
	v_mov_b32_e32 v10, 0
	s_waitcnt vmcnt(0)
	s_barrier
	s_and_saveexec_b64 s[2:3], s[0:1]
	s_cbranch_execz .LBB16_7
; %bb.6:
	s_lshl_b64 s[0:1], s[20:21], 7
	v_mov_b32_e32 v6, s1
	v_add_co_u32_e64 v5, s[0:1], s0, v3
	v_addc_co_u32_e64 v6, s[0:1], v4, v6, s[0:1]
	global_load_dword v10, v[5:6], off
.LBB16_7:
	s_or_b64 exec, exec, s[2:3]
	v_add_u32_e32 v1, 48, v1
	v_cmp_gt_i32_e64 s[0:1], s26, v1
	s_and_b64 s[2:3], vcc, s[0:1]
	s_waitcnt vmcnt(0)
	s_barrier
	s_and_saveexec_b64 s[0:1], s[2:3]
	s_cbranch_execz .LBB16_9
; %bb.8:
	v_mov_b32_e32 v1, 0xc0
	v_mad_u64_u32 v[3:4], s[2:3], s20, v1, v[3:4]
	s_mul_i32 s2, s21, 0xc0
	v_add_u32_e32 v4, s2, v4
	global_load_dword v9, v[3:4], off
.LBB16_9:
	s_or_b64 exec, exec, s[0:1]
	s_branch .LBB16_11
.LBB16_10:
	s_lshl_b32 s33, s79, 6
                                        ; implicit-def: $vgpr7
                                        ; implicit-def: $vgpr8
                                        ; implicit-def: $vgpr10
                                        ; implicit-def: $vgpr9
.LBB16_11:
	s_ashr_i32 s27, s26, 31
	s_lshr_b32 s0, s27, 26
	s_add_i32 s0, s26, s0
	s_andn2_b32 s0, s0, 63
	s_sub_i32 s76, s26, s0
	s_add_i32 s0, s26, -1
	s_ashr_i32 s1, s0, 31
	s_lshr_b32 s1, s1, 26
	s_add_i32 s0, s0, s1
	s_ashr_i32 s0, s0, 6
	s_cmp_eq_u32 s0, s79
	s_cselect_b64 s[0:1], -1, 0
	s_cmp_lg_u32 s76, 0
	s_cselect_b64 s[2:3], -1, 0
	s_and_b64 s[18:19], s[2:3], s[0:1]
	s_ashr_i32 s10, s33, 31
	s_add_u32 s8, s20, 1
	v_mov_b32_e32 v1, 0
	v_mov_b32_e32 v3, s33
	v_mad_u64_u32 v[3:4], s[0:1], s8, v3, v[0:1]
	s_addc_u32 s9, s21, 0
	s_mul_i32 s0, s8, s10
	s_mul_i32 s9, s9, s33
	s_add_i32 s0, s0, s9
	s_mov_b64 s[2:3], -1
                                        ; implicit-def: $vgpr27 : SGPR spill to VGPR lane
	v_add_u32_e32 v4, s0, v4
	s_and_b64 vcc, exec, s[18:19]
	v_cmp_le_u32_e64 s[0:1], v2, v0
	v_writelane_b32 v27, s10, 0
	s_cbranch_vccnz .LBB16_33
; %bb.12:
	v_mad_u64_u32 v[5:6], s[2:3], s20, v2, v[3:4]
	v_mov_b32_e32 v1, v6
	v_mad_u64_u32 v[11:12], s[2:3], s21, v2, v[1:2]
	s_mov_b64 s[2:3], 0
                                        ; implicit-def: $vgpr1
	v_mov_b32_e32 v6, v11
	s_and_saveexec_b64 s[8:9], s[0:1]
	s_xor_b64 s[0:1], exec, s[8:9]
	s_cbranch_execnz .LBB16_1103
; %bb.13:
	s_andn2_saveexec_b64 s[0:1], s[0:1]
	s_cbranch_execnz .LBB16_1108
.LBB16_14:
	s_or_b64 exec, exec, s[0:1]
	s_and_saveexec_b64 s[0:1], s[2:3]
.LBB16_15:
	v_lshlrev_b32_e32 v5, 2, v0
	v_lshl_add_u32 v5, v2, 8, v5
	ds_write_b32 v5, v1
.LBB16_16:
	s_or_b64 exec, exec, s[0:1]
	v_add_u32_e32 v1, 16, v2
	v_mad_u64_u32 v[5:6], s[0:1], s20, v1, v[3:4]
	v_cmp_le_u32_e32 vcc, v1, v0
	s_mov_b64 s[2:3], 0
	v_mad_u64_u32 v[11:12], s[0:1], s21, v1, v[6:7]
	v_mov_b32_e32 v6, v11
                                        ; implicit-def: $vgpr11
	s_and_saveexec_b64 s[0:1], vcc
	s_xor_b64 s[0:1], exec, s[0:1]
	s_cbranch_execnz .LBB16_1109
; %bb.17:
	s_andn2_saveexec_b64 s[0:1], s[0:1]
	s_cbranch_execnz .LBB16_1114
.LBB16_18:
	s_or_b64 exec, exec, s[0:1]
	s_and_saveexec_b64 s[0:1], s[2:3]
.LBB16_19:
	v_lshlrev_b32_e32 v5, 2, v0
	v_lshl_add_u32 v1, v1, 8, v5
	ds_write_b32 v1, v11
.LBB16_20:
	s_or_b64 exec, exec, s[0:1]
	v_add_u32_e32 v1, 32, v2
	v_mad_u64_u32 v[5:6], s[0:1], s20, v1, v[3:4]
	v_cmp_le_u32_e32 vcc, v1, v0
	s_mov_b64 s[2:3], 0
	v_mad_u64_u32 v[11:12], s[0:1], s21, v1, v[6:7]
	v_mov_b32_e32 v6, v11
                                        ; implicit-def: $vgpr11
	s_and_saveexec_b64 s[0:1], vcc
	s_xor_b64 s[0:1], exec, s[0:1]
	s_cbranch_execnz .LBB16_1115
; %bb.21:
	s_andn2_saveexec_b64 s[0:1], s[0:1]
	s_cbranch_execnz .LBB16_1120
.LBB16_22:
	s_or_b64 exec, exec, s[0:1]
	s_and_saveexec_b64 s[0:1], s[2:3]
.LBB16_23:
	v_lshlrev_b32_e32 v5, 2, v0
	v_lshl_add_u32 v1, v1, 8, v5
	ds_write_b32 v1, v11
.LBB16_24:
	s_or_b64 exec, exec, s[0:1]
	v_add_u32_e32 v1, 48, v2
	v_mad_u64_u32 v[5:6], s[0:1], s20, v1, v[3:4]
	v_cmp_le_u32_e32 vcc, v1, v0
	s_mov_b64 s[8:9], 0
	v_mad_u64_u32 v[11:12], s[0:1], s21, v1, v[6:7]
	v_mov_b32_e32 v6, v11
                                        ; implicit-def: $vgpr11
	s_and_saveexec_b64 s[0:1], vcc
	s_xor_b64 s[0:1], exec, s[0:1]
	s_cbranch_execz .LBB16_30
; %bb.25:
	v_cmp_ne_u32_e32 vcc, v0, v1
	s_mov_b64 s[2:3], 0
	s_and_saveexec_b64 s[8:9], vcc
	s_xor_b64 s[8:9], exec, s[8:9]
; %bb.26:
	v_or_b32_e32 v5, v1, v0
	v_cmp_gt_u32_e32 vcc, 64, v5
	s_and_b64 s[2:3], vcc, exec
                                        ; implicit-def: $vgpr5_vgpr6
; %bb.27:
	s_or_saveexec_b64 s[8:9], s[8:9]
	v_mov_b32_e32 v11, 0
	s_xor_b64 exec, exec, s[8:9]
	s_cbranch_execz .LBB16_29
; %bb.28:
	v_lshlrev_b64 v[5:6], 2, v[5:6]
	v_mov_b32_e32 v1, s78
	v_add_co_u32_e32 v5, vcc, s77, v5
	v_addc_co_u32_e32 v6, vcc, v1, v6, vcc
	global_load_dword v1, v[5:6], off
	s_or_b64 s[2:3], s[2:3], exec
	s_waitcnt vmcnt(0)
	v_div_scale_f32 v5, s[10:11], v1, v1, 1.0
	v_div_scale_f32 v6, vcc, 1.0, v1, 1.0
	v_rcp_f32_e32 v11, v5
	v_fma_f32 v12, -v5, v11, 1.0
	v_fmac_f32_e32 v11, v12, v11
	v_mul_f32_e32 v12, v6, v11
	v_fma_f32 v13, -v5, v12, v6
	v_fmac_f32_e32 v12, v13, v11
	v_fma_f32 v5, -v5, v12, v6
	v_div_fmas_f32 v5, v5, v11, v12
	v_div_fixup_f32 v11, v5, v1, 1.0
	v_mov_b32_e32 v1, v0
.LBB16_29:
	s_or_b64 exec, exec, s[8:9]
	s_and_b64 s[8:9], s[2:3], exec
                                        ; implicit-def: $vgpr5_vgpr6
.LBB16_30:
	s_andn2_saveexec_b64 s[0:1], s[0:1]
	s_cbranch_execz .LBB16_32
; %bb.31:
	v_lshlrev_b64 v[5:6], 2, v[5:6]
	v_mov_b32_e32 v11, s78
	v_add_co_u32_e32 v5, vcc, s77, v5
	v_addc_co_u32_e32 v6, vcc, v11, v6, vcc
	global_load_dword v5, v[5:6], off
	s_or_b64 s[8:9], s[8:9], exec
	s_waitcnt vmcnt(0)
	v_xor_b32_e32 v11, 0x80000000, v5
.LBB16_32:
	s_or_b64 exec, exec, s[0:1]
	s_branch .LBB16_55
.LBB16_33:
	s_mov_b64 s[8:9], 0
                                        ; implicit-def: $vgpr11
                                        ; implicit-def: $vgpr1
	s_and_b64 vcc, exec, s[2:3]
	s_cbranch_vccz .LBB16_55
; %bb.34:
	v_mad_u64_u32 v[5:6], s[0:1], s20, v2, v[3:4]
	v_cmp_le_u32_e32 vcc, v2, v0
	v_cmp_gt_i32_e64 s[0:1], s76, v0
	v_mov_b32_e32 v1, v6
	v_mad_u64_u32 v[11:12], s[2:3], s21, v2, v[1:2]
	v_max_i32_e32 v1, v2, v0
	v_cmp_le_i32_e64 s[2:3], s76, v1
	v_mov_b32_e32 v6, v11
	s_or_b64 s[2:3], s[2:3], vcc
	s_mov_b64 s[10:11], 0
                                        ; implicit-def: $vgpr1
	s_and_saveexec_b64 s[12:13], s[2:3]
	s_xor_b64 s[2:3], exec, s[12:13]
	s_cbranch_execnz .LBB16_1121
; %bb.35:
	s_andn2_saveexec_b64 s[2:3], s[2:3]
	s_cbranch_execnz .LBB16_1126
.LBB16_36:
	s_or_b64 exec, exec, s[2:3]
	s_and_saveexec_b64 s[2:3], s[10:11]
.LBB16_37:
	v_lshlrev_b32_e32 v5, 2, v0
	v_lshl_add_u32 v5, v2, 8, v5
	ds_write_b32 v5, v1
.LBB16_38:
	s_or_b64 exec, exec, s[2:3]
	v_add_u32_e32 v1, 16, v2
	v_mad_u64_u32 v[5:6], s[2:3], s20, v1, v[3:4]
	v_cmp_gt_u32_e32 vcc, v1, v0
	s_mov_b64 s[10:11], 0
	v_mad_u64_u32 v[11:12], s[2:3], s21, v1, v[6:7]
	v_cmp_gt_i32_e64 s[2:3], s76, v1
	s_and_b64 s[2:3], vcc, s[2:3]
	s_and_b64 s[2:3], s[0:1], s[2:3]
	v_mov_b32_e32 v6, v11
	s_xor_b64 s[2:3], s[2:3], -1
                                        ; implicit-def: $vgpr11
	s_and_saveexec_b64 s[12:13], s[2:3]
	s_xor_b64 s[2:3], exec, s[12:13]
	s_cbranch_execnz .LBB16_1127
; %bb.39:
	s_andn2_saveexec_b64 s[2:3], s[2:3]
	s_cbranch_execnz .LBB16_1132
.LBB16_40:
	s_or_b64 exec, exec, s[2:3]
	s_and_saveexec_b64 s[2:3], s[10:11]
.LBB16_41:
	v_lshlrev_b32_e32 v5, 2, v0
	v_lshl_add_u32 v1, v1, 8, v5
	ds_write_b32 v1, v11
.LBB16_42:
	s_or_b64 exec, exec, s[2:3]
	v_add_u32_e32 v1, 32, v2
	v_mad_u64_u32 v[5:6], s[2:3], s20, v1, v[3:4]
	v_cmp_gt_u32_e32 vcc, v1, v0
	s_mov_b64 s[10:11], 0
	v_mad_u64_u32 v[11:12], s[2:3], s21, v1, v[6:7]
	v_cmp_gt_i32_e64 s[2:3], s76, v1
	s_and_b64 s[2:3], vcc, s[2:3]
	s_and_b64 s[2:3], s[0:1], s[2:3]
	v_mov_b32_e32 v6, v11
	s_xor_b64 s[2:3], s[2:3], -1
                                        ; implicit-def: $vgpr11
	s_and_saveexec_b64 s[12:13], s[2:3]
	s_xor_b64 s[2:3], exec, s[12:13]
	s_cbranch_execnz .LBB16_1133
; %bb.43:
	s_andn2_saveexec_b64 s[2:3], s[2:3]
	s_cbranch_execnz .LBB16_1138
.LBB16_44:
	s_or_b64 exec, exec, s[2:3]
	s_and_saveexec_b64 s[2:3], s[10:11]
.LBB16_45:
	v_lshlrev_b32_e32 v5, 2, v0
	v_lshl_add_u32 v1, v1, 8, v5
	ds_write_b32 v1, v11
.LBB16_46:
	s_or_b64 exec, exec, s[2:3]
	v_add_u32_e32 v1, 48, v2
	v_mad_u64_u32 v[3:4], s[2:3], s20, v1, v[3:4]
	v_cmp_gt_u32_e32 vcc, v1, v0
                                        ; implicit-def: $vgpr11
	v_mad_u64_u32 v[4:5], s[2:3], s21, v1, v[4:5]
	v_cmp_gt_i32_e64 s[2:3], s76, v1
	s_and_b64 s[2:3], vcc, s[2:3]
	s_and_b64 s[2:3], s[0:1], s[2:3]
	s_xor_b64 s[2:3], s[2:3], -1
	s_and_saveexec_b64 s[10:11], s[2:3]
	s_xor_b64 s[2:3], exec, s[10:11]
	s_cbranch_execz .LBB16_52
; %bb.47:
	v_cmp_ne_u32_e32 vcc, v0, v1
	s_xor_b64 s[0:1], s[0:1], -1
	s_or_b64 s[10:11], s[0:1], vcc
	s_mov_b64 s[0:1], s[8:9]
	s_and_saveexec_b64 s[12:13], s[10:11]
	s_xor_b64 s[10:11], exec, s[12:13]
; %bb.48:
	v_or_b32_e32 v3, v1, v0
	v_cmp_gt_u32_e32 vcc, 64, v3
	s_andn2_b64 s[0:1], s[8:9], exec
	s_and_b64 s[12:13], vcc, exec
	s_or_b64 s[0:1], s[0:1], s[12:13]
                                        ; implicit-def: $vgpr3_vgpr4
; %bb.49:
	s_or_saveexec_b64 s[10:11], s[10:11]
	v_mov_b32_e32 v11, 0
	s_xor_b64 exec, exec, s[10:11]
	s_cbranch_execz .LBB16_51
; %bb.50:
	v_lshlrev_b64 v[3:4], 2, v[3:4]
	v_mov_b32_e32 v1, s78
	v_add_co_u32_e32 v3, vcc, s77, v3
	v_addc_co_u32_e32 v4, vcc, v1, v4, vcc
	global_load_dword v1, v[3:4], off
	s_or_b64 s[0:1], s[0:1], exec
	s_waitcnt vmcnt(0)
	v_div_scale_f32 v3, s[12:13], v1, v1, 1.0
	v_div_scale_f32 v4, vcc, 1.0, v1, 1.0
	v_rcp_f32_e32 v5, v3
	v_fma_f32 v6, -v3, v5, 1.0
	v_fmac_f32_e32 v5, v6, v5
	v_mul_f32_e32 v6, v4, v5
	v_fma_f32 v11, -v3, v6, v4
	v_fmac_f32_e32 v6, v11, v5
	v_fma_f32 v3, -v3, v6, v4
	v_div_fmas_f32 v3, v3, v5, v6
	v_div_fixup_f32 v11, v3, v1, 1.0
	v_mov_b32_e32 v1, v0
.LBB16_51:
	s_or_b64 exec, exec, s[10:11]
	s_andn2_b64 s[8:9], s[8:9], exec
	s_and_b64 s[0:1], s[0:1], exec
	s_or_b64 s[8:9], s[8:9], s[0:1]
                                        ; implicit-def: $vgpr3_vgpr4
.LBB16_52:
	s_andn2_saveexec_b64 s[0:1], s[2:3]
	s_cbranch_execz .LBB16_54
; %bb.53:
	v_lshlrev_b64 v[3:4], 2, v[3:4]
	v_mov_b32_e32 v5, s78
	v_add_co_u32_e32 v3, vcc, s77, v3
	v_addc_co_u32_e32 v4, vcc, v5, v4, vcc
	global_load_dword v3, v[3:4], off
	s_or_b64 s[8:9], s[8:9], exec
	s_waitcnt vmcnt(0)
	v_xor_b32_e32 v11, 0x80000000, v3
.LBB16_54:
	s_or_b64 exec, exec, s[0:1]
.LBB16_55:
	s_and_saveexec_b64 s[0:1], s[8:9]
; %bb.56:
	v_lshlrev_b32_e32 v3, 2, v0
	v_lshl_add_u32 v1, v1, 8, v3
	ds_write_b32 v1, v11
; %bb.57:
	s_or_b64 exec, exec, s[0:1]
	s_cmp_lt_i32 s6, 5
	s_cselect_b64 s[0:1], -1, 0
	s_or_b64 s[22:23], s[0:1], s[18:19]
	s_and_b64 vcc, exec, s[22:23]
	s_waitcnt vmcnt(0) lgkmcnt(0)
	s_barrier
	s_cbranch_vccnz .LBB16_1033
; %bb.58:
	v_or_b32_e32 v1, v0, v2
	v_cmp_eq_u32_e32 vcc, 0, v1
	s_and_saveexec_b64 s[0:1], vcc
	s_cbranch_execz .LBB16_60
; %bb.59:
	v_mov_b32_e32 v1, 0
	ds_read_b64 v[3:4], v1 offset:16376
	ds_read_b32 v5, v1 offset:16120
	s_waitcnt lgkmcnt(0)
	v_mul_f32_e32 v4, v5, v4
	v_mul_f32_e32 v3, v3, v4
	ds_write_b32 v1, v3 offset:16376
.LBB16_60:
	s_or_b64 exec, exec, s[0:1]
	v_lshlrev_b32_e32 v3, 6, v2
	v_add_u32_e32 v5, v3, v0
	v_and_b32_e32 v4, v3, v0
	v_xor_b32_e32 v3, v3, v0
	v_lshrrev_b16_e32 v3, 1, v3
	v_add_u16_e32 v4, v4, v3
	v_and_b32_e32 v1, 1, v0
	v_sub_u32_e32 v3, 1, v4
	v_cmp_lt_u32_e64 s[2:3], 3, v5
	v_cmp_gt_u32_e64 s[0:1], 4, v5
	v_mov_b32_e32 v6, 0
	s_waitcnt lgkmcnt(0)
	s_barrier
	buffer_wbinvl1_vol
	s_and_saveexec_b64 s[10:11], s[0:1]
	s_cbranch_execz .LBB16_64
; %bb.61:
	v_lshlrev_b32_e32 v6, 8, v3
	v_lshlrev_b32_e32 v11, 2, v1
	ds_read_b32 v12, v11 offset:16112
	ds_read_b32 v6, v6 offset:16120
	v_mov_b32_e32 v11, 0
	v_cmp_gt_u32_e64 s[8:9], 2, v5
	s_waitcnt lgkmcnt(0)
	v_fma_f32 v6, v12, v6, 0
	s_and_saveexec_b64 s[12:13], s[8:9]
	s_cbranch_execz .LBB16_63
; %bb.62:
	v_lshlrev_b32_e32 v12, 2, v0
	ds_read_b32 v12, v12 offset:16368
	ds_read_b32 v11, v11 offset:16380
	s_waitcnt lgkmcnt(0)
	v_fmac_f32_e32 v6, v12, v11
.LBB16_63:
	s_or_b64 exec, exec, s[12:13]
.LBB16_64:
	s_or_b64 exec, exec, s[10:11]
	v_mov_b32_e32 v11, 0x4000
	v_cmp_ne_u32_e64 s[8:9], 0, v1
	s_xor_b64 s[10:11], s[2:3], -1
	v_lshl_add_u32 v4, v4, 2, v11
	s_and_b64 s[30:31], s[8:9], s[10:11]
	s_and_saveexec_b64 s[2:3], s[30:31]
	s_cbranch_execz .LBB16_66
; %bb.65:
	v_mov_b32_e32 v11, 0
	ds_read_b32 v11, v11 offset:15860
	s_waitcnt lgkmcnt(0)
	v_mul_f32_e32 v6, v6, v11
	v_xor_b32_e32 v11, 0x80000000, v6
	ds_write_b32 v4, v11
.LBB16_66:
	s_or_b64 exec, exec, s[2:3]
	v_cmp_eq_u32_e64 s[2:3], 0, v1
	s_and_b64 s[28:29], s[2:3], s[10:11]
	s_waitcnt lgkmcnt(0)
	s_barrier
	s_and_saveexec_b64 s[2:3], s[28:29]
	s_cbranch_execz .LBB16_68
; %bb.67:
	v_mov_b32_e32 v11, 0
	ds_read_b32 v11, v11 offset:15856
	ds_read_b32 v12, v4
	s_waitcnt lgkmcnt(0)
	v_fma_f32 v6, -v11, v12, v6
.LBB16_68:
	s_or_b64 exec, exec, s[2:3]
	s_barrier
	s_and_saveexec_b64 s[2:3], s[28:29]
	s_cbranch_execz .LBB16_70
; %bb.69:
	v_mov_b32_e32 v11, 0
	ds_read_b32 v11, v11 offset:15600
	s_waitcnt lgkmcnt(0)
	v_mul_f32_e32 v6, v6, v11
	v_xor_b32_e32 v11, 0x80000000, v6
	ds_write_b32 v4, v11
.LBB16_70:
	s_or_b64 exec, exec, s[2:3]
	s_waitcnt lgkmcnt(0)
	s_barrier
	s_barrier
	s_and_saveexec_b64 s[2:3], s[0:1]
; %bb.71:
	v_lshlrev_b32_e32 v11, 2, v1
	v_lshl_or_b32 v11, v3, 8, v11
	ds_write_b32 v11, v6 offset:16112
; %bb.72:
	s_or_b64 exec, exec, s[2:3]
	s_waitcnt lgkmcnt(0)
	s_barrier
	s_barrier
	s_and_saveexec_b64 s[2:3], vcc
	s_cbranch_execz .LBB16_74
; %bb.73:
	v_mov_b32_e32 v6, 0
	ds_read_b64 v[11:12], v6 offset:15856
	ds_read_b32 v13, v6 offset:15600
	s_waitcnt lgkmcnt(0)
	v_mul_f32_e32 v12, v13, v12
	v_mul_f32_e32 v11, v11, v12
	ds_write_b32 v6, v11 offset:15856
.LBB16_74:
	s_or_b64 exec, exec, s[2:3]
	v_lshrrev_b32_e32 v12, 2, v5
	v_and_b32_e32 v6, 3, v0
	v_sub_u32_e32 v11, 3, v12
	v_cmp_lt_u32_e64 s[8:9], 15, v5
	v_cmp_gt_u32_e64 s[2:3], 16, v5
	v_mov_b32_e32 v13, 0
	s_waitcnt lgkmcnt(0)
	s_barrier
	buffer_wbinvl1_vol
	s_and_saveexec_b64 s[12:13], s[2:3]
	s_cbranch_execz .LBB16_80
; %bb.75:
	v_lshlrev_b32_e32 v15, 2, v6
	v_lshlrev_b32_e32 v14, 8, v11
	ds_read_b32 v13, v15 offset:15584
	ds_read_b32 v16, v14 offset:15600
	v_cmp_gt_u32_e64 s[10:11], 12, v5
	s_waitcnt lgkmcnt(0)
	v_fma_f32 v13, v13, v16, 0
	s_and_saveexec_b64 s[14:15], s[10:11]
	s_cbranch_execnz .LBB16_1143
; %bb.76:
	s_or_b64 exec, exec, s[14:15]
	v_cmp_gt_u32_e64 s[10:11], 8, v5
	s_and_saveexec_b64 s[14:15], s[10:11]
	s_cbranch_execnz .LBB16_1144
.LBB16_77:
	s_or_b64 exec, exec, s[14:15]
	v_cmp_gt_u32_e64 s[10:11], 4, v5
	s_and_saveexec_b64 s[14:15], s[10:11]
	s_cbranch_execz .LBB16_79
.LBB16_78:
	v_lshlrev_b32_e32 v14, 2, v0
	v_mov_b32_e32 v15, 0
	ds_read_b32 v14, v14 offset:16352
	ds_read_b32 v15, v15 offset:16380
	s_waitcnt lgkmcnt(0)
	v_fmac_f32_e32 v13, v14, v15
.LBB16_79:
	s_or_b64 exec, exec, s[14:15]
.LBB16_80:
	s_or_b64 exec, exec, s[12:13]
	v_mov_b32_e32 v14, 0x4000
	v_cmp_eq_u32_e64 s[10:11], 3, v6
	s_xor_b64 s[12:13], s[8:9], -1
	v_lshl_add_u32 v12, v12, 2, v14
	s_and_b64 s[36:37], s[10:11], s[12:13]
	s_and_saveexec_b64 s[8:9], s[36:37]
	s_cbranch_execz .LBB16_82
; %bb.81:
	v_mov_b32_e32 v14, 0
	ds_read_b32 v14, v14 offset:15340
	s_waitcnt lgkmcnt(0)
	v_mul_f32_e32 v13, v13, v14
	v_xor_b32_e32 v14, 0x80000000, v13
	ds_write_b32 v12, v14
.LBB16_82:
	s_or_b64 exec, exec, s[8:9]
	v_cmp_ne_u32_e64 s[8:9], 3, v6
	s_and_b64 s[38:39], s[8:9], s[12:13]
	s_waitcnt lgkmcnt(0)
	s_barrier
	s_and_saveexec_b64 s[8:9], s[38:39]
	s_cbranch_execz .LBB16_84
; %bb.83:
	v_lshlrev_b32_e32 v14, 2, v6
	ds_read_b32 v14, v14 offset:15328
	ds_read_b32 v15, v12
	s_waitcnt lgkmcnt(0)
	v_fma_f32 v13, -v14, v15, v13
.LBB16_84:
	s_or_b64 exec, exec, s[8:9]
	v_cmp_eq_u32_e64 s[8:9], 2, v6
	s_and_b64 s[40:41], s[8:9], s[12:13]
	s_barrier
	s_and_saveexec_b64 s[8:9], s[40:41]
	s_cbranch_execz .LBB16_86
; %bb.85:
	v_mov_b32_e32 v14, 0
	ds_read_b32 v14, v14 offset:15080
	s_waitcnt lgkmcnt(0)
	v_mul_f32_e32 v13, v13, v14
	v_xor_b32_e32 v14, 0x80000000, v13
	ds_write_b32 v12, v14
.LBB16_86:
	s_or_b64 exec, exec, s[8:9]
	v_cmp_gt_u32_e64 s[8:9], 2, v6
	s_and_b64 s[42:43], s[8:9], s[12:13]
	s_waitcnt lgkmcnt(0)
	s_barrier
	s_and_saveexec_b64 s[8:9], s[42:43]
	s_cbranch_execz .LBB16_88
; %bb.87:
	v_lshlrev_b32_e32 v14, 2, v6
	ds_read_b32 v14, v14 offset:15072
	ds_read_b32 v15, v12
	s_waitcnt lgkmcnt(0)
	v_fma_f32 v13, -v14, v15, v13
.LBB16_88:
	s_or_b64 exec, exec, s[8:9]
	v_cmp_eq_u32_e64 s[8:9], 1, v6
	s_and_b64 s[44:45], s[8:9], s[12:13]
	s_barrier
	s_and_saveexec_b64 s[8:9], s[44:45]
	s_cbranch_execz .LBB16_90
; %bb.89:
	v_mov_b32_e32 v14, 0
	ds_read_b32 v14, v14 offset:14820
	s_waitcnt lgkmcnt(0)
	v_mul_f32_e32 v13, v13, v14
	v_xor_b32_e32 v14, 0x80000000, v13
	ds_write_b32 v12, v14
.LBB16_90:
	s_or_b64 exec, exec, s[8:9]
	v_cmp_eq_u32_e64 s[8:9], 0, v6
	s_and_b64 s[34:35], s[8:9], s[12:13]
	s_waitcnt lgkmcnt(0)
	s_barrier
	s_and_saveexec_b64 s[8:9], s[34:35]
	s_cbranch_execz .LBB16_92
; %bb.91:
	v_mov_b32_e32 v14, 0
	ds_read_b32 v14, v14 offset:14816
	ds_read_b32 v15, v12
	s_waitcnt lgkmcnt(0)
	v_fma_f32 v13, -v14, v15, v13
.LBB16_92:
	s_or_b64 exec, exec, s[8:9]
	s_barrier
	s_and_saveexec_b64 s[8:9], s[34:35]
	s_cbranch_execz .LBB16_94
; %bb.93:
	v_mov_b32_e32 v14, 0
	ds_read_b32 v14, v14 offset:14560
	s_waitcnt lgkmcnt(0)
	v_mul_f32_e32 v13, v13, v14
	v_xor_b32_e32 v14, 0x80000000, v13
	ds_write_b32 v12, v14
.LBB16_94:
	s_or_b64 exec, exec, s[8:9]
	s_waitcnt lgkmcnt(0)
	s_barrier
	s_barrier
	s_and_saveexec_b64 s[8:9], s[2:3]
; %bb.95:
	v_lshlrev_b32_e32 v14, 2, v6
	v_lshl_or_b32 v14, v11, 8, v14
	ds_write_b32 v14, v13 offset:15584
; %bb.96:
	s_or_b64 exec, exec, s[8:9]
	s_waitcnt lgkmcnt(0)
	s_barrier
	s_barrier
	s_and_saveexec_b64 s[8:9], vcc
	s_cbranch_execz .LBB16_98
; %bb.97:
	v_mov_b32_e32 v15, 0
	ds_read_b64 v[13:14], v15 offset:15336
	ds_read_b32 v16, v15 offset:15080
	s_waitcnt lgkmcnt(0)
	v_mul_f32_e32 v14, v16, v14
	v_mul_f32_e32 v13, v13, v14
	ds_write_b32 v15, v13 offset:15336
.LBB16_98:
	s_or_b64 exec, exec, s[8:9]
	v_mov_b32_e32 v13, 0
	s_waitcnt lgkmcnt(0)
	s_barrier
	buffer_wbinvl1_vol
	s_and_saveexec_b64 s[10:11], s[0:1]
	s_cbranch_execz .LBB16_102
; %bb.99:
	v_lshlrev_b32_e32 v13, 8, v3
	v_lshlrev_b32_e32 v14, 2, v1
	ds_read_b32 v15, v14 offset:15072
	ds_read_b32 v13, v13 offset:15080
	v_mov_b32_e32 v14, 0
	v_cmp_gt_u32_e64 s[8:9], 2, v5
	s_waitcnt lgkmcnt(0)
	v_fma_f32 v13, v15, v13, 0
	s_and_saveexec_b64 s[12:13], s[8:9]
	s_cbranch_execz .LBB16_101
; %bb.100:
	v_lshlrev_b32_e32 v15, 2, v0
	ds_read_b32 v15, v15 offset:15328
	ds_read_b32 v14, v14 offset:15340
	s_waitcnt lgkmcnt(0)
	v_fmac_f32_e32 v13, v15, v14
.LBB16_101:
	s_or_b64 exec, exec, s[12:13]
.LBB16_102:
	s_or_b64 exec, exec, s[10:11]
	s_and_saveexec_b64 s[8:9], s[30:31]
	s_cbranch_execz .LBB16_104
; %bb.103:
	v_mov_b32_e32 v14, 0
	ds_read_b32 v14, v14 offset:14820
	s_waitcnt lgkmcnt(0)
	v_mul_f32_e32 v13, v13, v14
	v_xor_b32_e32 v14, 0x80000000, v13
	ds_write_b32 v4, v14
.LBB16_104:
	s_or_b64 exec, exec, s[8:9]
	s_waitcnt lgkmcnt(0)
	s_barrier
	s_and_saveexec_b64 s[8:9], s[28:29]
	s_cbranch_execz .LBB16_106
; %bb.105:
	v_mov_b32_e32 v14, 0
	ds_read_b32 v14, v14 offset:14816
	ds_read_b32 v15, v4
	s_waitcnt lgkmcnt(0)
	v_fma_f32 v13, -v14, v15, v13
.LBB16_106:
	s_or_b64 exec, exec, s[8:9]
	s_barrier
	s_and_saveexec_b64 s[8:9], s[28:29]
	s_cbranch_execz .LBB16_108
; %bb.107:
	v_mov_b32_e32 v14, 0
	ds_read_b32 v14, v14 offset:14560
	s_waitcnt lgkmcnt(0)
	v_mul_f32_e32 v13, v13, v14
	v_xor_b32_e32 v14, 0x80000000, v13
	ds_write_b32 v4, v14
.LBB16_108:
	s_or_b64 exec, exec, s[8:9]
	s_waitcnt lgkmcnt(0)
	s_barrier
	s_barrier
	s_and_saveexec_b64 s[8:9], s[0:1]
; %bb.109:
	v_lshlrev_b32_e32 v14, 2, v1
	v_lshl_or_b32 v14, v3, 8, v14
	ds_write_b32 v14, v13 offset:15072
; %bb.110:
	s_or_b64 exec, exec, s[8:9]
	s_waitcnt lgkmcnt(0)
	s_barrier
	s_barrier
	s_and_saveexec_b64 s[8:9], vcc
	s_cbranch_execz .LBB16_112
; %bb.111:
	v_mov_b32_e32 v15, 0
	ds_read_b64 v[13:14], v15 offset:14816
	ds_read_b32 v16, v15 offset:14560
	s_waitcnt lgkmcnt(0)
	v_mul_f32_e32 v14, v16, v14
	v_mul_f32_e32 v13, v13, v14
	ds_write_b32 v15, v13 offset:14816
.LBB16_112:
	s_or_b64 exec, exec, s[8:9]
	v_lshrrev_b32_e32 v15, 3, v5
	v_and_b32_e32 v13, 7, v0
	v_sub_u32_e32 v14, 7, v15
	v_cmp_lt_u32_e64 s[8:9], 63, v5
	v_cmp_gt_u32_e64 s[14:15], 64, v5
	v_mov_b32_e32 v16, 0
	s_waitcnt lgkmcnt(0)
	s_barrier
	buffer_wbinvl1_vol
	s_and_saveexec_b64 s[12:13], s[14:15]
	s_cbranch_execz .LBB16_122
; %bb.113:
	v_lshlrev_b32_e32 v18, 2, v13
	v_lshlrev_b32_e32 v17, 8, v14
	ds_read_b32 v16, v18 offset:14528
	ds_read_b32 v19, v17 offset:14560
	v_cmp_gt_u32_e64 s[10:11], 56, v5
	s_waitcnt lgkmcnt(0)
	v_fma_f32 v16, v16, v19, 0
	s_and_saveexec_b64 s[16:17], s[10:11]
	s_cbranch_execnz .LBB16_1145
; %bb.114:
	s_or_b64 exec, exec, s[16:17]
	v_cmp_gt_u32_e64 s[10:11], 48, v5
	s_and_saveexec_b64 s[16:17], s[10:11]
	s_cbranch_execnz .LBB16_1146
.LBB16_115:
	s_or_b64 exec, exec, s[16:17]
	v_cmp_gt_u32_e64 s[10:11], 40, v5
	s_and_saveexec_b64 s[16:17], s[10:11]
	s_cbranch_execnz .LBB16_1147
.LBB16_116:
	s_or_b64 exec, exec, s[16:17]
	v_cmp_gt_u32_e64 s[10:11], 32, v5
	s_and_saveexec_b64 s[16:17], s[10:11]
	s_cbranch_execnz .LBB16_1148
.LBB16_117:
	s_or_b64 exec, exec, s[16:17]
	v_cmp_gt_u32_e64 s[10:11], 24, v5
	s_and_saveexec_b64 s[16:17], s[10:11]
	s_cbranch_execnz .LBB16_1149
.LBB16_118:
	s_or_b64 exec, exec, s[16:17]
	s_and_saveexec_b64 s[10:11], s[2:3]
	s_cbranch_execnz .LBB16_1150
.LBB16_119:
	s_or_b64 exec, exec, s[10:11]
	v_cmp_gt_u32_e64 s[10:11], 8, v5
	s_and_saveexec_b64 s[16:17], s[10:11]
	s_cbranch_execz .LBB16_121
.LBB16_120:
	v_lshlrev_b32_e32 v17, 2, v0
	v_mov_b32_e32 v18, 0
	ds_read_b32 v17, v17 offset:16320
	ds_read_b32 v18, v18 offset:16380
	s_waitcnt lgkmcnt(0)
	v_fmac_f32_e32 v16, v17, v18
.LBB16_121:
	s_or_b64 exec, exec, s[16:17]
.LBB16_122:
	s_or_b64 exec, exec, s[12:13]
	v_mov_b32_e32 v17, 0x4000
	v_cmp_eq_u32_e64 s[10:11], 7, v13
	s_xor_b64 s[12:13], s[8:9], -1
	v_lshl_add_u32 v15, v15, 2, v17
	s_and_b64 s[46:47], s[10:11], s[12:13]
	s_and_saveexec_b64 s[8:9], s[46:47]
	s_cbranch_execz .LBB16_124
; %bb.123:
	v_mov_b32_e32 v17, 0
	ds_read_b32 v17, v17 offset:14300
	s_waitcnt lgkmcnt(0)
	v_mul_f32_e32 v16, v16, v17
	v_xor_b32_e32 v17, 0x80000000, v16
	ds_write_b32 v15, v17
.LBB16_124:
	s_or_b64 exec, exec, s[8:9]
	v_cmp_ne_u32_e64 s[8:9], 7, v13
	s_and_b64 s[48:49], s[8:9], s[12:13]
	s_waitcnt lgkmcnt(0)
	s_barrier
	s_and_saveexec_b64 s[8:9], s[48:49]
	s_cbranch_execz .LBB16_126
; %bb.125:
	v_lshlrev_b32_e32 v17, 2, v13
	ds_read_b32 v17, v17 offset:14272
	ds_read_b32 v18, v15
	s_waitcnt lgkmcnt(0)
	v_fma_f32 v16, -v17, v18, v16
.LBB16_126:
	s_or_b64 exec, exec, s[8:9]
	v_cmp_eq_u32_e64 s[8:9], 6, v13
	s_and_b64 s[50:51], s[8:9], s[12:13]
	s_barrier
	s_and_saveexec_b64 s[8:9], s[50:51]
	s_cbranch_execz .LBB16_128
; %bb.127:
	v_mov_b32_e32 v17, 0
	ds_read_b32 v17, v17 offset:14040
	s_waitcnt lgkmcnt(0)
	v_mul_f32_e32 v16, v16, v17
	v_xor_b32_e32 v17, 0x80000000, v16
	ds_write_b32 v15, v17
.LBB16_128:
	s_or_b64 exec, exec, s[8:9]
	v_cmp_gt_u32_e64 s[8:9], 6, v13
	s_and_b64 s[52:53], s[8:9], s[12:13]
	s_waitcnt lgkmcnt(0)
	s_barrier
	s_and_saveexec_b64 s[8:9], s[52:53]
	s_cbranch_execz .LBB16_130
; %bb.129:
	v_lshlrev_b32_e32 v17, 2, v13
	ds_read_b32 v17, v17 offset:14016
	ds_read_b32 v18, v15
	s_waitcnt lgkmcnt(0)
	v_fma_f32 v16, -v17, v18, v16
.LBB16_130:
	s_or_b64 exec, exec, s[8:9]
	v_cmp_eq_u32_e64 s[8:9], 5, v13
	s_and_b64 s[54:55], s[8:9], s[12:13]
	s_barrier
	s_and_saveexec_b64 s[8:9], s[54:55]
	s_cbranch_execz .LBB16_132
; %bb.131:
	v_mov_b32_e32 v17, 0
	ds_read_b32 v17, v17 offset:13780
	s_waitcnt lgkmcnt(0)
	v_mul_f32_e32 v16, v16, v17
	v_xor_b32_e32 v17, 0x80000000, v16
	ds_write_b32 v15, v17
.LBB16_132:
	s_or_b64 exec, exec, s[8:9]
	v_cmp_gt_u32_e64 s[8:9], 5, v13
	s_and_b64 s[58:59], s[8:9], s[12:13]
	s_waitcnt lgkmcnt(0)
	s_barrier
	s_and_saveexec_b64 s[8:9], s[58:59]
	s_cbranch_execz .LBB16_134
; %bb.133:
	v_lshlrev_b32_e32 v17, 2, v13
	ds_read_b32 v17, v17 offset:13760
	ds_read_b32 v18, v15
	s_waitcnt lgkmcnt(0)
	v_fma_f32 v16, -v17, v18, v16
.LBB16_134:
	s_or_b64 exec, exec, s[8:9]
	v_cmp_eq_u32_e64 s[8:9], 4, v13
	s_and_b64 s[60:61], s[8:9], s[12:13]
	s_barrier
	s_and_saveexec_b64 s[8:9], s[60:61]
	s_cbranch_execz .LBB16_136
; %bb.135:
	v_mov_b32_e32 v17, 0
	ds_read_b32 v17, v17 offset:13520
	s_waitcnt lgkmcnt(0)
	v_mul_f32_e32 v16, v16, v17
	v_xor_b32_e32 v17, 0x80000000, v16
	ds_write_b32 v15, v17
.LBB16_136:
	s_or_b64 exec, exec, s[8:9]
	v_cmp_gt_u32_e64 s[8:9], 4, v13
	s_and_b64 s[62:63], s[8:9], s[12:13]
	s_waitcnt lgkmcnt(0)
	s_barrier
	s_and_saveexec_b64 s[8:9], s[62:63]
	s_cbranch_execz .LBB16_138
; %bb.137:
	v_lshlrev_b32_e32 v17, 2, v13
	ds_read_b32 v17, v17 offset:13504
	ds_read_b32 v18, v15
	s_waitcnt lgkmcnt(0)
	v_fma_f32 v16, -v17, v18, v16
.LBB16_138:
	s_or_b64 exec, exec, s[8:9]
	v_cmp_eq_u32_e64 s[8:9], 3, v13
	s_and_b64 s[64:65], s[8:9], s[12:13]
	s_barrier
	s_and_saveexec_b64 s[8:9], s[64:65]
	s_cbranch_execz .LBB16_140
; %bb.139:
	v_mov_b32_e32 v17, 0
	ds_read_b32 v17, v17 offset:13260
	s_waitcnt lgkmcnt(0)
	v_mul_f32_e32 v16, v16, v17
	v_xor_b32_e32 v17, 0x80000000, v16
	ds_write_b32 v15, v17
.LBB16_140:
	s_or_b64 exec, exec, s[8:9]
	v_cmp_gt_u32_e64 s[8:9], 3, v13
	s_and_b64 s[66:67], s[8:9], s[12:13]
	s_waitcnt lgkmcnt(0)
	s_barrier
	s_and_saveexec_b64 s[8:9], s[66:67]
	s_cbranch_execz .LBB16_142
; %bb.141:
	v_lshlrev_b32_e32 v17, 2, v13
	ds_read_b32 v17, v17 offset:13248
	ds_read_b32 v18, v15
	s_waitcnt lgkmcnt(0)
	v_fma_f32 v16, -v17, v18, v16
.LBB16_142:
	s_or_b64 exec, exec, s[8:9]
	v_cmp_eq_u32_e64 s[8:9], 2, v13
	s_and_b64 s[68:69], s[8:9], s[12:13]
	s_barrier
	s_and_saveexec_b64 s[8:9], s[68:69]
	s_cbranch_execz .LBB16_144
; %bb.143:
	v_mov_b32_e32 v17, 0
	ds_read_b32 v17, v17 offset:13000
	s_waitcnt lgkmcnt(0)
	v_mul_f32_e32 v16, v16, v17
	v_xor_b32_e32 v17, 0x80000000, v16
	ds_write_b32 v15, v17
.LBB16_144:
	s_or_b64 exec, exec, s[8:9]
	v_cmp_gt_u32_e64 s[8:9], 2, v13
	s_and_b64 s[70:71], s[8:9], s[12:13]
	s_waitcnt lgkmcnt(0)
	s_barrier
	s_and_saveexec_b64 s[8:9], s[70:71]
	s_cbranch_execz .LBB16_146
; %bb.145:
	v_lshlrev_b32_e32 v17, 2, v13
	ds_read_b32 v17, v17 offset:12992
	ds_read_b32 v18, v15
	s_waitcnt lgkmcnt(0)
	v_fma_f32 v16, -v17, v18, v16
.LBB16_146:
	s_or_b64 exec, exec, s[8:9]
	v_cmp_eq_u32_e64 s[8:9], 1, v13
	s_and_b64 s[72:73], s[8:9], s[12:13]
	s_barrier
	s_and_saveexec_b64 s[8:9], s[72:73]
	s_cbranch_execz .LBB16_148
; %bb.147:
	v_mov_b32_e32 v17, 0
	ds_read_b32 v17, v17 offset:12740
	s_waitcnt lgkmcnt(0)
	v_mul_f32_e32 v16, v16, v17
	v_xor_b32_e32 v17, 0x80000000, v16
	ds_write_b32 v15, v17
.LBB16_148:
	s_or_b64 exec, exec, s[8:9]
	v_cmp_eq_u32_e64 s[8:9], 0, v13
	s_and_b64 s[56:57], s[8:9], s[12:13]
	s_waitcnt lgkmcnt(0)
	s_barrier
	s_and_saveexec_b64 s[8:9], s[56:57]
	s_cbranch_execz .LBB16_150
; %bb.149:
	v_mov_b32_e32 v17, 0
	ds_read_b32 v17, v17 offset:12736
	ds_read_b32 v18, v15
	s_waitcnt lgkmcnt(0)
	v_fma_f32 v16, -v17, v18, v16
.LBB16_150:
	s_or_b64 exec, exec, s[8:9]
	s_barrier
	s_and_saveexec_b64 s[8:9], s[56:57]
	s_cbranch_execz .LBB16_152
; %bb.151:
	v_mov_b32_e32 v17, 0
	ds_read_b32 v17, v17 offset:12480
	s_waitcnt lgkmcnt(0)
	v_mul_f32_e32 v16, v16, v17
	v_xor_b32_e32 v17, 0x80000000, v16
	ds_write_b32 v15, v17
.LBB16_152:
	s_or_b64 exec, exec, s[8:9]
	s_waitcnt lgkmcnt(0)
	s_barrier
	s_barrier
	s_and_saveexec_b64 s[8:9], s[14:15]
; %bb.153:
	v_lshlrev_b32_e32 v17, 2, v13
	v_lshl_or_b32 v17, v14, 8, v17
	ds_write_b32 v17, v16 offset:14528
; %bb.154:
	s_or_b64 exec, exec, s[8:9]
	s_waitcnt lgkmcnt(0)
	s_barrier
	s_barrier
	s_and_saveexec_b64 s[8:9], vcc
	s_cbranch_execz .LBB16_156
; %bb.155:
	v_mov_b32_e32 v18, 0
	ds_read_b64 v[16:17], v18 offset:14296
	ds_read_b32 v19, v18 offset:14040
	s_waitcnt lgkmcnt(0)
	v_mul_f32_e32 v17, v19, v17
	v_mul_f32_e32 v16, v16, v17
	ds_write_b32 v18, v16 offset:14296
.LBB16_156:
	s_or_b64 exec, exec, s[8:9]
	v_mov_b32_e32 v16, 0
	s_waitcnt lgkmcnt(0)
	s_barrier
	buffer_wbinvl1_vol
	s_and_saveexec_b64 s[10:11], s[0:1]
	s_cbranch_execz .LBB16_160
; %bb.157:
	v_lshlrev_b32_e32 v16, 8, v3
	v_lshlrev_b32_e32 v17, 2, v1
	ds_read_b32 v18, v17 offset:14032
	ds_read_b32 v16, v16 offset:14040
	v_mov_b32_e32 v17, 0
	v_cmp_gt_u32_e64 s[8:9], 2, v5
	s_waitcnt lgkmcnt(0)
	v_fma_f32 v16, v18, v16, 0
	s_and_saveexec_b64 s[12:13], s[8:9]
	s_cbranch_execz .LBB16_159
; %bb.158:
	v_lshlrev_b32_e32 v18, 2, v0
	ds_read_b32 v18, v18 offset:14288
	ds_read_b32 v17, v17 offset:14300
	s_waitcnt lgkmcnt(0)
	v_fmac_f32_e32 v16, v18, v17
.LBB16_159:
	s_or_b64 exec, exec, s[12:13]
.LBB16_160:
	s_or_b64 exec, exec, s[10:11]
	s_and_saveexec_b64 s[8:9], s[30:31]
	s_cbranch_execz .LBB16_162
; %bb.161:
	v_mov_b32_e32 v17, 0
	ds_read_b32 v17, v17 offset:13780
	s_waitcnt lgkmcnt(0)
	v_mul_f32_e32 v16, v16, v17
	v_xor_b32_e32 v17, 0x80000000, v16
	ds_write_b32 v4, v17
.LBB16_162:
	s_or_b64 exec, exec, s[8:9]
	s_waitcnt lgkmcnt(0)
	s_barrier
	s_and_saveexec_b64 s[8:9], s[28:29]
	s_cbranch_execz .LBB16_164
; %bb.163:
	v_mov_b32_e32 v17, 0
	ds_read_b32 v17, v17 offset:13776
	ds_read_b32 v18, v4
	s_waitcnt lgkmcnt(0)
	v_fma_f32 v16, -v17, v18, v16
.LBB16_164:
	s_or_b64 exec, exec, s[8:9]
	s_barrier
	s_and_saveexec_b64 s[8:9], s[28:29]
	s_cbranch_execz .LBB16_166
; %bb.165:
	v_mov_b32_e32 v17, 0
	ds_read_b32 v17, v17 offset:13520
	s_waitcnt lgkmcnt(0)
	v_mul_f32_e32 v16, v16, v17
	v_xor_b32_e32 v17, 0x80000000, v16
	ds_write_b32 v4, v17
.LBB16_166:
	s_or_b64 exec, exec, s[8:9]
	s_waitcnt lgkmcnt(0)
	s_barrier
	s_barrier
	s_and_saveexec_b64 s[8:9], s[0:1]
; %bb.167:
	v_lshlrev_b32_e32 v17, 2, v1
	v_lshl_or_b32 v17, v3, 8, v17
	ds_write_b32 v17, v16 offset:14032
; %bb.168:
	s_or_b64 exec, exec, s[8:9]
	s_waitcnt lgkmcnt(0)
	s_barrier
	s_barrier
	s_and_saveexec_b64 s[8:9], vcc
	s_cbranch_execz .LBB16_170
; %bb.169:
	v_mov_b32_e32 v18, 0
	ds_read_b64 v[16:17], v18 offset:13776
	ds_read_b32 v19, v18 offset:13520
	s_waitcnt lgkmcnt(0)
	v_mul_f32_e32 v17, v19, v17
	v_mul_f32_e32 v16, v16, v17
	ds_write_b32 v18, v16 offset:13776
.LBB16_170:
	s_or_b64 exec, exec, s[8:9]
	v_mov_b32_e32 v16, 0
	s_waitcnt lgkmcnt(0)
	s_barrier
	buffer_wbinvl1_vol
	s_and_saveexec_b64 s[10:11], s[2:3]
	s_cbranch_execz .LBB16_176
; %bb.171:
	v_lshlrev_b32_e32 v18, 2, v6
	v_lshlrev_b32_e32 v17, 8, v11
	ds_read_b32 v16, v18 offset:13504
	ds_read_b32 v19, v17 offset:13520
	v_cmp_gt_u32_e64 s[8:9], 12, v5
	s_waitcnt lgkmcnt(0)
	v_fma_f32 v16, v16, v19, 0
	s_and_saveexec_b64 s[12:13], s[8:9]
	s_cbranch_execnz .LBB16_1151
; %bb.172:
	s_or_b64 exec, exec, s[12:13]
	v_cmp_gt_u32_e64 s[8:9], 8, v5
	s_and_saveexec_b64 s[12:13], s[8:9]
	s_cbranch_execnz .LBB16_1152
.LBB16_173:
	s_or_b64 exec, exec, s[12:13]
	v_cmp_gt_u32_e64 s[8:9], 4, v5
	s_and_saveexec_b64 s[12:13], s[8:9]
	s_cbranch_execz .LBB16_175
.LBB16_174:
	v_lshlrev_b32_e32 v17, 2, v0
	v_mov_b32_e32 v18, 0
	ds_read_b32 v17, v17 offset:14272
	ds_read_b32 v18, v18 offset:14300
	s_waitcnt lgkmcnt(0)
	v_fmac_f32_e32 v16, v17, v18
.LBB16_175:
	s_or_b64 exec, exec, s[12:13]
.LBB16_176:
	s_or_b64 exec, exec, s[10:11]
	s_and_saveexec_b64 s[8:9], s[36:37]
	s_cbranch_execz .LBB16_178
; %bb.177:
	v_mov_b32_e32 v17, 0
	ds_read_b32 v17, v17 offset:13260
	s_waitcnt lgkmcnt(0)
	v_mul_f32_e32 v16, v16, v17
	v_xor_b32_e32 v17, 0x80000000, v16
	ds_write_b32 v12, v17
.LBB16_178:
	s_or_b64 exec, exec, s[8:9]
	s_waitcnt lgkmcnt(0)
	s_barrier
	s_and_saveexec_b64 s[8:9], s[38:39]
	s_cbranch_execz .LBB16_180
; %bb.179:
	v_lshlrev_b32_e32 v17, 2, v6
	ds_read_b32 v17, v17 offset:13248
	ds_read_b32 v18, v12
	s_waitcnt lgkmcnt(0)
	v_fma_f32 v16, -v17, v18, v16
.LBB16_180:
	s_or_b64 exec, exec, s[8:9]
	s_barrier
	s_and_saveexec_b64 s[8:9], s[40:41]
	s_cbranch_execz .LBB16_182
; %bb.181:
	v_mov_b32_e32 v17, 0
	ds_read_b32 v17, v17 offset:13000
	s_waitcnt lgkmcnt(0)
	v_mul_f32_e32 v16, v16, v17
	v_xor_b32_e32 v17, 0x80000000, v16
	ds_write_b32 v12, v17
.LBB16_182:
	s_or_b64 exec, exec, s[8:9]
	s_waitcnt lgkmcnt(0)
	s_barrier
	s_and_saveexec_b64 s[8:9], s[42:43]
	s_cbranch_execz .LBB16_184
; %bb.183:
	v_lshlrev_b32_e32 v17, 2, v6
	ds_read_b32 v17, v17 offset:12992
	ds_read_b32 v18, v12
	s_waitcnt lgkmcnt(0)
	v_fma_f32 v16, -v17, v18, v16
.LBB16_184:
	s_or_b64 exec, exec, s[8:9]
	s_barrier
	s_and_saveexec_b64 s[8:9], s[44:45]
	s_cbranch_execz .LBB16_186
; %bb.185:
	v_mov_b32_e32 v17, 0
	ds_read_b32 v17, v17 offset:12740
	s_waitcnt lgkmcnt(0)
	v_mul_f32_e32 v16, v16, v17
	v_xor_b32_e32 v17, 0x80000000, v16
	ds_write_b32 v12, v17
.LBB16_186:
	s_or_b64 exec, exec, s[8:9]
	s_waitcnt lgkmcnt(0)
	s_barrier
	s_and_saveexec_b64 s[8:9], s[34:35]
	s_cbranch_execz .LBB16_188
; %bb.187:
	v_mov_b32_e32 v17, 0
	ds_read_b32 v17, v17 offset:12736
	ds_read_b32 v18, v12
	s_waitcnt lgkmcnt(0)
	v_fma_f32 v16, -v17, v18, v16
.LBB16_188:
	s_or_b64 exec, exec, s[8:9]
	s_barrier
	s_and_saveexec_b64 s[8:9], s[34:35]
	s_cbranch_execz .LBB16_190
; %bb.189:
	v_mov_b32_e32 v17, 0
	ds_read_b32 v17, v17 offset:12480
	s_waitcnt lgkmcnt(0)
	v_mul_f32_e32 v16, v16, v17
	v_xor_b32_e32 v17, 0x80000000, v16
	ds_write_b32 v12, v17
.LBB16_190:
	s_or_b64 exec, exec, s[8:9]
	s_waitcnt lgkmcnt(0)
	s_barrier
	s_barrier
	s_and_saveexec_b64 s[8:9], s[2:3]
; %bb.191:
	v_lshlrev_b32_e32 v17, 2, v6
	v_lshl_or_b32 v17, v11, 8, v17
	ds_write_b32 v17, v16 offset:13504
; %bb.192:
	s_or_b64 exec, exec, s[8:9]
	s_waitcnt lgkmcnt(0)
	s_barrier
	s_barrier
	s_and_saveexec_b64 s[8:9], vcc
	s_cbranch_execz .LBB16_194
; %bb.193:
	v_mov_b32_e32 v18, 0
	ds_read_b64 v[16:17], v18 offset:13256
	ds_read_b32 v19, v18 offset:13000
	s_waitcnt lgkmcnt(0)
	v_mul_f32_e32 v17, v19, v17
	v_mul_f32_e32 v16, v16, v17
	ds_write_b32 v18, v16 offset:13256
.LBB16_194:
	s_or_b64 exec, exec, s[8:9]
	v_mov_b32_e32 v16, 0
	s_waitcnt lgkmcnt(0)
	s_barrier
	buffer_wbinvl1_vol
	s_and_saveexec_b64 s[10:11], s[0:1]
	s_cbranch_execz .LBB16_198
; %bb.195:
	v_lshlrev_b32_e32 v16, 8, v3
	v_lshlrev_b32_e32 v17, 2, v1
	ds_read_b32 v18, v17 offset:12992
	ds_read_b32 v16, v16 offset:13000
	v_mov_b32_e32 v17, 0
	v_cmp_gt_u32_e64 s[8:9], 2, v5
	s_waitcnt lgkmcnt(0)
	v_fma_f32 v16, v18, v16, 0
	s_and_saveexec_b64 s[12:13], s[8:9]
	s_cbranch_execz .LBB16_197
; %bb.196:
	v_lshlrev_b32_e32 v18, 2, v0
	ds_read_b32 v18, v18 offset:13248
	ds_read_b32 v17, v17 offset:13260
	s_waitcnt lgkmcnt(0)
	v_fmac_f32_e32 v16, v18, v17
.LBB16_197:
	s_or_b64 exec, exec, s[12:13]
.LBB16_198:
	s_or_b64 exec, exec, s[10:11]
	s_and_saveexec_b64 s[8:9], s[30:31]
	s_cbranch_execz .LBB16_200
; %bb.199:
	v_mov_b32_e32 v17, 0
	ds_read_b32 v17, v17 offset:12740
	s_waitcnt lgkmcnt(0)
	v_mul_f32_e32 v16, v16, v17
	v_xor_b32_e32 v17, 0x80000000, v16
	ds_write_b32 v4, v17
.LBB16_200:
	s_or_b64 exec, exec, s[8:9]
	s_waitcnt lgkmcnt(0)
	s_barrier
	s_and_saveexec_b64 s[8:9], s[28:29]
	s_cbranch_execz .LBB16_202
; %bb.201:
	v_mov_b32_e32 v17, 0
	ds_read_b32 v17, v17 offset:12736
	ds_read_b32 v18, v4
	s_waitcnt lgkmcnt(0)
	v_fma_f32 v16, -v17, v18, v16
.LBB16_202:
	s_or_b64 exec, exec, s[8:9]
	s_barrier
	s_and_saveexec_b64 s[8:9], s[28:29]
	s_cbranch_execz .LBB16_204
; %bb.203:
	v_mov_b32_e32 v17, 0
	ds_read_b32 v17, v17 offset:12480
	s_waitcnt lgkmcnt(0)
	v_mul_f32_e32 v16, v16, v17
	v_xor_b32_e32 v17, 0x80000000, v16
	ds_write_b32 v4, v17
.LBB16_204:
	s_or_b64 exec, exec, s[8:9]
	s_waitcnt lgkmcnt(0)
	s_barrier
	s_barrier
	s_and_saveexec_b64 s[8:9], s[0:1]
; %bb.205:
	v_lshlrev_b32_e32 v17, 2, v1
	v_lshl_or_b32 v17, v3, 8, v17
	ds_write_b32 v17, v16 offset:12992
; %bb.206:
	s_or_b64 exec, exec, s[8:9]
	s_waitcnt lgkmcnt(0)
	s_barrier
	s_barrier
	s_and_saveexec_b64 s[8:9], vcc
	s_cbranch_execz .LBB16_208
; %bb.207:
	v_mov_b32_e32 v18, 0
	ds_read_b64 v[16:17], v18 offset:12736
	ds_read_b32 v19, v18 offset:12480
	s_waitcnt lgkmcnt(0)
	v_mul_f32_e32 v17, v19, v17
	v_mul_f32_e32 v16, v16, v17
	ds_write_b32 v18, v16 offset:12736
.LBB16_208:
	s_or_b64 exec, exec, s[8:9]
	s_movk_i32 s8, 0xff
	v_lshrrev_b32_e32 v18, 4, v5
	v_cmp_lt_u32_e64 s[10:11], s8, v5
	s_movk_i32 s8, 0x100
	v_and_b32_e32 v16, 15, v0
	v_sub_u32_e32 v17, 15, v18
	v_cmp_gt_u32_e64 s[8:9], s8, v5
	v_mov_b32_e32 v19, 0
	s_waitcnt lgkmcnt(0)
	s_barrier
	buffer_wbinvl1_vol
	s_and_saveexec_b64 s[16:17], s[8:9]
	s_cbranch_execz .LBB16_236
; %bb.209:
	v_lshlrev_b32_e32 v21, 2, v16
	v_lshlrev_b32_e32 v20, 8, v17
	ds_read_b32 v19, v21 offset:12416
	ds_read_b32 v22, v20 offset:12480
	s_movk_i32 s12, 0xf0
	v_cmp_gt_u32_e64 s[12:13], s12, v5
	s_waitcnt lgkmcnt(0)
	v_fma_f32 v19, v19, v22, 0
	s_and_saveexec_b64 s[74:75], s[12:13]
	s_cbranch_execz .LBB16_211
; %bb.210:
	ds_read_b32 v22, v21 offset:12672
	ds_read_b32 v23, v20 offset:12484
	s_waitcnt lgkmcnt(0)
	v_fmac_f32_e32 v19, v22, v23
.LBB16_211:
	s_or_b64 exec, exec, s[74:75]
	s_movk_i32 s12, 0xe0
	v_cmp_gt_u32_e64 s[12:13], s12, v5
	s_and_saveexec_b64 s[74:75], s[12:13]
	s_cbranch_execz .LBB16_213
; %bb.212:
	ds_read_b32 v22, v21 offset:12928
	ds_read_b32 v23, v20 offset:12488
	s_waitcnt lgkmcnt(0)
	v_fmac_f32_e32 v19, v22, v23
.LBB16_213:
	s_or_b64 exec, exec, s[74:75]
	s_movk_i32 s12, 0xd0
	v_cmp_gt_u32_e64 s[12:13], s12, v5
	;; [unrolled: 11-line block ×10, first 2 shown]
	s_and_saveexec_b64 s[74:75], s[12:13]
	s_cbranch_execnz .LBB16_1153
; %bb.230:
	s_or_b64 exec, exec, s[74:75]
	s_and_saveexec_b64 s[12:13], s[14:15]
	s_cbranch_execnz .LBB16_1154
.LBB16_231:
	s_or_b64 exec, exec, s[12:13]
	v_cmp_gt_u32_e64 s[12:13], 48, v5
	s_and_saveexec_b64 s[74:75], s[12:13]
	s_cbranch_execnz .LBB16_1155
.LBB16_232:
	s_or_b64 exec, exec, s[74:75]
	v_cmp_gt_u32_e64 s[12:13], 32, v5
	s_and_saveexec_b64 s[74:75], s[12:13]
	s_cbranch_execnz .LBB16_1156
.LBB16_233:
	s_or_b64 exec, exec, s[74:75]
	v_cmp_gt_u32_e64 s[12:13], 16, v5
	s_and_saveexec_b64 s[74:75], s[12:13]
	s_cbranch_execz .LBB16_235
.LBB16_234:
	v_lshlrev_b32_e32 v20, 2, v0
	v_mov_b32_e32 v21, 0
	ds_read_b32 v20, v20 offset:16256
	ds_read_b32 v21, v21 offset:16380
	s_waitcnt lgkmcnt(0)
	v_fmac_f32_e32 v19, v20, v21
.LBB16_235:
	s_or_b64 exec, exec, s[74:75]
.LBB16_236:
	s_or_b64 exec, exec, s[16:17]
	v_mov_b32_e32 v20, 0x4000
	v_lshl_add_u32 v18, v18, 2, v20
	v_cmp_eq_u32_e64 s[12:13], 15, v16
	s_xor_b64 s[16:17], s[10:11], -1
	s_and_b64 s[12:13], s[12:13], s[16:17]
	s_mov_b64 s[10:11], exec
	v_writelane_b32 v27, s12, 1
	v_writelane_b32 v27, s13, 2
	s_and_b64 s[12:13], s[10:11], s[12:13]
	s_mov_b64 exec, s[12:13]
	s_cbranch_execz .LBB16_238
; %bb.237:
	v_mov_b32_e32 v20, 0
	ds_read_b32 v20, v20 offset:12220
	s_waitcnt lgkmcnt(0)
	v_mul_f32_e32 v19, v19, v20
	v_xor_b32_e32 v20, 0x80000000, v19
	ds_write_b32 v18, v20
.LBB16_238:
	s_or_b64 exec, exec, s[10:11]
	v_cmp_ne_u32_e64 s[10:11], 15, v16
	s_waitcnt lgkmcnt(0)
	s_barrier
	s_and_b64 s[12:13], s[10:11], s[16:17]
	s_mov_b64 s[10:11], exec
	v_writelane_b32 v27, s12, 3
	v_writelane_b32 v27, s13, 4
	s_and_b64 s[12:13], s[10:11], s[12:13]
	s_mov_b64 exec, s[12:13]
	s_cbranch_execz .LBB16_240
; %bb.239:
	v_lshlrev_b32_e32 v20, 2, v16
	ds_read_b32 v20, v20 offset:12160
	ds_read_b32 v21, v18
	s_waitcnt lgkmcnt(0)
	v_fma_f32 v19, -v20, v21, v19
.LBB16_240:
	s_or_b64 exec, exec, s[10:11]
	v_cmp_eq_u32_e64 s[10:11], 14, v16
	s_barrier
	s_and_b64 s[12:13], s[10:11], s[16:17]
	s_mov_b64 s[10:11], exec
	v_writelane_b32 v27, s12, 5
	v_writelane_b32 v27, s13, 6
	s_and_b64 s[12:13], s[10:11], s[12:13]
	s_mov_b64 exec, s[12:13]
	s_cbranch_execz .LBB16_242
; %bb.241:
	v_mov_b32_e32 v20, 0
	ds_read_b32 v20, v20 offset:11960
	s_waitcnt lgkmcnt(0)
	v_mul_f32_e32 v19, v19, v20
	v_xor_b32_e32 v20, 0x80000000, v19
	ds_write_b32 v18, v20
.LBB16_242:
	s_or_b64 exec, exec, s[10:11]
	v_cmp_gt_u32_e64 s[10:11], 14, v16
	s_waitcnt lgkmcnt(0)
	s_barrier
	s_and_b64 s[12:13], s[10:11], s[16:17]
	s_mov_b64 s[10:11], exec
	v_writelane_b32 v27, s12, 7
	v_writelane_b32 v27, s13, 8
	s_and_b64 s[12:13], s[10:11], s[12:13]
	s_mov_b64 exec, s[12:13]
	s_cbranch_execz .LBB16_244
; %bb.243:
	v_lshlrev_b32_e32 v20, 2, v16
	ds_read_b32 v20, v20 offset:11904
	ds_read_b32 v21, v18
	s_waitcnt lgkmcnt(0)
	v_fma_f32 v19, -v20, v21, v19
.LBB16_244:
	s_or_b64 exec, exec, s[10:11]
	v_cmp_eq_u32_e64 s[10:11], 13, v16
	s_barrier
	s_and_b64 s[12:13], s[10:11], s[16:17]
	s_mov_b64 s[10:11], exec
	v_writelane_b32 v27, s12, 9
	v_writelane_b32 v27, s13, 10
	s_and_b64 s[12:13], s[10:11], s[12:13]
	s_mov_b64 exec, s[12:13]
	s_cbranch_execz .LBB16_246
; %bb.245:
	v_mov_b32_e32 v20, 0
	ds_read_b32 v20, v20 offset:11700
	s_waitcnt lgkmcnt(0)
	v_mul_f32_e32 v19, v19, v20
	v_xor_b32_e32 v20, 0x80000000, v19
	ds_write_b32 v18, v20
.LBB16_246:
	s_or_b64 exec, exec, s[10:11]
	v_cmp_gt_u32_e64 s[10:11], 13, v16
	;; [unrolled: 36-line block ×11, first 2 shown]
	s_and_b64 s[74:75], s[10:11], s[16:17]
	s_waitcnt lgkmcnt(0)
	s_barrier
	s_and_saveexec_b64 s[10:11], s[74:75]
	s_cbranch_execz .LBB16_284
; %bb.283:
	v_lshlrev_b32_e32 v20, 2, v16
	ds_read_b32 v20, v20 offset:9344
	ds_read_b32 v21, v18
	s_waitcnt lgkmcnt(0)
	v_fma_f32 v19, -v20, v21, v19
.LBB16_284:
	s_or_b64 exec, exec, s[10:11]
	v_cmp_eq_u32_e64 s[10:11], 3, v16
	s_and_b64 s[80:81], s[10:11], s[16:17]
	s_barrier
	s_and_saveexec_b64 s[10:11], s[80:81]
	s_cbranch_execz .LBB16_286
; %bb.285:
	v_mov_b32_e32 v20, 0
	ds_read_b32 v20, v20 offset:9100
	s_waitcnt lgkmcnt(0)
	v_mul_f32_e32 v19, v19, v20
	v_xor_b32_e32 v20, 0x80000000, v19
	ds_write_b32 v18, v20
.LBB16_286:
	s_or_b64 exec, exec, s[10:11]
	v_cmp_gt_u32_e64 s[10:11], 3, v16
	s_and_b64 s[82:83], s[10:11], s[16:17]
	s_waitcnt lgkmcnt(0)
	s_barrier
	s_and_saveexec_b64 s[10:11], s[82:83]
	s_cbranch_execz .LBB16_288
; %bb.287:
	v_lshlrev_b32_e32 v20, 2, v16
	ds_read_b32 v20, v20 offset:9088
	ds_read_b32 v21, v18
	s_waitcnt lgkmcnt(0)
	v_fma_f32 v19, -v20, v21, v19
.LBB16_288:
	s_or_b64 exec, exec, s[10:11]
	v_cmp_eq_u32_e64 s[10:11], 2, v16
	s_and_b64 s[84:85], s[10:11], s[16:17]
	s_barrier
	s_and_saveexec_b64 s[10:11], s[84:85]
	s_cbranch_execz .LBB16_290
; %bb.289:
	v_mov_b32_e32 v20, 0
	ds_read_b32 v20, v20 offset:8840
	s_waitcnt lgkmcnt(0)
	v_mul_f32_e32 v19, v19, v20
	v_xor_b32_e32 v20, 0x80000000, v19
	ds_write_b32 v18, v20
.LBB16_290:
	s_or_b64 exec, exec, s[10:11]
	v_cmp_gt_u32_e64 s[10:11], 2, v16
	s_and_b64 s[86:87], s[10:11], s[16:17]
	s_waitcnt lgkmcnt(0)
	s_barrier
	s_and_saveexec_b64 s[10:11], s[86:87]
	s_cbranch_execz .LBB16_292
; %bb.291:
	v_lshlrev_b32_e32 v20, 2, v16
	ds_read_b32 v20, v20 offset:8832
	ds_read_b32 v21, v18
	s_waitcnt lgkmcnt(0)
	v_fma_f32 v19, -v20, v21, v19
.LBB16_292:
	s_or_b64 exec, exec, s[10:11]
	v_cmp_eq_u32_e64 s[10:11], 1, v16
	s_and_b64 s[88:89], s[10:11], s[16:17]
	s_barrier
	s_and_saveexec_b64 s[10:11], s[88:89]
	s_cbranch_execz .LBB16_294
; %bb.293:
	v_mov_b32_e32 v20, 0
	ds_read_b32 v20, v20 offset:8580
	s_waitcnt lgkmcnt(0)
	v_mul_f32_e32 v19, v19, v20
	v_xor_b32_e32 v20, 0x80000000, v19
	ds_write_b32 v18, v20
.LBB16_294:
	s_or_b64 exec, exec, s[10:11]
	v_cmp_eq_u32_e64 s[10:11], 0, v16
	s_and_b64 s[94:95], s[10:11], s[16:17]
	s_waitcnt lgkmcnt(0)
	s_barrier
	s_and_saveexec_b64 s[10:11], s[94:95]
	s_cbranch_execz .LBB16_296
; %bb.295:
	v_mov_b32_e32 v20, 0
	ds_read_b32 v20, v20 offset:8576
	ds_read_b32 v21, v18
	s_waitcnt lgkmcnt(0)
	v_fma_f32 v19, -v20, v21, v19
.LBB16_296:
	s_or_b64 exec, exec, s[10:11]
	s_barrier
	s_and_saveexec_b64 s[10:11], s[94:95]
	s_cbranch_execz .LBB16_298
; %bb.297:
	v_mov_b32_e32 v20, 0
	ds_read_b32 v20, v20 offset:8320
	s_waitcnt lgkmcnt(0)
	v_mul_f32_e32 v19, v19, v20
	v_xor_b32_e32 v20, 0x80000000, v19
	ds_write_b32 v18, v20
.LBB16_298:
	s_or_b64 exec, exec, s[10:11]
	s_waitcnt lgkmcnt(0)
	s_barrier
	s_barrier
	s_and_saveexec_b64 s[10:11], s[8:9]
; %bb.299:
	v_lshlrev_b32_e32 v20, 2, v16
	v_lshl_or_b32 v20, v17, 8, v20
	ds_write_b32 v20, v19 offset:12416
; %bb.300:
	s_or_b64 exec, exec, s[10:11]
	s_waitcnt lgkmcnt(0)
	s_barrier
	s_barrier
	s_and_saveexec_b64 s[10:11], vcc
	s_cbranch_execz .LBB16_302
; %bb.301:
	v_mov_b32_e32 v21, 0
	ds_read_b64 v[19:20], v21 offset:12216
	ds_read_b32 v22, v21 offset:11960
	s_waitcnt lgkmcnt(0)
	v_mul_f32_e32 v20, v22, v20
	v_mul_f32_e32 v19, v19, v20
	ds_write_b32 v21, v19 offset:12216
.LBB16_302:
	s_or_b64 exec, exec, s[10:11]
	v_mov_b32_e32 v19, 0
	s_waitcnt lgkmcnt(0)
	s_barrier
	buffer_wbinvl1_vol
	s_and_saveexec_b64 s[12:13], s[0:1]
	s_cbranch_execz .LBB16_306
; %bb.303:
	v_lshlrev_b32_e32 v19, 8, v3
	v_lshlrev_b32_e32 v20, 2, v1
	ds_read_b32 v21, v20 offset:11952
	ds_read_b32 v19, v19 offset:11960
	v_mov_b32_e32 v20, 0
	v_cmp_gt_u32_e64 s[10:11], 2, v5
	s_waitcnt lgkmcnt(0)
	v_fma_f32 v19, v21, v19, 0
	s_and_saveexec_b64 s[16:17], s[10:11]
	s_cbranch_execz .LBB16_305
; %bb.304:
	v_lshlrev_b32_e32 v21, 2, v0
	ds_read_b32 v21, v21 offset:12208
	ds_read_b32 v20, v20 offset:12220
	s_waitcnt lgkmcnt(0)
	v_fmac_f32_e32 v19, v21, v20
.LBB16_305:
	s_or_b64 exec, exec, s[16:17]
.LBB16_306:
	s_or_b64 exec, exec, s[12:13]
	s_and_saveexec_b64 s[10:11], s[30:31]
	s_cbranch_execz .LBB16_308
; %bb.307:
	v_mov_b32_e32 v20, 0
	ds_read_b32 v20, v20 offset:11700
	s_waitcnt lgkmcnt(0)
	v_mul_f32_e32 v19, v19, v20
	v_xor_b32_e32 v20, 0x80000000, v19
	ds_write_b32 v4, v20
.LBB16_308:
	s_or_b64 exec, exec, s[10:11]
	s_waitcnt lgkmcnt(0)
	s_barrier
	s_and_saveexec_b64 s[10:11], s[28:29]
	s_cbranch_execz .LBB16_310
; %bb.309:
	v_mov_b32_e32 v20, 0
	ds_read_b32 v20, v20 offset:11696
	ds_read_b32 v21, v4
	s_waitcnt lgkmcnt(0)
	v_fma_f32 v19, -v20, v21, v19
.LBB16_310:
	s_or_b64 exec, exec, s[10:11]
	s_barrier
	s_and_saveexec_b64 s[10:11], s[28:29]
	s_cbranch_execz .LBB16_312
; %bb.311:
	v_mov_b32_e32 v20, 0
	ds_read_b32 v20, v20 offset:11440
	s_waitcnt lgkmcnt(0)
	v_mul_f32_e32 v19, v19, v20
	v_xor_b32_e32 v20, 0x80000000, v19
	ds_write_b32 v4, v20
.LBB16_312:
	s_or_b64 exec, exec, s[10:11]
	s_waitcnt lgkmcnt(0)
	s_barrier
	s_barrier
	s_and_saveexec_b64 s[10:11], s[0:1]
; %bb.313:
	v_lshlrev_b32_e32 v20, 2, v1
	v_lshl_or_b32 v20, v3, 8, v20
	ds_write_b32 v20, v19 offset:11952
; %bb.314:
	s_or_b64 exec, exec, s[10:11]
	s_waitcnt lgkmcnt(0)
	s_barrier
	s_barrier
	s_and_saveexec_b64 s[10:11], vcc
	s_cbranch_execz .LBB16_316
; %bb.315:
	v_mov_b32_e32 v21, 0
	ds_read_b64 v[19:20], v21 offset:11696
	ds_read_b32 v22, v21 offset:11440
	s_waitcnt lgkmcnt(0)
	v_mul_f32_e32 v20, v22, v20
	v_mul_f32_e32 v19, v19, v20
	ds_write_b32 v21, v19 offset:11696
.LBB16_316:
	s_or_b64 exec, exec, s[10:11]
	v_mov_b32_e32 v19, 0
	s_waitcnt lgkmcnt(0)
	s_barrier
	buffer_wbinvl1_vol
	s_and_saveexec_b64 s[12:13], s[2:3]
	s_cbranch_execz .LBB16_322
; %bb.317:
	v_lshlrev_b32_e32 v21, 2, v6
	v_lshlrev_b32_e32 v20, 8, v11
	ds_read_b32 v19, v21 offset:11424
	ds_read_b32 v22, v20 offset:11440
	v_cmp_gt_u32_e64 s[10:11], 12, v5
	s_waitcnt lgkmcnt(0)
	v_fma_f32 v19, v19, v22, 0
	s_and_saveexec_b64 s[16:17], s[10:11]
	s_cbranch_execnz .LBB16_1157
; %bb.318:
	s_or_b64 exec, exec, s[16:17]
	v_cmp_gt_u32_e64 s[10:11], 8, v5
	s_and_saveexec_b64 s[16:17], s[10:11]
	s_cbranch_execnz .LBB16_1158
.LBB16_319:
	s_or_b64 exec, exec, s[16:17]
	v_cmp_gt_u32_e64 s[10:11], 4, v5
	s_and_saveexec_b64 s[16:17], s[10:11]
	s_cbranch_execz .LBB16_321
.LBB16_320:
	v_lshlrev_b32_e32 v20, 2, v0
	v_mov_b32_e32 v21, 0
	ds_read_b32 v20, v20 offset:12192
	ds_read_b32 v21, v21 offset:12220
	s_waitcnt lgkmcnt(0)
	v_fmac_f32_e32 v19, v20, v21
.LBB16_321:
	s_or_b64 exec, exec, s[16:17]
.LBB16_322:
	s_or_b64 exec, exec, s[12:13]
	s_and_saveexec_b64 s[10:11], s[36:37]
	s_cbranch_execz .LBB16_324
; %bb.323:
	v_mov_b32_e32 v20, 0
	ds_read_b32 v20, v20 offset:11180
	s_waitcnt lgkmcnt(0)
	v_mul_f32_e32 v19, v19, v20
	v_xor_b32_e32 v20, 0x80000000, v19
	ds_write_b32 v12, v20
.LBB16_324:
	s_or_b64 exec, exec, s[10:11]
	s_waitcnt lgkmcnt(0)
	s_barrier
	s_and_saveexec_b64 s[10:11], s[38:39]
	s_cbranch_execz .LBB16_326
; %bb.325:
	v_lshlrev_b32_e32 v20, 2, v6
	ds_read_b32 v20, v20 offset:11168
	ds_read_b32 v21, v12
	s_waitcnt lgkmcnt(0)
	v_fma_f32 v19, -v20, v21, v19
.LBB16_326:
	s_or_b64 exec, exec, s[10:11]
	s_barrier
	s_and_saveexec_b64 s[10:11], s[40:41]
	s_cbranch_execz .LBB16_328
; %bb.327:
	v_mov_b32_e32 v20, 0
	ds_read_b32 v20, v20 offset:10920
	s_waitcnt lgkmcnt(0)
	v_mul_f32_e32 v19, v19, v20
	v_xor_b32_e32 v20, 0x80000000, v19
	ds_write_b32 v12, v20
.LBB16_328:
	s_or_b64 exec, exec, s[10:11]
	s_waitcnt lgkmcnt(0)
	s_barrier
	s_and_saveexec_b64 s[10:11], s[42:43]
	s_cbranch_execz .LBB16_330
; %bb.329:
	v_lshlrev_b32_e32 v20, 2, v6
	ds_read_b32 v20, v20 offset:10912
	ds_read_b32 v21, v12
	s_waitcnt lgkmcnt(0)
	v_fma_f32 v19, -v20, v21, v19
.LBB16_330:
	s_or_b64 exec, exec, s[10:11]
	s_barrier
	s_and_saveexec_b64 s[10:11], s[44:45]
	s_cbranch_execz .LBB16_332
; %bb.331:
	v_mov_b32_e32 v20, 0
	ds_read_b32 v20, v20 offset:10660
	s_waitcnt lgkmcnt(0)
	v_mul_f32_e32 v19, v19, v20
	v_xor_b32_e32 v20, 0x80000000, v19
	ds_write_b32 v12, v20
.LBB16_332:
	s_or_b64 exec, exec, s[10:11]
	s_waitcnt lgkmcnt(0)
	s_barrier
	s_and_saveexec_b64 s[10:11], s[34:35]
	s_cbranch_execz .LBB16_334
; %bb.333:
	v_mov_b32_e32 v20, 0
	ds_read_b32 v20, v20 offset:10656
	ds_read_b32 v21, v12
	s_waitcnt lgkmcnt(0)
	v_fma_f32 v19, -v20, v21, v19
.LBB16_334:
	s_or_b64 exec, exec, s[10:11]
	s_barrier
	s_and_saveexec_b64 s[10:11], s[34:35]
	s_cbranch_execz .LBB16_336
; %bb.335:
	v_mov_b32_e32 v20, 0
	ds_read_b32 v20, v20 offset:10400
	s_waitcnt lgkmcnt(0)
	v_mul_f32_e32 v19, v19, v20
	v_xor_b32_e32 v20, 0x80000000, v19
	ds_write_b32 v12, v20
.LBB16_336:
	s_or_b64 exec, exec, s[10:11]
	s_waitcnt lgkmcnt(0)
	s_barrier
	s_barrier
	s_and_saveexec_b64 s[10:11], s[2:3]
; %bb.337:
	v_lshlrev_b32_e32 v20, 2, v6
	v_lshl_or_b32 v20, v11, 8, v20
	ds_write_b32 v20, v19 offset:11424
; %bb.338:
	s_or_b64 exec, exec, s[10:11]
	s_waitcnt lgkmcnt(0)
	s_barrier
	s_barrier
	s_and_saveexec_b64 s[10:11], vcc
	s_cbranch_execz .LBB16_340
; %bb.339:
	v_mov_b32_e32 v21, 0
	ds_read_b64 v[19:20], v21 offset:11176
	ds_read_b32 v22, v21 offset:10920
	s_waitcnt lgkmcnt(0)
	v_mul_f32_e32 v20, v22, v20
	v_mul_f32_e32 v19, v19, v20
	ds_write_b32 v21, v19 offset:11176
.LBB16_340:
	s_or_b64 exec, exec, s[10:11]
	v_mov_b32_e32 v19, 0
	s_waitcnt lgkmcnt(0)
	s_barrier
	buffer_wbinvl1_vol
	s_and_saveexec_b64 s[12:13], s[0:1]
	s_cbranch_execz .LBB16_344
; %bb.341:
	v_lshlrev_b32_e32 v19, 8, v3
	v_lshlrev_b32_e32 v20, 2, v1
	ds_read_b32 v21, v20 offset:10912
	ds_read_b32 v19, v19 offset:10920
	v_mov_b32_e32 v20, 0
	v_cmp_gt_u32_e64 s[10:11], 2, v5
	s_waitcnt lgkmcnt(0)
	v_fma_f32 v19, v21, v19, 0
	s_and_saveexec_b64 s[16:17], s[10:11]
	s_cbranch_execz .LBB16_343
; %bb.342:
	v_lshlrev_b32_e32 v21, 2, v0
	ds_read_b32 v21, v21 offset:11168
	ds_read_b32 v20, v20 offset:11180
	s_waitcnt lgkmcnt(0)
	v_fmac_f32_e32 v19, v21, v20
.LBB16_343:
	s_or_b64 exec, exec, s[16:17]
.LBB16_344:
	s_or_b64 exec, exec, s[12:13]
	s_and_saveexec_b64 s[10:11], s[30:31]
	s_cbranch_execz .LBB16_346
; %bb.345:
	v_mov_b32_e32 v20, 0
	ds_read_b32 v20, v20 offset:10660
	s_waitcnt lgkmcnt(0)
	v_mul_f32_e32 v19, v19, v20
	v_xor_b32_e32 v20, 0x80000000, v19
	ds_write_b32 v4, v20
.LBB16_346:
	s_or_b64 exec, exec, s[10:11]
	s_waitcnt lgkmcnt(0)
	s_barrier
	s_and_saveexec_b64 s[10:11], s[28:29]
	s_cbranch_execz .LBB16_348
; %bb.347:
	v_mov_b32_e32 v20, 0
	ds_read_b32 v20, v20 offset:10656
	ds_read_b32 v21, v4
	s_waitcnt lgkmcnt(0)
	v_fma_f32 v19, -v20, v21, v19
.LBB16_348:
	s_or_b64 exec, exec, s[10:11]
	s_barrier
	s_and_saveexec_b64 s[10:11], s[28:29]
	s_cbranch_execz .LBB16_350
; %bb.349:
	v_mov_b32_e32 v20, 0
	ds_read_b32 v20, v20 offset:10400
	s_waitcnt lgkmcnt(0)
	v_mul_f32_e32 v19, v19, v20
	v_xor_b32_e32 v20, 0x80000000, v19
	ds_write_b32 v4, v20
.LBB16_350:
	s_or_b64 exec, exec, s[10:11]
	s_waitcnt lgkmcnt(0)
	s_barrier
	s_barrier
	s_and_saveexec_b64 s[10:11], s[0:1]
; %bb.351:
	v_lshlrev_b32_e32 v20, 2, v1
	v_lshl_or_b32 v20, v3, 8, v20
	ds_write_b32 v20, v19 offset:10912
; %bb.352:
	s_or_b64 exec, exec, s[10:11]
	s_waitcnt lgkmcnt(0)
	s_barrier
	s_barrier
	s_and_saveexec_b64 s[10:11], vcc
	s_cbranch_execz .LBB16_354
; %bb.353:
	v_mov_b32_e32 v21, 0
	ds_read_b64 v[19:20], v21 offset:10656
	ds_read_b32 v22, v21 offset:10400
	s_waitcnt lgkmcnt(0)
	v_mul_f32_e32 v20, v22, v20
	v_mul_f32_e32 v19, v19, v20
	ds_write_b32 v21, v19 offset:10656
.LBB16_354:
	s_or_b64 exec, exec, s[10:11]
	v_mov_b32_e32 v19, 0
	s_waitcnt lgkmcnt(0)
	s_barrier
	buffer_wbinvl1_vol
	s_and_saveexec_b64 s[12:13], s[14:15]
	s_cbranch_execz .LBB16_364
; %bb.355:
	v_lshlrev_b32_e32 v21, 2, v13
	v_lshlrev_b32_e32 v20, 8, v14
	ds_read_b32 v19, v21 offset:10368
	ds_read_b32 v22, v20 offset:10400
	v_cmp_gt_u32_e64 s[10:11], 56, v5
	s_waitcnt lgkmcnt(0)
	v_fma_f32 v19, v19, v22, 0
	s_and_saveexec_b64 s[16:17], s[10:11]
	s_cbranch_execnz .LBB16_1159
; %bb.356:
	s_or_b64 exec, exec, s[16:17]
	v_cmp_gt_u32_e64 s[10:11], 48, v5
	s_and_saveexec_b64 s[16:17], s[10:11]
	s_cbranch_execnz .LBB16_1160
.LBB16_357:
	s_or_b64 exec, exec, s[16:17]
	v_cmp_gt_u32_e64 s[10:11], 40, v5
	s_and_saveexec_b64 s[16:17], s[10:11]
	s_cbranch_execnz .LBB16_1161
.LBB16_358:
	s_or_b64 exec, exec, s[16:17]
	v_cmp_gt_u32_e64 s[10:11], 32, v5
	s_and_saveexec_b64 s[16:17], s[10:11]
	s_cbranch_execnz .LBB16_1162
.LBB16_359:
	s_or_b64 exec, exec, s[16:17]
	v_cmp_gt_u32_e64 s[10:11], 24, v5
	s_and_saveexec_b64 s[16:17], s[10:11]
	s_cbranch_execnz .LBB16_1163
.LBB16_360:
	s_or_b64 exec, exec, s[16:17]
	s_and_saveexec_b64 s[10:11], s[2:3]
	s_cbranch_execnz .LBB16_1164
.LBB16_361:
	s_or_b64 exec, exec, s[10:11]
	v_cmp_gt_u32_e64 s[10:11], 8, v5
	s_and_saveexec_b64 s[16:17], s[10:11]
	s_cbranch_execz .LBB16_363
.LBB16_362:
	v_lshlrev_b32_e32 v20, 2, v0
	v_mov_b32_e32 v21, 0
	ds_read_b32 v20, v20 offset:12160
	ds_read_b32 v21, v21 offset:12220
	s_waitcnt lgkmcnt(0)
	v_fmac_f32_e32 v19, v20, v21
.LBB16_363:
	s_or_b64 exec, exec, s[16:17]
.LBB16_364:
	s_or_b64 exec, exec, s[12:13]
	s_and_saveexec_b64 s[10:11], s[46:47]
	s_cbranch_execz .LBB16_366
; %bb.365:
	v_mov_b32_e32 v20, 0
	ds_read_b32 v20, v20 offset:10140
	s_waitcnt lgkmcnt(0)
	v_mul_f32_e32 v19, v19, v20
	v_xor_b32_e32 v20, 0x80000000, v19
	ds_write_b32 v15, v20
.LBB16_366:
	s_or_b64 exec, exec, s[10:11]
	s_waitcnt lgkmcnt(0)
	s_barrier
	s_and_saveexec_b64 s[10:11], s[48:49]
	s_cbranch_execz .LBB16_368
; %bb.367:
	v_lshlrev_b32_e32 v20, 2, v13
	ds_read_b32 v20, v20 offset:10112
	ds_read_b32 v21, v15
	s_waitcnt lgkmcnt(0)
	v_fma_f32 v19, -v20, v21, v19
.LBB16_368:
	s_or_b64 exec, exec, s[10:11]
	s_barrier
	s_and_saveexec_b64 s[10:11], s[50:51]
	s_cbranch_execz .LBB16_370
; %bb.369:
	v_mov_b32_e32 v20, 0
	ds_read_b32 v20, v20 offset:9880
	s_waitcnt lgkmcnt(0)
	v_mul_f32_e32 v19, v19, v20
	v_xor_b32_e32 v20, 0x80000000, v19
	ds_write_b32 v15, v20
.LBB16_370:
	s_or_b64 exec, exec, s[10:11]
	s_waitcnt lgkmcnt(0)
	s_barrier
	s_and_saveexec_b64 s[10:11], s[52:53]
	s_cbranch_execz .LBB16_372
; %bb.371:
	v_lshlrev_b32_e32 v20, 2, v13
	ds_read_b32 v20, v20 offset:9856
	ds_read_b32 v21, v15
	s_waitcnt lgkmcnt(0)
	v_fma_f32 v19, -v20, v21, v19
.LBB16_372:
	s_or_b64 exec, exec, s[10:11]
	s_barrier
	s_and_saveexec_b64 s[10:11], s[54:55]
	s_cbranch_execz .LBB16_374
; %bb.373:
	v_mov_b32_e32 v20, 0
	ds_read_b32 v20, v20 offset:9620
	s_waitcnt lgkmcnt(0)
	v_mul_f32_e32 v19, v19, v20
	v_xor_b32_e32 v20, 0x80000000, v19
	ds_write_b32 v15, v20
.LBB16_374:
	s_or_b64 exec, exec, s[10:11]
	s_waitcnt lgkmcnt(0)
	s_barrier
	s_and_saveexec_b64 s[10:11], s[58:59]
	s_cbranch_execz .LBB16_376
; %bb.375:
	v_lshlrev_b32_e32 v20, 2, v13
	ds_read_b32 v20, v20 offset:9600
	ds_read_b32 v21, v15
	s_waitcnt lgkmcnt(0)
	v_fma_f32 v19, -v20, v21, v19
.LBB16_376:
	s_or_b64 exec, exec, s[10:11]
	s_barrier
	s_and_saveexec_b64 s[10:11], s[60:61]
	s_cbranch_execz .LBB16_378
; %bb.377:
	v_mov_b32_e32 v20, 0
	ds_read_b32 v20, v20 offset:9360
	s_waitcnt lgkmcnt(0)
	v_mul_f32_e32 v19, v19, v20
	v_xor_b32_e32 v20, 0x80000000, v19
	ds_write_b32 v15, v20
.LBB16_378:
	s_or_b64 exec, exec, s[10:11]
	s_waitcnt lgkmcnt(0)
	s_barrier
	s_and_saveexec_b64 s[10:11], s[62:63]
	s_cbranch_execz .LBB16_380
; %bb.379:
	v_lshlrev_b32_e32 v20, 2, v13
	ds_read_b32 v20, v20 offset:9344
	ds_read_b32 v21, v15
	s_waitcnt lgkmcnt(0)
	v_fma_f32 v19, -v20, v21, v19
.LBB16_380:
	s_or_b64 exec, exec, s[10:11]
	s_barrier
	s_and_saveexec_b64 s[10:11], s[64:65]
	s_cbranch_execz .LBB16_382
; %bb.381:
	v_mov_b32_e32 v20, 0
	ds_read_b32 v20, v20 offset:9100
	s_waitcnt lgkmcnt(0)
	v_mul_f32_e32 v19, v19, v20
	v_xor_b32_e32 v20, 0x80000000, v19
	ds_write_b32 v15, v20
.LBB16_382:
	s_or_b64 exec, exec, s[10:11]
	s_waitcnt lgkmcnt(0)
	s_barrier
	s_and_saveexec_b64 s[10:11], s[66:67]
	s_cbranch_execz .LBB16_384
; %bb.383:
	v_lshlrev_b32_e32 v20, 2, v13
	ds_read_b32 v20, v20 offset:9088
	ds_read_b32 v21, v15
	s_waitcnt lgkmcnt(0)
	v_fma_f32 v19, -v20, v21, v19
.LBB16_384:
	s_or_b64 exec, exec, s[10:11]
	s_barrier
	s_and_saveexec_b64 s[10:11], s[68:69]
	s_cbranch_execz .LBB16_386
; %bb.385:
	v_mov_b32_e32 v20, 0
	ds_read_b32 v20, v20 offset:8840
	s_waitcnt lgkmcnt(0)
	v_mul_f32_e32 v19, v19, v20
	v_xor_b32_e32 v20, 0x80000000, v19
	ds_write_b32 v15, v20
.LBB16_386:
	s_or_b64 exec, exec, s[10:11]
	s_waitcnt lgkmcnt(0)
	s_barrier
	s_and_saveexec_b64 s[10:11], s[70:71]
	s_cbranch_execz .LBB16_388
; %bb.387:
	v_lshlrev_b32_e32 v20, 2, v13
	ds_read_b32 v20, v20 offset:8832
	ds_read_b32 v21, v15
	s_waitcnt lgkmcnt(0)
	v_fma_f32 v19, -v20, v21, v19
.LBB16_388:
	s_or_b64 exec, exec, s[10:11]
	s_barrier
	s_and_saveexec_b64 s[10:11], s[72:73]
	s_cbranch_execz .LBB16_390
; %bb.389:
	v_mov_b32_e32 v20, 0
	ds_read_b32 v20, v20 offset:8580
	s_waitcnt lgkmcnt(0)
	v_mul_f32_e32 v19, v19, v20
	v_xor_b32_e32 v20, 0x80000000, v19
	ds_write_b32 v15, v20
.LBB16_390:
	s_or_b64 exec, exec, s[10:11]
	s_waitcnt lgkmcnt(0)
	s_barrier
	s_and_saveexec_b64 s[10:11], s[56:57]
	s_cbranch_execz .LBB16_392
; %bb.391:
	v_mov_b32_e32 v20, 0
	ds_read_b32 v20, v20 offset:8576
	ds_read_b32 v21, v15
	s_waitcnt lgkmcnt(0)
	v_fma_f32 v19, -v20, v21, v19
.LBB16_392:
	s_or_b64 exec, exec, s[10:11]
	s_barrier
	s_and_saveexec_b64 s[10:11], s[56:57]
	s_cbranch_execz .LBB16_394
; %bb.393:
	v_mov_b32_e32 v20, 0
	ds_read_b32 v20, v20 offset:8320
	s_waitcnt lgkmcnt(0)
	v_mul_f32_e32 v19, v19, v20
	v_xor_b32_e32 v20, 0x80000000, v19
	ds_write_b32 v15, v20
.LBB16_394:
	s_or_b64 exec, exec, s[10:11]
	s_waitcnt lgkmcnt(0)
	s_barrier
	s_barrier
	s_and_saveexec_b64 s[10:11], s[14:15]
; %bb.395:
	v_lshlrev_b32_e32 v20, 2, v13
	v_lshl_or_b32 v20, v14, 8, v20
	ds_write_b32 v20, v19 offset:10368
; %bb.396:
	s_or_b64 exec, exec, s[10:11]
	s_waitcnt lgkmcnt(0)
	s_barrier
	s_barrier
	s_and_saveexec_b64 s[10:11], vcc
	s_cbranch_execz .LBB16_398
; %bb.397:
	v_mov_b32_e32 v21, 0
	ds_read_b64 v[19:20], v21 offset:10136
	ds_read_b32 v22, v21 offset:9880
	s_waitcnt lgkmcnt(0)
	v_mul_f32_e32 v20, v22, v20
	v_mul_f32_e32 v19, v19, v20
	ds_write_b32 v21, v19 offset:10136
.LBB16_398:
	s_or_b64 exec, exec, s[10:11]
	v_mov_b32_e32 v19, 0
	s_waitcnt lgkmcnt(0)
	s_barrier
	buffer_wbinvl1_vol
	s_and_saveexec_b64 s[12:13], s[0:1]
	s_cbranch_execz .LBB16_402
; %bb.399:
	v_lshlrev_b32_e32 v19, 8, v3
	v_lshlrev_b32_e32 v20, 2, v1
	ds_read_b32 v21, v20 offset:9872
	ds_read_b32 v19, v19 offset:9880
	v_mov_b32_e32 v20, 0
	v_cmp_gt_u32_e64 s[10:11], 2, v5
	s_waitcnt lgkmcnt(0)
	v_fma_f32 v19, v21, v19, 0
	s_and_saveexec_b64 s[16:17], s[10:11]
	s_cbranch_execz .LBB16_401
; %bb.400:
	v_lshlrev_b32_e32 v21, 2, v0
	ds_read_b32 v21, v21 offset:10128
	ds_read_b32 v20, v20 offset:10140
	s_waitcnt lgkmcnt(0)
	v_fmac_f32_e32 v19, v21, v20
.LBB16_401:
	s_or_b64 exec, exec, s[16:17]
.LBB16_402:
	s_or_b64 exec, exec, s[12:13]
	s_and_saveexec_b64 s[10:11], s[30:31]
	s_cbranch_execz .LBB16_404
; %bb.403:
	v_mov_b32_e32 v20, 0
	ds_read_b32 v20, v20 offset:9620
	s_waitcnt lgkmcnt(0)
	v_mul_f32_e32 v19, v19, v20
	v_xor_b32_e32 v20, 0x80000000, v19
	ds_write_b32 v4, v20
.LBB16_404:
	s_or_b64 exec, exec, s[10:11]
	s_waitcnt lgkmcnt(0)
	s_barrier
	s_and_saveexec_b64 s[10:11], s[28:29]
	s_cbranch_execz .LBB16_406
; %bb.405:
	v_mov_b32_e32 v20, 0
	ds_read_b32 v20, v20 offset:9616
	ds_read_b32 v21, v4
	s_waitcnt lgkmcnt(0)
	v_fma_f32 v19, -v20, v21, v19
.LBB16_406:
	s_or_b64 exec, exec, s[10:11]
	s_barrier
	s_and_saveexec_b64 s[10:11], s[28:29]
	s_cbranch_execz .LBB16_408
; %bb.407:
	v_mov_b32_e32 v20, 0
	ds_read_b32 v20, v20 offset:9360
	s_waitcnt lgkmcnt(0)
	v_mul_f32_e32 v19, v19, v20
	v_xor_b32_e32 v20, 0x80000000, v19
	ds_write_b32 v4, v20
.LBB16_408:
	s_or_b64 exec, exec, s[10:11]
	s_waitcnt lgkmcnt(0)
	s_barrier
	s_barrier
	s_and_saveexec_b64 s[10:11], s[0:1]
; %bb.409:
	v_lshlrev_b32_e32 v20, 2, v1
	v_lshl_or_b32 v20, v3, 8, v20
	ds_write_b32 v20, v19 offset:9872
; %bb.410:
	s_or_b64 exec, exec, s[10:11]
	s_waitcnt lgkmcnt(0)
	s_barrier
	s_barrier
	s_and_saveexec_b64 s[10:11], vcc
	s_cbranch_execz .LBB16_412
; %bb.411:
	v_mov_b32_e32 v21, 0
	ds_read_b64 v[19:20], v21 offset:9616
	ds_read_b32 v22, v21 offset:9360
	s_waitcnt lgkmcnt(0)
	v_mul_f32_e32 v20, v22, v20
	v_mul_f32_e32 v19, v19, v20
	ds_write_b32 v21, v19 offset:9616
.LBB16_412:
	s_or_b64 exec, exec, s[10:11]
	v_mov_b32_e32 v19, 0
	s_waitcnt lgkmcnt(0)
	s_barrier
	buffer_wbinvl1_vol
	s_and_saveexec_b64 s[12:13], s[2:3]
	s_cbranch_execz .LBB16_418
; %bb.413:
	v_lshlrev_b32_e32 v21, 2, v6
	v_lshlrev_b32_e32 v20, 8, v11
	ds_read_b32 v19, v21 offset:9344
	ds_read_b32 v22, v20 offset:9360
	v_cmp_gt_u32_e64 s[10:11], 12, v5
	s_waitcnt lgkmcnt(0)
	v_fma_f32 v19, v19, v22, 0
	s_and_saveexec_b64 s[16:17], s[10:11]
	s_cbranch_execnz .LBB16_1165
; %bb.414:
	s_or_b64 exec, exec, s[16:17]
	v_cmp_gt_u32_e64 s[10:11], 8, v5
	s_and_saveexec_b64 s[16:17], s[10:11]
	s_cbranch_execnz .LBB16_1166
.LBB16_415:
	s_or_b64 exec, exec, s[16:17]
	v_cmp_gt_u32_e64 s[10:11], 4, v5
	s_and_saveexec_b64 s[16:17], s[10:11]
	s_cbranch_execz .LBB16_417
.LBB16_416:
	v_lshlrev_b32_e32 v20, 2, v0
	v_mov_b32_e32 v21, 0
	ds_read_b32 v20, v20 offset:10112
	ds_read_b32 v21, v21 offset:10140
	s_waitcnt lgkmcnt(0)
	v_fmac_f32_e32 v19, v20, v21
.LBB16_417:
	s_or_b64 exec, exec, s[16:17]
.LBB16_418:
	s_or_b64 exec, exec, s[12:13]
	s_and_saveexec_b64 s[10:11], s[36:37]
	s_cbranch_execz .LBB16_420
; %bb.419:
	v_mov_b32_e32 v20, 0
	ds_read_b32 v20, v20 offset:9100
	s_waitcnt lgkmcnt(0)
	v_mul_f32_e32 v19, v19, v20
	v_xor_b32_e32 v20, 0x80000000, v19
	ds_write_b32 v12, v20
.LBB16_420:
	s_or_b64 exec, exec, s[10:11]
	s_waitcnt lgkmcnt(0)
	s_barrier
	s_and_saveexec_b64 s[10:11], s[38:39]
	s_cbranch_execz .LBB16_422
; %bb.421:
	v_lshlrev_b32_e32 v20, 2, v6
	ds_read_b32 v20, v20 offset:9088
	ds_read_b32 v21, v12
	s_waitcnt lgkmcnt(0)
	v_fma_f32 v19, -v20, v21, v19
.LBB16_422:
	s_or_b64 exec, exec, s[10:11]
	s_barrier
	s_and_saveexec_b64 s[10:11], s[40:41]
	s_cbranch_execz .LBB16_424
; %bb.423:
	v_mov_b32_e32 v20, 0
	ds_read_b32 v20, v20 offset:8840
	s_waitcnt lgkmcnt(0)
	v_mul_f32_e32 v19, v19, v20
	v_xor_b32_e32 v20, 0x80000000, v19
	ds_write_b32 v12, v20
.LBB16_424:
	s_or_b64 exec, exec, s[10:11]
	s_waitcnt lgkmcnt(0)
	s_barrier
	s_and_saveexec_b64 s[10:11], s[42:43]
	s_cbranch_execz .LBB16_426
; %bb.425:
	v_lshlrev_b32_e32 v20, 2, v6
	ds_read_b32 v20, v20 offset:8832
	ds_read_b32 v21, v12
	s_waitcnt lgkmcnt(0)
	v_fma_f32 v19, -v20, v21, v19
.LBB16_426:
	s_or_b64 exec, exec, s[10:11]
	s_barrier
	s_and_saveexec_b64 s[10:11], s[44:45]
	s_cbranch_execz .LBB16_428
; %bb.427:
	v_mov_b32_e32 v20, 0
	ds_read_b32 v20, v20 offset:8580
	s_waitcnt lgkmcnt(0)
	v_mul_f32_e32 v19, v19, v20
	v_xor_b32_e32 v20, 0x80000000, v19
	ds_write_b32 v12, v20
.LBB16_428:
	s_or_b64 exec, exec, s[10:11]
	s_waitcnt lgkmcnt(0)
	s_barrier
	s_and_saveexec_b64 s[10:11], s[34:35]
	s_cbranch_execz .LBB16_430
; %bb.429:
	v_mov_b32_e32 v20, 0
	ds_read_b32 v20, v20 offset:8576
	ds_read_b32 v21, v12
	s_waitcnt lgkmcnt(0)
	v_fma_f32 v19, -v20, v21, v19
.LBB16_430:
	s_or_b64 exec, exec, s[10:11]
	s_barrier
	s_and_saveexec_b64 s[10:11], s[34:35]
	s_cbranch_execz .LBB16_432
; %bb.431:
	v_mov_b32_e32 v20, 0
	ds_read_b32 v20, v20 offset:8320
	s_waitcnt lgkmcnt(0)
	v_mul_f32_e32 v19, v19, v20
	v_xor_b32_e32 v20, 0x80000000, v19
	ds_write_b32 v12, v20
.LBB16_432:
	s_or_b64 exec, exec, s[10:11]
	s_waitcnt lgkmcnt(0)
	s_barrier
	s_barrier
	s_and_saveexec_b64 s[10:11], s[2:3]
; %bb.433:
	v_lshlrev_b32_e32 v20, 2, v6
	v_lshl_or_b32 v20, v11, 8, v20
	ds_write_b32 v20, v19 offset:9344
; %bb.434:
	s_or_b64 exec, exec, s[10:11]
	s_waitcnt lgkmcnt(0)
	s_barrier
	s_barrier
	s_and_saveexec_b64 s[10:11], vcc
	s_cbranch_execz .LBB16_436
; %bb.435:
	v_mov_b32_e32 v21, 0
	ds_read_b64 v[19:20], v21 offset:9096
	ds_read_b32 v22, v21 offset:8840
	s_waitcnt lgkmcnt(0)
	v_mul_f32_e32 v20, v22, v20
	v_mul_f32_e32 v19, v19, v20
	ds_write_b32 v21, v19 offset:9096
.LBB16_436:
	s_or_b64 exec, exec, s[10:11]
	v_mov_b32_e32 v19, 0
	s_waitcnt lgkmcnt(0)
	s_barrier
	buffer_wbinvl1_vol
	s_and_saveexec_b64 s[12:13], s[0:1]
	s_cbranch_execz .LBB16_440
; %bb.437:
	v_lshlrev_b32_e32 v19, 8, v3
	v_lshlrev_b32_e32 v20, 2, v1
	ds_read_b32 v21, v20 offset:8832
	ds_read_b32 v19, v19 offset:8840
	v_mov_b32_e32 v20, 0
	v_cmp_gt_u32_e64 s[10:11], 2, v5
	s_waitcnt lgkmcnt(0)
	v_fma_f32 v19, v21, v19, 0
	s_and_saveexec_b64 s[16:17], s[10:11]
	s_cbranch_execz .LBB16_439
; %bb.438:
	v_lshlrev_b32_e32 v21, 2, v0
	ds_read_b32 v21, v21 offset:9088
	ds_read_b32 v20, v20 offset:9100
	s_waitcnt lgkmcnt(0)
	v_fmac_f32_e32 v19, v21, v20
.LBB16_439:
	s_or_b64 exec, exec, s[16:17]
.LBB16_440:
	s_or_b64 exec, exec, s[12:13]
	s_and_saveexec_b64 s[10:11], s[30:31]
	s_cbranch_execz .LBB16_442
; %bb.441:
	v_mov_b32_e32 v20, 0
	ds_read_b32 v20, v20 offset:8580
	s_waitcnt lgkmcnt(0)
	v_mul_f32_e32 v19, v19, v20
	v_xor_b32_e32 v20, 0x80000000, v19
	ds_write_b32 v4, v20
.LBB16_442:
	s_or_b64 exec, exec, s[10:11]
	s_waitcnt lgkmcnt(0)
	s_barrier
	s_and_saveexec_b64 s[10:11], s[28:29]
	s_cbranch_execz .LBB16_444
; %bb.443:
	v_mov_b32_e32 v20, 0
	ds_read_b32 v20, v20 offset:8576
	ds_read_b32 v21, v4
	s_waitcnt lgkmcnt(0)
	v_fma_f32 v19, -v20, v21, v19
.LBB16_444:
	s_or_b64 exec, exec, s[10:11]
	s_barrier
	s_and_saveexec_b64 s[10:11], s[28:29]
	s_cbranch_execz .LBB16_446
; %bb.445:
	v_mov_b32_e32 v20, 0
	ds_read_b32 v20, v20 offset:8320
	s_waitcnt lgkmcnt(0)
	v_mul_f32_e32 v19, v19, v20
	v_xor_b32_e32 v20, 0x80000000, v19
	ds_write_b32 v4, v20
.LBB16_446:
	s_or_b64 exec, exec, s[10:11]
	s_waitcnt lgkmcnt(0)
	s_barrier
	s_barrier
	s_and_saveexec_b64 s[10:11], s[0:1]
; %bb.447:
	v_lshlrev_b32_e32 v20, 2, v1
	v_lshl_or_b32 v20, v3, 8, v20
	ds_write_b32 v20, v19 offset:8832
; %bb.448:
	s_or_b64 exec, exec, s[10:11]
	s_waitcnt lgkmcnt(0)
	s_barrier
	s_barrier
	s_and_saveexec_b64 s[10:11], vcc
	s_cbranch_execz .LBB16_450
; %bb.449:
	v_mov_b32_e32 v21, 0
	ds_read_b64 v[19:20], v21 offset:8576
	ds_read_b32 v22, v21 offset:8320
	s_waitcnt lgkmcnt(0)
	v_mul_f32_e32 v20, v22, v20
	v_mul_f32_e32 v19, v19, v20
	ds_write_b32 v21, v19 offset:8576
.LBB16_450:
	s_or_b64 exec, exec, s[10:11]
	s_movk_i32 s10, 0x3ff
	v_lshrrev_b32_e32 v22, 5, v5
	v_cmp_lt_u32_e64 s[12:13], s10, v5
	s_movk_i32 s10, 0x400
	v_and_b32_e32 v19, 31, v0
	v_sub_u32_e32 v20, 31, v22
	v_cmp_gt_u32_e64 s[10:11], s10, v5
	v_mov_b32_e32 v21, 0
	s_waitcnt lgkmcnt(0)
	s_barrier
	buffer_wbinvl1_vol
	s_and_saveexec_b64 s[90:91], s[10:11]
	s_cbranch_execz .LBB16_512
; %bb.451:
	v_lshlrev_b32_e32 v24, 2, v19
	v_lshlrev_b32_e32 v23, 8, v20
	ds_read_b32 v21, v24 offset:8192
	ds_read_b32 v25, v23 offset:8320
	s_movk_i32 s16, 0x3e0
	v_cmp_gt_u32_e64 s[16:17], s16, v5
	s_waitcnt lgkmcnt(0)
	v_fma_f32 v21, v21, v25, 0
	s_and_saveexec_b64 s[92:93], s[16:17]
	s_cbranch_execz .LBB16_453
; %bb.452:
	ds_read_b32 v25, v24 offset:8448
	ds_read_b32 v26, v23 offset:8324
	s_waitcnt lgkmcnt(0)
	v_fmac_f32_e32 v21, v25, v26
.LBB16_453:
	s_or_b64 exec, exec, s[92:93]
	s_movk_i32 s16, 0x3c0
	v_cmp_gt_u32_e64 s[16:17], s16, v5
	s_and_saveexec_b64 s[92:93], s[16:17]
	s_cbranch_execz .LBB16_455
; %bb.454:
	ds_read_b32 v25, v24 offset:8704
	ds_read_b32 v26, v23 offset:8328
	s_waitcnt lgkmcnt(0)
	v_fmac_f32_e32 v21, v25, v26
.LBB16_455:
	s_or_b64 exec, exec, s[92:93]
	s_movk_i32 s16, 0x3a0
	v_cmp_gt_u32_e64 s[16:17], s16, v5
	s_and_saveexec_b64 s[92:93], s[16:17]
	s_cbranch_execz .LBB16_457
; %bb.456:
	ds_read_b32 v25, v24 offset:8960
	ds_read_b32 v26, v23 offset:8332
	s_waitcnt lgkmcnt(0)
	v_fmac_f32_e32 v21, v25, v26
.LBB16_457:
	s_or_b64 exec, exec, s[92:93]
	s_movk_i32 s16, 0x380
	v_cmp_gt_u32_e64 s[16:17], s16, v5
	s_and_saveexec_b64 s[92:93], s[16:17]
	s_cbranch_execz .LBB16_459
; %bb.458:
	ds_read_b32 v25, v24 offset:9216
	ds_read_b32 v26, v23 offset:8336
	s_waitcnt lgkmcnt(0)
	v_fmac_f32_e32 v21, v25, v26
.LBB16_459:
	s_or_b64 exec, exec, s[92:93]
	s_movk_i32 s16, 0x360
	v_cmp_gt_u32_e64 s[16:17], s16, v5
	s_and_saveexec_b64 s[92:93], s[16:17]
	s_cbranch_execz .LBB16_461
; %bb.460:
	ds_read_b32 v25, v24 offset:9472
	ds_read_b32 v26, v23 offset:8340
	s_waitcnt lgkmcnt(0)
	v_fmac_f32_e32 v21, v25, v26
.LBB16_461:
	s_or_b64 exec, exec, s[92:93]
	s_movk_i32 s16, 0x340
	v_cmp_gt_u32_e64 s[16:17], s16, v5
	s_and_saveexec_b64 s[92:93], s[16:17]
	s_cbranch_execz .LBB16_463
; %bb.462:
	ds_read_b32 v25, v24 offset:9728
	ds_read_b32 v26, v23 offset:8344
	s_waitcnt lgkmcnt(0)
	v_fmac_f32_e32 v21, v25, v26
.LBB16_463:
	s_or_b64 exec, exec, s[92:93]
	s_movk_i32 s16, 0x320
	v_cmp_gt_u32_e64 s[16:17], s16, v5
	s_and_saveexec_b64 s[92:93], s[16:17]
	s_cbranch_execz .LBB16_465
; %bb.464:
	ds_read_b32 v25, v24 offset:9984
	ds_read_b32 v26, v23 offset:8348
	s_waitcnt lgkmcnt(0)
	v_fmac_f32_e32 v21, v25, v26
.LBB16_465:
	s_or_b64 exec, exec, s[92:93]
	s_movk_i32 s16, 0x300
	v_cmp_gt_u32_e64 s[16:17], s16, v5
	s_and_saveexec_b64 s[92:93], s[16:17]
	s_cbranch_execz .LBB16_467
; %bb.466:
	ds_read_b32 v25, v24 offset:10240
	ds_read_b32 v26, v23 offset:8352
	s_waitcnt lgkmcnt(0)
	v_fmac_f32_e32 v21, v25, v26
.LBB16_467:
	s_or_b64 exec, exec, s[92:93]
	s_movk_i32 s16, 0x2e0
	v_cmp_gt_u32_e64 s[16:17], s16, v5
	s_and_saveexec_b64 s[92:93], s[16:17]
	s_cbranch_execz .LBB16_469
; %bb.468:
	ds_read_b32 v25, v24 offset:10496
	ds_read_b32 v26, v23 offset:8356
	s_waitcnt lgkmcnt(0)
	v_fmac_f32_e32 v21, v25, v26
.LBB16_469:
	s_or_b64 exec, exec, s[92:93]
	s_movk_i32 s16, 0x2c0
	v_cmp_gt_u32_e64 s[16:17], s16, v5
	s_and_saveexec_b64 s[92:93], s[16:17]
	s_cbranch_execz .LBB16_471
; %bb.470:
	ds_read_b32 v25, v24 offset:10752
	ds_read_b32 v26, v23 offset:8360
	s_waitcnt lgkmcnt(0)
	v_fmac_f32_e32 v21, v25, v26
.LBB16_471:
	s_or_b64 exec, exec, s[92:93]
	s_movk_i32 s16, 0x2a0
	v_cmp_gt_u32_e64 s[16:17], s16, v5
	s_and_saveexec_b64 s[92:93], s[16:17]
	s_cbranch_execz .LBB16_473
; %bb.472:
	ds_read_b32 v25, v24 offset:11008
	ds_read_b32 v26, v23 offset:8364
	s_waitcnt lgkmcnt(0)
	v_fmac_f32_e32 v21, v25, v26
.LBB16_473:
	s_or_b64 exec, exec, s[92:93]
	s_movk_i32 s16, 0x280
	v_cmp_gt_u32_e64 s[16:17], s16, v5
	s_and_saveexec_b64 s[92:93], s[16:17]
	s_cbranch_execz .LBB16_475
; %bb.474:
	ds_read_b32 v25, v24 offset:11264
	ds_read_b32 v26, v23 offset:8368
	s_waitcnt lgkmcnt(0)
	v_fmac_f32_e32 v21, v25, v26
.LBB16_475:
	s_or_b64 exec, exec, s[92:93]
	s_movk_i32 s16, 0x260
	v_cmp_gt_u32_e64 s[16:17], s16, v5
	s_and_saveexec_b64 s[92:93], s[16:17]
	s_cbranch_execz .LBB16_477
; %bb.476:
	ds_read_b32 v25, v24 offset:11520
	ds_read_b32 v26, v23 offset:8372
	s_waitcnt lgkmcnt(0)
	v_fmac_f32_e32 v21, v25, v26
.LBB16_477:
	s_or_b64 exec, exec, s[92:93]
	s_movk_i32 s16, 0x240
	v_cmp_gt_u32_e64 s[16:17], s16, v5
	s_and_saveexec_b64 s[92:93], s[16:17]
	s_cbranch_execz .LBB16_479
; %bb.478:
	ds_read_b32 v25, v24 offset:11776
	ds_read_b32 v26, v23 offset:8376
	s_waitcnt lgkmcnt(0)
	v_fmac_f32_e32 v21, v25, v26
.LBB16_479:
	s_or_b64 exec, exec, s[92:93]
	s_movk_i32 s16, 0x220
	v_cmp_gt_u32_e64 s[16:17], s16, v5
	s_and_saveexec_b64 s[92:93], s[16:17]
	s_cbranch_execz .LBB16_481
; %bb.480:
	ds_read_b32 v25, v24 offset:12032
	ds_read_b32 v26, v23 offset:8380
	s_waitcnt lgkmcnt(0)
	v_fmac_f32_e32 v21, v25, v26
.LBB16_481:
	s_or_b64 exec, exec, s[92:93]
	s_movk_i32 s16, 0x200
	v_cmp_gt_u32_e64 s[16:17], s16, v5
	s_and_saveexec_b64 s[92:93], s[16:17]
	s_cbranch_execz .LBB16_483
; %bb.482:
	ds_read_b32 v25, v24 offset:12288
	ds_read_b32 v26, v23 offset:8384
	s_waitcnt lgkmcnt(0)
	v_fmac_f32_e32 v21, v25, v26
.LBB16_483:
	s_or_b64 exec, exec, s[92:93]
	s_movk_i32 s16, 0x1e0
	v_cmp_gt_u32_e64 s[16:17], s16, v5
	s_and_saveexec_b64 s[92:93], s[16:17]
	s_cbranch_execz .LBB16_485
; %bb.484:
	ds_read_b32 v25, v24 offset:12544
	ds_read_b32 v26, v23 offset:8388
	s_waitcnt lgkmcnt(0)
	v_fmac_f32_e32 v21, v25, v26
.LBB16_485:
	s_or_b64 exec, exec, s[92:93]
	s_movk_i32 s16, 0x1c0
	v_cmp_gt_u32_e64 s[16:17], s16, v5
	s_and_saveexec_b64 s[92:93], s[16:17]
	s_cbranch_execz .LBB16_487
; %bb.486:
	ds_read_b32 v25, v24 offset:12800
	ds_read_b32 v26, v23 offset:8392
	s_waitcnt lgkmcnt(0)
	v_fmac_f32_e32 v21, v25, v26
.LBB16_487:
	s_or_b64 exec, exec, s[92:93]
	s_movk_i32 s16, 0x1a0
	v_cmp_gt_u32_e64 s[16:17], s16, v5
	s_and_saveexec_b64 s[92:93], s[16:17]
	s_cbranch_execz .LBB16_489
; %bb.488:
	ds_read_b32 v25, v24 offset:13056
	ds_read_b32 v26, v23 offset:8396
	s_waitcnt lgkmcnt(0)
	v_fmac_f32_e32 v21, v25, v26
.LBB16_489:
	s_or_b64 exec, exec, s[92:93]
	s_movk_i32 s16, 0x180
	v_cmp_gt_u32_e64 s[16:17], s16, v5
	s_and_saveexec_b64 s[92:93], s[16:17]
	s_cbranch_execz .LBB16_491
; %bb.490:
	ds_read_b32 v25, v24 offset:13312
	ds_read_b32 v26, v23 offset:8400
	s_waitcnt lgkmcnt(0)
	v_fmac_f32_e32 v21, v25, v26
.LBB16_491:
	s_or_b64 exec, exec, s[92:93]
	s_movk_i32 s16, 0x160
	v_cmp_gt_u32_e64 s[16:17], s16, v5
	s_and_saveexec_b64 s[92:93], s[16:17]
	s_cbranch_execz .LBB16_493
; %bb.492:
	ds_read_b32 v25, v24 offset:13568
	ds_read_b32 v26, v23 offset:8404
	s_waitcnt lgkmcnt(0)
	v_fmac_f32_e32 v21, v25, v26
.LBB16_493:
	s_or_b64 exec, exec, s[92:93]
	s_movk_i32 s16, 0x140
	v_cmp_gt_u32_e64 s[16:17], s16, v5
	s_and_saveexec_b64 s[92:93], s[16:17]
	s_cbranch_execz .LBB16_495
; %bb.494:
	ds_read_b32 v25, v24 offset:13824
	ds_read_b32 v26, v23 offset:8408
	s_waitcnt lgkmcnt(0)
	v_fmac_f32_e32 v21, v25, v26
.LBB16_495:
	s_or_b64 exec, exec, s[92:93]
	s_movk_i32 s16, 0x120
	v_cmp_gt_u32_e64 s[16:17], s16, v5
	s_and_saveexec_b64 s[92:93], s[16:17]
	s_cbranch_execz .LBB16_497
; %bb.496:
	ds_read_b32 v25, v24 offset:14080
	ds_read_b32 v26, v23 offset:8412
	s_waitcnt lgkmcnt(0)
	v_fmac_f32_e32 v21, v25, v26
.LBB16_497:
	s_or_b64 exec, exec, s[92:93]
	s_and_saveexec_b64 s[16:17], s[8:9]
	s_cbranch_execz .LBB16_499
; %bb.498:
	ds_read_b32 v25, v24 offset:14336
	ds_read_b32 v26, v23 offset:8416
	s_waitcnt lgkmcnt(0)
	v_fmac_f32_e32 v21, v25, v26
.LBB16_499:
	s_or_b64 exec, exec, s[16:17]
	s_movk_i32 s16, 0xe0
	v_cmp_gt_u32_e64 s[16:17], s16, v5
	s_and_saveexec_b64 s[92:93], s[16:17]
	s_cbranch_execz .LBB16_501
; %bb.500:
	ds_read_b32 v25, v24 offset:14592
	ds_read_b32 v26, v23 offset:8420
	s_waitcnt lgkmcnt(0)
	v_fmac_f32_e32 v21, v25, v26
.LBB16_501:
	s_or_b64 exec, exec, s[92:93]
	s_movk_i32 s16, 0xc0
	v_cmp_gt_u32_e64 s[16:17], s16, v5
	;; [unrolled: 11-line block ×5, first 2 shown]
	s_and_saveexec_b64 s[92:93], s[16:17]
	s_cbranch_execnz .LBB16_1167
; %bb.508:
	s_or_b64 exec, exec, s[92:93]
	s_and_saveexec_b64 s[16:17], s[14:15]
	s_cbranch_execnz .LBB16_1168
.LBB16_509:
	s_or_b64 exec, exec, s[16:17]
	v_cmp_gt_u32_e64 s[16:17], 32, v5
	s_and_saveexec_b64 s[92:93], s[16:17]
	s_cbranch_execz .LBB16_511
.LBB16_510:
	v_lshlrev_b32_e32 v23, 2, v0
	v_mov_b32_e32 v24, 0
	ds_read_b32 v23, v23 offset:16128
	ds_read_b32 v24, v24 offset:16380
	s_waitcnt lgkmcnt(0)
	v_fmac_f32_e32 v21, v23, v24
.LBB16_511:
	s_or_b64 exec, exec, s[92:93]
.LBB16_512:
	s_or_b64 exec, exec, s[90:91]
	v_mov_b32_e32 v23, 0x4000
	v_cmp_eq_u32_e64 s[16:17], 31, v19
	s_xor_b64 s[90:91], s[12:13], -1
	v_lshl_add_u32 v22, v22, 2, v23
	s_and_b64 s[16:17], s[16:17], s[90:91]
	s_and_saveexec_b64 s[12:13], s[16:17]
	s_cbranch_execz .LBB16_514
; %bb.513:
	v_mov_b32_e32 v23, 0
	ds_read_b32 v23, v23 offset:8060
	s_waitcnt lgkmcnt(0)
	v_mul_f32_e32 v21, v21, v23
	v_xor_b32_e32 v23, 0x80000000, v21
	ds_write_b32 v22, v23
.LBB16_514:
	s_or_b64 exec, exec, s[12:13]
	v_cmp_ne_u32_e64 s[12:13], 31, v19
	s_and_b64 s[16:17], s[12:13], s[90:91]
	s_waitcnt lgkmcnt(0)
	s_barrier
	s_and_saveexec_b64 s[12:13], s[16:17]
	s_cbranch_execz .LBB16_516
; %bb.515:
	v_lshlrev_b32_e32 v23, 2, v19
	ds_read_b32 v23, v23 offset:7936
	ds_read_b32 v24, v22
	s_waitcnt lgkmcnt(0)
	v_fma_f32 v21, -v23, v24, v21
.LBB16_516:
	s_or_b64 exec, exec, s[12:13]
	v_cmp_eq_u32_e64 s[12:13], 30, v19
	s_and_b64 s[16:17], s[12:13], s[90:91]
	s_barrier
	s_and_saveexec_b64 s[12:13], s[16:17]
	s_cbranch_execz .LBB16_518
; %bb.517:
	v_mov_b32_e32 v23, 0
	ds_read_b32 v23, v23 offset:7800
	s_waitcnt lgkmcnt(0)
	v_mul_f32_e32 v21, v21, v23
	v_xor_b32_e32 v23, 0x80000000, v21
	ds_write_b32 v22, v23
.LBB16_518:
	s_or_b64 exec, exec, s[12:13]
	v_cmp_gt_u32_e64 s[12:13], 30, v19
	s_and_b64 s[16:17], s[12:13], s[90:91]
	s_waitcnt lgkmcnt(0)
	s_barrier
	s_and_saveexec_b64 s[12:13], s[16:17]
	s_cbranch_execz .LBB16_520
; %bb.519:
	v_lshlrev_b32_e32 v23, 2, v19
	ds_read_b32 v23, v23 offset:7680
	ds_read_b32 v24, v22
	s_waitcnt lgkmcnt(0)
	v_fma_f32 v21, -v23, v24, v21
.LBB16_520:
	s_or_b64 exec, exec, s[12:13]
	v_cmp_eq_u32_e64 s[12:13], 29, v19
	s_and_b64 s[16:17], s[12:13], s[90:91]
	s_barrier
	s_and_saveexec_b64 s[12:13], s[16:17]
	s_cbranch_execz .LBB16_522
; %bb.521:
	v_mov_b32_e32 v23, 0
	ds_read_b32 v23, v23 offset:7540
	s_waitcnt lgkmcnt(0)
	v_mul_f32_e32 v21, v21, v23
	v_xor_b32_e32 v23, 0x80000000, v21
	ds_write_b32 v22, v23
.LBB16_522:
	s_or_b64 exec, exec, s[12:13]
	v_cmp_gt_u32_e64 s[12:13], 29, v19
	;; [unrolled: 28-line block ×29, first 2 shown]
	s_and_b64 s[16:17], s[12:13], s[90:91]
	s_waitcnt lgkmcnt(0)
	s_barrier
	s_and_saveexec_b64 s[12:13], s[16:17]
	s_cbranch_execz .LBB16_632
; %bb.631:
	v_lshlrev_b32_e32 v23, 2, v19
	ds_read_b32 v23, v23 offset:512
	ds_read_b32 v24, v22
	s_waitcnt lgkmcnt(0)
	v_fma_f32 v21, -v23, v24, v21
.LBB16_632:
	s_or_b64 exec, exec, s[12:13]
	v_cmp_eq_u32_e64 s[12:13], 1, v19
	s_and_b64 s[16:17], s[12:13], s[90:91]
	s_barrier
	s_and_saveexec_b64 s[12:13], s[16:17]
	s_cbranch_execz .LBB16_634
; %bb.633:
	v_mov_b32_e32 v23, 0
	ds_read_b32 v23, v23 offset:260
	s_waitcnt lgkmcnt(0)
	v_mul_f32_e32 v21, v21, v23
	v_xor_b32_e32 v23, 0x80000000, v21
	ds_write_b32 v22, v23
.LBB16_634:
	s_or_b64 exec, exec, s[12:13]
	v_cmp_eq_u32_e64 s[12:13], 0, v19
	s_and_b64 s[12:13], s[12:13], s[90:91]
	s_waitcnt lgkmcnt(0)
	s_barrier
	s_and_saveexec_b64 s[16:17], s[12:13]
	s_cbranch_execz .LBB16_636
; %bb.635:
	v_mov_b32_e32 v23, 0
	ds_read_b32 v23, v23 offset:256
	ds_read_b32 v24, v22
	s_waitcnt lgkmcnt(0)
	v_fma_f32 v21, -v23, v24, v21
.LBB16_636:
	s_or_b64 exec, exec, s[16:17]
	s_barrier
	s_and_saveexec_b64 s[16:17], s[12:13]
	s_cbranch_execz .LBB16_638
; %bb.637:
	v_mov_b32_e32 v23, 0
	ds_read_b32 v23, v23
	s_waitcnt lgkmcnt(0)
	v_mul_f32_e32 v21, v21, v23
	v_xor_b32_e32 v23, 0x80000000, v21
	ds_write_b32 v22, v23
.LBB16_638:
	s_or_b64 exec, exec, s[16:17]
	s_waitcnt lgkmcnt(0)
	s_barrier
	s_barrier
	s_and_saveexec_b64 s[12:13], s[10:11]
; %bb.639:
	v_lshlrev_b32_e32 v19, 2, v19
	v_lshl_or_b32 v19, v20, 8, v19
	ds_write_b32 v19, v21 offset:8192
; %bb.640:
	s_or_b64 exec, exec, s[12:13]
	s_waitcnt lgkmcnt(0)
	s_barrier
	s_barrier
	s_and_saveexec_b64 s[10:11], vcc
	s_cbranch_execz .LBB16_642
; %bb.641:
	v_mov_b32_e32 v21, 0
	ds_read_b64 v[19:20], v21 offset:8056
	ds_read_b32 v22, v21 offset:7800
	s_waitcnt lgkmcnt(0)
	v_mul_f32_e32 v20, v22, v20
	v_mul_f32_e32 v19, v19, v20
	ds_write_b32 v21, v19 offset:8056
.LBB16_642:
	s_or_b64 exec, exec, s[10:11]
	v_mov_b32_e32 v19, 0
	s_waitcnt lgkmcnt(0)
	s_barrier
	buffer_wbinvl1_vol
	s_and_saveexec_b64 s[12:13], s[0:1]
	s_cbranch_execz .LBB16_646
; %bb.643:
	v_lshlrev_b32_e32 v19, 8, v3
	v_lshlrev_b32_e32 v20, 2, v1
	ds_read_b32 v21, v20 offset:7792
	ds_read_b32 v19, v19 offset:7800
	v_mov_b32_e32 v20, 0
	v_cmp_gt_u32_e64 s[10:11], 2, v5
	s_waitcnt lgkmcnt(0)
	v_fma_f32 v19, v21, v19, 0
	s_and_saveexec_b64 s[16:17], s[10:11]
	s_cbranch_execz .LBB16_645
; %bb.644:
	v_lshlrev_b32_e32 v21, 2, v0
	ds_read_b32 v21, v21 offset:8048
	ds_read_b32 v20, v20 offset:8060
	s_waitcnt lgkmcnt(0)
	v_fmac_f32_e32 v19, v21, v20
.LBB16_645:
	s_or_b64 exec, exec, s[16:17]
.LBB16_646:
	s_or_b64 exec, exec, s[12:13]
	s_and_saveexec_b64 s[10:11], s[30:31]
	s_cbranch_execz .LBB16_648
; %bb.647:
	v_mov_b32_e32 v20, 0
	ds_read_b32 v20, v20 offset:7540
	s_waitcnt lgkmcnt(0)
	v_mul_f32_e32 v19, v19, v20
	v_xor_b32_e32 v20, 0x80000000, v19
	ds_write_b32 v4, v20
.LBB16_648:
	s_or_b64 exec, exec, s[10:11]
	s_waitcnt lgkmcnt(0)
	s_barrier
	s_and_saveexec_b64 s[10:11], s[28:29]
	s_cbranch_execz .LBB16_650
; %bb.649:
	v_mov_b32_e32 v20, 0
	ds_read_b32 v20, v20 offset:7536
	ds_read_b32 v21, v4
	s_waitcnt lgkmcnt(0)
	v_fma_f32 v19, -v20, v21, v19
.LBB16_650:
	s_or_b64 exec, exec, s[10:11]
	s_barrier
	s_and_saveexec_b64 s[10:11], s[28:29]
	s_cbranch_execz .LBB16_652
; %bb.651:
	v_mov_b32_e32 v20, 0
	ds_read_b32 v20, v20 offset:7280
	s_waitcnt lgkmcnt(0)
	v_mul_f32_e32 v19, v19, v20
	v_xor_b32_e32 v20, 0x80000000, v19
	ds_write_b32 v4, v20
.LBB16_652:
	s_or_b64 exec, exec, s[10:11]
	s_waitcnt lgkmcnt(0)
	s_barrier
	s_barrier
	s_and_saveexec_b64 s[10:11], s[0:1]
; %bb.653:
	v_lshlrev_b32_e32 v20, 2, v1
	v_lshl_or_b32 v20, v3, 8, v20
	ds_write_b32 v20, v19 offset:7792
; %bb.654:
	s_or_b64 exec, exec, s[10:11]
	s_waitcnt lgkmcnt(0)
	s_barrier
	s_barrier
	s_and_saveexec_b64 s[10:11], vcc
	s_cbranch_execz .LBB16_656
; %bb.655:
	v_mov_b32_e32 v21, 0
	ds_read_b64 v[19:20], v21 offset:7536
	ds_read_b32 v22, v21 offset:7280
	s_waitcnt lgkmcnt(0)
	v_mul_f32_e32 v20, v22, v20
	v_mul_f32_e32 v19, v19, v20
	ds_write_b32 v21, v19 offset:7536
.LBB16_656:
	s_or_b64 exec, exec, s[10:11]
	v_mov_b32_e32 v19, 0
	s_waitcnt lgkmcnt(0)
	s_barrier
	buffer_wbinvl1_vol
	s_and_saveexec_b64 s[12:13], s[2:3]
	s_cbranch_execz .LBB16_662
; %bb.657:
	v_lshlrev_b32_e32 v21, 2, v6
	v_lshlrev_b32_e32 v20, 8, v11
	ds_read_b32 v19, v21 offset:7264
	ds_read_b32 v22, v20 offset:7280
	v_cmp_gt_u32_e64 s[10:11], 12, v5
	s_waitcnt lgkmcnt(0)
	v_fma_f32 v19, v19, v22, 0
	s_and_saveexec_b64 s[16:17], s[10:11]
	s_cbranch_execnz .LBB16_1169
; %bb.658:
	s_or_b64 exec, exec, s[16:17]
	v_cmp_gt_u32_e64 s[10:11], 8, v5
	s_and_saveexec_b64 s[16:17], s[10:11]
	s_cbranch_execnz .LBB16_1170
.LBB16_659:
	s_or_b64 exec, exec, s[16:17]
	v_cmp_gt_u32_e64 s[10:11], 4, v5
	s_and_saveexec_b64 s[16:17], s[10:11]
	s_cbranch_execz .LBB16_661
.LBB16_660:
	v_lshlrev_b32_e32 v20, 2, v0
	v_mov_b32_e32 v21, 0
	ds_read_b32 v20, v20 offset:8032
	ds_read_b32 v21, v21 offset:8060
	s_waitcnt lgkmcnt(0)
	v_fmac_f32_e32 v19, v20, v21
.LBB16_661:
	s_or_b64 exec, exec, s[16:17]
.LBB16_662:
	s_or_b64 exec, exec, s[12:13]
	s_and_saveexec_b64 s[10:11], s[36:37]
	s_cbranch_execz .LBB16_664
; %bb.663:
	v_mov_b32_e32 v20, 0
	ds_read_b32 v20, v20 offset:7020
	s_waitcnt lgkmcnt(0)
	v_mul_f32_e32 v19, v19, v20
	v_xor_b32_e32 v20, 0x80000000, v19
	ds_write_b32 v12, v20
.LBB16_664:
	s_or_b64 exec, exec, s[10:11]
	s_waitcnt lgkmcnt(0)
	s_barrier
	s_and_saveexec_b64 s[10:11], s[38:39]
	s_cbranch_execz .LBB16_666
; %bb.665:
	v_lshlrev_b32_e32 v20, 2, v6
	ds_read_b32 v20, v20 offset:7008
	ds_read_b32 v21, v12
	s_waitcnt lgkmcnt(0)
	v_fma_f32 v19, -v20, v21, v19
.LBB16_666:
	s_or_b64 exec, exec, s[10:11]
	s_barrier
	s_and_saveexec_b64 s[10:11], s[40:41]
	s_cbranch_execz .LBB16_668
; %bb.667:
	v_mov_b32_e32 v20, 0
	ds_read_b32 v20, v20 offset:6760
	s_waitcnt lgkmcnt(0)
	v_mul_f32_e32 v19, v19, v20
	v_xor_b32_e32 v20, 0x80000000, v19
	ds_write_b32 v12, v20
.LBB16_668:
	s_or_b64 exec, exec, s[10:11]
	s_waitcnt lgkmcnt(0)
	s_barrier
	s_and_saveexec_b64 s[10:11], s[42:43]
	s_cbranch_execz .LBB16_670
; %bb.669:
	v_lshlrev_b32_e32 v20, 2, v6
	ds_read_b32 v20, v20 offset:6752
	ds_read_b32 v21, v12
	s_waitcnt lgkmcnt(0)
	v_fma_f32 v19, -v20, v21, v19
.LBB16_670:
	s_or_b64 exec, exec, s[10:11]
	s_barrier
	s_and_saveexec_b64 s[10:11], s[44:45]
	s_cbranch_execz .LBB16_672
; %bb.671:
	v_mov_b32_e32 v20, 0
	ds_read_b32 v20, v20 offset:6500
	s_waitcnt lgkmcnt(0)
	v_mul_f32_e32 v19, v19, v20
	v_xor_b32_e32 v20, 0x80000000, v19
	ds_write_b32 v12, v20
.LBB16_672:
	s_or_b64 exec, exec, s[10:11]
	s_waitcnt lgkmcnt(0)
	s_barrier
	s_and_saveexec_b64 s[10:11], s[34:35]
	s_cbranch_execz .LBB16_674
; %bb.673:
	v_mov_b32_e32 v20, 0
	ds_read_b32 v20, v20 offset:6496
	ds_read_b32 v21, v12
	s_waitcnt lgkmcnt(0)
	v_fma_f32 v19, -v20, v21, v19
.LBB16_674:
	s_or_b64 exec, exec, s[10:11]
	s_barrier
	s_and_saveexec_b64 s[10:11], s[34:35]
	s_cbranch_execz .LBB16_676
; %bb.675:
	v_mov_b32_e32 v20, 0
	ds_read_b32 v20, v20 offset:6240
	s_waitcnt lgkmcnt(0)
	v_mul_f32_e32 v19, v19, v20
	v_xor_b32_e32 v20, 0x80000000, v19
	ds_write_b32 v12, v20
.LBB16_676:
	s_or_b64 exec, exec, s[10:11]
	s_waitcnt lgkmcnt(0)
	s_barrier
	s_barrier
	s_and_saveexec_b64 s[10:11], s[2:3]
; %bb.677:
	v_lshlrev_b32_e32 v20, 2, v6
	v_lshl_or_b32 v20, v11, 8, v20
	ds_write_b32 v20, v19 offset:7264
; %bb.678:
	s_or_b64 exec, exec, s[10:11]
	s_waitcnt lgkmcnt(0)
	s_barrier
	s_barrier
	s_and_saveexec_b64 s[10:11], vcc
	s_cbranch_execz .LBB16_680
; %bb.679:
	v_mov_b32_e32 v21, 0
	ds_read_b64 v[19:20], v21 offset:7016
	ds_read_b32 v22, v21 offset:6760
	s_waitcnt lgkmcnt(0)
	v_mul_f32_e32 v20, v22, v20
	v_mul_f32_e32 v19, v19, v20
	ds_write_b32 v21, v19 offset:7016
.LBB16_680:
	s_or_b64 exec, exec, s[10:11]
	v_mov_b32_e32 v19, 0
	s_waitcnt lgkmcnt(0)
	s_barrier
	buffer_wbinvl1_vol
	s_and_saveexec_b64 s[12:13], s[0:1]
	s_cbranch_execz .LBB16_684
; %bb.681:
	v_lshlrev_b32_e32 v19, 8, v3
	v_lshlrev_b32_e32 v20, 2, v1
	ds_read_b32 v21, v20 offset:6752
	ds_read_b32 v19, v19 offset:6760
	v_mov_b32_e32 v20, 0
	v_cmp_gt_u32_e64 s[10:11], 2, v5
	s_waitcnt lgkmcnt(0)
	v_fma_f32 v19, v21, v19, 0
	s_and_saveexec_b64 s[16:17], s[10:11]
	s_cbranch_execz .LBB16_683
; %bb.682:
	v_lshlrev_b32_e32 v21, 2, v0
	ds_read_b32 v21, v21 offset:7008
	ds_read_b32 v20, v20 offset:7020
	s_waitcnt lgkmcnt(0)
	v_fmac_f32_e32 v19, v21, v20
.LBB16_683:
	s_or_b64 exec, exec, s[16:17]
.LBB16_684:
	s_or_b64 exec, exec, s[12:13]
	s_and_saveexec_b64 s[10:11], s[30:31]
	s_cbranch_execz .LBB16_686
; %bb.685:
	v_mov_b32_e32 v20, 0
	ds_read_b32 v20, v20 offset:6500
	s_waitcnt lgkmcnt(0)
	v_mul_f32_e32 v19, v19, v20
	v_xor_b32_e32 v20, 0x80000000, v19
	ds_write_b32 v4, v20
.LBB16_686:
	s_or_b64 exec, exec, s[10:11]
	s_waitcnt lgkmcnt(0)
	s_barrier
	s_and_saveexec_b64 s[10:11], s[28:29]
	s_cbranch_execz .LBB16_688
; %bb.687:
	v_mov_b32_e32 v20, 0
	ds_read_b32 v20, v20 offset:6496
	ds_read_b32 v21, v4
	s_waitcnt lgkmcnt(0)
	v_fma_f32 v19, -v20, v21, v19
.LBB16_688:
	s_or_b64 exec, exec, s[10:11]
	s_barrier
	s_and_saveexec_b64 s[10:11], s[28:29]
	s_cbranch_execz .LBB16_690
; %bb.689:
	v_mov_b32_e32 v20, 0
	ds_read_b32 v20, v20 offset:6240
	s_waitcnt lgkmcnt(0)
	v_mul_f32_e32 v19, v19, v20
	v_xor_b32_e32 v20, 0x80000000, v19
	ds_write_b32 v4, v20
.LBB16_690:
	s_or_b64 exec, exec, s[10:11]
	s_waitcnt lgkmcnt(0)
	s_barrier
	s_barrier
	s_and_saveexec_b64 s[10:11], s[0:1]
; %bb.691:
	v_lshlrev_b32_e32 v20, 2, v1
	v_lshl_or_b32 v20, v3, 8, v20
	ds_write_b32 v20, v19 offset:6752
; %bb.692:
	s_or_b64 exec, exec, s[10:11]
	s_waitcnt lgkmcnt(0)
	s_barrier
	s_barrier
	s_and_saveexec_b64 s[10:11], vcc
	s_cbranch_execz .LBB16_694
; %bb.693:
	v_mov_b32_e32 v21, 0
	ds_read_b64 v[19:20], v21 offset:6496
	ds_read_b32 v22, v21 offset:6240
	s_waitcnt lgkmcnt(0)
	v_mul_f32_e32 v20, v22, v20
	v_mul_f32_e32 v19, v19, v20
	ds_write_b32 v21, v19 offset:6496
.LBB16_694:
	s_or_b64 exec, exec, s[10:11]
	v_mov_b32_e32 v19, 0
	s_waitcnt lgkmcnt(0)
	s_barrier
	buffer_wbinvl1_vol
	s_and_saveexec_b64 s[12:13], s[14:15]
	s_cbranch_execz .LBB16_704
; %bb.695:
	v_lshlrev_b32_e32 v21, 2, v13
	v_lshlrev_b32_e32 v20, 8, v14
	ds_read_b32 v19, v21 offset:6208
	ds_read_b32 v22, v20 offset:6240
	v_cmp_gt_u32_e64 s[10:11], 56, v5
	s_waitcnt lgkmcnt(0)
	v_fma_f32 v19, v19, v22, 0
	s_and_saveexec_b64 s[16:17], s[10:11]
	s_cbranch_execnz .LBB16_1171
; %bb.696:
	s_or_b64 exec, exec, s[16:17]
	v_cmp_gt_u32_e64 s[10:11], 48, v5
	s_and_saveexec_b64 s[16:17], s[10:11]
	s_cbranch_execnz .LBB16_1172
.LBB16_697:
	s_or_b64 exec, exec, s[16:17]
	v_cmp_gt_u32_e64 s[10:11], 40, v5
	s_and_saveexec_b64 s[16:17], s[10:11]
	s_cbranch_execnz .LBB16_1173
.LBB16_698:
	s_or_b64 exec, exec, s[16:17]
	v_cmp_gt_u32_e64 s[10:11], 32, v5
	s_and_saveexec_b64 s[16:17], s[10:11]
	s_cbranch_execnz .LBB16_1174
.LBB16_699:
	s_or_b64 exec, exec, s[16:17]
	v_cmp_gt_u32_e64 s[10:11], 24, v5
	s_and_saveexec_b64 s[16:17], s[10:11]
	s_cbranch_execnz .LBB16_1175
.LBB16_700:
	s_or_b64 exec, exec, s[16:17]
	s_and_saveexec_b64 s[10:11], s[2:3]
	s_cbranch_execnz .LBB16_1176
.LBB16_701:
	s_or_b64 exec, exec, s[10:11]
	v_cmp_gt_u32_e64 s[10:11], 8, v5
	s_and_saveexec_b64 s[16:17], s[10:11]
	s_cbranch_execz .LBB16_703
.LBB16_702:
	v_lshlrev_b32_e32 v20, 2, v0
	v_mov_b32_e32 v21, 0
	ds_read_b32 v20, v20 offset:8000
	ds_read_b32 v21, v21 offset:8060
	s_waitcnt lgkmcnt(0)
	v_fmac_f32_e32 v19, v20, v21
.LBB16_703:
	s_or_b64 exec, exec, s[16:17]
.LBB16_704:
	s_or_b64 exec, exec, s[12:13]
	s_and_saveexec_b64 s[10:11], s[46:47]
	s_cbranch_execz .LBB16_706
; %bb.705:
	v_mov_b32_e32 v20, 0
	ds_read_b32 v20, v20 offset:5980
	s_waitcnt lgkmcnt(0)
	v_mul_f32_e32 v19, v19, v20
	v_xor_b32_e32 v20, 0x80000000, v19
	ds_write_b32 v15, v20
.LBB16_706:
	s_or_b64 exec, exec, s[10:11]
	s_waitcnt lgkmcnt(0)
	s_barrier
	s_and_saveexec_b64 s[10:11], s[48:49]
	s_cbranch_execz .LBB16_708
; %bb.707:
	v_lshlrev_b32_e32 v20, 2, v13
	ds_read_b32 v20, v20 offset:5952
	ds_read_b32 v21, v15
	s_waitcnt lgkmcnt(0)
	v_fma_f32 v19, -v20, v21, v19
.LBB16_708:
	s_or_b64 exec, exec, s[10:11]
	s_barrier
	s_and_saveexec_b64 s[10:11], s[50:51]
	s_cbranch_execz .LBB16_710
; %bb.709:
	v_mov_b32_e32 v20, 0
	ds_read_b32 v20, v20 offset:5720
	s_waitcnt lgkmcnt(0)
	v_mul_f32_e32 v19, v19, v20
	v_xor_b32_e32 v20, 0x80000000, v19
	ds_write_b32 v15, v20
.LBB16_710:
	s_or_b64 exec, exec, s[10:11]
	s_waitcnt lgkmcnt(0)
	s_barrier
	s_and_saveexec_b64 s[10:11], s[52:53]
	s_cbranch_execz .LBB16_712
; %bb.711:
	v_lshlrev_b32_e32 v20, 2, v13
	ds_read_b32 v20, v20 offset:5696
	ds_read_b32 v21, v15
	s_waitcnt lgkmcnt(0)
	v_fma_f32 v19, -v20, v21, v19
.LBB16_712:
	s_or_b64 exec, exec, s[10:11]
	s_barrier
	;; [unrolled: 24-line block ×6, first 2 shown]
	s_and_saveexec_b64 s[10:11], s[72:73]
	s_cbranch_execz .LBB16_730
; %bb.729:
	v_mov_b32_e32 v20, 0
	ds_read_b32 v20, v20 offset:4420
	s_waitcnt lgkmcnt(0)
	v_mul_f32_e32 v19, v19, v20
	v_xor_b32_e32 v20, 0x80000000, v19
	ds_write_b32 v15, v20
.LBB16_730:
	s_or_b64 exec, exec, s[10:11]
	s_waitcnt lgkmcnt(0)
	s_barrier
	s_and_saveexec_b64 s[10:11], s[56:57]
	s_cbranch_execz .LBB16_732
; %bb.731:
	v_mov_b32_e32 v20, 0
	ds_read_b32 v20, v20 offset:4416
	ds_read_b32 v21, v15
	s_waitcnt lgkmcnt(0)
	v_fma_f32 v19, -v20, v21, v19
.LBB16_732:
	s_or_b64 exec, exec, s[10:11]
	s_barrier
	s_and_saveexec_b64 s[10:11], s[56:57]
	s_cbranch_execz .LBB16_734
; %bb.733:
	v_mov_b32_e32 v20, 0
	ds_read_b32 v20, v20 offset:4160
	s_waitcnt lgkmcnt(0)
	v_mul_f32_e32 v19, v19, v20
	v_xor_b32_e32 v20, 0x80000000, v19
	ds_write_b32 v15, v20
.LBB16_734:
	s_or_b64 exec, exec, s[10:11]
	s_waitcnt lgkmcnt(0)
	s_barrier
	s_barrier
	s_and_saveexec_b64 s[10:11], s[14:15]
; %bb.735:
	v_lshlrev_b32_e32 v20, 2, v13
	v_lshl_or_b32 v20, v14, 8, v20
	ds_write_b32 v20, v19 offset:6208
; %bb.736:
	s_or_b64 exec, exec, s[10:11]
	s_waitcnt lgkmcnt(0)
	s_barrier
	s_barrier
	s_and_saveexec_b64 s[10:11], vcc
	s_cbranch_execz .LBB16_738
; %bb.737:
	v_mov_b32_e32 v21, 0
	ds_read_b64 v[19:20], v21 offset:5976
	ds_read_b32 v22, v21 offset:5720
	s_waitcnt lgkmcnt(0)
	v_mul_f32_e32 v20, v22, v20
	v_mul_f32_e32 v19, v19, v20
	ds_write_b32 v21, v19 offset:5976
.LBB16_738:
	s_or_b64 exec, exec, s[10:11]
	v_mov_b32_e32 v19, 0
	s_waitcnt lgkmcnt(0)
	s_barrier
	buffer_wbinvl1_vol
	s_and_saveexec_b64 s[12:13], s[0:1]
	s_cbranch_execz .LBB16_742
; %bb.739:
	v_lshlrev_b32_e32 v19, 8, v3
	v_lshlrev_b32_e32 v20, 2, v1
	ds_read_b32 v21, v20 offset:5712
	ds_read_b32 v19, v19 offset:5720
	v_mov_b32_e32 v20, 0
	v_cmp_gt_u32_e64 s[10:11], 2, v5
	s_waitcnt lgkmcnt(0)
	v_fma_f32 v19, v21, v19, 0
	s_and_saveexec_b64 s[16:17], s[10:11]
	s_cbranch_execz .LBB16_741
; %bb.740:
	v_lshlrev_b32_e32 v21, 2, v0
	ds_read_b32 v21, v21 offset:5968
	ds_read_b32 v20, v20 offset:5980
	s_waitcnt lgkmcnt(0)
	v_fmac_f32_e32 v19, v21, v20
.LBB16_741:
	s_or_b64 exec, exec, s[16:17]
.LBB16_742:
	s_or_b64 exec, exec, s[12:13]
	s_and_saveexec_b64 s[10:11], s[30:31]
	s_cbranch_execz .LBB16_744
; %bb.743:
	v_mov_b32_e32 v20, 0
	ds_read_b32 v20, v20 offset:5460
	s_waitcnt lgkmcnt(0)
	v_mul_f32_e32 v19, v19, v20
	v_xor_b32_e32 v20, 0x80000000, v19
	ds_write_b32 v4, v20
.LBB16_744:
	s_or_b64 exec, exec, s[10:11]
	s_waitcnt lgkmcnt(0)
	s_barrier
	s_and_saveexec_b64 s[10:11], s[28:29]
	s_cbranch_execz .LBB16_746
; %bb.745:
	v_mov_b32_e32 v20, 0
	ds_read_b32 v20, v20 offset:5456
	ds_read_b32 v21, v4
	s_waitcnt lgkmcnt(0)
	v_fma_f32 v19, -v20, v21, v19
.LBB16_746:
	s_or_b64 exec, exec, s[10:11]
	s_barrier
	s_and_saveexec_b64 s[10:11], s[28:29]
	s_cbranch_execz .LBB16_748
; %bb.747:
	v_mov_b32_e32 v20, 0
	ds_read_b32 v20, v20 offset:5200
	s_waitcnt lgkmcnt(0)
	v_mul_f32_e32 v19, v19, v20
	v_xor_b32_e32 v20, 0x80000000, v19
	ds_write_b32 v4, v20
.LBB16_748:
	s_or_b64 exec, exec, s[10:11]
	s_waitcnt lgkmcnt(0)
	s_barrier
	s_barrier
	s_and_saveexec_b64 s[10:11], s[0:1]
; %bb.749:
	v_lshlrev_b32_e32 v20, 2, v1
	v_lshl_or_b32 v20, v3, 8, v20
	ds_write_b32 v20, v19 offset:5712
; %bb.750:
	s_or_b64 exec, exec, s[10:11]
	s_waitcnt lgkmcnt(0)
	s_barrier
	s_barrier
	s_and_saveexec_b64 s[10:11], vcc
	s_cbranch_execz .LBB16_752
; %bb.751:
	v_mov_b32_e32 v21, 0
	ds_read_b64 v[19:20], v21 offset:5456
	ds_read_b32 v22, v21 offset:5200
	s_waitcnt lgkmcnt(0)
	v_mul_f32_e32 v20, v22, v20
	v_mul_f32_e32 v19, v19, v20
	ds_write_b32 v21, v19 offset:5456
.LBB16_752:
	s_or_b64 exec, exec, s[10:11]
	v_mov_b32_e32 v19, 0
	s_waitcnt lgkmcnt(0)
	s_barrier
	buffer_wbinvl1_vol
	s_and_saveexec_b64 s[12:13], s[2:3]
	s_cbranch_execz .LBB16_758
; %bb.753:
	v_lshlrev_b32_e32 v21, 2, v6
	v_lshlrev_b32_e32 v20, 8, v11
	ds_read_b32 v19, v21 offset:5184
	ds_read_b32 v22, v20 offset:5200
	v_cmp_gt_u32_e64 s[10:11], 12, v5
	s_waitcnt lgkmcnt(0)
	v_fma_f32 v19, v19, v22, 0
	s_and_saveexec_b64 s[16:17], s[10:11]
	s_cbranch_execnz .LBB16_1177
; %bb.754:
	s_or_b64 exec, exec, s[16:17]
	v_cmp_gt_u32_e64 s[10:11], 8, v5
	s_and_saveexec_b64 s[16:17], s[10:11]
	s_cbranch_execnz .LBB16_1178
.LBB16_755:
	s_or_b64 exec, exec, s[16:17]
	v_cmp_gt_u32_e64 s[10:11], 4, v5
	s_and_saveexec_b64 s[16:17], s[10:11]
	s_cbranch_execz .LBB16_757
.LBB16_756:
	v_lshlrev_b32_e32 v20, 2, v0
	v_mov_b32_e32 v21, 0
	ds_read_b32 v20, v20 offset:5952
	ds_read_b32 v21, v21 offset:5980
	s_waitcnt lgkmcnt(0)
	v_fmac_f32_e32 v19, v20, v21
.LBB16_757:
	s_or_b64 exec, exec, s[16:17]
.LBB16_758:
	s_or_b64 exec, exec, s[12:13]
	s_and_saveexec_b64 s[10:11], s[36:37]
	s_cbranch_execz .LBB16_760
; %bb.759:
	v_mov_b32_e32 v20, 0
	ds_read_b32 v20, v20 offset:4940
	s_waitcnt lgkmcnt(0)
	v_mul_f32_e32 v19, v19, v20
	v_xor_b32_e32 v20, 0x80000000, v19
	ds_write_b32 v12, v20
.LBB16_760:
	s_or_b64 exec, exec, s[10:11]
	s_waitcnt lgkmcnt(0)
	s_barrier
	s_and_saveexec_b64 s[10:11], s[38:39]
	s_cbranch_execz .LBB16_762
; %bb.761:
	v_lshlrev_b32_e32 v20, 2, v6
	ds_read_b32 v20, v20 offset:4928
	ds_read_b32 v21, v12
	s_waitcnt lgkmcnt(0)
	v_fma_f32 v19, -v20, v21, v19
.LBB16_762:
	s_or_b64 exec, exec, s[10:11]
	s_barrier
	s_and_saveexec_b64 s[10:11], s[40:41]
	s_cbranch_execz .LBB16_764
; %bb.763:
	v_mov_b32_e32 v20, 0
	ds_read_b32 v20, v20 offset:4680
	s_waitcnt lgkmcnt(0)
	v_mul_f32_e32 v19, v19, v20
	v_xor_b32_e32 v20, 0x80000000, v19
	ds_write_b32 v12, v20
.LBB16_764:
	s_or_b64 exec, exec, s[10:11]
	s_waitcnt lgkmcnt(0)
	s_barrier
	s_and_saveexec_b64 s[10:11], s[42:43]
	s_cbranch_execz .LBB16_766
; %bb.765:
	v_lshlrev_b32_e32 v20, 2, v6
	ds_read_b32 v20, v20 offset:4672
	ds_read_b32 v21, v12
	s_waitcnt lgkmcnt(0)
	v_fma_f32 v19, -v20, v21, v19
.LBB16_766:
	s_or_b64 exec, exec, s[10:11]
	s_barrier
	s_and_saveexec_b64 s[10:11], s[44:45]
	s_cbranch_execz .LBB16_768
; %bb.767:
	v_mov_b32_e32 v20, 0
	ds_read_b32 v20, v20 offset:4420
	s_waitcnt lgkmcnt(0)
	v_mul_f32_e32 v19, v19, v20
	v_xor_b32_e32 v20, 0x80000000, v19
	ds_write_b32 v12, v20
.LBB16_768:
	s_or_b64 exec, exec, s[10:11]
	s_waitcnt lgkmcnt(0)
	s_barrier
	s_and_saveexec_b64 s[10:11], s[34:35]
	s_cbranch_execz .LBB16_770
; %bb.769:
	v_mov_b32_e32 v20, 0
	ds_read_b32 v20, v20 offset:4416
	ds_read_b32 v21, v12
	s_waitcnt lgkmcnt(0)
	v_fma_f32 v19, -v20, v21, v19
.LBB16_770:
	s_or_b64 exec, exec, s[10:11]
	s_barrier
	s_and_saveexec_b64 s[10:11], s[34:35]
	s_cbranch_execz .LBB16_772
; %bb.771:
	v_mov_b32_e32 v20, 0
	ds_read_b32 v20, v20 offset:4160
	s_waitcnt lgkmcnt(0)
	v_mul_f32_e32 v19, v19, v20
	v_xor_b32_e32 v20, 0x80000000, v19
	ds_write_b32 v12, v20
.LBB16_772:
	s_or_b64 exec, exec, s[10:11]
	s_waitcnt lgkmcnt(0)
	s_barrier
	s_barrier
	s_and_saveexec_b64 s[10:11], s[2:3]
; %bb.773:
	v_lshlrev_b32_e32 v20, 2, v6
	v_lshl_or_b32 v20, v11, 8, v20
	ds_write_b32 v20, v19 offset:5184
; %bb.774:
	s_or_b64 exec, exec, s[10:11]
	s_waitcnt lgkmcnt(0)
	s_barrier
	s_barrier
	s_and_saveexec_b64 s[10:11], vcc
	s_cbranch_execz .LBB16_776
; %bb.775:
	v_mov_b32_e32 v21, 0
	ds_read_b64 v[19:20], v21 offset:4936
	ds_read_b32 v22, v21 offset:4680
	s_waitcnt lgkmcnt(0)
	v_mul_f32_e32 v20, v22, v20
	v_mul_f32_e32 v19, v19, v20
	ds_write_b32 v21, v19 offset:4936
.LBB16_776:
	s_or_b64 exec, exec, s[10:11]
	v_mov_b32_e32 v19, 0
	s_waitcnt lgkmcnt(0)
	s_barrier
	buffer_wbinvl1_vol
	s_and_saveexec_b64 s[12:13], s[0:1]
	s_cbranch_execz .LBB16_780
; %bb.777:
	v_lshlrev_b32_e32 v19, 8, v3
	v_lshlrev_b32_e32 v20, 2, v1
	ds_read_b32 v21, v20 offset:4672
	ds_read_b32 v19, v19 offset:4680
	v_mov_b32_e32 v20, 0
	v_cmp_gt_u32_e64 s[10:11], 2, v5
	s_waitcnt lgkmcnt(0)
	v_fma_f32 v19, v21, v19, 0
	s_and_saveexec_b64 s[16:17], s[10:11]
	s_cbranch_execz .LBB16_779
; %bb.778:
	v_lshlrev_b32_e32 v21, 2, v0
	ds_read_b32 v21, v21 offset:4928
	ds_read_b32 v20, v20 offset:4940
	s_waitcnt lgkmcnt(0)
	v_fmac_f32_e32 v19, v21, v20
.LBB16_779:
	s_or_b64 exec, exec, s[16:17]
.LBB16_780:
	s_or_b64 exec, exec, s[12:13]
	s_and_saveexec_b64 s[10:11], s[30:31]
	s_cbranch_execz .LBB16_782
; %bb.781:
	v_mov_b32_e32 v20, 0
	ds_read_b32 v20, v20 offset:4420
	s_waitcnt lgkmcnt(0)
	v_mul_f32_e32 v19, v19, v20
	v_xor_b32_e32 v20, 0x80000000, v19
	ds_write_b32 v4, v20
.LBB16_782:
	s_or_b64 exec, exec, s[10:11]
	s_waitcnt lgkmcnt(0)
	s_barrier
	s_and_saveexec_b64 s[10:11], s[28:29]
	s_cbranch_execz .LBB16_784
; %bb.783:
	v_mov_b32_e32 v20, 0
	ds_read_b32 v20, v20 offset:4416
	ds_read_b32 v21, v4
	s_waitcnt lgkmcnt(0)
	v_fma_f32 v19, -v20, v21, v19
.LBB16_784:
	s_or_b64 exec, exec, s[10:11]
	s_barrier
	s_and_saveexec_b64 s[10:11], s[28:29]
	s_cbranch_execz .LBB16_786
; %bb.785:
	v_mov_b32_e32 v20, 0
	ds_read_b32 v20, v20 offset:4160
	s_waitcnt lgkmcnt(0)
	v_mul_f32_e32 v19, v19, v20
	v_xor_b32_e32 v20, 0x80000000, v19
	ds_write_b32 v4, v20
.LBB16_786:
	s_or_b64 exec, exec, s[10:11]
	s_waitcnt lgkmcnt(0)
	s_barrier
	s_barrier
	s_and_saveexec_b64 s[10:11], s[0:1]
; %bb.787:
	v_lshlrev_b32_e32 v20, 2, v1
	v_lshl_or_b32 v20, v3, 8, v20
	ds_write_b32 v20, v19 offset:4672
; %bb.788:
	s_or_b64 exec, exec, s[10:11]
	s_waitcnt lgkmcnt(0)
	s_barrier
	s_barrier
	s_and_saveexec_b64 s[10:11], vcc
	s_cbranch_execz .LBB16_790
; %bb.789:
	v_mov_b32_e32 v21, 0
	ds_read_b64 v[19:20], v21 offset:4416
	ds_read_b32 v22, v21 offset:4160
	s_waitcnt lgkmcnt(0)
	v_mul_f32_e32 v20, v22, v20
	v_mul_f32_e32 v19, v19, v20
	ds_write_b32 v21, v19 offset:4416
.LBB16_790:
	s_or_b64 exec, exec, s[10:11]
	v_mov_b32_e32 v19, 0
	s_waitcnt lgkmcnt(0)
	s_barrier
	buffer_wbinvl1_vol
	s_and_saveexec_b64 s[12:13], s[8:9]
	s_cbranch_execz .LBB16_818
; %bb.791:
	v_lshlrev_b32_e32 v21, 2, v16
	v_lshlrev_b32_e32 v20, 8, v17
	ds_read_b32 v19, v21 offset:4096
	ds_read_b32 v22, v20 offset:4160
	s_movk_i32 s10, 0xf0
	v_cmp_gt_u32_e64 s[10:11], s10, v5
	s_waitcnt lgkmcnt(0)
	v_fma_f32 v19, v19, v22, 0
	s_and_saveexec_b64 s[16:17], s[10:11]
	s_cbranch_execz .LBB16_793
; %bb.792:
	ds_read_b32 v22, v21 offset:4352
	ds_read_b32 v23, v20 offset:4164
	s_waitcnt lgkmcnt(0)
	v_fmac_f32_e32 v19, v22, v23
.LBB16_793:
	s_or_b64 exec, exec, s[16:17]
	s_movk_i32 s10, 0xe0
	v_cmp_gt_u32_e64 s[10:11], s10, v5
	s_and_saveexec_b64 s[16:17], s[10:11]
	s_cbranch_execz .LBB16_795
; %bb.794:
	ds_read_b32 v22, v21 offset:4608
	ds_read_b32 v23, v20 offset:4168
	s_waitcnt lgkmcnt(0)
	v_fmac_f32_e32 v19, v22, v23
.LBB16_795:
	s_or_b64 exec, exec, s[16:17]
	s_movk_i32 s10, 0xd0
	v_cmp_gt_u32_e64 s[10:11], s10, v5
	;; [unrolled: 11-line block ×10, first 2 shown]
	s_and_saveexec_b64 s[16:17], s[10:11]
	s_cbranch_execnz .LBB16_1179
; %bb.812:
	s_or_b64 exec, exec, s[16:17]
	s_and_saveexec_b64 s[10:11], s[14:15]
	s_cbranch_execnz .LBB16_1180
.LBB16_813:
	s_or_b64 exec, exec, s[10:11]
	v_cmp_gt_u32_e64 s[10:11], 48, v5
	s_and_saveexec_b64 s[16:17], s[10:11]
	s_cbranch_execnz .LBB16_1181
.LBB16_814:
	s_or_b64 exec, exec, s[16:17]
	v_cmp_gt_u32_e64 s[10:11], 32, v5
	s_and_saveexec_b64 s[16:17], s[10:11]
	s_cbranch_execnz .LBB16_1182
.LBB16_815:
	s_or_b64 exec, exec, s[16:17]
	v_cmp_gt_u32_e64 s[10:11], 16, v5
	s_and_saveexec_b64 s[16:17], s[10:11]
	s_cbranch_execz .LBB16_817
.LBB16_816:
	v_lshlrev_b32_e32 v20, 2, v0
	v_mov_b32_e32 v21, 0
	ds_read_b32 v20, v20 offset:7936
	ds_read_b32 v21, v21 offset:8060
	s_waitcnt lgkmcnt(0)
	v_fmac_f32_e32 v19, v20, v21
.LBB16_817:
	s_or_b64 exec, exec, s[16:17]
.LBB16_818:
	s_or_b64 exec, exec, s[12:13]
	s_mov_b64 s[10:11], exec
	v_readlane_b32 s12, v27, 1
	v_readlane_b32 s13, v27, 2
	s_and_b64 s[12:13], s[10:11], s[12:13]
	s_mov_b64 exec, s[12:13]
	s_cbranch_execz .LBB16_820
; %bb.819:
	v_mov_b32_e32 v20, 0
	ds_read_b32 v20, v20 offset:3900
	s_waitcnt lgkmcnt(0)
	v_mul_f32_e32 v19, v19, v20
	v_xor_b32_e32 v20, 0x80000000, v19
	ds_write_b32 v18, v20
.LBB16_820:
	s_or_b64 exec, exec, s[10:11]
	s_waitcnt lgkmcnt(0)
	s_barrier
	s_mov_b64 s[10:11], exec
	v_readlane_b32 s12, v27, 3
	v_readlane_b32 s13, v27, 4
	s_and_b64 s[12:13], s[10:11], s[12:13]
	s_mov_b64 exec, s[12:13]
	s_cbranch_execz .LBB16_822
; %bb.821:
	v_lshlrev_b32_e32 v20, 2, v16
	ds_read_b32 v20, v20 offset:3840
	ds_read_b32 v21, v18
	s_waitcnt lgkmcnt(0)
	v_fma_f32 v19, -v20, v21, v19
.LBB16_822:
	s_or_b64 exec, exec, s[10:11]
	s_barrier
	s_mov_b64 s[10:11], exec
	v_readlane_b32 s12, v27, 5
	v_readlane_b32 s13, v27, 6
	s_and_b64 s[12:13], s[10:11], s[12:13]
	s_mov_b64 exec, s[12:13]
	s_cbranch_execz .LBB16_824
; %bb.823:
	v_mov_b32_e32 v20, 0
	ds_read_b32 v20, v20 offset:3640
	s_waitcnt lgkmcnt(0)
	v_mul_f32_e32 v19, v19, v20
	v_xor_b32_e32 v20, 0x80000000, v19
	ds_write_b32 v18, v20
.LBB16_824:
	s_or_b64 exec, exec, s[10:11]
	s_waitcnt lgkmcnt(0)
	s_barrier
	s_mov_b64 s[10:11], exec
	v_readlane_b32 s12, v27, 7
	v_readlane_b32 s13, v27, 8
	s_and_b64 s[12:13], s[10:11], s[12:13]
	s_mov_b64 exec, s[12:13]
	s_cbranch_execz .LBB16_826
; %bb.825:
	v_lshlrev_b32_e32 v20, 2, v16
	ds_read_b32 v20, v20 offset:3584
	ds_read_b32 v21, v18
	s_waitcnt lgkmcnt(0)
	v_fma_f32 v19, -v20, v21, v19
.LBB16_826:
	s_or_b64 exec, exec, s[10:11]
	s_barrier
	s_mov_b64 s[10:11], exec
	v_readlane_b32 s12, v27, 9
	v_readlane_b32 s13, v27, 10
	s_and_b64 s[12:13], s[10:11], s[12:13]
	s_mov_b64 exec, s[12:13]
	s_cbranch_execz .LBB16_828
; %bb.827:
	v_mov_b32_e32 v20, 0
	ds_read_b32 v20, v20 offset:3380
	s_waitcnt lgkmcnt(0)
	v_mul_f32_e32 v19, v19, v20
	v_xor_b32_e32 v20, 0x80000000, v19
	ds_write_b32 v18, v20
.LBB16_828:
	s_or_b64 exec, exec, s[10:11]
	s_waitcnt lgkmcnt(0)
	s_barrier
	s_mov_b64 s[10:11], exec
	v_readlane_b32 s12, v27, 11
	v_readlane_b32 s13, v27, 12
	s_and_b64 s[12:13], s[10:11], s[12:13]
	s_mov_b64 exec, s[12:13]
	s_cbranch_execz .LBB16_830
; %bb.829:
	v_lshlrev_b32_e32 v20, 2, v16
	ds_read_b32 v20, v20 offset:3328
	ds_read_b32 v21, v18
	s_waitcnt lgkmcnt(0)
	v_fma_f32 v19, -v20, v21, v19
.LBB16_830:
	s_or_b64 exec, exec, s[10:11]
	s_barrier
	s_mov_b64 s[10:11], exec
	v_readlane_b32 s12, v27, 13
	v_readlane_b32 s13, v27, 14
	s_and_b64 s[12:13], s[10:11], s[12:13]
	s_mov_b64 exec, s[12:13]
	s_cbranch_execz .LBB16_832
; %bb.831:
	v_mov_b32_e32 v20, 0
	ds_read_b32 v20, v20 offset:3120
	s_waitcnt lgkmcnt(0)
	v_mul_f32_e32 v19, v19, v20
	v_xor_b32_e32 v20, 0x80000000, v19
	ds_write_b32 v18, v20
.LBB16_832:
	s_or_b64 exec, exec, s[10:11]
	s_waitcnt lgkmcnt(0)
	s_barrier
	s_mov_b64 s[10:11], exec
	v_readlane_b32 s12, v27, 15
	v_readlane_b32 s13, v27, 16
	s_and_b64 s[12:13], s[10:11], s[12:13]
	s_mov_b64 exec, s[12:13]
	s_cbranch_execz .LBB16_834
; %bb.833:
	v_lshlrev_b32_e32 v20, 2, v16
	ds_read_b32 v20, v20 offset:3072
	ds_read_b32 v21, v18
	s_waitcnt lgkmcnt(0)
	v_fma_f32 v19, -v20, v21, v19
.LBB16_834:
	s_or_b64 exec, exec, s[10:11]
	s_barrier
	s_mov_b64 s[10:11], exec
	v_readlane_b32 s12, v27, 17
	v_readlane_b32 s13, v27, 18
	s_and_b64 s[12:13], s[10:11], s[12:13]
	s_mov_b64 exec, s[12:13]
	s_cbranch_execz .LBB16_836
; %bb.835:
	v_mov_b32_e32 v20, 0
	ds_read_b32 v20, v20 offset:2860
	s_waitcnt lgkmcnt(0)
	v_mul_f32_e32 v19, v19, v20
	v_xor_b32_e32 v20, 0x80000000, v19
	ds_write_b32 v18, v20
.LBB16_836:
	s_or_b64 exec, exec, s[10:11]
	s_waitcnt lgkmcnt(0)
	s_barrier
	s_mov_b64 s[10:11], exec
	v_readlane_b32 s12, v27, 19
	v_readlane_b32 s13, v27, 20
	s_and_b64 s[12:13], s[10:11], s[12:13]
	s_mov_b64 exec, s[12:13]
	s_cbranch_execz .LBB16_838
; %bb.837:
	v_lshlrev_b32_e32 v20, 2, v16
	ds_read_b32 v20, v20 offset:2816
	ds_read_b32 v21, v18
	s_waitcnt lgkmcnt(0)
	v_fma_f32 v19, -v20, v21, v19
.LBB16_838:
	s_or_b64 exec, exec, s[10:11]
	s_barrier
	s_mov_b64 s[10:11], exec
	v_readlane_b32 s12, v27, 21
	v_readlane_b32 s13, v27, 22
	s_and_b64 s[12:13], s[10:11], s[12:13]
	s_mov_b64 exec, s[12:13]
	s_cbranch_execz .LBB16_840
; %bb.839:
	v_mov_b32_e32 v20, 0
	ds_read_b32 v20, v20 offset:2600
	s_waitcnt lgkmcnt(0)
	v_mul_f32_e32 v19, v19, v20
	v_xor_b32_e32 v20, 0x80000000, v19
	ds_write_b32 v18, v20
.LBB16_840:
	s_or_b64 exec, exec, s[10:11]
	s_waitcnt lgkmcnt(0)
	s_barrier
	s_mov_b64 s[10:11], exec
	v_readlane_b32 s12, v27, 23
	v_readlane_b32 s13, v27, 24
	s_and_b64 s[12:13], s[10:11], s[12:13]
	s_mov_b64 exec, s[12:13]
	s_cbranch_execz .LBB16_842
; %bb.841:
	v_lshlrev_b32_e32 v20, 2, v16
	ds_read_b32 v20, v20 offset:2560
	ds_read_b32 v21, v18
	s_waitcnt lgkmcnt(0)
	v_fma_f32 v19, -v20, v21, v19
.LBB16_842:
	s_or_b64 exec, exec, s[10:11]
	s_barrier
	s_mov_b64 s[10:11], exec
	v_readlane_b32 s12, v27, 25
	v_readlane_b32 s13, v27, 26
	s_and_b64 s[12:13], s[10:11], s[12:13]
	s_mov_b64 exec, s[12:13]
	s_cbranch_execz .LBB16_844
; %bb.843:
	v_mov_b32_e32 v20, 0
	ds_read_b32 v20, v20 offset:2340
	s_waitcnt lgkmcnt(0)
	v_mul_f32_e32 v19, v19, v20
	v_xor_b32_e32 v20, 0x80000000, v19
	ds_write_b32 v18, v20
.LBB16_844:
	s_or_b64 exec, exec, s[10:11]
	s_waitcnt lgkmcnt(0)
	s_barrier
	s_mov_b64 s[10:11], exec
	v_readlane_b32 s12, v27, 27
	v_readlane_b32 s13, v27, 28
	s_and_b64 s[12:13], s[10:11], s[12:13]
	s_mov_b64 exec, s[12:13]
	s_cbranch_execz .LBB16_846
; %bb.845:
	v_lshlrev_b32_e32 v20, 2, v16
	ds_read_b32 v20, v20 offset:2304
	ds_read_b32 v21, v18
	s_waitcnt lgkmcnt(0)
	v_fma_f32 v19, -v20, v21, v19
.LBB16_846:
	s_or_b64 exec, exec, s[10:11]
	s_barrier
	s_mov_b64 s[10:11], exec
	v_readlane_b32 s12, v27, 29
	v_readlane_b32 s13, v27, 30
	s_and_b64 s[12:13], s[10:11], s[12:13]
	s_mov_b64 exec, s[12:13]
	s_cbranch_execz .LBB16_848
; %bb.847:
	v_mov_b32_e32 v20, 0
	ds_read_b32 v20, v20 offset:2080
	s_waitcnt lgkmcnt(0)
	v_mul_f32_e32 v19, v19, v20
	v_xor_b32_e32 v20, 0x80000000, v19
	ds_write_b32 v18, v20
.LBB16_848:
	s_or_b64 exec, exec, s[10:11]
	s_waitcnt lgkmcnt(0)
	s_barrier
	s_mov_b64 s[10:11], exec
	v_readlane_b32 s12, v27, 31
	v_readlane_b32 s13, v27, 32
	s_and_b64 s[12:13], s[10:11], s[12:13]
	s_mov_b64 exec, s[12:13]
	s_cbranch_execz .LBB16_850
; %bb.849:
	v_lshlrev_b32_e32 v20, 2, v16
	ds_read_b32 v20, v20 offset:2048
	ds_read_b32 v21, v18
	s_waitcnt lgkmcnt(0)
	v_fma_f32 v19, -v20, v21, v19
.LBB16_850:
	s_or_b64 exec, exec, s[10:11]
	s_barrier
	s_mov_b64 s[10:11], exec
	v_readlane_b32 s12, v27, 33
	v_readlane_b32 s13, v27, 34
	s_and_b64 s[12:13], s[10:11], s[12:13]
	s_mov_b64 exec, s[12:13]
	s_cbranch_execz .LBB16_852
; %bb.851:
	v_mov_b32_e32 v20, 0
	ds_read_b32 v20, v20 offset:1820
	s_waitcnt lgkmcnt(0)
	v_mul_f32_e32 v19, v19, v20
	v_xor_b32_e32 v20, 0x80000000, v19
	ds_write_b32 v18, v20
.LBB16_852:
	s_or_b64 exec, exec, s[10:11]
	s_waitcnt lgkmcnt(0)
	s_barrier
	s_mov_b64 s[10:11], exec
	v_readlane_b32 s12, v27, 35
	v_readlane_b32 s13, v27, 36
	s_and_b64 s[12:13], s[10:11], s[12:13]
	s_mov_b64 exec, s[12:13]
	s_cbranch_execz .LBB16_854
; %bb.853:
	v_lshlrev_b32_e32 v20, 2, v16
	ds_read_b32 v20, v20 offset:1792
	ds_read_b32 v21, v18
	s_waitcnt lgkmcnt(0)
	v_fma_f32 v19, -v20, v21, v19
.LBB16_854:
	s_or_b64 exec, exec, s[10:11]
	s_barrier
	s_mov_b64 s[10:11], exec
	v_readlane_b32 s12, v27, 37
	v_readlane_b32 s13, v27, 38
	s_and_b64 s[12:13], s[10:11], s[12:13]
	s_mov_b64 exec, s[12:13]
	s_cbranch_execz .LBB16_856
; %bb.855:
	v_mov_b32_e32 v20, 0
	ds_read_b32 v20, v20 offset:1560
	s_waitcnt lgkmcnt(0)
	v_mul_f32_e32 v19, v19, v20
	v_xor_b32_e32 v20, 0x80000000, v19
	ds_write_b32 v18, v20
.LBB16_856:
	s_or_b64 exec, exec, s[10:11]
	s_waitcnt lgkmcnt(0)
	s_barrier
	s_mov_b64 s[10:11], exec
	v_readlane_b32 s12, v27, 39
	v_readlane_b32 s13, v27, 40
	s_and_b64 s[12:13], s[10:11], s[12:13]
	s_mov_b64 exec, s[12:13]
	s_cbranch_execz .LBB16_858
; %bb.857:
	v_lshlrev_b32_e32 v20, 2, v16
	ds_read_b32 v20, v20 offset:1536
	ds_read_b32 v21, v18
	s_waitcnt lgkmcnt(0)
	v_fma_f32 v19, -v20, v21, v19
.LBB16_858:
	s_or_b64 exec, exec, s[10:11]
	s_barrier
	s_mov_b64 s[10:11], exec
	v_readlane_b32 s12, v27, 41
	v_readlane_b32 s13, v27, 42
	s_and_b64 s[12:13], s[10:11], s[12:13]
	s_mov_b64 exec, s[12:13]
	s_cbranch_execz .LBB16_860
; %bb.859:
	v_mov_b32_e32 v20, 0
	ds_read_b32 v20, v20 offset:1300
	s_waitcnt lgkmcnt(0)
	v_mul_f32_e32 v19, v19, v20
	v_xor_b32_e32 v20, 0x80000000, v19
	ds_write_b32 v18, v20
.LBB16_860:
	s_or_b64 exec, exec, s[10:11]
	s_waitcnt lgkmcnt(0)
	s_barrier
	s_mov_b64 s[10:11], exec
	v_readlane_b32 s12, v27, 43
	v_readlane_b32 s13, v27, 44
	s_and_b64 s[12:13], s[10:11], s[12:13]
	s_mov_b64 exec, s[12:13]
	s_cbranch_execz .LBB16_862
; %bb.861:
	v_lshlrev_b32_e32 v20, 2, v16
	ds_read_b32 v20, v20 offset:1280
	ds_read_b32 v21, v18
	s_waitcnt lgkmcnt(0)
	v_fma_f32 v19, -v20, v21, v19
.LBB16_862:
	s_or_b64 exec, exec, s[10:11]
	s_barrier
	s_mov_b64 s[10:11], exec
	v_readlane_b32 s12, v27, 45
	v_readlane_b32 s13, v27, 46
	s_and_b64 s[12:13], s[10:11], s[12:13]
	s_mov_b64 exec, s[12:13]
	s_cbranch_execz .LBB16_864
; %bb.863:
	v_mov_b32_e32 v20, 0
	ds_read_b32 v20, v20 offset:1040
	s_waitcnt lgkmcnt(0)
	v_mul_f32_e32 v19, v19, v20
	v_xor_b32_e32 v20, 0x80000000, v19
	ds_write_b32 v18, v20
.LBB16_864:
	s_or_b64 exec, exec, s[10:11]
	s_waitcnt lgkmcnt(0)
	s_barrier
	s_and_saveexec_b64 s[10:11], s[74:75]
	s_cbranch_execz .LBB16_866
; %bb.865:
	v_lshlrev_b32_e32 v20, 2, v16
	ds_read_b32 v20, v20 offset:1024
	ds_read_b32 v21, v18
	s_waitcnt lgkmcnt(0)
	v_fma_f32 v19, -v20, v21, v19
.LBB16_866:
	s_or_b64 exec, exec, s[10:11]
	s_barrier
	s_and_saveexec_b64 s[10:11], s[80:81]
	s_cbranch_execz .LBB16_868
; %bb.867:
	v_mov_b32_e32 v20, 0
	ds_read_b32 v20, v20 offset:780
	s_waitcnt lgkmcnt(0)
	v_mul_f32_e32 v19, v19, v20
	v_xor_b32_e32 v20, 0x80000000, v19
	ds_write_b32 v18, v20
.LBB16_868:
	s_or_b64 exec, exec, s[10:11]
	s_waitcnt lgkmcnt(0)
	s_barrier
	s_and_saveexec_b64 s[10:11], s[82:83]
	s_cbranch_execz .LBB16_870
; %bb.869:
	v_lshlrev_b32_e32 v20, 2, v16
	ds_read_b32 v20, v20 offset:768
	ds_read_b32 v21, v18
	s_waitcnt lgkmcnt(0)
	v_fma_f32 v19, -v20, v21, v19
.LBB16_870:
	s_or_b64 exec, exec, s[10:11]
	s_barrier
	s_and_saveexec_b64 s[10:11], s[84:85]
	;; [unrolled: 24-line block ×3, first 2 shown]
	s_cbranch_execz .LBB16_876
; %bb.875:
	v_mov_b32_e32 v20, 0
	ds_read_b32 v20, v20 offset:260
	s_waitcnt lgkmcnt(0)
	v_mul_f32_e32 v19, v19, v20
	v_xor_b32_e32 v20, 0x80000000, v19
	ds_write_b32 v18, v20
.LBB16_876:
	s_or_b64 exec, exec, s[10:11]
	s_waitcnt lgkmcnt(0)
	s_barrier
	s_and_saveexec_b64 s[10:11], s[94:95]
	s_cbranch_execz .LBB16_878
; %bb.877:
	v_mov_b32_e32 v20, 0
	ds_read_b32 v20, v20 offset:256
	ds_read_b32 v21, v18
	s_waitcnt lgkmcnt(0)
	v_fma_f32 v19, -v20, v21, v19
.LBB16_878:
	s_or_b64 exec, exec, s[10:11]
	s_barrier
	s_and_saveexec_b64 s[10:11], s[94:95]
	s_cbranch_execz .LBB16_880
; %bb.879:
	v_mov_b32_e32 v20, 0
	ds_read_b32 v20, v20
	s_waitcnt lgkmcnt(0)
	v_mul_f32_e32 v19, v19, v20
	v_xor_b32_e32 v20, 0x80000000, v19
	ds_write_b32 v18, v20
.LBB16_880:
	s_or_b64 exec, exec, s[10:11]
	s_waitcnt lgkmcnt(0)
	s_barrier
	s_barrier
	s_and_saveexec_b64 s[10:11], s[8:9]
; %bb.881:
	v_lshlrev_b32_e32 v16, 2, v16
	v_lshl_or_b32 v16, v17, 8, v16
	ds_write_b32 v16, v19 offset:4096
; %bb.882:
	s_or_b64 exec, exec, s[10:11]
	s_waitcnt lgkmcnt(0)
	s_barrier
	s_barrier
	s_and_saveexec_b64 s[8:9], vcc
	s_cbranch_execz .LBB16_884
; %bb.883:
	v_mov_b32_e32 v18, 0
	ds_read_b64 v[16:17], v18 offset:3896
	ds_read_b32 v19, v18 offset:3640
	s_waitcnt lgkmcnt(0)
	v_mul_f32_e32 v17, v19, v17
	v_mul_f32_e32 v16, v16, v17
	ds_write_b32 v18, v16 offset:3896
.LBB16_884:
	s_or_b64 exec, exec, s[8:9]
	v_mov_b32_e32 v16, 0
	s_waitcnt lgkmcnt(0)
	s_barrier
	buffer_wbinvl1_vol
	s_and_saveexec_b64 s[10:11], s[0:1]
	s_cbranch_execz .LBB16_888
; %bb.885:
	v_lshlrev_b32_e32 v16, 8, v3
	v_lshlrev_b32_e32 v17, 2, v1
	ds_read_b32 v18, v17 offset:3632
	ds_read_b32 v16, v16 offset:3640
	v_mov_b32_e32 v17, 0
	v_cmp_gt_u32_e64 s[8:9], 2, v5
	s_waitcnt lgkmcnt(0)
	v_fma_f32 v16, v18, v16, 0
	s_and_saveexec_b64 s[12:13], s[8:9]
	s_cbranch_execz .LBB16_887
; %bb.886:
	v_lshlrev_b32_e32 v18, 2, v0
	ds_read_b32 v18, v18 offset:3888
	ds_read_b32 v17, v17 offset:3900
	s_waitcnt lgkmcnt(0)
	v_fmac_f32_e32 v16, v18, v17
.LBB16_887:
	s_or_b64 exec, exec, s[12:13]
.LBB16_888:
	s_or_b64 exec, exec, s[10:11]
	s_and_saveexec_b64 s[8:9], s[30:31]
	s_cbranch_execz .LBB16_890
; %bb.889:
	v_mov_b32_e32 v17, 0
	ds_read_b32 v17, v17 offset:3380
	s_waitcnt lgkmcnt(0)
	v_mul_f32_e32 v16, v16, v17
	v_xor_b32_e32 v17, 0x80000000, v16
	ds_write_b32 v4, v17
.LBB16_890:
	s_or_b64 exec, exec, s[8:9]
	s_waitcnt lgkmcnt(0)
	s_barrier
	s_and_saveexec_b64 s[8:9], s[28:29]
	s_cbranch_execz .LBB16_892
; %bb.891:
	v_mov_b32_e32 v17, 0
	ds_read_b32 v17, v17 offset:3376
	ds_read_b32 v18, v4
	s_waitcnt lgkmcnt(0)
	v_fma_f32 v16, -v17, v18, v16
.LBB16_892:
	s_or_b64 exec, exec, s[8:9]
	s_barrier
	s_and_saveexec_b64 s[8:9], s[28:29]
	s_cbranch_execz .LBB16_894
; %bb.893:
	v_mov_b32_e32 v17, 0
	ds_read_b32 v17, v17 offset:3120
	s_waitcnt lgkmcnt(0)
	v_mul_f32_e32 v16, v16, v17
	v_xor_b32_e32 v17, 0x80000000, v16
	ds_write_b32 v4, v17
.LBB16_894:
	s_or_b64 exec, exec, s[8:9]
	s_waitcnt lgkmcnt(0)
	s_barrier
	s_barrier
	s_and_saveexec_b64 s[8:9], s[0:1]
; %bb.895:
	v_lshlrev_b32_e32 v17, 2, v1
	v_lshl_or_b32 v17, v3, 8, v17
	ds_write_b32 v17, v16 offset:3632
; %bb.896:
	s_or_b64 exec, exec, s[8:9]
	s_waitcnt lgkmcnt(0)
	s_barrier
	s_barrier
	s_and_saveexec_b64 s[8:9], vcc
	s_cbranch_execz .LBB16_898
; %bb.897:
	v_mov_b32_e32 v18, 0
	ds_read_b64 v[16:17], v18 offset:3376
	ds_read_b32 v19, v18 offset:3120
	s_waitcnt lgkmcnt(0)
	v_mul_f32_e32 v17, v19, v17
	v_mul_f32_e32 v16, v16, v17
	ds_write_b32 v18, v16 offset:3376
.LBB16_898:
	s_or_b64 exec, exec, s[8:9]
	v_mov_b32_e32 v16, 0
	s_waitcnt lgkmcnt(0)
	s_barrier
	buffer_wbinvl1_vol
	s_and_saveexec_b64 s[10:11], s[2:3]
	s_cbranch_execz .LBB16_904
; %bb.899:
	v_lshlrev_b32_e32 v18, 2, v6
	v_lshlrev_b32_e32 v17, 8, v11
	ds_read_b32 v16, v18 offset:3104
	ds_read_b32 v19, v17 offset:3120
	v_cmp_gt_u32_e64 s[8:9], 12, v5
	s_waitcnt lgkmcnt(0)
	v_fma_f32 v16, v16, v19, 0
	s_and_saveexec_b64 s[12:13], s[8:9]
	s_cbranch_execnz .LBB16_1183
; %bb.900:
	s_or_b64 exec, exec, s[12:13]
	v_cmp_gt_u32_e64 s[8:9], 8, v5
	s_and_saveexec_b64 s[12:13], s[8:9]
	s_cbranch_execnz .LBB16_1184
.LBB16_901:
	s_or_b64 exec, exec, s[12:13]
	v_cmp_gt_u32_e64 s[8:9], 4, v5
	s_and_saveexec_b64 s[12:13], s[8:9]
	s_cbranch_execz .LBB16_903
.LBB16_902:
	v_lshlrev_b32_e32 v17, 2, v0
	v_mov_b32_e32 v18, 0
	ds_read_b32 v17, v17 offset:3872
	ds_read_b32 v18, v18 offset:3900
	s_waitcnt lgkmcnt(0)
	v_fmac_f32_e32 v16, v17, v18
.LBB16_903:
	s_or_b64 exec, exec, s[12:13]
.LBB16_904:
	s_or_b64 exec, exec, s[10:11]
	s_and_saveexec_b64 s[8:9], s[36:37]
	s_cbranch_execz .LBB16_906
; %bb.905:
	v_mov_b32_e32 v17, 0
	ds_read_b32 v17, v17 offset:2860
	s_waitcnt lgkmcnt(0)
	v_mul_f32_e32 v16, v16, v17
	v_xor_b32_e32 v17, 0x80000000, v16
	ds_write_b32 v12, v17
.LBB16_906:
	s_or_b64 exec, exec, s[8:9]
	s_waitcnt lgkmcnt(0)
	s_barrier
	s_and_saveexec_b64 s[8:9], s[38:39]
	s_cbranch_execz .LBB16_908
; %bb.907:
	v_lshlrev_b32_e32 v17, 2, v6
	ds_read_b32 v17, v17 offset:2848
	ds_read_b32 v18, v12
	s_waitcnt lgkmcnt(0)
	v_fma_f32 v16, -v17, v18, v16
.LBB16_908:
	s_or_b64 exec, exec, s[8:9]
	s_barrier
	s_and_saveexec_b64 s[8:9], s[40:41]
	s_cbranch_execz .LBB16_910
; %bb.909:
	v_mov_b32_e32 v17, 0
	ds_read_b32 v17, v17 offset:2600
	s_waitcnt lgkmcnt(0)
	v_mul_f32_e32 v16, v16, v17
	v_xor_b32_e32 v17, 0x80000000, v16
	ds_write_b32 v12, v17
.LBB16_910:
	s_or_b64 exec, exec, s[8:9]
	s_waitcnt lgkmcnt(0)
	s_barrier
	s_and_saveexec_b64 s[8:9], s[42:43]
	s_cbranch_execz .LBB16_912
; %bb.911:
	v_lshlrev_b32_e32 v17, 2, v6
	ds_read_b32 v17, v17 offset:2592
	ds_read_b32 v18, v12
	s_waitcnt lgkmcnt(0)
	v_fma_f32 v16, -v17, v18, v16
.LBB16_912:
	s_or_b64 exec, exec, s[8:9]
	s_barrier
	s_and_saveexec_b64 s[8:9], s[44:45]
	s_cbranch_execz .LBB16_914
; %bb.913:
	v_mov_b32_e32 v17, 0
	ds_read_b32 v17, v17 offset:2340
	s_waitcnt lgkmcnt(0)
	v_mul_f32_e32 v16, v16, v17
	v_xor_b32_e32 v17, 0x80000000, v16
	ds_write_b32 v12, v17
.LBB16_914:
	s_or_b64 exec, exec, s[8:9]
	s_waitcnt lgkmcnt(0)
	s_barrier
	s_and_saveexec_b64 s[8:9], s[34:35]
	s_cbranch_execz .LBB16_916
; %bb.915:
	v_mov_b32_e32 v17, 0
	ds_read_b32 v17, v17 offset:2336
	ds_read_b32 v18, v12
	s_waitcnt lgkmcnt(0)
	v_fma_f32 v16, -v17, v18, v16
.LBB16_916:
	s_or_b64 exec, exec, s[8:9]
	s_barrier
	s_and_saveexec_b64 s[8:9], s[34:35]
	s_cbranch_execz .LBB16_918
; %bb.917:
	v_mov_b32_e32 v17, 0
	ds_read_b32 v17, v17 offset:2080
	s_waitcnt lgkmcnt(0)
	v_mul_f32_e32 v16, v16, v17
	v_xor_b32_e32 v17, 0x80000000, v16
	ds_write_b32 v12, v17
.LBB16_918:
	s_or_b64 exec, exec, s[8:9]
	s_waitcnt lgkmcnt(0)
	s_barrier
	s_barrier
	s_and_saveexec_b64 s[8:9], s[2:3]
; %bb.919:
	v_lshlrev_b32_e32 v17, 2, v6
	v_lshl_or_b32 v17, v11, 8, v17
	ds_write_b32 v17, v16 offset:3104
; %bb.920:
	s_or_b64 exec, exec, s[8:9]
	s_waitcnt lgkmcnt(0)
	s_barrier
	s_barrier
	s_and_saveexec_b64 s[8:9], vcc
	s_cbranch_execz .LBB16_922
; %bb.921:
	v_mov_b32_e32 v18, 0
	ds_read_b64 v[16:17], v18 offset:2856
	ds_read_b32 v19, v18 offset:2600
	s_waitcnt lgkmcnt(0)
	v_mul_f32_e32 v17, v19, v17
	v_mul_f32_e32 v16, v16, v17
	ds_write_b32 v18, v16 offset:2856
.LBB16_922:
	s_or_b64 exec, exec, s[8:9]
	v_mov_b32_e32 v16, 0
	s_waitcnt lgkmcnt(0)
	s_barrier
	buffer_wbinvl1_vol
	s_and_saveexec_b64 s[10:11], s[0:1]
	s_cbranch_execz .LBB16_926
; %bb.923:
	v_lshlrev_b32_e32 v16, 8, v3
	v_lshlrev_b32_e32 v17, 2, v1
	ds_read_b32 v18, v17 offset:2592
	ds_read_b32 v16, v16 offset:2600
	v_mov_b32_e32 v17, 0
	v_cmp_gt_u32_e64 s[8:9], 2, v5
	s_waitcnt lgkmcnt(0)
	v_fma_f32 v16, v18, v16, 0
	s_and_saveexec_b64 s[12:13], s[8:9]
	s_cbranch_execz .LBB16_925
; %bb.924:
	v_lshlrev_b32_e32 v18, 2, v0
	ds_read_b32 v18, v18 offset:2848
	ds_read_b32 v17, v17 offset:2860
	s_waitcnt lgkmcnt(0)
	v_fmac_f32_e32 v16, v18, v17
.LBB16_925:
	s_or_b64 exec, exec, s[12:13]
.LBB16_926:
	s_or_b64 exec, exec, s[10:11]
	s_and_saveexec_b64 s[8:9], s[30:31]
	s_cbranch_execz .LBB16_928
; %bb.927:
	v_mov_b32_e32 v17, 0
	ds_read_b32 v17, v17 offset:2340
	s_waitcnt lgkmcnt(0)
	v_mul_f32_e32 v16, v16, v17
	v_xor_b32_e32 v17, 0x80000000, v16
	ds_write_b32 v4, v17
.LBB16_928:
	s_or_b64 exec, exec, s[8:9]
	s_waitcnt lgkmcnt(0)
	s_barrier
	s_and_saveexec_b64 s[8:9], s[28:29]
	s_cbranch_execz .LBB16_930
; %bb.929:
	v_mov_b32_e32 v17, 0
	ds_read_b32 v17, v17 offset:2336
	ds_read_b32 v18, v4
	s_waitcnt lgkmcnt(0)
	v_fma_f32 v16, -v17, v18, v16
.LBB16_930:
	s_or_b64 exec, exec, s[8:9]
	s_barrier
	s_and_saveexec_b64 s[8:9], s[28:29]
	s_cbranch_execz .LBB16_932
; %bb.931:
	v_mov_b32_e32 v17, 0
	ds_read_b32 v17, v17 offset:2080
	s_waitcnt lgkmcnt(0)
	v_mul_f32_e32 v16, v16, v17
	v_xor_b32_e32 v17, 0x80000000, v16
	ds_write_b32 v4, v17
.LBB16_932:
	s_or_b64 exec, exec, s[8:9]
	s_waitcnt lgkmcnt(0)
	s_barrier
	s_barrier
	s_and_saveexec_b64 s[8:9], s[0:1]
; %bb.933:
	v_lshlrev_b32_e32 v17, 2, v1
	v_lshl_or_b32 v17, v3, 8, v17
	ds_write_b32 v17, v16 offset:2592
; %bb.934:
	s_or_b64 exec, exec, s[8:9]
	s_waitcnt lgkmcnt(0)
	s_barrier
	s_barrier
	s_and_saveexec_b64 s[8:9], vcc
	s_cbranch_execz .LBB16_936
; %bb.935:
	v_mov_b32_e32 v18, 0
	ds_read_b64 v[16:17], v18 offset:2336
	ds_read_b32 v19, v18 offset:2080
	s_waitcnt lgkmcnt(0)
	v_mul_f32_e32 v17, v19, v17
	v_mul_f32_e32 v16, v16, v17
	ds_write_b32 v18, v16 offset:2336
.LBB16_936:
	s_or_b64 exec, exec, s[8:9]
	v_mov_b32_e32 v16, 0
	s_waitcnt lgkmcnt(0)
	s_barrier
	buffer_wbinvl1_vol
	s_and_saveexec_b64 s[10:11], s[14:15]
	s_cbranch_execz .LBB16_946
; %bb.937:
	v_lshlrev_b32_e32 v18, 2, v13
	v_lshlrev_b32_e32 v17, 8, v14
	ds_read_b32 v16, v18 offset:2048
	ds_read_b32 v19, v17 offset:2080
	v_cmp_gt_u32_e64 s[8:9], 56, v5
	s_waitcnt lgkmcnt(0)
	v_fma_f32 v16, v16, v19, 0
	s_and_saveexec_b64 s[12:13], s[8:9]
	s_cbranch_execnz .LBB16_1185
; %bb.938:
	s_or_b64 exec, exec, s[12:13]
	v_cmp_gt_u32_e64 s[8:9], 48, v5
	s_and_saveexec_b64 s[12:13], s[8:9]
	s_cbranch_execnz .LBB16_1186
.LBB16_939:
	s_or_b64 exec, exec, s[12:13]
	v_cmp_gt_u32_e64 s[8:9], 40, v5
	s_and_saveexec_b64 s[12:13], s[8:9]
	s_cbranch_execnz .LBB16_1187
.LBB16_940:
	s_or_b64 exec, exec, s[12:13]
	v_cmp_gt_u32_e64 s[8:9], 32, v5
	s_and_saveexec_b64 s[12:13], s[8:9]
	s_cbranch_execnz .LBB16_1188
.LBB16_941:
	s_or_b64 exec, exec, s[12:13]
	v_cmp_gt_u32_e64 s[8:9], 24, v5
	s_and_saveexec_b64 s[12:13], s[8:9]
	s_cbranch_execnz .LBB16_1189
.LBB16_942:
	s_or_b64 exec, exec, s[12:13]
	s_and_saveexec_b64 s[8:9], s[2:3]
	s_cbranch_execnz .LBB16_1190
.LBB16_943:
	s_or_b64 exec, exec, s[8:9]
	v_cmp_gt_u32_e64 s[8:9], 8, v5
	s_and_saveexec_b64 s[12:13], s[8:9]
	s_cbranch_execz .LBB16_945
.LBB16_944:
	v_lshlrev_b32_e32 v17, 2, v0
	v_mov_b32_e32 v18, 0
	ds_read_b32 v17, v17 offset:3840
	ds_read_b32 v18, v18 offset:3900
	s_waitcnt lgkmcnt(0)
	v_fmac_f32_e32 v16, v17, v18
.LBB16_945:
	s_or_b64 exec, exec, s[12:13]
.LBB16_946:
	s_or_b64 exec, exec, s[10:11]
	s_and_saveexec_b64 s[8:9], s[46:47]
	s_cbranch_execz .LBB16_948
; %bb.947:
	v_mov_b32_e32 v17, 0
	ds_read_b32 v17, v17 offset:1820
	s_waitcnt lgkmcnt(0)
	v_mul_f32_e32 v16, v16, v17
	v_xor_b32_e32 v17, 0x80000000, v16
	ds_write_b32 v15, v17
.LBB16_948:
	s_or_b64 exec, exec, s[8:9]
	s_waitcnt lgkmcnt(0)
	s_barrier
	s_and_saveexec_b64 s[8:9], s[48:49]
	s_cbranch_execz .LBB16_950
; %bb.949:
	v_lshlrev_b32_e32 v17, 2, v13
	ds_read_b32 v17, v17 offset:1792
	ds_read_b32 v18, v15
	s_waitcnt lgkmcnt(0)
	v_fma_f32 v16, -v17, v18, v16
.LBB16_950:
	s_or_b64 exec, exec, s[8:9]
	s_barrier
	s_and_saveexec_b64 s[8:9], s[50:51]
	s_cbranch_execz .LBB16_952
; %bb.951:
	v_mov_b32_e32 v17, 0
	ds_read_b32 v17, v17 offset:1560
	s_waitcnt lgkmcnt(0)
	v_mul_f32_e32 v16, v16, v17
	v_xor_b32_e32 v17, 0x80000000, v16
	ds_write_b32 v15, v17
.LBB16_952:
	s_or_b64 exec, exec, s[8:9]
	s_waitcnt lgkmcnt(0)
	s_barrier
	s_and_saveexec_b64 s[8:9], s[52:53]
	s_cbranch_execz .LBB16_954
; %bb.953:
	v_lshlrev_b32_e32 v17, 2, v13
	ds_read_b32 v17, v17 offset:1536
	ds_read_b32 v18, v15
	s_waitcnt lgkmcnt(0)
	v_fma_f32 v16, -v17, v18, v16
.LBB16_954:
	s_or_b64 exec, exec, s[8:9]
	s_barrier
	;; [unrolled: 24-line block ×6, first 2 shown]
	s_and_saveexec_b64 s[8:9], s[72:73]
	s_cbranch_execz .LBB16_972
; %bb.971:
	v_mov_b32_e32 v17, 0
	ds_read_b32 v17, v17 offset:260
	s_waitcnt lgkmcnt(0)
	v_mul_f32_e32 v16, v16, v17
	v_xor_b32_e32 v17, 0x80000000, v16
	ds_write_b32 v15, v17
.LBB16_972:
	s_or_b64 exec, exec, s[8:9]
	s_waitcnt lgkmcnt(0)
	s_barrier
	s_and_saveexec_b64 s[8:9], s[56:57]
	s_cbranch_execz .LBB16_974
; %bb.973:
	v_mov_b32_e32 v17, 0
	ds_read_b32 v17, v17 offset:256
	ds_read_b32 v18, v15
	s_waitcnt lgkmcnt(0)
	v_fma_f32 v16, -v17, v18, v16
.LBB16_974:
	s_or_b64 exec, exec, s[8:9]
	s_barrier
	s_and_saveexec_b64 s[8:9], s[56:57]
	s_cbranch_execz .LBB16_976
; %bb.975:
	v_mov_b32_e32 v17, 0
	ds_read_b32 v17, v17
	s_waitcnt lgkmcnt(0)
	v_mul_f32_e32 v16, v16, v17
	v_xor_b32_e32 v17, 0x80000000, v16
	ds_write_b32 v15, v17
.LBB16_976:
	s_or_b64 exec, exec, s[8:9]
	s_waitcnt lgkmcnt(0)
	s_barrier
	s_barrier
	s_and_saveexec_b64 s[8:9], s[14:15]
; %bb.977:
	v_lshlrev_b32_e32 v13, 2, v13
	v_lshl_or_b32 v13, v14, 8, v13
	ds_write_b32 v13, v16 offset:2048
; %bb.978:
	s_or_b64 exec, exec, s[8:9]
	s_waitcnt lgkmcnt(0)
	s_barrier
	s_barrier
	s_and_saveexec_b64 s[8:9], vcc
	s_cbranch_execz .LBB16_980
; %bb.979:
	v_mov_b32_e32 v15, 0
	ds_read_b64 v[13:14], v15 offset:1816
	ds_read_b32 v16, v15 offset:1560
	s_waitcnt lgkmcnt(0)
	v_mul_f32_e32 v14, v16, v14
	v_mul_f32_e32 v13, v13, v14
	ds_write_b32 v15, v13 offset:1816
.LBB16_980:
	s_or_b64 exec, exec, s[8:9]
	v_mov_b32_e32 v13, 0
	s_waitcnt lgkmcnt(0)
	s_barrier
	buffer_wbinvl1_vol
	s_and_saveexec_b64 s[10:11], s[0:1]
	s_cbranch_execz .LBB16_984
; %bb.981:
	v_lshlrev_b32_e32 v13, 8, v3
	v_lshlrev_b32_e32 v14, 2, v1
	ds_read_b32 v15, v14 offset:1552
	ds_read_b32 v13, v13 offset:1560
	v_mov_b32_e32 v14, 0
	v_cmp_gt_u32_e64 s[8:9], 2, v5
	s_waitcnt lgkmcnt(0)
	v_fma_f32 v13, v15, v13, 0
	s_and_saveexec_b64 s[12:13], s[8:9]
	s_cbranch_execz .LBB16_983
; %bb.982:
	v_lshlrev_b32_e32 v15, 2, v0
	ds_read_b32 v15, v15 offset:1808
	ds_read_b32 v14, v14 offset:1820
	s_waitcnt lgkmcnt(0)
	v_fmac_f32_e32 v13, v15, v14
.LBB16_983:
	s_or_b64 exec, exec, s[12:13]
.LBB16_984:
	s_or_b64 exec, exec, s[10:11]
	s_and_saveexec_b64 s[8:9], s[30:31]
	s_cbranch_execz .LBB16_986
; %bb.985:
	v_mov_b32_e32 v14, 0
	ds_read_b32 v14, v14 offset:1300
	s_waitcnt lgkmcnt(0)
	v_mul_f32_e32 v13, v13, v14
	v_xor_b32_e32 v14, 0x80000000, v13
	ds_write_b32 v4, v14
.LBB16_986:
	s_or_b64 exec, exec, s[8:9]
	s_waitcnt lgkmcnt(0)
	s_barrier
	s_and_saveexec_b64 s[8:9], s[28:29]
	s_cbranch_execz .LBB16_988
; %bb.987:
	v_mov_b32_e32 v14, 0
	ds_read_b32 v14, v14 offset:1296
	ds_read_b32 v15, v4
	s_waitcnt lgkmcnt(0)
	v_fma_f32 v13, -v14, v15, v13
.LBB16_988:
	s_or_b64 exec, exec, s[8:9]
	s_barrier
	s_and_saveexec_b64 s[8:9], s[28:29]
	s_cbranch_execz .LBB16_990
; %bb.989:
	v_mov_b32_e32 v14, 0
	ds_read_b32 v14, v14 offset:1040
	s_waitcnt lgkmcnt(0)
	v_mul_f32_e32 v13, v13, v14
	v_xor_b32_e32 v14, 0x80000000, v13
	ds_write_b32 v4, v14
.LBB16_990:
	s_or_b64 exec, exec, s[8:9]
	s_waitcnt lgkmcnt(0)
	s_barrier
	s_barrier
	s_and_saveexec_b64 s[8:9], s[0:1]
; %bb.991:
	v_lshlrev_b32_e32 v14, 2, v1
	v_lshl_or_b32 v14, v3, 8, v14
	ds_write_b32 v14, v13 offset:1552
; %bb.992:
	s_or_b64 exec, exec, s[8:9]
	s_waitcnt lgkmcnt(0)
	s_barrier
	s_barrier
	s_and_saveexec_b64 s[8:9], vcc
	s_cbranch_execz .LBB16_994
; %bb.993:
	v_mov_b32_e32 v15, 0
	ds_read_b64 v[13:14], v15 offset:1296
	ds_read_b32 v16, v15 offset:1040
	s_waitcnt lgkmcnt(0)
	v_mul_f32_e32 v14, v16, v14
	v_mul_f32_e32 v13, v13, v14
	ds_write_b32 v15, v13 offset:1296
.LBB16_994:
	s_or_b64 exec, exec, s[8:9]
	v_mov_b32_e32 v13, 0
	s_waitcnt lgkmcnt(0)
	s_barrier
	buffer_wbinvl1_vol
	s_and_saveexec_b64 s[10:11], s[2:3]
	s_cbranch_execz .LBB16_1000
; %bb.995:
	v_lshlrev_b32_e32 v15, 2, v6
	v_lshlrev_b32_e32 v14, 8, v11
	ds_read_b32 v13, v15 offset:1024
	ds_read_b32 v16, v14 offset:1040
	v_cmp_gt_u32_e64 s[8:9], 12, v5
	s_waitcnt lgkmcnt(0)
	v_fma_f32 v13, v13, v16, 0
	s_and_saveexec_b64 s[12:13], s[8:9]
	s_cbranch_execnz .LBB16_1191
; %bb.996:
	s_or_b64 exec, exec, s[12:13]
	v_cmp_gt_u32_e64 s[8:9], 8, v5
	s_and_saveexec_b64 s[12:13], s[8:9]
	s_cbranch_execnz .LBB16_1192
.LBB16_997:
	s_or_b64 exec, exec, s[12:13]
	v_cmp_gt_u32_e64 s[8:9], 4, v5
	s_and_saveexec_b64 s[12:13], s[8:9]
	s_cbranch_execz .LBB16_999
.LBB16_998:
	v_lshlrev_b32_e32 v14, 2, v0
	v_mov_b32_e32 v15, 0
	ds_read_b32 v14, v14 offset:1792
	ds_read_b32 v15, v15 offset:1820
	s_waitcnt lgkmcnt(0)
	v_fmac_f32_e32 v13, v14, v15
.LBB16_999:
	s_or_b64 exec, exec, s[12:13]
.LBB16_1000:
	s_or_b64 exec, exec, s[10:11]
	s_and_saveexec_b64 s[8:9], s[36:37]
	s_cbranch_execz .LBB16_1002
; %bb.1001:
	v_mov_b32_e32 v14, 0
	ds_read_b32 v14, v14 offset:780
	s_waitcnt lgkmcnt(0)
	v_mul_f32_e32 v13, v13, v14
	v_xor_b32_e32 v14, 0x80000000, v13
	ds_write_b32 v12, v14
.LBB16_1002:
	s_or_b64 exec, exec, s[8:9]
	s_waitcnt lgkmcnt(0)
	s_barrier
	s_and_saveexec_b64 s[8:9], s[38:39]
	s_load_dword s36, s[4:5], 0x6c
	s_cbranch_execz .LBB16_1004
; %bb.1003:
	v_lshlrev_b32_e32 v14, 2, v6
	ds_read_b32 v14, v14 offset:768
	ds_read_b32 v15, v12
	s_waitcnt lgkmcnt(0)
	v_fma_f32 v13, -v14, v15, v13
.LBB16_1004:
	s_or_b64 exec, exec, s[8:9]
	s_waitcnt lgkmcnt(0)
	s_barrier
	s_and_saveexec_b64 s[8:9], s[40:41]
	s_cbranch_execz .LBB16_1006
; %bb.1005:
	v_mov_b32_e32 v14, 0
	ds_read_b32 v14, v14 offset:520
	s_waitcnt lgkmcnt(0)
	v_mul_f32_e32 v13, v13, v14
	v_xor_b32_e32 v14, 0x80000000, v13
	ds_write_b32 v12, v14
.LBB16_1006:
	s_or_b64 exec, exec, s[8:9]
	s_waitcnt lgkmcnt(0)
	s_barrier
	s_and_saveexec_b64 s[8:9], s[42:43]
	s_cbranch_execz .LBB16_1008
; %bb.1007:
	v_lshlrev_b32_e32 v14, 2, v6
	ds_read_b32 v14, v14 offset:512
	ds_read_b32 v15, v12
	s_waitcnt lgkmcnt(0)
	v_fma_f32 v13, -v14, v15, v13
.LBB16_1008:
	s_or_b64 exec, exec, s[8:9]
	s_barrier
	s_and_saveexec_b64 s[8:9], s[44:45]
	s_cbranch_execz .LBB16_1010
; %bb.1009:
	v_mov_b32_e32 v14, 0
	ds_read_b32 v14, v14 offset:260
	s_waitcnt lgkmcnt(0)
	v_mul_f32_e32 v13, v13, v14
	v_xor_b32_e32 v14, 0x80000000, v13
	ds_write_b32 v12, v14
.LBB16_1010:
	s_or_b64 exec, exec, s[8:9]
	s_waitcnt lgkmcnt(0)
	s_barrier
	s_and_saveexec_b64 s[8:9], s[34:35]
	s_cbranch_execz .LBB16_1012
; %bb.1011:
	v_mov_b32_e32 v14, 0
	ds_read_b32 v14, v14 offset:256
	ds_read_b32 v15, v12
	s_waitcnt lgkmcnt(0)
	v_fma_f32 v13, -v14, v15, v13
.LBB16_1012:
	s_or_b64 exec, exec, s[8:9]
	s_barrier
	s_and_saveexec_b64 s[8:9], s[34:35]
	s_cbranch_execz .LBB16_1014
; %bb.1013:
	v_mov_b32_e32 v14, 0
	ds_read_b32 v14, v14
	s_waitcnt lgkmcnt(0)
	v_mul_f32_e32 v13, v13, v14
	v_xor_b32_e32 v14, 0x80000000, v13
	ds_write_b32 v12, v14
.LBB16_1014:
	s_or_b64 exec, exec, s[8:9]
	s_waitcnt lgkmcnt(0)
	s_barrier
	s_barrier
	s_and_saveexec_b64 s[8:9], s[2:3]
; %bb.1015:
	v_lshlrev_b32_e32 v6, 2, v6
	v_lshl_or_b32 v6, v11, 8, v6
	ds_write_b32 v6, v13 offset:1024
; %bb.1016:
	s_or_b64 exec, exec, s[8:9]
	s_waitcnt lgkmcnt(0)
	s_barrier
	s_barrier
	s_and_saveexec_b64 s[2:3], vcc
	s_cbranch_execz .LBB16_1018
; %bb.1017:
	v_mov_b32_e32 v6, 0
	ds_read_b64 v[11:12], v6 offset:776
	ds_read_b32 v13, v6 offset:520
	s_waitcnt lgkmcnt(0)
	v_mul_f32_e32 v12, v13, v12
	v_mul_f32_e32 v11, v11, v12
	ds_write_b32 v6, v11 offset:776
.LBB16_1018:
	s_or_b64 exec, exec, s[2:3]
	v_mov_b32_e32 v6, 0
	s_waitcnt lgkmcnt(0)
	s_barrier
	buffer_wbinvl1_vol
	s_and_saveexec_b64 s[8:9], s[0:1]
	s_cbranch_execz .LBB16_1022
; %bb.1019:
	v_lshlrev_b32_e32 v6, 8, v3
	v_lshlrev_b32_e32 v11, 2, v1
	ds_read_b32 v12, v11 offset:512
	ds_read_b32 v6, v6 offset:520
	v_mov_b32_e32 v11, 0
	v_cmp_gt_u32_e64 s[2:3], 2, v5
	s_waitcnt lgkmcnt(0)
	v_fma_f32 v6, v12, v6, 0
	s_and_saveexec_b64 s[10:11], s[2:3]
	s_cbranch_execz .LBB16_1021
; %bb.1020:
	v_lshlrev_b32_e32 v5, 2, v0
	ds_read_b32 v5, v5 offset:768
	ds_read_b32 v11, v11 offset:780
	s_waitcnt lgkmcnt(0)
	v_fmac_f32_e32 v6, v5, v11
.LBB16_1021:
	s_or_b64 exec, exec, s[10:11]
.LBB16_1022:
	s_or_b64 exec, exec, s[8:9]
	s_and_saveexec_b64 s[2:3], s[30:31]
	s_cbranch_execz .LBB16_1024
; %bb.1023:
	v_mov_b32_e32 v5, 0
	ds_read_b32 v5, v5 offset:260
	s_waitcnt lgkmcnt(0)
	v_mul_f32_e32 v6, v6, v5
	v_xor_b32_e32 v5, 0x80000000, v6
	ds_write_b32 v4, v5
.LBB16_1024:
	s_or_b64 exec, exec, s[2:3]
	s_waitcnt lgkmcnt(0)
	s_barrier
	s_and_saveexec_b64 s[2:3], s[28:29]
	s_cbranch_execz .LBB16_1026
; %bb.1025:
	v_mov_b32_e32 v5, 0
	ds_read_b32 v5, v5 offset:256
	ds_read_b32 v11, v4
	s_waitcnt lgkmcnt(0)
	v_fma_f32 v6, -v5, v11, v6
.LBB16_1026:
	s_or_b64 exec, exec, s[2:3]
	s_barrier
	s_and_saveexec_b64 s[2:3], s[28:29]
	s_cbranch_execz .LBB16_1028
; %bb.1027:
	v_mov_b32_e32 v5, 0
	ds_read_b32 v5, v5
	s_waitcnt lgkmcnt(0)
	v_mul_f32_e32 v6, v6, v5
	v_xor_b32_e32 v5, 0x80000000, v6
	ds_write_b32 v4, v5
.LBB16_1028:
	s_or_b64 exec, exec, s[2:3]
	s_waitcnt lgkmcnt(0)
	s_barrier
	s_barrier
	s_and_saveexec_b64 s[2:3], s[0:1]
; %bb.1029:
	v_lshlrev_b32_e32 v1, 2, v1
	v_lshl_or_b32 v1, v3, 8, v1
	ds_write_b32 v1, v6 offset:512
; %bb.1030:
	s_or_b64 exec, exec, s[2:3]
	s_waitcnt lgkmcnt(0)
	s_barrier
	s_barrier
	s_and_saveexec_b64 s[0:1], vcc
	s_cbranch_execz .LBB16_1032
; %bb.1031:
	v_mov_b32_e32 v1, 0
	ds_read_b64 v[3:4], v1 offset:256
	ds_read_b32 v5, v1
	s_waitcnt lgkmcnt(0)
	v_mul_f32_e32 v4, v5, v4
	v_mul_f32_e32 v3, v3, v4
	ds_write_b32 v1, v3 offset:256
.LBB16_1032:
	s_or_b64 exec, exec, s[0:1]
.LBB16_1033:
	s_load_dwordx8 s[8:15], s[4:5], 0x30
	s_load_dwordx2 s[16:17], s[4:5], 0x50
	v_cmp_le_i32_e32 vcc, s76, v0
	v_mov_b32_e32 v5, 0
	v_add_u32_e32 v3, s33, v0
	s_waitcnt lgkmcnt(0)
	s_mul_i32 s1, s15, s24
	s_mul_hi_u32 s2, s14, s24
	s_mul_i32 s0, s14, s24
	s_add_i32 s1, s2, s1
	s_lshl_b64 s[0:1], s[0:1], 2
	s_add_u32 s2, s8, s0
	s_addc_u32 s3, s9, s1
	s_lshl_b64 s[0:1], s[10:11], 2
	s_add_u32 s38, s2, s0
	s_addc_u32 s39, s3, s1
	s_and_b64 s[14:15], vcc, s[18:19]
	v_cmp_eq_u32_e64 s[0:1], 0, v2
	s_xor_b64 s[2:3], s[14:15], -1
	s_and_b64 s[8:9], s[0:1], s[2:3]
	s_barrier
	s_and_saveexec_b64 s[2:3], s[8:9]
	s_cbranch_execz .LBB16_1035
; %bb.1034:
	v_ashrrev_i32_e32 v1, 31, v3
	v_mul_lo_u32 v6, s13, v3
	v_mad_u64_u32 v[4:5], s[8:9], s12, v3, 0
	v_mul_lo_u32 v1, s12, v1
	s_load_dword s4, s[4:5], 0x28
	v_add3_u32 v5, v5, v1, v6
	v_lshlrev_b64 v[4:5], 2, v[4:5]
	v_mov_b32_e32 v1, s39
	v_add_co_u32_e32 v4, vcc, s38, v4
	v_addc_co_u32_e32 v5, vcc, v1, v5, vcc
	global_load_dword v1, v[4:5], off
	s_waitcnt vmcnt(0) lgkmcnt(0)
	v_mul_f32_e64 v5, v1, -s4
.LBB16_1035:
	s_or_b64 exec, exec, s[2:3]
	s_and_b32 s2, 0xffff, s36
	v_mad_u32_u24 v1, v2, s2, v0
	s_cmp_lt_i32 s6, 1
	v_cmp_eq_u32_e64 s[2:3], 0, v1
	s_cbranch_scc1 .LBB16_1061
; %bb.1036:
	v_ashrrev_i32_e32 v4, 31, v3
	v_cmp_gt_i32_e64 s[10:11], s26, v3
	v_lshlrev_b64 v[3:4], 2, v[3:4]
	s_lshl_b64 s[4:5], s[24:25], 2
	s_add_u32 s28, s16, s4
	v_mov_b32_e32 v11, 0x5000
	v_mov_b32_e32 v13, s78
	v_add_co_u32_e32 v12, vcc, s77, v3
	s_mul_i32 s8, s21, 0xc0
	s_mul_hi_u32 s9, s20, 0xc0
	s_mov_b32 s40, 0
	s_addc_u32 s29, s17, s5
	v_cmp_gt_u32_e64 s[4:5], 64, v1
	v_lshl_add_u32 v6, v1, 2, v11
	v_lshl_or_b32 v11, v2, 2, v11
	s_add_i32 s79, s79, 1
	v_addc_co_u32_e32 v13, vcc, v13, v4, vcc
	s_lshl_b64 s[30:31], s[20:21], 6
	s_lshl_b64 s[34:35], s[20:21], 7
	s_add_i32 s41, s9, s8
	s_mul_i32 s42, s20, 0xc0
	v_mov_b32_e32 v15, -1
	v_mov_b32_e32 v14, 0
	s_branch .LBB16_1039
.LBB16_1037:                            ;   in Loop: Header=BB16_1039 Depth=1
	ds_read_b32 v3, v11 offset:192
	s_waitcnt vmcnt(0) lgkmcnt(0)
	v_fmac_f32_e32 v5, v16, v3
.LBB16_1038:                            ;   in Loop: Header=BB16_1039 Depth=1
	s_or_b64 exec, exec, s[36:37]
	s_add_i32 s40, s40, 1
	s_cmp_eq_u32 s40, s6
	s_cbranch_scc1 .LBB16_1061
.LBB16_1039:                            ; =>This Loop Header: Depth=1
                                        ;     Child Loop BB16_1041 Depth 2
	v_cmp_gt_i32_e32 vcc, s40, v15
	s_and_b64 s[36:37], s[2:3], vcc
	s_and_saveexec_b64 s[8:9], s[36:37]
	s_cbranch_execz .LBB16_1042
; %bb.1040:                             ;   in Loop: Header=BB16_1039 Depth=1
	global_load_dword v15, v14, s[28:29]
	s_waitcnt vmcnt(0)
	v_cmp_le_i32_e32 vcc, s40, v15
	s_cbranch_vccnz .LBB16_1042
.LBB16_1041:                            ;   Parent Loop BB16_1039 Depth=1
                                        ; =>  This Inner Loop Header: Depth=2
	buffer_wbinvl1_vol
	global_load_dword v15, v14, s[28:29]
	s_waitcnt vmcnt(0)
	v_cmp_gt_i32_e32 vcc, s40, v15
	s_cbranch_vccnz .LBB16_1041
.LBB16_1042:                            ;   in Loop: Header=BB16_1039 Depth=1
	s_or_b64 exec, exec, s[8:9]
	s_sub_i32 s43, s7, s40
	s_lshl_b32 s44, s43, 6
	buffer_wbinvl1_vol
	s_barrier
	s_and_saveexec_b64 s[8:9], s[4:5]
	s_cbranch_execz .LBB16_1046
; %bb.1043:                             ;   in Loop: Header=BB16_1039 Depth=1
	s_ashr_i32 s36, s44, 31
	v_mov_b32_e32 v4, s36
	v_or_b32_e32 v3, s44, v1
	v_cmp_gt_i64_e32 vcc, s[26:27], v[3:4]
	v_mov_b32_e32 v16, 0
	s_and_saveexec_b64 s[36:37], vcc
	s_cbranch_execz .LBB16_1045
; %bb.1044:                             ;   in Loop: Header=BB16_1039 Depth=1
	v_mul_lo_u32 v16, v4, s12
	v_mul_lo_u32 v17, v3, s13
	v_mad_u64_u32 v[3:4], s[46:47], v3, s12, 0
	v_add3_u32 v4, v4, v17, v16
	v_lshlrev_b64 v[3:4], 2, v[3:4]
	v_mov_b32_e32 v16, s39
	v_add_co_u32_e32 v3, vcc, s38, v3
	v_addc_co_u32_e32 v4, vcc, v16, v4, vcc
	global_load_dword v16, v[3:4], off
.LBB16_1045:                            ;   in Loop: Header=BB16_1039 Depth=1
	s_or_b64 exec, exec, s[36:37]
	s_waitcnt vmcnt(0)
	ds_write_b32 v6, v16
.LBB16_1046:                            ;   in Loop: Header=BB16_1039 Depth=1
	s_or_b64 exec, exec, s[8:9]
	v_add_u32_e32 v16, s44, v2
	v_ashrrev_i32_e32 v17, 31, v16
	v_mul_lo_u32 v18, s21, v16
	v_mad_u64_u32 v[3:4], s[8:9], s20, v16, 0
	v_mul_lo_u32 v17, s20, v17
	s_cmp_lg_u32 s43, s79
	s_cselect_b64 s[8:9], -1, 0
	s_waitcnt lgkmcnt(0)
	v_add3_u32 v4, v4, v17, v18
	v_lshlrev_b64 v[3:4], 2, v[3:4]
	v_cndmask_b32_e64 v17, 0, 1, s[8:9]
	v_add_co_u32_e32 v3, vcc, v12, v3
	v_addc_co_u32_e32 v4, vcc, v13, v4, vcc
	v_cmp_gt_i32_e32 vcc, s26, v16
	s_and_b64 s[44:45], s[10:11], vcc
	v_cmp_ne_u32_e64 s[8:9], 1, v17
	s_barrier
	s_and_saveexec_b64 s[36:37], s[44:45]
	s_cbranch_execz .LBB16_1050
; %bb.1047:                             ;   in Loop: Header=BB16_1039 Depth=1
	s_and_b64 vcc, exec, s[8:9]
	v_mov_b32_e32 v17, v7
	s_cbranch_vccnz .LBB16_1049
; %bb.1048:                             ;   in Loop: Header=BB16_1039 Depth=1
	global_load_dword v17, v[3:4], off
.LBB16_1049:                            ;   in Loop: Header=BB16_1039 Depth=1
	ds_read_b32 v18, v11
	s_waitcnt vmcnt(0) lgkmcnt(0)
	v_fmac_f32_e32 v5, v17, v18
.LBB16_1050:                            ;   in Loop: Header=BB16_1039 Depth=1
	s_or_b64 exec, exec, s[36:37]
	v_add_u32_e32 v17, 16, v16
	v_cmp_gt_i32_e32 vcc, s26, v17
	s_and_b64 s[44:45], s[10:11], vcc
	s_and_saveexec_b64 s[36:37], s[44:45]
	s_cbranch_execz .LBB16_1054
; %bb.1051:                             ;   in Loop: Header=BB16_1039 Depth=1
	s_and_b64 vcc, exec, s[8:9]
	v_mov_b32_e32 v17, v8
	s_cbranch_vccnz .LBB16_1053
; %bb.1052:                             ;   in Loop: Header=BB16_1039 Depth=1
	v_mov_b32_e32 v18, s31
	v_add_co_u32_e32 v17, vcc, s30, v3
	v_addc_co_u32_e32 v18, vcc, v4, v18, vcc
	global_load_dword v17, v[17:18], off
.LBB16_1053:                            ;   in Loop: Header=BB16_1039 Depth=1
	ds_read_b32 v18, v11 offset:64
	s_waitcnt vmcnt(0) lgkmcnt(0)
	v_fmac_f32_e32 v5, v17, v18
.LBB16_1054:                            ;   in Loop: Header=BB16_1039 Depth=1
	s_or_b64 exec, exec, s[36:37]
	v_add_u32_e32 v17, 32, v16
	v_cmp_gt_i32_e32 vcc, s26, v17
	s_and_b64 s[44:45], s[10:11], vcc
	s_and_saveexec_b64 s[36:37], s[44:45]
	s_cbranch_execz .LBB16_1058
; %bb.1055:                             ;   in Loop: Header=BB16_1039 Depth=1
	s_and_b64 vcc, exec, s[8:9]
	v_mov_b32_e32 v17, v10
	s_cbranch_vccnz .LBB16_1057
; %bb.1056:                             ;   in Loop: Header=BB16_1039 Depth=1
	v_mov_b32_e32 v18, s35
	v_add_co_u32_e32 v17, vcc, s34, v3
	v_addc_co_u32_e32 v18, vcc, v4, v18, vcc
	global_load_dword v17, v[17:18], off
.LBB16_1057:                            ;   in Loop: Header=BB16_1039 Depth=1
	ds_read_b32 v18, v11 offset:128
	s_waitcnt vmcnt(0) lgkmcnt(0)
	v_fmac_f32_e32 v5, v17, v18
.LBB16_1058:                            ;   in Loop: Header=BB16_1039 Depth=1
	s_or_b64 exec, exec, s[36:37]
	v_add_u32_e32 v16, 48, v16
	v_cmp_gt_i32_e32 vcc, s26, v16
	s_and_b64 s[44:45], s[10:11], vcc
	s_and_saveexec_b64 s[36:37], s[44:45]
	s_cbranch_execz .LBB16_1038
; %bb.1059:                             ;   in Loop: Header=BB16_1039 Depth=1
	s_and_b64 vcc, exec, s[8:9]
	v_mov_b32_e32 v16, v9
	s_cbranch_vccnz .LBB16_1037
; %bb.1060:                             ;   in Loop: Header=BB16_1039 Depth=1
	v_mov_b32_e32 v16, s41
	v_add_co_u32_e32 v3, vcc, s42, v3
	v_addc_co_u32_e32 v4, vcc, v4, v16, vcc
	global_load_dword v16, v[3:4], off
	s_branch .LBB16_1037
.LBB16_1061:
	v_lshl_add_u32 v3, v2, 6, v0
	s_xor_b64 s[2:3], s[18:19], -1
	s_xor_b64 s[4:5], s[22:23], -1
	v_lshlrev_b32_e32 v3, 2, v3
	ds_write_b32 v3, v5 offset:16384
	s_waitcnt lgkmcnt(0)
	s_barrier
	s_and_saveexec_b64 s[6:7], s[0:1]
	s_cbranch_execz .LBB16_1063
; %bb.1062:
	v_lshlrev_b32_e32 v16, 2, v0
	ds_read2st64_b32 v[6:7], v16 offset0:65 offset1:66
	ds_read2st64_b32 v[8:9], v16 offset0:67 offset1:68
	;; [unrolled: 1-line block ×5, first 2 shown]
	s_waitcnt lgkmcnt(4)
	v_add_f32_e32 v4, v5, v6
	v_add_f32_e32 v4, v4, v7
	s_waitcnt lgkmcnt(3)
	v_add_f32_e32 v4, v4, v8
	v_add_f32_e32 v4, v4, v9
	;; [unrolled: 3-line block ×4, first 2 shown]
	ds_read2st64_b32 v[4:5], v16 offset0:75 offset1:76
	ds_read2st64_b32 v[6:7], v16 offset0:77 offset1:78
	ds_read_b32 v9, v16 offset:20224
	s_waitcnt lgkmcnt(3)
	v_add_f32_e32 v8, v8, v14
	v_add_f32_e32 v8, v8, v15
	s_waitcnt lgkmcnt(2)
	v_add_f32_e32 v4, v8, v4
	v_add_f32_e32 v4, v4, v5
	;; [unrolled: 3-line block ×3, first 2 shown]
	s_waitcnt lgkmcnt(0)
	v_add_f32_e32 v4, v4, v9
	v_cndmask_b32_e64 v5, -v4, 0, s[14:15]
.LBB16_1063:
	s_or_b64 exec, exec, s[6:7]
	s_andn2_b64 vcc, exec, s[4:5]
	s_cbranch_vccnz .LBB16_1076
; %bb.1064:
	v_mov_b32_e32 v4, 0x5000
	v_lshl_or_b32 v6, v2, 2, v4
	s_and_saveexec_b64 s[4:5], s[0:1]
; %bb.1065:
	v_lshl_add_u32 v4, v0, 2, v6
	ds_write_b32 v4, v5
; %bb.1066:
	s_or_b64 exec, exec, s[4:5]
	v_cmp_le_u32_e32 vcc, v0, v2
	v_mov_b32_e32 v4, 0
	s_waitcnt lgkmcnt(0)
	s_barrier
	s_and_saveexec_b64 s[4:5], vcc
	s_cbranch_execz .LBB16_1068
; %bb.1067:
	ds_read_b32 v4, v3
	ds_read_b32 v7, v6
	s_waitcnt lgkmcnt(0)
	v_fma_f32 v4, v4, v7, 0
.LBB16_1068:
	s_or_b64 exec, exec, s[4:5]
	v_add_u32_e32 v7, 16, v2
	v_cmp_le_u32_e32 vcc, v0, v7
	s_and_saveexec_b64 s[4:5], vcc
	s_cbranch_execz .LBB16_1070
; %bb.1069:
	ds_read_b32 v7, v3 offset:4096
	ds_read_b32 v8, v6 offset:64
	s_waitcnt lgkmcnt(0)
	v_fmac_f32_e32 v4, v7, v8
.LBB16_1070:
	s_or_b64 exec, exec, s[4:5]
	v_add_u32_e32 v7, 32, v2
	v_cmp_le_u32_e32 vcc, v0, v7
	s_and_saveexec_b64 s[4:5], vcc
	s_cbranch_execz .LBB16_1072
; %bb.1071:
	ds_read_b32 v7, v3 offset:8192
	ds_read_b32 v8, v6 offset:128
	s_waitcnt lgkmcnt(0)
	v_fmac_f32_e32 v4, v7, v8
.LBB16_1072:
	s_or_b64 exec, exec, s[4:5]
	v_add_u32_e32 v2, 48, v2
	v_add_u32_e32 v7, 0x4000, v3
	v_cmp_le_u32_e32 vcc, v0, v2
	s_and_saveexec_b64 s[4:5], vcc
	s_cbranch_execz .LBB16_1074
; %bb.1073:
	ds_read_b32 v2, v3 offset:12288
	ds_read_b32 v3, v6 offset:192
	s_waitcnt lgkmcnt(0)
	v_fmac_f32_e32 v4, v2, v3
.LBB16_1074:
	s_or_b64 exec, exec, s[4:5]
	s_mov_b64 s[6:7], 0
	s_mov_b64 s[4:5], 0
	ds_write_b32 v7, v4
	s_waitcnt lgkmcnt(0)
	s_barrier
                                        ; implicit-def: $vgpr2
	s_and_saveexec_b64 s[8:9], s[0:1]
	s_cbranch_execz .LBB16_1139
; %bb.1075:
	v_lshlrev_b32_e32 v12, 2, v0
	ds_read2st64_b32 v[2:3], v12 offset0:65 offset1:66
	ds_read2st64_b32 v[6:7], v12 offset0:67 offset1:68
	;; [unrolled: 1-line block ×4, first 2 shown]
	s_mov_b64 s[4:5], exec
	s_waitcnt lgkmcnt(3)
	v_add_f32_e32 v2, v4, v2
	v_add_f32_e32 v2, v3, v2
	s_waitcnt lgkmcnt(2)
	v_add_f32_e32 v2, v6, v2
	v_add_f32_e32 v2, v7, v2
	;; [unrolled: 3-line block ×3, first 2 shown]
	s_waitcnt lgkmcnt(0)
	v_add_f32_e32 v4, v10, v2
	ds_read2st64_b32 v[2:3], v12 offset0:73 offset1:74
	v_add_f32_e32 v4, v11, v4
	ds_read2st64_b32 v[6:7], v12 offset0:75 offset1:76
	ds_read2st64_b32 v[8:9], v12 offset0:77 offset1:78
	ds_read_b32 v10, v12 offset:20224
	s_waitcnt lgkmcnt(3)
	v_add_f32_e32 v2, v2, v4
	v_add_f32_e32 v2, v3, v2
	s_waitcnt lgkmcnt(2)
	v_add_f32_e32 v2, v6, v2
	v_add_f32_e32 v2, v7, v2
	;; [unrolled: 3-line block ×3, first 2 shown]
	s_waitcnt lgkmcnt(0)
	v_add_f32_e32 v2, v10, v2
	s_or_b64 exec, exec, s[8:9]
	s_and_b64 vcc, exec, s[6:7]
	s_cbranch_vccnz .LBB16_1077
	s_branch .LBB16_1140
.LBB16_1076:
	s_mov_b64 s[4:5], 0
                                        ; implicit-def: $vgpr2
	s_cbranch_execz .LBB16_1140
.LBB16_1077:
	s_movk_i32 s6, 0x104
	v_lshlrev_b32_e32 v3, 8, v0
	v_mov_b32_e32 v4, 0x3c00
	v_mul_u32_u24_e32 v2, 0x104, v0
	v_sub_u32_e32 v3, 0, v3
	v_mad_u32_u24 v4, v0, s6, v4
	s_mov_b32 s8, 63
	s_movk_i32 s9, 0xc100
	v_mov_b32_e32 v6, 0
	s_branch .LBB16_1079
.LBB16_1078:                            ;   in Loop: Header=BB16_1079 Depth=1
	s_or_b64 exec, exec, s[6:7]
	s_add_i32 s8, s8, -4
	s_cmp_lg_u32 s10, 0
	v_add_u32_e32 v3, 0xfffffc00, v3
	s_barrier
	s_cbranch_scc0 .LBB16_1095
.LBB16_1079:                            ; =>This Inner Loop Header: Depth=1
	v_cmp_eq_u32_e32 vcc, s9, v3
	s_and_b64 s[10:11], s[0:1], vcc
	s_and_saveexec_b64 s[6:7], s[10:11]
	s_cbranch_execz .LBB16_1081
; %bb.1080:                             ;   in Loop: Header=BB16_1079 Depth=1
	ds_read_b32 v7, v2
	s_waitcnt lgkmcnt(0)
	v_mul_f32_e32 v5, v5, v7
	ds_write_b32 v6, v5 offset:20736
.LBB16_1081:                            ;   in Loop: Header=BB16_1079 Depth=1
	s_or_b64 exec, exec, s[6:7]
	v_cmp_gt_u32_e32 vcc, s8, v0
	s_and_b64 s[10:11], s[0:1], vcc
	v_add_u32_e32 v7, v4, v3
	s_waitcnt lgkmcnt(0)
	s_barrier
	s_and_saveexec_b64 s[6:7], s[10:11]
	s_cbranch_execz .LBB16_1083
; %bb.1082:                             ;   in Loop: Header=BB16_1079 Depth=1
	ds_read_b32 v8, v7 offset:768
	ds_read_b32 v9, v6 offset:20736
	s_waitcnt lgkmcnt(0)
	v_fmac_f32_e32 v5, v8, v9
.LBB16_1083:                            ;   in Loop: Header=BB16_1079 Depth=1
	s_or_b64 exec, exec, s[6:7]
	s_add_i32 s10, s8, -1
	v_cmp_eq_u32_e32 vcc, s10, v0
	s_and_b64 s[14:15], s[0:1], vcc
	s_barrier
	s_and_saveexec_b64 s[6:7], s[14:15]
	s_cbranch_execz .LBB16_1085
; %bb.1084:                             ;   in Loop: Header=BB16_1079 Depth=1
	ds_read_b32 v8, v2
	s_waitcnt lgkmcnt(0)
	v_mul_f32_e32 v5, v5, v8
	ds_write_b32 v6, v5 offset:20736
.LBB16_1085:                            ;   in Loop: Header=BB16_1079 Depth=1
	s_or_b64 exec, exec, s[6:7]
	v_cmp_gt_u32_e32 vcc, s10, v0
	s_and_b64 s[10:11], s[0:1], vcc
	s_waitcnt lgkmcnt(0)
	s_barrier
	s_and_saveexec_b64 s[6:7], s[10:11]
	s_cbranch_execz .LBB16_1087
; %bb.1086:                             ;   in Loop: Header=BB16_1079 Depth=1
	ds_read_b32 v8, v7 offset:512
	ds_read_b32 v9, v6 offset:20736
	s_waitcnt lgkmcnt(0)
	v_fmac_f32_e32 v5, v8, v9
.LBB16_1087:                            ;   in Loop: Header=BB16_1079 Depth=1
	s_or_b64 exec, exec, s[6:7]
	s_add_i32 s10, s8, -2
	v_cmp_eq_u32_e32 vcc, s10, v0
	s_and_b64 s[14:15], s[0:1], vcc
	s_barrier
	s_and_saveexec_b64 s[6:7], s[14:15]
	s_cbranch_execz .LBB16_1089
; %bb.1088:                             ;   in Loop: Header=BB16_1079 Depth=1
	ds_read_b32 v8, v2
	s_waitcnt lgkmcnt(0)
	v_mul_f32_e32 v5, v5, v8
	ds_write_b32 v6, v5 offset:20736
.LBB16_1089:                            ;   in Loop: Header=BB16_1079 Depth=1
	s_or_b64 exec, exec, s[6:7]
	v_cmp_gt_u32_e32 vcc, s10, v0
	s_and_b64 s[10:11], s[0:1], vcc
	;; [unrolled: 26-line block ×3, first 2 shown]
	s_waitcnt lgkmcnt(0)
	s_barrier
	s_and_saveexec_b64 s[6:7], s[14:15]
	s_cbranch_execz .LBB16_1078
; %bb.1094:                             ;   in Loop: Header=BB16_1079 Depth=1
	ds_read_b32 v7, v7
	ds_read_b32 v8, v6 offset:20736
	s_waitcnt lgkmcnt(0)
	v_fmac_f32_e32 v5, v7, v8
	s_branch .LBB16_1078
.LBB16_1095:
	s_mov_b64 s[6:7], -1
	s_and_b64 vcc, exec, s[2:3]
	s_cbranch_vccnz .LBB16_1141
; %bb.1096:
	s_andn2_b64 vcc, exec, s[6:7]
	s_cbranch_vccz .LBB16_1142
.LBB16_1097:
	s_and_saveexec_b64 s[0:1], s[4:5]
	s_cbranch_execz .LBB16_1099
.LBB16_1098:
	v_readlane_b32 s2, v27, 0
	v_mov_b32_e32 v0, s2
	v_add_co_u32_e32 v2, vcc, s33, v1
	v_addc_co_u32_e32 v0, vcc, 0, v0, vcc
	v_mul_lo_u32 v0, v0, s12
	v_mul_lo_u32 v4, v2, s13
	v_mad_u64_u32 v[2:3], s[2:3], v2, s12, 0
	v_add3_u32 v3, v3, v4, v0
	v_lshlrev_b64 v[2:3], 2, v[2:3]
	v_mov_b32_e32 v0, s39
	v_add_co_u32_e32 v2, vcc, s38, v2
	v_addc_co_u32_e32 v3, vcc, v0, v3, vcc
	global_store_dword v[2:3], v5, off
.LBB16_1099:
	s_or_b64 exec, exec, s[0:1]
	v_cmp_eq_u32_e32 vcc, 0, v1
	s_waitcnt vmcnt(0)
	buffer_wbinvl1_vol
	s_barrier
	s_and_saveexec_b64 s[0:1], vcc
	s_cbranch_execz .LBB16_1101
; %bb.1100:
	s_lshl_b64 s[2:3], s[24:25], 2
	s_add_u32 s2, s16, s2
	s_addc_u32 s3, s17, s3
	v_mov_b32_e32 v0, 0
	global_load_dword v1, v0, s[2:3]
	s_waitcnt vmcnt(0)
	v_add_u32_e32 v1, 1, v1
	global_store_dword v0, v1, s[2:3]
.LBB16_1101:
	s_or_b64 exec, exec, s[0:1]
	s_waitcnt vmcnt(0)
	buffer_wbinvl1_vol
	s_endpgm
.LBB16_1102:
                                        ; implicit-def: $vgpr9
                                        ; implicit-def: $vgpr10
                                        ; implicit-def: $vgpr8
                                        ; implicit-def: $vgpr7
                                        ; implicit-def: $sgpr33
	s_cbranch_execnz .LBB16_10
	s_branch .LBB16_11
.LBB16_1103:
	v_cmp_ne_u32_e32 vcc, v0, v2
	s_and_saveexec_b64 s[8:9], vcc
	s_xor_b64 s[8:9], exec, s[8:9]
; %bb.1104:
	v_or_b32_e32 v1, v2, v0
	v_cmp_gt_u32_e32 vcc, 64, v1
	s_and_b64 s[2:3], vcc, exec
                                        ; implicit-def: $vgpr5_vgpr6
; %bb.1105:
	s_or_saveexec_b64 s[8:9], s[8:9]
	v_mov_b32_e32 v1, 0
	s_xor_b64 exec, exec, s[8:9]
	s_cbranch_execz .LBB16_1107
; %bb.1106:
	v_lshlrev_b64 v[5:6], 2, v[5:6]
	v_mov_b32_e32 v1, s78
	v_add_co_u32_e32 v5, vcc, s77, v5
	v_addc_co_u32_e32 v6, vcc, v1, v6, vcc
	global_load_dword v1, v[5:6], off
	s_or_b64 s[2:3], s[2:3], exec
	s_waitcnt vmcnt(0)
	v_div_scale_f32 v5, s[10:11], v1, v1, 1.0
	v_div_scale_f32 v6, vcc, 1.0, v1, 1.0
	v_rcp_f32_e32 v11, v5
	v_fma_f32 v12, -v5, v11, 1.0
	v_fmac_f32_e32 v11, v12, v11
	v_mul_f32_e32 v12, v6, v11
	v_fma_f32 v13, -v5, v12, v6
	v_fmac_f32_e32 v12, v13, v11
	v_fma_f32 v5, -v5, v12, v6
	v_div_fmas_f32 v5, v5, v11, v12
	v_div_fixup_f32 v1, v5, v1, 1.0
.LBB16_1107:
	s_or_b64 exec, exec, s[8:9]
	s_and_b64 s[2:3], s[2:3], exec
                                        ; implicit-def: $vgpr5_vgpr6
	s_andn2_saveexec_b64 s[0:1], s[0:1]
	s_cbranch_execz .LBB16_14
.LBB16_1108:
	v_lshlrev_b64 v[5:6], 2, v[5:6]
	v_mov_b32_e32 v1, s78
	v_add_co_u32_e32 v5, vcc, s77, v5
	v_addc_co_u32_e32 v6, vcc, v1, v6, vcc
	global_load_dword v1, v[5:6], off
	s_or_b64 s[2:3], s[2:3], exec
	s_waitcnt vmcnt(0)
	v_xor_b32_e32 v1, 0x80000000, v1
	s_or_b64 exec, exec, s[0:1]
	s_and_saveexec_b64 s[0:1], s[2:3]
	s_cbranch_execnz .LBB16_15
	s_branch .LBB16_16
.LBB16_1109:
	v_cmp_ne_u32_e32 vcc, v0, v1
	s_and_saveexec_b64 s[8:9], vcc
	s_xor_b64 s[8:9], exec, s[8:9]
; %bb.1110:
	v_or_b32_e32 v5, v1, v0
	v_cmp_gt_u32_e32 vcc, 64, v5
	s_and_b64 s[2:3], vcc, exec
                                        ; implicit-def: $vgpr5_vgpr6
; %bb.1111:
	s_or_saveexec_b64 s[8:9], s[8:9]
	v_mov_b32_e32 v11, 0
	s_xor_b64 exec, exec, s[8:9]
	s_cbranch_execz .LBB16_1113
; %bb.1112:
	v_lshlrev_b64 v[5:6], 2, v[5:6]
	v_mov_b32_e32 v11, s78
	v_add_co_u32_e32 v5, vcc, s77, v5
	v_addc_co_u32_e32 v6, vcc, v11, v6, vcc
	global_load_dword v5, v[5:6], off
	s_or_b64 s[2:3], s[2:3], exec
	s_waitcnt vmcnt(0)
	v_div_scale_f32 v6, s[10:11], v5, v5, 1.0
	v_div_scale_f32 v11, vcc, 1.0, v5, 1.0
	v_rcp_f32_e32 v12, v6
	v_fma_f32 v13, -v6, v12, 1.0
	v_fmac_f32_e32 v12, v13, v12
	v_mul_f32_e32 v13, v11, v12
	v_fma_f32 v14, -v6, v13, v11
	v_fmac_f32_e32 v13, v14, v12
	v_fma_f32 v6, -v6, v13, v11
	v_div_fmas_f32 v6, v6, v12, v13
	v_div_fixup_f32 v11, v6, v5, 1.0
.LBB16_1113:
	s_or_b64 exec, exec, s[8:9]
	s_and_b64 s[2:3], s[2:3], exec
                                        ; implicit-def: $vgpr5_vgpr6
	s_andn2_saveexec_b64 s[0:1], s[0:1]
	s_cbranch_execz .LBB16_18
.LBB16_1114:
	v_lshlrev_b64 v[5:6], 2, v[5:6]
	v_mov_b32_e32 v11, s78
	v_add_co_u32_e32 v5, vcc, s77, v5
	v_addc_co_u32_e32 v6, vcc, v11, v6, vcc
	global_load_dword v5, v[5:6], off
	s_or_b64 s[2:3], s[2:3], exec
	s_waitcnt vmcnt(0)
	v_xor_b32_e32 v11, 0x80000000, v5
	s_or_b64 exec, exec, s[0:1]
	s_and_saveexec_b64 s[0:1], s[2:3]
	s_cbranch_execnz .LBB16_19
	s_branch .LBB16_20
.LBB16_1115:
	v_cmp_ne_u32_e32 vcc, v0, v1
	s_and_saveexec_b64 s[8:9], vcc
	s_xor_b64 s[8:9], exec, s[8:9]
; %bb.1116:
	v_or_b32_e32 v5, v1, v0
	v_cmp_gt_u32_e32 vcc, 64, v5
	s_and_b64 s[2:3], vcc, exec
                                        ; implicit-def: $vgpr5_vgpr6
; %bb.1117:
	s_or_saveexec_b64 s[8:9], s[8:9]
	v_mov_b32_e32 v11, 0
	s_xor_b64 exec, exec, s[8:9]
	s_cbranch_execz .LBB16_1119
; %bb.1118:
	v_lshlrev_b64 v[5:6], 2, v[5:6]
	v_mov_b32_e32 v11, s78
	v_add_co_u32_e32 v5, vcc, s77, v5
	v_addc_co_u32_e32 v6, vcc, v11, v6, vcc
	global_load_dword v5, v[5:6], off
	s_or_b64 s[2:3], s[2:3], exec
	s_waitcnt vmcnt(0)
	v_div_scale_f32 v6, s[10:11], v5, v5, 1.0
	v_div_scale_f32 v11, vcc, 1.0, v5, 1.0
	v_rcp_f32_e32 v12, v6
	v_fma_f32 v13, -v6, v12, 1.0
	v_fmac_f32_e32 v12, v13, v12
	v_mul_f32_e32 v13, v11, v12
	v_fma_f32 v14, -v6, v13, v11
	v_fmac_f32_e32 v13, v14, v12
	v_fma_f32 v6, -v6, v13, v11
	v_div_fmas_f32 v6, v6, v12, v13
	v_div_fixup_f32 v11, v6, v5, 1.0
.LBB16_1119:
	s_or_b64 exec, exec, s[8:9]
	s_and_b64 s[2:3], s[2:3], exec
                                        ; implicit-def: $vgpr5_vgpr6
	s_andn2_saveexec_b64 s[0:1], s[0:1]
	s_cbranch_execz .LBB16_22
.LBB16_1120:
	v_lshlrev_b64 v[5:6], 2, v[5:6]
	v_mov_b32_e32 v11, s78
	v_add_co_u32_e32 v5, vcc, s77, v5
	v_addc_co_u32_e32 v6, vcc, v11, v6, vcc
	global_load_dword v5, v[5:6], off
	s_or_b64 s[2:3], s[2:3], exec
	s_waitcnt vmcnt(0)
	v_xor_b32_e32 v11, 0x80000000, v5
	s_or_b64 exec, exec, s[0:1]
	s_and_saveexec_b64 s[0:1], s[2:3]
	s_cbranch_execnz .LBB16_23
	s_branch .LBB16_24
.LBB16_1121:
	v_cmp_ne_u32_e32 vcc, v0, v2
	s_xor_b64 s[10:11], s[0:1], -1
	s_or_b64 s[12:13], s[10:11], vcc
	s_mov_b64 s[10:11], 0
	s_and_saveexec_b64 s[14:15], s[12:13]
	s_xor_b64 s[12:13], exec, s[14:15]
; %bb.1122:
	v_or_b32_e32 v1, v2, v0
	v_cmp_gt_u32_e32 vcc, 64, v1
	s_and_b64 s[10:11], vcc, exec
                                        ; implicit-def: $vgpr5_vgpr6
; %bb.1123:
	s_or_saveexec_b64 s[12:13], s[12:13]
	v_mov_b32_e32 v1, 0
	s_xor_b64 exec, exec, s[12:13]
	s_cbranch_execz .LBB16_1125
; %bb.1124:
	v_lshlrev_b64 v[5:6], 2, v[5:6]
	v_mov_b32_e32 v1, s78
	v_add_co_u32_e32 v5, vcc, s77, v5
	v_addc_co_u32_e32 v6, vcc, v1, v6, vcc
	global_load_dword v1, v[5:6], off
	s_or_b64 s[10:11], s[10:11], exec
	s_waitcnt vmcnt(0)
	v_div_scale_f32 v5, s[14:15], v1, v1, 1.0
	v_div_scale_f32 v6, vcc, 1.0, v1, 1.0
	v_rcp_f32_e32 v11, v5
	v_fma_f32 v12, -v5, v11, 1.0
	v_fmac_f32_e32 v11, v12, v11
	v_mul_f32_e32 v12, v6, v11
	v_fma_f32 v13, -v5, v12, v6
	v_fmac_f32_e32 v12, v13, v11
	v_fma_f32 v5, -v5, v12, v6
	v_div_fmas_f32 v5, v5, v11, v12
	v_div_fixup_f32 v1, v5, v1, 1.0
.LBB16_1125:
	s_or_b64 exec, exec, s[12:13]
	s_and_b64 s[10:11], s[10:11], exec
                                        ; implicit-def: $vgpr5_vgpr6
	s_andn2_saveexec_b64 s[2:3], s[2:3]
	s_cbranch_execz .LBB16_36
.LBB16_1126:
	v_lshlrev_b64 v[5:6], 2, v[5:6]
	v_mov_b32_e32 v1, s78
	v_add_co_u32_e32 v5, vcc, s77, v5
	v_addc_co_u32_e32 v6, vcc, v1, v6, vcc
	global_load_dword v1, v[5:6], off
	s_or_b64 s[10:11], s[10:11], exec
	s_waitcnt vmcnt(0)
	v_xor_b32_e32 v1, 0x80000000, v1
	s_or_b64 exec, exec, s[2:3]
	s_and_saveexec_b64 s[2:3], s[10:11]
	s_cbranch_execnz .LBB16_37
	s_branch .LBB16_38
.LBB16_1127:
	v_cmp_ne_u32_e32 vcc, v0, v1
	s_xor_b64 s[10:11], s[0:1], -1
	s_or_b64 s[12:13], s[10:11], vcc
	s_mov_b64 s[10:11], 0
	s_and_saveexec_b64 s[14:15], s[12:13]
	s_xor_b64 s[12:13], exec, s[14:15]
; %bb.1128:
	v_or_b32_e32 v5, v1, v0
	v_cmp_gt_u32_e32 vcc, 64, v5
	s_and_b64 s[10:11], vcc, exec
                                        ; implicit-def: $vgpr5_vgpr6
; %bb.1129:
	s_or_saveexec_b64 s[12:13], s[12:13]
	v_mov_b32_e32 v11, 0
	s_xor_b64 exec, exec, s[12:13]
	s_cbranch_execz .LBB16_1131
; %bb.1130:
	v_lshlrev_b64 v[5:6], 2, v[5:6]
	v_mov_b32_e32 v11, s78
	v_add_co_u32_e32 v5, vcc, s77, v5
	v_addc_co_u32_e32 v6, vcc, v11, v6, vcc
	global_load_dword v5, v[5:6], off
	s_or_b64 s[10:11], s[10:11], exec
	s_waitcnt vmcnt(0)
	v_div_scale_f32 v6, s[14:15], v5, v5, 1.0
	v_div_scale_f32 v11, vcc, 1.0, v5, 1.0
	v_rcp_f32_e32 v12, v6
	v_fma_f32 v13, -v6, v12, 1.0
	v_fmac_f32_e32 v12, v13, v12
	v_mul_f32_e32 v13, v11, v12
	v_fma_f32 v14, -v6, v13, v11
	v_fmac_f32_e32 v13, v14, v12
	v_fma_f32 v6, -v6, v13, v11
	v_div_fmas_f32 v6, v6, v12, v13
	v_div_fixup_f32 v11, v6, v5, 1.0
.LBB16_1131:
	s_or_b64 exec, exec, s[12:13]
	s_and_b64 s[10:11], s[10:11], exec
                                        ; implicit-def: $vgpr5_vgpr6
	s_andn2_saveexec_b64 s[2:3], s[2:3]
	s_cbranch_execz .LBB16_40
.LBB16_1132:
	v_lshlrev_b64 v[5:6], 2, v[5:6]
	v_mov_b32_e32 v11, s78
	v_add_co_u32_e32 v5, vcc, s77, v5
	v_addc_co_u32_e32 v6, vcc, v11, v6, vcc
	global_load_dword v5, v[5:6], off
	s_or_b64 s[10:11], s[10:11], exec
	s_waitcnt vmcnt(0)
	v_xor_b32_e32 v11, 0x80000000, v5
	s_or_b64 exec, exec, s[2:3]
	s_and_saveexec_b64 s[2:3], s[10:11]
	s_cbranch_execnz .LBB16_41
	s_branch .LBB16_42
.LBB16_1133:
	v_cmp_ne_u32_e32 vcc, v0, v1
	s_xor_b64 s[10:11], s[0:1], -1
	s_or_b64 s[12:13], s[10:11], vcc
	s_mov_b64 s[10:11], 0
	s_and_saveexec_b64 s[14:15], s[12:13]
	s_xor_b64 s[12:13], exec, s[14:15]
; %bb.1134:
	v_or_b32_e32 v5, v1, v0
	v_cmp_gt_u32_e32 vcc, 64, v5
	s_and_b64 s[10:11], vcc, exec
                                        ; implicit-def: $vgpr5_vgpr6
; %bb.1135:
	s_or_saveexec_b64 s[12:13], s[12:13]
	v_mov_b32_e32 v11, 0
	s_xor_b64 exec, exec, s[12:13]
	s_cbranch_execz .LBB16_1137
; %bb.1136:
	v_lshlrev_b64 v[5:6], 2, v[5:6]
	v_mov_b32_e32 v11, s78
	v_add_co_u32_e32 v5, vcc, s77, v5
	v_addc_co_u32_e32 v6, vcc, v11, v6, vcc
	global_load_dword v5, v[5:6], off
	s_or_b64 s[10:11], s[10:11], exec
	s_waitcnt vmcnt(0)
	v_div_scale_f32 v6, s[14:15], v5, v5, 1.0
	v_div_scale_f32 v11, vcc, 1.0, v5, 1.0
	v_rcp_f32_e32 v12, v6
	v_fma_f32 v13, -v6, v12, 1.0
	v_fmac_f32_e32 v12, v13, v12
	v_mul_f32_e32 v13, v11, v12
	v_fma_f32 v14, -v6, v13, v11
	v_fmac_f32_e32 v13, v14, v12
	v_fma_f32 v6, -v6, v13, v11
	v_div_fmas_f32 v6, v6, v12, v13
	v_div_fixup_f32 v11, v6, v5, 1.0
.LBB16_1137:
	s_or_b64 exec, exec, s[12:13]
	s_and_b64 s[10:11], s[10:11], exec
                                        ; implicit-def: $vgpr5_vgpr6
	s_andn2_saveexec_b64 s[2:3], s[2:3]
	s_cbranch_execz .LBB16_44
.LBB16_1138:
	v_lshlrev_b64 v[5:6], 2, v[5:6]
	v_mov_b32_e32 v11, s78
	v_add_co_u32_e32 v5, vcc, s77, v5
	v_addc_co_u32_e32 v6, vcc, v11, v6, vcc
	global_load_dword v5, v[5:6], off
	s_or_b64 s[10:11], s[10:11], exec
	s_waitcnt vmcnt(0)
	v_xor_b32_e32 v11, 0x80000000, v5
	s_or_b64 exec, exec, s[2:3]
	s_and_saveexec_b64 s[2:3], s[10:11]
	s_cbranch_execnz .LBB16_45
	s_branch .LBB16_46
.LBB16_1139:
	s_or_b64 exec, exec, s[8:9]
	s_and_b64 vcc, exec, s[6:7]
	s_cbranch_vccnz .LBB16_1077
.LBB16_1140:
	v_mov_b32_e32 v5, v2
	s_and_saveexec_b64 s[0:1], s[4:5]
	s_cbranch_execnz .LBB16_1098
	s_branch .LBB16_1099
.LBB16_1141:
	s_andn2_b64 s[2:3], s[4:5], exec
	s_and_b64 s[4:5], s[0:1], exec
	s_or_b64 s[4:5], s[2:3], s[4:5]
	s_cbranch_execnz .LBB16_1097
.LBB16_1142:
	v_cmp_gt_i32_e32 vcc, s76, v0
	s_and_b64 s[0:1], s[0:1], vcc
	s_andn2_b64 s[2:3], s[4:5], exec
	s_and_b64 s[0:1], s[0:1], exec
	s_or_b64 s[4:5], s[2:3], s[0:1]
	s_and_saveexec_b64 s[0:1], s[4:5]
	s_cbranch_execnz .LBB16_1098
	s_branch .LBB16_1099
.LBB16_1143:
	ds_read_b32 v16, v15 offset:15840
	ds_read_b32 v17, v14 offset:15604
	s_waitcnt lgkmcnt(0)
	v_fmac_f32_e32 v13, v16, v17
	s_or_b64 exec, exec, s[14:15]
	v_cmp_gt_u32_e64 s[10:11], 8, v5
	s_and_saveexec_b64 s[14:15], s[10:11]
	s_cbranch_execz .LBB16_77
.LBB16_1144:
	ds_read_b32 v15, v15 offset:16096
	ds_read_b32 v14, v14 offset:15608
	s_waitcnt lgkmcnt(0)
	v_fmac_f32_e32 v13, v15, v14
	s_or_b64 exec, exec, s[14:15]
	v_cmp_gt_u32_e64 s[10:11], 4, v5
	s_and_saveexec_b64 s[14:15], s[10:11]
	s_cbranch_execnz .LBB16_78
	s_branch .LBB16_79
.LBB16_1145:
	ds_read_b32 v19, v18 offset:14784
	ds_read_b32 v20, v17 offset:14564
	s_waitcnt lgkmcnt(0)
	v_fmac_f32_e32 v16, v19, v20
	s_or_b64 exec, exec, s[16:17]
	v_cmp_gt_u32_e64 s[10:11], 48, v5
	s_and_saveexec_b64 s[16:17], s[10:11]
	s_cbranch_execz .LBB16_115
.LBB16_1146:
	ds_read_b32 v19, v18 offset:15040
	ds_read_b32 v20, v17 offset:14568
	s_waitcnt lgkmcnt(0)
	v_fmac_f32_e32 v16, v19, v20
	s_or_b64 exec, exec, s[16:17]
	v_cmp_gt_u32_e64 s[10:11], 40, v5
	s_and_saveexec_b64 s[16:17], s[10:11]
	s_cbranch_execz .LBB16_116
.LBB16_1147:
	ds_read_b32 v19, v18 offset:15296
	ds_read_b32 v20, v17 offset:14572
	s_waitcnt lgkmcnt(0)
	v_fmac_f32_e32 v16, v19, v20
	s_or_b64 exec, exec, s[16:17]
	v_cmp_gt_u32_e64 s[10:11], 32, v5
	s_and_saveexec_b64 s[16:17], s[10:11]
	s_cbranch_execz .LBB16_117
.LBB16_1148:
	ds_read_b32 v19, v18 offset:15552
	ds_read_b32 v20, v17 offset:14576
	s_waitcnt lgkmcnt(0)
	v_fmac_f32_e32 v16, v19, v20
	s_or_b64 exec, exec, s[16:17]
	v_cmp_gt_u32_e64 s[10:11], 24, v5
	s_and_saveexec_b64 s[16:17], s[10:11]
	s_cbranch_execz .LBB16_118
.LBB16_1149:
	ds_read_b32 v19, v18 offset:15808
	ds_read_b32 v20, v17 offset:14580
	s_waitcnt lgkmcnt(0)
	v_fmac_f32_e32 v16, v19, v20
	s_or_b64 exec, exec, s[16:17]
	s_and_saveexec_b64 s[10:11], s[2:3]
	s_cbranch_execz .LBB16_119
.LBB16_1150:
	ds_read_b32 v18, v18 offset:16064
	ds_read_b32 v17, v17 offset:14584
	s_waitcnt lgkmcnt(0)
	v_fmac_f32_e32 v16, v18, v17
	s_or_b64 exec, exec, s[10:11]
	v_cmp_gt_u32_e64 s[10:11], 8, v5
	s_and_saveexec_b64 s[16:17], s[10:11]
	s_cbranch_execnz .LBB16_120
	s_branch .LBB16_121
.LBB16_1151:
	ds_read_b32 v19, v18 offset:13760
	ds_read_b32 v20, v17 offset:13524
	s_waitcnt lgkmcnt(0)
	v_fmac_f32_e32 v16, v19, v20
	s_or_b64 exec, exec, s[12:13]
	v_cmp_gt_u32_e64 s[8:9], 8, v5
	s_and_saveexec_b64 s[12:13], s[8:9]
	s_cbranch_execz .LBB16_173
.LBB16_1152:
	ds_read_b32 v18, v18 offset:14016
	ds_read_b32 v17, v17 offset:13528
	s_waitcnt lgkmcnt(0)
	v_fmac_f32_e32 v16, v18, v17
	s_or_b64 exec, exec, s[12:13]
	v_cmp_gt_u32_e64 s[8:9], 4, v5
	s_and_saveexec_b64 s[12:13], s[8:9]
	s_cbranch_execnz .LBB16_174
	s_branch .LBB16_175
.LBB16_1153:
	ds_read_b32 v22, v21 offset:15232
	ds_read_b32 v23, v20 offset:12524
	s_waitcnt lgkmcnt(0)
	v_fmac_f32_e32 v19, v22, v23
	s_or_b64 exec, exec, s[74:75]
	s_and_saveexec_b64 s[12:13], s[14:15]
	s_cbranch_execz .LBB16_231
.LBB16_1154:
	ds_read_b32 v22, v21 offset:15488
	ds_read_b32 v23, v20 offset:12528
	s_waitcnt lgkmcnt(0)
	v_fmac_f32_e32 v19, v22, v23
	s_or_b64 exec, exec, s[12:13]
	v_cmp_gt_u32_e64 s[12:13], 48, v5
	s_and_saveexec_b64 s[74:75], s[12:13]
	s_cbranch_execz .LBB16_232
.LBB16_1155:
	ds_read_b32 v22, v21 offset:15744
	ds_read_b32 v23, v20 offset:12532
	s_waitcnt lgkmcnt(0)
	v_fmac_f32_e32 v19, v22, v23
	s_or_b64 exec, exec, s[74:75]
	v_cmp_gt_u32_e64 s[12:13], 32, v5
	s_and_saveexec_b64 s[74:75], s[12:13]
	s_cbranch_execz .LBB16_233
.LBB16_1156:
	ds_read_b32 v21, v21 offset:16000
	ds_read_b32 v20, v20 offset:12536
	s_waitcnt lgkmcnt(0)
	v_fmac_f32_e32 v19, v21, v20
	s_or_b64 exec, exec, s[74:75]
	v_cmp_gt_u32_e64 s[12:13], 16, v5
	s_and_saveexec_b64 s[74:75], s[12:13]
	s_cbranch_execnz .LBB16_234
	s_branch .LBB16_235
.LBB16_1157:
	ds_read_b32 v22, v21 offset:11680
	ds_read_b32 v23, v20 offset:11444
	s_waitcnt lgkmcnt(0)
	v_fmac_f32_e32 v19, v22, v23
	s_or_b64 exec, exec, s[16:17]
	v_cmp_gt_u32_e64 s[10:11], 8, v5
	s_and_saveexec_b64 s[16:17], s[10:11]
	s_cbranch_execz .LBB16_319
.LBB16_1158:
	ds_read_b32 v21, v21 offset:11936
	ds_read_b32 v20, v20 offset:11448
	s_waitcnt lgkmcnt(0)
	v_fmac_f32_e32 v19, v21, v20
	s_or_b64 exec, exec, s[16:17]
	v_cmp_gt_u32_e64 s[10:11], 4, v5
	s_and_saveexec_b64 s[16:17], s[10:11]
	s_cbranch_execnz .LBB16_320
	s_branch .LBB16_321
.LBB16_1159:
	ds_read_b32 v22, v21 offset:10624
	ds_read_b32 v23, v20 offset:10404
	s_waitcnt lgkmcnt(0)
	v_fmac_f32_e32 v19, v22, v23
	s_or_b64 exec, exec, s[16:17]
	v_cmp_gt_u32_e64 s[10:11], 48, v5
	s_and_saveexec_b64 s[16:17], s[10:11]
	s_cbranch_execz .LBB16_357
.LBB16_1160:
	ds_read_b32 v22, v21 offset:10880
	ds_read_b32 v23, v20 offset:10408
	s_waitcnt lgkmcnt(0)
	v_fmac_f32_e32 v19, v22, v23
	s_or_b64 exec, exec, s[16:17]
	v_cmp_gt_u32_e64 s[10:11], 40, v5
	s_and_saveexec_b64 s[16:17], s[10:11]
	s_cbranch_execz .LBB16_358
.LBB16_1161:
	ds_read_b32 v22, v21 offset:11136
	ds_read_b32 v23, v20 offset:10412
	s_waitcnt lgkmcnt(0)
	v_fmac_f32_e32 v19, v22, v23
	s_or_b64 exec, exec, s[16:17]
	v_cmp_gt_u32_e64 s[10:11], 32, v5
	s_and_saveexec_b64 s[16:17], s[10:11]
	s_cbranch_execz .LBB16_359
.LBB16_1162:
	ds_read_b32 v22, v21 offset:11392
	ds_read_b32 v23, v20 offset:10416
	s_waitcnt lgkmcnt(0)
	v_fmac_f32_e32 v19, v22, v23
	s_or_b64 exec, exec, s[16:17]
	v_cmp_gt_u32_e64 s[10:11], 24, v5
	s_and_saveexec_b64 s[16:17], s[10:11]
	s_cbranch_execz .LBB16_360
.LBB16_1163:
	ds_read_b32 v22, v21 offset:11648
	ds_read_b32 v23, v20 offset:10420
	s_waitcnt lgkmcnt(0)
	v_fmac_f32_e32 v19, v22, v23
	s_or_b64 exec, exec, s[16:17]
	s_and_saveexec_b64 s[10:11], s[2:3]
	s_cbranch_execz .LBB16_361
.LBB16_1164:
	ds_read_b32 v21, v21 offset:11904
	ds_read_b32 v20, v20 offset:10424
	s_waitcnt lgkmcnt(0)
	v_fmac_f32_e32 v19, v21, v20
	s_or_b64 exec, exec, s[10:11]
	v_cmp_gt_u32_e64 s[10:11], 8, v5
	s_and_saveexec_b64 s[16:17], s[10:11]
	s_cbranch_execnz .LBB16_362
	s_branch .LBB16_363
.LBB16_1165:
	ds_read_b32 v22, v21 offset:9600
	ds_read_b32 v23, v20 offset:9364
	s_waitcnt lgkmcnt(0)
	v_fmac_f32_e32 v19, v22, v23
	s_or_b64 exec, exec, s[16:17]
	v_cmp_gt_u32_e64 s[10:11], 8, v5
	s_and_saveexec_b64 s[16:17], s[10:11]
	s_cbranch_execz .LBB16_415
.LBB16_1166:
	ds_read_b32 v21, v21 offset:9856
	ds_read_b32 v20, v20 offset:9368
	s_waitcnt lgkmcnt(0)
	v_fmac_f32_e32 v19, v21, v20
	s_or_b64 exec, exec, s[16:17]
	v_cmp_gt_u32_e64 s[10:11], 4, v5
	s_and_saveexec_b64 s[16:17], s[10:11]
	s_cbranch_execnz .LBB16_416
	s_branch .LBB16_417
.LBB16_1167:
	ds_read_b32 v25, v24 offset:15616
	ds_read_b32 v26, v23 offset:8436
	s_waitcnt lgkmcnt(0)
	v_fmac_f32_e32 v21, v25, v26
	s_or_b64 exec, exec, s[92:93]
	s_and_saveexec_b64 s[16:17], s[14:15]
	s_cbranch_execz .LBB16_509
.LBB16_1168:
	ds_read_b32 v24, v24 offset:15872
	ds_read_b32 v23, v23 offset:8440
	s_waitcnt lgkmcnt(0)
	v_fmac_f32_e32 v21, v24, v23
	s_or_b64 exec, exec, s[16:17]
	v_cmp_gt_u32_e64 s[16:17], 32, v5
	s_and_saveexec_b64 s[92:93], s[16:17]
	s_cbranch_execnz .LBB16_510
	s_branch .LBB16_511
.LBB16_1169:
	ds_read_b32 v22, v21 offset:7520
	ds_read_b32 v23, v20 offset:7284
	s_waitcnt lgkmcnt(0)
	v_fmac_f32_e32 v19, v22, v23
	s_or_b64 exec, exec, s[16:17]
	v_cmp_gt_u32_e64 s[10:11], 8, v5
	s_and_saveexec_b64 s[16:17], s[10:11]
	s_cbranch_execz .LBB16_659
.LBB16_1170:
	ds_read_b32 v21, v21 offset:7776
	ds_read_b32 v20, v20 offset:7288
	s_waitcnt lgkmcnt(0)
	v_fmac_f32_e32 v19, v21, v20
	s_or_b64 exec, exec, s[16:17]
	v_cmp_gt_u32_e64 s[10:11], 4, v5
	s_and_saveexec_b64 s[16:17], s[10:11]
	s_cbranch_execnz .LBB16_660
	s_branch .LBB16_661
.LBB16_1171:
	ds_read_b32 v22, v21 offset:6464
	ds_read_b32 v23, v20 offset:6244
	s_waitcnt lgkmcnt(0)
	v_fmac_f32_e32 v19, v22, v23
	s_or_b64 exec, exec, s[16:17]
	v_cmp_gt_u32_e64 s[10:11], 48, v5
	s_and_saveexec_b64 s[16:17], s[10:11]
	s_cbranch_execz .LBB16_697
.LBB16_1172:
	ds_read_b32 v22, v21 offset:6720
	ds_read_b32 v23, v20 offset:6248
	s_waitcnt lgkmcnt(0)
	v_fmac_f32_e32 v19, v22, v23
	s_or_b64 exec, exec, s[16:17]
	v_cmp_gt_u32_e64 s[10:11], 40, v5
	s_and_saveexec_b64 s[16:17], s[10:11]
	s_cbranch_execz .LBB16_698
.LBB16_1173:
	ds_read_b32 v22, v21 offset:6976
	ds_read_b32 v23, v20 offset:6252
	s_waitcnt lgkmcnt(0)
	v_fmac_f32_e32 v19, v22, v23
	s_or_b64 exec, exec, s[16:17]
	v_cmp_gt_u32_e64 s[10:11], 32, v5
	s_and_saveexec_b64 s[16:17], s[10:11]
	s_cbranch_execz .LBB16_699
.LBB16_1174:
	ds_read_b32 v22, v21 offset:7232
	ds_read_b32 v23, v20 offset:6256
	s_waitcnt lgkmcnt(0)
	v_fmac_f32_e32 v19, v22, v23
	s_or_b64 exec, exec, s[16:17]
	v_cmp_gt_u32_e64 s[10:11], 24, v5
	s_and_saveexec_b64 s[16:17], s[10:11]
	s_cbranch_execz .LBB16_700
.LBB16_1175:
	ds_read_b32 v22, v21 offset:7488
	ds_read_b32 v23, v20 offset:6260
	s_waitcnt lgkmcnt(0)
	v_fmac_f32_e32 v19, v22, v23
	s_or_b64 exec, exec, s[16:17]
	s_and_saveexec_b64 s[10:11], s[2:3]
	s_cbranch_execz .LBB16_701
.LBB16_1176:
	ds_read_b32 v21, v21 offset:7744
	ds_read_b32 v20, v20 offset:6264
	s_waitcnt lgkmcnt(0)
	v_fmac_f32_e32 v19, v21, v20
	s_or_b64 exec, exec, s[10:11]
	v_cmp_gt_u32_e64 s[10:11], 8, v5
	s_and_saveexec_b64 s[16:17], s[10:11]
	s_cbranch_execnz .LBB16_702
	s_branch .LBB16_703
.LBB16_1177:
	ds_read_b32 v22, v21 offset:5440
	ds_read_b32 v23, v20 offset:5204
	s_waitcnt lgkmcnt(0)
	v_fmac_f32_e32 v19, v22, v23
	s_or_b64 exec, exec, s[16:17]
	v_cmp_gt_u32_e64 s[10:11], 8, v5
	s_and_saveexec_b64 s[16:17], s[10:11]
	s_cbranch_execz .LBB16_755
.LBB16_1178:
	ds_read_b32 v21, v21 offset:5696
	ds_read_b32 v20, v20 offset:5208
	s_waitcnt lgkmcnt(0)
	v_fmac_f32_e32 v19, v21, v20
	s_or_b64 exec, exec, s[16:17]
	v_cmp_gt_u32_e64 s[10:11], 4, v5
	s_and_saveexec_b64 s[16:17], s[10:11]
	s_cbranch_execnz .LBB16_756
	s_branch .LBB16_757
.LBB16_1179:
	ds_read_b32 v22, v21 offset:6912
	ds_read_b32 v23, v20 offset:4204
	s_waitcnt lgkmcnt(0)
	v_fmac_f32_e32 v19, v22, v23
	s_or_b64 exec, exec, s[16:17]
	s_and_saveexec_b64 s[10:11], s[14:15]
	s_cbranch_execz .LBB16_813
.LBB16_1180:
	ds_read_b32 v22, v21 offset:7168
	ds_read_b32 v23, v20 offset:4208
	s_waitcnt lgkmcnt(0)
	v_fmac_f32_e32 v19, v22, v23
	s_or_b64 exec, exec, s[10:11]
	v_cmp_gt_u32_e64 s[10:11], 48, v5
	s_and_saveexec_b64 s[16:17], s[10:11]
	s_cbranch_execz .LBB16_814
.LBB16_1181:
	ds_read_b32 v22, v21 offset:7424
	ds_read_b32 v23, v20 offset:4212
	s_waitcnt lgkmcnt(0)
	v_fmac_f32_e32 v19, v22, v23
	s_or_b64 exec, exec, s[16:17]
	v_cmp_gt_u32_e64 s[10:11], 32, v5
	s_and_saveexec_b64 s[16:17], s[10:11]
	s_cbranch_execz .LBB16_815
.LBB16_1182:
	ds_read_b32 v21, v21 offset:7680
	ds_read_b32 v20, v20 offset:4216
	s_waitcnt lgkmcnt(0)
	v_fmac_f32_e32 v19, v21, v20
	s_or_b64 exec, exec, s[16:17]
	v_cmp_gt_u32_e64 s[10:11], 16, v5
	s_and_saveexec_b64 s[16:17], s[10:11]
	s_cbranch_execnz .LBB16_816
	s_branch .LBB16_817
.LBB16_1183:
	ds_read_b32 v19, v18 offset:3360
	ds_read_b32 v20, v17 offset:3124
	s_waitcnt lgkmcnt(0)
	v_fmac_f32_e32 v16, v19, v20
	s_or_b64 exec, exec, s[12:13]
	v_cmp_gt_u32_e64 s[8:9], 8, v5
	s_and_saveexec_b64 s[12:13], s[8:9]
	s_cbranch_execz .LBB16_901
.LBB16_1184:
	ds_read_b32 v18, v18 offset:3616
	ds_read_b32 v17, v17 offset:3128
	s_waitcnt lgkmcnt(0)
	v_fmac_f32_e32 v16, v18, v17
	s_or_b64 exec, exec, s[12:13]
	v_cmp_gt_u32_e64 s[8:9], 4, v5
	s_and_saveexec_b64 s[12:13], s[8:9]
	s_cbranch_execnz .LBB16_902
	s_branch .LBB16_903
.LBB16_1185:
	ds_read_b32 v19, v18 offset:2304
	ds_read_b32 v20, v17 offset:2084
	s_waitcnt lgkmcnt(0)
	v_fmac_f32_e32 v16, v19, v20
	s_or_b64 exec, exec, s[12:13]
	v_cmp_gt_u32_e64 s[8:9], 48, v5
	s_and_saveexec_b64 s[12:13], s[8:9]
	s_cbranch_execz .LBB16_939
.LBB16_1186:
	ds_read_b32 v19, v18 offset:2560
	ds_read_b32 v20, v17 offset:2088
	s_waitcnt lgkmcnt(0)
	v_fmac_f32_e32 v16, v19, v20
	s_or_b64 exec, exec, s[12:13]
	v_cmp_gt_u32_e64 s[8:9], 40, v5
	s_and_saveexec_b64 s[12:13], s[8:9]
	s_cbranch_execz .LBB16_940
.LBB16_1187:
	ds_read_b32 v19, v18 offset:2816
	ds_read_b32 v20, v17 offset:2092
	s_waitcnt lgkmcnt(0)
	v_fmac_f32_e32 v16, v19, v20
	s_or_b64 exec, exec, s[12:13]
	v_cmp_gt_u32_e64 s[8:9], 32, v5
	s_and_saveexec_b64 s[12:13], s[8:9]
	s_cbranch_execz .LBB16_941
.LBB16_1188:
	ds_read_b32 v19, v18 offset:3072
	ds_read_b32 v20, v17 offset:2096
	s_waitcnt lgkmcnt(0)
	v_fmac_f32_e32 v16, v19, v20
	s_or_b64 exec, exec, s[12:13]
	v_cmp_gt_u32_e64 s[8:9], 24, v5
	s_and_saveexec_b64 s[12:13], s[8:9]
	s_cbranch_execz .LBB16_942
.LBB16_1189:
	ds_read_b32 v19, v18 offset:3328
	ds_read_b32 v20, v17 offset:2100
	s_waitcnt lgkmcnt(0)
	v_fmac_f32_e32 v16, v19, v20
	s_or_b64 exec, exec, s[12:13]
	s_and_saveexec_b64 s[8:9], s[2:3]
	s_cbranch_execz .LBB16_943
.LBB16_1190:
	ds_read_b32 v18, v18 offset:3584
	ds_read_b32 v17, v17 offset:2104
	s_waitcnt lgkmcnt(0)
	v_fmac_f32_e32 v16, v18, v17
	s_or_b64 exec, exec, s[8:9]
	v_cmp_gt_u32_e64 s[8:9], 8, v5
	s_and_saveexec_b64 s[12:13], s[8:9]
	s_cbranch_execnz .LBB16_944
	s_branch .LBB16_945
.LBB16_1191:
	ds_read_b32 v16, v15 offset:1280
	ds_read_b32 v17, v14 offset:1044
	s_waitcnt lgkmcnt(0)
	v_fmac_f32_e32 v13, v16, v17
	s_or_b64 exec, exec, s[12:13]
	v_cmp_gt_u32_e64 s[8:9], 8, v5
	s_and_saveexec_b64 s[12:13], s[8:9]
	s_cbranch_execz .LBB16_997
.LBB16_1192:
	ds_read_b32 v15, v15 offset:1536
	ds_read_b32 v14, v14 offset:1048
	s_waitcnt lgkmcnt(0)
	v_fmac_f32_e32 v13, v15, v14
	s_or_b64 exec, exec, s[12:13]
	v_cmp_gt_u32_e64 s[8:9], 4, v5
	s_and_saveexec_b64 s[12:13], s[8:9]
	s_cbranch_execnz .LBB16_998
	s_branch .LBB16_999
	.section	.rodata,"a",@progbits
	.p2align	6, 0x0
	.amdhsa_kernel _ZL19rocblas_trsv_deviceILi64ELi16ELb0ELb0ELb0ELb0EffPKfPfEviT7_lllT6_T8_lllPii
		.amdhsa_group_segment_fixed_size 20740
		.amdhsa_private_segment_fixed_size 0
		.amdhsa_kernarg_size 352
		.amdhsa_user_sgpr_count 6
		.amdhsa_user_sgpr_private_segment_buffer 1
		.amdhsa_user_sgpr_dispatch_ptr 0
		.amdhsa_user_sgpr_queue_ptr 0
		.amdhsa_user_sgpr_kernarg_segment_ptr 1
		.amdhsa_user_sgpr_dispatch_id 0
		.amdhsa_user_sgpr_flat_scratch_init 0
		.amdhsa_user_sgpr_private_segment_size 0
		.amdhsa_uses_dynamic_stack 0
		.amdhsa_system_sgpr_private_segment_wavefront_offset 0
		.amdhsa_system_sgpr_workgroup_id_x 1
		.amdhsa_system_sgpr_workgroup_id_y 0
		.amdhsa_system_sgpr_workgroup_id_z 1
		.amdhsa_system_sgpr_workgroup_info 0
		.amdhsa_system_vgpr_workitem_id 1
		.amdhsa_next_free_vgpr 29
		.amdhsa_next_free_sgpr 96
		.amdhsa_reserve_vcc 1
		.amdhsa_reserve_flat_scratch 0
		.amdhsa_float_round_mode_32 0
		.amdhsa_float_round_mode_16_64 0
		.amdhsa_float_denorm_mode_32 3
		.amdhsa_float_denorm_mode_16_64 3
		.amdhsa_dx10_clamp 1
		.amdhsa_ieee_mode 1
		.amdhsa_fp16_overflow 0
		.amdhsa_exception_fp_ieee_invalid_op 0
		.amdhsa_exception_fp_denorm_src 0
		.amdhsa_exception_fp_ieee_div_zero 0
		.amdhsa_exception_fp_ieee_overflow 0
		.amdhsa_exception_fp_ieee_underflow 0
		.amdhsa_exception_fp_ieee_inexact 0
		.amdhsa_exception_int_div_zero 0
	.end_amdhsa_kernel
	.section	.text._ZL19rocblas_trsv_deviceILi64ELi16ELb0ELb0ELb0ELb0EffPKfPfEviT7_lllT6_T8_lllPii,"axG",@progbits,_ZL19rocblas_trsv_deviceILi64ELi16ELb0ELb0ELb0ELb0EffPKfPfEviT7_lllT6_T8_lllPii,comdat
.Lfunc_end16:
	.size	_ZL19rocblas_trsv_deviceILi64ELi16ELb0ELb0ELb0ELb0EffPKfPfEviT7_lllT6_T8_lllPii, .Lfunc_end16-_ZL19rocblas_trsv_deviceILi64ELi16ELb0ELb0ELb0ELb0EffPKfPfEviT7_lllT6_T8_lllPii
                                        ; -- End function
	.set _ZL19rocblas_trsv_deviceILi64ELi16ELb0ELb0ELb0ELb0EffPKfPfEviT7_lllT6_T8_lllPii.num_vgpr, 28
	.set _ZL19rocblas_trsv_deviceILi64ELi16ELb0ELb0ELb0ELb0EffPKfPfEviT7_lllT6_T8_lllPii.num_agpr, 0
	.set _ZL19rocblas_trsv_deviceILi64ELi16ELb0ELb0ELb0ELb0EffPKfPfEviT7_lllT6_T8_lllPii.numbered_sgpr, 96
	.set _ZL19rocblas_trsv_deviceILi64ELi16ELb0ELb0ELb0ELb0EffPKfPfEviT7_lllT6_T8_lllPii.num_named_barrier, 0
	.set _ZL19rocblas_trsv_deviceILi64ELi16ELb0ELb0ELb0ELb0EffPKfPfEviT7_lllT6_T8_lllPii.private_seg_size, 0
	.set _ZL19rocblas_trsv_deviceILi64ELi16ELb0ELb0ELb0ELb0EffPKfPfEviT7_lllT6_T8_lllPii.uses_vcc, 1
	.set _ZL19rocblas_trsv_deviceILi64ELi16ELb0ELb0ELb0ELb0EffPKfPfEviT7_lllT6_T8_lllPii.uses_flat_scratch, 0
	.set _ZL19rocblas_trsv_deviceILi64ELi16ELb0ELb0ELb0ELb0EffPKfPfEviT7_lllT6_T8_lllPii.has_dyn_sized_stack, 0
	.set _ZL19rocblas_trsv_deviceILi64ELi16ELb0ELb0ELb0ELb0EffPKfPfEviT7_lllT6_T8_lllPii.has_recursion, 0
	.set _ZL19rocblas_trsv_deviceILi64ELi16ELb0ELb0ELb0ELb0EffPKfPfEviT7_lllT6_T8_lllPii.has_indirect_call, 0
	.section	.AMDGPU.csdata,"",@progbits
; Kernel info:
; codeLenInByte = 35712
; TotalNumSgprs: 100
; NumVgprs: 28
; ScratchSize: 0
; MemoryBound: 0
; FloatMode: 240
; IeeeMode: 1
; LDSByteSize: 20740 bytes/workgroup (compile time only)
; SGPRBlocks: 12
; VGPRBlocks: 7
; NumSGPRsForWavesPerEU: 100
; NumVGPRsForWavesPerEU: 29
; Occupancy: 8
; WaveLimiterHint : 0
; COMPUTE_PGM_RSRC2:SCRATCH_EN: 0
; COMPUTE_PGM_RSRC2:USER_SGPR: 6
; COMPUTE_PGM_RSRC2:TRAP_HANDLER: 0
; COMPUTE_PGM_RSRC2:TGID_X_EN: 1
; COMPUTE_PGM_RSRC2:TGID_Y_EN: 0
; COMPUTE_PGM_RSRC2:TGID_Z_EN: 1
; COMPUTE_PGM_RSRC2:TIDIG_COMP_CNT: 1
	.section	.text._ZL19rocblas_trsv_deviceILi64ELi16ELb0ELb1ELb0ELb0EffPKfPfEviT7_lllT6_T8_lllPii,"axG",@progbits,_ZL19rocblas_trsv_deviceILi64ELi16ELb0ELb1ELb0ELb0EffPKfPfEviT7_lllT6_T8_lllPii,comdat
	.globl	_ZL19rocblas_trsv_deviceILi64ELi16ELb0ELb1ELb0ELb0EffPKfPfEviT7_lllT6_T8_lllPii ; -- Begin function _ZL19rocblas_trsv_deviceILi64ELi16ELb0ELb1ELb0ELb0EffPKfPfEviT7_lllT6_T8_lllPii
	.p2align	8
	.type	_ZL19rocblas_trsv_deviceILi64ELi16ELb0ELb1ELb0ELb0EffPKfPfEviT7_lllT6_T8_lllPii,@function
_ZL19rocblas_trsv_deviceILi64ELi16ELb0ELb1ELb0ELb0EffPKfPfEviT7_lllT6_T8_lllPii: ; @_ZL19rocblas_trsv_deviceILi64ELi16ELb0ELb1ELb0ELb0EffPKfPfEviT7_lllT6_T8_lllPii
; %bb.0:
	s_mov_b32 s28, s7
	s_load_dwordx8 s[20:27], s[4:5], 0x8
	s_load_dword s7, s[4:5], 0x0
	s_load_dword s81, s[4:5], 0x6c
	v_mov_b32_e32 v2, v1
	s_mov_b32 s29, 0
	s_waitcnt lgkmcnt(0)
	s_mul_i32 s0, s27, s28
	s_mul_hi_u32 s1, s26, s28
	s_add_i32 s1, s1, s0
	s_mul_i32 s0, s26, s28
	s_lshl_b64 s[0:1], s[0:1], 2
	s_add_u32 s2, s20, s0
	s_addc_u32 s3, s21, s1
	s_lshl_b64 s[0:1], s[22:23], 2
	s_add_u32 s95, s2, s0
	s_addc_u32 s80, s3, s1
	s_cmp_eq_u32 s6, 0
	s_cbranch_scc1 .LBB17_10
; %bb.1:
	s_lshl_b32 s33, s6, 6
	v_add_u32_e32 v1, s33, v0
	v_ashrrev_i32_e32 v3, 31, v1
	v_mul_lo_u32 v7, s24, v3
	v_mul_lo_u32 v8, s25, v1
	v_mad_u64_u32 v[5:6], s[0:1], s24, v1, 0
	v_add_u32_e32 v3, s33, v2
	v_subrev_u32_e32 v3, 64, v3
	v_add3_u32 v6, v6, v7, v8
	v_lshlrev_b64 v[5:6], 2, v[5:6]
	v_ashrrev_i32_e32 v4, 31, v3
	v_cmp_gt_i32_e32 vcc, s7, v1
	v_mov_b32_e32 v1, s80
	v_add_co_u32_e64 v7, s[0:1], s95, v5
	v_lshlrev_b64 v[4:5], 2, v[3:4]
	v_addc_co_u32_e64 v1, s[0:1], v1, v6, s[0:1]
	v_add_co_u32_e64 v4, s[0:1], v7, v4
	v_addc_co_u32_e64 v5, s[0:1], v1, v5, s[0:1]
	v_cmp_gt_i32_e64 s[0:1], s7, v3
	s_and_b64 s[2:3], s[0:1], vcc
	v_mov_b32_e32 v7, 0
	v_mov_b32_e32 v8, 0
	s_barrier
	s_and_saveexec_b64 s[0:1], s[2:3]
	s_cbranch_execz .LBB17_3
; %bb.2:
	global_load_dword v8, v[4:5], off
.LBB17_3:
	s_or_b64 exec, exec, s[0:1]
	v_add_u32_e32 v1, 16, v3
	v_cmp_gt_i32_e64 s[0:1], s7, v1
	s_and_b64 s[2:3], s[0:1], vcc
	s_waitcnt vmcnt(0)
	s_barrier
	s_and_saveexec_b64 s[0:1], s[2:3]
	s_cbranch_execz .LBB17_5
; %bb.4:
	global_load_dword v7, v[4:5], off offset:64
.LBB17_5:
	s_or_b64 exec, exec, s[0:1]
	v_add_u32_e32 v1, 32, v3
	v_cmp_gt_i32_e64 s[0:1], s7, v1
	s_and_b64 s[2:3], s[0:1], vcc
	v_mov_b32_e32 v9, 0
	v_mov_b32_e32 v10, 0
	s_waitcnt vmcnt(0)
	s_barrier
	s_and_saveexec_b64 s[0:1], s[2:3]
	s_cbranch_execz .LBB17_7
; %bb.6:
	global_load_dword v10, v[4:5], off offset:128
.LBB17_7:
	s_or_b64 exec, exec, s[0:1]
	v_add_u32_e32 v1, 48, v3
	v_cmp_gt_i32_e64 s[0:1], s7, v1
	s_and_b64 s[2:3], s[0:1], vcc
	s_waitcnt vmcnt(0)
	s_barrier
	s_and_saveexec_b64 s[0:1], s[2:3]
	s_cbranch_execz .LBB17_9
; %bb.8:
	global_load_dword v9, v[4:5], off offset:192
.LBB17_9:
	s_or_b64 exec, exec, s[0:1]
	s_branch .LBB17_11
.LBB17_10:
                                        ; implicit-def: $vgpr9
                                        ; implicit-def: $vgpr10
                                        ; implicit-def: $vgpr7
                                        ; implicit-def: $vgpr8
	s_mov_b32 s33, s29
.LBB17_11:
	s_ashr_i32 s0, s7, 31
	s_lshr_b32 s0, s0, 26
	s_add_i32 s0, s7, s0
	s_andn2_b32 s0, s0, 63
	s_sub_i32 s94, s7, s0
	s_add_i32 s0, s7, -1
	s_ashr_i32 s1, s0, 31
	s_lshr_b32 s1, s1, 26
	s_add_i32 s0, s0, s1
	s_ashr_i32 s0, s0, 6
	s_cmp_eq_u32 s0, s6
	s_cselect_b64 s[0:1], -1, 0
	s_cmp_lg_u32 s94, 0
	s_cselect_b64 s[2:3], -1, 0
	s_and_b64 s[22:23], s[2:3], s[0:1]
	s_cmp_lt_i32 s6, 5
	s_cselect_b64 s[2:3], -1, 0
	s_or_b64 s[0:1], s[2:3], s[22:23]
	s_ashr_i32 s38, s33, 31
	s_add_u32 s10, s24, 1
	v_mov_b32_e32 v1, 0
	v_mov_b32_e32 v3, s33
	v_mad_u64_u32 v[3:4], s[8:9], s10, v3, v[0:1]
	s_addc_u32 s11, s25, 0
	s_mul_i32 s8, s10, s38
	s_mul_i32 s11, s11, s33
	s_add_i32 s8, s8, s11
	s_mov_b64 s[12:13], -1
	v_lshlrev_b32_e32 v11, 6, v0
	v_add_u32_e32 v4, s8, v4
	s_and_b64 vcc, exec, s[22:23]
	v_cmp_le_u32_e64 s[8:9], v2, v0
	s_cbranch_vccnz .LBB17_33
; %bb.12:
	v_mad_u64_u32 v[5:6], s[10:11], s24, v2, v[3:4]
	v_mov_b32_e32 v1, v6
	v_mad_u64_u32 v[12:13], s[10:11], s25, v2, v[1:2]
	s_mov_b64 s[10:11], 0
                                        ; implicit-def: $vgpr1
	v_mov_b32_e32 v6, v12
	s_and_saveexec_b64 s[12:13], s[8:9]
	s_xor_b64 s[8:9], exec, s[12:13]
	s_cbranch_execnz .LBB17_1159
; %bb.13:
	s_andn2_saveexec_b64 s[8:9], s[8:9]
	s_cbranch_execnz .LBB17_1164
.LBB17_14:
	s_or_b64 exec, exec, s[8:9]
	s_and_saveexec_b64 s[8:9], s[10:11]
.LBB17_15:
	v_add_u32_e32 v5, v2, v11
	v_lshl_add_u32 v6, v2, 6, v0
	v_cndmask_b32_e64 v5, v6, v5, s[2:3]
	v_lshlrev_b32_e32 v5, 2, v5
	ds_write_b32 v5, v1
.LBB17_16:
	s_or_b64 exec, exec, s[8:9]
	v_add_u32_e32 v1, 16, v2
	v_mad_u64_u32 v[5:6], s[2:3], s24, v1, v[3:4]
	v_cmp_le_u32_e32 vcc, v1, v0
	s_mov_b64 s[8:9], 0
	v_mad_u64_u32 v[12:13], s[2:3], s25, v1, v[6:7]
	v_mov_b32_e32 v6, v12
                                        ; implicit-def: $vgpr12
	s_and_saveexec_b64 s[2:3], vcc
	s_xor_b64 s[2:3], exec, s[2:3]
	s_cbranch_execnz .LBB17_1165
; %bb.17:
	s_andn2_saveexec_b64 s[2:3], s[2:3]
	s_cbranch_execnz .LBB17_1170
.LBB17_18:
	s_or_b64 exec, exec, s[2:3]
	s_and_saveexec_b64 s[2:3], s[8:9]
.LBB17_19:
	v_add_u32_e32 v5, v1, v11
	v_lshl_add_u32 v1, v1, 6, v0
	v_cndmask_b32_e64 v1, v1, v5, s[0:1]
	v_lshlrev_b32_e32 v1, 2, v1
	ds_write_b32 v1, v12
.LBB17_20:
	s_or_b64 exec, exec, s[2:3]
	v_add_u32_e32 v1, 32, v2
	v_mad_u64_u32 v[5:6], s[2:3], s24, v1, v[3:4]
	v_cmp_le_u32_e32 vcc, v1, v0
	s_mov_b64 s[8:9], 0
	v_mad_u64_u32 v[12:13], s[2:3], s25, v1, v[6:7]
	v_mov_b32_e32 v6, v12
                                        ; implicit-def: $vgpr12
	s_and_saveexec_b64 s[2:3], vcc
	s_xor_b64 s[2:3], exec, s[2:3]
	s_cbranch_execnz .LBB17_1171
; %bb.21:
	s_andn2_saveexec_b64 s[2:3], s[2:3]
	s_cbranch_execnz .LBB17_1176
.LBB17_22:
	s_or_b64 exec, exec, s[2:3]
	s_and_saveexec_b64 s[2:3], s[8:9]
.LBB17_23:
	v_add_u32_e32 v5, v1, v11
	v_lshl_add_u32 v1, v1, 6, v0
	v_cndmask_b32_e64 v1, v1, v5, s[0:1]
	v_lshlrev_b32_e32 v1, 2, v1
	ds_write_b32 v1, v12
.LBB17_24:
	s_or_b64 exec, exec, s[2:3]
	v_add_u32_e32 v12, 48, v2
	v_mad_u64_u32 v[5:6], s[2:3], s24, v12, v[3:4]
	v_cmp_le_u32_e32 vcc, v12, v0
	s_mov_b64 s[10:11], 0
	v_mov_b32_e32 v1, v6
	v_mad_u64_u32 v[13:14], s[2:3], s25, v12, v[1:2]
                                        ; implicit-def: $vgpr1
	v_mov_b32_e32 v6, v13
	s_and_saveexec_b64 s[2:3], vcc
	s_xor_b64 s[2:3], exec, s[2:3]
	s_cbranch_execz .LBB17_30
; %bb.25:
	v_cmp_ne_u32_e32 vcc, v0, v12
	s_mov_b64 s[8:9], 0
	s_and_saveexec_b64 s[10:11], vcc
	s_xor_b64 s[10:11], exec, s[10:11]
; %bb.26:
	v_or_b32_e32 v1, v12, v0
	v_cmp_gt_u32_e32 vcc, 64, v1
	s_and_b64 s[8:9], vcc, exec
                                        ; implicit-def: $vgpr5_vgpr6
; %bb.27:
	s_or_saveexec_b64 s[10:11], s[10:11]
	v_mov_b32_e32 v1, 0
	s_xor_b64 exec, exec, s[10:11]
	s_cbranch_execz .LBB17_29
; %bb.28:
	v_lshlrev_b64 v[5:6], 2, v[5:6]
	v_mov_b32_e32 v1, s80
	v_add_co_u32_e32 v5, vcc, s95, v5
	v_addc_co_u32_e32 v6, vcc, v1, v6, vcc
	global_load_dword v1, v[5:6], off
	s_or_b64 s[8:9], s[8:9], exec
	s_waitcnt vmcnt(0)
	v_div_scale_f32 v5, s[12:13], v1, v1, 1.0
	v_div_scale_f32 v6, vcc, 1.0, v1, 1.0
	v_rcp_f32_e32 v13, v5
	v_fma_f32 v14, -v5, v13, 1.0
	v_fmac_f32_e32 v13, v14, v13
	v_mul_f32_e32 v14, v6, v13
	v_fma_f32 v15, -v5, v14, v6
	v_fmac_f32_e32 v14, v15, v13
	v_fma_f32 v5, -v5, v14, v6
	v_div_fmas_f32 v5, v5, v13, v14
	v_div_fixup_f32 v1, v5, v1, 1.0
.LBB17_29:
	s_or_b64 exec, exec, s[10:11]
	s_and_b64 s[10:11], s[8:9], exec
                                        ; implicit-def: $vgpr5_vgpr6
.LBB17_30:
	s_or_saveexec_b64 s[2:3], s[2:3]
	v_add_u32_e32 v13, v12, v11
	v_lshl_add_u32 v12, v12, 6, v0
	s_xor_b64 exec, exec, s[2:3]
	s_cbranch_execz .LBB17_32
; %bb.31:
	v_lshlrev_b64 v[5:6], 2, v[5:6]
	v_mov_b32_e32 v1, s80
	v_add_co_u32_e32 v5, vcc, s95, v5
	v_addc_co_u32_e32 v6, vcc, v1, v6, vcc
	global_load_dword v1, v[5:6], off
	s_or_b64 s[10:11], s[10:11], exec
	s_waitcnt vmcnt(0)
	v_xor_b32_e32 v1, 0x80000000, v1
.LBB17_32:
	s_or_b64 exec, exec, s[2:3]
	v_cndmask_b32_e64 v5, v12, v13, s[0:1]
	s_branch .LBB17_55
.LBB17_33:
	s_mov_b64 s[10:11], 0
                                        ; implicit-def: $vgpr1
                                        ; implicit-def: $vgpr5
	s_and_b64 vcc, exec, s[12:13]
	s_cbranch_vccz .LBB17_55
; %bb.34:
	v_mad_u64_u32 v[5:6], s[2:3], s24, v2, v[3:4]
	v_cmp_le_u32_e32 vcc, v2, v0
	v_cmp_gt_i32_e64 s[2:3], s94, v0
	v_mov_b32_e32 v1, v6
	v_mad_u64_u32 v[12:13], s[8:9], s25, v2, v[1:2]
	v_max_i32_e32 v1, v2, v0
	v_cmp_le_i32_e64 s[8:9], s94, v1
	v_mov_b32_e32 v6, v12
	s_or_b64 s[8:9], s[8:9], vcc
	s_mov_b64 s[12:13], 0
                                        ; implicit-def: $vgpr1
	s_and_saveexec_b64 s[14:15], s[8:9]
	s_xor_b64 s[8:9], exec, s[14:15]
	s_cbranch_execnz .LBB17_1177
; %bb.35:
	s_andn2_saveexec_b64 s[8:9], s[8:9]
	s_cbranch_execnz .LBB17_1182
.LBB17_36:
	s_or_b64 exec, exec, s[8:9]
	s_and_saveexec_b64 s[8:9], s[12:13]
.LBB17_37:
	v_lshlrev_b32_e32 v5, 2, v11
	v_lshl_add_u32 v5, v2, 2, v5
	ds_write_b32 v5, v1
.LBB17_38:
	s_or_b64 exec, exec, s[8:9]
	v_add_u32_e32 v1, 16, v2
	v_mad_u64_u32 v[5:6], s[8:9], s24, v1, v[3:4]
	v_cmp_gt_u32_e32 vcc, v1, v0
	s_mov_b64 s[12:13], 0
	v_mad_u64_u32 v[12:13], s[8:9], s25, v1, v[6:7]
	v_cmp_gt_i32_e64 s[8:9], s94, v1
	s_and_b64 s[8:9], vcc, s[8:9]
	s_and_b64 s[8:9], s[2:3], s[8:9]
	v_mov_b32_e32 v6, v12
	s_xor_b64 s[8:9], s[8:9], -1
                                        ; implicit-def: $vgpr12
	s_and_saveexec_b64 s[14:15], s[8:9]
	s_xor_b64 s[8:9], exec, s[14:15]
	s_cbranch_execnz .LBB17_1183
; %bb.39:
	s_andn2_saveexec_b64 s[8:9], s[8:9]
	s_cbranch_execnz .LBB17_1188
.LBB17_40:
	s_or_b64 exec, exec, s[8:9]
	s_and_saveexec_b64 s[8:9], s[12:13]
.LBB17_41:
	v_add_u32_e32 v5, v1, v11
	v_lshl_add_u32 v1, v1, 6, v0
	v_cndmask_b32_e64 v1, v1, v5, s[0:1]
	v_lshlrev_b32_e32 v1, 2, v1
	ds_write_b32 v1, v12
.LBB17_42:
	s_or_b64 exec, exec, s[8:9]
	v_add_u32_e32 v1, 32, v2
	v_mad_u64_u32 v[5:6], s[8:9], s24, v1, v[3:4]
	v_cmp_gt_u32_e32 vcc, v1, v0
	s_mov_b64 s[12:13], 0
	v_mad_u64_u32 v[12:13], s[8:9], s25, v1, v[6:7]
	v_cmp_gt_i32_e64 s[8:9], s94, v1
	s_and_b64 s[8:9], vcc, s[8:9]
	s_and_b64 s[8:9], s[2:3], s[8:9]
	v_mov_b32_e32 v6, v12
	s_xor_b64 s[8:9], s[8:9], -1
                                        ; implicit-def: $vgpr12
	s_and_saveexec_b64 s[14:15], s[8:9]
	s_xor_b64 s[8:9], exec, s[14:15]
	s_cbranch_execnz .LBB17_1189
; %bb.43:
	s_andn2_saveexec_b64 s[8:9], s[8:9]
	s_cbranch_execnz .LBB17_1194
.LBB17_44:
	s_or_b64 exec, exec, s[8:9]
	s_and_saveexec_b64 s[8:9], s[12:13]
.LBB17_45:
	v_add_u32_e32 v5, v1, v11
	v_lshl_add_u32 v1, v1, 6, v0
	v_cndmask_b32_e64 v1, v1, v5, s[0:1]
	v_lshlrev_b32_e32 v1, 2, v1
	ds_write_b32 v1, v12
.LBB17_46:
	s_or_b64 exec, exec, s[8:9]
	v_add_u32_e32 v5, 48, v2
	v_mad_u64_u32 v[3:4], s[8:9], s24, v5, v[3:4]
	v_cmp_gt_u32_e32 vcc, v5, v0
	v_mov_b32_e32 v1, v4
	v_mad_u64_u32 v[12:13], s[8:9], s25, v5, v[1:2]
	v_cmp_gt_i32_e64 s[8:9], s94, v5
	s_and_b64 s[8:9], vcc, s[8:9]
	s_and_b64 s[8:9], s[2:3], s[8:9]
	v_mov_b32_e32 v4, v12
	s_xor_b64 s[8:9], s[8:9], -1
                                        ; implicit-def: $vgpr1
	s_and_saveexec_b64 s[12:13], s[8:9]
	s_xor_b64 s[8:9], exec, s[12:13]
	s_cbranch_execz .LBB17_52
; %bb.47:
	v_cmp_ne_u32_e32 vcc, v0, v5
	s_xor_b64 s[2:3], s[2:3], -1
	s_or_b64 s[12:13], s[2:3], vcc
	s_mov_b64 s[2:3], s[10:11]
	s_and_saveexec_b64 s[14:15], s[12:13]
	s_xor_b64 s[12:13], exec, s[14:15]
; %bb.48:
	v_or_b32_e32 v1, v5, v0
	v_cmp_gt_u32_e32 vcc, 64, v1
	s_andn2_b64 s[2:3], s[10:11], exec
	s_and_b64 s[14:15], vcc, exec
	s_or_b64 s[2:3], s[2:3], s[14:15]
                                        ; implicit-def: $vgpr3_vgpr4
; %bb.49:
	s_or_saveexec_b64 s[12:13], s[12:13]
	v_mov_b32_e32 v1, 0
	s_xor_b64 exec, exec, s[12:13]
	s_cbranch_execz .LBB17_51
; %bb.50:
	v_lshlrev_b64 v[3:4], 2, v[3:4]
	v_mov_b32_e32 v1, s80
	v_add_co_u32_e32 v3, vcc, s95, v3
	v_addc_co_u32_e32 v4, vcc, v1, v4, vcc
	global_load_dword v1, v[3:4], off
	s_or_b64 s[2:3], s[2:3], exec
	s_waitcnt vmcnt(0)
	v_div_scale_f32 v3, s[14:15], v1, v1, 1.0
	v_div_scale_f32 v4, vcc, 1.0, v1, 1.0
	v_rcp_f32_e32 v6, v3
	v_fma_f32 v12, -v3, v6, 1.0
	v_fmac_f32_e32 v6, v12, v6
	v_mul_f32_e32 v12, v4, v6
	v_fma_f32 v13, -v3, v12, v4
	v_fmac_f32_e32 v12, v13, v6
	v_fma_f32 v3, -v3, v12, v4
	v_div_fmas_f32 v3, v3, v6, v12
	v_div_fixup_f32 v1, v3, v1, 1.0
.LBB17_51:
	s_or_b64 exec, exec, s[12:13]
	s_andn2_b64 s[10:11], s[10:11], exec
	s_and_b64 s[2:3], s[2:3], exec
	s_or_b64 s[10:11], s[10:11], s[2:3]
                                        ; implicit-def: $vgpr3_vgpr4
.LBB17_52:
	s_or_saveexec_b64 s[2:3], s[8:9]
	v_add_u32_e32 v6, v5, v11
	v_lshl_add_u32 v5, v5, 6, v0
	s_xor_b64 exec, exec, s[2:3]
	s_cbranch_execz .LBB17_54
; %bb.53:
	v_lshlrev_b64 v[3:4], 2, v[3:4]
	v_mov_b32_e32 v1, s80
	v_add_co_u32_e32 v3, vcc, s95, v3
	v_addc_co_u32_e32 v4, vcc, v1, v4, vcc
	global_load_dword v1, v[3:4], off
	s_or_b64 s[10:11], s[10:11], exec
	s_waitcnt vmcnt(0)
	v_xor_b32_e32 v1, 0x80000000, v1
.LBB17_54:
	s_or_b64 exec, exec, s[2:3]
	v_cndmask_b32_e64 v5, v5, v6, s[0:1]
.LBB17_55:
	s_xor_b64 s[0:1], s[0:1], -1
	s_and_saveexec_b64 s[2:3], s[10:11]
; %bb.56:
	v_lshlrev_b32_e32 v3, 2, v5
	ds_write_b32 v3, v1
; %bb.57:
	s_or_b64 exec, exec, s[2:3]
	v_cndmask_b32_e64 v1, 0, 1, s[0:1]
	v_cmp_ne_u32_e64 s[50:51], 1, v1
	s_andn2_b64 vcc, exec, s[0:1]
	s_waitcnt vmcnt(0) lgkmcnt(0)
	s_barrier
	s_cbranch_vccnz .LBB17_1095
; %bb.58:
	v_or_b32_e32 v1, v0, v2
	v_cmp_eq_u32_e32 vcc, 0, v1
	s_and_saveexec_b64 s[0:1], vcc
	s_cbranch_execz .LBB17_60
; %bb.59:
	v_mov_b32_e32 v1, 0
	ds_read_b64 v[3:4], v1 offset:16376
	ds_read_b32 v1, v1 offset:16120
	s_movk_i32 s2, 0x3c00
	s_waitcnt lgkmcnt(0)
	v_mul_f32_e32 v1, v1, v4
	v_mul_f32_e32 v1, v3, v1
	v_add_u32_e64 v3, s2, 0
	ds_write2_b32 v3, v1, v1 offset0:191 offset1:254
.LBB17_60:
	s_or_b64 exec, exec, s[0:1]
	v_lshlrev_b32_e32 v3, 6, v2
	v_add_u32_e32 v5, v3, v0
	v_and_b32_e32 v4, v3, v0
	v_xor_b32_e32 v3, v3, v0
	v_lshrrev_b16_e32 v3, 1, v3
	v_add_u16_e32 v4, v4, v3
	v_and_b32_e32 v1, 1, v0
	v_sub_u32_e32 v3, 1, v4
	v_cmp_lt_u32_e64 s[8:9], 3, v5
	v_cmp_gt_u32_e64 s[2:3], 4, v5
	v_mov_b32_e32 v6, 0
	s_waitcnt lgkmcnt(0)
	s_barrier
	buffer_wbinvl1_vol
	s_and_saveexec_b64 s[0:1], s[2:3]
	s_cbranch_execz .LBB17_64
; %bb.61:
	v_lshlrev_b32_e32 v6, 8, v3
	v_lshlrev_b32_e32 v11, 2, v1
	ds_read_b32 v12, v11 offset:16112
	ds_read_b32 v6, v6 offset:16120
	v_mov_b32_e32 v11, 0
	v_cmp_gt_u32_e64 s[10:11], 2, v5
	s_waitcnt lgkmcnt(0)
	v_fma_f32 v6, v12, v6, 0
	s_and_saveexec_b64 s[12:13], s[10:11]
	s_cbranch_execz .LBB17_63
; %bb.62:
	v_lshlrev_b32_e32 v12, 2, v0
	ds_read_b32 v12, v12 offset:16368
	ds_read_b32 v11, v11 offset:16380
	s_waitcnt lgkmcnt(0)
	v_fmac_f32_e32 v6, v12, v11
.LBB17_63:
	s_or_b64 exec, exec, s[12:13]
.LBB17_64:
	s_or_b64 exec, exec, s[0:1]
	v_mov_b32_e32 v11, 0x4000
	v_cmp_ne_u32_e64 s[10:11], 0, v1
	s_xor_b64 s[0:1], s[8:9], -1
	v_lshl_add_u32 v4, v4, 2, v11
	s_and_b64 s[30:31], s[10:11], s[0:1]
	s_and_saveexec_b64 s[8:9], s[30:31]
	s_cbranch_execz .LBB17_66
; %bb.65:
	v_mov_b32_e32 v11, 0
	ds_read_b32 v11, v11 offset:15860
	s_waitcnt lgkmcnt(0)
	v_mul_f32_e32 v6, v6, v11
	v_xor_b32_e32 v11, 0x80000000, v6
	ds_write_b32 v4, v11
.LBB17_66:
	s_or_b64 exec, exec, s[8:9]
	v_cmp_eq_u32_e64 s[8:9], 0, v1
	s_and_b64 s[26:27], s[8:9], s[0:1]
	s_waitcnt lgkmcnt(0)
	s_barrier
	s_and_saveexec_b64 s[0:1], s[26:27]
	s_cbranch_execz .LBB17_68
; %bb.67:
	v_mov_b32_e32 v11, 0
	ds_read_b32 v11, v11 offset:15856
	ds_read_b32 v12, v4
	s_waitcnt lgkmcnt(0)
	v_fma_f32 v6, -v11, v12, v6
.LBB17_68:
	s_or_b64 exec, exec, s[0:1]
	s_barrier
	s_and_saveexec_b64 s[0:1], s[26:27]
	s_cbranch_execz .LBB17_70
; %bb.69:
	v_mov_b32_e32 v11, 0
	ds_read_b32 v11, v11 offset:15600
	s_waitcnt lgkmcnt(0)
	v_mul_f32_e32 v6, v6, v11
	v_xor_b32_e32 v11, 0x80000000, v6
	ds_write_b32 v4, v11
.LBB17_70:
	s_or_b64 exec, exec, s[0:1]
	s_waitcnt lgkmcnt(0)
	s_barrier
	s_barrier
	s_and_saveexec_b64 s[0:1], s[2:3]
; %bb.71:
	v_lshlrev_b32_e32 v11, 2, v1
	v_lshl_or_b32 v11, v3, 8, v11
	ds_write_b32 v11, v6 offset:16112
; %bb.72:
	s_or_b64 exec, exec, s[0:1]
	v_cmp_eq_u32_e64 s[12:13], 0, v2
	v_cmp_gt_u32_e64 s[8:9], 2, v0
	s_and_b64 s[34:35], s[12:13], s[8:9]
	s_waitcnt lgkmcnt(0)
	s_barrier
	s_barrier
	s_and_saveexec_b64 s[0:1], s[34:35]
	s_cbranch_execz .LBB17_74
; %bb.73:
	v_lshlrev_b32_e32 v6, 2, v0
	s_movk_i32 s8, 0xfc
	v_mad_u32_u24 v11, v0, s8, v6
	ds_read_b32 v12, v11 offset:16112
	s_waitcnt lgkmcnt(0)
	ds_write_b32 v6, v12 offset:15608
	ds_read_b32 v11, v11 offset:16116
	s_waitcnt lgkmcnt(0)
	ds_write_b32 v6, v11 offset:15864
.LBB17_74:
	s_or_b64 exec, exec, s[0:1]
	s_waitcnt lgkmcnt(0)
	s_barrier
	s_and_saveexec_b64 s[0:1], vcc
	s_cbranch_execz .LBB17_76
; %bb.75:
	v_mov_b32_e32 v6, 0
	ds_read_b64 v[11:12], v6 offset:15856
	ds_read_b32 v6, v6 offset:15600
	s_movk_i32 s8, 0x3c00
	s_waitcnt lgkmcnt(0)
	v_mul_f32_e32 v6, v6, v12
	v_mul_f32_e32 v6, v11, v6
	v_add_u32_e64 v11, s8, 0
	ds_write2_b32 v11, v6, v6 offset0:61 offset1:124
.LBB17_76:
	s_or_b64 exec, exec, s[0:1]
	v_lshrrev_b32_e32 v12, 2, v5
	v_and_b32_e32 v6, 3, v0
	v_sub_u32_e32 v11, 3, v12
	v_cmp_lt_u32_e64 s[8:9], 15, v5
	v_cmp_gt_u32_e64 s[18:19], 16, v5
	v_mov_b32_e32 v13, 0
	s_waitcnt lgkmcnt(0)
	s_barrier
	buffer_wbinvl1_vol
	s_and_saveexec_b64 s[0:1], s[18:19]
	s_cbranch_execz .LBB17_82
; %bb.77:
	v_lshlrev_b32_e32 v15, 2, v6
	v_lshlrev_b32_e32 v14, 8, v11
	ds_read_b32 v13, v15 offset:15584
	ds_read_b32 v16, v14 offset:15600
	v_cmp_gt_u32_e64 s[10:11], 12, v5
	s_waitcnt lgkmcnt(0)
	v_fma_f32 v13, v13, v16, 0
	s_and_saveexec_b64 s[14:15], s[10:11]
	s_cbranch_execnz .LBB17_1206
; %bb.78:
	s_or_b64 exec, exec, s[14:15]
	v_cmp_gt_u32_e64 s[10:11], 8, v5
	s_and_saveexec_b64 s[14:15], s[10:11]
	s_cbranch_execnz .LBB17_1207
.LBB17_79:
	s_or_b64 exec, exec, s[14:15]
	v_cmp_gt_u32_e64 s[10:11], 4, v5
	s_and_saveexec_b64 s[14:15], s[10:11]
	s_cbranch_execz .LBB17_81
.LBB17_80:
	v_lshlrev_b32_e32 v14, 2, v0
	v_mov_b32_e32 v15, 0
	ds_read_b32 v14, v14 offset:16352
	ds_read_b32 v15, v15 offset:16380
	s_waitcnt lgkmcnt(0)
	v_fmac_f32_e32 v13, v14, v15
.LBB17_81:
	s_or_b64 exec, exec, s[14:15]
.LBB17_82:
                                        ; implicit-def: $vgpr27 : SGPR spill to VGPR lane
	v_writelane_b32 v27, s38, 0
	s_or_b64 exec, exec, s[0:1]
	v_mov_b32_e32 v14, 0x4000
	v_cmp_eq_u32_e64 s[10:11], 3, v6
	s_xor_b64 s[0:1], s[8:9], -1
	v_lshl_add_u32 v12, v12, 2, v14
	s_and_b64 s[38:39], s[10:11], s[0:1]
	s_and_saveexec_b64 s[8:9], s[38:39]
	s_cbranch_execz .LBB17_84
; %bb.83:
	v_mov_b32_e32 v14, 0
	ds_read_b32 v14, v14 offset:15340
	s_waitcnt lgkmcnt(0)
	v_mul_f32_e32 v13, v13, v14
	v_xor_b32_e32 v14, 0x80000000, v13
	ds_write_b32 v12, v14
.LBB17_84:
	s_or_b64 exec, exec, s[8:9]
	v_cmp_ne_u32_e64 s[8:9], 3, v6
	s_and_b64 s[40:41], s[8:9], s[0:1]
	s_waitcnt lgkmcnt(0)
	s_barrier
	s_and_saveexec_b64 s[8:9], s[40:41]
	s_cbranch_execz .LBB17_86
; %bb.85:
	v_lshlrev_b32_e32 v14, 2, v6
	ds_read_b32 v14, v14 offset:15328
	ds_read_b32 v15, v12
	s_waitcnt lgkmcnt(0)
	v_fma_f32 v13, -v14, v15, v13
.LBB17_86:
	s_or_b64 exec, exec, s[8:9]
	v_cmp_eq_u32_e64 s[8:9], 2, v6
	s_and_b64 s[42:43], s[8:9], s[0:1]
	s_barrier
	s_and_saveexec_b64 s[8:9], s[42:43]
	s_cbranch_execz .LBB17_88
; %bb.87:
	v_mov_b32_e32 v14, 0
	ds_read_b32 v14, v14 offset:15080
	s_waitcnt lgkmcnt(0)
	v_mul_f32_e32 v13, v13, v14
	v_xor_b32_e32 v14, 0x80000000, v13
	ds_write_b32 v12, v14
.LBB17_88:
	s_or_b64 exec, exec, s[8:9]
	v_cmp_gt_u32_e64 s[8:9], 2, v6
	s_and_b64 s[44:45], s[8:9], s[0:1]
	s_waitcnt lgkmcnt(0)
	s_barrier
	s_and_saveexec_b64 s[8:9], s[44:45]
	s_cbranch_execz .LBB17_90
; %bb.89:
	v_lshlrev_b32_e32 v14, 2, v6
	ds_read_b32 v14, v14 offset:15072
	ds_read_b32 v15, v12
	s_waitcnt lgkmcnt(0)
	v_fma_f32 v13, -v14, v15, v13
.LBB17_90:
	s_or_b64 exec, exec, s[8:9]
	v_cmp_eq_u32_e64 s[8:9], 1, v6
	s_and_b64 s[46:47], s[8:9], s[0:1]
	s_barrier
	s_and_saveexec_b64 s[8:9], s[46:47]
	s_cbranch_execz .LBB17_92
; %bb.91:
	v_mov_b32_e32 v14, 0
	ds_read_b32 v14, v14 offset:14820
	s_waitcnt lgkmcnt(0)
	v_mul_f32_e32 v13, v13, v14
	v_xor_b32_e32 v14, 0x80000000, v13
	ds_write_b32 v12, v14
.LBB17_92:
	s_or_b64 exec, exec, s[8:9]
	v_cmp_eq_u32_e64 s[8:9], 0, v6
	s_and_b64 s[36:37], s[8:9], s[0:1]
	s_waitcnt lgkmcnt(0)
	s_barrier
	s_and_saveexec_b64 s[0:1], s[36:37]
	s_cbranch_execz .LBB17_94
; %bb.93:
	v_mov_b32_e32 v14, 0
	ds_read_b32 v14, v14 offset:14816
	ds_read_b32 v15, v12
	s_waitcnt lgkmcnt(0)
	v_fma_f32 v13, -v14, v15, v13
.LBB17_94:
	s_or_b64 exec, exec, s[0:1]
	s_barrier
	s_and_saveexec_b64 s[0:1], s[36:37]
	s_cbranch_execz .LBB17_96
; %bb.95:
	v_mov_b32_e32 v14, 0
	ds_read_b32 v14, v14 offset:14560
	s_waitcnt lgkmcnt(0)
	v_mul_f32_e32 v13, v13, v14
	v_xor_b32_e32 v14, 0x80000000, v13
	ds_write_b32 v12, v14
.LBB17_96:
	s_or_b64 exec, exec, s[0:1]
	s_waitcnt lgkmcnt(0)
	s_barrier
	s_barrier
	s_and_saveexec_b64 s[0:1], s[18:19]
; %bb.97:
	v_lshlrev_b32_e32 v14, 2, v6
	v_lshl_or_b32 v14, v11, 8, v14
	ds_write_b32 v14, v13 offset:15584
; %bb.98:
	s_or_b64 exec, exec, s[0:1]
	v_cmp_gt_u32_e64 s[8:9], 4, v0
	s_and_b64 s[48:49], s[12:13], s[8:9]
	s_waitcnt lgkmcnt(0)
	s_barrier
	s_barrier
	s_and_saveexec_b64 s[0:1], s[48:49]
	s_cbranch_execz .LBB17_100
; %bb.99:
	v_lshlrev_b32_e32 v13, 8, v0
	ds_read_b32 v14, v13 offset:15584
	s_movk_i32 s8, 0xff04
	v_mad_i32_i24 v15, v0, s8, v13
	s_waitcnt lgkmcnt(0)
	ds_write_b32 v15, v14 offset:14576
	ds_read_b32 v14, v13 offset:15588
	s_waitcnt lgkmcnt(0)
	ds_write_b32 v15, v14 offset:14832
	ds_read_b32 v14, v13 offset:15592
	;; [unrolled: 3-line block ×3, first 2 shown]
	s_waitcnt lgkmcnt(0)
	ds_write_b32 v15, v13 offset:15344
.LBB17_100:
	s_or_b64 exec, exec, s[0:1]
	s_waitcnt lgkmcnt(0)
	s_barrier
	s_and_saveexec_b64 s[0:1], vcc
	s_cbranch_execz .LBB17_102
; %bb.101:
	v_mov_b32_e32 v15, 0
	ds_read_b64 v[13:14], v15 offset:15336
	ds_read_b32 v15, v15 offset:15080
	s_movk_i32 s8, 0x3800
	s_waitcnt lgkmcnt(0)
	v_mul_f32_e32 v14, v15, v14
	v_mul_f32_e32 v13, v13, v14
	v_add_u32_e64 v14, s8, 0
	ds_write2_b32 v14, v13, v13 offset0:187 offset1:250
.LBB17_102:
	s_or_b64 exec, exec, s[0:1]
	v_mov_b32_e32 v13, 0
	s_waitcnt lgkmcnt(0)
	s_barrier
	buffer_wbinvl1_vol
	s_and_saveexec_b64 s[0:1], s[2:3]
	s_cbranch_execz .LBB17_106
; %bb.103:
	v_lshlrev_b32_e32 v13, 8, v3
	v_lshlrev_b32_e32 v14, 2, v1
	ds_read_b32 v15, v14 offset:15072
	ds_read_b32 v13, v13 offset:15080
	v_mov_b32_e32 v14, 0
	v_cmp_gt_u32_e64 s[8:9], 2, v5
	s_waitcnt lgkmcnt(0)
	v_fma_f32 v13, v15, v13, 0
	s_and_saveexec_b64 s[10:11], s[8:9]
	s_cbranch_execz .LBB17_105
; %bb.104:
	v_lshlrev_b32_e32 v15, 2, v0
	ds_read_b32 v15, v15 offset:15328
	ds_read_b32 v14, v14 offset:15340
	s_waitcnt lgkmcnt(0)
	v_fmac_f32_e32 v13, v15, v14
.LBB17_105:
	s_or_b64 exec, exec, s[10:11]
.LBB17_106:
	s_or_b64 exec, exec, s[0:1]
	s_and_saveexec_b64 s[0:1], s[30:31]
	s_cbranch_execz .LBB17_108
; %bb.107:
	v_mov_b32_e32 v14, 0
	ds_read_b32 v14, v14 offset:14820
	s_waitcnt lgkmcnt(0)
	v_mul_f32_e32 v13, v13, v14
	v_xor_b32_e32 v14, 0x80000000, v13
	ds_write_b32 v4, v14
.LBB17_108:
	s_or_b64 exec, exec, s[0:1]
	s_waitcnt lgkmcnt(0)
	s_barrier
	s_and_saveexec_b64 s[0:1], s[26:27]
	s_cbranch_execz .LBB17_110
; %bb.109:
	v_mov_b32_e32 v14, 0
	ds_read_b32 v14, v14 offset:14816
	ds_read_b32 v15, v4
	s_waitcnt lgkmcnt(0)
	v_fma_f32 v13, -v14, v15, v13
.LBB17_110:
	s_or_b64 exec, exec, s[0:1]
	s_barrier
	s_and_saveexec_b64 s[0:1], s[26:27]
	s_cbranch_execz .LBB17_112
; %bb.111:
	v_mov_b32_e32 v14, 0
	ds_read_b32 v14, v14 offset:14560
	s_waitcnt lgkmcnt(0)
	v_mul_f32_e32 v13, v13, v14
	v_xor_b32_e32 v14, 0x80000000, v13
	ds_write_b32 v4, v14
.LBB17_112:
	s_or_b64 exec, exec, s[0:1]
	s_waitcnt lgkmcnt(0)
	s_barrier
	s_barrier
	s_and_saveexec_b64 s[0:1], s[2:3]
; %bb.113:
	v_lshlrev_b32_e32 v14, 2, v1
	v_lshl_or_b32 v14, v3, 8, v14
	ds_write_b32 v14, v13 offset:15072
; %bb.114:
	s_or_b64 exec, exec, s[0:1]
	s_waitcnt lgkmcnt(0)
	s_barrier
	s_barrier
	s_and_saveexec_b64 s[0:1], s[34:35]
	s_cbranch_execz .LBB17_116
; %bb.115:
	v_lshlrev_b32_e32 v13, 2, v0
	s_movk_i32 s8, 0xfc
	v_mad_u32_u24 v14, v0, s8, v13
	ds_read_b32 v15, v14 offset:15072
	s_waitcnt lgkmcnt(0)
	ds_write_b32 v13, v15 offset:14568
	ds_read_b32 v14, v14 offset:15076
	s_waitcnt lgkmcnt(0)
	ds_write_b32 v13, v14 offset:14824
.LBB17_116:
	s_or_b64 exec, exec, s[0:1]
	s_waitcnt lgkmcnt(0)
	s_barrier
	s_and_saveexec_b64 s[0:1], vcc
	s_cbranch_execz .LBB17_118
; %bb.117:
	v_mov_b32_e32 v15, 0
	ds_read_b64 v[13:14], v15 offset:14816
	ds_read_b32 v15, v15 offset:14560
	s_movk_i32 s8, 0x3800
	s_waitcnt lgkmcnt(0)
	v_mul_f32_e32 v14, v15, v14
	v_mul_f32_e32 v13, v13, v14
	v_add_u32_e64 v14, s8, 0
	ds_write2_b32 v14, v13, v13 offset0:57 offset1:120
.LBB17_118:
	s_or_b64 exec, exec, s[0:1]
	v_lshrrev_b32_e32 v15, 3, v5
	v_and_b32_e32 v13, 7, v0
	v_sub_u32_e32 v14, 7, v15
	v_cmp_lt_u32_e64 s[10:11], 63, v5
	v_cmp_gt_u32_e64 s[8:9], 64, v5
	v_mov_b32_e32 v16, 0
	s_waitcnt lgkmcnt(0)
	s_barrier
	buffer_wbinvl1_vol
	s_and_saveexec_b64 s[0:1], s[8:9]
	s_cbranch_execz .LBB17_128
; %bb.119:
	v_lshlrev_b32_e32 v18, 2, v13
	v_lshlrev_b32_e32 v17, 8, v14
	ds_read_b32 v16, v18 offset:14528
	ds_read_b32 v19, v17 offset:14560
	v_cmp_gt_u32_e64 s[14:15], 56, v5
	s_waitcnt lgkmcnt(0)
	v_fma_f32 v16, v16, v19, 0
	s_and_saveexec_b64 s[16:17], s[14:15]
	s_cbranch_execnz .LBB17_1208
; %bb.120:
	s_or_b64 exec, exec, s[16:17]
	v_cmp_gt_u32_e64 s[14:15], 48, v5
	s_and_saveexec_b64 s[16:17], s[14:15]
	s_cbranch_execnz .LBB17_1209
.LBB17_121:
	s_or_b64 exec, exec, s[16:17]
	v_cmp_gt_u32_e64 s[14:15], 40, v5
	s_and_saveexec_b64 s[16:17], s[14:15]
	s_cbranch_execnz .LBB17_1210
.LBB17_122:
	s_or_b64 exec, exec, s[16:17]
	v_cmp_gt_u32_e64 s[14:15], 32, v5
	s_and_saveexec_b64 s[16:17], s[14:15]
	s_cbranch_execnz .LBB17_1211
.LBB17_123:
	s_or_b64 exec, exec, s[16:17]
	v_cmp_gt_u32_e64 s[14:15], 24, v5
	s_and_saveexec_b64 s[16:17], s[14:15]
	s_cbranch_execnz .LBB17_1212
.LBB17_124:
	s_or_b64 exec, exec, s[16:17]
	s_and_saveexec_b64 s[14:15], s[18:19]
	s_cbranch_execnz .LBB17_1213
.LBB17_125:
	s_or_b64 exec, exec, s[14:15]
	v_cmp_gt_u32_e64 s[14:15], 8, v5
	s_and_saveexec_b64 s[16:17], s[14:15]
	s_cbranch_execz .LBB17_127
.LBB17_126:
	v_lshlrev_b32_e32 v17, 2, v0
	v_mov_b32_e32 v18, 0
	ds_read_b32 v17, v17 offset:16320
	ds_read_b32 v18, v18 offset:16380
	s_waitcnt lgkmcnt(0)
	v_fmac_f32_e32 v16, v17, v18
.LBB17_127:
	s_or_b64 exec, exec, s[16:17]
.LBB17_128:
	v_writelane_b32 v27, s50, 1
	v_writelane_b32 v27, s51, 2
	s_or_b64 exec, exec, s[0:1]
	v_mov_b32_e32 v17, 0x4000
	v_cmp_eq_u32_e64 s[14:15], 7, v13
	s_xor_b64 s[0:1], s[10:11], -1
	v_lshl_add_u32 v15, v15, 2, v17
	s_and_b64 s[50:51], s[14:15], s[0:1]
	s_and_saveexec_b64 s[10:11], s[50:51]
	s_cbranch_execz .LBB17_130
; %bb.129:
	v_mov_b32_e32 v17, 0
	ds_read_b32 v17, v17 offset:14300
	s_waitcnt lgkmcnt(0)
	v_mul_f32_e32 v16, v16, v17
	v_xor_b32_e32 v17, 0x80000000, v16
	ds_write_b32 v15, v17
.LBB17_130:
	s_or_b64 exec, exec, s[10:11]
	v_cmp_ne_u32_e64 s[10:11], 7, v13
	s_and_b64 s[52:53], s[10:11], s[0:1]
	s_waitcnt lgkmcnt(0)
	s_barrier
	s_and_saveexec_b64 s[10:11], s[52:53]
	s_cbranch_execz .LBB17_132
; %bb.131:
	v_lshlrev_b32_e32 v17, 2, v13
	ds_read_b32 v17, v17 offset:14272
	ds_read_b32 v18, v15
	s_waitcnt lgkmcnt(0)
	v_fma_f32 v16, -v17, v18, v16
.LBB17_132:
	s_or_b64 exec, exec, s[10:11]
	v_cmp_eq_u32_e64 s[10:11], 6, v13
	s_and_b64 s[54:55], s[10:11], s[0:1]
	s_barrier
	s_and_saveexec_b64 s[10:11], s[54:55]
	s_cbranch_execz .LBB17_134
; %bb.133:
	v_mov_b32_e32 v17, 0
	ds_read_b32 v17, v17 offset:14040
	s_waitcnt lgkmcnt(0)
	v_mul_f32_e32 v16, v16, v17
	v_xor_b32_e32 v17, 0x80000000, v16
	ds_write_b32 v15, v17
.LBB17_134:
	s_or_b64 exec, exec, s[10:11]
	v_cmp_gt_u32_e64 s[10:11], 6, v13
	s_and_b64 s[56:57], s[10:11], s[0:1]
	s_waitcnt lgkmcnt(0)
	s_barrier
	s_and_saveexec_b64 s[10:11], s[56:57]
	s_cbranch_execz .LBB17_136
; %bb.135:
	v_lshlrev_b32_e32 v17, 2, v13
	ds_read_b32 v17, v17 offset:14016
	ds_read_b32 v18, v15
	s_waitcnt lgkmcnt(0)
	v_fma_f32 v16, -v17, v18, v16
.LBB17_136:
	s_or_b64 exec, exec, s[10:11]
	v_cmp_eq_u32_e64 s[10:11], 5, v13
	s_and_b64 s[58:59], s[10:11], s[0:1]
	s_barrier
	s_and_saveexec_b64 s[10:11], s[58:59]
	s_cbranch_execz .LBB17_138
; %bb.137:
	v_mov_b32_e32 v17, 0
	ds_read_b32 v17, v17 offset:13780
	s_waitcnt lgkmcnt(0)
	v_mul_f32_e32 v16, v16, v17
	v_xor_b32_e32 v17, 0x80000000, v16
	ds_write_b32 v15, v17
.LBB17_138:
	s_or_b64 exec, exec, s[10:11]
	v_cmp_gt_u32_e64 s[10:11], 5, v13
	;; [unrolled: 28-line block ×5, first 2 shown]
	s_and_b64 s[74:75], s[10:11], s[0:1]
	s_waitcnt lgkmcnt(0)
	s_barrier
	s_and_saveexec_b64 s[10:11], s[74:75]
	s_cbranch_execz .LBB17_152
; %bb.151:
	v_lshlrev_b32_e32 v17, 2, v13
	ds_read_b32 v17, v17 offset:12992
	ds_read_b32 v18, v15
	s_waitcnt lgkmcnt(0)
	v_fma_f32 v16, -v17, v18, v16
.LBB17_152:
	s_or_b64 exec, exec, s[10:11]
	v_cmp_eq_u32_e64 s[10:11], 1, v13
	s_and_b64 s[76:77], s[10:11], s[0:1]
	s_barrier
	s_and_saveexec_b64 s[10:11], s[76:77]
	s_cbranch_execz .LBB17_154
; %bb.153:
	v_mov_b32_e32 v17, 0
	ds_read_b32 v17, v17 offset:12740
	s_waitcnt lgkmcnt(0)
	v_mul_f32_e32 v16, v16, v17
	v_xor_b32_e32 v17, 0x80000000, v16
	ds_write_b32 v15, v17
.LBB17_154:
	s_or_b64 exec, exec, s[10:11]
	v_cmp_eq_u32_e64 s[10:11], 0, v13
	s_and_b64 s[60:61], s[10:11], s[0:1]
	s_waitcnt lgkmcnt(0)
	s_barrier
	s_and_saveexec_b64 s[0:1], s[60:61]
	s_cbranch_execz .LBB17_156
; %bb.155:
	v_mov_b32_e32 v17, 0
	ds_read_b32 v17, v17 offset:12736
	ds_read_b32 v18, v15
	s_waitcnt lgkmcnt(0)
	v_fma_f32 v16, -v17, v18, v16
.LBB17_156:
	s_or_b64 exec, exec, s[0:1]
	s_barrier
	s_and_saveexec_b64 s[0:1], s[60:61]
	s_cbranch_execz .LBB17_158
; %bb.157:
	v_mov_b32_e32 v17, 0
	ds_read_b32 v17, v17 offset:12480
	s_waitcnt lgkmcnt(0)
	v_mul_f32_e32 v16, v16, v17
	v_xor_b32_e32 v17, 0x80000000, v16
	ds_write_b32 v15, v17
.LBB17_158:
	s_or_b64 exec, exec, s[0:1]
	s_waitcnt lgkmcnt(0)
	s_barrier
	s_barrier
	s_and_saveexec_b64 s[0:1], s[8:9]
; %bb.159:
	v_lshlrev_b32_e32 v17, 2, v13
	v_lshl_or_b32 v17, v14, 8, v17
	ds_write_b32 v17, v16 offset:14528
; %bb.160:
	s_or_b64 exec, exec, s[0:1]
	v_cmp_gt_u32_e64 s[10:11], 8, v0
	s_and_b64 s[78:79], s[12:13], s[10:11]
	s_waitcnt lgkmcnt(0)
	s_barrier
	s_barrier
	s_and_saveexec_b64 s[0:1], s[78:79]
	s_cbranch_execz .LBB17_162
; %bb.161:
	v_lshlrev_b32_e32 v16, 8, v0
	ds_read_b32 v17, v16 offset:14528
	s_movk_i32 s10, 0xff04
	v_mad_i32_i24 v18, v0, s10, v16
	s_waitcnt lgkmcnt(0)
	ds_write_b32 v18, v17 offset:12512
	ds_read_b32 v17, v16 offset:14532
	s_waitcnt lgkmcnt(0)
	ds_write_b32 v18, v17 offset:12768
	ds_read_b32 v17, v16 offset:14536
	;; [unrolled: 3-line block ×7, first 2 shown]
	s_waitcnt lgkmcnt(0)
	ds_write_b32 v18, v16 offset:14304
.LBB17_162:
	s_or_b64 exec, exec, s[0:1]
	s_waitcnt lgkmcnt(0)
	s_barrier
	s_and_saveexec_b64 s[0:1], vcc
	s_cbranch_execz .LBB17_164
; %bb.163:
	v_mov_b32_e32 v18, 0
	ds_read_b64 v[16:17], v18 offset:14296
	ds_read_b32 v18, v18 offset:14040
	s_movk_i32 s10, 0x3400
	s_waitcnt lgkmcnt(0)
	v_mul_f32_e32 v17, v18, v17
	v_mul_f32_e32 v16, v16, v17
	v_add_u32_e64 v17, s10, 0
	ds_write2_b32 v17, v16, v16 offset0:183 offset1:246
.LBB17_164:
	s_or_b64 exec, exec, s[0:1]
	v_mov_b32_e32 v16, 0
	s_waitcnt lgkmcnt(0)
	s_barrier
	buffer_wbinvl1_vol
	s_and_saveexec_b64 s[0:1], s[2:3]
	s_cbranch_execz .LBB17_168
; %bb.165:
	v_lshlrev_b32_e32 v16, 8, v3
	v_lshlrev_b32_e32 v17, 2, v1
	ds_read_b32 v18, v17 offset:14032
	ds_read_b32 v16, v16 offset:14040
	v_mov_b32_e32 v17, 0
	v_cmp_gt_u32_e64 s[10:11], 2, v5
	s_waitcnt lgkmcnt(0)
	v_fma_f32 v16, v18, v16, 0
	s_and_saveexec_b64 s[14:15], s[10:11]
	s_cbranch_execz .LBB17_167
; %bb.166:
	v_lshlrev_b32_e32 v18, 2, v0
	ds_read_b32 v18, v18 offset:14288
	ds_read_b32 v17, v17 offset:14300
	s_waitcnt lgkmcnt(0)
	v_fmac_f32_e32 v16, v18, v17
.LBB17_167:
	s_or_b64 exec, exec, s[14:15]
.LBB17_168:
	s_or_b64 exec, exec, s[0:1]
	s_and_saveexec_b64 s[0:1], s[30:31]
	s_cbranch_execz .LBB17_170
; %bb.169:
	v_mov_b32_e32 v17, 0
	ds_read_b32 v17, v17 offset:13780
	s_waitcnt lgkmcnt(0)
	v_mul_f32_e32 v16, v16, v17
	v_xor_b32_e32 v17, 0x80000000, v16
	ds_write_b32 v4, v17
.LBB17_170:
	s_or_b64 exec, exec, s[0:1]
	s_waitcnt lgkmcnt(0)
	s_barrier
	s_and_saveexec_b64 s[0:1], s[26:27]
	s_cbranch_execz .LBB17_172
; %bb.171:
	v_mov_b32_e32 v17, 0
	ds_read_b32 v17, v17 offset:13776
	ds_read_b32 v18, v4
	s_waitcnt lgkmcnt(0)
	v_fma_f32 v16, -v17, v18, v16
.LBB17_172:
	s_or_b64 exec, exec, s[0:1]
	s_barrier
	s_and_saveexec_b64 s[0:1], s[26:27]
	s_cbranch_execz .LBB17_174
; %bb.173:
	v_mov_b32_e32 v17, 0
	ds_read_b32 v17, v17 offset:13520
	s_waitcnt lgkmcnt(0)
	v_mul_f32_e32 v16, v16, v17
	v_xor_b32_e32 v17, 0x80000000, v16
	ds_write_b32 v4, v17
.LBB17_174:
	s_or_b64 exec, exec, s[0:1]
	s_waitcnt lgkmcnt(0)
	s_barrier
	s_barrier
	s_and_saveexec_b64 s[0:1], s[2:3]
; %bb.175:
	v_lshlrev_b32_e32 v17, 2, v1
	v_lshl_or_b32 v17, v3, 8, v17
	ds_write_b32 v17, v16 offset:14032
; %bb.176:
	s_or_b64 exec, exec, s[0:1]
	s_waitcnt lgkmcnt(0)
	s_barrier
	s_barrier
	s_and_saveexec_b64 s[0:1], s[34:35]
	s_cbranch_execz .LBB17_178
; %bb.177:
	v_lshlrev_b32_e32 v16, 2, v0
	s_movk_i32 s10, 0xfc
	v_mad_u32_u24 v17, v0, s10, v16
	ds_read_b32 v18, v17 offset:14032
	s_waitcnt lgkmcnt(0)
	ds_write_b32 v16, v18 offset:13528
	ds_read_b32 v17, v17 offset:14036
	s_waitcnt lgkmcnt(0)
	ds_write_b32 v16, v17 offset:13784
.LBB17_178:
	s_or_b64 exec, exec, s[0:1]
	s_waitcnt lgkmcnt(0)
	s_barrier
	s_and_saveexec_b64 s[0:1], vcc
	s_cbranch_execz .LBB17_180
; %bb.179:
	v_mov_b32_e32 v18, 0
	ds_read_b64 v[16:17], v18 offset:13776
	ds_read_b32 v18, v18 offset:13520
	s_movk_i32 s10, 0x3400
	s_waitcnt lgkmcnt(0)
	v_mul_f32_e32 v17, v18, v17
	v_mul_f32_e32 v16, v16, v17
	v_add_u32_e64 v17, s10, 0
	ds_write2_b32 v17, v16, v16 offset0:53 offset1:116
.LBB17_180:
	s_or_b64 exec, exec, s[0:1]
	v_mov_b32_e32 v16, 0
	s_waitcnt lgkmcnt(0)
	s_barrier
	buffer_wbinvl1_vol
	s_and_saveexec_b64 s[0:1], s[18:19]
	s_cbranch_execz .LBB17_186
; %bb.181:
	v_lshlrev_b32_e32 v18, 2, v6
	v_lshlrev_b32_e32 v17, 8, v11
	ds_read_b32 v16, v18 offset:13504
	ds_read_b32 v19, v17 offset:13520
	v_cmp_gt_u32_e64 s[10:11], 12, v5
	s_waitcnt lgkmcnt(0)
	v_fma_f32 v16, v16, v19, 0
	s_and_saveexec_b64 s[14:15], s[10:11]
	s_cbranch_execnz .LBB17_1214
; %bb.182:
	s_or_b64 exec, exec, s[14:15]
	v_cmp_gt_u32_e64 s[10:11], 8, v5
	s_and_saveexec_b64 s[14:15], s[10:11]
	s_cbranch_execnz .LBB17_1215
.LBB17_183:
	s_or_b64 exec, exec, s[14:15]
	v_cmp_gt_u32_e64 s[10:11], 4, v5
	s_and_saveexec_b64 s[14:15], s[10:11]
	s_cbranch_execz .LBB17_185
.LBB17_184:
	v_lshlrev_b32_e32 v17, 2, v0
	v_mov_b32_e32 v18, 0
	ds_read_b32 v17, v17 offset:14272
	ds_read_b32 v18, v18 offset:14300
	s_waitcnt lgkmcnt(0)
	v_fmac_f32_e32 v16, v17, v18
.LBB17_185:
	s_or_b64 exec, exec, s[14:15]
.LBB17_186:
	s_or_b64 exec, exec, s[0:1]
	s_and_saveexec_b64 s[0:1], s[38:39]
	s_cbranch_execz .LBB17_188
; %bb.187:
	v_mov_b32_e32 v17, 0
	ds_read_b32 v17, v17 offset:13260
	s_waitcnt lgkmcnt(0)
	v_mul_f32_e32 v16, v16, v17
	v_xor_b32_e32 v17, 0x80000000, v16
	ds_write_b32 v12, v17
.LBB17_188:
	s_or_b64 exec, exec, s[0:1]
	s_waitcnt lgkmcnt(0)
	s_barrier
	s_and_saveexec_b64 s[0:1], s[40:41]
	s_cbranch_execz .LBB17_190
; %bb.189:
	v_lshlrev_b32_e32 v17, 2, v6
	ds_read_b32 v17, v17 offset:13248
	ds_read_b32 v18, v12
	s_waitcnt lgkmcnt(0)
	v_fma_f32 v16, -v17, v18, v16
.LBB17_190:
	s_or_b64 exec, exec, s[0:1]
	s_barrier
	s_and_saveexec_b64 s[0:1], s[42:43]
	s_cbranch_execz .LBB17_192
; %bb.191:
	v_mov_b32_e32 v17, 0
	ds_read_b32 v17, v17 offset:13000
	s_waitcnt lgkmcnt(0)
	v_mul_f32_e32 v16, v16, v17
	v_xor_b32_e32 v17, 0x80000000, v16
	ds_write_b32 v12, v17
.LBB17_192:
	s_or_b64 exec, exec, s[0:1]
	s_waitcnt lgkmcnt(0)
	s_barrier
	s_and_saveexec_b64 s[0:1], s[44:45]
	s_cbranch_execz .LBB17_194
; %bb.193:
	v_lshlrev_b32_e32 v17, 2, v6
	ds_read_b32 v17, v17 offset:12992
	ds_read_b32 v18, v12
	s_waitcnt lgkmcnt(0)
	v_fma_f32 v16, -v17, v18, v16
.LBB17_194:
	s_or_b64 exec, exec, s[0:1]
	s_barrier
	s_and_saveexec_b64 s[0:1], s[46:47]
	s_cbranch_execz .LBB17_196
; %bb.195:
	v_mov_b32_e32 v17, 0
	ds_read_b32 v17, v17 offset:12740
	s_waitcnt lgkmcnt(0)
	v_mul_f32_e32 v16, v16, v17
	v_xor_b32_e32 v17, 0x80000000, v16
	ds_write_b32 v12, v17
.LBB17_196:
	s_or_b64 exec, exec, s[0:1]
	s_waitcnt lgkmcnt(0)
	s_barrier
	s_and_saveexec_b64 s[0:1], s[36:37]
	s_cbranch_execz .LBB17_198
; %bb.197:
	v_mov_b32_e32 v17, 0
	ds_read_b32 v17, v17 offset:12736
	ds_read_b32 v18, v12
	s_waitcnt lgkmcnt(0)
	v_fma_f32 v16, -v17, v18, v16
.LBB17_198:
	s_or_b64 exec, exec, s[0:1]
	s_barrier
	s_and_saveexec_b64 s[0:1], s[36:37]
	s_cbranch_execz .LBB17_200
; %bb.199:
	v_mov_b32_e32 v17, 0
	ds_read_b32 v17, v17 offset:12480
	s_waitcnt lgkmcnt(0)
	v_mul_f32_e32 v16, v16, v17
	v_xor_b32_e32 v17, 0x80000000, v16
	ds_write_b32 v12, v17
.LBB17_200:
	s_or_b64 exec, exec, s[0:1]
	s_waitcnt lgkmcnt(0)
	s_barrier
	s_barrier
	s_and_saveexec_b64 s[0:1], s[18:19]
; %bb.201:
	v_lshlrev_b32_e32 v17, 2, v6
	v_lshl_or_b32 v17, v11, 8, v17
	ds_write_b32 v17, v16 offset:13504
; %bb.202:
	s_or_b64 exec, exec, s[0:1]
	s_waitcnt lgkmcnt(0)
	s_barrier
	s_barrier
	s_and_saveexec_b64 s[0:1], s[48:49]
	s_cbranch_execz .LBB17_204
; %bb.203:
	v_lshlrev_b32_e32 v16, 8, v0
	ds_read_b32 v17, v16 offset:13504
	s_movk_i32 s10, 0xff04
	v_mad_i32_i24 v18, v0, s10, v16
	s_waitcnt lgkmcnt(0)
	ds_write_b32 v18, v17 offset:12496
	ds_read_b32 v17, v16 offset:13508
	s_waitcnt lgkmcnt(0)
	ds_write_b32 v18, v17 offset:12752
	ds_read_b32 v17, v16 offset:13512
	;; [unrolled: 3-line block ×3, first 2 shown]
	s_waitcnt lgkmcnt(0)
	ds_write_b32 v18, v16 offset:13264
.LBB17_204:
	s_or_b64 exec, exec, s[0:1]
	s_waitcnt lgkmcnt(0)
	s_barrier
	s_and_saveexec_b64 s[0:1], vcc
	s_cbranch_execz .LBB17_206
; %bb.205:
	v_mov_b32_e32 v18, 0
	ds_read_b64 v[16:17], v18 offset:13256
	ds_read_b32 v18, v18 offset:13000
	s_movk_i32 s10, 0x3000
	s_waitcnt lgkmcnt(0)
	v_mul_f32_e32 v17, v18, v17
	v_mul_f32_e32 v16, v16, v17
	v_add_u32_e64 v17, s10, 0
	ds_write2_b32 v17, v16, v16 offset0:179 offset1:242
.LBB17_206:
	s_or_b64 exec, exec, s[0:1]
	v_mov_b32_e32 v16, 0
	s_waitcnt lgkmcnt(0)
	s_barrier
	buffer_wbinvl1_vol
	s_and_saveexec_b64 s[0:1], s[2:3]
	s_cbranch_execz .LBB17_210
; %bb.207:
	v_lshlrev_b32_e32 v16, 8, v3
	v_lshlrev_b32_e32 v17, 2, v1
	ds_read_b32 v18, v17 offset:12992
	ds_read_b32 v16, v16 offset:13000
	v_mov_b32_e32 v17, 0
	v_cmp_gt_u32_e64 s[10:11], 2, v5
	s_waitcnt lgkmcnt(0)
	v_fma_f32 v16, v18, v16, 0
	s_and_saveexec_b64 s[14:15], s[10:11]
	s_cbranch_execz .LBB17_209
; %bb.208:
	v_lshlrev_b32_e32 v18, 2, v0
	ds_read_b32 v18, v18 offset:13248
	ds_read_b32 v17, v17 offset:13260
	s_waitcnt lgkmcnt(0)
	v_fmac_f32_e32 v16, v18, v17
.LBB17_209:
	s_or_b64 exec, exec, s[14:15]
.LBB17_210:
	s_or_b64 exec, exec, s[0:1]
	s_and_saveexec_b64 s[0:1], s[30:31]
	s_cbranch_execz .LBB17_212
; %bb.211:
	v_mov_b32_e32 v17, 0
	ds_read_b32 v17, v17 offset:12740
	s_waitcnt lgkmcnt(0)
	v_mul_f32_e32 v16, v16, v17
	v_xor_b32_e32 v17, 0x80000000, v16
	ds_write_b32 v4, v17
.LBB17_212:
	s_or_b64 exec, exec, s[0:1]
	s_waitcnt lgkmcnt(0)
	s_barrier
	s_and_saveexec_b64 s[0:1], s[26:27]
	s_cbranch_execz .LBB17_214
; %bb.213:
	v_mov_b32_e32 v17, 0
	ds_read_b32 v17, v17 offset:12736
	ds_read_b32 v18, v4
	s_waitcnt lgkmcnt(0)
	v_fma_f32 v16, -v17, v18, v16
.LBB17_214:
	s_or_b64 exec, exec, s[0:1]
	s_barrier
	s_and_saveexec_b64 s[0:1], s[26:27]
	s_cbranch_execz .LBB17_216
; %bb.215:
	v_mov_b32_e32 v17, 0
	ds_read_b32 v17, v17 offset:12480
	s_waitcnt lgkmcnt(0)
	v_mul_f32_e32 v16, v16, v17
	v_xor_b32_e32 v17, 0x80000000, v16
	ds_write_b32 v4, v17
.LBB17_216:
	s_or_b64 exec, exec, s[0:1]
	s_waitcnt lgkmcnt(0)
	s_barrier
	s_barrier
	s_and_saveexec_b64 s[0:1], s[2:3]
; %bb.217:
	v_lshlrev_b32_e32 v17, 2, v1
	v_lshl_or_b32 v17, v3, 8, v17
	ds_write_b32 v17, v16 offset:12992
; %bb.218:
	s_or_b64 exec, exec, s[0:1]
	s_waitcnt lgkmcnt(0)
	s_barrier
	s_barrier
	s_and_saveexec_b64 s[0:1], s[34:35]
	s_cbranch_execz .LBB17_220
; %bb.219:
	v_lshlrev_b32_e32 v16, 2, v0
	s_movk_i32 s10, 0xfc
	v_mad_u32_u24 v17, v0, s10, v16
	ds_read_b32 v18, v17 offset:12992
	s_waitcnt lgkmcnt(0)
	ds_write_b32 v16, v18 offset:12488
	ds_read_b32 v17, v17 offset:12996
	s_waitcnt lgkmcnt(0)
	ds_write_b32 v16, v17 offset:12744
.LBB17_220:
	s_or_b64 exec, exec, s[0:1]
	s_waitcnt lgkmcnt(0)
	s_barrier
	s_and_saveexec_b64 s[0:1], vcc
	s_cbranch_execz .LBB17_222
; %bb.221:
	v_mov_b32_e32 v18, 0
	ds_read_b64 v[16:17], v18 offset:12736
	ds_read_b32 v18, v18 offset:12480
	s_movk_i32 s10, 0x3000
	s_waitcnt lgkmcnt(0)
	v_mul_f32_e32 v17, v18, v17
	v_mul_f32_e32 v16, v16, v17
	v_add_u32_e64 v17, s10, 0
	ds_write2_b32 v17, v16, v16 offset0:49 offset1:112
.LBB17_222:
	s_or_b64 exec, exec, s[0:1]
	s_movk_i32 s0, 0xff
	v_lshrrev_b32_e32 v18, 4, v5
	v_cmp_lt_u32_e64 s[14:15], s0, v5
	s_movk_i32 s0, 0x100
	v_and_b32_e32 v16, 15, v0
	v_sub_u32_e32 v17, 15, v18
	v_cmp_gt_u32_e64 s[10:11], s0, v5
	v_mov_b32_e32 v19, 0
	s_waitcnt lgkmcnt(0)
	s_barrier
	buffer_wbinvl1_vol
	s_and_saveexec_b64 s[0:1], s[10:11]
	s_cbranch_execz .LBB17_250
; %bb.223:
	v_lshlrev_b32_e32 v21, 2, v16
	v_lshlrev_b32_e32 v20, 8, v17
	ds_read_b32 v19, v21 offset:12416
	ds_read_b32 v22, v20 offset:12480
	s_movk_i32 s16, 0xf0
	v_cmp_gt_u32_e64 s[16:17], s16, v5
	s_waitcnt lgkmcnt(0)
	v_fma_f32 v19, v19, v22, 0
	s_and_saveexec_b64 s[20:21], s[16:17]
	s_cbranch_execz .LBB17_225
; %bb.224:
	ds_read_b32 v22, v21 offset:12672
	ds_read_b32 v23, v20 offset:12484
	s_waitcnt lgkmcnt(0)
	v_fmac_f32_e32 v19, v22, v23
.LBB17_225:
	s_or_b64 exec, exec, s[20:21]
	s_movk_i32 s16, 0xe0
	v_cmp_gt_u32_e64 s[16:17], s16, v5
	s_and_saveexec_b64 s[20:21], s[16:17]
	s_cbranch_execz .LBB17_227
; %bb.226:
	ds_read_b32 v22, v21 offset:12928
	ds_read_b32 v23, v20 offset:12488
	s_waitcnt lgkmcnt(0)
	v_fmac_f32_e32 v19, v22, v23
.LBB17_227:
	s_or_b64 exec, exec, s[20:21]
	s_movk_i32 s16, 0xd0
	v_cmp_gt_u32_e64 s[16:17], s16, v5
	s_and_saveexec_b64 s[20:21], s[16:17]
	s_cbranch_execz .LBB17_229
; %bb.228:
	ds_read_b32 v22, v21 offset:13184
	ds_read_b32 v23, v20 offset:12492
	s_waitcnt lgkmcnt(0)
	v_fmac_f32_e32 v19, v22, v23
.LBB17_229:
	s_or_b64 exec, exec, s[20:21]
	s_movk_i32 s16, 0xc0
	v_cmp_gt_u32_e64 s[16:17], s16, v5
	s_and_saveexec_b64 s[20:21], s[16:17]
	s_cbranch_execz .LBB17_231
; %bb.230:
	ds_read_b32 v22, v21 offset:13440
	ds_read_b32 v23, v20 offset:12496
	s_waitcnt lgkmcnt(0)
	v_fmac_f32_e32 v19, v22, v23
.LBB17_231:
	s_or_b64 exec, exec, s[20:21]
	s_movk_i32 s16, 0xb0
	v_cmp_gt_u32_e64 s[16:17], s16, v5
	s_and_saveexec_b64 s[20:21], s[16:17]
	s_cbranch_execz .LBB17_233
; %bb.232:
	ds_read_b32 v22, v21 offset:13696
	ds_read_b32 v23, v20 offset:12500
	s_waitcnt lgkmcnt(0)
	v_fmac_f32_e32 v19, v22, v23
.LBB17_233:
	s_or_b64 exec, exec, s[20:21]
	s_movk_i32 s16, 0xa0
	v_cmp_gt_u32_e64 s[16:17], s16, v5
	s_and_saveexec_b64 s[20:21], s[16:17]
	s_cbranch_execz .LBB17_235
; %bb.234:
	ds_read_b32 v22, v21 offset:13952
	ds_read_b32 v23, v20 offset:12504
	s_waitcnt lgkmcnt(0)
	v_fmac_f32_e32 v19, v22, v23
.LBB17_235:
	s_or_b64 exec, exec, s[20:21]
	s_movk_i32 s16, 0x90
	v_cmp_gt_u32_e64 s[16:17], s16, v5
	s_and_saveexec_b64 s[20:21], s[16:17]
	s_cbranch_execz .LBB17_237
; %bb.236:
	ds_read_b32 v22, v21 offset:14208
	ds_read_b32 v23, v20 offset:12508
	s_waitcnt lgkmcnt(0)
	v_fmac_f32_e32 v19, v22, v23
.LBB17_237:
	s_or_b64 exec, exec, s[20:21]
	s_movk_i32 s16, 0x80
	v_cmp_gt_u32_e64 s[16:17], s16, v5
	s_and_saveexec_b64 s[20:21], s[16:17]
	s_cbranch_execz .LBB17_239
; %bb.238:
	ds_read_b32 v22, v21 offset:14464
	ds_read_b32 v23, v20 offset:12512
	s_waitcnt lgkmcnt(0)
	v_fmac_f32_e32 v19, v22, v23
.LBB17_239:
	s_or_b64 exec, exec, s[20:21]
	s_movk_i32 s16, 0x70
	v_cmp_gt_u32_e64 s[16:17], s16, v5
	s_and_saveexec_b64 s[20:21], s[16:17]
	s_cbranch_execz .LBB17_241
; %bb.240:
	ds_read_b32 v22, v21 offset:14720
	ds_read_b32 v23, v20 offset:12516
	s_waitcnt lgkmcnt(0)
	v_fmac_f32_e32 v19, v22, v23
.LBB17_241:
	s_or_b64 exec, exec, s[20:21]
	s_movk_i32 s16, 0x60
	v_cmp_gt_u32_e64 s[16:17], s16, v5
	s_and_saveexec_b64 s[20:21], s[16:17]
	s_cbranch_execz .LBB17_243
; %bb.242:
	ds_read_b32 v22, v21 offset:14976
	ds_read_b32 v23, v20 offset:12520
	s_waitcnt lgkmcnt(0)
	v_fmac_f32_e32 v19, v22, v23
.LBB17_243:
	s_or_b64 exec, exec, s[20:21]
	s_movk_i32 s16, 0x50
	v_cmp_gt_u32_e64 s[16:17], s16, v5
	s_and_saveexec_b64 s[20:21], s[16:17]
	s_cbranch_execnz .LBB17_1216
; %bb.244:
	s_or_b64 exec, exec, s[20:21]
	s_and_saveexec_b64 s[16:17], s[8:9]
	s_cbranch_execnz .LBB17_1217
.LBB17_245:
	s_or_b64 exec, exec, s[16:17]
	v_cmp_gt_u32_e64 s[16:17], 48, v5
	s_and_saveexec_b64 s[20:21], s[16:17]
	s_cbranch_execnz .LBB17_1218
.LBB17_246:
	s_or_b64 exec, exec, s[20:21]
	v_cmp_gt_u32_e64 s[16:17], 32, v5
	s_and_saveexec_b64 s[20:21], s[16:17]
	s_cbranch_execnz .LBB17_1219
.LBB17_247:
	s_or_b64 exec, exec, s[20:21]
	v_cmp_gt_u32_e64 s[16:17], 16, v5
	s_and_saveexec_b64 s[20:21], s[16:17]
	s_cbranch_execz .LBB17_249
.LBB17_248:
	v_lshlrev_b32_e32 v20, 2, v0
	v_mov_b32_e32 v21, 0
	ds_read_b32 v20, v20 offset:16256
	ds_read_b32 v21, v21 offset:16380
	s_waitcnt lgkmcnt(0)
	v_fmac_f32_e32 v19, v20, v21
.LBB17_249:
	s_or_b64 exec, exec, s[20:21]
.LBB17_250:
	s_or_b64 exec, exec, s[0:1]
	v_mov_b32_e32 v20, 0x4000
	v_lshl_add_u32 v18, v18, 2, v20
	v_cmp_eq_u32_e64 s[16:17], 15, v16
	s_xor_b64 s[20:21], s[14:15], -1
	s_and_b64 s[14:15], s[16:17], s[20:21]
	s_mov_b64 s[0:1], exec
	v_writelane_b32 v27, s14, 3
	v_writelane_b32 v27, s15, 4
	s_and_b64 s[14:15], s[0:1], s[14:15]
	s_mov_b64 exec, s[14:15]
	s_cbranch_execz .LBB17_252
; %bb.251:
	v_mov_b32_e32 v20, 0
	ds_read_b32 v20, v20 offset:12220
	s_waitcnt lgkmcnt(0)
	v_mul_f32_e32 v19, v19, v20
	v_xor_b32_e32 v20, 0x80000000, v19
	ds_write_b32 v18, v20
.LBB17_252:
	s_or_b64 exec, exec, s[0:1]
	v_cmp_ne_u32_e64 s[14:15], 15, v16
	s_waitcnt lgkmcnt(0)
	s_barrier
	s_and_b64 s[14:15], s[14:15], s[20:21]
	s_mov_b64 s[0:1], exec
	v_writelane_b32 v27, s14, 5
	v_writelane_b32 v27, s15, 6
	s_and_b64 s[14:15], s[0:1], s[14:15]
	s_mov_b64 exec, s[14:15]
	s_cbranch_execz .LBB17_254
; %bb.253:
	v_lshlrev_b32_e32 v20, 2, v16
	ds_read_b32 v20, v20 offset:12160
	ds_read_b32 v21, v18
	s_waitcnt lgkmcnt(0)
	v_fma_f32 v19, -v20, v21, v19
.LBB17_254:
	s_or_b64 exec, exec, s[0:1]
	v_cmp_eq_u32_e64 s[14:15], 14, v16
	s_barrier
	s_and_b64 s[14:15], s[14:15], s[20:21]
	s_mov_b64 s[0:1], exec
	v_writelane_b32 v27, s14, 7
	v_writelane_b32 v27, s15, 8
	s_and_b64 s[14:15], s[0:1], s[14:15]
	s_mov_b64 exec, s[14:15]
	s_cbranch_execz .LBB17_256
; %bb.255:
	v_mov_b32_e32 v20, 0
	ds_read_b32 v20, v20 offset:11960
	s_waitcnt lgkmcnt(0)
	v_mul_f32_e32 v19, v19, v20
	v_xor_b32_e32 v20, 0x80000000, v19
	ds_write_b32 v18, v20
.LBB17_256:
	s_or_b64 exec, exec, s[0:1]
	v_cmp_gt_u32_e64 s[14:15], 14, v16
	s_waitcnt lgkmcnt(0)
	s_barrier
	s_and_b64 s[14:15], s[14:15], s[20:21]
	s_mov_b64 s[0:1], exec
	v_writelane_b32 v27, s14, 9
	v_writelane_b32 v27, s15, 10
	s_and_b64 s[14:15], s[0:1], s[14:15]
	s_mov_b64 exec, s[14:15]
	s_cbranch_execz .LBB17_258
; %bb.257:
	v_lshlrev_b32_e32 v20, 2, v16
	ds_read_b32 v20, v20 offset:11904
	ds_read_b32 v21, v18
	s_waitcnt lgkmcnt(0)
	v_fma_f32 v19, -v20, v21, v19
.LBB17_258:
	s_or_b64 exec, exec, s[0:1]
	v_cmp_eq_u32_e64 s[14:15], 13, v16
	s_barrier
	s_and_b64 s[14:15], s[14:15], s[20:21]
	s_mov_b64 s[0:1], exec
	v_writelane_b32 v27, s14, 11
	v_writelane_b32 v27, s15, 12
	s_and_b64 s[14:15], s[0:1], s[14:15]
	s_mov_b64 exec, s[14:15]
	s_cbranch_execz .LBB17_260
; %bb.259:
	v_mov_b32_e32 v20, 0
	ds_read_b32 v20, v20 offset:11700
	s_waitcnt lgkmcnt(0)
	v_mul_f32_e32 v19, v19, v20
	v_xor_b32_e32 v20, 0x80000000, v19
	ds_write_b32 v18, v20
.LBB17_260:
	s_or_b64 exec, exec, s[0:1]
	v_cmp_gt_u32_e64 s[14:15], 13, v16
	;; [unrolled: 36-line block ×12, first 2 shown]
	s_and_b64 s[0:1], s[14:15], s[20:21]
	s_waitcnt lgkmcnt(0)
	s_barrier
	s_and_saveexec_b64 s[14:15], s[0:1]
	s_cbranch_execz .LBB17_302
; %bb.301:
	v_lshlrev_b32_e32 v20, 2, v16
	ds_read_b32 v20, v20 offset:9088
	ds_read_b32 v21, v18
	s_waitcnt lgkmcnt(0)
	v_fma_f32 v19, -v20, v21, v19
.LBB17_302:
	s_or_b64 exec, exec, s[14:15]
	v_cmp_eq_u32_e64 s[14:15], 2, v16
	s_barrier
	s_and_b64 s[16:17], s[14:15], s[20:21]
	s_mov_b64 s[14:15], exec
	v_writelane_b32 v27, s16, 53
	v_writelane_b32 v27, s17, 54
	s_and_b64 s[16:17], s[14:15], s[16:17]
	s_mov_b64 exec, s[16:17]
	s_cbranch_execz .LBB17_304
; %bb.303:
	v_mov_b32_e32 v20, 0
	ds_read_b32 v20, v20 offset:8840
	s_waitcnt lgkmcnt(0)
	v_mul_f32_e32 v19, v19, v20
	v_xor_b32_e32 v20, 0x80000000, v19
	ds_write_b32 v18, v20
.LBB17_304:
	s_or_b64 exec, exec, s[14:15]
	v_cmp_gt_u32_e64 s[14:15], 2, v16
	s_and_b64 s[82:83], s[14:15], s[20:21]
	s_waitcnt lgkmcnt(0)
	s_barrier
	s_and_saveexec_b64 s[14:15], s[82:83]
	s_cbranch_execz .LBB17_306
; %bb.305:
	v_lshlrev_b32_e32 v20, 2, v16
	ds_read_b32 v20, v20 offset:8832
	ds_read_b32 v21, v18
	s_waitcnt lgkmcnt(0)
	v_fma_f32 v19, -v20, v21, v19
.LBB17_306:
	s_or_b64 exec, exec, s[14:15]
	v_cmp_eq_u32_e64 s[14:15], 1, v16
	s_and_b64 s[84:85], s[14:15], s[20:21]
	s_barrier
	s_and_saveexec_b64 s[14:15], s[84:85]
	s_cbranch_execz .LBB17_308
; %bb.307:
	v_mov_b32_e32 v20, 0
	ds_read_b32 v20, v20 offset:8580
	s_waitcnt lgkmcnt(0)
	v_mul_f32_e32 v19, v19, v20
	v_xor_b32_e32 v20, 0x80000000, v19
	ds_write_b32 v18, v20
.LBB17_308:
	s_or_b64 exec, exec, s[14:15]
	v_cmp_eq_u32_e64 s[14:15], 0, v16
	s_and_b64 s[86:87], s[14:15], s[20:21]
	s_waitcnt lgkmcnt(0)
	s_barrier
	s_and_saveexec_b64 s[14:15], s[86:87]
	s_cbranch_execz .LBB17_310
; %bb.309:
	v_mov_b32_e32 v20, 0
	ds_read_b32 v20, v20 offset:8576
	ds_read_b32 v21, v18
	s_waitcnt lgkmcnt(0)
	v_fma_f32 v19, -v20, v21, v19
.LBB17_310:
	s_or_b64 exec, exec, s[14:15]
	s_barrier
	s_and_saveexec_b64 s[14:15], s[86:87]
	s_cbranch_execz .LBB17_312
; %bb.311:
	v_mov_b32_e32 v20, 0
	ds_read_b32 v20, v20 offset:8320
	s_waitcnt lgkmcnt(0)
	v_mul_f32_e32 v19, v19, v20
	v_xor_b32_e32 v20, 0x80000000, v19
	ds_write_b32 v18, v20
.LBB17_312:
	s_or_b64 exec, exec, s[14:15]
	s_waitcnt lgkmcnt(0)
	s_barrier
	s_barrier
	s_and_saveexec_b64 s[14:15], s[10:11]
; %bb.313:
	v_lshlrev_b32_e32 v20, 2, v16
	v_lshl_or_b32 v20, v17, 8, v20
	ds_write_b32 v20, v19 offset:12416
; %bb.314:
	s_or_b64 exec, exec, s[14:15]
	v_cmp_gt_u32_e64 s[14:15], 16, v0
	s_and_b64 s[88:89], s[12:13], s[14:15]
	s_waitcnt lgkmcnt(0)
	s_barrier
	s_barrier
	s_and_saveexec_b64 s[14:15], s[88:89]
	s_cbranch_execz .LBB17_316
; %bb.315:
	v_lshlrev_b32_e32 v19, 8, v0
	ds_read_b32 v20, v19 offset:12416
	s_movk_i32 s16, 0xff04
	v_mad_i32_i24 v21, v0, s16, v19
	s_waitcnt lgkmcnt(0)
	ds_write_b32 v21, v20 offset:8384
	ds_read_b32 v20, v19 offset:12420
	s_waitcnt lgkmcnt(0)
	ds_write_b32 v21, v20 offset:8640
	ds_read_b32 v20, v19 offset:12424
	;; [unrolled: 3-line block ×15, first 2 shown]
	s_waitcnt lgkmcnt(0)
	ds_write_b32 v21, v19 offset:12224
.LBB17_316:
	s_or_b64 exec, exec, s[14:15]
	s_waitcnt lgkmcnt(0)
	s_barrier
	s_and_saveexec_b64 s[14:15], vcc
	s_cbranch_execz .LBB17_318
; %bb.317:
	v_mov_b32_e32 v21, 0
	ds_read_b64 v[19:20], v21 offset:12216
	ds_read_b32 v21, v21 offset:11960
	s_movk_i32 s16, 0x2c00
	s_waitcnt lgkmcnt(0)
	v_mul_f32_e32 v20, v21, v20
	v_mul_f32_e32 v19, v19, v20
	v_add_u32_e64 v20, s16, 0
	ds_write2_b32 v20, v19, v19 offset0:175 offset1:238
.LBB17_318:
	s_or_b64 exec, exec, s[14:15]
	v_mov_b32_e32 v19, 0
	s_waitcnt lgkmcnt(0)
	s_barrier
	buffer_wbinvl1_vol
	s_and_saveexec_b64 s[16:17], s[2:3]
	s_cbranch_execz .LBB17_322
; %bb.319:
	v_lshlrev_b32_e32 v19, 8, v3
	v_lshlrev_b32_e32 v20, 2, v1
	ds_read_b32 v21, v20 offset:11952
	ds_read_b32 v19, v19 offset:11960
	v_mov_b32_e32 v20, 0
	v_cmp_gt_u32_e64 s[14:15], 2, v5
	s_waitcnt lgkmcnt(0)
	v_fma_f32 v19, v21, v19, 0
	s_and_saveexec_b64 s[20:21], s[14:15]
	s_cbranch_execz .LBB17_321
; %bb.320:
	v_lshlrev_b32_e32 v21, 2, v0
	ds_read_b32 v21, v21 offset:12208
	ds_read_b32 v20, v20 offset:12220
	s_waitcnt lgkmcnt(0)
	v_fmac_f32_e32 v19, v21, v20
.LBB17_321:
	s_or_b64 exec, exec, s[20:21]
.LBB17_322:
	s_or_b64 exec, exec, s[16:17]
	s_and_saveexec_b64 s[14:15], s[30:31]
	s_cbranch_execz .LBB17_324
; %bb.323:
	v_mov_b32_e32 v20, 0
	ds_read_b32 v20, v20 offset:11700
	s_waitcnt lgkmcnt(0)
	v_mul_f32_e32 v19, v19, v20
	v_xor_b32_e32 v20, 0x80000000, v19
	ds_write_b32 v4, v20
.LBB17_324:
	s_or_b64 exec, exec, s[14:15]
	s_waitcnt lgkmcnt(0)
	s_barrier
	s_and_saveexec_b64 s[14:15], s[26:27]
	s_cbranch_execz .LBB17_326
; %bb.325:
	v_mov_b32_e32 v20, 0
	ds_read_b32 v20, v20 offset:11696
	ds_read_b32 v21, v4
	s_waitcnt lgkmcnt(0)
	v_fma_f32 v19, -v20, v21, v19
.LBB17_326:
	s_or_b64 exec, exec, s[14:15]
	s_barrier
	s_and_saveexec_b64 s[14:15], s[26:27]
	s_cbranch_execz .LBB17_328
; %bb.327:
	v_mov_b32_e32 v20, 0
	ds_read_b32 v20, v20 offset:11440
	s_waitcnt lgkmcnt(0)
	v_mul_f32_e32 v19, v19, v20
	v_xor_b32_e32 v20, 0x80000000, v19
	ds_write_b32 v4, v20
.LBB17_328:
	s_or_b64 exec, exec, s[14:15]
	s_waitcnt lgkmcnt(0)
	s_barrier
	s_barrier
	s_and_saveexec_b64 s[14:15], s[2:3]
; %bb.329:
	v_lshlrev_b32_e32 v20, 2, v1
	v_lshl_or_b32 v20, v3, 8, v20
	ds_write_b32 v20, v19 offset:11952
; %bb.330:
	s_or_b64 exec, exec, s[14:15]
	s_waitcnt lgkmcnt(0)
	s_barrier
	s_barrier
	s_and_saveexec_b64 s[14:15], s[34:35]
	s_cbranch_execz .LBB17_332
; %bb.331:
	v_lshlrev_b32_e32 v19, 2, v0
	s_movk_i32 s16, 0xfc
	v_mad_u32_u24 v20, v0, s16, v19
	ds_read_b32 v21, v20 offset:11952
	s_waitcnt lgkmcnt(0)
	ds_write_b32 v19, v21 offset:11448
	ds_read_b32 v20, v20 offset:11956
	s_waitcnt lgkmcnt(0)
	ds_write_b32 v19, v20 offset:11704
.LBB17_332:
	s_or_b64 exec, exec, s[14:15]
	s_waitcnt lgkmcnt(0)
	s_barrier
	s_and_saveexec_b64 s[14:15], vcc
	s_cbranch_execz .LBB17_334
; %bb.333:
	v_mov_b32_e32 v21, 0
	ds_read_b64 v[19:20], v21 offset:11696
	ds_read_b32 v21, v21 offset:11440
	s_movk_i32 s16, 0x2c00
	s_waitcnt lgkmcnt(0)
	v_mul_f32_e32 v20, v21, v20
	v_mul_f32_e32 v19, v19, v20
	v_add_u32_e64 v20, s16, 0
	ds_write2_b32 v20, v19, v19 offset0:45 offset1:108
.LBB17_334:
	s_or_b64 exec, exec, s[14:15]
	v_mov_b32_e32 v19, 0
	s_waitcnt lgkmcnt(0)
	s_barrier
	buffer_wbinvl1_vol
	s_and_saveexec_b64 s[16:17], s[18:19]
	s_cbranch_execz .LBB17_340
; %bb.335:
	v_lshlrev_b32_e32 v21, 2, v6
	v_lshlrev_b32_e32 v20, 8, v11
	ds_read_b32 v19, v21 offset:11424
	ds_read_b32 v22, v20 offset:11440
	v_cmp_gt_u32_e64 s[14:15], 12, v5
	s_waitcnt lgkmcnt(0)
	v_fma_f32 v19, v19, v22, 0
	s_and_saveexec_b64 s[20:21], s[14:15]
	s_cbranch_execnz .LBB17_1220
; %bb.336:
	s_or_b64 exec, exec, s[20:21]
	v_cmp_gt_u32_e64 s[14:15], 8, v5
	s_and_saveexec_b64 s[20:21], s[14:15]
	s_cbranch_execnz .LBB17_1221
.LBB17_337:
	s_or_b64 exec, exec, s[20:21]
	v_cmp_gt_u32_e64 s[14:15], 4, v5
	s_and_saveexec_b64 s[20:21], s[14:15]
	s_cbranch_execz .LBB17_339
.LBB17_338:
	v_lshlrev_b32_e32 v20, 2, v0
	v_mov_b32_e32 v21, 0
	ds_read_b32 v20, v20 offset:12192
	ds_read_b32 v21, v21 offset:12220
	s_waitcnt lgkmcnt(0)
	v_fmac_f32_e32 v19, v20, v21
.LBB17_339:
	s_or_b64 exec, exec, s[20:21]
.LBB17_340:
	s_or_b64 exec, exec, s[16:17]
	s_and_saveexec_b64 s[14:15], s[38:39]
	s_cbranch_execz .LBB17_342
; %bb.341:
	v_mov_b32_e32 v20, 0
	ds_read_b32 v20, v20 offset:11180
	s_waitcnt lgkmcnt(0)
	v_mul_f32_e32 v19, v19, v20
	v_xor_b32_e32 v20, 0x80000000, v19
	ds_write_b32 v12, v20
.LBB17_342:
	s_or_b64 exec, exec, s[14:15]
	s_waitcnt lgkmcnt(0)
	s_barrier
	s_and_saveexec_b64 s[14:15], s[40:41]
	s_cbranch_execz .LBB17_344
; %bb.343:
	v_lshlrev_b32_e32 v20, 2, v6
	ds_read_b32 v20, v20 offset:11168
	ds_read_b32 v21, v12
	s_waitcnt lgkmcnt(0)
	v_fma_f32 v19, -v20, v21, v19
.LBB17_344:
	s_or_b64 exec, exec, s[14:15]
	s_barrier
	s_and_saveexec_b64 s[14:15], s[42:43]
	s_cbranch_execz .LBB17_346
; %bb.345:
	v_mov_b32_e32 v20, 0
	ds_read_b32 v20, v20 offset:10920
	s_waitcnt lgkmcnt(0)
	v_mul_f32_e32 v19, v19, v20
	v_xor_b32_e32 v20, 0x80000000, v19
	ds_write_b32 v12, v20
.LBB17_346:
	s_or_b64 exec, exec, s[14:15]
	s_waitcnt lgkmcnt(0)
	s_barrier
	s_and_saveexec_b64 s[14:15], s[44:45]
	s_cbranch_execz .LBB17_348
; %bb.347:
	v_lshlrev_b32_e32 v20, 2, v6
	ds_read_b32 v20, v20 offset:10912
	ds_read_b32 v21, v12
	s_waitcnt lgkmcnt(0)
	v_fma_f32 v19, -v20, v21, v19
.LBB17_348:
	s_or_b64 exec, exec, s[14:15]
	s_barrier
	s_and_saveexec_b64 s[14:15], s[46:47]
	s_cbranch_execz .LBB17_350
; %bb.349:
	v_mov_b32_e32 v20, 0
	ds_read_b32 v20, v20 offset:10660
	s_waitcnt lgkmcnt(0)
	v_mul_f32_e32 v19, v19, v20
	v_xor_b32_e32 v20, 0x80000000, v19
	ds_write_b32 v12, v20
.LBB17_350:
	s_or_b64 exec, exec, s[14:15]
	s_waitcnt lgkmcnt(0)
	s_barrier
	s_and_saveexec_b64 s[14:15], s[36:37]
	s_cbranch_execz .LBB17_352
; %bb.351:
	v_mov_b32_e32 v20, 0
	ds_read_b32 v20, v20 offset:10656
	ds_read_b32 v21, v12
	s_waitcnt lgkmcnt(0)
	v_fma_f32 v19, -v20, v21, v19
.LBB17_352:
	s_or_b64 exec, exec, s[14:15]
	s_barrier
	s_and_saveexec_b64 s[14:15], s[36:37]
	s_cbranch_execz .LBB17_354
; %bb.353:
	v_mov_b32_e32 v20, 0
	ds_read_b32 v20, v20 offset:10400
	s_waitcnt lgkmcnt(0)
	v_mul_f32_e32 v19, v19, v20
	v_xor_b32_e32 v20, 0x80000000, v19
	ds_write_b32 v12, v20
.LBB17_354:
	s_or_b64 exec, exec, s[14:15]
	s_waitcnt lgkmcnt(0)
	s_barrier
	s_barrier
	s_and_saveexec_b64 s[14:15], s[18:19]
; %bb.355:
	v_lshlrev_b32_e32 v20, 2, v6
	v_lshl_or_b32 v20, v11, 8, v20
	ds_write_b32 v20, v19 offset:11424
; %bb.356:
	s_or_b64 exec, exec, s[14:15]
	s_waitcnt lgkmcnt(0)
	s_barrier
	s_barrier
	s_and_saveexec_b64 s[14:15], s[48:49]
	s_cbranch_execz .LBB17_358
; %bb.357:
	v_lshlrev_b32_e32 v19, 8, v0
	ds_read_b32 v20, v19 offset:11424
	s_movk_i32 s16, 0xff04
	v_mad_i32_i24 v21, v0, s16, v19
	s_waitcnt lgkmcnt(0)
	ds_write_b32 v21, v20 offset:10416
	ds_read_b32 v20, v19 offset:11428
	s_waitcnt lgkmcnt(0)
	ds_write_b32 v21, v20 offset:10672
	ds_read_b32 v20, v19 offset:11432
	;; [unrolled: 3-line block ×3, first 2 shown]
	s_waitcnt lgkmcnt(0)
	ds_write_b32 v21, v19 offset:11184
.LBB17_358:
	s_or_b64 exec, exec, s[14:15]
	s_waitcnt lgkmcnt(0)
	s_barrier
	s_and_saveexec_b64 s[14:15], vcc
	s_cbranch_execz .LBB17_360
; %bb.359:
	v_mov_b32_e32 v21, 0
	ds_read_b64 v[19:20], v21 offset:11176
	ds_read_b32 v21, v21 offset:10920
	s_movk_i32 s16, 0x2800
	s_waitcnt lgkmcnt(0)
	v_mul_f32_e32 v20, v21, v20
	v_mul_f32_e32 v19, v19, v20
	v_add_u32_e64 v20, s16, 0
	ds_write2_b32 v20, v19, v19 offset0:171 offset1:234
.LBB17_360:
	s_or_b64 exec, exec, s[14:15]
	v_mov_b32_e32 v19, 0
	s_waitcnt lgkmcnt(0)
	s_barrier
	buffer_wbinvl1_vol
	s_and_saveexec_b64 s[16:17], s[2:3]
	s_cbranch_execz .LBB17_364
; %bb.361:
	v_lshlrev_b32_e32 v19, 8, v3
	v_lshlrev_b32_e32 v20, 2, v1
	ds_read_b32 v21, v20 offset:10912
	ds_read_b32 v19, v19 offset:10920
	v_mov_b32_e32 v20, 0
	v_cmp_gt_u32_e64 s[14:15], 2, v5
	s_waitcnt lgkmcnt(0)
	v_fma_f32 v19, v21, v19, 0
	s_and_saveexec_b64 s[20:21], s[14:15]
	s_cbranch_execz .LBB17_363
; %bb.362:
	v_lshlrev_b32_e32 v21, 2, v0
	ds_read_b32 v21, v21 offset:11168
	ds_read_b32 v20, v20 offset:11180
	s_waitcnt lgkmcnt(0)
	v_fmac_f32_e32 v19, v21, v20
.LBB17_363:
	s_or_b64 exec, exec, s[20:21]
.LBB17_364:
	s_or_b64 exec, exec, s[16:17]
	s_and_saveexec_b64 s[14:15], s[30:31]
	s_cbranch_execz .LBB17_366
; %bb.365:
	v_mov_b32_e32 v20, 0
	ds_read_b32 v20, v20 offset:10660
	s_waitcnt lgkmcnt(0)
	v_mul_f32_e32 v19, v19, v20
	v_xor_b32_e32 v20, 0x80000000, v19
	ds_write_b32 v4, v20
.LBB17_366:
	s_or_b64 exec, exec, s[14:15]
	s_waitcnt lgkmcnt(0)
	s_barrier
	s_and_saveexec_b64 s[14:15], s[26:27]
	s_cbranch_execz .LBB17_368
; %bb.367:
	v_mov_b32_e32 v20, 0
	ds_read_b32 v20, v20 offset:10656
	ds_read_b32 v21, v4
	s_waitcnt lgkmcnt(0)
	v_fma_f32 v19, -v20, v21, v19
.LBB17_368:
	s_or_b64 exec, exec, s[14:15]
	s_barrier
	s_and_saveexec_b64 s[14:15], s[26:27]
	s_cbranch_execz .LBB17_370
; %bb.369:
	v_mov_b32_e32 v20, 0
	ds_read_b32 v20, v20 offset:10400
	s_waitcnt lgkmcnt(0)
	v_mul_f32_e32 v19, v19, v20
	v_xor_b32_e32 v20, 0x80000000, v19
	ds_write_b32 v4, v20
.LBB17_370:
	s_or_b64 exec, exec, s[14:15]
	s_waitcnt lgkmcnt(0)
	s_barrier
	s_barrier
	s_and_saveexec_b64 s[14:15], s[2:3]
; %bb.371:
	v_lshlrev_b32_e32 v20, 2, v1
	v_lshl_or_b32 v20, v3, 8, v20
	ds_write_b32 v20, v19 offset:10912
; %bb.372:
	s_or_b64 exec, exec, s[14:15]
	s_waitcnt lgkmcnt(0)
	s_barrier
	s_barrier
	s_and_saveexec_b64 s[14:15], s[34:35]
	s_cbranch_execz .LBB17_374
; %bb.373:
	v_lshlrev_b32_e32 v19, 2, v0
	s_movk_i32 s16, 0xfc
	v_mad_u32_u24 v20, v0, s16, v19
	ds_read_b32 v21, v20 offset:10912
	s_waitcnt lgkmcnt(0)
	ds_write_b32 v19, v21 offset:10408
	ds_read_b32 v20, v20 offset:10916
	s_waitcnt lgkmcnt(0)
	ds_write_b32 v19, v20 offset:10664
.LBB17_374:
	s_or_b64 exec, exec, s[14:15]
	s_waitcnt lgkmcnt(0)
	s_barrier
	s_and_saveexec_b64 s[14:15], vcc
	s_cbranch_execz .LBB17_376
; %bb.375:
	v_mov_b32_e32 v21, 0
	ds_read_b64 v[19:20], v21 offset:10656
	ds_read_b32 v21, v21 offset:10400
	s_movk_i32 s16, 0x2800
	s_waitcnt lgkmcnt(0)
	v_mul_f32_e32 v20, v21, v20
	v_mul_f32_e32 v19, v19, v20
	v_add_u32_e64 v20, s16, 0
	ds_write2_b32 v20, v19, v19 offset0:41 offset1:104
.LBB17_376:
	s_or_b64 exec, exec, s[14:15]
	v_mov_b32_e32 v19, 0
	s_waitcnt lgkmcnt(0)
	s_barrier
	buffer_wbinvl1_vol
	s_and_saveexec_b64 s[16:17], s[8:9]
	s_cbranch_execz .LBB17_386
; %bb.377:
	v_lshlrev_b32_e32 v21, 2, v13
	v_lshlrev_b32_e32 v20, 8, v14
	ds_read_b32 v19, v21 offset:10368
	ds_read_b32 v22, v20 offset:10400
	v_cmp_gt_u32_e64 s[14:15], 56, v5
	s_waitcnt lgkmcnt(0)
	v_fma_f32 v19, v19, v22, 0
	s_and_saveexec_b64 s[20:21], s[14:15]
	s_cbranch_execnz .LBB17_1222
; %bb.378:
	s_or_b64 exec, exec, s[20:21]
	v_cmp_gt_u32_e64 s[14:15], 48, v5
	s_and_saveexec_b64 s[20:21], s[14:15]
	s_cbranch_execnz .LBB17_1223
.LBB17_379:
	s_or_b64 exec, exec, s[20:21]
	v_cmp_gt_u32_e64 s[14:15], 40, v5
	s_and_saveexec_b64 s[20:21], s[14:15]
	s_cbranch_execnz .LBB17_1224
.LBB17_380:
	s_or_b64 exec, exec, s[20:21]
	v_cmp_gt_u32_e64 s[14:15], 32, v5
	s_and_saveexec_b64 s[20:21], s[14:15]
	s_cbranch_execnz .LBB17_1225
.LBB17_381:
	s_or_b64 exec, exec, s[20:21]
	v_cmp_gt_u32_e64 s[14:15], 24, v5
	s_and_saveexec_b64 s[20:21], s[14:15]
	s_cbranch_execnz .LBB17_1226
.LBB17_382:
	s_or_b64 exec, exec, s[20:21]
	s_and_saveexec_b64 s[14:15], s[18:19]
	s_cbranch_execnz .LBB17_1227
.LBB17_383:
	s_or_b64 exec, exec, s[14:15]
	v_cmp_gt_u32_e64 s[14:15], 8, v5
	s_and_saveexec_b64 s[20:21], s[14:15]
	s_cbranch_execz .LBB17_385
.LBB17_384:
	v_lshlrev_b32_e32 v20, 2, v0
	v_mov_b32_e32 v21, 0
	ds_read_b32 v20, v20 offset:12160
	ds_read_b32 v21, v21 offset:12220
	s_waitcnt lgkmcnt(0)
	v_fmac_f32_e32 v19, v20, v21
.LBB17_385:
	s_or_b64 exec, exec, s[20:21]
.LBB17_386:
	s_or_b64 exec, exec, s[16:17]
	s_and_saveexec_b64 s[14:15], s[50:51]
	s_cbranch_execz .LBB17_388
; %bb.387:
	v_mov_b32_e32 v20, 0
	ds_read_b32 v20, v20 offset:10140
	s_waitcnt lgkmcnt(0)
	v_mul_f32_e32 v19, v19, v20
	v_xor_b32_e32 v20, 0x80000000, v19
	ds_write_b32 v15, v20
.LBB17_388:
	s_or_b64 exec, exec, s[14:15]
	s_waitcnt lgkmcnt(0)
	s_barrier
	s_and_saveexec_b64 s[14:15], s[52:53]
	s_cbranch_execz .LBB17_390
; %bb.389:
	v_lshlrev_b32_e32 v20, 2, v13
	ds_read_b32 v20, v20 offset:10112
	ds_read_b32 v21, v15
	s_waitcnt lgkmcnt(0)
	v_fma_f32 v19, -v20, v21, v19
.LBB17_390:
	s_or_b64 exec, exec, s[14:15]
	s_barrier
	s_and_saveexec_b64 s[14:15], s[54:55]
	s_cbranch_execz .LBB17_392
; %bb.391:
	v_mov_b32_e32 v20, 0
	ds_read_b32 v20, v20 offset:9880
	s_waitcnt lgkmcnt(0)
	v_mul_f32_e32 v19, v19, v20
	v_xor_b32_e32 v20, 0x80000000, v19
	ds_write_b32 v15, v20
.LBB17_392:
	s_or_b64 exec, exec, s[14:15]
	s_waitcnt lgkmcnt(0)
	s_barrier
	s_and_saveexec_b64 s[14:15], s[56:57]
	s_cbranch_execz .LBB17_394
; %bb.393:
	v_lshlrev_b32_e32 v20, 2, v13
	ds_read_b32 v20, v20 offset:9856
	ds_read_b32 v21, v15
	s_waitcnt lgkmcnt(0)
	v_fma_f32 v19, -v20, v21, v19
.LBB17_394:
	s_or_b64 exec, exec, s[14:15]
	s_barrier
	;; [unrolled: 24-line block ×6, first 2 shown]
	s_and_saveexec_b64 s[14:15], s[76:77]
	s_cbranch_execz .LBB17_412
; %bb.411:
	v_mov_b32_e32 v20, 0
	ds_read_b32 v20, v20 offset:8580
	s_waitcnt lgkmcnt(0)
	v_mul_f32_e32 v19, v19, v20
	v_xor_b32_e32 v20, 0x80000000, v19
	ds_write_b32 v15, v20
.LBB17_412:
	s_or_b64 exec, exec, s[14:15]
	s_waitcnt lgkmcnt(0)
	s_barrier
	s_and_saveexec_b64 s[14:15], s[60:61]
	s_cbranch_execz .LBB17_414
; %bb.413:
	v_mov_b32_e32 v20, 0
	ds_read_b32 v20, v20 offset:8576
	ds_read_b32 v21, v15
	s_waitcnt lgkmcnt(0)
	v_fma_f32 v19, -v20, v21, v19
.LBB17_414:
	s_or_b64 exec, exec, s[14:15]
	s_barrier
	s_and_saveexec_b64 s[14:15], s[60:61]
	s_cbranch_execz .LBB17_416
; %bb.415:
	v_mov_b32_e32 v20, 0
	ds_read_b32 v20, v20 offset:8320
	s_waitcnt lgkmcnt(0)
	v_mul_f32_e32 v19, v19, v20
	v_xor_b32_e32 v20, 0x80000000, v19
	ds_write_b32 v15, v20
.LBB17_416:
	s_or_b64 exec, exec, s[14:15]
	s_waitcnt lgkmcnt(0)
	s_barrier
	s_barrier
	s_and_saveexec_b64 s[14:15], s[8:9]
; %bb.417:
	v_lshlrev_b32_e32 v20, 2, v13
	v_lshl_or_b32 v20, v14, 8, v20
	ds_write_b32 v20, v19 offset:10368
; %bb.418:
	s_or_b64 exec, exec, s[14:15]
	s_waitcnt lgkmcnt(0)
	s_barrier
	s_barrier
	s_and_saveexec_b64 s[14:15], s[78:79]
	s_cbranch_execz .LBB17_420
; %bb.419:
	v_lshlrev_b32_e32 v19, 8, v0
	ds_read_b32 v20, v19 offset:10368
	s_movk_i32 s16, 0xff04
	v_mad_i32_i24 v21, v0, s16, v19
	s_waitcnt lgkmcnt(0)
	ds_write_b32 v21, v20 offset:8352
	ds_read_b32 v20, v19 offset:10372
	s_waitcnt lgkmcnt(0)
	ds_write_b32 v21, v20 offset:8608
	ds_read_b32 v20, v19 offset:10376
	;; [unrolled: 3-line block ×7, first 2 shown]
	s_waitcnt lgkmcnt(0)
	ds_write_b32 v21, v19 offset:10144
.LBB17_420:
	s_or_b64 exec, exec, s[14:15]
	s_waitcnt lgkmcnt(0)
	s_barrier
	s_and_saveexec_b64 s[14:15], vcc
	s_cbranch_execz .LBB17_422
; %bb.421:
	v_mov_b32_e32 v21, 0
	ds_read_b64 v[19:20], v21 offset:10136
	ds_read_b32 v21, v21 offset:9880
	s_movk_i32 s16, 0x2400
	s_waitcnt lgkmcnt(0)
	v_mul_f32_e32 v20, v21, v20
	v_mul_f32_e32 v19, v19, v20
	v_add_u32_e64 v20, s16, 0
	ds_write2_b32 v20, v19, v19 offset0:167 offset1:230
.LBB17_422:
	s_or_b64 exec, exec, s[14:15]
	v_mov_b32_e32 v19, 0
	s_waitcnt lgkmcnt(0)
	s_barrier
	buffer_wbinvl1_vol
	s_and_saveexec_b64 s[16:17], s[2:3]
	s_cbranch_execz .LBB17_426
; %bb.423:
	v_lshlrev_b32_e32 v19, 8, v3
	v_lshlrev_b32_e32 v20, 2, v1
	ds_read_b32 v21, v20 offset:9872
	ds_read_b32 v19, v19 offset:9880
	v_mov_b32_e32 v20, 0
	v_cmp_gt_u32_e64 s[14:15], 2, v5
	s_waitcnt lgkmcnt(0)
	v_fma_f32 v19, v21, v19, 0
	s_and_saveexec_b64 s[20:21], s[14:15]
	s_cbranch_execz .LBB17_425
; %bb.424:
	v_lshlrev_b32_e32 v21, 2, v0
	ds_read_b32 v21, v21 offset:10128
	ds_read_b32 v20, v20 offset:10140
	s_waitcnt lgkmcnt(0)
	v_fmac_f32_e32 v19, v21, v20
.LBB17_425:
	s_or_b64 exec, exec, s[20:21]
.LBB17_426:
	s_or_b64 exec, exec, s[16:17]
	s_and_saveexec_b64 s[14:15], s[30:31]
	s_cbranch_execz .LBB17_428
; %bb.427:
	v_mov_b32_e32 v20, 0
	ds_read_b32 v20, v20 offset:9620
	s_waitcnt lgkmcnt(0)
	v_mul_f32_e32 v19, v19, v20
	v_xor_b32_e32 v20, 0x80000000, v19
	ds_write_b32 v4, v20
.LBB17_428:
	s_or_b64 exec, exec, s[14:15]
	s_waitcnt lgkmcnt(0)
	s_barrier
	s_and_saveexec_b64 s[14:15], s[26:27]
	s_cbranch_execz .LBB17_430
; %bb.429:
	v_mov_b32_e32 v20, 0
	ds_read_b32 v20, v20 offset:9616
	ds_read_b32 v21, v4
	s_waitcnt lgkmcnt(0)
	v_fma_f32 v19, -v20, v21, v19
.LBB17_430:
	s_or_b64 exec, exec, s[14:15]
	s_barrier
	s_and_saveexec_b64 s[14:15], s[26:27]
	s_cbranch_execz .LBB17_432
; %bb.431:
	v_mov_b32_e32 v20, 0
	ds_read_b32 v20, v20 offset:9360
	s_waitcnt lgkmcnt(0)
	v_mul_f32_e32 v19, v19, v20
	v_xor_b32_e32 v20, 0x80000000, v19
	ds_write_b32 v4, v20
.LBB17_432:
	s_or_b64 exec, exec, s[14:15]
	s_waitcnt lgkmcnt(0)
	s_barrier
	s_barrier
	s_and_saveexec_b64 s[14:15], s[2:3]
; %bb.433:
	v_lshlrev_b32_e32 v20, 2, v1
	v_lshl_or_b32 v20, v3, 8, v20
	ds_write_b32 v20, v19 offset:9872
; %bb.434:
	s_or_b64 exec, exec, s[14:15]
	s_waitcnt lgkmcnt(0)
	s_barrier
	s_barrier
	s_and_saveexec_b64 s[14:15], s[34:35]
	s_cbranch_execz .LBB17_436
; %bb.435:
	v_lshlrev_b32_e32 v19, 2, v0
	s_movk_i32 s16, 0xfc
	v_mad_u32_u24 v20, v0, s16, v19
	ds_read_b32 v21, v20 offset:9872
	s_waitcnt lgkmcnt(0)
	ds_write_b32 v19, v21 offset:9368
	ds_read_b32 v20, v20 offset:9876
	s_waitcnt lgkmcnt(0)
	ds_write_b32 v19, v20 offset:9624
.LBB17_436:
	s_or_b64 exec, exec, s[14:15]
	s_waitcnt lgkmcnt(0)
	s_barrier
	s_and_saveexec_b64 s[14:15], vcc
	s_cbranch_execz .LBB17_438
; %bb.437:
	v_mov_b32_e32 v21, 0
	ds_read_b64 v[19:20], v21 offset:9616
	ds_read_b32 v21, v21 offset:9360
	s_movk_i32 s16, 0x2400
	s_waitcnt lgkmcnt(0)
	v_mul_f32_e32 v20, v21, v20
	v_mul_f32_e32 v19, v19, v20
	v_add_u32_e64 v20, s16, 0
	ds_write2_b32 v20, v19, v19 offset0:37 offset1:100
.LBB17_438:
	s_or_b64 exec, exec, s[14:15]
	v_mov_b32_e32 v19, 0
	s_waitcnt lgkmcnt(0)
	s_barrier
	buffer_wbinvl1_vol
	s_and_saveexec_b64 s[16:17], s[18:19]
	s_cbranch_execz .LBB17_444
; %bb.439:
	v_lshlrev_b32_e32 v21, 2, v6
	v_lshlrev_b32_e32 v20, 8, v11
	ds_read_b32 v19, v21 offset:9344
	ds_read_b32 v22, v20 offset:9360
	v_cmp_gt_u32_e64 s[14:15], 12, v5
	s_waitcnt lgkmcnt(0)
	v_fma_f32 v19, v19, v22, 0
	s_and_saveexec_b64 s[20:21], s[14:15]
	s_cbranch_execnz .LBB17_1228
; %bb.440:
	s_or_b64 exec, exec, s[20:21]
	v_cmp_gt_u32_e64 s[14:15], 8, v5
	s_and_saveexec_b64 s[20:21], s[14:15]
	s_cbranch_execnz .LBB17_1229
.LBB17_441:
	s_or_b64 exec, exec, s[20:21]
	v_cmp_gt_u32_e64 s[14:15], 4, v5
	s_and_saveexec_b64 s[20:21], s[14:15]
	s_cbranch_execz .LBB17_443
.LBB17_442:
	v_lshlrev_b32_e32 v20, 2, v0
	v_mov_b32_e32 v21, 0
	ds_read_b32 v20, v20 offset:10112
	ds_read_b32 v21, v21 offset:10140
	s_waitcnt lgkmcnt(0)
	v_fmac_f32_e32 v19, v20, v21
.LBB17_443:
	s_or_b64 exec, exec, s[20:21]
.LBB17_444:
	s_or_b64 exec, exec, s[16:17]
	s_and_saveexec_b64 s[14:15], s[38:39]
	s_cbranch_execz .LBB17_446
; %bb.445:
	v_mov_b32_e32 v20, 0
	ds_read_b32 v20, v20 offset:9100
	s_waitcnt lgkmcnt(0)
	v_mul_f32_e32 v19, v19, v20
	v_xor_b32_e32 v20, 0x80000000, v19
	ds_write_b32 v12, v20
.LBB17_446:
	s_or_b64 exec, exec, s[14:15]
	s_waitcnt lgkmcnt(0)
	s_barrier
	s_and_saveexec_b64 s[14:15], s[40:41]
	s_cbranch_execz .LBB17_448
; %bb.447:
	v_lshlrev_b32_e32 v20, 2, v6
	ds_read_b32 v20, v20 offset:9088
	ds_read_b32 v21, v12
	s_waitcnt lgkmcnt(0)
	v_fma_f32 v19, -v20, v21, v19
.LBB17_448:
	s_or_b64 exec, exec, s[14:15]
	s_barrier
	s_and_saveexec_b64 s[14:15], s[42:43]
	s_cbranch_execz .LBB17_450
; %bb.449:
	v_mov_b32_e32 v20, 0
	ds_read_b32 v20, v20 offset:8840
	s_waitcnt lgkmcnt(0)
	v_mul_f32_e32 v19, v19, v20
	v_xor_b32_e32 v20, 0x80000000, v19
	ds_write_b32 v12, v20
.LBB17_450:
	s_or_b64 exec, exec, s[14:15]
	s_waitcnt lgkmcnt(0)
	s_barrier
	s_and_saveexec_b64 s[14:15], s[44:45]
	s_cbranch_execz .LBB17_452
; %bb.451:
	v_lshlrev_b32_e32 v20, 2, v6
	ds_read_b32 v20, v20 offset:8832
	ds_read_b32 v21, v12
	s_waitcnt lgkmcnt(0)
	v_fma_f32 v19, -v20, v21, v19
.LBB17_452:
	s_or_b64 exec, exec, s[14:15]
	s_barrier
	s_and_saveexec_b64 s[14:15], s[46:47]
	s_cbranch_execz .LBB17_454
; %bb.453:
	v_mov_b32_e32 v20, 0
	ds_read_b32 v20, v20 offset:8580
	s_waitcnt lgkmcnt(0)
	v_mul_f32_e32 v19, v19, v20
	v_xor_b32_e32 v20, 0x80000000, v19
	ds_write_b32 v12, v20
.LBB17_454:
	s_or_b64 exec, exec, s[14:15]
	s_waitcnt lgkmcnt(0)
	s_barrier
	s_and_saveexec_b64 s[14:15], s[36:37]
	s_cbranch_execz .LBB17_456
; %bb.455:
	v_mov_b32_e32 v20, 0
	ds_read_b32 v20, v20 offset:8576
	ds_read_b32 v21, v12
	s_waitcnt lgkmcnt(0)
	v_fma_f32 v19, -v20, v21, v19
.LBB17_456:
	s_or_b64 exec, exec, s[14:15]
	s_barrier
	s_and_saveexec_b64 s[14:15], s[36:37]
	s_cbranch_execz .LBB17_458
; %bb.457:
	v_mov_b32_e32 v20, 0
	ds_read_b32 v20, v20 offset:8320
	s_waitcnt lgkmcnt(0)
	v_mul_f32_e32 v19, v19, v20
	v_xor_b32_e32 v20, 0x80000000, v19
	ds_write_b32 v12, v20
.LBB17_458:
	s_or_b64 exec, exec, s[14:15]
	s_waitcnt lgkmcnt(0)
	s_barrier
	s_barrier
	s_and_saveexec_b64 s[14:15], s[18:19]
; %bb.459:
	v_lshlrev_b32_e32 v20, 2, v6
	v_lshl_or_b32 v20, v11, 8, v20
	ds_write_b32 v20, v19 offset:9344
; %bb.460:
	s_or_b64 exec, exec, s[14:15]
	s_waitcnt lgkmcnt(0)
	s_barrier
	s_barrier
	s_and_saveexec_b64 s[14:15], s[48:49]
	s_cbranch_execz .LBB17_462
; %bb.461:
	v_lshlrev_b32_e32 v19, 8, v0
	ds_read_b32 v20, v19 offset:9344
	s_movk_i32 s16, 0xff04
	v_mad_i32_i24 v21, v0, s16, v19
	s_waitcnt lgkmcnt(0)
	ds_write_b32 v21, v20 offset:8336
	ds_read_b32 v20, v19 offset:9348
	s_waitcnt lgkmcnt(0)
	ds_write_b32 v21, v20 offset:8592
	ds_read_b32 v20, v19 offset:9352
	;; [unrolled: 3-line block ×3, first 2 shown]
	s_waitcnt lgkmcnt(0)
	ds_write_b32 v21, v19 offset:9104
.LBB17_462:
	s_or_b64 exec, exec, s[14:15]
	s_waitcnt lgkmcnt(0)
	s_barrier
	s_and_saveexec_b64 s[14:15], vcc
	s_cbranch_execz .LBB17_464
; %bb.463:
	v_mov_b32_e32 v21, 0
	ds_read_b64 v[19:20], v21 offset:9096
	ds_read_b32 v21, v21 offset:8840
	s_movk_i32 s16, 0x2000
	s_waitcnt lgkmcnt(0)
	v_mul_f32_e32 v20, v21, v20
	v_mul_f32_e32 v19, v19, v20
	v_add_u32_e64 v20, s16, 0
	ds_write2_b32 v20, v19, v19 offset0:163 offset1:226
.LBB17_464:
	s_or_b64 exec, exec, s[14:15]
	v_mov_b32_e32 v19, 0
	s_waitcnt lgkmcnt(0)
	s_barrier
	buffer_wbinvl1_vol
	s_and_saveexec_b64 s[16:17], s[2:3]
	s_cbranch_execz .LBB17_468
; %bb.465:
	v_lshlrev_b32_e32 v19, 8, v3
	v_lshlrev_b32_e32 v20, 2, v1
	ds_read_b32 v21, v20 offset:8832
	ds_read_b32 v19, v19 offset:8840
	v_mov_b32_e32 v20, 0
	v_cmp_gt_u32_e64 s[14:15], 2, v5
	s_waitcnt lgkmcnt(0)
	v_fma_f32 v19, v21, v19, 0
	s_and_saveexec_b64 s[20:21], s[14:15]
	s_cbranch_execz .LBB17_467
; %bb.466:
	v_lshlrev_b32_e32 v21, 2, v0
	ds_read_b32 v21, v21 offset:9088
	ds_read_b32 v20, v20 offset:9100
	s_waitcnt lgkmcnt(0)
	v_fmac_f32_e32 v19, v21, v20
.LBB17_467:
	s_or_b64 exec, exec, s[20:21]
.LBB17_468:
	s_or_b64 exec, exec, s[16:17]
	s_and_saveexec_b64 s[14:15], s[30:31]
	s_cbranch_execz .LBB17_470
; %bb.469:
	v_mov_b32_e32 v20, 0
	ds_read_b32 v20, v20 offset:8580
	s_waitcnt lgkmcnt(0)
	v_mul_f32_e32 v19, v19, v20
	v_xor_b32_e32 v20, 0x80000000, v19
	ds_write_b32 v4, v20
.LBB17_470:
	s_or_b64 exec, exec, s[14:15]
	s_waitcnt lgkmcnt(0)
	s_barrier
	s_and_saveexec_b64 s[14:15], s[26:27]
	s_cbranch_execz .LBB17_472
; %bb.471:
	v_mov_b32_e32 v20, 0
	ds_read_b32 v20, v20 offset:8576
	ds_read_b32 v21, v4
	s_waitcnt lgkmcnt(0)
	v_fma_f32 v19, -v20, v21, v19
.LBB17_472:
	s_or_b64 exec, exec, s[14:15]
	s_barrier
	s_and_saveexec_b64 s[14:15], s[26:27]
	s_cbranch_execz .LBB17_474
; %bb.473:
	v_mov_b32_e32 v20, 0
	ds_read_b32 v20, v20 offset:8320
	s_waitcnt lgkmcnt(0)
	v_mul_f32_e32 v19, v19, v20
	v_xor_b32_e32 v20, 0x80000000, v19
	ds_write_b32 v4, v20
.LBB17_474:
	s_or_b64 exec, exec, s[14:15]
	s_waitcnt lgkmcnt(0)
	s_barrier
	s_barrier
	s_and_saveexec_b64 s[14:15], s[2:3]
; %bb.475:
	v_lshlrev_b32_e32 v20, 2, v1
	v_lshl_or_b32 v20, v3, 8, v20
	ds_write_b32 v20, v19 offset:8832
; %bb.476:
	s_or_b64 exec, exec, s[14:15]
	s_waitcnt lgkmcnt(0)
	s_barrier
	s_barrier
	s_and_saveexec_b64 s[14:15], s[34:35]
	s_cbranch_execz .LBB17_478
; %bb.477:
	v_lshlrev_b32_e32 v19, 2, v0
	s_movk_i32 s16, 0xfc
	v_mad_u32_u24 v20, v0, s16, v19
	ds_read_b32 v21, v20 offset:8832
	s_waitcnt lgkmcnt(0)
	ds_write_b32 v19, v21 offset:8328
	ds_read_b32 v20, v20 offset:8836
	s_waitcnt lgkmcnt(0)
	ds_write_b32 v19, v20 offset:8584
.LBB17_478:
	s_or_b64 exec, exec, s[14:15]
	s_waitcnt lgkmcnt(0)
	s_barrier
	s_and_saveexec_b64 s[14:15], vcc
	s_cbranch_execz .LBB17_480
; %bb.479:
	v_mov_b32_e32 v21, 0
	ds_read_b64 v[19:20], v21 offset:8576
	ds_read_b32 v21, v21 offset:8320
	s_movk_i32 s16, 0x2000
	s_waitcnt lgkmcnt(0)
	v_mul_f32_e32 v20, v21, v20
	v_mul_f32_e32 v19, v19, v20
	v_add_u32_e64 v20, s16, 0
	ds_write2_b32 v20, v19, v19 offset0:33 offset1:96
.LBB17_480:
	s_or_b64 exec, exec, s[14:15]
	s_movk_i32 s14, 0x3ff
	v_lshrrev_b32_e32 v22, 5, v5
	v_cmp_lt_u32_e64 s[16:17], s14, v5
	s_movk_i32 s14, 0x400
	v_and_b32_e32 v19, 31, v0
	v_sub_u32_e32 v20, 31, v22
	v_cmp_gt_u32_e64 s[14:15], s14, v5
	v_mov_b32_e32 v21, 0
	s_waitcnt lgkmcnt(0)
	s_barrier
	buffer_wbinvl1_vol
	s_and_saveexec_b64 s[90:91], s[14:15]
	s_cbranch_execz .LBB17_542
; %bb.481:
	v_lshlrev_b32_e32 v24, 2, v19
	v_lshlrev_b32_e32 v23, 8, v20
	ds_read_b32 v21, v24 offset:8192
	ds_read_b32 v25, v23 offset:8320
	s_movk_i32 s20, 0x3e0
	v_cmp_gt_u32_e64 s[20:21], s20, v5
	s_waitcnt lgkmcnt(0)
	v_fma_f32 v21, v21, v25, 0
	s_and_saveexec_b64 s[92:93], s[20:21]
	s_cbranch_execz .LBB17_483
; %bb.482:
	ds_read_b32 v25, v24 offset:8448
	ds_read_b32 v26, v23 offset:8324
	s_waitcnt lgkmcnt(0)
	v_fmac_f32_e32 v21, v25, v26
.LBB17_483:
	s_or_b64 exec, exec, s[92:93]
	s_movk_i32 s20, 0x3c0
	v_cmp_gt_u32_e64 s[20:21], s20, v5
	s_and_saveexec_b64 s[92:93], s[20:21]
	s_cbranch_execz .LBB17_485
; %bb.484:
	ds_read_b32 v25, v24 offset:8704
	ds_read_b32 v26, v23 offset:8328
	s_waitcnt lgkmcnt(0)
	v_fmac_f32_e32 v21, v25, v26
.LBB17_485:
	s_or_b64 exec, exec, s[92:93]
	s_movk_i32 s20, 0x3a0
	v_cmp_gt_u32_e64 s[20:21], s20, v5
	;; [unrolled: 11-line block ×22, first 2 shown]
	s_and_saveexec_b64 s[92:93], s[20:21]
	s_cbranch_execz .LBB17_527
; %bb.526:
	ds_read_b32 v25, v24 offset:14080
	ds_read_b32 v26, v23 offset:8412
	s_waitcnt lgkmcnt(0)
	v_fmac_f32_e32 v21, v25, v26
.LBB17_527:
	s_or_b64 exec, exec, s[92:93]
	s_and_saveexec_b64 s[20:21], s[10:11]
	s_cbranch_execz .LBB17_529
; %bb.528:
	ds_read_b32 v25, v24 offset:14336
	ds_read_b32 v26, v23 offset:8416
	s_waitcnt lgkmcnt(0)
	v_fmac_f32_e32 v21, v25, v26
.LBB17_529:
	s_or_b64 exec, exec, s[20:21]
	s_movk_i32 s20, 0xe0
	v_cmp_gt_u32_e64 s[20:21], s20, v5
	s_and_saveexec_b64 s[92:93], s[20:21]
	s_cbranch_execz .LBB17_531
; %bb.530:
	ds_read_b32 v25, v24 offset:14592
	ds_read_b32 v26, v23 offset:8420
	s_waitcnt lgkmcnt(0)
	v_fmac_f32_e32 v21, v25, v26
.LBB17_531:
	s_or_b64 exec, exec, s[92:93]
	s_movk_i32 s20, 0xc0
	v_cmp_gt_u32_e64 s[20:21], s20, v5
	;; [unrolled: 11-line block ×5, first 2 shown]
	s_and_saveexec_b64 s[92:93], s[20:21]
	s_cbranch_execnz .LBB17_1230
; %bb.538:
	s_or_b64 exec, exec, s[92:93]
	s_and_saveexec_b64 s[20:21], s[8:9]
	s_cbranch_execnz .LBB17_1231
.LBB17_539:
	s_or_b64 exec, exec, s[20:21]
	v_cmp_gt_u32_e64 s[20:21], 32, v5
	s_and_saveexec_b64 s[92:93], s[20:21]
	s_cbranch_execz .LBB17_541
.LBB17_540:
	v_lshlrev_b32_e32 v23, 2, v0
	v_mov_b32_e32 v24, 0
	ds_read_b32 v23, v23 offset:16128
	ds_read_b32 v24, v24 offset:16380
	s_waitcnt lgkmcnt(0)
	v_fmac_f32_e32 v21, v23, v24
.LBB17_541:
	s_or_b64 exec, exec, s[92:93]
.LBB17_542:
	s_or_b64 exec, exec, s[90:91]
	v_mov_b32_e32 v23, 0x4000
	v_cmp_eq_u32_e64 s[20:21], 31, v19
	s_xor_b64 s[90:91], s[16:17], -1
	v_lshl_add_u32 v22, v22, 2, v23
	s_and_b64 s[20:21], s[20:21], s[90:91]
	s_and_saveexec_b64 s[16:17], s[20:21]
	s_cbranch_execz .LBB17_544
; %bb.543:
	v_mov_b32_e32 v23, 0
	ds_read_b32 v23, v23 offset:8060
	s_waitcnt lgkmcnt(0)
	v_mul_f32_e32 v21, v21, v23
	v_xor_b32_e32 v23, 0x80000000, v21
	ds_write_b32 v22, v23
.LBB17_544:
	s_or_b64 exec, exec, s[16:17]
	v_cmp_ne_u32_e64 s[16:17], 31, v19
	s_and_b64 s[20:21], s[16:17], s[90:91]
	s_waitcnt lgkmcnt(0)
	s_barrier
	s_and_saveexec_b64 s[16:17], s[20:21]
	s_cbranch_execz .LBB17_546
; %bb.545:
	v_lshlrev_b32_e32 v23, 2, v19
	ds_read_b32 v23, v23 offset:7936
	ds_read_b32 v24, v22
	s_waitcnt lgkmcnt(0)
	v_fma_f32 v21, -v23, v24, v21
.LBB17_546:
	s_or_b64 exec, exec, s[16:17]
	v_cmp_eq_u32_e64 s[16:17], 30, v19
	s_and_b64 s[20:21], s[16:17], s[90:91]
	s_barrier
	s_and_saveexec_b64 s[16:17], s[20:21]
	s_cbranch_execz .LBB17_548
; %bb.547:
	v_mov_b32_e32 v23, 0
	ds_read_b32 v23, v23 offset:7800
	s_waitcnt lgkmcnt(0)
	v_mul_f32_e32 v21, v21, v23
	v_xor_b32_e32 v23, 0x80000000, v21
	ds_write_b32 v22, v23
.LBB17_548:
	s_or_b64 exec, exec, s[16:17]
	v_cmp_gt_u32_e64 s[16:17], 30, v19
	s_and_b64 s[20:21], s[16:17], s[90:91]
	s_waitcnt lgkmcnt(0)
	s_barrier
	s_and_saveexec_b64 s[16:17], s[20:21]
	s_cbranch_execz .LBB17_550
; %bb.549:
	v_lshlrev_b32_e32 v23, 2, v19
	ds_read_b32 v23, v23 offset:7680
	ds_read_b32 v24, v22
	s_waitcnt lgkmcnt(0)
	v_fma_f32 v21, -v23, v24, v21
.LBB17_550:
	s_or_b64 exec, exec, s[16:17]
	v_cmp_eq_u32_e64 s[16:17], 29, v19
	s_and_b64 s[20:21], s[16:17], s[90:91]
	s_barrier
	s_and_saveexec_b64 s[16:17], s[20:21]
	s_cbranch_execz .LBB17_552
; %bb.551:
	v_mov_b32_e32 v23, 0
	ds_read_b32 v23, v23 offset:7540
	s_waitcnt lgkmcnt(0)
	v_mul_f32_e32 v21, v21, v23
	v_xor_b32_e32 v23, 0x80000000, v21
	ds_write_b32 v22, v23
.LBB17_552:
	s_or_b64 exec, exec, s[16:17]
	v_cmp_gt_u32_e64 s[16:17], 29, v19
	;; [unrolled: 28-line block ×29, first 2 shown]
	s_and_b64 s[20:21], s[16:17], s[90:91]
	s_waitcnt lgkmcnt(0)
	s_barrier
	s_and_saveexec_b64 s[16:17], s[20:21]
	s_cbranch_execz .LBB17_662
; %bb.661:
	v_lshlrev_b32_e32 v23, 2, v19
	ds_read_b32 v23, v23 offset:512
	ds_read_b32 v24, v22
	s_waitcnt lgkmcnt(0)
	v_fma_f32 v21, -v23, v24, v21
.LBB17_662:
	s_or_b64 exec, exec, s[16:17]
	v_cmp_eq_u32_e64 s[16:17], 1, v19
	s_and_b64 s[20:21], s[16:17], s[90:91]
	s_barrier
	s_and_saveexec_b64 s[16:17], s[20:21]
	s_cbranch_execz .LBB17_664
; %bb.663:
	v_mov_b32_e32 v23, 0
	ds_read_b32 v23, v23 offset:260
	s_waitcnt lgkmcnt(0)
	v_mul_f32_e32 v21, v21, v23
	v_xor_b32_e32 v23, 0x80000000, v21
	ds_write_b32 v22, v23
.LBB17_664:
	s_or_b64 exec, exec, s[16:17]
	v_cmp_eq_u32_e64 s[16:17], 0, v19
	s_and_b64 s[16:17], s[16:17], s[90:91]
	s_waitcnt lgkmcnt(0)
	s_barrier
	s_and_saveexec_b64 s[20:21], s[16:17]
	s_cbranch_execz .LBB17_666
; %bb.665:
	v_mov_b32_e32 v23, 0
	ds_read_b32 v23, v23 offset:256
	ds_read_b32 v24, v22
	s_waitcnt lgkmcnt(0)
	v_fma_f32 v21, -v23, v24, v21
.LBB17_666:
	s_or_b64 exec, exec, s[20:21]
	s_barrier
	s_and_saveexec_b64 s[20:21], s[16:17]
	s_cbranch_execz .LBB17_668
; %bb.667:
	v_mov_b32_e32 v23, 0
	ds_read_b32 v23, v23
	s_waitcnt lgkmcnt(0)
	v_mul_f32_e32 v21, v21, v23
	v_xor_b32_e32 v23, 0x80000000, v21
	ds_write_b32 v22, v23
.LBB17_668:
	s_or_b64 exec, exec, s[20:21]
	s_waitcnt lgkmcnt(0)
	s_barrier
	s_barrier
	s_and_saveexec_b64 s[16:17], s[14:15]
; %bb.669:
	v_lshlrev_b32_e32 v19, 2, v19
	v_lshl_or_b32 v19, v20, 8, v19
	ds_write_b32 v19, v21 offset:8192
; %bb.670:
	s_or_b64 exec, exec, s[16:17]
	v_cmp_gt_u32_e64 s[14:15], 32, v0
	s_and_b64 s[14:15], s[12:13], s[14:15]
	s_waitcnt lgkmcnt(0)
	s_barrier
	s_barrier
	s_and_saveexec_b64 s[12:13], s[14:15]
	s_cbranch_execz .LBB17_672
; %bb.671:
	v_lshlrev_b32_e32 v19, 8, v0
	ds_read_b32 v20, v19 offset:8192
	s_movk_i32 s14, 0xff04
	v_mad_i32_i24 v21, v0, s14, v19
	s_waitcnt lgkmcnt(0)
	ds_write_b32 v21, v20 offset:128
	ds_read_b32 v20, v19 offset:8196
	s_waitcnt lgkmcnt(0)
	ds_write_b32 v21, v20 offset:384
	ds_read_b32 v20, v19 offset:8200
	;; [unrolled: 3-line block ×31, first 2 shown]
	s_waitcnt lgkmcnt(0)
	ds_write_b32 v21, v19 offset:8064
.LBB17_672:
	s_or_b64 exec, exec, s[12:13]
	s_waitcnt lgkmcnt(0)
	s_barrier
	s_and_saveexec_b64 s[12:13], vcc
	s_cbranch_execz .LBB17_674
; %bb.673:
	v_mov_b32_e32 v21, 0
	ds_read_b64 v[19:20], v21 offset:8056
	ds_read_b32 v21, v21 offset:7800
	s_movk_i32 s14, 0x1c00
	s_waitcnt lgkmcnt(0)
	v_mul_f32_e32 v20, v21, v20
	v_mul_f32_e32 v19, v19, v20
	v_add_u32_e64 v20, s14, 0
	ds_write2_b32 v20, v19, v19 offset0:159 offset1:222
.LBB17_674:
	s_or_b64 exec, exec, s[12:13]
	v_mov_b32_e32 v19, 0
	s_waitcnt lgkmcnt(0)
	s_barrier
	buffer_wbinvl1_vol
	s_and_saveexec_b64 s[14:15], s[2:3]
	s_cbranch_execz .LBB17_678
; %bb.675:
	v_lshlrev_b32_e32 v19, 8, v3
	v_lshlrev_b32_e32 v20, 2, v1
	ds_read_b32 v21, v20 offset:7792
	ds_read_b32 v19, v19 offset:7800
	v_mov_b32_e32 v20, 0
	v_cmp_gt_u32_e64 s[12:13], 2, v5
	s_waitcnt lgkmcnt(0)
	v_fma_f32 v19, v21, v19, 0
	s_and_saveexec_b64 s[16:17], s[12:13]
	s_cbranch_execz .LBB17_677
; %bb.676:
	v_lshlrev_b32_e32 v21, 2, v0
	ds_read_b32 v21, v21 offset:8048
	ds_read_b32 v20, v20 offset:8060
	s_waitcnt lgkmcnt(0)
	v_fmac_f32_e32 v19, v21, v20
.LBB17_677:
	s_or_b64 exec, exec, s[16:17]
.LBB17_678:
	s_or_b64 exec, exec, s[14:15]
	s_and_saveexec_b64 s[12:13], s[30:31]
	s_cbranch_execz .LBB17_680
; %bb.679:
	v_mov_b32_e32 v20, 0
	ds_read_b32 v20, v20 offset:7540
	s_waitcnt lgkmcnt(0)
	v_mul_f32_e32 v19, v19, v20
	v_xor_b32_e32 v20, 0x80000000, v19
	ds_write_b32 v4, v20
.LBB17_680:
	s_or_b64 exec, exec, s[12:13]
	s_waitcnt lgkmcnt(0)
	s_barrier
	s_and_saveexec_b64 s[12:13], s[26:27]
	s_cbranch_execz .LBB17_682
; %bb.681:
	v_mov_b32_e32 v20, 0
	ds_read_b32 v20, v20 offset:7536
	ds_read_b32 v21, v4
	s_waitcnt lgkmcnt(0)
	v_fma_f32 v19, -v20, v21, v19
.LBB17_682:
	s_or_b64 exec, exec, s[12:13]
	s_barrier
	s_and_saveexec_b64 s[12:13], s[26:27]
	s_cbranch_execz .LBB17_684
; %bb.683:
	v_mov_b32_e32 v20, 0
	ds_read_b32 v20, v20 offset:7280
	s_waitcnt lgkmcnt(0)
	v_mul_f32_e32 v19, v19, v20
	v_xor_b32_e32 v20, 0x80000000, v19
	ds_write_b32 v4, v20
.LBB17_684:
	s_or_b64 exec, exec, s[12:13]
	s_waitcnt lgkmcnt(0)
	s_barrier
	s_barrier
	s_and_saveexec_b64 s[12:13], s[2:3]
; %bb.685:
	v_lshlrev_b32_e32 v20, 2, v1
	v_lshl_or_b32 v20, v3, 8, v20
	ds_write_b32 v20, v19 offset:7792
; %bb.686:
	s_or_b64 exec, exec, s[12:13]
	s_waitcnt lgkmcnt(0)
	s_barrier
	s_barrier
	s_and_saveexec_b64 s[12:13], s[34:35]
	s_cbranch_execz .LBB17_688
; %bb.687:
	v_lshlrev_b32_e32 v19, 2, v0
	s_movk_i32 s14, 0xfc
	v_mad_u32_u24 v20, v0, s14, v19
	ds_read_b32 v21, v20 offset:7792
	s_waitcnt lgkmcnt(0)
	ds_write_b32 v19, v21 offset:7288
	ds_read_b32 v20, v20 offset:7796
	s_waitcnt lgkmcnt(0)
	ds_write_b32 v19, v20 offset:7544
.LBB17_688:
	s_or_b64 exec, exec, s[12:13]
	s_waitcnt lgkmcnt(0)
	s_barrier
	s_and_saveexec_b64 s[12:13], vcc
	s_cbranch_execz .LBB17_690
; %bb.689:
	v_mov_b32_e32 v21, 0
	ds_read_b64 v[19:20], v21 offset:7536
	ds_read_b32 v21, v21 offset:7280
	s_movk_i32 s14, 0x1c00
	s_waitcnt lgkmcnt(0)
	v_mul_f32_e32 v20, v21, v20
	v_mul_f32_e32 v19, v19, v20
	v_add_u32_e64 v20, s14, 0
	ds_write2_b32 v20, v19, v19 offset0:29 offset1:92
.LBB17_690:
	s_or_b64 exec, exec, s[12:13]
	v_mov_b32_e32 v19, 0
	s_waitcnt lgkmcnt(0)
	s_barrier
	buffer_wbinvl1_vol
	s_and_saveexec_b64 s[14:15], s[18:19]
	s_cbranch_execz .LBB17_696
; %bb.691:
	v_lshlrev_b32_e32 v21, 2, v6
	v_lshlrev_b32_e32 v20, 8, v11
	ds_read_b32 v19, v21 offset:7264
	ds_read_b32 v22, v20 offset:7280
	v_cmp_gt_u32_e64 s[12:13], 12, v5
	s_waitcnt lgkmcnt(0)
	v_fma_f32 v19, v19, v22, 0
	s_and_saveexec_b64 s[16:17], s[12:13]
	s_cbranch_execnz .LBB17_1232
; %bb.692:
	s_or_b64 exec, exec, s[16:17]
	v_cmp_gt_u32_e64 s[12:13], 8, v5
	s_and_saveexec_b64 s[16:17], s[12:13]
	s_cbranch_execnz .LBB17_1233
.LBB17_693:
	s_or_b64 exec, exec, s[16:17]
	v_cmp_gt_u32_e64 s[12:13], 4, v5
	s_and_saveexec_b64 s[16:17], s[12:13]
	s_cbranch_execz .LBB17_695
.LBB17_694:
	v_lshlrev_b32_e32 v20, 2, v0
	v_mov_b32_e32 v21, 0
	ds_read_b32 v20, v20 offset:8032
	ds_read_b32 v21, v21 offset:8060
	s_waitcnt lgkmcnt(0)
	v_fmac_f32_e32 v19, v20, v21
.LBB17_695:
	s_or_b64 exec, exec, s[16:17]
.LBB17_696:
	s_or_b64 exec, exec, s[14:15]
	s_and_saveexec_b64 s[12:13], s[38:39]
	s_cbranch_execz .LBB17_698
; %bb.697:
	v_mov_b32_e32 v20, 0
	ds_read_b32 v20, v20 offset:7020
	s_waitcnt lgkmcnt(0)
	v_mul_f32_e32 v19, v19, v20
	v_xor_b32_e32 v20, 0x80000000, v19
	ds_write_b32 v12, v20
.LBB17_698:
	s_or_b64 exec, exec, s[12:13]
	s_waitcnt lgkmcnt(0)
	s_barrier
	s_and_saveexec_b64 s[12:13], s[40:41]
	s_cbranch_execz .LBB17_700
; %bb.699:
	v_lshlrev_b32_e32 v20, 2, v6
	ds_read_b32 v20, v20 offset:7008
	ds_read_b32 v21, v12
	s_waitcnt lgkmcnt(0)
	v_fma_f32 v19, -v20, v21, v19
.LBB17_700:
	s_or_b64 exec, exec, s[12:13]
	s_barrier
	s_and_saveexec_b64 s[12:13], s[42:43]
	s_cbranch_execz .LBB17_702
; %bb.701:
	v_mov_b32_e32 v20, 0
	ds_read_b32 v20, v20 offset:6760
	s_waitcnt lgkmcnt(0)
	v_mul_f32_e32 v19, v19, v20
	v_xor_b32_e32 v20, 0x80000000, v19
	ds_write_b32 v12, v20
.LBB17_702:
	s_or_b64 exec, exec, s[12:13]
	s_waitcnt lgkmcnt(0)
	s_barrier
	s_and_saveexec_b64 s[12:13], s[44:45]
	s_cbranch_execz .LBB17_704
; %bb.703:
	v_lshlrev_b32_e32 v20, 2, v6
	ds_read_b32 v20, v20 offset:6752
	ds_read_b32 v21, v12
	s_waitcnt lgkmcnt(0)
	v_fma_f32 v19, -v20, v21, v19
.LBB17_704:
	s_or_b64 exec, exec, s[12:13]
	s_barrier
	s_and_saveexec_b64 s[12:13], s[46:47]
	s_cbranch_execz .LBB17_706
; %bb.705:
	v_mov_b32_e32 v20, 0
	ds_read_b32 v20, v20 offset:6500
	s_waitcnt lgkmcnt(0)
	v_mul_f32_e32 v19, v19, v20
	v_xor_b32_e32 v20, 0x80000000, v19
	ds_write_b32 v12, v20
.LBB17_706:
	s_or_b64 exec, exec, s[12:13]
	s_waitcnt lgkmcnt(0)
	s_barrier
	s_and_saveexec_b64 s[12:13], s[36:37]
	s_cbranch_execz .LBB17_708
; %bb.707:
	v_mov_b32_e32 v20, 0
	ds_read_b32 v20, v20 offset:6496
	ds_read_b32 v21, v12
	s_waitcnt lgkmcnt(0)
	v_fma_f32 v19, -v20, v21, v19
.LBB17_708:
	s_or_b64 exec, exec, s[12:13]
	s_barrier
	s_and_saveexec_b64 s[12:13], s[36:37]
	s_cbranch_execz .LBB17_710
; %bb.709:
	v_mov_b32_e32 v20, 0
	ds_read_b32 v20, v20 offset:6240
	s_waitcnt lgkmcnt(0)
	v_mul_f32_e32 v19, v19, v20
	v_xor_b32_e32 v20, 0x80000000, v19
	ds_write_b32 v12, v20
.LBB17_710:
	s_or_b64 exec, exec, s[12:13]
	s_waitcnt lgkmcnt(0)
	s_barrier
	s_barrier
	s_and_saveexec_b64 s[12:13], s[18:19]
; %bb.711:
	v_lshlrev_b32_e32 v20, 2, v6
	v_lshl_or_b32 v20, v11, 8, v20
	ds_write_b32 v20, v19 offset:7264
; %bb.712:
	s_or_b64 exec, exec, s[12:13]
	s_waitcnt lgkmcnt(0)
	s_barrier
	s_barrier
	s_and_saveexec_b64 s[12:13], s[48:49]
	s_cbranch_execz .LBB17_714
; %bb.713:
	v_lshlrev_b32_e32 v19, 8, v0
	ds_read_b32 v20, v19 offset:7264
	s_movk_i32 s14, 0xff04
	v_mad_i32_i24 v21, v0, s14, v19
	s_waitcnt lgkmcnt(0)
	ds_write_b32 v21, v20 offset:6256
	ds_read_b32 v20, v19 offset:7268
	s_waitcnt lgkmcnt(0)
	ds_write_b32 v21, v20 offset:6512
	ds_read_b32 v20, v19 offset:7272
	;; [unrolled: 3-line block ×3, first 2 shown]
	s_waitcnt lgkmcnt(0)
	ds_write_b32 v21, v19 offset:7024
.LBB17_714:
	s_or_b64 exec, exec, s[12:13]
	s_waitcnt lgkmcnt(0)
	s_barrier
	s_and_saveexec_b64 s[12:13], vcc
	s_cbranch_execz .LBB17_716
; %bb.715:
	v_mov_b32_e32 v21, 0
	ds_read_b64 v[19:20], v21 offset:7016
	ds_read_b32 v21, v21 offset:6760
	s_movk_i32 s14, 0x1800
	s_waitcnt lgkmcnt(0)
	v_mul_f32_e32 v20, v21, v20
	v_mul_f32_e32 v19, v19, v20
	v_add_u32_e64 v20, s14, 0
	ds_write2_b32 v20, v19, v19 offset0:155 offset1:218
.LBB17_716:
	s_or_b64 exec, exec, s[12:13]
	v_mov_b32_e32 v19, 0
	s_waitcnt lgkmcnt(0)
	s_barrier
	buffer_wbinvl1_vol
	s_and_saveexec_b64 s[14:15], s[2:3]
	s_cbranch_execz .LBB17_720
; %bb.717:
	v_lshlrev_b32_e32 v19, 8, v3
	v_lshlrev_b32_e32 v20, 2, v1
	ds_read_b32 v21, v20 offset:6752
	ds_read_b32 v19, v19 offset:6760
	v_mov_b32_e32 v20, 0
	v_cmp_gt_u32_e64 s[12:13], 2, v5
	s_waitcnt lgkmcnt(0)
	v_fma_f32 v19, v21, v19, 0
	s_and_saveexec_b64 s[16:17], s[12:13]
	s_cbranch_execz .LBB17_719
; %bb.718:
	v_lshlrev_b32_e32 v21, 2, v0
	ds_read_b32 v21, v21 offset:7008
	ds_read_b32 v20, v20 offset:7020
	s_waitcnt lgkmcnt(0)
	v_fmac_f32_e32 v19, v21, v20
.LBB17_719:
	s_or_b64 exec, exec, s[16:17]
.LBB17_720:
	s_or_b64 exec, exec, s[14:15]
	s_and_saveexec_b64 s[12:13], s[30:31]
	s_cbranch_execz .LBB17_722
; %bb.721:
	v_mov_b32_e32 v20, 0
	ds_read_b32 v20, v20 offset:6500
	s_waitcnt lgkmcnt(0)
	v_mul_f32_e32 v19, v19, v20
	v_xor_b32_e32 v20, 0x80000000, v19
	ds_write_b32 v4, v20
.LBB17_722:
	s_or_b64 exec, exec, s[12:13]
	s_waitcnt lgkmcnt(0)
	s_barrier
	s_and_saveexec_b64 s[12:13], s[26:27]
	s_cbranch_execz .LBB17_724
; %bb.723:
	v_mov_b32_e32 v20, 0
	ds_read_b32 v20, v20 offset:6496
	ds_read_b32 v21, v4
	s_waitcnt lgkmcnt(0)
	v_fma_f32 v19, -v20, v21, v19
.LBB17_724:
	s_or_b64 exec, exec, s[12:13]
	s_barrier
	s_and_saveexec_b64 s[12:13], s[26:27]
	s_cbranch_execz .LBB17_726
; %bb.725:
	v_mov_b32_e32 v20, 0
	ds_read_b32 v20, v20 offset:6240
	s_waitcnt lgkmcnt(0)
	v_mul_f32_e32 v19, v19, v20
	v_xor_b32_e32 v20, 0x80000000, v19
	ds_write_b32 v4, v20
.LBB17_726:
	s_or_b64 exec, exec, s[12:13]
	s_waitcnt lgkmcnt(0)
	s_barrier
	s_barrier
	s_and_saveexec_b64 s[12:13], s[2:3]
; %bb.727:
	v_lshlrev_b32_e32 v20, 2, v1
	v_lshl_or_b32 v20, v3, 8, v20
	ds_write_b32 v20, v19 offset:6752
; %bb.728:
	s_or_b64 exec, exec, s[12:13]
	s_waitcnt lgkmcnt(0)
	s_barrier
	s_barrier
	s_and_saveexec_b64 s[12:13], s[34:35]
	s_cbranch_execz .LBB17_730
; %bb.729:
	v_lshlrev_b32_e32 v19, 2, v0
	s_movk_i32 s14, 0xfc
	v_mad_u32_u24 v20, v0, s14, v19
	ds_read_b32 v21, v20 offset:6752
	s_waitcnt lgkmcnt(0)
	ds_write_b32 v19, v21 offset:6248
	ds_read_b32 v20, v20 offset:6756
	s_waitcnt lgkmcnt(0)
	ds_write_b32 v19, v20 offset:6504
.LBB17_730:
	s_or_b64 exec, exec, s[12:13]
	s_waitcnt lgkmcnt(0)
	s_barrier
	s_and_saveexec_b64 s[12:13], vcc
	s_cbranch_execz .LBB17_732
; %bb.731:
	v_mov_b32_e32 v21, 0
	ds_read_b64 v[19:20], v21 offset:6496
	ds_read_b32 v21, v21 offset:6240
	s_movk_i32 s14, 0x1800
	s_waitcnt lgkmcnt(0)
	v_mul_f32_e32 v20, v21, v20
	v_mul_f32_e32 v19, v19, v20
	v_add_u32_e64 v20, s14, 0
	ds_write2_b32 v20, v19, v19 offset0:25 offset1:88
.LBB17_732:
	s_or_b64 exec, exec, s[12:13]
	v_mov_b32_e32 v19, 0
	s_waitcnt lgkmcnt(0)
	s_barrier
	buffer_wbinvl1_vol
	s_and_saveexec_b64 s[14:15], s[8:9]
	s_cbranch_execz .LBB17_742
; %bb.733:
	v_lshlrev_b32_e32 v21, 2, v13
	v_lshlrev_b32_e32 v20, 8, v14
	ds_read_b32 v19, v21 offset:6208
	ds_read_b32 v22, v20 offset:6240
	v_cmp_gt_u32_e64 s[12:13], 56, v5
	s_waitcnt lgkmcnt(0)
	v_fma_f32 v19, v19, v22, 0
	s_and_saveexec_b64 s[16:17], s[12:13]
	s_cbranch_execnz .LBB17_1234
; %bb.734:
	s_or_b64 exec, exec, s[16:17]
	v_cmp_gt_u32_e64 s[12:13], 48, v5
	s_and_saveexec_b64 s[16:17], s[12:13]
	s_cbranch_execnz .LBB17_1235
.LBB17_735:
	s_or_b64 exec, exec, s[16:17]
	v_cmp_gt_u32_e64 s[12:13], 40, v5
	s_and_saveexec_b64 s[16:17], s[12:13]
	s_cbranch_execnz .LBB17_1236
.LBB17_736:
	s_or_b64 exec, exec, s[16:17]
	v_cmp_gt_u32_e64 s[12:13], 32, v5
	s_and_saveexec_b64 s[16:17], s[12:13]
	s_cbranch_execnz .LBB17_1237
.LBB17_737:
	s_or_b64 exec, exec, s[16:17]
	v_cmp_gt_u32_e64 s[12:13], 24, v5
	s_and_saveexec_b64 s[16:17], s[12:13]
	s_cbranch_execnz .LBB17_1238
.LBB17_738:
	s_or_b64 exec, exec, s[16:17]
	s_and_saveexec_b64 s[12:13], s[18:19]
	s_cbranch_execnz .LBB17_1239
.LBB17_739:
	s_or_b64 exec, exec, s[12:13]
	v_cmp_gt_u32_e64 s[12:13], 8, v5
	s_and_saveexec_b64 s[16:17], s[12:13]
	s_cbranch_execz .LBB17_741
.LBB17_740:
	v_lshlrev_b32_e32 v20, 2, v0
	v_mov_b32_e32 v21, 0
	ds_read_b32 v20, v20 offset:8000
	ds_read_b32 v21, v21 offset:8060
	s_waitcnt lgkmcnt(0)
	v_fmac_f32_e32 v19, v20, v21
.LBB17_741:
	s_or_b64 exec, exec, s[16:17]
.LBB17_742:
	s_or_b64 exec, exec, s[14:15]
	s_and_saveexec_b64 s[12:13], s[50:51]
	s_cbranch_execz .LBB17_744
; %bb.743:
	v_mov_b32_e32 v20, 0
	ds_read_b32 v20, v20 offset:5980
	s_waitcnt lgkmcnt(0)
	v_mul_f32_e32 v19, v19, v20
	v_xor_b32_e32 v20, 0x80000000, v19
	ds_write_b32 v15, v20
.LBB17_744:
	s_or_b64 exec, exec, s[12:13]
	s_waitcnt lgkmcnt(0)
	s_barrier
	s_and_saveexec_b64 s[12:13], s[52:53]
	s_cbranch_execz .LBB17_746
; %bb.745:
	v_lshlrev_b32_e32 v20, 2, v13
	ds_read_b32 v20, v20 offset:5952
	ds_read_b32 v21, v15
	s_waitcnt lgkmcnt(0)
	v_fma_f32 v19, -v20, v21, v19
.LBB17_746:
	s_or_b64 exec, exec, s[12:13]
	s_barrier
	s_and_saveexec_b64 s[12:13], s[54:55]
	s_cbranch_execz .LBB17_748
; %bb.747:
	v_mov_b32_e32 v20, 0
	ds_read_b32 v20, v20 offset:5720
	s_waitcnt lgkmcnt(0)
	v_mul_f32_e32 v19, v19, v20
	v_xor_b32_e32 v20, 0x80000000, v19
	ds_write_b32 v15, v20
.LBB17_748:
	s_or_b64 exec, exec, s[12:13]
	s_waitcnt lgkmcnt(0)
	s_barrier
	s_and_saveexec_b64 s[12:13], s[56:57]
	s_cbranch_execz .LBB17_750
; %bb.749:
	v_lshlrev_b32_e32 v20, 2, v13
	ds_read_b32 v20, v20 offset:5696
	ds_read_b32 v21, v15
	s_waitcnt lgkmcnt(0)
	v_fma_f32 v19, -v20, v21, v19
.LBB17_750:
	s_or_b64 exec, exec, s[12:13]
	s_barrier
	;; [unrolled: 24-line block ×6, first 2 shown]
	s_and_saveexec_b64 s[12:13], s[76:77]
	s_cbranch_execz .LBB17_768
; %bb.767:
	v_mov_b32_e32 v20, 0
	ds_read_b32 v20, v20 offset:4420
	s_waitcnt lgkmcnt(0)
	v_mul_f32_e32 v19, v19, v20
	v_xor_b32_e32 v20, 0x80000000, v19
	ds_write_b32 v15, v20
.LBB17_768:
	s_or_b64 exec, exec, s[12:13]
	s_waitcnt lgkmcnt(0)
	s_barrier
	s_and_saveexec_b64 s[12:13], s[60:61]
	s_cbranch_execz .LBB17_770
; %bb.769:
	v_mov_b32_e32 v20, 0
	ds_read_b32 v20, v20 offset:4416
	ds_read_b32 v21, v15
	s_waitcnt lgkmcnt(0)
	v_fma_f32 v19, -v20, v21, v19
.LBB17_770:
	s_or_b64 exec, exec, s[12:13]
	s_barrier
	s_and_saveexec_b64 s[12:13], s[60:61]
	s_cbranch_execz .LBB17_772
; %bb.771:
	v_mov_b32_e32 v20, 0
	ds_read_b32 v20, v20 offset:4160
	s_waitcnt lgkmcnt(0)
	v_mul_f32_e32 v19, v19, v20
	v_xor_b32_e32 v20, 0x80000000, v19
	ds_write_b32 v15, v20
.LBB17_772:
	s_or_b64 exec, exec, s[12:13]
	s_waitcnt lgkmcnt(0)
	s_barrier
	s_barrier
	s_and_saveexec_b64 s[12:13], s[8:9]
; %bb.773:
	v_lshlrev_b32_e32 v20, 2, v13
	v_lshl_or_b32 v20, v14, 8, v20
	ds_write_b32 v20, v19 offset:6208
; %bb.774:
	s_or_b64 exec, exec, s[12:13]
	s_waitcnt lgkmcnt(0)
	s_barrier
	s_barrier
	s_and_saveexec_b64 s[12:13], s[78:79]
	s_cbranch_execz .LBB17_776
; %bb.775:
	v_lshlrev_b32_e32 v19, 8, v0
	ds_read_b32 v20, v19 offset:6208
	s_movk_i32 s14, 0xff04
	v_mad_i32_i24 v21, v0, s14, v19
	s_waitcnt lgkmcnt(0)
	ds_write_b32 v21, v20 offset:4192
	ds_read_b32 v20, v19 offset:6212
	s_waitcnt lgkmcnt(0)
	ds_write_b32 v21, v20 offset:4448
	ds_read_b32 v20, v19 offset:6216
	;; [unrolled: 3-line block ×7, first 2 shown]
	s_waitcnt lgkmcnt(0)
	ds_write_b32 v21, v19 offset:5984
.LBB17_776:
	s_or_b64 exec, exec, s[12:13]
	s_waitcnt lgkmcnt(0)
	s_barrier
	s_and_saveexec_b64 s[12:13], vcc
	s_cbranch_execz .LBB17_778
; %bb.777:
	v_mov_b32_e32 v21, 0
	ds_read_b64 v[19:20], v21 offset:5976
	ds_read_b32 v21, v21 offset:5720
	s_movk_i32 s14, 0x1400
	s_waitcnt lgkmcnt(0)
	v_mul_f32_e32 v20, v21, v20
	v_mul_f32_e32 v19, v19, v20
	v_add_u32_e64 v20, s14, 0
	ds_write2_b32 v20, v19, v19 offset0:151 offset1:214
.LBB17_778:
	s_or_b64 exec, exec, s[12:13]
	v_mov_b32_e32 v19, 0
	s_waitcnt lgkmcnt(0)
	s_barrier
	buffer_wbinvl1_vol
	s_and_saveexec_b64 s[14:15], s[2:3]
	s_cbranch_execz .LBB17_782
; %bb.779:
	v_lshlrev_b32_e32 v19, 8, v3
	v_lshlrev_b32_e32 v20, 2, v1
	ds_read_b32 v21, v20 offset:5712
	ds_read_b32 v19, v19 offset:5720
	v_mov_b32_e32 v20, 0
	v_cmp_gt_u32_e64 s[12:13], 2, v5
	s_waitcnt lgkmcnt(0)
	v_fma_f32 v19, v21, v19, 0
	s_and_saveexec_b64 s[16:17], s[12:13]
	s_cbranch_execz .LBB17_781
; %bb.780:
	v_lshlrev_b32_e32 v21, 2, v0
	ds_read_b32 v21, v21 offset:5968
	ds_read_b32 v20, v20 offset:5980
	s_waitcnt lgkmcnt(0)
	v_fmac_f32_e32 v19, v21, v20
.LBB17_781:
	s_or_b64 exec, exec, s[16:17]
.LBB17_782:
	s_or_b64 exec, exec, s[14:15]
	s_and_saveexec_b64 s[12:13], s[30:31]
	s_cbranch_execz .LBB17_784
; %bb.783:
	v_mov_b32_e32 v20, 0
	ds_read_b32 v20, v20 offset:5460
	s_waitcnt lgkmcnt(0)
	v_mul_f32_e32 v19, v19, v20
	v_xor_b32_e32 v20, 0x80000000, v19
	ds_write_b32 v4, v20
.LBB17_784:
	s_or_b64 exec, exec, s[12:13]
	s_waitcnt lgkmcnt(0)
	s_barrier
	s_and_saveexec_b64 s[12:13], s[26:27]
	s_cbranch_execz .LBB17_786
; %bb.785:
	v_mov_b32_e32 v20, 0
	ds_read_b32 v20, v20 offset:5456
	ds_read_b32 v21, v4
	s_waitcnt lgkmcnt(0)
	v_fma_f32 v19, -v20, v21, v19
.LBB17_786:
	s_or_b64 exec, exec, s[12:13]
	s_barrier
	s_and_saveexec_b64 s[12:13], s[26:27]
	s_cbranch_execz .LBB17_788
; %bb.787:
	v_mov_b32_e32 v20, 0
	ds_read_b32 v20, v20 offset:5200
	s_waitcnt lgkmcnt(0)
	v_mul_f32_e32 v19, v19, v20
	v_xor_b32_e32 v20, 0x80000000, v19
	ds_write_b32 v4, v20
.LBB17_788:
	s_or_b64 exec, exec, s[12:13]
	s_waitcnt lgkmcnt(0)
	s_barrier
	s_barrier
	s_and_saveexec_b64 s[12:13], s[2:3]
; %bb.789:
	v_lshlrev_b32_e32 v20, 2, v1
	v_lshl_or_b32 v20, v3, 8, v20
	ds_write_b32 v20, v19 offset:5712
; %bb.790:
	s_or_b64 exec, exec, s[12:13]
	s_waitcnt lgkmcnt(0)
	s_barrier
	s_barrier
	s_and_saveexec_b64 s[12:13], s[34:35]
	s_cbranch_execz .LBB17_792
; %bb.791:
	v_lshlrev_b32_e32 v19, 2, v0
	s_movk_i32 s14, 0xfc
	v_mad_u32_u24 v20, v0, s14, v19
	ds_read_b32 v21, v20 offset:5712
	s_waitcnt lgkmcnt(0)
	ds_write_b32 v19, v21 offset:5208
	ds_read_b32 v20, v20 offset:5716
	s_waitcnt lgkmcnt(0)
	ds_write_b32 v19, v20 offset:5464
.LBB17_792:
	s_or_b64 exec, exec, s[12:13]
	s_waitcnt lgkmcnt(0)
	s_barrier
	s_and_saveexec_b64 s[12:13], vcc
	s_cbranch_execz .LBB17_794
; %bb.793:
	v_mov_b32_e32 v21, 0
	ds_read_b64 v[19:20], v21 offset:5456
	ds_read_b32 v21, v21 offset:5200
	s_movk_i32 s14, 0x1400
	s_waitcnt lgkmcnt(0)
	v_mul_f32_e32 v20, v21, v20
	v_mul_f32_e32 v19, v19, v20
	v_add_u32_e64 v20, s14, 0
	ds_write2_b32 v20, v19, v19 offset0:21 offset1:84
.LBB17_794:
	s_or_b64 exec, exec, s[12:13]
	v_mov_b32_e32 v19, 0
	s_waitcnt lgkmcnt(0)
	s_barrier
	buffer_wbinvl1_vol
	s_and_saveexec_b64 s[14:15], s[18:19]
	s_cbranch_execz .LBB17_800
; %bb.795:
	v_lshlrev_b32_e32 v21, 2, v6
	v_lshlrev_b32_e32 v20, 8, v11
	ds_read_b32 v19, v21 offset:5184
	ds_read_b32 v22, v20 offset:5200
	v_cmp_gt_u32_e64 s[12:13], 12, v5
	s_waitcnt lgkmcnt(0)
	v_fma_f32 v19, v19, v22, 0
	s_and_saveexec_b64 s[16:17], s[12:13]
	s_cbranch_execnz .LBB17_1240
; %bb.796:
	s_or_b64 exec, exec, s[16:17]
	v_cmp_gt_u32_e64 s[12:13], 8, v5
	s_and_saveexec_b64 s[16:17], s[12:13]
	s_cbranch_execnz .LBB17_1241
.LBB17_797:
	s_or_b64 exec, exec, s[16:17]
	v_cmp_gt_u32_e64 s[12:13], 4, v5
	s_and_saveexec_b64 s[16:17], s[12:13]
	s_cbranch_execz .LBB17_799
.LBB17_798:
	v_lshlrev_b32_e32 v20, 2, v0
	v_mov_b32_e32 v21, 0
	ds_read_b32 v20, v20 offset:5952
	ds_read_b32 v21, v21 offset:5980
	s_waitcnt lgkmcnt(0)
	v_fmac_f32_e32 v19, v20, v21
.LBB17_799:
	s_or_b64 exec, exec, s[16:17]
.LBB17_800:
	s_or_b64 exec, exec, s[14:15]
	s_and_saveexec_b64 s[12:13], s[38:39]
	s_cbranch_execz .LBB17_802
; %bb.801:
	v_mov_b32_e32 v20, 0
	ds_read_b32 v20, v20 offset:4940
	s_waitcnt lgkmcnt(0)
	v_mul_f32_e32 v19, v19, v20
	v_xor_b32_e32 v20, 0x80000000, v19
	ds_write_b32 v12, v20
.LBB17_802:
	s_or_b64 exec, exec, s[12:13]
	s_waitcnt lgkmcnt(0)
	s_barrier
	s_and_saveexec_b64 s[12:13], s[40:41]
	s_cbranch_execz .LBB17_804
; %bb.803:
	v_lshlrev_b32_e32 v20, 2, v6
	ds_read_b32 v20, v20 offset:4928
	ds_read_b32 v21, v12
	s_waitcnt lgkmcnt(0)
	v_fma_f32 v19, -v20, v21, v19
.LBB17_804:
	s_or_b64 exec, exec, s[12:13]
	s_barrier
	s_and_saveexec_b64 s[12:13], s[42:43]
	s_cbranch_execz .LBB17_806
; %bb.805:
	v_mov_b32_e32 v20, 0
	ds_read_b32 v20, v20 offset:4680
	s_waitcnt lgkmcnt(0)
	v_mul_f32_e32 v19, v19, v20
	v_xor_b32_e32 v20, 0x80000000, v19
	ds_write_b32 v12, v20
.LBB17_806:
	s_or_b64 exec, exec, s[12:13]
	s_waitcnt lgkmcnt(0)
	s_barrier
	s_and_saveexec_b64 s[12:13], s[44:45]
	s_cbranch_execz .LBB17_808
; %bb.807:
	v_lshlrev_b32_e32 v20, 2, v6
	ds_read_b32 v20, v20 offset:4672
	ds_read_b32 v21, v12
	s_waitcnt lgkmcnt(0)
	v_fma_f32 v19, -v20, v21, v19
.LBB17_808:
	s_or_b64 exec, exec, s[12:13]
	s_barrier
	s_and_saveexec_b64 s[12:13], s[46:47]
	s_cbranch_execz .LBB17_810
; %bb.809:
	v_mov_b32_e32 v20, 0
	ds_read_b32 v20, v20 offset:4420
	s_waitcnt lgkmcnt(0)
	v_mul_f32_e32 v19, v19, v20
	v_xor_b32_e32 v20, 0x80000000, v19
	ds_write_b32 v12, v20
.LBB17_810:
	s_or_b64 exec, exec, s[12:13]
	s_waitcnt lgkmcnt(0)
	s_barrier
	s_and_saveexec_b64 s[12:13], s[36:37]
	s_cbranch_execz .LBB17_812
; %bb.811:
	v_mov_b32_e32 v20, 0
	ds_read_b32 v20, v20 offset:4416
	ds_read_b32 v21, v12
	s_waitcnt lgkmcnt(0)
	v_fma_f32 v19, -v20, v21, v19
.LBB17_812:
	s_or_b64 exec, exec, s[12:13]
	s_barrier
	s_and_saveexec_b64 s[12:13], s[36:37]
	s_cbranch_execz .LBB17_814
; %bb.813:
	v_mov_b32_e32 v20, 0
	ds_read_b32 v20, v20 offset:4160
	s_waitcnt lgkmcnt(0)
	v_mul_f32_e32 v19, v19, v20
	v_xor_b32_e32 v20, 0x80000000, v19
	ds_write_b32 v12, v20
.LBB17_814:
	s_or_b64 exec, exec, s[12:13]
	s_waitcnt lgkmcnt(0)
	s_barrier
	s_barrier
	s_and_saveexec_b64 s[12:13], s[18:19]
; %bb.815:
	v_lshlrev_b32_e32 v20, 2, v6
	v_lshl_or_b32 v20, v11, 8, v20
	ds_write_b32 v20, v19 offset:5184
; %bb.816:
	s_or_b64 exec, exec, s[12:13]
	s_waitcnt lgkmcnt(0)
	s_barrier
	s_barrier
	s_and_saveexec_b64 s[12:13], s[48:49]
	s_cbranch_execz .LBB17_818
; %bb.817:
	v_lshlrev_b32_e32 v19, 8, v0
	ds_read_b32 v20, v19 offset:5184
	s_movk_i32 s14, 0xff04
	v_mad_i32_i24 v21, v0, s14, v19
	s_waitcnt lgkmcnt(0)
	ds_write_b32 v21, v20 offset:4176
	ds_read_b32 v20, v19 offset:5188
	s_waitcnt lgkmcnt(0)
	ds_write_b32 v21, v20 offset:4432
	ds_read_b32 v20, v19 offset:5192
	;; [unrolled: 3-line block ×3, first 2 shown]
	s_waitcnt lgkmcnt(0)
	ds_write_b32 v21, v19 offset:4944
.LBB17_818:
	s_or_b64 exec, exec, s[12:13]
	s_waitcnt lgkmcnt(0)
	s_barrier
	s_and_saveexec_b64 s[12:13], vcc
	s_cbranch_execz .LBB17_820
; %bb.819:
	v_mov_b32_e32 v21, 0
	ds_read_b64 v[19:20], v21 offset:4936
	ds_read_b32 v21, v21 offset:4680
	s_movk_i32 s14, 0x1000
	s_waitcnt lgkmcnt(0)
	v_mul_f32_e32 v20, v21, v20
	v_mul_f32_e32 v19, v19, v20
	v_add_u32_e64 v20, s14, 0
	ds_write2_b32 v20, v19, v19 offset0:147 offset1:210
.LBB17_820:
	s_or_b64 exec, exec, s[12:13]
	v_mov_b32_e32 v19, 0
	s_waitcnt lgkmcnt(0)
	s_barrier
	buffer_wbinvl1_vol
	s_and_saveexec_b64 s[14:15], s[2:3]
	s_cbranch_execz .LBB17_824
; %bb.821:
	v_lshlrev_b32_e32 v19, 8, v3
	v_lshlrev_b32_e32 v20, 2, v1
	ds_read_b32 v21, v20 offset:4672
	ds_read_b32 v19, v19 offset:4680
	v_mov_b32_e32 v20, 0
	v_cmp_gt_u32_e64 s[12:13], 2, v5
	s_waitcnt lgkmcnt(0)
	v_fma_f32 v19, v21, v19, 0
	s_and_saveexec_b64 s[16:17], s[12:13]
	s_cbranch_execz .LBB17_823
; %bb.822:
	v_lshlrev_b32_e32 v21, 2, v0
	ds_read_b32 v21, v21 offset:4928
	ds_read_b32 v20, v20 offset:4940
	s_waitcnt lgkmcnt(0)
	v_fmac_f32_e32 v19, v21, v20
.LBB17_823:
	s_or_b64 exec, exec, s[16:17]
.LBB17_824:
	s_or_b64 exec, exec, s[14:15]
	s_and_saveexec_b64 s[12:13], s[30:31]
	s_cbranch_execz .LBB17_826
; %bb.825:
	v_mov_b32_e32 v20, 0
	ds_read_b32 v20, v20 offset:4420
	s_waitcnt lgkmcnt(0)
	v_mul_f32_e32 v19, v19, v20
	v_xor_b32_e32 v20, 0x80000000, v19
	ds_write_b32 v4, v20
.LBB17_826:
	s_or_b64 exec, exec, s[12:13]
	s_waitcnt lgkmcnt(0)
	s_barrier
	s_and_saveexec_b64 s[12:13], s[26:27]
	s_cbranch_execz .LBB17_828
; %bb.827:
	v_mov_b32_e32 v20, 0
	ds_read_b32 v20, v20 offset:4416
	ds_read_b32 v21, v4
	s_waitcnt lgkmcnt(0)
	v_fma_f32 v19, -v20, v21, v19
.LBB17_828:
	s_or_b64 exec, exec, s[12:13]
	s_barrier
	s_and_saveexec_b64 s[12:13], s[26:27]
	s_cbranch_execz .LBB17_830
; %bb.829:
	v_mov_b32_e32 v20, 0
	ds_read_b32 v20, v20 offset:4160
	s_waitcnt lgkmcnt(0)
	v_mul_f32_e32 v19, v19, v20
	v_xor_b32_e32 v20, 0x80000000, v19
	ds_write_b32 v4, v20
.LBB17_830:
	s_or_b64 exec, exec, s[12:13]
	s_waitcnt lgkmcnt(0)
	s_barrier
	s_barrier
	s_and_saveexec_b64 s[12:13], s[2:3]
; %bb.831:
	v_lshlrev_b32_e32 v20, 2, v1
	v_lshl_or_b32 v20, v3, 8, v20
	ds_write_b32 v20, v19 offset:4672
; %bb.832:
	s_or_b64 exec, exec, s[12:13]
	s_waitcnt lgkmcnt(0)
	s_barrier
	s_barrier
	s_and_saveexec_b64 s[12:13], s[34:35]
	s_cbranch_execz .LBB17_834
; %bb.833:
	v_lshlrev_b32_e32 v19, 2, v0
	s_movk_i32 s14, 0xfc
	v_mad_u32_u24 v20, v0, s14, v19
	ds_read_b32 v21, v20 offset:4672
	s_waitcnt lgkmcnt(0)
	ds_write_b32 v19, v21 offset:4168
	ds_read_b32 v20, v20 offset:4676
	s_waitcnt lgkmcnt(0)
	ds_write_b32 v19, v20 offset:4424
.LBB17_834:
	s_or_b64 exec, exec, s[12:13]
	s_waitcnt lgkmcnt(0)
	s_barrier
	s_and_saveexec_b64 s[12:13], vcc
	s_cbranch_execz .LBB17_836
; %bb.835:
	v_mov_b32_e32 v21, 0
	ds_read_b64 v[19:20], v21 offset:4416
	ds_read_b32 v21, v21 offset:4160
	s_movk_i32 s14, 0x1000
	s_waitcnt lgkmcnt(0)
	v_mul_f32_e32 v20, v21, v20
	v_mul_f32_e32 v19, v19, v20
	v_add_u32_e64 v20, s14, 0
	ds_write2_b32 v20, v19, v19 offset0:17 offset1:80
.LBB17_836:
	s_or_b64 exec, exec, s[12:13]
	v_mov_b32_e32 v19, 0
	s_waitcnt lgkmcnt(0)
	s_barrier
	buffer_wbinvl1_vol
	s_and_saveexec_b64 s[14:15], s[10:11]
	s_cbranch_execz .LBB17_864
; %bb.837:
	v_lshlrev_b32_e32 v21, 2, v16
	v_lshlrev_b32_e32 v20, 8, v17
	ds_read_b32 v19, v21 offset:4096
	ds_read_b32 v22, v20 offset:4160
	s_movk_i32 s12, 0xf0
	v_cmp_gt_u32_e64 s[12:13], s12, v5
	s_waitcnt lgkmcnt(0)
	v_fma_f32 v19, v19, v22, 0
	s_and_saveexec_b64 s[16:17], s[12:13]
	s_cbranch_execz .LBB17_839
; %bb.838:
	ds_read_b32 v22, v21 offset:4352
	ds_read_b32 v23, v20 offset:4164
	s_waitcnt lgkmcnt(0)
	v_fmac_f32_e32 v19, v22, v23
.LBB17_839:
	s_or_b64 exec, exec, s[16:17]
	s_movk_i32 s12, 0xe0
	v_cmp_gt_u32_e64 s[12:13], s12, v5
	s_and_saveexec_b64 s[16:17], s[12:13]
	s_cbranch_execz .LBB17_841
; %bb.840:
	ds_read_b32 v22, v21 offset:4608
	ds_read_b32 v23, v20 offset:4168
	s_waitcnt lgkmcnt(0)
	v_fmac_f32_e32 v19, v22, v23
.LBB17_841:
	s_or_b64 exec, exec, s[16:17]
	s_movk_i32 s12, 0xd0
	v_cmp_gt_u32_e64 s[12:13], s12, v5
	;; [unrolled: 11-line block ×10, first 2 shown]
	s_and_saveexec_b64 s[16:17], s[12:13]
	s_cbranch_execnz .LBB17_1242
; %bb.858:
	s_or_b64 exec, exec, s[16:17]
	s_and_saveexec_b64 s[12:13], s[8:9]
	s_cbranch_execnz .LBB17_1243
.LBB17_859:
	s_or_b64 exec, exec, s[12:13]
	v_cmp_gt_u32_e64 s[12:13], 48, v5
	s_and_saveexec_b64 s[16:17], s[12:13]
	s_cbranch_execnz .LBB17_1244
.LBB17_860:
	s_or_b64 exec, exec, s[16:17]
	v_cmp_gt_u32_e64 s[12:13], 32, v5
	s_and_saveexec_b64 s[16:17], s[12:13]
	s_cbranch_execnz .LBB17_1245
.LBB17_861:
	s_or_b64 exec, exec, s[16:17]
	v_cmp_gt_u32_e64 s[12:13], 16, v5
	s_and_saveexec_b64 s[16:17], s[12:13]
	s_cbranch_execz .LBB17_863
.LBB17_862:
	v_lshlrev_b32_e32 v20, 2, v0
	v_mov_b32_e32 v21, 0
	ds_read_b32 v20, v20 offset:7936
	ds_read_b32 v21, v21 offset:8060
	s_waitcnt lgkmcnt(0)
	v_fmac_f32_e32 v19, v20, v21
.LBB17_863:
	s_or_b64 exec, exec, s[16:17]
.LBB17_864:
	s_or_b64 exec, exec, s[14:15]
	s_mov_b64 s[12:13], exec
	v_readlane_b32 s14, v27, 3
	v_readlane_b32 s15, v27, 4
	s_and_b64 s[14:15], s[12:13], s[14:15]
	s_mov_b64 exec, s[14:15]
	s_cbranch_execz .LBB17_866
; %bb.865:
	v_mov_b32_e32 v20, 0
	ds_read_b32 v20, v20 offset:3900
	s_waitcnt lgkmcnt(0)
	v_mul_f32_e32 v19, v19, v20
	v_xor_b32_e32 v20, 0x80000000, v19
	ds_write_b32 v18, v20
.LBB17_866:
	s_or_b64 exec, exec, s[12:13]
	s_waitcnt lgkmcnt(0)
	s_barrier
	s_mov_b64 s[12:13], exec
	v_readlane_b32 s14, v27, 5
	v_readlane_b32 s15, v27, 6
	s_and_b64 s[14:15], s[12:13], s[14:15]
	s_mov_b64 exec, s[14:15]
	s_cbranch_execz .LBB17_868
; %bb.867:
	v_lshlrev_b32_e32 v20, 2, v16
	ds_read_b32 v20, v20 offset:3840
	ds_read_b32 v21, v18
	s_waitcnt lgkmcnt(0)
	v_fma_f32 v19, -v20, v21, v19
.LBB17_868:
	s_or_b64 exec, exec, s[12:13]
	s_barrier
	s_mov_b64 s[12:13], exec
	v_readlane_b32 s14, v27, 7
	v_readlane_b32 s15, v27, 8
	s_and_b64 s[14:15], s[12:13], s[14:15]
	s_mov_b64 exec, s[14:15]
	s_cbranch_execz .LBB17_870
; %bb.869:
	v_mov_b32_e32 v20, 0
	ds_read_b32 v20, v20 offset:3640
	s_waitcnt lgkmcnt(0)
	v_mul_f32_e32 v19, v19, v20
	v_xor_b32_e32 v20, 0x80000000, v19
	ds_write_b32 v18, v20
.LBB17_870:
	s_or_b64 exec, exec, s[12:13]
	s_waitcnt lgkmcnt(0)
	s_barrier
	s_mov_b64 s[12:13], exec
	v_readlane_b32 s14, v27, 9
	v_readlane_b32 s15, v27, 10
	s_and_b64 s[14:15], s[12:13], s[14:15]
	s_mov_b64 exec, s[14:15]
	s_cbranch_execz .LBB17_872
; %bb.871:
	v_lshlrev_b32_e32 v20, 2, v16
	ds_read_b32 v20, v20 offset:3584
	ds_read_b32 v21, v18
	s_waitcnt lgkmcnt(0)
	v_fma_f32 v19, -v20, v21, v19
.LBB17_872:
	s_or_b64 exec, exec, s[12:13]
	s_barrier
	;; [unrolled: 32-line block ×12, first 2 shown]
	s_mov_b64 s[12:13], exec
	v_readlane_b32 s14, v27, 51
	v_readlane_b32 s15, v27, 52
	s_and_b64 s[14:15], s[12:13], s[14:15]
	s_mov_b64 exec, s[14:15]
	s_cbranch_execz .LBB17_914
; %bb.913:
	v_mov_b32_e32 v20, 0
	ds_read_b32 v20, v20 offset:780
	s_waitcnt lgkmcnt(0)
	v_mul_f32_e32 v19, v19, v20
	v_xor_b32_e32 v20, 0x80000000, v19
	ds_write_b32 v18, v20
.LBB17_914:
	s_or_b64 exec, exec, s[12:13]
	s_waitcnt lgkmcnt(0)
	s_barrier
	s_and_saveexec_b64 s[12:13], s[0:1]
	s_cbranch_execz .LBB17_916
; %bb.915:
	v_lshlrev_b32_e32 v20, 2, v16
	ds_read_b32 v20, v20 offset:768
	ds_read_b32 v21, v18
	s_waitcnt lgkmcnt(0)
	v_fma_f32 v19, -v20, v21, v19
.LBB17_916:
	s_or_b64 exec, exec, s[12:13]
	s_barrier
	s_mov_b64 s[0:1], exec
	v_readlane_b32 s12, v27, 53
	v_readlane_b32 s13, v27, 54
	s_and_b64 s[12:13], s[0:1], s[12:13]
	s_mov_b64 exec, s[12:13]
	s_cbranch_execz .LBB17_918
; %bb.917:
	v_mov_b32_e32 v20, 0
	ds_read_b32 v20, v20 offset:520
	s_waitcnt lgkmcnt(0)
	v_mul_f32_e32 v19, v19, v20
	v_xor_b32_e32 v20, 0x80000000, v19
	ds_write_b32 v18, v20
.LBB17_918:
	s_or_b64 exec, exec, s[0:1]
	s_waitcnt lgkmcnt(0)
	s_barrier
	s_and_saveexec_b64 s[0:1], s[82:83]
	s_cbranch_execz .LBB17_920
; %bb.919:
	v_lshlrev_b32_e32 v20, 2, v16
	ds_read_b32 v20, v20 offset:512
	ds_read_b32 v21, v18
	s_waitcnt lgkmcnt(0)
	v_fma_f32 v19, -v20, v21, v19
.LBB17_920:
	s_or_b64 exec, exec, s[0:1]
	s_barrier
	s_and_saveexec_b64 s[0:1], s[84:85]
	s_cbranch_execz .LBB17_922
; %bb.921:
	v_mov_b32_e32 v20, 0
	ds_read_b32 v20, v20 offset:260
	s_waitcnt lgkmcnt(0)
	v_mul_f32_e32 v19, v19, v20
	v_xor_b32_e32 v20, 0x80000000, v19
	ds_write_b32 v18, v20
.LBB17_922:
	s_or_b64 exec, exec, s[0:1]
	s_waitcnt lgkmcnt(0)
	s_barrier
	s_and_saveexec_b64 s[0:1], s[86:87]
	s_cbranch_execz .LBB17_924
; %bb.923:
	v_mov_b32_e32 v20, 0
	ds_read_b32 v20, v20 offset:256
	ds_read_b32 v21, v18
	s_waitcnt lgkmcnt(0)
	v_fma_f32 v19, -v20, v21, v19
.LBB17_924:
	s_or_b64 exec, exec, s[0:1]
	s_barrier
	s_and_saveexec_b64 s[0:1], s[86:87]
	s_cbranch_execz .LBB17_926
; %bb.925:
	v_mov_b32_e32 v20, 0
	ds_read_b32 v20, v20
	s_waitcnt lgkmcnt(0)
	v_mul_f32_e32 v19, v19, v20
	v_xor_b32_e32 v20, 0x80000000, v19
	ds_write_b32 v18, v20
.LBB17_926:
	s_or_b64 exec, exec, s[0:1]
	s_waitcnt lgkmcnt(0)
	s_barrier
	s_barrier
	s_and_saveexec_b64 s[0:1], s[10:11]
; %bb.927:
	v_lshlrev_b32_e32 v16, 2, v16
	v_lshl_or_b32 v16, v17, 8, v16
	ds_write_b32 v16, v19 offset:4096
; %bb.928:
	s_or_b64 exec, exec, s[0:1]
	s_waitcnt lgkmcnt(0)
	s_barrier
	s_barrier
	s_and_saveexec_b64 s[0:1], s[88:89]
	s_cbranch_execz .LBB17_930
; %bb.929:
	v_lshlrev_b32_e32 v16, 8, v0
	ds_read_b32 v17, v16 offset:4096
	s_movk_i32 s10, 0xff04
	v_mad_i32_i24 v18, v0, s10, v16
	s_waitcnt lgkmcnt(0)
	ds_write_b32 v18, v17 offset:64
	ds_read_b32 v17, v16 offset:4100
	s_waitcnt lgkmcnt(0)
	ds_write_b32 v18, v17 offset:320
	ds_read_b32 v17, v16 offset:4104
	;; [unrolled: 3-line block ×15, first 2 shown]
	s_waitcnt lgkmcnt(0)
	ds_write_b32 v18, v16 offset:3904
.LBB17_930:
	s_or_b64 exec, exec, s[0:1]
	s_waitcnt lgkmcnt(0)
	s_barrier
	s_and_saveexec_b64 s[0:1], vcc
	s_cbranch_execz .LBB17_932
; %bb.931:
	v_mov_b32_e32 v18, 0
	ds_read_b64 v[16:17], v18 offset:3896
	ds_read_b32 v18, v18 offset:3640
	s_movk_i32 s10, 0xc00
	s_waitcnt lgkmcnt(0)
	v_mul_f32_e32 v17, v18, v17
	v_mul_f32_e32 v16, v16, v17
	v_add_u32_e64 v17, s10, 0
	ds_write2_b32 v17, v16, v16 offset0:143 offset1:206
.LBB17_932:
	s_or_b64 exec, exec, s[0:1]
	v_mov_b32_e32 v16, 0
	s_waitcnt lgkmcnt(0)
	s_barrier
	buffer_wbinvl1_vol
	s_and_saveexec_b64 s[0:1], s[2:3]
	s_cbranch_execz .LBB17_936
; %bb.933:
	v_lshlrev_b32_e32 v16, 8, v3
	v_lshlrev_b32_e32 v17, 2, v1
	ds_read_b32 v18, v17 offset:3632
	ds_read_b32 v16, v16 offset:3640
	v_mov_b32_e32 v17, 0
	v_cmp_gt_u32_e64 s[10:11], 2, v5
	s_waitcnt lgkmcnt(0)
	v_fma_f32 v16, v18, v16, 0
	s_and_saveexec_b64 s[12:13], s[10:11]
	s_cbranch_execz .LBB17_935
; %bb.934:
	v_lshlrev_b32_e32 v18, 2, v0
	ds_read_b32 v18, v18 offset:3888
	ds_read_b32 v17, v17 offset:3900
	s_waitcnt lgkmcnt(0)
	v_fmac_f32_e32 v16, v18, v17
.LBB17_935:
	s_or_b64 exec, exec, s[12:13]
.LBB17_936:
	s_or_b64 exec, exec, s[0:1]
	s_and_saveexec_b64 s[0:1], s[30:31]
	s_cbranch_execz .LBB17_938
; %bb.937:
	v_mov_b32_e32 v17, 0
	ds_read_b32 v17, v17 offset:3380
	s_waitcnt lgkmcnt(0)
	v_mul_f32_e32 v16, v16, v17
	v_xor_b32_e32 v17, 0x80000000, v16
	ds_write_b32 v4, v17
.LBB17_938:
	s_or_b64 exec, exec, s[0:1]
	s_waitcnt lgkmcnt(0)
	s_barrier
	s_and_saveexec_b64 s[0:1], s[26:27]
	s_cbranch_execz .LBB17_940
; %bb.939:
	v_mov_b32_e32 v17, 0
	ds_read_b32 v17, v17 offset:3376
	ds_read_b32 v18, v4
	s_waitcnt lgkmcnt(0)
	v_fma_f32 v16, -v17, v18, v16
.LBB17_940:
	s_or_b64 exec, exec, s[0:1]
	s_barrier
	s_and_saveexec_b64 s[0:1], s[26:27]
	s_cbranch_execz .LBB17_942
; %bb.941:
	v_mov_b32_e32 v17, 0
	ds_read_b32 v17, v17 offset:3120
	s_waitcnt lgkmcnt(0)
	v_mul_f32_e32 v16, v16, v17
	v_xor_b32_e32 v17, 0x80000000, v16
	ds_write_b32 v4, v17
.LBB17_942:
	s_or_b64 exec, exec, s[0:1]
	s_waitcnt lgkmcnt(0)
	s_barrier
	s_barrier
	s_and_saveexec_b64 s[0:1], s[2:3]
; %bb.943:
	v_lshlrev_b32_e32 v17, 2, v1
	v_lshl_or_b32 v17, v3, 8, v17
	ds_write_b32 v17, v16 offset:3632
; %bb.944:
	s_or_b64 exec, exec, s[0:1]
	s_waitcnt lgkmcnt(0)
	s_barrier
	s_barrier
	s_and_saveexec_b64 s[0:1], s[34:35]
	s_cbranch_execz .LBB17_946
; %bb.945:
	v_lshlrev_b32_e32 v16, 2, v0
	s_movk_i32 s10, 0xfc
	v_mad_u32_u24 v17, v0, s10, v16
	ds_read_b32 v18, v17 offset:3632
	s_waitcnt lgkmcnt(0)
	ds_write_b32 v16, v18 offset:3128
	ds_read_b32 v17, v17 offset:3636
	s_waitcnt lgkmcnt(0)
	ds_write_b32 v16, v17 offset:3384
.LBB17_946:
	s_or_b64 exec, exec, s[0:1]
	s_waitcnt lgkmcnt(0)
	s_barrier
	s_and_saveexec_b64 s[0:1], vcc
	s_cbranch_execz .LBB17_948
; %bb.947:
	v_mov_b32_e32 v18, 0
	ds_read_b64 v[16:17], v18 offset:3376
	ds_read_b32 v18, v18 offset:3120
	s_movk_i32 s10, 0xc00
	s_waitcnt lgkmcnt(0)
	v_mul_f32_e32 v17, v18, v17
	v_mul_f32_e32 v16, v16, v17
	v_add_u32_e64 v17, s10, 0
	ds_write2_b32 v17, v16, v16 offset0:13 offset1:76
.LBB17_948:
	s_or_b64 exec, exec, s[0:1]
	v_mov_b32_e32 v16, 0
	s_waitcnt lgkmcnt(0)
	s_barrier
	buffer_wbinvl1_vol
	s_and_saveexec_b64 s[0:1], s[18:19]
	s_cbranch_execz .LBB17_954
; %bb.949:
	v_lshlrev_b32_e32 v18, 2, v6
	v_lshlrev_b32_e32 v17, 8, v11
	ds_read_b32 v16, v18 offset:3104
	ds_read_b32 v19, v17 offset:3120
	v_cmp_gt_u32_e64 s[10:11], 12, v5
	s_waitcnt lgkmcnt(0)
	v_fma_f32 v16, v16, v19, 0
	s_and_saveexec_b64 s[12:13], s[10:11]
	s_cbranch_execnz .LBB17_1246
; %bb.950:
	s_or_b64 exec, exec, s[12:13]
	v_cmp_gt_u32_e64 s[10:11], 8, v5
	s_and_saveexec_b64 s[12:13], s[10:11]
	s_cbranch_execnz .LBB17_1247
.LBB17_951:
	s_or_b64 exec, exec, s[12:13]
	v_cmp_gt_u32_e64 s[10:11], 4, v5
	s_and_saveexec_b64 s[12:13], s[10:11]
	s_cbranch_execz .LBB17_953
.LBB17_952:
	v_lshlrev_b32_e32 v17, 2, v0
	v_mov_b32_e32 v18, 0
	ds_read_b32 v17, v17 offset:3872
	ds_read_b32 v18, v18 offset:3900
	s_waitcnt lgkmcnt(0)
	v_fmac_f32_e32 v16, v17, v18
.LBB17_953:
	s_or_b64 exec, exec, s[12:13]
.LBB17_954:
	s_or_b64 exec, exec, s[0:1]
	s_and_saveexec_b64 s[0:1], s[38:39]
	s_cbranch_execz .LBB17_956
; %bb.955:
	v_mov_b32_e32 v17, 0
	ds_read_b32 v17, v17 offset:2860
	s_waitcnt lgkmcnt(0)
	v_mul_f32_e32 v16, v16, v17
	v_xor_b32_e32 v17, 0x80000000, v16
	ds_write_b32 v12, v17
.LBB17_956:
	s_or_b64 exec, exec, s[0:1]
	s_waitcnt lgkmcnt(0)
	s_barrier
	s_and_saveexec_b64 s[0:1], s[40:41]
	s_cbranch_execz .LBB17_958
; %bb.957:
	v_lshlrev_b32_e32 v17, 2, v6
	ds_read_b32 v17, v17 offset:2848
	ds_read_b32 v18, v12
	s_waitcnt lgkmcnt(0)
	v_fma_f32 v16, -v17, v18, v16
.LBB17_958:
	s_or_b64 exec, exec, s[0:1]
	s_barrier
	s_and_saveexec_b64 s[0:1], s[42:43]
	s_cbranch_execz .LBB17_960
; %bb.959:
	v_mov_b32_e32 v17, 0
	ds_read_b32 v17, v17 offset:2600
	s_waitcnt lgkmcnt(0)
	v_mul_f32_e32 v16, v16, v17
	v_xor_b32_e32 v17, 0x80000000, v16
	ds_write_b32 v12, v17
.LBB17_960:
	s_or_b64 exec, exec, s[0:1]
	s_waitcnt lgkmcnt(0)
	s_barrier
	s_and_saveexec_b64 s[0:1], s[44:45]
	s_cbranch_execz .LBB17_962
; %bb.961:
	v_lshlrev_b32_e32 v17, 2, v6
	ds_read_b32 v17, v17 offset:2592
	ds_read_b32 v18, v12
	s_waitcnt lgkmcnt(0)
	v_fma_f32 v16, -v17, v18, v16
.LBB17_962:
	s_or_b64 exec, exec, s[0:1]
	s_barrier
	s_and_saveexec_b64 s[0:1], s[46:47]
	s_cbranch_execz .LBB17_964
; %bb.963:
	v_mov_b32_e32 v17, 0
	ds_read_b32 v17, v17 offset:2340
	s_waitcnt lgkmcnt(0)
	v_mul_f32_e32 v16, v16, v17
	v_xor_b32_e32 v17, 0x80000000, v16
	ds_write_b32 v12, v17
.LBB17_964:
	s_or_b64 exec, exec, s[0:1]
	s_waitcnt lgkmcnt(0)
	s_barrier
	s_and_saveexec_b64 s[0:1], s[36:37]
	s_cbranch_execz .LBB17_966
; %bb.965:
	v_mov_b32_e32 v17, 0
	ds_read_b32 v17, v17 offset:2336
	ds_read_b32 v18, v12
	s_waitcnt lgkmcnt(0)
	v_fma_f32 v16, -v17, v18, v16
.LBB17_966:
	s_or_b64 exec, exec, s[0:1]
	s_barrier
	s_and_saveexec_b64 s[0:1], s[36:37]
	s_cbranch_execz .LBB17_968
; %bb.967:
	v_mov_b32_e32 v17, 0
	ds_read_b32 v17, v17 offset:2080
	s_waitcnt lgkmcnt(0)
	v_mul_f32_e32 v16, v16, v17
	v_xor_b32_e32 v17, 0x80000000, v16
	ds_write_b32 v12, v17
.LBB17_968:
	s_or_b64 exec, exec, s[0:1]
	s_waitcnt lgkmcnt(0)
	s_barrier
	s_barrier
	s_and_saveexec_b64 s[0:1], s[18:19]
; %bb.969:
	v_lshlrev_b32_e32 v17, 2, v6
	v_lshl_or_b32 v17, v11, 8, v17
	ds_write_b32 v17, v16 offset:3104
; %bb.970:
	s_or_b64 exec, exec, s[0:1]
	s_waitcnt lgkmcnt(0)
	s_barrier
	s_barrier
	s_and_saveexec_b64 s[0:1], s[48:49]
	s_cbranch_execz .LBB17_972
; %bb.971:
	v_lshlrev_b32_e32 v16, 8, v0
	ds_read_b32 v17, v16 offset:3104
	s_movk_i32 s10, 0xff04
	v_mad_i32_i24 v18, v0, s10, v16
	s_waitcnt lgkmcnt(0)
	ds_write_b32 v18, v17 offset:2096
	ds_read_b32 v17, v16 offset:3108
	s_waitcnt lgkmcnt(0)
	ds_write_b32 v18, v17 offset:2352
	ds_read_b32 v17, v16 offset:3112
	;; [unrolled: 3-line block ×3, first 2 shown]
	s_waitcnt lgkmcnt(0)
	ds_write_b32 v18, v16 offset:2864
.LBB17_972:
	s_or_b64 exec, exec, s[0:1]
	s_waitcnt lgkmcnt(0)
	s_barrier
	s_and_saveexec_b64 s[0:1], vcc
	s_cbranch_execz .LBB17_974
; %bb.973:
	v_mov_b32_e32 v18, 0
	ds_read_b64 v[16:17], v18 offset:2856
	ds_read_b32 v18, v18 offset:2600
	s_movk_i32 s10, 0x800
	s_waitcnt lgkmcnt(0)
	v_mul_f32_e32 v17, v18, v17
	v_mul_f32_e32 v16, v16, v17
	v_add_u32_e64 v17, s10, 0
	ds_write2_b32 v17, v16, v16 offset0:139 offset1:202
.LBB17_974:
	s_or_b64 exec, exec, s[0:1]
	v_mov_b32_e32 v16, 0
	s_waitcnt lgkmcnt(0)
	s_barrier
	buffer_wbinvl1_vol
	s_and_saveexec_b64 s[0:1], s[2:3]
	s_cbranch_execz .LBB17_978
; %bb.975:
	v_lshlrev_b32_e32 v16, 8, v3
	v_lshlrev_b32_e32 v17, 2, v1
	ds_read_b32 v18, v17 offset:2592
	ds_read_b32 v16, v16 offset:2600
	v_mov_b32_e32 v17, 0
	v_cmp_gt_u32_e64 s[10:11], 2, v5
	s_waitcnt lgkmcnt(0)
	v_fma_f32 v16, v18, v16, 0
	s_and_saveexec_b64 s[12:13], s[10:11]
	s_cbranch_execz .LBB17_977
; %bb.976:
	v_lshlrev_b32_e32 v18, 2, v0
	ds_read_b32 v18, v18 offset:2848
	ds_read_b32 v17, v17 offset:2860
	s_waitcnt lgkmcnt(0)
	v_fmac_f32_e32 v16, v18, v17
.LBB17_977:
	s_or_b64 exec, exec, s[12:13]
.LBB17_978:
	s_or_b64 exec, exec, s[0:1]
	s_and_saveexec_b64 s[0:1], s[30:31]
	s_cbranch_execz .LBB17_980
; %bb.979:
	v_mov_b32_e32 v17, 0
	ds_read_b32 v17, v17 offset:2340
	s_waitcnt lgkmcnt(0)
	v_mul_f32_e32 v16, v16, v17
	v_xor_b32_e32 v17, 0x80000000, v16
	ds_write_b32 v4, v17
.LBB17_980:
	s_or_b64 exec, exec, s[0:1]
	s_waitcnt lgkmcnt(0)
	s_barrier
	s_and_saveexec_b64 s[0:1], s[26:27]
	s_cbranch_execz .LBB17_982
; %bb.981:
	v_mov_b32_e32 v17, 0
	ds_read_b32 v17, v17 offset:2336
	ds_read_b32 v18, v4
	s_waitcnt lgkmcnt(0)
	v_fma_f32 v16, -v17, v18, v16
.LBB17_982:
	s_or_b64 exec, exec, s[0:1]
	s_barrier
	s_and_saveexec_b64 s[0:1], s[26:27]
	s_cbranch_execz .LBB17_984
; %bb.983:
	v_mov_b32_e32 v17, 0
	ds_read_b32 v17, v17 offset:2080
	s_waitcnt lgkmcnt(0)
	v_mul_f32_e32 v16, v16, v17
	v_xor_b32_e32 v17, 0x80000000, v16
	ds_write_b32 v4, v17
.LBB17_984:
	s_or_b64 exec, exec, s[0:1]
	s_waitcnt lgkmcnt(0)
	s_barrier
	s_barrier
	s_and_saveexec_b64 s[0:1], s[2:3]
; %bb.985:
	v_lshlrev_b32_e32 v17, 2, v1
	v_lshl_or_b32 v17, v3, 8, v17
	ds_write_b32 v17, v16 offset:2592
; %bb.986:
	s_or_b64 exec, exec, s[0:1]
	s_waitcnt lgkmcnt(0)
	s_barrier
	s_barrier
	s_and_saveexec_b64 s[0:1], s[34:35]
	s_cbranch_execz .LBB17_988
; %bb.987:
	v_lshlrev_b32_e32 v16, 2, v0
	s_movk_i32 s10, 0xfc
	v_mad_u32_u24 v17, v0, s10, v16
	ds_read_b32 v18, v17 offset:2592
	s_waitcnt lgkmcnt(0)
	ds_write_b32 v16, v18 offset:2088
	ds_read_b32 v17, v17 offset:2596
	s_waitcnt lgkmcnt(0)
	ds_write_b32 v16, v17 offset:2344
.LBB17_988:
	s_or_b64 exec, exec, s[0:1]
	s_waitcnt lgkmcnt(0)
	s_barrier
	s_and_saveexec_b64 s[0:1], vcc
	s_cbranch_execz .LBB17_990
; %bb.989:
	v_mov_b32_e32 v18, 0
	ds_read_b64 v[16:17], v18 offset:2336
	ds_read_b32 v18, v18 offset:2080
	s_movk_i32 s10, 0x800
	s_waitcnt lgkmcnt(0)
	v_mul_f32_e32 v17, v18, v17
	v_mul_f32_e32 v16, v16, v17
	v_add_u32_e64 v17, s10, 0
	ds_write2_b32 v17, v16, v16 offset0:9 offset1:72
.LBB17_990:
	s_or_b64 exec, exec, s[0:1]
	v_mov_b32_e32 v16, 0
	s_waitcnt lgkmcnt(0)
	s_barrier
	buffer_wbinvl1_vol
	s_and_saveexec_b64 s[0:1], s[8:9]
	s_cbranch_execz .LBB17_1000
; %bb.991:
	v_lshlrev_b32_e32 v18, 2, v13
	v_lshlrev_b32_e32 v17, 8, v14
	ds_read_b32 v16, v18 offset:2048
	ds_read_b32 v19, v17 offset:2080
	v_cmp_gt_u32_e64 s[10:11], 56, v5
	s_waitcnt lgkmcnt(0)
	v_fma_f32 v16, v16, v19, 0
	s_and_saveexec_b64 s[12:13], s[10:11]
	s_cbranch_execnz .LBB17_1248
; %bb.992:
	s_or_b64 exec, exec, s[12:13]
	v_cmp_gt_u32_e64 s[10:11], 48, v5
	s_and_saveexec_b64 s[12:13], s[10:11]
	s_cbranch_execnz .LBB17_1249
.LBB17_993:
	s_or_b64 exec, exec, s[12:13]
	v_cmp_gt_u32_e64 s[10:11], 40, v5
	s_and_saveexec_b64 s[12:13], s[10:11]
	s_cbranch_execnz .LBB17_1250
.LBB17_994:
	s_or_b64 exec, exec, s[12:13]
	v_cmp_gt_u32_e64 s[10:11], 32, v5
	s_and_saveexec_b64 s[12:13], s[10:11]
	s_cbranch_execnz .LBB17_1251
.LBB17_995:
	s_or_b64 exec, exec, s[12:13]
	v_cmp_gt_u32_e64 s[10:11], 24, v5
	s_and_saveexec_b64 s[12:13], s[10:11]
	s_cbranch_execnz .LBB17_1252
.LBB17_996:
	s_or_b64 exec, exec, s[12:13]
	s_and_saveexec_b64 s[10:11], s[18:19]
	s_cbranch_execnz .LBB17_1253
.LBB17_997:
	s_or_b64 exec, exec, s[10:11]
	v_cmp_gt_u32_e64 s[10:11], 8, v5
	s_and_saveexec_b64 s[12:13], s[10:11]
	s_cbranch_execz .LBB17_999
.LBB17_998:
	v_lshlrev_b32_e32 v17, 2, v0
	v_mov_b32_e32 v18, 0
	ds_read_b32 v17, v17 offset:3840
	ds_read_b32 v18, v18 offset:3900
	s_waitcnt lgkmcnt(0)
	v_fmac_f32_e32 v16, v17, v18
.LBB17_999:
	s_or_b64 exec, exec, s[12:13]
.LBB17_1000:
	s_or_b64 exec, exec, s[0:1]
	s_and_saveexec_b64 s[0:1], s[50:51]
	s_cbranch_execz .LBB17_1002
; %bb.1001:
	v_mov_b32_e32 v17, 0
	ds_read_b32 v17, v17 offset:1820
	s_waitcnt lgkmcnt(0)
	v_mul_f32_e32 v16, v16, v17
	v_xor_b32_e32 v17, 0x80000000, v16
	ds_write_b32 v15, v17
.LBB17_1002:
	s_or_b64 exec, exec, s[0:1]
	s_waitcnt lgkmcnt(0)
	s_barrier
	s_and_saveexec_b64 s[0:1], s[52:53]
	v_readlane_b32 s50, v27, 1
	v_readlane_b32 s51, v27, 2
	s_cbranch_execz .LBB17_1004
; %bb.1003:
	v_lshlrev_b32_e32 v17, 2, v13
	ds_read_b32 v17, v17 offset:1792
	ds_read_b32 v18, v15
	s_waitcnt lgkmcnt(0)
	v_fma_f32 v16, -v17, v18, v16
.LBB17_1004:
	s_or_b64 exec, exec, s[0:1]
	s_barrier
	s_and_saveexec_b64 s[0:1], s[54:55]
	s_cbranch_execz .LBB17_1006
; %bb.1005:
	v_mov_b32_e32 v17, 0
	ds_read_b32 v17, v17 offset:1560
	s_waitcnt lgkmcnt(0)
	v_mul_f32_e32 v16, v16, v17
	v_xor_b32_e32 v17, 0x80000000, v16
	ds_write_b32 v15, v17
.LBB17_1006:
	s_or_b64 exec, exec, s[0:1]
	s_waitcnt lgkmcnt(0)
	s_barrier
	s_and_saveexec_b64 s[0:1], s[56:57]
	s_cbranch_execz .LBB17_1008
; %bb.1007:
	v_lshlrev_b32_e32 v17, 2, v13
	ds_read_b32 v17, v17 offset:1536
	ds_read_b32 v18, v15
	s_waitcnt lgkmcnt(0)
	v_fma_f32 v16, -v17, v18, v16
.LBB17_1008:
	s_or_b64 exec, exec, s[0:1]
	s_barrier
	s_and_saveexec_b64 s[0:1], s[58:59]
	s_cbranch_execz .LBB17_1010
; %bb.1009:
	v_mov_b32_e32 v17, 0
	ds_read_b32 v17, v17 offset:1300
	s_waitcnt lgkmcnt(0)
	v_mul_f32_e32 v16, v16, v17
	v_xor_b32_e32 v17, 0x80000000, v16
	ds_write_b32 v15, v17
.LBB17_1010:
	s_or_b64 exec, exec, s[0:1]
	s_waitcnt lgkmcnt(0)
	s_barrier
	s_and_saveexec_b64 s[0:1], s[62:63]
	;; [unrolled: 24-line block ×6, first 2 shown]
	s_cbranch_execz .LBB17_1028
; %bb.1027:
	v_mov_b32_e32 v17, 0
	ds_read_b32 v17, v17 offset:256
	ds_read_b32 v18, v15
	s_waitcnt lgkmcnt(0)
	v_fma_f32 v16, -v17, v18, v16
.LBB17_1028:
	s_or_b64 exec, exec, s[0:1]
	s_barrier
	s_and_saveexec_b64 s[0:1], s[60:61]
	s_cbranch_execz .LBB17_1030
; %bb.1029:
	v_mov_b32_e32 v17, 0
	ds_read_b32 v17, v17
	s_waitcnt lgkmcnt(0)
	v_mul_f32_e32 v16, v16, v17
	v_xor_b32_e32 v17, 0x80000000, v16
	ds_write_b32 v15, v17
.LBB17_1030:
	s_or_b64 exec, exec, s[0:1]
	s_waitcnt lgkmcnt(0)
	s_barrier
	s_barrier
	s_and_saveexec_b64 s[0:1], s[8:9]
; %bb.1031:
	v_lshlrev_b32_e32 v13, 2, v13
	v_lshl_or_b32 v13, v14, 8, v13
	ds_write_b32 v13, v16 offset:2048
; %bb.1032:
	s_or_b64 exec, exec, s[0:1]
	s_waitcnt lgkmcnt(0)
	s_barrier
	s_barrier
	s_and_saveexec_b64 s[0:1], s[78:79]
	s_cbranch_execz .LBB17_1034
; %bb.1033:
	v_lshlrev_b32_e32 v13, 8, v0
	ds_read_b32 v14, v13 offset:2048
	s_movk_i32 s8, 0xff04
	v_mad_i32_i24 v15, v0, s8, v13
	s_waitcnt lgkmcnt(0)
	ds_write_b32 v15, v14 offset:32
	ds_read_b32 v14, v13 offset:2052
	s_waitcnt lgkmcnt(0)
	ds_write_b32 v15, v14 offset:288
	ds_read_b32 v14, v13 offset:2056
	;; [unrolled: 3-line block ×7, first 2 shown]
	s_waitcnt lgkmcnt(0)
	ds_write_b32 v15, v13 offset:1824
.LBB17_1034:
	s_or_b64 exec, exec, s[0:1]
	s_waitcnt lgkmcnt(0)
	s_barrier
	s_and_saveexec_b64 s[0:1], vcc
	s_cbranch_execz .LBB17_1036
; %bb.1035:
	v_mov_b32_e32 v15, 0
	ds_read_b64 v[13:14], v15 offset:1816
	ds_read_b32 v15, v15 offset:1560
	s_movk_i32 s8, 0x400
	s_waitcnt lgkmcnt(0)
	v_mul_f32_e32 v14, v15, v14
	v_mul_f32_e32 v13, v13, v14
	v_add_u32_e64 v14, s8, 0
	ds_write2_b32 v14, v13, v13 offset0:135 offset1:198
.LBB17_1036:
	s_or_b64 exec, exec, s[0:1]
	v_mov_b32_e32 v13, 0
	s_waitcnt lgkmcnt(0)
	s_barrier
	buffer_wbinvl1_vol
	s_and_saveexec_b64 s[0:1], s[2:3]
	s_cbranch_execz .LBB17_1040
; %bb.1037:
	v_lshlrev_b32_e32 v13, 8, v3
	v_lshlrev_b32_e32 v14, 2, v1
	ds_read_b32 v15, v14 offset:1552
	ds_read_b32 v13, v13 offset:1560
	v_mov_b32_e32 v14, 0
	v_cmp_gt_u32_e64 s[8:9], 2, v5
	s_waitcnt lgkmcnt(0)
	v_fma_f32 v13, v15, v13, 0
	s_and_saveexec_b64 s[10:11], s[8:9]
	s_cbranch_execz .LBB17_1039
; %bb.1038:
	v_lshlrev_b32_e32 v15, 2, v0
	ds_read_b32 v15, v15 offset:1808
	ds_read_b32 v14, v14 offset:1820
	s_waitcnt lgkmcnt(0)
	v_fmac_f32_e32 v13, v15, v14
.LBB17_1039:
	s_or_b64 exec, exec, s[10:11]
.LBB17_1040:
	s_or_b64 exec, exec, s[0:1]
	s_and_saveexec_b64 s[0:1], s[30:31]
	s_cbranch_execz .LBB17_1042
; %bb.1041:
	v_mov_b32_e32 v14, 0
	ds_read_b32 v14, v14 offset:1300
	s_waitcnt lgkmcnt(0)
	v_mul_f32_e32 v13, v13, v14
	v_xor_b32_e32 v14, 0x80000000, v13
	ds_write_b32 v4, v14
.LBB17_1042:
	s_or_b64 exec, exec, s[0:1]
	s_waitcnt lgkmcnt(0)
	s_barrier
	s_and_saveexec_b64 s[0:1], s[26:27]
	s_cbranch_execz .LBB17_1044
; %bb.1043:
	v_mov_b32_e32 v14, 0
	ds_read_b32 v14, v14 offset:1296
	ds_read_b32 v15, v4
	s_waitcnt lgkmcnt(0)
	v_fma_f32 v13, -v14, v15, v13
.LBB17_1044:
	s_or_b64 exec, exec, s[0:1]
	s_barrier
	s_and_saveexec_b64 s[0:1], s[26:27]
	s_cbranch_execz .LBB17_1046
; %bb.1045:
	v_mov_b32_e32 v14, 0
	ds_read_b32 v14, v14 offset:1040
	s_waitcnt lgkmcnt(0)
	v_mul_f32_e32 v13, v13, v14
	v_xor_b32_e32 v14, 0x80000000, v13
	ds_write_b32 v4, v14
.LBB17_1046:
	s_or_b64 exec, exec, s[0:1]
	s_waitcnt lgkmcnt(0)
	s_barrier
	s_barrier
	s_and_saveexec_b64 s[0:1], s[2:3]
; %bb.1047:
	v_lshlrev_b32_e32 v14, 2, v1
	v_lshl_or_b32 v14, v3, 8, v14
	ds_write_b32 v14, v13 offset:1552
; %bb.1048:
	s_or_b64 exec, exec, s[0:1]
	s_waitcnt lgkmcnt(0)
	s_barrier
	s_barrier
	s_and_saveexec_b64 s[0:1], s[34:35]
	s_cbranch_execz .LBB17_1050
; %bb.1049:
	v_lshlrev_b32_e32 v13, 2, v0
	s_movk_i32 s8, 0xfc
	v_mad_u32_u24 v14, v0, s8, v13
	ds_read_b32 v15, v14 offset:1552
	s_waitcnt lgkmcnt(0)
	ds_write_b32 v13, v15 offset:1048
	ds_read_b32 v14, v14 offset:1556
	s_waitcnt lgkmcnt(0)
	ds_write_b32 v13, v14 offset:1304
.LBB17_1050:
	s_or_b64 exec, exec, s[0:1]
	s_waitcnt lgkmcnt(0)
	s_barrier
	s_and_saveexec_b64 s[0:1], vcc
	s_cbranch_execz .LBB17_1052
; %bb.1051:
	v_mov_b32_e32 v15, 0
	ds_read_b64 v[13:14], v15 offset:1296
	ds_read_b32 v15, v15 offset:1040
	s_movk_i32 s8, 0x400
	s_waitcnt lgkmcnt(0)
	v_mul_f32_e32 v14, v15, v14
	v_mul_f32_e32 v13, v13, v14
	v_add_u32_e64 v14, s8, 0
	ds_write2_b32 v14, v13, v13 offset0:5 offset1:68
.LBB17_1052:
	s_or_b64 exec, exec, s[0:1]
	v_mov_b32_e32 v13, 0
	s_waitcnt lgkmcnt(0)
	s_barrier
	buffer_wbinvl1_vol
	s_and_saveexec_b64 s[0:1], s[18:19]
	s_cbranch_execz .LBB17_1058
; %bb.1053:
	v_lshlrev_b32_e32 v15, 2, v6
	v_lshlrev_b32_e32 v14, 8, v11
	ds_read_b32 v13, v15 offset:1024
	ds_read_b32 v16, v14 offset:1040
	v_cmp_gt_u32_e64 s[8:9], 12, v5
	s_waitcnt lgkmcnt(0)
	v_fma_f32 v13, v13, v16, 0
	s_and_saveexec_b64 s[10:11], s[8:9]
	s_cbranch_execnz .LBB17_1254
; %bb.1054:
	s_or_b64 exec, exec, s[10:11]
	v_cmp_gt_u32_e64 s[8:9], 8, v5
	s_and_saveexec_b64 s[10:11], s[8:9]
	s_cbranch_execnz .LBB17_1255
.LBB17_1055:
	s_or_b64 exec, exec, s[10:11]
	v_cmp_gt_u32_e64 s[8:9], 4, v5
	s_and_saveexec_b64 s[10:11], s[8:9]
	s_cbranch_execz .LBB17_1057
.LBB17_1056:
	v_lshlrev_b32_e32 v14, 2, v0
	v_mov_b32_e32 v15, 0
	ds_read_b32 v14, v14 offset:1792
	ds_read_b32 v15, v15 offset:1820
	s_waitcnt lgkmcnt(0)
	v_fmac_f32_e32 v13, v14, v15
.LBB17_1057:
	s_or_b64 exec, exec, s[10:11]
.LBB17_1058:
	s_or_b64 exec, exec, s[0:1]
	s_and_saveexec_b64 s[0:1], s[38:39]
	s_cbranch_execz .LBB17_1060
; %bb.1059:
	v_mov_b32_e32 v14, 0
	ds_read_b32 v14, v14 offset:780
	s_waitcnt lgkmcnt(0)
	v_mul_f32_e32 v13, v13, v14
	v_xor_b32_e32 v14, 0x80000000, v13
	ds_write_b32 v12, v14
.LBB17_1060:
	s_or_b64 exec, exec, s[0:1]
	s_waitcnt lgkmcnt(0)
	s_barrier
	s_and_saveexec_b64 s[0:1], s[40:41]
	v_readlane_b32 s38, v27, 0
	s_cbranch_execz .LBB17_1062
; %bb.1061:
	v_lshlrev_b32_e32 v14, 2, v6
	ds_read_b32 v14, v14 offset:768
	ds_read_b32 v15, v12
	s_waitcnt lgkmcnt(0)
	v_fma_f32 v13, -v14, v15, v13
.LBB17_1062:
	s_or_b64 exec, exec, s[0:1]
	s_barrier
	s_and_saveexec_b64 s[0:1], s[42:43]
	s_cbranch_execz .LBB17_1064
; %bb.1063:
	v_mov_b32_e32 v14, 0
	ds_read_b32 v14, v14 offset:520
	s_waitcnt lgkmcnt(0)
	v_mul_f32_e32 v13, v13, v14
	v_xor_b32_e32 v14, 0x80000000, v13
	ds_write_b32 v12, v14
.LBB17_1064:
	s_or_b64 exec, exec, s[0:1]
	s_waitcnt lgkmcnt(0)
	s_barrier
	s_and_saveexec_b64 s[0:1], s[44:45]
	s_cbranch_execz .LBB17_1066
; %bb.1065:
	v_lshlrev_b32_e32 v14, 2, v6
	ds_read_b32 v14, v14 offset:512
	ds_read_b32 v15, v12
	s_waitcnt lgkmcnt(0)
	v_fma_f32 v13, -v14, v15, v13
.LBB17_1066:
	s_or_b64 exec, exec, s[0:1]
	s_barrier
	s_and_saveexec_b64 s[0:1], s[46:47]
	s_cbranch_execz .LBB17_1068
; %bb.1067:
	v_mov_b32_e32 v14, 0
	ds_read_b32 v14, v14 offset:260
	s_waitcnt lgkmcnt(0)
	v_mul_f32_e32 v13, v13, v14
	v_xor_b32_e32 v14, 0x80000000, v13
	ds_write_b32 v12, v14
.LBB17_1068:
	s_or_b64 exec, exec, s[0:1]
	s_waitcnt lgkmcnt(0)
	s_barrier
	s_and_saveexec_b64 s[0:1], s[36:37]
	s_cbranch_execz .LBB17_1070
; %bb.1069:
	v_mov_b32_e32 v14, 0
	ds_read_b32 v14, v14 offset:256
	ds_read_b32 v15, v12
	s_waitcnt lgkmcnt(0)
	v_fma_f32 v13, -v14, v15, v13
.LBB17_1070:
	s_or_b64 exec, exec, s[0:1]
	s_barrier
	s_and_saveexec_b64 s[0:1], s[36:37]
	s_cbranch_execz .LBB17_1072
; %bb.1071:
	v_mov_b32_e32 v14, 0
	ds_read_b32 v14, v14
	s_waitcnt lgkmcnt(0)
	v_mul_f32_e32 v13, v13, v14
	v_xor_b32_e32 v14, 0x80000000, v13
	ds_write_b32 v12, v14
.LBB17_1072:
	s_or_b64 exec, exec, s[0:1]
	s_waitcnt lgkmcnt(0)
	s_barrier
	s_barrier
	s_and_saveexec_b64 s[0:1], s[18:19]
; %bb.1073:
	v_lshlrev_b32_e32 v6, 2, v6
	v_lshl_or_b32 v6, v11, 8, v6
	ds_write_b32 v6, v13 offset:1024
; %bb.1074:
	s_or_b64 exec, exec, s[0:1]
	s_waitcnt lgkmcnt(0)
	s_barrier
	s_barrier
	s_and_saveexec_b64 s[0:1], s[48:49]
	s_cbranch_execz .LBB17_1076
; %bb.1075:
	v_lshlrev_b32_e32 v6, 8, v0
	ds_read_b32 v11, v6 offset:1024
	s_movk_i32 s8, 0xff04
	v_mad_i32_i24 v12, v0, s8, v6
	s_waitcnt lgkmcnt(0)
	ds_write_b32 v12, v11 offset:16
	ds_read_b32 v11, v6 offset:1028
	s_waitcnt lgkmcnt(0)
	ds_write_b32 v12, v11 offset:272
	ds_read_b32 v11, v6 offset:1032
	;; [unrolled: 3-line block ×3, first 2 shown]
	s_waitcnt lgkmcnt(0)
	ds_write_b32 v12, v6 offset:784
.LBB17_1076:
	s_or_b64 exec, exec, s[0:1]
	s_waitcnt lgkmcnt(0)
	s_barrier
	s_and_saveexec_b64 s[0:1], vcc
	s_cbranch_execz .LBB17_1078
; %bb.1077:
	v_mov_b32_e32 v6, 0
	ds_read_b64 v[11:12], v6 offset:776
	ds_read_b32 v13, v6 offset:520
	s_waitcnt lgkmcnt(0)
	v_mul_f32_e32 v12, v13, v12
	v_mul_f32_e32 v11, v11, v12
	ds_write2_b32 v6, v11, v11 offset0:131 offset1:194
.LBB17_1078:
	s_or_b64 exec, exec, s[0:1]
	v_mov_b32_e32 v6, 0
	s_waitcnt lgkmcnt(0)
	s_barrier
	buffer_wbinvl1_vol
	s_and_saveexec_b64 s[0:1], s[2:3]
	s_cbranch_execz .LBB17_1082
; %bb.1079:
	v_lshlrev_b32_e32 v6, 8, v3
	v_lshlrev_b32_e32 v11, 2, v1
	ds_read_b32 v12, v11 offset:512
	ds_read_b32 v6, v6 offset:520
	v_mov_b32_e32 v11, 0
	v_cmp_gt_u32_e64 s[8:9], 2, v5
	s_waitcnt lgkmcnt(0)
	v_fma_f32 v6, v12, v6, 0
	s_and_saveexec_b64 s[10:11], s[8:9]
	s_cbranch_execz .LBB17_1081
; %bb.1080:
	v_lshlrev_b32_e32 v5, 2, v0
	ds_read_b32 v5, v5 offset:768
	ds_read_b32 v11, v11 offset:780
	s_waitcnt lgkmcnt(0)
	v_fmac_f32_e32 v6, v5, v11
.LBB17_1081:
	s_or_b64 exec, exec, s[10:11]
.LBB17_1082:
	s_or_b64 exec, exec, s[0:1]
	s_and_saveexec_b64 s[0:1], s[30:31]
	s_cbranch_execz .LBB17_1084
; %bb.1083:
	v_mov_b32_e32 v5, 0
	ds_read_b32 v5, v5 offset:260
	s_waitcnt lgkmcnt(0)
	v_mul_f32_e32 v6, v6, v5
	v_xor_b32_e32 v5, 0x80000000, v6
	ds_write_b32 v4, v5
.LBB17_1084:
	s_or_b64 exec, exec, s[0:1]
	s_waitcnt lgkmcnt(0)
	s_barrier
	s_and_saveexec_b64 s[0:1], s[26:27]
	s_cbranch_execz .LBB17_1086
; %bb.1085:
	v_mov_b32_e32 v5, 0
	ds_read_b32 v5, v5 offset:256
	ds_read_b32 v11, v4
	s_waitcnt lgkmcnt(0)
	v_fma_f32 v6, -v5, v11, v6
.LBB17_1086:
	s_or_b64 exec, exec, s[0:1]
	s_barrier
	s_and_saveexec_b64 s[0:1], s[26:27]
	s_cbranch_execz .LBB17_1088
; %bb.1087:
	v_mov_b32_e32 v5, 0
	ds_read_b32 v5, v5
	s_waitcnt lgkmcnt(0)
	v_mul_f32_e32 v6, v6, v5
	v_xor_b32_e32 v5, 0x80000000, v6
	ds_write_b32 v4, v5
.LBB17_1088:
	s_or_b64 exec, exec, s[0:1]
	s_waitcnt lgkmcnt(0)
	s_barrier
	s_barrier
	s_and_saveexec_b64 s[0:1], s[2:3]
; %bb.1089:
	v_lshlrev_b32_e32 v1, 2, v1
	v_lshl_or_b32 v1, v3, 8, v1
	ds_write_b32 v1, v6 offset:512
; %bb.1090:
	s_or_b64 exec, exec, s[0:1]
	s_waitcnt lgkmcnt(0)
	s_barrier
	s_barrier
	s_and_saveexec_b64 s[0:1], s[34:35]
	s_cbranch_execz .LBB17_1092
; %bb.1091:
	v_lshlrev_b32_e32 v1, 2, v0
	s_movk_i32 s2, 0xfc
	v_mad_u32_u24 v3, v0, s2, v1
	ds_read_b32 v4, v3 offset:512
	s_waitcnt lgkmcnt(0)
	ds_write_b32 v1, v4 offset:8
	ds_read_b32 v3, v3 offset:516
	s_waitcnt lgkmcnt(0)
	ds_write_b32 v1, v3 offset:264
.LBB17_1092:
	s_or_b64 exec, exec, s[0:1]
	s_waitcnt lgkmcnt(0)
	s_barrier
	s_and_saveexec_b64 s[0:1], vcc
	s_cbranch_execz .LBB17_1094
; %bb.1093:
	v_mov_b32_e32 v1, 0
	ds_read_b64 v[3:4], v1 offset:256
	ds_read_b32 v5, v1
	s_waitcnt lgkmcnt(0)
	v_mul_f32_e32 v4, v5, v4
	v_mul_f32_e32 v3, v3, v4
	ds_write2_b32 v1, v3, v3 offset0:1 offset1:64
.LBB17_1094:
	s_or_b64 exec, exec, s[0:1]
.LBB17_1095:
	s_load_dwordx8 s[12:19], s[4:5], 0x30
	s_load_dwordx2 s[0:1], s[4:5], 0x50
	v_cmp_le_i32_e32 vcc, s94, v0
	v_mov_b32_e32 v12, 0
	v_add_u32_e32 v3, s33, v0
	s_waitcnt lgkmcnt(0)
	s_mul_i32 s3, s19, s28
	s_mul_hi_u32 s8, s18, s28
	s_mul_i32 s2, s18, s28
	s_add_i32 s3, s8, s3
	s_lshl_b64 s[2:3], s[2:3], 2
	s_add_u32 s8, s12, s2
	s_addc_u32 s9, s13, s3
	s_lshl_b64 s[2:3], s[14:15], 2
	s_add_u32 s26, s8, s2
	s_addc_u32 s27, s9, s3
	s_and_b64 s[14:15], vcc, s[22:23]
	v_cmp_eq_u32_e64 s[2:3], 0, v2
	s_xor_b64 s[8:9], s[14:15], -1
	s_and_b64 s[10:11], s[2:3], s[8:9]
	s_barrier
	s_and_saveexec_b64 s[8:9], s[10:11]
	s_cbranch_execz .LBB17_1097
; %bb.1096:
	v_ashrrev_i32_e32 v1, 31, v3
	v_mul_lo_u32 v6, s17, v3
	v_mad_u64_u32 v[4:5], s[10:11], s16, v3, 0
	v_mul_lo_u32 v1, s16, v1
	s_load_dword s4, s[4:5], 0x28
	v_add3_u32 v5, v5, v1, v6
	v_lshlrev_b64 v[4:5], 2, v[4:5]
	v_mov_b32_e32 v1, s27
	v_add_co_u32_e32 v4, vcc, s26, v4
	v_addc_co_u32_e32 v5, vcc, v1, v5, vcc
	global_load_dword v1, v[4:5], off
	s_waitcnt vmcnt(0) lgkmcnt(0)
	v_mul_f32_e64 v12, v1, -s4
.LBB17_1097:
	s_or_b64 exec, exec, s[8:9]
	s_and_b32 s4, 0xffff, s81
	v_mad_u32_u24 v11, v2, s4, v0
	s_cmp_lt_i32 s6, 1
	v_cmp_eq_u32_e64 s[4:5], 0, v11
	s_cbranch_scc1 .LBB17_1123
; %bb.1098:
	v_mad_u64_u32 v[4:5], s[8:9], s24, v3, 0
	s_mov_b32 s24, 0
	v_cmp_gt_u32_e64 s[12:13], 64, v11
	v_mov_b32_e32 v1, v5
	v_mad_u64_u32 v[5:6], s[8:9], s25, v3, v[1:2]
	s_lshl_b64 s[8:9], s[28:29], 2
	s_add_u32 s18, s0, s8
	s_addc_u32 s19, s1, s9
	v_cmp_gt_i32_e64 s[8:9], s7, v3
	v_lshlrev_b64 v[3:4], 2, v[4:5]
	v_mov_b32_e32 v6, 0x5000
	v_mov_b32_e32 v5, s80
	v_add_co_u32_e32 v14, vcc, s95, v3
	v_lshl_add_u32 v1, v11, 2, v6
	v_lshl_or_b32 v13, v2, 2, v6
	s_add_i32 s25, s6, -1
	v_addc_co_u32_e32 v15, vcc, v5, v4, vcc
	v_mov_b32_e32 v16, -1
	v_mov_b32_e32 v4, 0
	s_branch .LBB17_1101
.LBB17_1099:                            ;   in Loop: Header=BB17_1101 Depth=1
	ds_read_b32 v5, v13 offset:192
	s_waitcnt vmcnt(0) lgkmcnt(0)
	v_fmac_f32_e32 v12, v3, v5
.LBB17_1100:                            ;   in Loop: Header=BB17_1101 Depth=1
	s_or_b64 exec, exec, s[20:21]
	s_add_i32 s24, s24, 1
	s_cmp_eq_u32 s24, s6
	s_cbranch_scc1 .LBB17_1123
.LBB17_1101:                            ; =>This Loop Header: Depth=1
                                        ;     Child Loop BB17_1103 Depth 2
	v_cmp_gt_i32_e32 vcc, s24, v16
	s_and_b64 s[20:21], s[4:5], vcc
	s_and_saveexec_b64 s[10:11], s[20:21]
	s_cbranch_execz .LBB17_1104
; %bb.1102:                             ;   in Loop: Header=BB17_1101 Depth=1
	global_load_dword v16, v4, s[18:19]
	s_waitcnt vmcnt(0)
	v_cmp_le_i32_e32 vcc, s24, v16
	s_cbranch_vccnz .LBB17_1104
.LBB17_1103:                            ;   Parent Loop BB17_1101 Depth=1
                                        ; =>  This Inner Loop Header: Depth=2
	buffer_wbinvl1_vol
	global_load_dword v16, v4, s[18:19]
	s_waitcnt vmcnt(0)
	v_cmp_gt_i32_e32 vcc, s24, v16
	s_cbranch_vccnz .LBB17_1103
.LBB17_1104:                            ;   in Loop: Header=BB17_1101 Depth=1
	s_or_b64 exec, exec, s[10:11]
	s_lshl_b32 s30, s24, 6
	buffer_wbinvl1_vol
	s_barrier
	s_and_saveexec_b64 s[10:11], s[12:13]
	s_cbranch_execz .LBB17_1108
; %bb.1105:                             ;   in Loop: Header=BB17_1101 Depth=1
	v_or_b32_e32 v5, s30, v11
	v_cmp_gt_i32_e32 vcc, s7, v5
	v_mov_b32_e32 v3, 0
	s_and_saveexec_b64 s[20:21], vcc
	s_cbranch_execz .LBB17_1107
; %bb.1106:                             ;   in Loop: Header=BB17_1101 Depth=1
	v_mad_u64_u32 v[17:18], s[34:35], s16, v5, 0
	v_mov_b32_e32 v3, v18
	v_mad_u64_u32 v[5:6], s[34:35], s17, v5, v[3:4]
	v_mov_b32_e32 v3, s27
	v_mov_b32_e32 v18, v5
	v_lshlrev_b64 v[5:6], 2, v[17:18]
	v_add_co_u32_e32 v5, vcc, s26, v5
	v_addc_co_u32_e32 v6, vcc, v3, v6, vcc
	global_load_dword v3, v[5:6], off
.LBB17_1107:                            ;   in Loop: Header=BB17_1101 Depth=1
	s_or_b64 exec, exec, s[20:21]
	s_waitcnt vmcnt(0)
	ds_write_b32 v1, v3
.LBB17_1108:                            ;   in Loop: Header=BB17_1101 Depth=1
	s_or_b64 exec, exec, s[10:11]
	v_add_u32_e32 v3, s30, v2
	v_lshlrev_b64 v[5:6], 2, v[3:4]
	s_cmp_lg_u32 s24, s25
	v_add_co_u32_e32 v5, vcc, v14, v5
	s_cselect_b64 s[10:11], -1, 0
	v_addc_co_u32_e32 v6, vcc, v15, v6, vcc
	v_cmp_gt_i32_e32 vcc, s7, v3
	v_cndmask_b32_e64 v17, 0, 1, s[10:11]
	s_and_b64 s[30:31], vcc, s[8:9]
	v_cmp_ne_u32_e64 s[10:11], 1, v17
	s_waitcnt lgkmcnt(0)
	s_barrier
	s_and_saveexec_b64 s[20:21], s[30:31]
	s_cbranch_execz .LBB17_1112
; %bb.1109:                             ;   in Loop: Header=BB17_1101 Depth=1
	s_and_b64 vcc, exec, s[10:11]
	v_mov_b32_e32 v17, v8
	s_cbranch_vccnz .LBB17_1111
; %bb.1110:                             ;   in Loop: Header=BB17_1101 Depth=1
	global_load_dword v17, v[5:6], off
.LBB17_1111:                            ;   in Loop: Header=BB17_1101 Depth=1
	ds_read_b32 v18, v13
	s_waitcnt vmcnt(0) lgkmcnt(0)
	v_fmac_f32_e32 v12, v17, v18
.LBB17_1112:                            ;   in Loop: Header=BB17_1101 Depth=1
	s_or_b64 exec, exec, s[20:21]
	v_add_u32_e32 v17, 16, v3
	v_cmp_gt_i32_e32 vcc, s7, v17
	s_and_b64 s[30:31], vcc, s[8:9]
	s_and_saveexec_b64 s[20:21], s[30:31]
	s_cbranch_execz .LBB17_1116
; %bb.1113:                             ;   in Loop: Header=BB17_1101 Depth=1
	s_and_b64 vcc, exec, s[10:11]
	v_mov_b32_e32 v17, v7
	s_cbranch_vccnz .LBB17_1115
; %bb.1114:                             ;   in Loop: Header=BB17_1101 Depth=1
	global_load_dword v17, v[5:6], off offset:64
.LBB17_1115:                            ;   in Loop: Header=BB17_1101 Depth=1
	ds_read_b32 v18, v13 offset:64
	s_waitcnt vmcnt(0) lgkmcnt(0)
	v_fmac_f32_e32 v12, v17, v18
.LBB17_1116:                            ;   in Loop: Header=BB17_1101 Depth=1
	s_or_b64 exec, exec, s[20:21]
	v_add_u32_e32 v17, 32, v3
	v_cmp_gt_i32_e32 vcc, s7, v17
	s_and_b64 s[30:31], vcc, s[8:9]
	s_and_saveexec_b64 s[20:21], s[30:31]
	s_cbranch_execz .LBB17_1120
; %bb.1117:                             ;   in Loop: Header=BB17_1101 Depth=1
	s_and_b64 vcc, exec, s[10:11]
	v_mov_b32_e32 v17, v10
	s_cbranch_vccnz .LBB17_1119
; %bb.1118:                             ;   in Loop: Header=BB17_1101 Depth=1
	global_load_dword v17, v[5:6], off offset:128
.LBB17_1119:                            ;   in Loop: Header=BB17_1101 Depth=1
	ds_read_b32 v18, v13 offset:128
	s_waitcnt vmcnt(0) lgkmcnt(0)
	v_fmac_f32_e32 v12, v17, v18
.LBB17_1120:                            ;   in Loop: Header=BB17_1101 Depth=1
	s_or_b64 exec, exec, s[20:21]
	v_add_u32_e32 v3, 48, v3
	v_cmp_gt_i32_e32 vcc, s7, v3
	s_and_b64 s[30:31], vcc, s[8:9]
	s_and_saveexec_b64 s[20:21], s[30:31]
	s_cbranch_execz .LBB17_1100
; %bb.1121:                             ;   in Loop: Header=BB17_1101 Depth=1
	s_and_b64 vcc, exec, s[10:11]
	v_mov_b32_e32 v3, v9
	s_cbranch_vccnz .LBB17_1099
; %bb.1122:                             ;   in Loop: Header=BB17_1101 Depth=1
	global_load_dword v3, v[5:6], off offset:192
	s_branch .LBB17_1099
.LBB17_1123:
	v_lshl_add_u32 v1, v2, 6, v0
	s_xor_b64 s[4:5], s[22:23], -1
	v_lshlrev_b32_e32 v1, 2, v1
	ds_write_b32 v1, v12 offset:16384
	s_waitcnt lgkmcnt(0)
	s_barrier
	s_and_saveexec_b64 s[6:7], s[2:3]
	s_cbranch_execz .LBB17_1125
; %bb.1124:
	v_lshlrev_b32_e32 v15, 2, v0
	ds_read2st64_b32 v[3:4], v15 offset0:65 offset1:66
	ds_read2st64_b32 v[5:6], v15 offset0:67 offset1:68
	ds_read2st64_b32 v[7:8], v15 offset0:69 offset1:70
	ds_read2st64_b32 v[9:10], v15 offset0:71 offset1:72
	ds_read2st64_b32 v[13:14], v15 offset0:73 offset1:74
	s_waitcnt lgkmcnt(4)
	v_add_f32_e32 v3, v12, v3
	v_add_f32_e32 v3, v3, v4
	s_waitcnt lgkmcnt(3)
	v_add_f32_e32 v3, v3, v5
	v_add_f32_e32 v3, v3, v6
	;; [unrolled: 3-line block ×4, first 2 shown]
	ds_read2st64_b32 v[3:4], v15 offset0:75 offset1:76
	ds_read2st64_b32 v[5:6], v15 offset0:77 offset1:78
	ds_read_b32 v8, v15 offset:20224
	s_waitcnt lgkmcnt(3)
	v_add_f32_e32 v7, v7, v13
	v_add_f32_e32 v7, v7, v14
	s_waitcnt lgkmcnt(2)
	v_add_f32_e32 v3, v7, v3
	v_add_f32_e32 v3, v3, v4
	;; [unrolled: 3-line block ×3, first 2 shown]
	s_waitcnt lgkmcnt(0)
	v_add_f32_e32 v3, v3, v8
	v_cndmask_b32_e64 v12, -v3, 0, s[14:15]
.LBB17_1125:
	s_or_b64 exec, exec, s[6:7]
	s_and_b64 vcc, exec, s[50:51]
	s_cbranch_vccnz .LBB17_1138
; %bb.1126:
	v_mov_b32_e32 v3, 0x5000
	v_lshl_or_b32 v4, v2, 2, v3
	s_and_saveexec_b64 s[6:7], s[2:3]
; %bb.1127:
	v_lshl_add_u32 v3, v0, 2, v4
	ds_write_b32 v3, v12
; %bb.1128:
	s_or_b64 exec, exec, s[6:7]
	v_cmp_le_u32_e32 vcc, v2, v0
	v_mov_b32_e32 v3, 0
	s_waitcnt lgkmcnt(0)
	s_barrier
	s_and_saveexec_b64 s[6:7], vcc
	s_cbranch_execz .LBB17_1130
; %bb.1129:
	ds_read_b32 v3, v1
	ds_read_b32 v5, v4
	s_waitcnt lgkmcnt(0)
	v_fma_f32 v3, v3, v5, 0
.LBB17_1130:
	s_or_b64 exec, exec, s[6:7]
	v_add_u32_e32 v5, 16, v2
	v_cmp_ge_u32_e32 vcc, v0, v5
	s_and_saveexec_b64 s[6:7], vcc
	s_cbranch_execz .LBB17_1132
; %bb.1131:
	ds_read_b32 v5, v1 offset:4096
	ds_read_b32 v6, v4 offset:64
	s_waitcnt lgkmcnt(0)
	v_fmac_f32_e32 v3, v5, v6
.LBB17_1132:
	s_or_b64 exec, exec, s[6:7]
	v_add_u32_e32 v5, 32, v2
	v_cmp_ge_u32_e32 vcc, v0, v5
	s_and_saveexec_b64 s[6:7], vcc
	s_cbranch_execz .LBB17_1134
; %bb.1133:
	ds_read_b32 v5, v1 offset:8192
	ds_read_b32 v6, v4 offset:128
	s_waitcnt lgkmcnt(0)
	v_fmac_f32_e32 v3, v5, v6
.LBB17_1134:
	s_or_b64 exec, exec, s[6:7]
	v_add_u32_e32 v2, 48, v2
	v_add_u32_e32 v5, 0x4000, v1
	v_cmp_ge_u32_e32 vcc, v0, v2
	s_and_saveexec_b64 s[6:7], vcc
	s_cbranch_execz .LBB17_1136
; %bb.1135:
	ds_read_b32 v1, v1 offset:12288
	ds_read_b32 v2, v4 offset:192
	s_waitcnt lgkmcnt(0)
	v_fmac_f32_e32 v3, v1, v2
.LBB17_1136:
	s_or_b64 exec, exec, s[6:7]
	s_mov_b64 s[8:9], 0
	s_mov_b64 s[6:7], 0
	ds_write_b32 v5, v3
	s_waitcnt lgkmcnt(0)
	s_barrier
                                        ; implicit-def: $vgpr4
                                        ; implicit-def: $vgpr1_vgpr2
	s_and_saveexec_b64 s[10:11], s[2:3]
	s_cbranch_execz .LBB17_1195
; %bb.1137:
	v_lshlrev_b32_e32 v10, 2, v0
	ds_read2st64_b32 v[1:2], v10 offset0:65 offset1:66
	ds_read2st64_b32 v[4:5], v10 offset0:67 offset1:68
	;; [unrolled: 1-line block ×4, first 2 shown]
	s_mov_b64 s[6:7], exec
	s_waitcnt lgkmcnt(3)
	v_add_f32_e32 v1, v3, v1
	v_add_f32_e32 v1, v2, v1
	s_waitcnt lgkmcnt(2)
	v_add_f32_e32 v1, v4, v1
	v_add_f32_e32 v1, v5, v1
	ds_read2st64_b32 v[2:3], v10 offset0:73 offset1:74
	s_waitcnt lgkmcnt(2)
	v_add_f32_e32 v1, v6, v1
	v_add_f32_e32 v1, v7, v1
	s_waitcnt lgkmcnt(1)
	v_add_f32_e32 v1, v8, v1
	v_add_f32_e32 v1, v9, v1
	ds_read2st64_b32 v[4:5], v10 offset0:75 offset1:76
	ds_read2st64_b32 v[6:7], v10 offset0:77 offset1:78
	ds_read_b32 v8, v10 offset:20224
	v_add_u32_e32 v10, s33, v11
	s_waitcnt lgkmcnt(3)
	v_add_f32_e32 v9, v2, v1
	v_mad_u64_u32 v[1:2], s[12:13], s16, v10, 0
	v_add_f32_e32 v3, v3, v9
	s_waitcnt lgkmcnt(2)
	v_add_f32_e32 v3, v4, v3
	v_add_f32_e32 v4, v5, v3
	v_mad_u64_u32 v[2:3], s[12:13], s17, v10, v[2:3]
	s_waitcnt lgkmcnt(1)
	v_add_f32_e32 v3, v6, v4
	v_add_f32_e32 v3, v7, v3
	s_waitcnt lgkmcnt(0)
	v_add_f32_e32 v4, v8, v3
	s_or_b64 exec, exec, s[10:11]
	s_and_b64 vcc, exec, s[8:9]
	s_cbranch_vccnz .LBB17_1139
	s_branch .LBB17_1196
.LBB17_1138:
	s_mov_b64 s[6:7], 0
                                        ; implicit-def: $vgpr4
                                        ; implicit-def: $vgpr1_vgpr2
	s_cbranch_execz .LBB17_1196
.LBB17_1139:
	v_mul_u32_u24_e32 v1, 0x104, v0
	v_lshlrev_b32_e32 v2, 8, v0
	v_sub_u32_e32 v2, v1, v2
	s_mov_b32 s10, 0
	v_mov_b32_e32 v3, 0
	v_mov_b32_e32 v4, v0
	s_branch .LBB17_1141
.LBB17_1140:                            ;   in Loop: Header=BB17_1141 Depth=1
	s_or_b64 exec, exec, s[8:9]
	s_add_i32 s10, s10, 4
	v_add_u32_e32 v2, 0x400, v2
	s_cmp_lg_u32 s10, 64
	v_add_u32_e32 v4, -4, v4
	s_barrier
	s_cbranch_scc0 .LBB17_1157
.LBB17_1141:                            ; =>This Inner Loop Header: Depth=1
	v_cmp_eq_u32_e32 vcc, 0, v4
	s_and_b64 s[12:13], s[2:3], vcc
	s_and_saveexec_b64 s[8:9], s[12:13]
	s_cbranch_execz .LBB17_1143
; %bb.1142:                             ;   in Loop: Header=BB17_1141 Depth=1
	ds_read_b32 v5, v1
	s_waitcnt lgkmcnt(0)
	v_mul_f32_e32 v12, v12, v5
	ds_write_b32 v3, v12 offset:20736
.LBB17_1143:                            ;   in Loop: Header=BB17_1141 Depth=1
	s_or_b64 exec, exec, s[8:9]
	v_cmp_lt_u32_e32 vcc, s10, v0
	s_and_b64 s[12:13], s[2:3], vcc
	s_waitcnt lgkmcnt(0)
	s_barrier
	s_and_saveexec_b64 s[8:9], s[12:13]
	s_cbranch_execz .LBB17_1145
; %bb.1144:                             ;   in Loop: Header=BB17_1141 Depth=1
	ds_read_b32 v5, v2
	ds_read_b32 v6, v3 offset:20736
	s_waitcnt lgkmcnt(0)
	v_fmac_f32_e32 v12, v5, v6
.LBB17_1145:                            ;   in Loop: Header=BB17_1141 Depth=1
	s_or_b64 exec, exec, s[8:9]
	s_or_b32 s11, s10, 1
	v_cmp_eq_u32_e32 vcc, s11, v0
	s_and_b64 s[12:13], s[2:3], vcc
	s_barrier
	s_and_saveexec_b64 s[8:9], s[12:13]
	s_cbranch_execz .LBB17_1147
; %bb.1146:                             ;   in Loop: Header=BB17_1141 Depth=1
	ds_read_b32 v5, v1
	s_waitcnt lgkmcnt(0)
	v_mul_f32_e32 v12, v12, v5
	ds_write_b32 v3, v12 offset:20736
.LBB17_1147:                            ;   in Loop: Header=BB17_1141 Depth=1
	s_or_b64 exec, exec, s[8:9]
	v_cmp_lt_u32_e32 vcc, s11, v0
	s_and_b64 s[12:13], s[2:3], vcc
	s_waitcnt lgkmcnt(0)
	s_barrier
	s_and_saveexec_b64 s[8:9], s[12:13]
	s_cbranch_execz .LBB17_1149
; %bb.1148:                             ;   in Loop: Header=BB17_1141 Depth=1
	ds_read_b32 v5, v2 offset:256
	ds_read_b32 v6, v3 offset:20736
	s_waitcnt lgkmcnt(0)
	v_fmac_f32_e32 v12, v5, v6
.LBB17_1149:                            ;   in Loop: Header=BB17_1141 Depth=1
	s_or_b64 exec, exec, s[8:9]
	s_or_b32 s11, s10, 2
	v_cmp_eq_u32_e32 vcc, s11, v0
	s_and_b64 s[12:13], s[2:3], vcc
	s_barrier
	s_and_saveexec_b64 s[8:9], s[12:13]
	s_cbranch_execz .LBB17_1151
; %bb.1150:                             ;   in Loop: Header=BB17_1141 Depth=1
	ds_read_b32 v5, v1
	s_waitcnt lgkmcnt(0)
	v_mul_f32_e32 v12, v12, v5
	ds_write_b32 v3, v12 offset:20736
.LBB17_1151:                            ;   in Loop: Header=BB17_1141 Depth=1
	s_or_b64 exec, exec, s[8:9]
	v_cmp_lt_u32_e32 vcc, s11, v0
	s_and_b64 s[12:13], s[2:3], vcc
	s_waitcnt lgkmcnt(0)
	s_barrier
	s_and_saveexec_b64 s[8:9], s[12:13]
	s_cbranch_execz .LBB17_1153
; %bb.1152:                             ;   in Loop: Header=BB17_1141 Depth=1
	ds_read_b32 v5, v2 offset:512
	ds_read_b32 v6, v3 offset:20736
	s_waitcnt lgkmcnt(0)
	v_fmac_f32_e32 v12, v5, v6
.LBB17_1153:                            ;   in Loop: Header=BB17_1141 Depth=1
	s_or_b64 exec, exec, s[8:9]
	s_or_b32 s11, s10, 3
	v_cmp_eq_u32_e32 vcc, s11, v0
	s_and_b64 s[12:13], s[2:3], vcc
	s_barrier
	s_and_saveexec_b64 s[8:9], s[12:13]
	s_cbranch_execz .LBB17_1155
; %bb.1154:                             ;   in Loop: Header=BB17_1141 Depth=1
	ds_read_b32 v5, v1
	s_waitcnt lgkmcnt(0)
	v_mul_f32_e32 v12, v12, v5
	ds_write_b32 v3, v12 offset:20736
.LBB17_1155:                            ;   in Loop: Header=BB17_1141 Depth=1
	s_or_b64 exec, exec, s[8:9]
	v_cmp_lt_u32_e32 vcc, s11, v0
	s_and_b64 s[12:13], s[2:3], vcc
	s_waitcnt lgkmcnt(0)
	s_barrier
	s_and_saveexec_b64 s[8:9], s[12:13]
	s_cbranch_execz .LBB17_1140
; %bb.1156:                             ;   in Loop: Header=BB17_1141 Depth=1
	ds_read_b32 v5, v2 offset:768
	ds_read_b32 v6, v3 offset:20736
	s_waitcnt lgkmcnt(0)
	v_fmac_f32_e32 v12, v5, v6
	s_branch .LBB17_1140
.LBB17_1157:
	s_and_b64 vcc, exec, s[4:5]
	s_cbranch_vccz .LBB17_1197
; %bb.1158:
	s_and_b64 s[4:5], s[2:3], exec
	s_cbranch_execz .LBB17_1198
	s_branch .LBB17_1199
.LBB17_1159:
	v_cmp_ne_u32_e32 vcc, v0, v2
	s_and_saveexec_b64 s[12:13], vcc
	s_xor_b64 s[12:13], exec, s[12:13]
; %bb.1160:
	v_or_b32_e32 v1, v2, v0
	v_cmp_gt_u32_e32 vcc, 64, v1
	s_and_b64 s[10:11], vcc, exec
                                        ; implicit-def: $vgpr5_vgpr6
; %bb.1161:
	s_or_saveexec_b64 s[12:13], s[12:13]
	v_mov_b32_e32 v1, 0
	s_xor_b64 exec, exec, s[12:13]
	s_cbranch_execz .LBB17_1163
; %bb.1162:
	v_lshlrev_b64 v[5:6], 2, v[5:6]
	v_mov_b32_e32 v1, s80
	v_add_co_u32_e32 v5, vcc, s95, v5
	v_addc_co_u32_e32 v6, vcc, v1, v6, vcc
	global_load_dword v1, v[5:6], off
	s_or_b64 s[10:11], s[10:11], exec
	s_waitcnt vmcnt(0)
	v_div_scale_f32 v5, s[14:15], v1, v1, 1.0
	v_div_scale_f32 v6, vcc, 1.0, v1, 1.0
	v_rcp_f32_e32 v12, v5
	v_fma_f32 v13, -v5, v12, 1.0
	v_fmac_f32_e32 v12, v13, v12
	v_mul_f32_e32 v13, v6, v12
	v_fma_f32 v14, -v5, v13, v6
	v_fmac_f32_e32 v13, v14, v12
	v_fma_f32 v5, -v5, v13, v6
	v_div_fmas_f32 v5, v5, v12, v13
	v_div_fixup_f32 v1, v5, v1, 1.0
.LBB17_1163:
	s_or_b64 exec, exec, s[12:13]
	s_and_b64 s[10:11], s[10:11], exec
                                        ; implicit-def: $vgpr5_vgpr6
	s_andn2_saveexec_b64 s[8:9], s[8:9]
	s_cbranch_execz .LBB17_14
.LBB17_1164:
	v_lshlrev_b64 v[5:6], 2, v[5:6]
	v_mov_b32_e32 v1, s80
	v_add_co_u32_e32 v5, vcc, s95, v5
	v_addc_co_u32_e32 v6, vcc, v1, v6, vcc
	global_load_dword v1, v[5:6], off
	s_or_b64 s[10:11], s[10:11], exec
	s_waitcnt vmcnt(0)
	v_xor_b32_e32 v1, 0x80000000, v1
	s_or_b64 exec, exec, s[8:9]
	s_and_saveexec_b64 s[8:9], s[10:11]
	s_cbranch_execnz .LBB17_15
	s_branch .LBB17_16
.LBB17_1165:
	v_cmp_ne_u32_e32 vcc, v0, v1
	s_and_saveexec_b64 s[10:11], vcc
	s_xor_b64 s[10:11], exec, s[10:11]
; %bb.1166:
	v_or_b32_e32 v5, v1, v0
	v_cmp_gt_u32_e32 vcc, 64, v5
	s_and_b64 s[8:9], vcc, exec
                                        ; implicit-def: $vgpr5_vgpr6
; %bb.1167:
	s_or_saveexec_b64 s[10:11], s[10:11]
	v_mov_b32_e32 v12, 0
	s_xor_b64 exec, exec, s[10:11]
	s_cbranch_execz .LBB17_1169
; %bb.1168:
	v_lshlrev_b64 v[5:6], 2, v[5:6]
	v_mov_b32_e32 v12, s80
	v_add_co_u32_e32 v5, vcc, s95, v5
	v_addc_co_u32_e32 v6, vcc, v12, v6, vcc
	global_load_dword v5, v[5:6], off
	s_or_b64 s[8:9], s[8:9], exec
	s_waitcnt vmcnt(0)
	v_div_scale_f32 v6, s[12:13], v5, v5, 1.0
	v_div_scale_f32 v12, vcc, 1.0, v5, 1.0
	v_rcp_f32_e32 v13, v6
	v_fma_f32 v14, -v6, v13, 1.0
	v_fmac_f32_e32 v13, v14, v13
	v_mul_f32_e32 v14, v12, v13
	v_fma_f32 v15, -v6, v14, v12
	v_fmac_f32_e32 v14, v15, v13
	v_fma_f32 v6, -v6, v14, v12
	v_div_fmas_f32 v6, v6, v13, v14
	v_div_fixup_f32 v12, v6, v5, 1.0
.LBB17_1169:
	s_or_b64 exec, exec, s[10:11]
	s_and_b64 s[8:9], s[8:9], exec
                                        ; implicit-def: $vgpr5_vgpr6
	s_andn2_saveexec_b64 s[2:3], s[2:3]
	s_cbranch_execz .LBB17_18
.LBB17_1170:
	v_lshlrev_b64 v[5:6], 2, v[5:6]
	v_mov_b32_e32 v12, s80
	v_add_co_u32_e32 v5, vcc, s95, v5
	v_addc_co_u32_e32 v6, vcc, v12, v6, vcc
	global_load_dword v5, v[5:6], off
	s_or_b64 s[8:9], s[8:9], exec
	s_waitcnt vmcnt(0)
	v_xor_b32_e32 v12, 0x80000000, v5
	s_or_b64 exec, exec, s[2:3]
	s_and_saveexec_b64 s[2:3], s[8:9]
	s_cbranch_execnz .LBB17_19
	s_branch .LBB17_20
.LBB17_1171:
	v_cmp_ne_u32_e32 vcc, v0, v1
	s_and_saveexec_b64 s[10:11], vcc
	s_xor_b64 s[10:11], exec, s[10:11]
; %bb.1172:
	v_or_b32_e32 v5, v1, v0
	v_cmp_gt_u32_e32 vcc, 64, v5
	s_and_b64 s[8:9], vcc, exec
                                        ; implicit-def: $vgpr5_vgpr6
; %bb.1173:
	s_or_saveexec_b64 s[10:11], s[10:11]
	v_mov_b32_e32 v12, 0
	s_xor_b64 exec, exec, s[10:11]
	s_cbranch_execz .LBB17_1175
; %bb.1174:
	v_lshlrev_b64 v[5:6], 2, v[5:6]
	v_mov_b32_e32 v12, s80
	v_add_co_u32_e32 v5, vcc, s95, v5
	v_addc_co_u32_e32 v6, vcc, v12, v6, vcc
	global_load_dword v5, v[5:6], off
	s_or_b64 s[8:9], s[8:9], exec
	s_waitcnt vmcnt(0)
	v_div_scale_f32 v6, s[12:13], v5, v5, 1.0
	v_div_scale_f32 v12, vcc, 1.0, v5, 1.0
	v_rcp_f32_e32 v13, v6
	v_fma_f32 v14, -v6, v13, 1.0
	v_fmac_f32_e32 v13, v14, v13
	v_mul_f32_e32 v14, v12, v13
	v_fma_f32 v15, -v6, v14, v12
	v_fmac_f32_e32 v14, v15, v13
	v_fma_f32 v6, -v6, v14, v12
	v_div_fmas_f32 v6, v6, v13, v14
	v_div_fixup_f32 v12, v6, v5, 1.0
.LBB17_1175:
	s_or_b64 exec, exec, s[10:11]
	s_and_b64 s[8:9], s[8:9], exec
                                        ; implicit-def: $vgpr5_vgpr6
	s_andn2_saveexec_b64 s[2:3], s[2:3]
	s_cbranch_execz .LBB17_22
.LBB17_1176:
	v_lshlrev_b64 v[5:6], 2, v[5:6]
	v_mov_b32_e32 v12, s80
	v_add_co_u32_e32 v5, vcc, s95, v5
	v_addc_co_u32_e32 v6, vcc, v12, v6, vcc
	global_load_dword v5, v[5:6], off
	s_or_b64 s[8:9], s[8:9], exec
	s_waitcnt vmcnt(0)
	v_xor_b32_e32 v12, 0x80000000, v5
	s_or_b64 exec, exec, s[2:3]
	s_and_saveexec_b64 s[2:3], s[8:9]
	s_cbranch_execnz .LBB17_23
	s_branch .LBB17_24
.LBB17_1177:
	v_cmp_ne_u32_e32 vcc, v0, v2
	s_xor_b64 s[12:13], s[2:3], -1
	s_or_b64 s[14:15], s[12:13], vcc
	s_mov_b64 s[12:13], 0
	s_and_saveexec_b64 s[16:17], s[14:15]
	s_xor_b64 s[14:15], exec, s[16:17]
; %bb.1178:
	v_or_b32_e32 v1, v2, v0
	v_cmp_gt_u32_e32 vcc, 64, v1
	s_and_b64 s[12:13], vcc, exec
                                        ; implicit-def: $vgpr5_vgpr6
; %bb.1179:
	s_or_saveexec_b64 s[14:15], s[14:15]
	v_mov_b32_e32 v1, 0
	s_xor_b64 exec, exec, s[14:15]
	s_cbranch_execz .LBB17_1181
; %bb.1180:
	v_lshlrev_b64 v[5:6], 2, v[5:6]
	v_mov_b32_e32 v1, s80
	v_add_co_u32_e32 v5, vcc, s95, v5
	v_addc_co_u32_e32 v6, vcc, v1, v6, vcc
	global_load_dword v1, v[5:6], off
	s_or_b64 s[12:13], s[12:13], exec
	s_waitcnt vmcnt(0)
	v_div_scale_f32 v5, s[16:17], v1, v1, 1.0
	v_div_scale_f32 v6, vcc, 1.0, v1, 1.0
	v_rcp_f32_e32 v12, v5
	v_fma_f32 v13, -v5, v12, 1.0
	v_fmac_f32_e32 v12, v13, v12
	v_mul_f32_e32 v13, v6, v12
	v_fma_f32 v14, -v5, v13, v6
	v_fmac_f32_e32 v13, v14, v12
	v_fma_f32 v5, -v5, v13, v6
	v_div_fmas_f32 v5, v5, v12, v13
	v_div_fixup_f32 v1, v5, v1, 1.0
.LBB17_1181:
	s_or_b64 exec, exec, s[14:15]
	s_and_b64 s[12:13], s[12:13], exec
                                        ; implicit-def: $vgpr5_vgpr6
	s_andn2_saveexec_b64 s[8:9], s[8:9]
	s_cbranch_execz .LBB17_36
.LBB17_1182:
	v_lshlrev_b64 v[5:6], 2, v[5:6]
	v_mov_b32_e32 v1, s80
	v_add_co_u32_e32 v5, vcc, s95, v5
	v_addc_co_u32_e32 v6, vcc, v1, v6, vcc
	global_load_dword v1, v[5:6], off
	s_or_b64 s[12:13], s[12:13], exec
	s_waitcnt vmcnt(0)
	v_xor_b32_e32 v1, 0x80000000, v1
	s_or_b64 exec, exec, s[8:9]
	s_and_saveexec_b64 s[8:9], s[12:13]
	s_cbranch_execnz .LBB17_37
	s_branch .LBB17_38
.LBB17_1183:
	v_cmp_ne_u32_e32 vcc, v0, v1
	s_xor_b64 s[12:13], s[2:3], -1
	s_or_b64 s[14:15], s[12:13], vcc
	s_mov_b64 s[12:13], 0
	s_and_saveexec_b64 s[16:17], s[14:15]
	s_xor_b64 s[14:15], exec, s[16:17]
; %bb.1184:
	v_or_b32_e32 v5, v1, v0
	v_cmp_gt_u32_e32 vcc, 64, v5
	s_and_b64 s[12:13], vcc, exec
                                        ; implicit-def: $vgpr5_vgpr6
; %bb.1185:
	s_or_saveexec_b64 s[14:15], s[14:15]
	v_mov_b32_e32 v12, 0
	s_xor_b64 exec, exec, s[14:15]
	s_cbranch_execz .LBB17_1187
; %bb.1186:
	v_lshlrev_b64 v[5:6], 2, v[5:6]
	v_mov_b32_e32 v12, s80
	v_add_co_u32_e32 v5, vcc, s95, v5
	v_addc_co_u32_e32 v6, vcc, v12, v6, vcc
	global_load_dword v5, v[5:6], off
	s_or_b64 s[12:13], s[12:13], exec
	s_waitcnt vmcnt(0)
	v_div_scale_f32 v6, s[16:17], v5, v5, 1.0
	v_div_scale_f32 v12, vcc, 1.0, v5, 1.0
	v_rcp_f32_e32 v13, v6
	v_fma_f32 v14, -v6, v13, 1.0
	v_fmac_f32_e32 v13, v14, v13
	v_mul_f32_e32 v14, v12, v13
	v_fma_f32 v15, -v6, v14, v12
	v_fmac_f32_e32 v14, v15, v13
	v_fma_f32 v6, -v6, v14, v12
	v_div_fmas_f32 v6, v6, v13, v14
	v_div_fixup_f32 v12, v6, v5, 1.0
.LBB17_1187:
	s_or_b64 exec, exec, s[14:15]
	s_and_b64 s[12:13], s[12:13], exec
                                        ; implicit-def: $vgpr5_vgpr6
	s_andn2_saveexec_b64 s[8:9], s[8:9]
	s_cbranch_execz .LBB17_40
.LBB17_1188:
	v_lshlrev_b64 v[5:6], 2, v[5:6]
	v_mov_b32_e32 v12, s80
	v_add_co_u32_e32 v5, vcc, s95, v5
	v_addc_co_u32_e32 v6, vcc, v12, v6, vcc
	global_load_dword v5, v[5:6], off
	s_or_b64 s[12:13], s[12:13], exec
	s_waitcnt vmcnt(0)
	v_xor_b32_e32 v12, 0x80000000, v5
	s_or_b64 exec, exec, s[8:9]
	s_and_saveexec_b64 s[8:9], s[12:13]
	s_cbranch_execnz .LBB17_41
	s_branch .LBB17_42
.LBB17_1189:
	v_cmp_ne_u32_e32 vcc, v0, v1
	s_xor_b64 s[12:13], s[2:3], -1
	s_or_b64 s[14:15], s[12:13], vcc
	s_mov_b64 s[12:13], 0
	s_and_saveexec_b64 s[16:17], s[14:15]
	s_xor_b64 s[14:15], exec, s[16:17]
; %bb.1190:
	v_or_b32_e32 v5, v1, v0
	v_cmp_gt_u32_e32 vcc, 64, v5
	s_and_b64 s[12:13], vcc, exec
                                        ; implicit-def: $vgpr5_vgpr6
; %bb.1191:
	s_or_saveexec_b64 s[14:15], s[14:15]
	v_mov_b32_e32 v12, 0
	s_xor_b64 exec, exec, s[14:15]
	s_cbranch_execz .LBB17_1193
; %bb.1192:
	v_lshlrev_b64 v[5:6], 2, v[5:6]
	v_mov_b32_e32 v12, s80
	v_add_co_u32_e32 v5, vcc, s95, v5
	v_addc_co_u32_e32 v6, vcc, v12, v6, vcc
	global_load_dword v5, v[5:6], off
	s_or_b64 s[12:13], s[12:13], exec
	s_waitcnt vmcnt(0)
	v_div_scale_f32 v6, s[16:17], v5, v5, 1.0
	v_div_scale_f32 v12, vcc, 1.0, v5, 1.0
	v_rcp_f32_e32 v13, v6
	v_fma_f32 v14, -v6, v13, 1.0
	v_fmac_f32_e32 v13, v14, v13
	v_mul_f32_e32 v14, v12, v13
	v_fma_f32 v15, -v6, v14, v12
	v_fmac_f32_e32 v14, v15, v13
	v_fma_f32 v6, -v6, v14, v12
	v_div_fmas_f32 v6, v6, v13, v14
	v_div_fixup_f32 v12, v6, v5, 1.0
.LBB17_1193:
	s_or_b64 exec, exec, s[14:15]
	s_and_b64 s[12:13], s[12:13], exec
                                        ; implicit-def: $vgpr5_vgpr6
	s_andn2_saveexec_b64 s[8:9], s[8:9]
	s_cbranch_execz .LBB17_44
.LBB17_1194:
	v_lshlrev_b64 v[5:6], 2, v[5:6]
	v_mov_b32_e32 v12, s80
	v_add_co_u32_e32 v5, vcc, s95, v5
	v_addc_co_u32_e32 v6, vcc, v12, v6, vcc
	global_load_dword v5, v[5:6], off
	s_or_b64 s[12:13], s[12:13], exec
	s_waitcnt vmcnt(0)
	v_xor_b32_e32 v12, 0x80000000, v5
	s_or_b64 exec, exec, s[8:9]
	s_and_saveexec_b64 s[8:9], s[12:13]
	s_cbranch_execnz .LBB17_45
	s_branch .LBB17_46
.LBB17_1195:
	s_or_b64 exec, exec, s[10:11]
	s_and_b64 vcc, exec, s[8:9]
	s_cbranch_vccnz .LBB17_1139
.LBB17_1196:
	v_mov_b32_e32 v12, v4
	s_and_saveexec_b64 s[2:3], s[6:7]
	s_cbranch_execnz .LBB17_1202
	s_branch .LBB17_1203
.LBB17_1197:
	s_mov_b64 s[4:5], 0
.LBB17_1198:
	v_cmp_gt_i32_e32 vcc, s94, v0
	s_and_b64 s[2:3], s[2:3], vcc
	s_andn2_b64 s[4:5], s[4:5], exec
	s_and_b64 s[2:3], s[2:3], exec
	s_or_b64 s[4:5], s[4:5], s[2:3]
.LBB17_1199:
                                        ; implicit-def: $vgpr1_vgpr2
	s_and_saveexec_b64 s[2:3], s[4:5]
	s_cbranch_execz .LBB17_1201
; %bb.1200:
	v_mov_b32_e32 v0, s38
	v_add_co_u32_e32 v1, vcc, s33, v11
	v_addc_co_u32_e32 v0, vcc, 0, v0, vcc
	v_mul_lo_u32 v0, v0, s16
	v_mul_lo_u32 v3, v1, s17
	v_mad_u64_u32 v[1:2], s[4:5], v1, s16, 0
	s_or_b64 s[6:7], s[6:7], exec
	v_add3_u32 v2, v2, v3, v0
.LBB17_1201:
	s_or_b64 exec, exec, s[2:3]
	s_and_saveexec_b64 s[2:3], s[6:7]
	s_cbranch_execz .LBB17_1203
.LBB17_1202:
	v_lshlrev_b64 v[0:1], 2, v[1:2]
	v_mov_b32_e32 v2, s27
	v_add_co_u32_e32 v0, vcc, s26, v0
	v_addc_co_u32_e32 v1, vcc, v2, v1, vcc
	global_store_dword v[0:1], v12, off
.LBB17_1203:
	s_or_b64 exec, exec, s[2:3]
	v_cmp_eq_u32_e32 vcc, 0, v11
	s_waitcnt vmcnt(0)
	buffer_wbinvl1_vol
	s_barrier
	s_and_saveexec_b64 s[2:3], vcc
	s_cbranch_execz .LBB17_1205
; %bb.1204:
	s_lshl_b64 s[4:5], s[28:29], 2
	s_add_u32 s0, s0, s4
	s_addc_u32 s1, s1, s5
	v_mov_b32_e32 v0, 0
	global_load_dword v1, v0, s[0:1]
	s_waitcnt vmcnt(0)
	v_add_u32_e32 v1, 1, v1
	global_store_dword v0, v1, s[0:1]
.LBB17_1205:
	s_or_b64 exec, exec, s[2:3]
	s_waitcnt vmcnt(0)
	buffer_wbinvl1_vol
	s_endpgm
.LBB17_1206:
	ds_read_b32 v16, v15 offset:15840
	ds_read_b32 v17, v14 offset:15604
	s_waitcnt lgkmcnt(0)
	v_fmac_f32_e32 v13, v16, v17
	s_or_b64 exec, exec, s[14:15]
	v_cmp_gt_u32_e64 s[10:11], 8, v5
	s_and_saveexec_b64 s[14:15], s[10:11]
	s_cbranch_execz .LBB17_79
.LBB17_1207:
	ds_read_b32 v15, v15 offset:16096
	ds_read_b32 v14, v14 offset:15608
	s_waitcnt lgkmcnt(0)
	v_fmac_f32_e32 v13, v15, v14
	s_or_b64 exec, exec, s[14:15]
	v_cmp_gt_u32_e64 s[10:11], 4, v5
	s_and_saveexec_b64 s[14:15], s[10:11]
	s_cbranch_execnz .LBB17_80
	s_branch .LBB17_81
.LBB17_1208:
	ds_read_b32 v19, v18 offset:14784
	ds_read_b32 v20, v17 offset:14564
	s_waitcnt lgkmcnt(0)
	v_fmac_f32_e32 v16, v19, v20
	s_or_b64 exec, exec, s[16:17]
	v_cmp_gt_u32_e64 s[14:15], 48, v5
	s_and_saveexec_b64 s[16:17], s[14:15]
	s_cbranch_execz .LBB17_121
.LBB17_1209:
	ds_read_b32 v19, v18 offset:15040
	ds_read_b32 v20, v17 offset:14568
	s_waitcnt lgkmcnt(0)
	v_fmac_f32_e32 v16, v19, v20
	s_or_b64 exec, exec, s[16:17]
	v_cmp_gt_u32_e64 s[14:15], 40, v5
	s_and_saveexec_b64 s[16:17], s[14:15]
	s_cbranch_execz .LBB17_122
.LBB17_1210:
	ds_read_b32 v19, v18 offset:15296
	ds_read_b32 v20, v17 offset:14572
	s_waitcnt lgkmcnt(0)
	v_fmac_f32_e32 v16, v19, v20
	s_or_b64 exec, exec, s[16:17]
	v_cmp_gt_u32_e64 s[14:15], 32, v5
	s_and_saveexec_b64 s[16:17], s[14:15]
	s_cbranch_execz .LBB17_123
.LBB17_1211:
	ds_read_b32 v19, v18 offset:15552
	ds_read_b32 v20, v17 offset:14576
	s_waitcnt lgkmcnt(0)
	v_fmac_f32_e32 v16, v19, v20
	s_or_b64 exec, exec, s[16:17]
	v_cmp_gt_u32_e64 s[14:15], 24, v5
	s_and_saveexec_b64 s[16:17], s[14:15]
	s_cbranch_execz .LBB17_124
.LBB17_1212:
	ds_read_b32 v19, v18 offset:15808
	ds_read_b32 v20, v17 offset:14580
	s_waitcnt lgkmcnt(0)
	v_fmac_f32_e32 v16, v19, v20
	s_or_b64 exec, exec, s[16:17]
	s_and_saveexec_b64 s[14:15], s[18:19]
	s_cbranch_execz .LBB17_125
.LBB17_1213:
	ds_read_b32 v18, v18 offset:16064
	ds_read_b32 v17, v17 offset:14584
	s_waitcnt lgkmcnt(0)
	v_fmac_f32_e32 v16, v18, v17
	s_or_b64 exec, exec, s[14:15]
	v_cmp_gt_u32_e64 s[14:15], 8, v5
	s_and_saveexec_b64 s[16:17], s[14:15]
	s_cbranch_execnz .LBB17_126
	s_branch .LBB17_127
.LBB17_1214:
	ds_read_b32 v19, v18 offset:13760
	ds_read_b32 v20, v17 offset:13524
	s_waitcnt lgkmcnt(0)
	v_fmac_f32_e32 v16, v19, v20
	s_or_b64 exec, exec, s[14:15]
	v_cmp_gt_u32_e64 s[10:11], 8, v5
	s_and_saveexec_b64 s[14:15], s[10:11]
	s_cbranch_execz .LBB17_183
.LBB17_1215:
	ds_read_b32 v18, v18 offset:14016
	ds_read_b32 v17, v17 offset:13528
	s_waitcnt lgkmcnt(0)
	v_fmac_f32_e32 v16, v18, v17
	s_or_b64 exec, exec, s[14:15]
	v_cmp_gt_u32_e64 s[10:11], 4, v5
	s_and_saveexec_b64 s[14:15], s[10:11]
	s_cbranch_execnz .LBB17_184
	s_branch .LBB17_185
.LBB17_1216:
	ds_read_b32 v22, v21 offset:15232
	ds_read_b32 v23, v20 offset:12524
	s_waitcnt lgkmcnt(0)
	v_fmac_f32_e32 v19, v22, v23
	s_or_b64 exec, exec, s[20:21]
	s_and_saveexec_b64 s[16:17], s[8:9]
	s_cbranch_execz .LBB17_245
.LBB17_1217:
	ds_read_b32 v22, v21 offset:15488
	ds_read_b32 v23, v20 offset:12528
	s_waitcnt lgkmcnt(0)
	v_fmac_f32_e32 v19, v22, v23
	s_or_b64 exec, exec, s[16:17]
	v_cmp_gt_u32_e64 s[16:17], 48, v5
	s_and_saveexec_b64 s[20:21], s[16:17]
	s_cbranch_execz .LBB17_246
.LBB17_1218:
	ds_read_b32 v22, v21 offset:15744
	ds_read_b32 v23, v20 offset:12532
	s_waitcnt lgkmcnt(0)
	v_fmac_f32_e32 v19, v22, v23
	s_or_b64 exec, exec, s[20:21]
	v_cmp_gt_u32_e64 s[16:17], 32, v5
	s_and_saveexec_b64 s[20:21], s[16:17]
	s_cbranch_execz .LBB17_247
.LBB17_1219:
	ds_read_b32 v21, v21 offset:16000
	ds_read_b32 v20, v20 offset:12536
	s_waitcnt lgkmcnt(0)
	v_fmac_f32_e32 v19, v21, v20
	s_or_b64 exec, exec, s[20:21]
	v_cmp_gt_u32_e64 s[16:17], 16, v5
	s_and_saveexec_b64 s[20:21], s[16:17]
	s_cbranch_execnz .LBB17_248
	s_branch .LBB17_249
.LBB17_1220:
	ds_read_b32 v22, v21 offset:11680
	ds_read_b32 v23, v20 offset:11444
	s_waitcnt lgkmcnt(0)
	v_fmac_f32_e32 v19, v22, v23
	s_or_b64 exec, exec, s[20:21]
	v_cmp_gt_u32_e64 s[14:15], 8, v5
	s_and_saveexec_b64 s[20:21], s[14:15]
	s_cbranch_execz .LBB17_337
.LBB17_1221:
	ds_read_b32 v21, v21 offset:11936
	ds_read_b32 v20, v20 offset:11448
	s_waitcnt lgkmcnt(0)
	v_fmac_f32_e32 v19, v21, v20
	s_or_b64 exec, exec, s[20:21]
	v_cmp_gt_u32_e64 s[14:15], 4, v5
	s_and_saveexec_b64 s[20:21], s[14:15]
	s_cbranch_execnz .LBB17_338
	s_branch .LBB17_339
.LBB17_1222:
	ds_read_b32 v22, v21 offset:10624
	ds_read_b32 v23, v20 offset:10404
	s_waitcnt lgkmcnt(0)
	v_fmac_f32_e32 v19, v22, v23
	s_or_b64 exec, exec, s[20:21]
	v_cmp_gt_u32_e64 s[14:15], 48, v5
	s_and_saveexec_b64 s[20:21], s[14:15]
	s_cbranch_execz .LBB17_379
.LBB17_1223:
	ds_read_b32 v22, v21 offset:10880
	ds_read_b32 v23, v20 offset:10408
	s_waitcnt lgkmcnt(0)
	v_fmac_f32_e32 v19, v22, v23
	s_or_b64 exec, exec, s[20:21]
	v_cmp_gt_u32_e64 s[14:15], 40, v5
	s_and_saveexec_b64 s[20:21], s[14:15]
	s_cbranch_execz .LBB17_380
.LBB17_1224:
	ds_read_b32 v22, v21 offset:11136
	ds_read_b32 v23, v20 offset:10412
	s_waitcnt lgkmcnt(0)
	v_fmac_f32_e32 v19, v22, v23
	s_or_b64 exec, exec, s[20:21]
	v_cmp_gt_u32_e64 s[14:15], 32, v5
	s_and_saveexec_b64 s[20:21], s[14:15]
	s_cbranch_execz .LBB17_381
.LBB17_1225:
	ds_read_b32 v22, v21 offset:11392
	ds_read_b32 v23, v20 offset:10416
	s_waitcnt lgkmcnt(0)
	v_fmac_f32_e32 v19, v22, v23
	s_or_b64 exec, exec, s[20:21]
	v_cmp_gt_u32_e64 s[14:15], 24, v5
	s_and_saveexec_b64 s[20:21], s[14:15]
	s_cbranch_execz .LBB17_382
.LBB17_1226:
	ds_read_b32 v22, v21 offset:11648
	ds_read_b32 v23, v20 offset:10420
	s_waitcnt lgkmcnt(0)
	v_fmac_f32_e32 v19, v22, v23
	s_or_b64 exec, exec, s[20:21]
	s_and_saveexec_b64 s[14:15], s[18:19]
	s_cbranch_execz .LBB17_383
.LBB17_1227:
	ds_read_b32 v21, v21 offset:11904
	ds_read_b32 v20, v20 offset:10424
	s_waitcnt lgkmcnt(0)
	v_fmac_f32_e32 v19, v21, v20
	s_or_b64 exec, exec, s[14:15]
	v_cmp_gt_u32_e64 s[14:15], 8, v5
	s_and_saveexec_b64 s[20:21], s[14:15]
	s_cbranch_execnz .LBB17_384
	s_branch .LBB17_385
.LBB17_1228:
	ds_read_b32 v22, v21 offset:9600
	ds_read_b32 v23, v20 offset:9364
	s_waitcnt lgkmcnt(0)
	v_fmac_f32_e32 v19, v22, v23
	s_or_b64 exec, exec, s[20:21]
	v_cmp_gt_u32_e64 s[14:15], 8, v5
	s_and_saveexec_b64 s[20:21], s[14:15]
	s_cbranch_execz .LBB17_441
.LBB17_1229:
	ds_read_b32 v21, v21 offset:9856
	ds_read_b32 v20, v20 offset:9368
	s_waitcnt lgkmcnt(0)
	v_fmac_f32_e32 v19, v21, v20
	s_or_b64 exec, exec, s[20:21]
	v_cmp_gt_u32_e64 s[14:15], 4, v5
	s_and_saveexec_b64 s[20:21], s[14:15]
	s_cbranch_execnz .LBB17_442
	s_branch .LBB17_443
.LBB17_1230:
	ds_read_b32 v25, v24 offset:15616
	ds_read_b32 v26, v23 offset:8436
	s_waitcnt lgkmcnt(0)
	v_fmac_f32_e32 v21, v25, v26
	s_or_b64 exec, exec, s[92:93]
	s_and_saveexec_b64 s[20:21], s[8:9]
	s_cbranch_execz .LBB17_539
.LBB17_1231:
	ds_read_b32 v24, v24 offset:15872
	ds_read_b32 v23, v23 offset:8440
	s_waitcnt lgkmcnt(0)
	v_fmac_f32_e32 v21, v24, v23
	s_or_b64 exec, exec, s[20:21]
	v_cmp_gt_u32_e64 s[20:21], 32, v5
	s_and_saveexec_b64 s[92:93], s[20:21]
	s_cbranch_execnz .LBB17_540
	s_branch .LBB17_541
.LBB17_1232:
	ds_read_b32 v22, v21 offset:7520
	ds_read_b32 v23, v20 offset:7284
	s_waitcnt lgkmcnt(0)
	v_fmac_f32_e32 v19, v22, v23
	s_or_b64 exec, exec, s[16:17]
	v_cmp_gt_u32_e64 s[12:13], 8, v5
	s_and_saveexec_b64 s[16:17], s[12:13]
	s_cbranch_execz .LBB17_693
.LBB17_1233:
	ds_read_b32 v21, v21 offset:7776
	ds_read_b32 v20, v20 offset:7288
	s_waitcnt lgkmcnt(0)
	v_fmac_f32_e32 v19, v21, v20
	s_or_b64 exec, exec, s[16:17]
	v_cmp_gt_u32_e64 s[12:13], 4, v5
	s_and_saveexec_b64 s[16:17], s[12:13]
	s_cbranch_execnz .LBB17_694
	s_branch .LBB17_695
.LBB17_1234:
	ds_read_b32 v22, v21 offset:6464
	ds_read_b32 v23, v20 offset:6244
	s_waitcnt lgkmcnt(0)
	v_fmac_f32_e32 v19, v22, v23
	s_or_b64 exec, exec, s[16:17]
	v_cmp_gt_u32_e64 s[12:13], 48, v5
	s_and_saveexec_b64 s[16:17], s[12:13]
	s_cbranch_execz .LBB17_735
.LBB17_1235:
	ds_read_b32 v22, v21 offset:6720
	ds_read_b32 v23, v20 offset:6248
	s_waitcnt lgkmcnt(0)
	v_fmac_f32_e32 v19, v22, v23
	s_or_b64 exec, exec, s[16:17]
	v_cmp_gt_u32_e64 s[12:13], 40, v5
	s_and_saveexec_b64 s[16:17], s[12:13]
	s_cbranch_execz .LBB17_736
.LBB17_1236:
	ds_read_b32 v22, v21 offset:6976
	ds_read_b32 v23, v20 offset:6252
	s_waitcnt lgkmcnt(0)
	v_fmac_f32_e32 v19, v22, v23
	s_or_b64 exec, exec, s[16:17]
	v_cmp_gt_u32_e64 s[12:13], 32, v5
	s_and_saveexec_b64 s[16:17], s[12:13]
	s_cbranch_execz .LBB17_737
.LBB17_1237:
	ds_read_b32 v22, v21 offset:7232
	ds_read_b32 v23, v20 offset:6256
	s_waitcnt lgkmcnt(0)
	v_fmac_f32_e32 v19, v22, v23
	s_or_b64 exec, exec, s[16:17]
	v_cmp_gt_u32_e64 s[12:13], 24, v5
	s_and_saveexec_b64 s[16:17], s[12:13]
	s_cbranch_execz .LBB17_738
.LBB17_1238:
	ds_read_b32 v22, v21 offset:7488
	ds_read_b32 v23, v20 offset:6260
	s_waitcnt lgkmcnt(0)
	v_fmac_f32_e32 v19, v22, v23
	s_or_b64 exec, exec, s[16:17]
	s_and_saveexec_b64 s[12:13], s[18:19]
	s_cbranch_execz .LBB17_739
.LBB17_1239:
	ds_read_b32 v21, v21 offset:7744
	ds_read_b32 v20, v20 offset:6264
	s_waitcnt lgkmcnt(0)
	v_fmac_f32_e32 v19, v21, v20
	s_or_b64 exec, exec, s[12:13]
	v_cmp_gt_u32_e64 s[12:13], 8, v5
	s_and_saveexec_b64 s[16:17], s[12:13]
	s_cbranch_execnz .LBB17_740
	s_branch .LBB17_741
.LBB17_1240:
	ds_read_b32 v22, v21 offset:5440
	ds_read_b32 v23, v20 offset:5204
	s_waitcnt lgkmcnt(0)
	v_fmac_f32_e32 v19, v22, v23
	s_or_b64 exec, exec, s[16:17]
	v_cmp_gt_u32_e64 s[12:13], 8, v5
	s_and_saveexec_b64 s[16:17], s[12:13]
	s_cbranch_execz .LBB17_797
.LBB17_1241:
	ds_read_b32 v21, v21 offset:5696
	ds_read_b32 v20, v20 offset:5208
	s_waitcnt lgkmcnt(0)
	v_fmac_f32_e32 v19, v21, v20
	s_or_b64 exec, exec, s[16:17]
	v_cmp_gt_u32_e64 s[12:13], 4, v5
	s_and_saveexec_b64 s[16:17], s[12:13]
	s_cbranch_execnz .LBB17_798
	s_branch .LBB17_799
.LBB17_1242:
	ds_read_b32 v22, v21 offset:6912
	ds_read_b32 v23, v20 offset:4204
	s_waitcnt lgkmcnt(0)
	v_fmac_f32_e32 v19, v22, v23
	s_or_b64 exec, exec, s[16:17]
	s_and_saveexec_b64 s[12:13], s[8:9]
	s_cbranch_execz .LBB17_859
.LBB17_1243:
	ds_read_b32 v22, v21 offset:7168
	ds_read_b32 v23, v20 offset:4208
	s_waitcnt lgkmcnt(0)
	v_fmac_f32_e32 v19, v22, v23
	s_or_b64 exec, exec, s[12:13]
	v_cmp_gt_u32_e64 s[12:13], 48, v5
	s_and_saveexec_b64 s[16:17], s[12:13]
	s_cbranch_execz .LBB17_860
.LBB17_1244:
	ds_read_b32 v22, v21 offset:7424
	ds_read_b32 v23, v20 offset:4212
	s_waitcnt lgkmcnt(0)
	v_fmac_f32_e32 v19, v22, v23
	s_or_b64 exec, exec, s[16:17]
	v_cmp_gt_u32_e64 s[12:13], 32, v5
	s_and_saveexec_b64 s[16:17], s[12:13]
	s_cbranch_execz .LBB17_861
.LBB17_1245:
	ds_read_b32 v21, v21 offset:7680
	ds_read_b32 v20, v20 offset:4216
	s_waitcnt lgkmcnt(0)
	v_fmac_f32_e32 v19, v21, v20
	s_or_b64 exec, exec, s[16:17]
	v_cmp_gt_u32_e64 s[12:13], 16, v5
	s_and_saveexec_b64 s[16:17], s[12:13]
	s_cbranch_execnz .LBB17_862
	s_branch .LBB17_863
.LBB17_1246:
	ds_read_b32 v19, v18 offset:3360
	ds_read_b32 v20, v17 offset:3124
	s_waitcnt lgkmcnt(0)
	v_fmac_f32_e32 v16, v19, v20
	s_or_b64 exec, exec, s[12:13]
	v_cmp_gt_u32_e64 s[10:11], 8, v5
	s_and_saveexec_b64 s[12:13], s[10:11]
	s_cbranch_execz .LBB17_951
.LBB17_1247:
	ds_read_b32 v18, v18 offset:3616
	ds_read_b32 v17, v17 offset:3128
	s_waitcnt lgkmcnt(0)
	v_fmac_f32_e32 v16, v18, v17
	s_or_b64 exec, exec, s[12:13]
	v_cmp_gt_u32_e64 s[10:11], 4, v5
	s_and_saveexec_b64 s[12:13], s[10:11]
	s_cbranch_execnz .LBB17_952
	s_branch .LBB17_953
.LBB17_1248:
	ds_read_b32 v19, v18 offset:2304
	ds_read_b32 v20, v17 offset:2084
	s_waitcnt lgkmcnt(0)
	v_fmac_f32_e32 v16, v19, v20
	s_or_b64 exec, exec, s[12:13]
	v_cmp_gt_u32_e64 s[10:11], 48, v5
	s_and_saveexec_b64 s[12:13], s[10:11]
	s_cbranch_execz .LBB17_993
.LBB17_1249:
	ds_read_b32 v19, v18 offset:2560
	ds_read_b32 v20, v17 offset:2088
	s_waitcnt lgkmcnt(0)
	v_fmac_f32_e32 v16, v19, v20
	s_or_b64 exec, exec, s[12:13]
	v_cmp_gt_u32_e64 s[10:11], 40, v5
	s_and_saveexec_b64 s[12:13], s[10:11]
	s_cbranch_execz .LBB17_994
.LBB17_1250:
	ds_read_b32 v19, v18 offset:2816
	ds_read_b32 v20, v17 offset:2092
	s_waitcnt lgkmcnt(0)
	v_fmac_f32_e32 v16, v19, v20
	s_or_b64 exec, exec, s[12:13]
	v_cmp_gt_u32_e64 s[10:11], 32, v5
	s_and_saveexec_b64 s[12:13], s[10:11]
	s_cbranch_execz .LBB17_995
.LBB17_1251:
	ds_read_b32 v19, v18 offset:3072
	ds_read_b32 v20, v17 offset:2096
	s_waitcnt lgkmcnt(0)
	v_fmac_f32_e32 v16, v19, v20
	s_or_b64 exec, exec, s[12:13]
	v_cmp_gt_u32_e64 s[10:11], 24, v5
	s_and_saveexec_b64 s[12:13], s[10:11]
	s_cbranch_execz .LBB17_996
.LBB17_1252:
	ds_read_b32 v19, v18 offset:3328
	ds_read_b32 v20, v17 offset:2100
	s_waitcnt lgkmcnt(0)
	v_fmac_f32_e32 v16, v19, v20
	s_or_b64 exec, exec, s[12:13]
	s_and_saveexec_b64 s[10:11], s[18:19]
	s_cbranch_execz .LBB17_997
.LBB17_1253:
	ds_read_b32 v18, v18 offset:3584
	ds_read_b32 v17, v17 offset:2104
	s_waitcnt lgkmcnt(0)
	v_fmac_f32_e32 v16, v18, v17
	s_or_b64 exec, exec, s[10:11]
	v_cmp_gt_u32_e64 s[10:11], 8, v5
	s_and_saveexec_b64 s[12:13], s[10:11]
	s_cbranch_execnz .LBB17_998
	s_branch .LBB17_999
.LBB17_1254:
	ds_read_b32 v16, v15 offset:1280
	ds_read_b32 v17, v14 offset:1044
	s_waitcnt lgkmcnt(0)
	v_fmac_f32_e32 v13, v16, v17
	s_or_b64 exec, exec, s[10:11]
	v_cmp_gt_u32_e64 s[8:9], 8, v5
	s_and_saveexec_b64 s[10:11], s[8:9]
	s_cbranch_execz .LBB17_1055
.LBB17_1255:
	ds_read_b32 v15, v15 offset:1536
	ds_read_b32 v14, v14 offset:1048
	s_waitcnt lgkmcnt(0)
	v_fmac_f32_e32 v13, v15, v14
	s_or_b64 exec, exec, s[10:11]
	v_cmp_gt_u32_e64 s[8:9], 4, v5
	s_and_saveexec_b64 s[10:11], s[8:9]
	s_cbranch_execnz .LBB17_1056
	s_branch .LBB17_1057
	.section	.rodata,"a",@progbits
	.p2align	6, 0x0
	.amdhsa_kernel _ZL19rocblas_trsv_deviceILi64ELi16ELb0ELb1ELb0ELb0EffPKfPfEviT7_lllT6_T8_lllPii
		.amdhsa_group_segment_fixed_size 20740
		.amdhsa_private_segment_fixed_size 0
		.amdhsa_kernarg_size 352
		.amdhsa_user_sgpr_count 6
		.amdhsa_user_sgpr_private_segment_buffer 1
		.amdhsa_user_sgpr_dispatch_ptr 0
		.amdhsa_user_sgpr_queue_ptr 0
		.amdhsa_user_sgpr_kernarg_segment_ptr 1
		.amdhsa_user_sgpr_dispatch_id 0
		.amdhsa_user_sgpr_flat_scratch_init 0
		.amdhsa_user_sgpr_private_segment_size 0
		.amdhsa_uses_dynamic_stack 0
		.amdhsa_system_sgpr_private_segment_wavefront_offset 0
		.amdhsa_system_sgpr_workgroup_id_x 1
		.amdhsa_system_sgpr_workgroup_id_y 0
		.amdhsa_system_sgpr_workgroup_id_z 1
		.amdhsa_system_sgpr_workgroup_info 0
		.amdhsa_system_vgpr_workitem_id 1
		.amdhsa_next_free_vgpr 29
		.amdhsa_next_free_sgpr 96
		.amdhsa_reserve_vcc 1
		.amdhsa_reserve_flat_scratch 0
		.amdhsa_float_round_mode_32 0
		.amdhsa_float_round_mode_16_64 0
		.amdhsa_float_denorm_mode_32 3
		.amdhsa_float_denorm_mode_16_64 3
		.amdhsa_dx10_clamp 1
		.amdhsa_ieee_mode 1
		.amdhsa_fp16_overflow 0
		.amdhsa_exception_fp_ieee_invalid_op 0
		.amdhsa_exception_fp_denorm_src 0
		.amdhsa_exception_fp_ieee_div_zero 0
		.amdhsa_exception_fp_ieee_overflow 0
		.amdhsa_exception_fp_ieee_underflow 0
		.amdhsa_exception_fp_ieee_inexact 0
		.amdhsa_exception_int_div_zero 0
	.end_amdhsa_kernel
	.section	.text._ZL19rocblas_trsv_deviceILi64ELi16ELb0ELb1ELb0ELb0EffPKfPfEviT7_lllT6_T8_lllPii,"axG",@progbits,_ZL19rocblas_trsv_deviceILi64ELi16ELb0ELb1ELb0ELb0EffPKfPfEviT7_lllT6_T8_lllPii,comdat
.Lfunc_end17:
	.size	_ZL19rocblas_trsv_deviceILi64ELi16ELb0ELb1ELb0ELb0EffPKfPfEviT7_lllT6_T8_lllPii, .Lfunc_end17-_ZL19rocblas_trsv_deviceILi64ELi16ELb0ELb1ELb0ELb0EffPKfPfEviT7_lllT6_T8_lllPii
                                        ; -- End function
	.set _ZL19rocblas_trsv_deviceILi64ELi16ELb0ELb1ELb0ELb0EffPKfPfEviT7_lllT6_T8_lllPii.num_vgpr, 28
	.set _ZL19rocblas_trsv_deviceILi64ELi16ELb0ELb1ELb0ELb0EffPKfPfEviT7_lllT6_T8_lllPii.num_agpr, 0
	.set _ZL19rocblas_trsv_deviceILi64ELi16ELb0ELb1ELb0ELb0EffPKfPfEviT7_lllT6_T8_lllPii.numbered_sgpr, 96
	.set _ZL19rocblas_trsv_deviceILi64ELi16ELb0ELb1ELb0ELb0EffPKfPfEviT7_lllT6_T8_lllPii.num_named_barrier, 0
	.set _ZL19rocblas_trsv_deviceILi64ELi16ELb0ELb1ELb0ELb0EffPKfPfEviT7_lllT6_T8_lllPii.private_seg_size, 0
	.set _ZL19rocblas_trsv_deviceILi64ELi16ELb0ELb1ELb0ELb0EffPKfPfEviT7_lllT6_T8_lllPii.uses_vcc, 1
	.set _ZL19rocblas_trsv_deviceILi64ELi16ELb0ELb1ELb0ELb0EffPKfPfEviT7_lllT6_T8_lllPii.uses_flat_scratch, 0
	.set _ZL19rocblas_trsv_deviceILi64ELi16ELb0ELb1ELb0ELb0EffPKfPfEviT7_lllT6_T8_lllPii.has_dyn_sized_stack, 0
	.set _ZL19rocblas_trsv_deviceILi64ELi16ELb0ELb1ELb0ELb0EffPKfPfEviT7_lllT6_T8_lllPii.has_recursion, 0
	.set _ZL19rocblas_trsv_deviceILi64ELi16ELb0ELb1ELb0ELb0EffPKfPfEviT7_lllT6_T8_lllPii.has_indirect_call, 0
	.section	.AMDGPU.csdata,"",@progbits
; Kernel info:
; codeLenInByte = 40520
; TotalNumSgprs: 100
; NumVgprs: 28
; ScratchSize: 0
; MemoryBound: 0
; FloatMode: 240
; IeeeMode: 1
; LDSByteSize: 20740 bytes/workgroup (compile time only)
; SGPRBlocks: 12
; VGPRBlocks: 7
; NumSGPRsForWavesPerEU: 100
; NumVGPRsForWavesPerEU: 29
; Occupancy: 8
; WaveLimiterHint : 0
; COMPUTE_PGM_RSRC2:SCRATCH_EN: 0
; COMPUTE_PGM_RSRC2:USER_SGPR: 6
; COMPUTE_PGM_RSRC2:TRAP_HANDLER: 0
; COMPUTE_PGM_RSRC2:TGID_X_EN: 1
; COMPUTE_PGM_RSRC2:TGID_Y_EN: 0
; COMPUTE_PGM_RSRC2:TGID_Z_EN: 1
; COMPUTE_PGM_RSRC2:TIDIG_COMP_CNT: 1
	.section	.text._ZL19rocblas_trsv_deviceILi64ELi16ELb0ELb1ELb1ELb0EffPKfPfEviT7_lllT6_T8_lllPii,"axG",@progbits,_ZL19rocblas_trsv_deviceILi64ELi16ELb0ELb1ELb1ELb0EffPKfPfEviT7_lllT6_T8_lllPii,comdat
	.globl	_ZL19rocblas_trsv_deviceILi64ELi16ELb0ELb1ELb1ELb0EffPKfPfEviT7_lllT6_T8_lllPii ; -- Begin function _ZL19rocblas_trsv_deviceILi64ELi16ELb0ELb1ELb1ELb0EffPKfPfEviT7_lllT6_T8_lllPii
	.p2align	8
	.type	_ZL19rocblas_trsv_deviceILi64ELi16ELb0ELb1ELb1ELb0EffPKfPfEviT7_lllT6_T8_lllPii,@function
_ZL19rocblas_trsv_deviceILi64ELi16ELb0ELb1ELb1ELb0EffPKfPfEviT7_lllT6_T8_lllPii: ; @_ZL19rocblas_trsv_deviceILi64ELi16ELb0ELb1ELb1ELb0EffPKfPfEviT7_lllT6_T8_lllPii
; %bb.0:
	s_mov_b32 s28, s7
	s_load_dwordx8 s[20:27], s[4:5], 0x8
	s_load_dword s7, s[4:5], 0x0
	s_load_dword s81, s[4:5], 0x6c
	v_mov_b32_e32 v2, v1
	s_mov_b32 s29, 0
	s_waitcnt lgkmcnt(0)
	s_mul_i32 s0, s27, s28
	s_mul_hi_u32 s1, s26, s28
	s_add_i32 s1, s1, s0
	s_mul_i32 s0, s26, s28
	s_lshl_b64 s[0:1], s[0:1], 2
	s_add_u32 s2, s20, s0
	s_addc_u32 s3, s21, s1
	s_lshl_b64 s[0:1], s[22:23], 2
	s_add_u32 s95, s2, s0
	s_addc_u32 s80, s3, s1
	s_cmp_eq_u32 s6, 0
	s_cbranch_scc1 .LBB18_10
; %bb.1:
	s_lshl_b32 s33, s6, 6
	v_add_u32_e32 v1, s33, v0
	v_ashrrev_i32_e32 v3, 31, v1
	v_mul_lo_u32 v7, s24, v3
	v_mul_lo_u32 v8, s25, v1
	v_mad_u64_u32 v[5:6], s[0:1], s24, v1, 0
	v_add_u32_e32 v3, s33, v2
	v_subrev_u32_e32 v3, 64, v3
	v_add3_u32 v6, v6, v7, v8
	v_lshlrev_b64 v[5:6], 2, v[5:6]
	v_ashrrev_i32_e32 v4, 31, v3
	v_cmp_gt_i32_e32 vcc, s7, v1
	v_mov_b32_e32 v1, s80
	v_add_co_u32_e64 v7, s[0:1], s95, v5
	v_lshlrev_b64 v[4:5], 2, v[3:4]
	v_addc_co_u32_e64 v1, s[0:1], v1, v6, s[0:1]
	v_add_co_u32_e64 v4, s[0:1], v7, v4
	v_addc_co_u32_e64 v5, s[0:1], v1, v5, s[0:1]
	v_cmp_gt_i32_e64 s[0:1], s7, v3
	s_and_b64 s[2:3], s[0:1], vcc
	v_mov_b32_e32 v7, 0
	v_mov_b32_e32 v8, 0
	s_barrier
	s_and_saveexec_b64 s[0:1], s[2:3]
	s_cbranch_execz .LBB18_3
; %bb.2:
	global_load_dword v8, v[4:5], off
.LBB18_3:
	s_or_b64 exec, exec, s[0:1]
	v_add_u32_e32 v1, 16, v3
	v_cmp_gt_i32_e64 s[0:1], s7, v1
	s_and_b64 s[2:3], s[0:1], vcc
	s_waitcnt vmcnt(0)
	s_barrier
	s_and_saveexec_b64 s[0:1], s[2:3]
	s_cbranch_execz .LBB18_5
; %bb.4:
	global_load_dword v7, v[4:5], off offset:64
.LBB18_5:
	s_or_b64 exec, exec, s[0:1]
	v_add_u32_e32 v1, 32, v3
	v_cmp_gt_i32_e64 s[0:1], s7, v1
	s_and_b64 s[2:3], s[0:1], vcc
	v_mov_b32_e32 v9, 0
	v_mov_b32_e32 v10, 0
	s_waitcnt vmcnt(0)
	s_barrier
	s_and_saveexec_b64 s[0:1], s[2:3]
	s_cbranch_execz .LBB18_7
; %bb.6:
	global_load_dword v10, v[4:5], off offset:128
.LBB18_7:
	s_or_b64 exec, exec, s[0:1]
	v_add_u32_e32 v1, 48, v3
	v_cmp_gt_i32_e64 s[0:1], s7, v1
	s_and_b64 s[2:3], s[0:1], vcc
	s_waitcnt vmcnt(0)
	s_barrier
	s_and_saveexec_b64 s[0:1], s[2:3]
	s_cbranch_execz .LBB18_9
; %bb.8:
	global_load_dword v9, v[4:5], off offset:192
.LBB18_9:
	s_or_b64 exec, exec, s[0:1]
	s_branch .LBB18_11
.LBB18_10:
                                        ; implicit-def: $vgpr9
                                        ; implicit-def: $vgpr10
                                        ; implicit-def: $vgpr7
                                        ; implicit-def: $vgpr8
	s_mov_b32 s33, s29
.LBB18_11:
	s_ashr_i32 s0, s7, 31
	s_lshr_b32 s0, s0, 26
	s_add_i32 s0, s7, s0
	s_andn2_b32 s0, s0, 63
	s_sub_i32 s94, s7, s0
	s_add_i32 s0, s7, -1
	s_ashr_i32 s1, s0, 31
	s_lshr_b32 s1, s1, 26
	s_add_i32 s0, s0, s1
	s_ashr_i32 s0, s0, 6
	s_cmp_eq_u32 s0, s6
	s_cselect_b64 s[0:1], -1, 0
	s_cmp_lg_u32 s94, 0
	s_cselect_b64 s[2:3], -1, 0
	s_and_b64 s[22:23], s[2:3], s[0:1]
	s_cmp_lt_i32 s6, 5
	s_cselect_b64 s[2:3], -1, 0
	s_or_b64 s[0:1], s[2:3], s[22:23]
	s_ashr_i32 s38, s33, 31
	s_add_u32 s10, s24, 1
	v_mov_b32_e32 v1, 0
	v_mov_b32_e32 v3, s33
	v_mad_u64_u32 v[3:4], s[8:9], s10, v3, v[0:1]
	s_addc_u32 s11, s25, 0
	s_mul_i32 s8, s10, s38
	s_mul_i32 s11, s11, s33
	s_add_i32 s8, s8, s11
	s_mov_b64 s[12:13], -1
	v_lshlrev_b32_e32 v11, 6, v0
	v_add_u32_e32 v4, s8, v4
	s_and_b64 vcc, exec, s[22:23]
	v_cmp_le_u32_e64 s[8:9], v2, v0
	s_cbranch_vccnz .LBB18_33
; %bb.12:
	v_mad_u64_u32 v[5:6], s[10:11], s24, v2, v[3:4]
	v_mov_b32_e32 v1, v6
	v_mad_u64_u32 v[12:13], s[10:11], s25, v2, v[1:2]
	s_mov_b64 s[10:11], 0
                                        ; implicit-def: $vgpr1
	v_mov_b32_e32 v6, v12
	s_and_saveexec_b64 s[12:13], s[8:9]
	s_xor_b64 s[8:9], exec, s[12:13]
	s_cbranch_execnz .LBB18_1159
; %bb.13:
	s_andn2_saveexec_b64 s[8:9], s[8:9]
	s_cbranch_execnz .LBB18_1164
.LBB18_14:
	s_or_b64 exec, exec, s[8:9]
	s_and_saveexec_b64 s[8:9], s[10:11]
.LBB18_15:
	v_add_u32_e32 v5, v2, v11
	v_lshl_add_u32 v6, v2, 6, v0
	v_cndmask_b32_e64 v5, v6, v5, s[2:3]
	v_lshlrev_b32_e32 v5, 2, v5
	ds_write_b32 v5, v1
.LBB18_16:
	s_or_b64 exec, exec, s[8:9]
	v_add_u32_e32 v1, 16, v2
	v_mad_u64_u32 v[5:6], s[2:3], s24, v1, v[3:4]
	v_cmp_le_u32_e32 vcc, v1, v0
	s_mov_b64 s[8:9], 0
	v_mad_u64_u32 v[12:13], s[2:3], s25, v1, v[6:7]
	v_mov_b32_e32 v6, v12
                                        ; implicit-def: $vgpr12
	s_and_saveexec_b64 s[2:3], vcc
	s_xor_b64 s[2:3], exec, s[2:3]
	s_cbranch_execnz .LBB18_1165
; %bb.17:
	s_andn2_saveexec_b64 s[2:3], s[2:3]
	s_cbranch_execnz .LBB18_1170
.LBB18_18:
	s_or_b64 exec, exec, s[2:3]
	s_and_saveexec_b64 s[2:3], s[8:9]
.LBB18_19:
	v_add_u32_e32 v5, v1, v11
	v_lshl_add_u32 v1, v1, 6, v0
	v_cndmask_b32_e64 v1, v1, v5, s[0:1]
	v_lshlrev_b32_e32 v1, 2, v1
	ds_write_b32 v1, v12
.LBB18_20:
	s_or_b64 exec, exec, s[2:3]
	v_add_u32_e32 v1, 32, v2
	v_mad_u64_u32 v[5:6], s[2:3], s24, v1, v[3:4]
	v_cmp_le_u32_e32 vcc, v1, v0
	s_mov_b64 s[8:9], 0
	v_mad_u64_u32 v[12:13], s[2:3], s25, v1, v[6:7]
	v_mov_b32_e32 v6, v12
                                        ; implicit-def: $vgpr12
	s_and_saveexec_b64 s[2:3], vcc
	s_xor_b64 s[2:3], exec, s[2:3]
	s_cbranch_execnz .LBB18_1171
; %bb.21:
	s_andn2_saveexec_b64 s[2:3], s[2:3]
	s_cbranch_execnz .LBB18_1176
.LBB18_22:
	s_or_b64 exec, exec, s[2:3]
	s_and_saveexec_b64 s[2:3], s[8:9]
.LBB18_23:
	v_add_u32_e32 v5, v1, v11
	v_lshl_add_u32 v1, v1, 6, v0
	v_cndmask_b32_e64 v1, v1, v5, s[0:1]
	v_lshlrev_b32_e32 v1, 2, v1
	ds_write_b32 v1, v12
.LBB18_24:
	s_or_b64 exec, exec, s[2:3]
	v_add_u32_e32 v12, 48, v2
	v_mad_u64_u32 v[5:6], s[2:3], s24, v12, v[3:4]
	v_cmp_le_u32_e32 vcc, v12, v0
	s_mov_b64 s[10:11], 0
	v_mov_b32_e32 v1, v6
	v_mad_u64_u32 v[13:14], s[2:3], s25, v12, v[1:2]
                                        ; implicit-def: $vgpr1
	v_mov_b32_e32 v6, v13
	s_and_saveexec_b64 s[2:3], vcc
	s_xor_b64 s[2:3], exec, s[2:3]
	s_cbranch_execz .LBB18_30
; %bb.25:
	v_cmp_ne_u32_e32 vcc, v0, v12
	s_mov_b64 s[8:9], 0
	s_and_saveexec_b64 s[10:11], vcc
	s_xor_b64 s[10:11], exec, s[10:11]
; %bb.26:
	v_or_b32_e32 v1, v12, v0
	v_cmp_gt_u32_e32 vcc, 64, v1
	s_and_b64 s[8:9], vcc, exec
                                        ; implicit-def: $vgpr5_vgpr6
; %bb.27:
	s_or_saveexec_b64 s[10:11], s[10:11]
	v_mov_b32_e32 v1, 0
	s_xor_b64 exec, exec, s[10:11]
	s_cbranch_execz .LBB18_29
; %bb.28:
	v_lshlrev_b64 v[5:6], 2, v[5:6]
	v_mov_b32_e32 v1, s80
	v_add_co_u32_e32 v5, vcc, s95, v5
	v_addc_co_u32_e32 v6, vcc, v1, v6, vcc
	global_load_dword v1, v[5:6], off
	s_or_b64 s[8:9], s[8:9], exec
	s_waitcnt vmcnt(0)
	v_div_scale_f32 v5, s[12:13], v1, v1, 1.0
	v_div_scale_f32 v6, vcc, 1.0, v1, 1.0
	v_rcp_f32_e32 v13, v5
	v_fma_f32 v14, -v5, v13, 1.0
	v_fmac_f32_e32 v13, v14, v13
	v_mul_f32_e32 v14, v6, v13
	v_fma_f32 v15, -v5, v14, v6
	v_fmac_f32_e32 v14, v15, v13
	v_fma_f32 v5, -v5, v14, v6
	v_div_fmas_f32 v5, v5, v13, v14
	v_div_fixup_f32 v1, v5, v1, 1.0
.LBB18_29:
	s_or_b64 exec, exec, s[10:11]
	s_and_b64 s[10:11], s[8:9], exec
                                        ; implicit-def: $vgpr5_vgpr6
.LBB18_30:
	s_or_saveexec_b64 s[2:3], s[2:3]
	v_add_u32_e32 v13, v12, v11
	v_lshl_add_u32 v12, v12, 6, v0
	s_xor_b64 exec, exec, s[2:3]
	s_cbranch_execz .LBB18_32
; %bb.31:
	v_lshlrev_b64 v[5:6], 2, v[5:6]
	v_mov_b32_e32 v1, s80
	v_add_co_u32_e32 v5, vcc, s95, v5
	v_addc_co_u32_e32 v6, vcc, v1, v6, vcc
	global_load_dword v1, v[5:6], off
	s_or_b64 s[10:11], s[10:11], exec
	s_waitcnt vmcnt(0)
	v_xor_b32_e32 v1, 0x80000000, v1
.LBB18_32:
	s_or_b64 exec, exec, s[2:3]
	v_cndmask_b32_e64 v5, v12, v13, s[0:1]
	s_branch .LBB18_55
.LBB18_33:
	s_mov_b64 s[10:11], 0
                                        ; implicit-def: $vgpr1
                                        ; implicit-def: $vgpr5
	s_and_b64 vcc, exec, s[12:13]
	s_cbranch_vccz .LBB18_55
; %bb.34:
	v_mad_u64_u32 v[5:6], s[2:3], s24, v2, v[3:4]
	v_cmp_le_u32_e32 vcc, v2, v0
	v_cmp_gt_i32_e64 s[2:3], s94, v0
	v_mov_b32_e32 v1, v6
	v_mad_u64_u32 v[12:13], s[8:9], s25, v2, v[1:2]
	v_max_i32_e32 v1, v2, v0
	v_cmp_le_i32_e64 s[8:9], s94, v1
	v_mov_b32_e32 v6, v12
	s_or_b64 s[8:9], s[8:9], vcc
	s_mov_b64 s[12:13], 0
                                        ; implicit-def: $vgpr1
	s_and_saveexec_b64 s[14:15], s[8:9]
	s_xor_b64 s[8:9], exec, s[14:15]
	s_cbranch_execnz .LBB18_1177
; %bb.35:
	s_andn2_saveexec_b64 s[8:9], s[8:9]
	s_cbranch_execnz .LBB18_1182
.LBB18_36:
	s_or_b64 exec, exec, s[8:9]
	s_and_saveexec_b64 s[8:9], s[12:13]
.LBB18_37:
	v_lshlrev_b32_e32 v5, 2, v11
	v_lshl_add_u32 v5, v2, 2, v5
	ds_write_b32 v5, v1
.LBB18_38:
	s_or_b64 exec, exec, s[8:9]
	v_add_u32_e32 v1, 16, v2
	v_mad_u64_u32 v[5:6], s[8:9], s24, v1, v[3:4]
	v_cmp_gt_u32_e32 vcc, v1, v0
	s_mov_b64 s[12:13], 0
	v_mad_u64_u32 v[12:13], s[8:9], s25, v1, v[6:7]
	v_cmp_gt_i32_e64 s[8:9], s94, v1
	s_and_b64 s[8:9], vcc, s[8:9]
	s_and_b64 s[8:9], s[2:3], s[8:9]
	v_mov_b32_e32 v6, v12
	s_xor_b64 s[8:9], s[8:9], -1
                                        ; implicit-def: $vgpr12
	s_and_saveexec_b64 s[14:15], s[8:9]
	s_xor_b64 s[8:9], exec, s[14:15]
	s_cbranch_execnz .LBB18_1183
; %bb.39:
	s_andn2_saveexec_b64 s[8:9], s[8:9]
	s_cbranch_execnz .LBB18_1188
.LBB18_40:
	s_or_b64 exec, exec, s[8:9]
	s_and_saveexec_b64 s[8:9], s[12:13]
.LBB18_41:
	v_add_u32_e32 v5, v1, v11
	v_lshl_add_u32 v1, v1, 6, v0
	v_cndmask_b32_e64 v1, v1, v5, s[0:1]
	v_lshlrev_b32_e32 v1, 2, v1
	ds_write_b32 v1, v12
.LBB18_42:
	s_or_b64 exec, exec, s[8:9]
	v_add_u32_e32 v1, 32, v2
	v_mad_u64_u32 v[5:6], s[8:9], s24, v1, v[3:4]
	v_cmp_gt_u32_e32 vcc, v1, v0
	s_mov_b64 s[12:13], 0
	v_mad_u64_u32 v[12:13], s[8:9], s25, v1, v[6:7]
	v_cmp_gt_i32_e64 s[8:9], s94, v1
	s_and_b64 s[8:9], vcc, s[8:9]
	s_and_b64 s[8:9], s[2:3], s[8:9]
	v_mov_b32_e32 v6, v12
	s_xor_b64 s[8:9], s[8:9], -1
                                        ; implicit-def: $vgpr12
	s_and_saveexec_b64 s[14:15], s[8:9]
	s_xor_b64 s[8:9], exec, s[14:15]
	s_cbranch_execnz .LBB18_1189
; %bb.43:
	s_andn2_saveexec_b64 s[8:9], s[8:9]
	s_cbranch_execnz .LBB18_1194
.LBB18_44:
	s_or_b64 exec, exec, s[8:9]
	s_and_saveexec_b64 s[8:9], s[12:13]
.LBB18_45:
	v_add_u32_e32 v5, v1, v11
	v_lshl_add_u32 v1, v1, 6, v0
	v_cndmask_b32_e64 v1, v1, v5, s[0:1]
	v_lshlrev_b32_e32 v1, 2, v1
	ds_write_b32 v1, v12
.LBB18_46:
	s_or_b64 exec, exec, s[8:9]
	v_add_u32_e32 v5, 48, v2
	v_mad_u64_u32 v[3:4], s[8:9], s24, v5, v[3:4]
	v_cmp_gt_u32_e32 vcc, v5, v0
	v_mov_b32_e32 v1, v4
	v_mad_u64_u32 v[12:13], s[8:9], s25, v5, v[1:2]
	v_cmp_gt_i32_e64 s[8:9], s94, v5
	s_and_b64 s[8:9], vcc, s[8:9]
	s_and_b64 s[8:9], s[2:3], s[8:9]
	v_mov_b32_e32 v4, v12
	s_xor_b64 s[8:9], s[8:9], -1
                                        ; implicit-def: $vgpr1
	s_and_saveexec_b64 s[12:13], s[8:9]
	s_xor_b64 s[8:9], exec, s[12:13]
	s_cbranch_execz .LBB18_52
; %bb.47:
	v_cmp_ne_u32_e32 vcc, v0, v5
	s_xor_b64 s[2:3], s[2:3], -1
	s_or_b64 s[12:13], s[2:3], vcc
	s_mov_b64 s[2:3], s[10:11]
	s_and_saveexec_b64 s[14:15], s[12:13]
	s_xor_b64 s[12:13], exec, s[14:15]
; %bb.48:
	v_or_b32_e32 v1, v5, v0
	v_cmp_gt_u32_e32 vcc, 64, v1
	s_andn2_b64 s[2:3], s[10:11], exec
	s_and_b64 s[14:15], vcc, exec
	s_or_b64 s[2:3], s[2:3], s[14:15]
                                        ; implicit-def: $vgpr3_vgpr4
; %bb.49:
	s_or_saveexec_b64 s[12:13], s[12:13]
	v_mov_b32_e32 v1, 0
	s_xor_b64 exec, exec, s[12:13]
	s_cbranch_execz .LBB18_51
; %bb.50:
	v_lshlrev_b64 v[3:4], 2, v[3:4]
	v_mov_b32_e32 v1, s80
	v_add_co_u32_e32 v3, vcc, s95, v3
	v_addc_co_u32_e32 v4, vcc, v1, v4, vcc
	global_load_dword v1, v[3:4], off
	s_or_b64 s[2:3], s[2:3], exec
	s_waitcnt vmcnt(0)
	v_div_scale_f32 v3, s[14:15], v1, v1, 1.0
	v_div_scale_f32 v4, vcc, 1.0, v1, 1.0
	v_rcp_f32_e32 v6, v3
	v_fma_f32 v12, -v3, v6, 1.0
	v_fmac_f32_e32 v6, v12, v6
	v_mul_f32_e32 v12, v4, v6
	v_fma_f32 v13, -v3, v12, v4
	v_fmac_f32_e32 v12, v13, v6
	v_fma_f32 v3, -v3, v12, v4
	v_div_fmas_f32 v3, v3, v6, v12
	v_div_fixup_f32 v1, v3, v1, 1.0
.LBB18_51:
	s_or_b64 exec, exec, s[12:13]
	s_andn2_b64 s[10:11], s[10:11], exec
	s_and_b64 s[2:3], s[2:3], exec
	s_or_b64 s[10:11], s[10:11], s[2:3]
                                        ; implicit-def: $vgpr3_vgpr4
.LBB18_52:
	s_or_saveexec_b64 s[2:3], s[8:9]
	v_add_u32_e32 v6, v5, v11
	v_lshl_add_u32 v5, v5, 6, v0
	s_xor_b64 exec, exec, s[2:3]
	s_cbranch_execz .LBB18_54
; %bb.53:
	v_lshlrev_b64 v[3:4], 2, v[3:4]
	v_mov_b32_e32 v1, s80
	v_add_co_u32_e32 v3, vcc, s95, v3
	v_addc_co_u32_e32 v4, vcc, v1, v4, vcc
	global_load_dword v1, v[3:4], off
	s_or_b64 s[10:11], s[10:11], exec
	s_waitcnt vmcnt(0)
	v_xor_b32_e32 v1, 0x80000000, v1
.LBB18_54:
	s_or_b64 exec, exec, s[2:3]
	v_cndmask_b32_e64 v5, v5, v6, s[0:1]
.LBB18_55:
	s_xor_b64 s[0:1], s[0:1], -1
	s_and_saveexec_b64 s[2:3], s[10:11]
; %bb.56:
	v_lshlrev_b32_e32 v3, 2, v5
	ds_write_b32 v3, v1
; %bb.57:
	s_or_b64 exec, exec, s[2:3]
	v_cndmask_b32_e64 v1, 0, 1, s[0:1]
	v_cmp_ne_u32_e64 s[50:51], 1, v1
	s_andn2_b64 vcc, exec, s[0:1]
	s_waitcnt vmcnt(0) lgkmcnt(0)
	s_barrier
	s_cbranch_vccnz .LBB18_1095
; %bb.58:
	v_or_b32_e32 v1, v0, v2
	v_cmp_eq_u32_e32 vcc, 0, v1
	s_and_saveexec_b64 s[0:1], vcc
	s_cbranch_execz .LBB18_60
; %bb.59:
	v_mov_b32_e32 v1, 0
	ds_read_b64 v[3:4], v1 offset:16376
	ds_read_b32 v1, v1 offset:16120
	s_movk_i32 s2, 0x3c00
	s_waitcnt lgkmcnt(0)
	v_mul_f32_e32 v1, v1, v4
	v_mul_f32_e32 v1, v3, v1
	v_add_u32_e64 v3, s2, 0
	ds_write2_b32 v3, v1, v1 offset0:191 offset1:254
.LBB18_60:
	s_or_b64 exec, exec, s[0:1]
	v_lshlrev_b32_e32 v3, 6, v2
	v_add_u32_e32 v5, v3, v0
	v_and_b32_e32 v4, v3, v0
	v_xor_b32_e32 v3, v3, v0
	v_lshrrev_b16_e32 v3, 1, v3
	v_add_u16_e32 v4, v4, v3
	v_and_b32_e32 v1, 1, v0
	v_sub_u32_e32 v3, 1, v4
	v_cmp_lt_u32_e64 s[8:9], 3, v5
	v_cmp_gt_u32_e64 s[2:3], 4, v5
	v_mov_b32_e32 v6, 0
	s_waitcnt lgkmcnt(0)
	s_barrier
	buffer_wbinvl1_vol
	s_and_saveexec_b64 s[0:1], s[2:3]
	s_cbranch_execz .LBB18_64
; %bb.61:
	v_lshlrev_b32_e32 v6, 8, v3
	v_lshlrev_b32_e32 v11, 2, v1
	ds_read_b32 v12, v11 offset:16112
	ds_read_b32 v6, v6 offset:16120
	v_mov_b32_e32 v11, 0
	v_cmp_gt_u32_e64 s[10:11], 2, v5
	s_waitcnt lgkmcnt(0)
	v_fma_f32 v6, v12, v6, 0
	s_and_saveexec_b64 s[12:13], s[10:11]
	s_cbranch_execz .LBB18_63
; %bb.62:
	v_lshlrev_b32_e32 v12, 2, v0
	ds_read_b32 v12, v12 offset:16368
	ds_read_b32 v11, v11 offset:16380
	s_waitcnt lgkmcnt(0)
	v_fmac_f32_e32 v6, v12, v11
.LBB18_63:
	s_or_b64 exec, exec, s[12:13]
.LBB18_64:
	s_or_b64 exec, exec, s[0:1]
	v_mov_b32_e32 v11, 0x4000
	v_cmp_ne_u32_e64 s[10:11], 0, v1
	s_xor_b64 s[0:1], s[8:9], -1
	v_lshl_add_u32 v4, v4, 2, v11
	s_and_b64 s[30:31], s[10:11], s[0:1]
	s_and_saveexec_b64 s[8:9], s[30:31]
	s_cbranch_execz .LBB18_66
; %bb.65:
	v_mov_b32_e32 v11, 0
	ds_read_b32 v11, v11 offset:15860
	s_waitcnt lgkmcnt(0)
	v_mul_f32_e32 v6, v6, v11
	v_xor_b32_e32 v11, 0x80000000, v6
	ds_write_b32 v4, v11
.LBB18_66:
	s_or_b64 exec, exec, s[8:9]
	v_cmp_eq_u32_e64 s[8:9], 0, v1
	s_and_b64 s[26:27], s[8:9], s[0:1]
	s_waitcnt lgkmcnt(0)
	s_barrier
	s_and_saveexec_b64 s[0:1], s[26:27]
	s_cbranch_execz .LBB18_68
; %bb.67:
	v_mov_b32_e32 v11, 0
	ds_read_b32 v11, v11 offset:15856
	ds_read_b32 v12, v4
	s_waitcnt lgkmcnt(0)
	v_fma_f32 v6, -v11, v12, v6
.LBB18_68:
	s_or_b64 exec, exec, s[0:1]
	s_barrier
	s_and_saveexec_b64 s[0:1], s[26:27]
	s_cbranch_execz .LBB18_70
; %bb.69:
	v_mov_b32_e32 v11, 0
	ds_read_b32 v11, v11 offset:15600
	s_waitcnt lgkmcnt(0)
	v_mul_f32_e32 v6, v6, v11
	v_xor_b32_e32 v11, 0x80000000, v6
	ds_write_b32 v4, v11
.LBB18_70:
	s_or_b64 exec, exec, s[0:1]
	s_waitcnt lgkmcnt(0)
	s_barrier
	s_barrier
	s_and_saveexec_b64 s[0:1], s[2:3]
; %bb.71:
	v_lshlrev_b32_e32 v11, 2, v1
	v_lshl_or_b32 v11, v3, 8, v11
	ds_write_b32 v11, v6 offset:16112
; %bb.72:
	s_or_b64 exec, exec, s[0:1]
	v_cmp_eq_u32_e64 s[12:13], 0, v2
	v_cmp_gt_u32_e64 s[8:9], 2, v0
	s_and_b64 s[34:35], s[12:13], s[8:9]
	s_waitcnt lgkmcnt(0)
	s_barrier
	s_barrier
	s_and_saveexec_b64 s[0:1], s[34:35]
	s_cbranch_execz .LBB18_74
; %bb.73:
	v_lshlrev_b32_e32 v6, 2, v0
	s_movk_i32 s8, 0xfc
	v_mad_u32_u24 v11, v0, s8, v6
	ds_read_b32 v12, v11 offset:16112
	s_waitcnt lgkmcnt(0)
	ds_write_b32 v6, v12 offset:15608
	ds_read_b32 v11, v11 offset:16116
	s_waitcnt lgkmcnt(0)
	ds_write_b32 v6, v11 offset:15864
.LBB18_74:
	s_or_b64 exec, exec, s[0:1]
	s_waitcnt lgkmcnt(0)
	s_barrier
	s_and_saveexec_b64 s[0:1], vcc
	s_cbranch_execz .LBB18_76
; %bb.75:
	v_mov_b32_e32 v6, 0
	ds_read_b64 v[11:12], v6 offset:15856
	ds_read_b32 v6, v6 offset:15600
	s_movk_i32 s8, 0x3c00
	s_waitcnt lgkmcnt(0)
	v_mul_f32_e32 v6, v6, v12
	v_mul_f32_e32 v6, v11, v6
	v_add_u32_e64 v11, s8, 0
	ds_write2_b32 v11, v6, v6 offset0:61 offset1:124
.LBB18_76:
	s_or_b64 exec, exec, s[0:1]
	v_lshrrev_b32_e32 v12, 2, v5
	v_and_b32_e32 v6, 3, v0
	v_sub_u32_e32 v11, 3, v12
	v_cmp_lt_u32_e64 s[8:9], 15, v5
	v_cmp_gt_u32_e64 s[18:19], 16, v5
	v_mov_b32_e32 v13, 0
	s_waitcnt lgkmcnt(0)
	s_barrier
	buffer_wbinvl1_vol
	s_and_saveexec_b64 s[0:1], s[18:19]
	s_cbranch_execz .LBB18_82
; %bb.77:
	v_lshlrev_b32_e32 v15, 2, v6
	v_lshlrev_b32_e32 v14, 8, v11
	ds_read_b32 v13, v15 offset:15584
	ds_read_b32 v16, v14 offset:15600
	v_cmp_gt_u32_e64 s[10:11], 12, v5
	s_waitcnt lgkmcnt(0)
	v_fma_f32 v13, v13, v16, 0
	s_and_saveexec_b64 s[14:15], s[10:11]
	s_cbranch_execnz .LBB18_1206
; %bb.78:
	s_or_b64 exec, exec, s[14:15]
	v_cmp_gt_u32_e64 s[10:11], 8, v5
	s_and_saveexec_b64 s[14:15], s[10:11]
	s_cbranch_execnz .LBB18_1207
.LBB18_79:
	s_or_b64 exec, exec, s[14:15]
	v_cmp_gt_u32_e64 s[10:11], 4, v5
	s_and_saveexec_b64 s[14:15], s[10:11]
	s_cbranch_execz .LBB18_81
.LBB18_80:
	v_lshlrev_b32_e32 v14, 2, v0
	v_mov_b32_e32 v15, 0
	ds_read_b32 v14, v14 offset:16352
	ds_read_b32 v15, v15 offset:16380
	s_waitcnt lgkmcnt(0)
	v_fmac_f32_e32 v13, v14, v15
.LBB18_81:
	s_or_b64 exec, exec, s[14:15]
.LBB18_82:
                                        ; implicit-def: $vgpr27 : SGPR spill to VGPR lane
	v_writelane_b32 v27, s38, 0
	s_or_b64 exec, exec, s[0:1]
	v_mov_b32_e32 v14, 0x4000
	v_cmp_eq_u32_e64 s[10:11], 3, v6
	s_xor_b64 s[0:1], s[8:9], -1
	v_lshl_add_u32 v12, v12, 2, v14
	s_and_b64 s[38:39], s[10:11], s[0:1]
	s_and_saveexec_b64 s[8:9], s[38:39]
	s_cbranch_execz .LBB18_84
; %bb.83:
	v_mov_b32_e32 v14, 0
	ds_read_b32 v14, v14 offset:15340
	s_waitcnt lgkmcnt(0)
	v_mul_f32_e32 v13, v13, v14
	v_xor_b32_e32 v14, 0x80000000, v13
	ds_write_b32 v12, v14
.LBB18_84:
	s_or_b64 exec, exec, s[8:9]
	v_cmp_ne_u32_e64 s[8:9], 3, v6
	s_and_b64 s[40:41], s[8:9], s[0:1]
	s_waitcnt lgkmcnt(0)
	s_barrier
	s_and_saveexec_b64 s[8:9], s[40:41]
	s_cbranch_execz .LBB18_86
; %bb.85:
	v_lshlrev_b32_e32 v14, 2, v6
	ds_read_b32 v14, v14 offset:15328
	ds_read_b32 v15, v12
	s_waitcnt lgkmcnt(0)
	v_fma_f32 v13, -v14, v15, v13
.LBB18_86:
	s_or_b64 exec, exec, s[8:9]
	v_cmp_eq_u32_e64 s[8:9], 2, v6
	s_and_b64 s[42:43], s[8:9], s[0:1]
	s_barrier
	s_and_saveexec_b64 s[8:9], s[42:43]
	s_cbranch_execz .LBB18_88
; %bb.87:
	v_mov_b32_e32 v14, 0
	ds_read_b32 v14, v14 offset:15080
	s_waitcnt lgkmcnt(0)
	v_mul_f32_e32 v13, v13, v14
	v_xor_b32_e32 v14, 0x80000000, v13
	ds_write_b32 v12, v14
.LBB18_88:
	s_or_b64 exec, exec, s[8:9]
	v_cmp_gt_u32_e64 s[8:9], 2, v6
	s_and_b64 s[44:45], s[8:9], s[0:1]
	s_waitcnt lgkmcnt(0)
	s_barrier
	s_and_saveexec_b64 s[8:9], s[44:45]
	s_cbranch_execz .LBB18_90
; %bb.89:
	v_lshlrev_b32_e32 v14, 2, v6
	ds_read_b32 v14, v14 offset:15072
	ds_read_b32 v15, v12
	s_waitcnt lgkmcnt(0)
	v_fma_f32 v13, -v14, v15, v13
.LBB18_90:
	s_or_b64 exec, exec, s[8:9]
	v_cmp_eq_u32_e64 s[8:9], 1, v6
	s_and_b64 s[46:47], s[8:9], s[0:1]
	s_barrier
	s_and_saveexec_b64 s[8:9], s[46:47]
	s_cbranch_execz .LBB18_92
; %bb.91:
	v_mov_b32_e32 v14, 0
	ds_read_b32 v14, v14 offset:14820
	s_waitcnt lgkmcnt(0)
	v_mul_f32_e32 v13, v13, v14
	v_xor_b32_e32 v14, 0x80000000, v13
	ds_write_b32 v12, v14
.LBB18_92:
	s_or_b64 exec, exec, s[8:9]
	v_cmp_eq_u32_e64 s[8:9], 0, v6
	s_and_b64 s[36:37], s[8:9], s[0:1]
	s_waitcnt lgkmcnt(0)
	s_barrier
	s_and_saveexec_b64 s[0:1], s[36:37]
	s_cbranch_execz .LBB18_94
; %bb.93:
	v_mov_b32_e32 v14, 0
	ds_read_b32 v14, v14 offset:14816
	ds_read_b32 v15, v12
	s_waitcnt lgkmcnt(0)
	v_fma_f32 v13, -v14, v15, v13
.LBB18_94:
	s_or_b64 exec, exec, s[0:1]
	s_barrier
	s_and_saveexec_b64 s[0:1], s[36:37]
	s_cbranch_execz .LBB18_96
; %bb.95:
	v_mov_b32_e32 v14, 0
	ds_read_b32 v14, v14 offset:14560
	s_waitcnt lgkmcnt(0)
	v_mul_f32_e32 v13, v13, v14
	v_xor_b32_e32 v14, 0x80000000, v13
	ds_write_b32 v12, v14
.LBB18_96:
	s_or_b64 exec, exec, s[0:1]
	s_waitcnt lgkmcnt(0)
	s_barrier
	s_barrier
	s_and_saveexec_b64 s[0:1], s[18:19]
; %bb.97:
	v_lshlrev_b32_e32 v14, 2, v6
	v_lshl_or_b32 v14, v11, 8, v14
	ds_write_b32 v14, v13 offset:15584
; %bb.98:
	s_or_b64 exec, exec, s[0:1]
	v_cmp_gt_u32_e64 s[8:9], 4, v0
	s_and_b64 s[48:49], s[12:13], s[8:9]
	s_waitcnt lgkmcnt(0)
	s_barrier
	s_barrier
	s_and_saveexec_b64 s[0:1], s[48:49]
	s_cbranch_execz .LBB18_100
; %bb.99:
	v_lshlrev_b32_e32 v13, 8, v0
	ds_read_b32 v14, v13 offset:15584
	s_movk_i32 s8, 0xff04
	v_mad_i32_i24 v15, v0, s8, v13
	s_waitcnt lgkmcnt(0)
	ds_write_b32 v15, v14 offset:14576
	ds_read_b32 v14, v13 offset:15588
	s_waitcnt lgkmcnt(0)
	ds_write_b32 v15, v14 offset:14832
	ds_read_b32 v14, v13 offset:15592
	;; [unrolled: 3-line block ×3, first 2 shown]
	s_waitcnt lgkmcnt(0)
	ds_write_b32 v15, v13 offset:15344
.LBB18_100:
	s_or_b64 exec, exec, s[0:1]
	s_waitcnt lgkmcnt(0)
	s_barrier
	s_and_saveexec_b64 s[0:1], vcc
	s_cbranch_execz .LBB18_102
; %bb.101:
	v_mov_b32_e32 v15, 0
	ds_read_b64 v[13:14], v15 offset:15336
	ds_read_b32 v15, v15 offset:15080
	s_movk_i32 s8, 0x3800
	s_waitcnt lgkmcnt(0)
	v_mul_f32_e32 v14, v15, v14
	v_mul_f32_e32 v13, v13, v14
	v_add_u32_e64 v14, s8, 0
	ds_write2_b32 v14, v13, v13 offset0:187 offset1:250
.LBB18_102:
	s_or_b64 exec, exec, s[0:1]
	v_mov_b32_e32 v13, 0
	s_waitcnt lgkmcnt(0)
	s_barrier
	buffer_wbinvl1_vol
	s_and_saveexec_b64 s[0:1], s[2:3]
	s_cbranch_execz .LBB18_106
; %bb.103:
	v_lshlrev_b32_e32 v13, 8, v3
	v_lshlrev_b32_e32 v14, 2, v1
	ds_read_b32 v15, v14 offset:15072
	ds_read_b32 v13, v13 offset:15080
	v_mov_b32_e32 v14, 0
	v_cmp_gt_u32_e64 s[8:9], 2, v5
	s_waitcnt lgkmcnt(0)
	v_fma_f32 v13, v15, v13, 0
	s_and_saveexec_b64 s[10:11], s[8:9]
	s_cbranch_execz .LBB18_105
; %bb.104:
	v_lshlrev_b32_e32 v15, 2, v0
	ds_read_b32 v15, v15 offset:15328
	ds_read_b32 v14, v14 offset:15340
	s_waitcnt lgkmcnt(0)
	v_fmac_f32_e32 v13, v15, v14
.LBB18_105:
	s_or_b64 exec, exec, s[10:11]
.LBB18_106:
	s_or_b64 exec, exec, s[0:1]
	s_and_saveexec_b64 s[0:1], s[30:31]
	s_cbranch_execz .LBB18_108
; %bb.107:
	v_mov_b32_e32 v14, 0
	ds_read_b32 v14, v14 offset:14820
	s_waitcnt lgkmcnt(0)
	v_mul_f32_e32 v13, v13, v14
	v_xor_b32_e32 v14, 0x80000000, v13
	ds_write_b32 v4, v14
.LBB18_108:
	s_or_b64 exec, exec, s[0:1]
	s_waitcnt lgkmcnt(0)
	s_barrier
	s_and_saveexec_b64 s[0:1], s[26:27]
	s_cbranch_execz .LBB18_110
; %bb.109:
	v_mov_b32_e32 v14, 0
	ds_read_b32 v14, v14 offset:14816
	ds_read_b32 v15, v4
	s_waitcnt lgkmcnt(0)
	v_fma_f32 v13, -v14, v15, v13
.LBB18_110:
	s_or_b64 exec, exec, s[0:1]
	s_barrier
	s_and_saveexec_b64 s[0:1], s[26:27]
	s_cbranch_execz .LBB18_112
; %bb.111:
	v_mov_b32_e32 v14, 0
	ds_read_b32 v14, v14 offset:14560
	s_waitcnt lgkmcnt(0)
	v_mul_f32_e32 v13, v13, v14
	v_xor_b32_e32 v14, 0x80000000, v13
	ds_write_b32 v4, v14
.LBB18_112:
	s_or_b64 exec, exec, s[0:1]
	s_waitcnt lgkmcnt(0)
	s_barrier
	s_barrier
	s_and_saveexec_b64 s[0:1], s[2:3]
; %bb.113:
	v_lshlrev_b32_e32 v14, 2, v1
	v_lshl_or_b32 v14, v3, 8, v14
	ds_write_b32 v14, v13 offset:15072
; %bb.114:
	s_or_b64 exec, exec, s[0:1]
	s_waitcnt lgkmcnt(0)
	s_barrier
	s_barrier
	s_and_saveexec_b64 s[0:1], s[34:35]
	s_cbranch_execz .LBB18_116
; %bb.115:
	v_lshlrev_b32_e32 v13, 2, v0
	s_movk_i32 s8, 0xfc
	v_mad_u32_u24 v14, v0, s8, v13
	ds_read_b32 v15, v14 offset:15072
	s_waitcnt lgkmcnt(0)
	ds_write_b32 v13, v15 offset:14568
	ds_read_b32 v14, v14 offset:15076
	s_waitcnt lgkmcnt(0)
	ds_write_b32 v13, v14 offset:14824
.LBB18_116:
	s_or_b64 exec, exec, s[0:1]
	s_waitcnt lgkmcnt(0)
	s_barrier
	s_and_saveexec_b64 s[0:1], vcc
	s_cbranch_execz .LBB18_118
; %bb.117:
	v_mov_b32_e32 v15, 0
	ds_read_b64 v[13:14], v15 offset:14816
	ds_read_b32 v15, v15 offset:14560
	s_movk_i32 s8, 0x3800
	s_waitcnt lgkmcnt(0)
	v_mul_f32_e32 v14, v15, v14
	v_mul_f32_e32 v13, v13, v14
	v_add_u32_e64 v14, s8, 0
	ds_write2_b32 v14, v13, v13 offset0:57 offset1:120
.LBB18_118:
	s_or_b64 exec, exec, s[0:1]
	v_lshrrev_b32_e32 v15, 3, v5
	v_and_b32_e32 v13, 7, v0
	v_sub_u32_e32 v14, 7, v15
	v_cmp_lt_u32_e64 s[10:11], 63, v5
	v_cmp_gt_u32_e64 s[8:9], 64, v5
	v_mov_b32_e32 v16, 0
	s_waitcnt lgkmcnt(0)
	s_barrier
	buffer_wbinvl1_vol
	s_and_saveexec_b64 s[0:1], s[8:9]
	s_cbranch_execz .LBB18_128
; %bb.119:
	v_lshlrev_b32_e32 v18, 2, v13
	v_lshlrev_b32_e32 v17, 8, v14
	ds_read_b32 v16, v18 offset:14528
	ds_read_b32 v19, v17 offset:14560
	v_cmp_gt_u32_e64 s[14:15], 56, v5
	s_waitcnt lgkmcnt(0)
	v_fma_f32 v16, v16, v19, 0
	s_and_saveexec_b64 s[16:17], s[14:15]
	s_cbranch_execnz .LBB18_1208
; %bb.120:
	s_or_b64 exec, exec, s[16:17]
	v_cmp_gt_u32_e64 s[14:15], 48, v5
	s_and_saveexec_b64 s[16:17], s[14:15]
	s_cbranch_execnz .LBB18_1209
.LBB18_121:
	s_or_b64 exec, exec, s[16:17]
	v_cmp_gt_u32_e64 s[14:15], 40, v5
	s_and_saveexec_b64 s[16:17], s[14:15]
	s_cbranch_execnz .LBB18_1210
.LBB18_122:
	s_or_b64 exec, exec, s[16:17]
	v_cmp_gt_u32_e64 s[14:15], 32, v5
	s_and_saveexec_b64 s[16:17], s[14:15]
	s_cbranch_execnz .LBB18_1211
.LBB18_123:
	s_or_b64 exec, exec, s[16:17]
	v_cmp_gt_u32_e64 s[14:15], 24, v5
	s_and_saveexec_b64 s[16:17], s[14:15]
	s_cbranch_execnz .LBB18_1212
.LBB18_124:
	s_or_b64 exec, exec, s[16:17]
	s_and_saveexec_b64 s[14:15], s[18:19]
	s_cbranch_execnz .LBB18_1213
.LBB18_125:
	s_or_b64 exec, exec, s[14:15]
	v_cmp_gt_u32_e64 s[14:15], 8, v5
	s_and_saveexec_b64 s[16:17], s[14:15]
	s_cbranch_execz .LBB18_127
.LBB18_126:
	v_lshlrev_b32_e32 v17, 2, v0
	v_mov_b32_e32 v18, 0
	ds_read_b32 v17, v17 offset:16320
	ds_read_b32 v18, v18 offset:16380
	s_waitcnt lgkmcnt(0)
	v_fmac_f32_e32 v16, v17, v18
.LBB18_127:
	s_or_b64 exec, exec, s[16:17]
.LBB18_128:
	v_writelane_b32 v27, s50, 1
	v_writelane_b32 v27, s51, 2
	s_or_b64 exec, exec, s[0:1]
	v_mov_b32_e32 v17, 0x4000
	v_cmp_eq_u32_e64 s[14:15], 7, v13
	s_xor_b64 s[0:1], s[10:11], -1
	v_lshl_add_u32 v15, v15, 2, v17
	s_and_b64 s[50:51], s[14:15], s[0:1]
	s_and_saveexec_b64 s[10:11], s[50:51]
	s_cbranch_execz .LBB18_130
; %bb.129:
	v_mov_b32_e32 v17, 0
	ds_read_b32 v17, v17 offset:14300
	s_waitcnt lgkmcnt(0)
	v_mul_f32_e32 v16, v16, v17
	v_xor_b32_e32 v17, 0x80000000, v16
	ds_write_b32 v15, v17
.LBB18_130:
	s_or_b64 exec, exec, s[10:11]
	v_cmp_ne_u32_e64 s[10:11], 7, v13
	s_and_b64 s[52:53], s[10:11], s[0:1]
	s_waitcnt lgkmcnt(0)
	s_barrier
	s_and_saveexec_b64 s[10:11], s[52:53]
	s_cbranch_execz .LBB18_132
; %bb.131:
	v_lshlrev_b32_e32 v17, 2, v13
	ds_read_b32 v17, v17 offset:14272
	ds_read_b32 v18, v15
	s_waitcnt lgkmcnt(0)
	v_fma_f32 v16, -v17, v18, v16
.LBB18_132:
	s_or_b64 exec, exec, s[10:11]
	v_cmp_eq_u32_e64 s[10:11], 6, v13
	s_and_b64 s[54:55], s[10:11], s[0:1]
	s_barrier
	s_and_saveexec_b64 s[10:11], s[54:55]
	s_cbranch_execz .LBB18_134
; %bb.133:
	v_mov_b32_e32 v17, 0
	ds_read_b32 v17, v17 offset:14040
	s_waitcnt lgkmcnt(0)
	v_mul_f32_e32 v16, v16, v17
	v_xor_b32_e32 v17, 0x80000000, v16
	ds_write_b32 v15, v17
.LBB18_134:
	s_or_b64 exec, exec, s[10:11]
	v_cmp_gt_u32_e64 s[10:11], 6, v13
	s_and_b64 s[56:57], s[10:11], s[0:1]
	s_waitcnt lgkmcnt(0)
	s_barrier
	s_and_saveexec_b64 s[10:11], s[56:57]
	s_cbranch_execz .LBB18_136
; %bb.135:
	v_lshlrev_b32_e32 v17, 2, v13
	ds_read_b32 v17, v17 offset:14016
	ds_read_b32 v18, v15
	s_waitcnt lgkmcnt(0)
	v_fma_f32 v16, -v17, v18, v16
.LBB18_136:
	s_or_b64 exec, exec, s[10:11]
	v_cmp_eq_u32_e64 s[10:11], 5, v13
	s_and_b64 s[58:59], s[10:11], s[0:1]
	s_barrier
	s_and_saveexec_b64 s[10:11], s[58:59]
	s_cbranch_execz .LBB18_138
; %bb.137:
	v_mov_b32_e32 v17, 0
	ds_read_b32 v17, v17 offset:13780
	s_waitcnt lgkmcnt(0)
	v_mul_f32_e32 v16, v16, v17
	v_xor_b32_e32 v17, 0x80000000, v16
	ds_write_b32 v15, v17
.LBB18_138:
	s_or_b64 exec, exec, s[10:11]
	v_cmp_gt_u32_e64 s[10:11], 5, v13
	;; [unrolled: 28-line block ×5, first 2 shown]
	s_and_b64 s[74:75], s[10:11], s[0:1]
	s_waitcnt lgkmcnt(0)
	s_barrier
	s_and_saveexec_b64 s[10:11], s[74:75]
	s_cbranch_execz .LBB18_152
; %bb.151:
	v_lshlrev_b32_e32 v17, 2, v13
	ds_read_b32 v17, v17 offset:12992
	ds_read_b32 v18, v15
	s_waitcnt lgkmcnt(0)
	v_fma_f32 v16, -v17, v18, v16
.LBB18_152:
	s_or_b64 exec, exec, s[10:11]
	v_cmp_eq_u32_e64 s[10:11], 1, v13
	s_and_b64 s[76:77], s[10:11], s[0:1]
	s_barrier
	s_and_saveexec_b64 s[10:11], s[76:77]
	s_cbranch_execz .LBB18_154
; %bb.153:
	v_mov_b32_e32 v17, 0
	ds_read_b32 v17, v17 offset:12740
	s_waitcnt lgkmcnt(0)
	v_mul_f32_e32 v16, v16, v17
	v_xor_b32_e32 v17, 0x80000000, v16
	ds_write_b32 v15, v17
.LBB18_154:
	s_or_b64 exec, exec, s[10:11]
	v_cmp_eq_u32_e64 s[10:11], 0, v13
	s_and_b64 s[60:61], s[10:11], s[0:1]
	s_waitcnt lgkmcnt(0)
	s_barrier
	s_and_saveexec_b64 s[0:1], s[60:61]
	s_cbranch_execz .LBB18_156
; %bb.155:
	v_mov_b32_e32 v17, 0
	ds_read_b32 v17, v17 offset:12736
	ds_read_b32 v18, v15
	s_waitcnt lgkmcnt(0)
	v_fma_f32 v16, -v17, v18, v16
.LBB18_156:
	s_or_b64 exec, exec, s[0:1]
	s_barrier
	s_and_saveexec_b64 s[0:1], s[60:61]
	s_cbranch_execz .LBB18_158
; %bb.157:
	v_mov_b32_e32 v17, 0
	ds_read_b32 v17, v17 offset:12480
	s_waitcnt lgkmcnt(0)
	v_mul_f32_e32 v16, v16, v17
	v_xor_b32_e32 v17, 0x80000000, v16
	ds_write_b32 v15, v17
.LBB18_158:
	s_or_b64 exec, exec, s[0:1]
	s_waitcnt lgkmcnt(0)
	s_barrier
	s_barrier
	s_and_saveexec_b64 s[0:1], s[8:9]
; %bb.159:
	v_lshlrev_b32_e32 v17, 2, v13
	v_lshl_or_b32 v17, v14, 8, v17
	ds_write_b32 v17, v16 offset:14528
; %bb.160:
	s_or_b64 exec, exec, s[0:1]
	v_cmp_gt_u32_e64 s[10:11], 8, v0
	s_and_b64 s[78:79], s[12:13], s[10:11]
	s_waitcnt lgkmcnt(0)
	s_barrier
	s_barrier
	s_and_saveexec_b64 s[0:1], s[78:79]
	s_cbranch_execz .LBB18_162
; %bb.161:
	v_lshlrev_b32_e32 v16, 8, v0
	ds_read_b32 v17, v16 offset:14528
	s_movk_i32 s10, 0xff04
	v_mad_i32_i24 v18, v0, s10, v16
	s_waitcnt lgkmcnt(0)
	ds_write_b32 v18, v17 offset:12512
	ds_read_b32 v17, v16 offset:14532
	s_waitcnt lgkmcnt(0)
	ds_write_b32 v18, v17 offset:12768
	ds_read_b32 v17, v16 offset:14536
	s_waitcnt lgkmcnt(0)
	ds_write_b32 v18, v17 offset:13024
	ds_read_b32 v17, v16 offset:14540
	s_waitcnt lgkmcnt(0)
	ds_write_b32 v18, v17 offset:13280
	ds_read_b32 v17, v16 offset:14544
	s_waitcnt lgkmcnt(0)
	ds_write_b32 v18, v17 offset:13536
	ds_read_b32 v17, v16 offset:14548
	s_waitcnt lgkmcnt(0)
	ds_write_b32 v18, v17 offset:13792
	ds_read_b32 v17, v16 offset:14552
	s_waitcnt lgkmcnt(0)
	ds_write_b32 v18, v17 offset:14048
	ds_read_b32 v16, v16 offset:14556
	s_waitcnt lgkmcnt(0)
	ds_write_b32 v18, v16 offset:14304
.LBB18_162:
	s_or_b64 exec, exec, s[0:1]
	s_waitcnt lgkmcnt(0)
	s_barrier
	s_and_saveexec_b64 s[0:1], vcc
	s_cbranch_execz .LBB18_164
; %bb.163:
	v_mov_b32_e32 v18, 0
	ds_read_b64 v[16:17], v18 offset:14296
	ds_read_b32 v18, v18 offset:14040
	s_movk_i32 s10, 0x3400
	s_waitcnt lgkmcnt(0)
	v_mul_f32_e32 v17, v18, v17
	v_mul_f32_e32 v16, v16, v17
	v_add_u32_e64 v17, s10, 0
	ds_write2_b32 v17, v16, v16 offset0:183 offset1:246
.LBB18_164:
	s_or_b64 exec, exec, s[0:1]
	v_mov_b32_e32 v16, 0
	s_waitcnt lgkmcnt(0)
	s_barrier
	buffer_wbinvl1_vol
	s_and_saveexec_b64 s[0:1], s[2:3]
	s_cbranch_execz .LBB18_168
; %bb.165:
	v_lshlrev_b32_e32 v16, 8, v3
	v_lshlrev_b32_e32 v17, 2, v1
	ds_read_b32 v18, v17 offset:14032
	ds_read_b32 v16, v16 offset:14040
	v_mov_b32_e32 v17, 0
	v_cmp_gt_u32_e64 s[10:11], 2, v5
	s_waitcnt lgkmcnt(0)
	v_fma_f32 v16, v18, v16, 0
	s_and_saveexec_b64 s[14:15], s[10:11]
	s_cbranch_execz .LBB18_167
; %bb.166:
	v_lshlrev_b32_e32 v18, 2, v0
	ds_read_b32 v18, v18 offset:14288
	ds_read_b32 v17, v17 offset:14300
	s_waitcnt lgkmcnt(0)
	v_fmac_f32_e32 v16, v18, v17
.LBB18_167:
	s_or_b64 exec, exec, s[14:15]
.LBB18_168:
	s_or_b64 exec, exec, s[0:1]
	s_and_saveexec_b64 s[0:1], s[30:31]
	s_cbranch_execz .LBB18_170
; %bb.169:
	v_mov_b32_e32 v17, 0
	ds_read_b32 v17, v17 offset:13780
	s_waitcnt lgkmcnt(0)
	v_mul_f32_e32 v16, v16, v17
	v_xor_b32_e32 v17, 0x80000000, v16
	ds_write_b32 v4, v17
.LBB18_170:
	s_or_b64 exec, exec, s[0:1]
	s_waitcnt lgkmcnt(0)
	s_barrier
	s_and_saveexec_b64 s[0:1], s[26:27]
	s_cbranch_execz .LBB18_172
; %bb.171:
	v_mov_b32_e32 v17, 0
	ds_read_b32 v17, v17 offset:13776
	ds_read_b32 v18, v4
	s_waitcnt lgkmcnt(0)
	v_fma_f32 v16, -v17, v18, v16
.LBB18_172:
	s_or_b64 exec, exec, s[0:1]
	s_barrier
	s_and_saveexec_b64 s[0:1], s[26:27]
	s_cbranch_execz .LBB18_174
; %bb.173:
	v_mov_b32_e32 v17, 0
	ds_read_b32 v17, v17 offset:13520
	s_waitcnt lgkmcnt(0)
	v_mul_f32_e32 v16, v16, v17
	v_xor_b32_e32 v17, 0x80000000, v16
	ds_write_b32 v4, v17
.LBB18_174:
	s_or_b64 exec, exec, s[0:1]
	s_waitcnt lgkmcnt(0)
	s_barrier
	s_barrier
	s_and_saveexec_b64 s[0:1], s[2:3]
; %bb.175:
	v_lshlrev_b32_e32 v17, 2, v1
	v_lshl_or_b32 v17, v3, 8, v17
	ds_write_b32 v17, v16 offset:14032
; %bb.176:
	s_or_b64 exec, exec, s[0:1]
	s_waitcnt lgkmcnt(0)
	s_barrier
	s_barrier
	s_and_saveexec_b64 s[0:1], s[34:35]
	s_cbranch_execz .LBB18_178
; %bb.177:
	v_lshlrev_b32_e32 v16, 2, v0
	s_movk_i32 s10, 0xfc
	v_mad_u32_u24 v17, v0, s10, v16
	ds_read_b32 v18, v17 offset:14032
	s_waitcnt lgkmcnt(0)
	ds_write_b32 v16, v18 offset:13528
	ds_read_b32 v17, v17 offset:14036
	s_waitcnt lgkmcnt(0)
	ds_write_b32 v16, v17 offset:13784
.LBB18_178:
	s_or_b64 exec, exec, s[0:1]
	s_waitcnt lgkmcnt(0)
	s_barrier
	s_and_saveexec_b64 s[0:1], vcc
	s_cbranch_execz .LBB18_180
; %bb.179:
	v_mov_b32_e32 v18, 0
	ds_read_b64 v[16:17], v18 offset:13776
	ds_read_b32 v18, v18 offset:13520
	s_movk_i32 s10, 0x3400
	s_waitcnt lgkmcnt(0)
	v_mul_f32_e32 v17, v18, v17
	v_mul_f32_e32 v16, v16, v17
	v_add_u32_e64 v17, s10, 0
	ds_write2_b32 v17, v16, v16 offset0:53 offset1:116
.LBB18_180:
	s_or_b64 exec, exec, s[0:1]
	v_mov_b32_e32 v16, 0
	s_waitcnt lgkmcnt(0)
	s_barrier
	buffer_wbinvl1_vol
	s_and_saveexec_b64 s[0:1], s[18:19]
	s_cbranch_execz .LBB18_186
; %bb.181:
	v_lshlrev_b32_e32 v18, 2, v6
	v_lshlrev_b32_e32 v17, 8, v11
	ds_read_b32 v16, v18 offset:13504
	ds_read_b32 v19, v17 offset:13520
	v_cmp_gt_u32_e64 s[10:11], 12, v5
	s_waitcnt lgkmcnt(0)
	v_fma_f32 v16, v16, v19, 0
	s_and_saveexec_b64 s[14:15], s[10:11]
	s_cbranch_execnz .LBB18_1214
; %bb.182:
	s_or_b64 exec, exec, s[14:15]
	v_cmp_gt_u32_e64 s[10:11], 8, v5
	s_and_saveexec_b64 s[14:15], s[10:11]
	s_cbranch_execnz .LBB18_1215
.LBB18_183:
	s_or_b64 exec, exec, s[14:15]
	v_cmp_gt_u32_e64 s[10:11], 4, v5
	s_and_saveexec_b64 s[14:15], s[10:11]
	s_cbranch_execz .LBB18_185
.LBB18_184:
	v_lshlrev_b32_e32 v17, 2, v0
	v_mov_b32_e32 v18, 0
	ds_read_b32 v17, v17 offset:14272
	ds_read_b32 v18, v18 offset:14300
	s_waitcnt lgkmcnt(0)
	v_fmac_f32_e32 v16, v17, v18
.LBB18_185:
	s_or_b64 exec, exec, s[14:15]
.LBB18_186:
	s_or_b64 exec, exec, s[0:1]
	s_and_saveexec_b64 s[0:1], s[38:39]
	s_cbranch_execz .LBB18_188
; %bb.187:
	v_mov_b32_e32 v17, 0
	ds_read_b32 v17, v17 offset:13260
	s_waitcnt lgkmcnt(0)
	v_mul_f32_e32 v16, v16, v17
	v_xor_b32_e32 v17, 0x80000000, v16
	ds_write_b32 v12, v17
.LBB18_188:
	s_or_b64 exec, exec, s[0:1]
	s_waitcnt lgkmcnt(0)
	s_barrier
	s_and_saveexec_b64 s[0:1], s[40:41]
	s_cbranch_execz .LBB18_190
; %bb.189:
	v_lshlrev_b32_e32 v17, 2, v6
	ds_read_b32 v17, v17 offset:13248
	ds_read_b32 v18, v12
	s_waitcnt lgkmcnt(0)
	v_fma_f32 v16, -v17, v18, v16
.LBB18_190:
	s_or_b64 exec, exec, s[0:1]
	s_barrier
	s_and_saveexec_b64 s[0:1], s[42:43]
	s_cbranch_execz .LBB18_192
; %bb.191:
	v_mov_b32_e32 v17, 0
	ds_read_b32 v17, v17 offset:13000
	s_waitcnt lgkmcnt(0)
	v_mul_f32_e32 v16, v16, v17
	v_xor_b32_e32 v17, 0x80000000, v16
	ds_write_b32 v12, v17
.LBB18_192:
	s_or_b64 exec, exec, s[0:1]
	s_waitcnt lgkmcnt(0)
	s_barrier
	s_and_saveexec_b64 s[0:1], s[44:45]
	s_cbranch_execz .LBB18_194
; %bb.193:
	v_lshlrev_b32_e32 v17, 2, v6
	ds_read_b32 v17, v17 offset:12992
	ds_read_b32 v18, v12
	s_waitcnt lgkmcnt(0)
	v_fma_f32 v16, -v17, v18, v16
.LBB18_194:
	s_or_b64 exec, exec, s[0:1]
	s_barrier
	s_and_saveexec_b64 s[0:1], s[46:47]
	s_cbranch_execz .LBB18_196
; %bb.195:
	v_mov_b32_e32 v17, 0
	ds_read_b32 v17, v17 offset:12740
	s_waitcnt lgkmcnt(0)
	v_mul_f32_e32 v16, v16, v17
	v_xor_b32_e32 v17, 0x80000000, v16
	ds_write_b32 v12, v17
.LBB18_196:
	s_or_b64 exec, exec, s[0:1]
	s_waitcnt lgkmcnt(0)
	s_barrier
	s_and_saveexec_b64 s[0:1], s[36:37]
	s_cbranch_execz .LBB18_198
; %bb.197:
	v_mov_b32_e32 v17, 0
	ds_read_b32 v17, v17 offset:12736
	ds_read_b32 v18, v12
	s_waitcnt lgkmcnt(0)
	v_fma_f32 v16, -v17, v18, v16
.LBB18_198:
	s_or_b64 exec, exec, s[0:1]
	s_barrier
	s_and_saveexec_b64 s[0:1], s[36:37]
	s_cbranch_execz .LBB18_200
; %bb.199:
	v_mov_b32_e32 v17, 0
	ds_read_b32 v17, v17 offset:12480
	s_waitcnt lgkmcnt(0)
	v_mul_f32_e32 v16, v16, v17
	v_xor_b32_e32 v17, 0x80000000, v16
	ds_write_b32 v12, v17
.LBB18_200:
	s_or_b64 exec, exec, s[0:1]
	s_waitcnt lgkmcnt(0)
	s_barrier
	s_barrier
	s_and_saveexec_b64 s[0:1], s[18:19]
; %bb.201:
	v_lshlrev_b32_e32 v17, 2, v6
	v_lshl_or_b32 v17, v11, 8, v17
	ds_write_b32 v17, v16 offset:13504
; %bb.202:
	s_or_b64 exec, exec, s[0:1]
	s_waitcnt lgkmcnt(0)
	s_barrier
	s_barrier
	s_and_saveexec_b64 s[0:1], s[48:49]
	s_cbranch_execz .LBB18_204
; %bb.203:
	v_lshlrev_b32_e32 v16, 8, v0
	ds_read_b32 v17, v16 offset:13504
	s_movk_i32 s10, 0xff04
	v_mad_i32_i24 v18, v0, s10, v16
	s_waitcnt lgkmcnt(0)
	ds_write_b32 v18, v17 offset:12496
	ds_read_b32 v17, v16 offset:13508
	s_waitcnt lgkmcnt(0)
	ds_write_b32 v18, v17 offset:12752
	ds_read_b32 v17, v16 offset:13512
	;; [unrolled: 3-line block ×3, first 2 shown]
	s_waitcnt lgkmcnt(0)
	ds_write_b32 v18, v16 offset:13264
.LBB18_204:
	s_or_b64 exec, exec, s[0:1]
	s_waitcnt lgkmcnt(0)
	s_barrier
	s_and_saveexec_b64 s[0:1], vcc
	s_cbranch_execz .LBB18_206
; %bb.205:
	v_mov_b32_e32 v18, 0
	ds_read_b64 v[16:17], v18 offset:13256
	ds_read_b32 v18, v18 offset:13000
	s_movk_i32 s10, 0x3000
	s_waitcnt lgkmcnt(0)
	v_mul_f32_e32 v17, v18, v17
	v_mul_f32_e32 v16, v16, v17
	v_add_u32_e64 v17, s10, 0
	ds_write2_b32 v17, v16, v16 offset0:179 offset1:242
.LBB18_206:
	s_or_b64 exec, exec, s[0:1]
	v_mov_b32_e32 v16, 0
	s_waitcnt lgkmcnt(0)
	s_barrier
	buffer_wbinvl1_vol
	s_and_saveexec_b64 s[0:1], s[2:3]
	s_cbranch_execz .LBB18_210
; %bb.207:
	v_lshlrev_b32_e32 v16, 8, v3
	v_lshlrev_b32_e32 v17, 2, v1
	ds_read_b32 v18, v17 offset:12992
	ds_read_b32 v16, v16 offset:13000
	v_mov_b32_e32 v17, 0
	v_cmp_gt_u32_e64 s[10:11], 2, v5
	s_waitcnt lgkmcnt(0)
	v_fma_f32 v16, v18, v16, 0
	s_and_saveexec_b64 s[14:15], s[10:11]
	s_cbranch_execz .LBB18_209
; %bb.208:
	v_lshlrev_b32_e32 v18, 2, v0
	ds_read_b32 v18, v18 offset:13248
	ds_read_b32 v17, v17 offset:13260
	s_waitcnt lgkmcnt(0)
	v_fmac_f32_e32 v16, v18, v17
.LBB18_209:
	s_or_b64 exec, exec, s[14:15]
.LBB18_210:
	s_or_b64 exec, exec, s[0:1]
	s_and_saveexec_b64 s[0:1], s[30:31]
	s_cbranch_execz .LBB18_212
; %bb.211:
	v_mov_b32_e32 v17, 0
	ds_read_b32 v17, v17 offset:12740
	s_waitcnt lgkmcnt(0)
	v_mul_f32_e32 v16, v16, v17
	v_xor_b32_e32 v17, 0x80000000, v16
	ds_write_b32 v4, v17
.LBB18_212:
	s_or_b64 exec, exec, s[0:1]
	s_waitcnt lgkmcnt(0)
	s_barrier
	s_and_saveexec_b64 s[0:1], s[26:27]
	s_cbranch_execz .LBB18_214
; %bb.213:
	v_mov_b32_e32 v17, 0
	ds_read_b32 v17, v17 offset:12736
	ds_read_b32 v18, v4
	s_waitcnt lgkmcnt(0)
	v_fma_f32 v16, -v17, v18, v16
.LBB18_214:
	s_or_b64 exec, exec, s[0:1]
	s_barrier
	s_and_saveexec_b64 s[0:1], s[26:27]
	s_cbranch_execz .LBB18_216
; %bb.215:
	v_mov_b32_e32 v17, 0
	ds_read_b32 v17, v17 offset:12480
	s_waitcnt lgkmcnt(0)
	v_mul_f32_e32 v16, v16, v17
	v_xor_b32_e32 v17, 0x80000000, v16
	ds_write_b32 v4, v17
.LBB18_216:
	s_or_b64 exec, exec, s[0:1]
	s_waitcnt lgkmcnt(0)
	s_barrier
	s_barrier
	s_and_saveexec_b64 s[0:1], s[2:3]
; %bb.217:
	v_lshlrev_b32_e32 v17, 2, v1
	v_lshl_or_b32 v17, v3, 8, v17
	ds_write_b32 v17, v16 offset:12992
; %bb.218:
	s_or_b64 exec, exec, s[0:1]
	s_waitcnt lgkmcnt(0)
	s_barrier
	s_barrier
	s_and_saveexec_b64 s[0:1], s[34:35]
	s_cbranch_execz .LBB18_220
; %bb.219:
	v_lshlrev_b32_e32 v16, 2, v0
	s_movk_i32 s10, 0xfc
	v_mad_u32_u24 v17, v0, s10, v16
	ds_read_b32 v18, v17 offset:12992
	s_waitcnt lgkmcnt(0)
	ds_write_b32 v16, v18 offset:12488
	ds_read_b32 v17, v17 offset:12996
	s_waitcnt lgkmcnt(0)
	ds_write_b32 v16, v17 offset:12744
.LBB18_220:
	s_or_b64 exec, exec, s[0:1]
	s_waitcnt lgkmcnt(0)
	s_barrier
	s_and_saveexec_b64 s[0:1], vcc
	s_cbranch_execz .LBB18_222
; %bb.221:
	v_mov_b32_e32 v18, 0
	ds_read_b64 v[16:17], v18 offset:12736
	ds_read_b32 v18, v18 offset:12480
	s_movk_i32 s10, 0x3000
	s_waitcnt lgkmcnt(0)
	v_mul_f32_e32 v17, v18, v17
	v_mul_f32_e32 v16, v16, v17
	v_add_u32_e64 v17, s10, 0
	ds_write2_b32 v17, v16, v16 offset0:49 offset1:112
.LBB18_222:
	s_or_b64 exec, exec, s[0:1]
	s_movk_i32 s0, 0xff
	v_lshrrev_b32_e32 v18, 4, v5
	v_cmp_lt_u32_e64 s[14:15], s0, v5
	s_movk_i32 s0, 0x100
	v_and_b32_e32 v16, 15, v0
	v_sub_u32_e32 v17, 15, v18
	v_cmp_gt_u32_e64 s[10:11], s0, v5
	v_mov_b32_e32 v19, 0
	s_waitcnt lgkmcnt(0)
	s_barrier
	buffer_wbinvl1_vol
	s_and_saveexec_b64 s[0:1], s[10:11]
	s_cbranch_execz .LBB18_250
; %bb.223:
	v_lshlrev_b32_e32 v21, 2, v16
	v_lshlrev_b32_e32 v20, 8, v17
	ds_read_b32 v19, v21 offset:12416
	ds_read_b32 v22, v20 offset:12480
	s_movk_i32 s16, 0xf0
	v_cmp_gt_u32_e64 s[16:17], s16, v5
	s_waitcnt lgkmcnt(0)
	v_fma_f32 v19, v19, v22, 0
	s_and_saveexec_b64 s[20:21], s[16:17]
	s_cbranch_execz .LBB18_225
; %bb.224:
	ds_read_b32 v22, v21 offset:12672
	ds_read_b32 v23, v20 offset:12484
	s_waitcnt lgkmcnt(0)
	v_fmac_f32_e32 v19, v22, v23
.LBB18_225:
	s_or_b64 exec, exec, s[20:21]
	s_movk_i32 s16, 0xe0
	v_cmp_gt_u32_e64 s[16:17], s16, v5
	s_and_saveexec_b64 s[20:21], s[16:17]
	s_cbranch_execz .LBB18_227
; %bb.226:
	ds_read_b32 v22, v21 offset:12928
	ds_read_b32 v23, v20 offset:12488
	s_waitcnt lgkmcnt(0)
	v_fmac_f32_e32 v19, v22, v23
.LBB18_227:
	s_or_b64 exec, exec, s[20:21]
	s_movk_i32 s16, 0xd0
	v_cmp_gt_u32_e64 s[16:17], s16, v5
	;; [unrolled: 11-line block ×10, first 2 shown]
	s_and_saveexec_b64 s[20:21], s[16:17]
	s_cbranch_execnz .LBB18_1216
; %bb.244:
	s_or_b64 exec, exec, s[20:21]
	s_and_saveexec_b64 s[16:17], s[8:9]
	s_cbranch_execnz .LBB18_1217
.LBB18_245:
	s_or_b64 exec, exec, s[16:17]
	v_cmp_gt_u32_e64 s[16:17], 48, v5
	s_and_saveexec_b64 s[20:21], s[16:17]
	s_cbranch_execnz .LBB18_1218
.LBB18_246:
	s_or_b64 exec, exec, s[20:21]
	v_cmp_gt_u32_e64 s[16:17], 32, v5
	s_and_saveexec_b64 s[20:21], s[16:17]
	s_cbranch_execnz .LBB18_1219
.LBB18_247:
	s_or_b64 exec, exec, s[20:21]
	v_cmp_gt_u32_e64 s[16:17], 16, v5
	s_and_saveexec_b64 s[20:21], s[16:17]
	s_cbranch_execz .LBB18_249
.LBB18_248:
	v_lshlrev_b32_e32 v20, 2, v0
	v_mov_b32_e32 v21, 0
	ds_read_b32 v20, v20 offset:16256
	ds_read_b32 v21, v21 offset:16380
	s_waitcnt lgkmcnt(0)
	v_fmac_f32_e32 v19, v20, v21
.LBB18_249:
	s_or_b64 exec, exec, s[20:21]
.LBB18_250:
	s_or_b64 exec, exec, s[0:1]
	v_mov_b32_e32 v20, 0x4000
	v_lshl_add_u32 v18, v18, 2, v20
	v_cmp_eq_u32_e64 s[16:17], 15, v16
	s_xor_b64 s[20:21], s[14:15], -1
	s_and_b64 s[14:15], s[16:17], s[20:21]
	s_mov_b64 s[0:1], exec
	v_writelane_b32 v27, s14, 3
	v_writelane_b32 v27, s15, 4
	s_and_b64 s[14:15], s[0:1], s[14:15]
	s_mov_b64 exec, s[14:15]
	s_cbranch_execz .LBB18_252
; %bb.251:
	v_mov_b32_e32 v20, 0
	ds_read_b32 v20, v20 offset:12220
	s_waitcnt lgkmcnt(0)
	v_mul_f32_e32 v19, v19, v20
	v_xor_b32_e32 v20, 0x80000000, v19
	ds_write_b32 v18, v20
.LBB18_252:
	s_or_b64 exec, exec, s[0:1]
	v_cmp_ne_u32_e64 s[14:15], 15, v16
	s_waitcnt lgkmcnt(0)
	s_barrier
	s_and_b64 s[14:15], s[14:15], s[20:21]
	s_mov_b64 s[0:1], exec
	v_writelane_b32 v27, s14, 5
	v_writelane_b32 v27, s15, 6
	s_and_b64 s[14:15], s[0:1], s[14:15]
	s_mov_b64 exec, s[14:15]
	s_cbranch_execz .LBB18_254
; %bb.253:
	v_lshlrev_b32_e32 v20, 2, v16
	ds_read_b32 v20, v20 offset:12160
	ds_read_b32 v21, v18
	s_waitcnt lgkmcnt(0)
	v_fma_f32 v19, -v20, v21, v19
.LBB18_254:
	s_or_b64 exec, exec, s[0:1]
	v_cmp_eq_u32_e64 s[14:15], 14, v16
	s_barrier
	s_and_b64 s[14:15], s[14:15], s[20:21]
	s_mov_b64 s[0:1], exec
	v_writelane_b32 v27, s14, 7
	v_writelane_b32 v27, s15, 8
	s_and_b64 s[14:15], s[0:1], s[14:15]
	s_mov_b64 exec, s[14:15]
	s_cbranch_execz .LBB18_256
; %bb.255:
	v_mov_b32_e32 v20, 0
	ds_read_b32 v20, v20 offset:11960
	s_waitcnt lgkmcnt(0)
	v_mul_f32_e32 v19, v19, v20
	v_xor_b32_e32 v20, 0x80000000, v19
	ds_write_b32 v18, v20
.LBB18_256:
	s_or_b64 exec, exec, s[0:1]
	v_cmp_gt_u32_e64 s[14:15], 14, v16
	s_waitcnt lgkmcnt(0)
	s_barrier
	s_and_b64 s[14:15], s[14:15], s[20:21]
	s_mov_b64 s[0:1], exec
	v_writelane_b32 v27, s14, 9
	v_writelane_b32 v27, s15, 10
	s_and_b64 s[14:15], s[0:1], s[14:15]
	s_mov_b64 exec, s[14:15]
	s_cbranch_execz .LBB18_258
; %bb.257:
	v_lshlrev_b32_e32 v20, 2, v16
	ds_read_b32 v20, v20 offset:11904
	ds_read_b32 v21, v18
	s_waitcnt lgkmcnt(0)
	v_fma_f32 v19, -v20, v21, v19
.LBB18_258:
	s_or_b64 exec, exec, s[0:1]
	v_cmp_eq_u32_e64 s[14:15], 13, v16
	s_barrier
	s_and_b64 s[14:15], s[14:15], s[20:21]
	s_mov_b64 s[0:1], exec
	v_writelane_b32 v27, s14, 11
	v_writelane_b32 v27, s15, 12
	s_and_b64 s[14:15], s[0:1], s[14:15]
	s_mov_b64 exec, s[14:15]
	s_cbranch_execz .LBB18_260
; %bb.259:
	v_mov_b32_e32 v20, 0
	ds_read_b32 v20, v20 offset:11700
	s_waitcnt lgkmcnt(0)
	v_mul_f32_e32 v19, v19, v20
	v_xor_b32_e32 v20, 0x80000000, v19
	ds_write_b32 v18, v20
.LBB18_260:
	s_or_b64 exec, exec, s[0:1]
	v_cmp_gt_u32_e64 s[14:15], 13, v16
	;; [unrolled: 36-line block ×12, first 2 shown]
	s_and_b64 s[0:1], s[14:15], s[20:21]
	s_waitcnt lgkmcnt(0)
	s_barrier
	s_and_saveexec_b64 s[14:15], s[0:1]
	s_cbranch_execz .LBB18_302
; %bb.301:
	v_lshlrev_b32_e32 v20, 2, v16
	ds_read_b32 v20, v20 offset:9088
	ds_read_b32 v21, v18
	s_waitcnt lgkmcnt(0)
	v_fma_f32 v19, -v20, v21, v19
.LBB18_302:
	s_or_b64 exec, exec, s[14:15]
	v_cmp_eq_u32_e64 s[14:15], 2, v16
	s_barrier
	s_and_b64 s[16:17], s[14:15], s[20:21]
	s_mov_b64 s[14:15], exec
	v_writelane_b32 v27, s16, 53
	v_writelane_b32 v27, s17, 54
	s_and_b64 s[16:17], s[14:15], s[16:17]
	s_mov_b64 exec, s[16:17]
	s_cbranch_execz .LBB18_304
; %bb.303:
	v_mov_b32_e32 v20, 0
	ds_read_b32 v20, v20 offset:8840
	s_waitcnt lgkmcnt(0)
	v_mul_f32_e32 v19, v19, v20
	v_xor_b32_e32 v20, 0x80000000, v19
	ds_write_b32 v18, v20
.LBB18_304:
	s_or_b64 exec, exec, s[14:15]
	v_cmp_gt_u32_e64 s[14:15], 2, v16
	s_and_b64 s[82:83], s[14:15], s[20:21]
	s_waitcnt lgkmcnt(0)
	s_barrier
	s_and_saveexec_b64 s[14:15], s[82:83]
	s_cbranch_execz .LBB18_306
; %bb.305:
	v_lshlrev_b32_e32 v20, 2, v16
	ds_read_b32 v20, v20 offset:8832
	ds_read_b32 v21, v18
	s_waitcnt lgkmcnt(0)
	v_fma_f32 v19, -v20, v21, v19
.LBB18_306:
	s_or_b64 exec, exec, s[14:15]
	v_cmp_eq_u32_e64 s[14:15], 1, v16
	s_and_b64 s[84:85], s[14:15], s[20:21]
	s_barrier
	s_and_saveexec_b64 s[14:15], s[84:85]
	s_cbranch_execz .LBB18_308
; %bb.307:
	v_mov_b32_e32 v20, 0
	ds_read_b32 v20, v20 offset:8580
	s_waitcnt lgkmcnt(0)
	v_mul_f32_e32 v19, v19, v20
	v_xor_b32_e32 v20, 0x80000000, v19
	ds_write_b32 v18, v20
.LBB18_308:
	s_or_b64 exec, exec, s[14:15]
	v_cmp_eq_u32_e64 s[14:15], 0, v16
	s_and_b64 s[86:87], s[14:15], s[20:21]
	s_waitcnt lgkmcnt(0)
	s_barrier
	s_and_saveexec_b64 s[14:15], s[86:87]
	s_cbranch_execz .LBB18_310
; %bb.309:
	v_mov_b32_e32 v20, 0
	ds_read_b32 v20, v20 offset:8576
	ds_read_b32 v21, v18
	s_waitcnt lgkmcnt(0)
	v_fma_f32 v19, -v20, v21, v19
.LBB18_310:
	s_or_b64 exec, exec, s[14:15]
	s_barrier
	s_and_saveexec_b64 s[14:15], s[86:87]
	s_cbranch_execz .LBB18_312
; %bb.311:
	v_mov_b32_e32 v20, 0
	ds_read_b32 v20, v20 offset:8320
	s_waitcnt lgkmcnt(0)
	v_mul_f32_e32 v19, v19, v20
	v_xor_b32_e32 v20, 0x80000000, v19
	ds_write_b32 v18, v20
.LBB18_312:
	s_or_b64 exec, exec, s[14:15]
	s_waitcnt lgkmcnt(0)
	s_barrier
	s_barrier
	s_and_saveexec_b64 s[14:15], s[10:11]
; %bb.313:
	v_lshlrev_b32_e32 v20, 2, v16
	v_lshl_or_b32 v20, v17, 8, v20
	ds_write_b32 v20, v19 offset:12416
; %bb.314:
	s_or_b64 exec, exec, s[14:15]
	v_cmp_gt_u32_e64 s[14:15], 16, v0
	s_and_b64 s[88:89], s[12:13], s[14:15]
	s_waitcnt lgkmcnt(0)
	s_barrier
	s_barrier
	s_and_saveexec_b64 s[14:15], s[88:89]
	s_cbranch_execz .LBB18_316
; %bb.315:
	v_lshlrev_b32_e32 v19, 8, v0
	ds_read_b32 v20, v19 offset:12416
	s_movk_i32 s16, 0xff04
	v_mad_i32_i24 v21, v0, s16, v19
	s_waitcnt lgkmcnt(0)
	ds_write_b32 v21, v20 offset:8384
	ds_read_b32 v20, v19 offset:12420
	s_waitcnt lgkmcnt(0)
	ds_write_b32 v21, v20 offset:8640
	ds_read_b32 v20, v19 offset:12424
	;; [unrolled: 3-line block ×15, first 2 shown]
	s_waitcnt lgkmcnt(0)
	ds_write_b32 v21, v19 offset:12224
.LBB18_316:
	s_or_b64 exec, exec, s[14:15]
	s_waitcnt lgkmcnt(0)
	s_barrier
	s_and_saveexec_b64 s[14:15], vcc
	s_cbranch_execz .LBB18_318
; %bb.317:
	v_mov_b32_e32 v21, 0
	ds_read_b64 v[19:20], v21 offset:12216
	ds_read_b32 v21, v21 offset:11960
	s_movk_i32 s16, 0x2c00
	s_waitcnt lgkmcnt(0)
	v_mul_f32_e32 v20, v21, v20
	v_mul_f32_e32 v19, v19, v20
	v_add_u32_e64 v20, s16, 0
	ds_write2_b32 v20, v19, v19 offset0:175 offset1:238
.LBB18_318:
	s_or_b64 exec, exec, s[14:15]
	v_mov_b32_e32 v19, 0
	s_waitcnt lgkmcnt(0)
	s_barrier
	buffer_wbinvl1_vol
	s_and_saveexec_b64 s[16:17], s[2:3]
	s_cbranch_execz .LBB18_322
; %bb.319:
	v_lshlrev_b32_e32 v19, 8, v3
	v_lshlrev_b32_e32 v20, 2, v1
	ds_read_b32 v21, v20 offset:11952
	ds_read_b32 v19, v19 offset:11960
	v_mov_b32_e32 v20, 0
	v_cmp_gt_u32_e64 s[14:15], 2, v5
	s_waitcnt lgkmcnt(0)
	v_fma_f32 v19, v21, v19, 0
	s_and_saveexec_b64 s[20:21], s[14:15]
	s_cbranch_execz .LBB18_321
; %bb.320:
	v_lshlrev_b32_e32 v21, 2, v0
	ds_read_b32 v21, v21 offset:12208
	ds_read_b32 v20, v20 offset:12220
	s_waitcnt lgkmcnt(0)
	v_fmac_f32_e32 v19, v21, v20
.LBB18_321:
	s_or_b64 exec, exec, s[20:21]
.LBB18_322:
	s_or_b64 exec, exec, s[16:17]
	s_and_saveexec_b64 s[14:15], s[30:31]
	s_cbranch_execz .LBB18_324
; %bb.323:
	v_mov_b32_e32 v20, 0
	ds_read_b32 v20, v20 offset:11700
	s_waitcnt lgkmcnt(0)
	v_mul_f32_e32 v19, v19, v20
	v_xor_b32_e32 v20, 0x80000000, v19
	ds_write_b32 v4, v20
.LBB18_324:
	s_or_b64 exec, exec, s[14:15]
	s_waitcnt lgkmcnt(0)
	s_barrier
	s_and_saveexec_b64 s[14:15], s[26:27]
	s_cbranch_execz .LBB18_326
; %bb.325:
	v_mov_b32_e32 v20, 0
	ds_read_b32 v20, v20 offset:11696
	ds_read_b32 v21, v4
	s_waitcnt lgkmcnt(0)
	v_fma_f32 v19, -v20, v21, v19
.LBB18_326:
	s_or_b64 exec, exec, s[14:15]
	s_barrier
	s_and_saveexec_b64 s[14:15], s[26:27]
	s_cbranch_execz .LBB18_328
; %bb.327:
	v_mov_b32_e32 v20, 0
	ds_read_b32 v20, v20 offset:11440
	s_waitcnt lgkmcnt(0)
	v_mul_f32_e32 v19, v19, v20
	v_xor_b32_e32 v20, 0x80000000, v19
	ds_write_b32 v4, v20
.LBB18_328:
	s_or_b64 exec, exec, s[14:15]
	s_waitcnt lgkmcnt(0)
	s_barrier
	s_barrier
	s_and_saveexec_b64 s[14:15], s[2:3]
; %bb.329:
	v_lshlrev_b32_e32 v20, 2, v1
	v_lshl_or_b32 v20, v3, 8, v20
	ds_write_b32 v20, v19 offset:11952
; %bb.330:
	s_or_b64 exec, exec, s[14:15]
	s_waitcnt lgkmcnt(0)
	s_barrier
	s_barrier
	s_and_saveexec_b64 s[14:15], s[34:35]
	s_cbranch_execz .LBB18_332
; %bb.331:
	v_lshlrev_b32_e32 v19, 2, v0
	s_movk_i32 s16, 0xfc
	v_mad_u32_u24 v20, v0, s16, v19
	ds_read_b32 v21, v20 offset:11952
	s_waitcnt lgkmcnt(0)
	ds_write_b32 v19, v21 offset:11448
	ds_read_b32 v20, v20 offset:11956
	s_waitcnt lgkmcnt(0)
	ds_write_b32 v19, v20 offset:11704
.LBB18_332:
	s_or_b64 exec, exec, s[14:15]
	s_waitcnt lgkmcnt(0)
	s_barrier
	s_and_saveexec_b64 s[14:15], vcc
	s_cbranch_execz .LBB18_334
; %bb.333:
	v_mov_b32_e32 v21, 0
	ds_read_b64 v[19:20], v21 offset:11696
	ds_read_b32 v21, v21 offset:11440
	s_movk_i32 s16, 0x2c00
	s_waitcnt lgkmcnt(0)
	v_mul_f32_e32 v20, v21, v20
	v_mul_f32_e32 v19, v19, v20
	v_add_u32_e64 v20, s16, 0
	ds_write2_b32 v20, v19, v19 offset0:45 offset1:108
.LBB18_334:
	s_or_b64 exec, exec, s[14:15]
	v_mov_b32_e32 v19, 0
	s_waitcnt lgkmcnt(0)
	s_barrier
	buffer_wbinvl1_vol
	s_and_saveexec_b64 s[16:17], s[18:19]
	s_cbranch_execz .LBB18_340
; %bb.335:
	v_lshlrev_b32_e32 v21, 2, v6
	v_lshlrev_b32_e32 v20, 8, v11
	ds_read_b32 v19, v21 offset:11424
	ds_read_b32 v22, v20 offset:11440
	v_cmp_gt_u32_e64 s[14:15], 12, v5
	s_waitcnt lgkmcnt(0)
	v_fma_f32 v19, v19, v22, 0
	s_and_saveexec_b64 s[20:21], s[14:15]
	s_cbranch_execnz .LBB18_1220
; %bb.336:
	s_or_b64 exec, exec, s[20:21]
	v_cmp_gt_u32_e64 s[14:15], 8, v5
	s_and_saveexec_b64 s[20:21], s[14:15]
	s_cbranch_execnz .LBB18_1221
.LBB18_337:
	s_or_b64 exec, exec, s[20:21]
	v_cmp_gt_u32_e64 s[14:15], 4, v5
	s_and_saveexec_b64 s[20:21], s[14:15]
	s_cbranch_execz .LBB18_339
.LBB18_338:
	v_lshlrev_b32_e32 v20, 2, v0
	v_mov_b32_e32 v21, 0
	ds_read_b32 v20, v20 offset:12192
	ds_read_b32 v21, v21 offset:12220
	s_waitcnt lgkmcnt(0)
	v_fmac_f32_e32 v19, v20, v21
.LBB18_339:
	s_or_b64 exec, exec, s[20:21]
.LBB18_340:
	s_or_b64 exec, exec, s[16:17]
	s_and_saveexec_b64 s[14:15], s[38:39]
	s_cbranch_execz .LBB18_342
; %bb.341:
	v_mov_b32_e32 v20, 0
	ds_read_b32 v20, v20 offset:11180
	s_waitcnt lgkmcnt(0)
	v_mul_f32_e32 v19, v19, v20
	v_xor_b32_e32 v20, 0x80000000, v19
	ds_write_b32 v12, v20
.LBB18_342:
	s_or_b64 exec, exec, s[14:15]
	s_waitcnt lgkmcnt(0)
	s_barrier
	s_and_saveexec_b64 s[14:15], s[40:41]
	s_cbranch_execz .LBB18_344
; %bb.343:
	v_lshlrev_b32_e32 v20, 2, v6
	ds_read_b32 v20, v20 offset:11168
	ds_read_b32 v21, v12
	s_waitcnt lgkmcnt(0)
	v_fma_f32 v19, -v20, v21, v19
.LBB18_344:
	s_or_b64 exec, exec, s[14:15]
	s_barrier
	s_and_saveexec_b64 s[14:15], s[42:43]
	s_cbranch_execz .LBB18_346
; %bb.345:
	v_mov_b32_e32 v20, 0
	ds_read_b32 v20, v20 offset:10920
	s_waitcnt lgkmcnt(0)
	v_mul_f32_e32 v19, v19, v20
	v_xor_b32_e32 v20, 0x80000000, v19
	ds_write_b32 v12, v20
.LBB18_346:
	s_or_b64 exec, exec, s[14:15]
	s_waitcnt lgkmcnt(0)
	s_barrier
	s_and_saveexec_b64 s[14:15], s[44:45]
	s_cbranch_execz .LBB18_348
; %bb.347:
	v_lshlrev_b32_e32 v20, 2, v6
	ds_read_b32 v20, v20 offset:10912
	ds_read_b32 v21, v12
	s_waitcnt lgkmcnt(0)
	v_fma_f32 v19, -v20, v21, v19
.LBB18_348:
	s_or_b64 exec, exec, s[14:15]
	s_barrier
	s_and_saveexec_b64 s[14:15], s[46:47]
	s_cbranch_execz .LBB18_350
; %bb.349:
	v_mov_b32_e32 v20, 0
	ds_read_b32 v20, v20 offset:10660
	s_waitcnt lgkmcnt(0)
	v_mul_f32_e32 v19, v19, v20
	v_xor_b32_e32 v20, 0x80000000, v19
	ds_write_b32 v12, v20
.LBB18_350:
	s_or_b64 exec, exec, s[14:15]
	s_waitcnt lgkmcnt(0)
	s_barrier
	s_and_saveexec_b64 s[14:15], s[36:37]
	s_cbranch_execz .LBB18_352
; %bb.351:
	v_mov_b32_e32 v20, 0
	ds_read_b32 v20, v20 offset:10656
	ds_read_b32 v21, v12
	s_waitcnt lgkmcnt(0)
	v_fma_f32 v19, -v20, v21, v19
.LBB18_352:
	s_or_b64 exec, exec, s[14:15]
	s_barrier
	s_and_saveexec_b64 s[14:15], s[36:37]
	s_cbranch_execz .LBB18_354
; %bb.353:
	v_mov_b32_e32 v20, 0
	ds_read_b32 v20, v20 offset:10400
	s_waitcnt lgkmcnt(0)
	v_mul_f32_e32 v19, v19, v20
	v_xor_b32_e32 v20, 0x80000000, v19
	ds_write_b32 v12, v20
.LBB18_354:
	s_or_b64 exec, exec, s[14:15]
	s_waitcnt lgkmcnt(0)
	s_barrier
	s_barrier
	s_and_saveexec_b64 s[14:15], s[18:19]
; %bb.355:
	v_lshlrev_b32_e32 v20, 2, v6
	v_lshl_or_b32 v20, v11, 8, v20
	ds_write_b32 v20, v19 offset:11424
; %bb.356:
	s_or_b64 exec, exec, s[14:15]
	s_waitcnt lgkmcnt(0)
	s_barrier
	s_barrier
	s_and_saveexec_b64 s[14:15], s[48:49]
	s_cbranch_execz .LBB18_358
; %bb.357:
	v_lshlrev_b32_e32 v19, 8, v0
	ds_read_b32 v20, v19 offset:11424
	s_movk_i32 s16, 0xff04
	v_mad_i32_i24 v21, v0, s16, v19
	s_waitcnt lgkmcnt(0)
	ds_write_b32 v21, v20 offset:10416
	ds_read_b32 v20, v19 offset:11428
	s_waitcnt lgkmcnt(0)
	ds_write_b32 v21, v20 offset:10672
	ds_read_b32 v20, v19 offset:11432
	;; [unrolled: 3-line block ×3, first 2 shown]
	s_waitcnt lgkmcnt(0)
	ds_write_b32 v21, v19 offset:11184
.LBB18_358:
	s_or_b64 exec, exec, s[14:15]
	s_waitcnt lgkmcnt(0)
	s_barrier
	s_and_saveexec_b64 s[14:15], vcc
	s_cbranch_execz .LBB18_360
; %bb.359:
	v_mov_b32_e32 v21, 0
	ds_read_b64 v[19:20], v21 offset:11176
	ds_read_b32 v21, v21 offset:10920
	s_movk_i32 s16, 0x2800
	s_waitcnt lgkmcnt(0)
	v_mul_f32_e32 v20, v21, v20
	v_mul_f32_e32 v19, v19, v20
	v_add_u32_e64 v20, s16, 0
	ds_write2_b32 v20, v19, v19 offset0:171 offset1:234
.LBB18_360:
	s_or_b64 exec, exec, s[14:15]
	v_mov_b32_e32 v19, 0
	s_waitcnt lgkmcnt(0)
	s_barrier
	buffer_wbinvl1_vol
	s_and_saveexec_b64 s[16:17], s[2:3]
	s_cbranch_execz .LBB18_364
; %bb.361:
	v_lshlrev_b32_e32 v19, 8, v3
	v_lshlrev_b32_e32 v20, 2, v1
	ds_read_b32 v21, v20 offset:10912
	ds_read_b32 v19, v19 offset:10920
	v_mov_b32_e32 v20, 0
	v_cmp_gt_u32_e64 s[14:15], 2, v5
	s_waitcnt lgkmcnt(0)
	v_fma_f32 v19, v21, v19, 0
	s_and_saveexec_b64 s[20:21], s[14:15]
	s_cbranch_execz .LBB18_363
; %bb.362:
	v_lshlrev_b32_e32 v21, 2, v0
	ds_read_b32 v21, v21 offset:11168
	ds_read_b32 v20, v20 offset:11180
	s_waitcnt lgkmcnt(0)
	v_fmac_f32_e32 v19, v21, v20
.LBB18_363:
	s_or_b64 exec, exec, s[20:21]
.LBB18_364:
	s_or_b64 exec, exec, s[16:17]
	s_and_saveexec_b64 s[14:15], s[30:31]
	s_cbranch_execz .LBB18_366
; %bb.365:
	v_mov_b32_e32 v20, 0
	ds_read_b32 v20, v20 offset:10660
	s_waitcnt lgkmcnt(0)
	v_mul_f32_e32 v19, v19, v20
	v_xor_b32_e32 v20, 0x80000000, v19
	ds_write_b32 v4, v20
.LBB18_366:
	s_or_b64 exec, exec, s[14:15]
	s_waitcnt lgkmcnt(0)
	s_barrier
	s_and_saveexec_b64 s[14:15], s[26:27]
	s_cbranch_execz .LBB18_368
; %bb.367:
	v_mov_b32_e32 v20, 0
	ds_read_b32 v20, v20 offset:10656
	ds_read_b32 v21, v4
	s_waitcnt lgkmcnt(0)
	v_fma_f32 v19, -v20, v21, v19
.LBB18_368:
	s_or_b64 exec, exec, s[14:15]
	s_barrier
	s_and_saveexec_b64 s[14:15], s[26:27]
	s_cbranch_execz .LBB18_370
; %bb.369:
	v_mov_b32_e32 v20, 0
	ds_read_b32 v20, v20 offset:10400
	s_waitcnt lgkmcnt(0)
	v_mul_f32_e32 v19, v19, v20
	v_xor_b32_e32 v20, 0x80000000, v19
	ds_write_b32 v4, v20
.LBB18_370:
	s_or_b64 exec, exec, s[14:15]
	s_waitcnt lgkmcnt(0)
	s_barrier
	s_barrier
	s_and_saveexec_b64 s[14:15], s[2:3]
; %bb.371:
	v_lshlrev_b32_e32 v20, 2, v1
	v_lshl_or_b32 v20, v3, 8, v20
	ds_write_b32 v20, v19 offset:10912
; %bb.372:
	s_or_b64 exec, exec, s[14:15]
	s_waitcnt lgkmcnt(0)
	s_barrier
	s_barrier
	s_and_saveexec_b64 s[14:15], s[34:35]
	s_cbranch_execz .LBB18_374
; %bb.373:
	v_lshlrev_b32_e32 v19, 2, v0
	s_movk_i32 s16, 0xfc
	v_mad_u32_u24 v20, v0, s16, v19
	ds_read_b32 v21, v20 offset:10912
	s_waitcnt lgkmcnt(0)
	ds_write_b32 v19, v21 offset:10408
	ds_read_b32 v20, v20 offset:10916
	s_waitcnt lgkmcnt(0)
	ds_write_b32 v19, v20 offset:10664
.LBB18_374:
	s_or_b64 exec, exec, s[14:15]
	s_waitcnt lgkmcnt(0)
	s_barrier
	s_and_saveexec_b64 s[14:15], vcc
	s_cbranch_execz .LBB18_376
; %bb.375:
	v_mov_b32_e32 v21, 0
	ds_read_b64 v[19:20], v21 offset:10656
	ds_read_b32 v21, v21 offset:10400
	s_movk_i32 s16, 0x2800
	s_waitcnt lgkmcnt(0)
	v_mul_f32_e32 v20, v21, v20
	v_mul_f32_e32 v19, v19, v20
	v_add_u32_e64 v20, s16, 0
	ds_write2_b32 v20, v19, v19 offset0:41 offset1:104
.LBB18_376:
	s_or_b64 exec, exec, s[14:15]
	v_mov_b32_e32 v19, 0
	s_waitcnt lgkmcnt(0)
	s_barrier
	buffer_wbinvl1_vol
	s_and_saveexec_b64 s[16:17], s[8:9]
	s_cbranch_execz .LBB18_386
; %bb.377:
	v_lshlrev_b32_e32 v21, 2, v13
	v_lshlrev_b32_e32 v20, 8, v14
	ds_read_b32 v19, v21 offset:10368
	ds_read_b32 v22, v20 offset:10400
	v_cmp_gt_u32_e64 s[14:15], 56, v5
	s_waitcnt lgkmcnt(0)
	v_fma_f32 v19, v19, v22, 0
	s_and_saveexec_b64 s[20:21], s[14:15]
	s_cbranch_execnz .LBB18_1222
; %bb.378:
	s_or_b64 exec, exec, s[20:21]
	v_cmp_gt_u32_e64 s[14:15], 48, v5
	s_and_saveexec_b64 s[20:21], s[14:15]
	s_cbranch_execnz .LBB18_1223
.LBB18_379:
	s_or_b64 exec, exec, s[20:21]
	v_cmp_gt_u32_e64 s[14:15], 40, v5
	s_and_saveexec_b64 s[20:21], s[14:15]
	s_cbranch_execnz .LBB18_1224
.LBB18_380:
	s_or_b64 exec, exec, s[20:21]
	v_cmp_gt_u32_e64 s[14:15], 32, v5
	s_and_saveexec_b64 s[20:21], s[14:15]
	s_cbranch_execnz .LBB18_1225
.LBB18_381:
	s_or_b64 exec, exec, s[20:21]
	v_cmp_gt_u32_e64 s[14:15], 24, v5
	s_and_saveexec_b64 s[20:21], s[14:15]
	s_cbranch_execnz .LBB18_1226
.LBB18_382:
	s_or_b64 exec, exec, s[20:21]
	s_and_saveexec_b64 s[14:15], s[18:19]
	s_cbranch_execnz .LBB18_1227
.LBB18_383:
	s_or_b64 exec, exec, s[14:15]
	v_cmp_gt_u32_e64 s[14:15], 8, v5
	s_and_saveexec_b64 s[20:21], s[14:15]
	s_cbranch_execz .LBB18_385
.LBB18_384:
	v_lshlrev_b32_e32 v20, 2, v0
	v_mov_b32_e32 v21, 0
	ds_read_b32 v20, v20 offset:12160
	ds_read_b32 v21, v21 offset:12220
	s_waitcnt lgkmcnt(0)
	v_fmac_f32_e32 v19, v20, v21
.LBB18_385:
	s_or_b64 exec, exec, s[20:21]
.LBB18_386:
	s_or_b64 exec, exec, s[16:17]
	s_and_saveexec_b64 s[14:15], s[50:51]
	s_cbranch_execz .LBB18_388
; %bb.387:
	v_mov_b32_e32 v20, 0
	ds_read_b32 v20, v20 offset:10140
	s_waitcnt lgkmcnt(0)
	v_mul_f32_e32 v19, v19, v20
	v_xor_b32_e32 v20, 0x80000000, v19
	ds_write_b32 v15, v20
.LBB18_388:
	s_or_b64 exec, exec, s[14:15]
	s_waitcnt lgkmcnt(0)
	s_barrier
	s_and_saveexec_b64 s[14:15], s[52:53]
	s_cbranch_execz .LBB18_390
; %bb.389:
	v_lshlrev_b32_e32 v20, 2, v13
	ds_read_b32 v20, v20 offset:10112
	ds_read_b32 v21, v15
	s_waitcnt lgkmcnt(0)
	v_fma_f32 v19, -v20, v21, v19
.LBB18_390:
	s_or_b64 exec, exec, s[14:15]
	s_barrier
	s_and_saveexec_b64 s[14:15], s[54:55]
	s_cbranch_execz .LBB18_392
; %bb.391:
	v_mov_b32_e32 v20, 0
	ds_read_b32 v20, v20 offset:9880
	s_waitcnt lgkmcnt(0)
	v_mul_f32_e32 v19, v19, v20
	v_xor_b32_e32 v20, 0x80000000, v19
	ds_write_b32 v15, v20
.LBB18_392:
	s_or_b64 exec, exec, s[14:15]
	s_waitcnt lgkmcnt(0)
	s_barrier
	s_and_saveexec_b64 s[14:15], s[56:57]
	s_cbranch_execz .LBB18_394
; %bb.393:
	v_lshlrev_b32_e32 v20, 2, v13
	ds_read_b32 v20, v20 offset:9856
	ds_read_b32 v21, v15
	s_waitcnt lgkmcnt(0)
	v_fma_f32 v19, -v20, v21, v19
.LBB18_394:
	s_or_b64 exec, exec, s[14:15]
	s_barrier
	s_and_saveexec_b64 s[14:15], s[58:59]
	s_cbranch_execz .LBB18_396
; %bb.395:
	v_mov_b32_e32 v20, 0
	ds_read_b32 v20, v20 offset:9620
	s_waitcnt lgkmcnt(0)
	v_mul_f32_e32 v19, v19, v20
	v_xor_b32_e32 v20, 0x80000000, v19
	ds_write_b32 v15, v20
.LBB18_396:
	s_or_b64 exec, exec, s[14:15]
	s_waitcnt lgkmcnt(0)
	s_barrier
	s_and_saveexec_b64 s[14:15], s[62:63]
	s_cbranch_execz .LBB18_398
; %bb.397:
	v_lshlrev_b32_e32 v20, 2, v13
	ds_read_b32 v20, v20 offset:9600
	ds_read_b32 v21, v15
	s_waitcnt lgkmcnt(0)
	v_fma_f32 v19, -v20, v21, v19
.LBB18_398:
	s_or_b64 exec, exec, s[14:15]
	s_barrier
	s_and_saveexec_b64 s[14:15], s[64:65]
	s_cbranch_execz .LBB18_400
; %bb.399:
	v_mov_b32_e32 v20, 0
	ds_read_b32 v20, v20 offset:9360
	s_waitcnt lgkmcnt(0)
	v_mul_f32_e32 v19, v19, v20
	v_xor_b32_e32 v20, 0x80000000, v19
	ds_write_b32 v15, v20
.LBB18_400:
	s_or_b64 exec, exec, s[14:15]
	s_waitcnt lgkmcnt(0)
	s_barrier
	s_and_saveexec_b64 s[14:15], s[66:67]
	s_cbranch_execz .LBB18_402
; %bb.401:
	v_lshlrev_b32_e32 v20, 2, v13
	ds_read_b32 v20, v20 offset:9344
	ds_read_b32 v21, v15
	s_waitcnt lgkmcnt(0)
	v_fma_f32 v19, -v20, v21, v19
.LBB18_402:
	s_or_b64 exec, exec, s[14:15]
	s_barrier
	s_and_saveexec_b64 s[14:15], s[68:69]
	s_cbranch_execz .LBB18_404
; %bb.403:
	v_mov_b32_e32 v20, 0
	ds_read_b32 v20, v20 offset:9100
	s_waitcnt lgkmcnt(0)
	v_mul_f32_e32 v19, v19, v20
	v_xor_b32_e32 v20, 0x80000000, v19
	ds_write_b32 v15, v20
.LBB18_404:
	s_or_b64 exec, exec, s[14:15]
	s_waitcnt lgkmcnt(0)
	s_barrier
	s_and_saveexec_b64 s[14:15], s[70:71]
	s_cbranch_execz .LBB18_406
; %bb.405:
	v_lshlrev_b32_e32 v20, 2, v13
	ds_read_b32 v20, v20 offset:9088
	ds_read_b32 v21, v15
	s_waitcnt lgkmcnt(0)
	v_fma_f32 v19, -v20, v21, v19
.LBB18_406:
	s_or_b64 exec, exec, s[14:15]
	s_barrier
	s_and_saveexec_b64 s[14:15], s[72:73]
	s_cbranch_execz .LBB18_408
; %bb.407:
	v_mov_b32_e32 v20, 0
	ds_read_b32 v20, v20 offset:8840
	s_waitcnt lgkmcnt(0)
	v_mul_f32_e32 v19, v19, v20
	v_xor_b32_e32 v20, 0x80000000, v19
	ds_write_b32 v15, v20
.LBB18_408:
	s_or_b64 exec, exec, s[14:15]
	s_waitcnt lgkmcnt(0)
	s_barrier
	s_and_saveexec_b64 s[14:15], s[74:75]
	s_cbranch_execz .LBB18_410
; %bb.409:
	v_lshlrev_b32_e32 v20, 2, v13
	ds_read_b32 v20, v20 offset:8832
	ds_read_b32 v21, v15
	s_waitcnt lgkmcnt(0)
	v_fma_f32 v19, -v20, v21, v19
.LBB18_410:
	s_or_b64 exec, exec, s[14:15]
	s_barrier
	s_and_saveexec_b64 s[14:15], s[76:77]
	s_cbranch_execz .LBB18_412
; %bb.411:
	v_mov_b32_e32 v20, 0
	ds_read_b32 v20, v20 offset:8580
	s_waitcnt lgkmcnt(0)
	v_mul_f32_e32 v19, v19, v20
	v_xor_b32_e32 v20, 0x80000000, v19
	ds_write_b32 v15, v20
.LBB18_412:
	s_or_b64 exec, exec, s[14:15]
	s_waitcnt lgkmcnt(0)
	s_barrier
	s_and_saveexec_b64 s[14:15], s[60:61]
	s_cbranch_execz .LBB18_414
; %bb.413:
	v_mov_b32_e32 v20, 0
	ds_read_b32 v20, v20 offset:8576
	ds_read_b32 v21, v15
	s_waitcnt lgkmcnt(0)
	v_fma_f32 v19, -v20, v21, v19
.LBB18_414:
	s_or_b64 exec, exec, s[14:15]
	s_barrier
	s_and_saveexec_b64 s[14:15], s[60:61]
	s_cbranch_execz .LBB18_416
; %bb.415:
	v_mov_b32_e32 v20, 0
	ds_read_b32 v20, v20 offset:8320
	s_waitcnt lgkmcnt(0)
	v_mul_f32_e32 v19, v19, v20
	v_xor_b32_e32 v20, 0x80000000, v19
	ds_write_b32 v15, v20
.LBB18_416:
	s_or_b64 exec, exec, s[14:15]
	s_waitcnt lgkmcnt(0)
	s_barrier
	s_barrier
	s_and_saveexec_b64 s[14:15], s[8:9]
; %bb.417:
	v_lshlrev_b32_e32 v20, 2, v13
	v_lshl_or_b32 v20, v14, 8, v20
	ds_write_b32 v20, v19 offset:10368
; %bb.418:
	s_or_b64 exec, exec, s[14:15]
	s_waitcnt lgkmcnt(0)
	s_barrier
	s_barrier
	s_and_saveexec_b64 s[14:15], s[78:79]
	s_cbranch_execz .LBB18_420
; %bb.419:
	v_lshlrev_b32_e32 v19, 8, v0
	ds_read_b32 v20, v19 offset:10368
	s_movk_i32 s16, 0xff04
	v_mad_i32_i24 v21, v0, s16, v19
	s_waitcnt lgkmcnt(0)
	ds_write_b32 v21, v20 offset:8352
	ds_read_b32 v20, v19 offset:10372
	s_waitcnt lgkmcnt(0)
	ds_write_b32 v21, v20 offset:8608
	ds_read_b32 v20, v19 offset:10376
	;; [unrolled: 3-line block ×7, first 2 shown]
	s_waitcnt lgkmcnt(0)
	ds_write_b32 v21, v19 offset:10144
.LBB18_420:
	s_or_b64 exec, exec, s[14:15]
	s_waitcnt lgkmcnt(0)
	s_barrier
	s_and_saveexec_b64 s[14:15], vcc
	s_cbranch_execz .LBB18_422
; %bb.421:
	v_mov_b32_e32 v21, 0
	ds_read_b64 v[19:20], v21 offset:10136
	ds_read_b32 v21, v21 offset:9880
	s_movk_i32 s16, 0x2400
	s_waitcnt lgkmcnt(0)
	v_mul_f32_e32 v20, v21, v20
	v_mul_f32_e32 v19, v19, v20
	v_add_u32_e64 v20, s16, 0
	ds_write2_b32 v20, v19, v19 offset0:167 offset1:230
.LBB18_422:
	s_or_b64 exec, exec, s[14:15]
	v_mov_b32_e32 v19, 0
	s_waitcnt lgkmcnt(0)
	s_barrier
	buffer_wbinvl1_vol
	s_and_saveexec_b64 s[16:17], s[2:3]
	s_cbranch_execz .LBB18_426
; %bb.423:
	v_lshlrev_b32_e32 v19, 8, v3
	v_lshlrev_b32_e32 v20, 2, v1
	ds_read_b32 v21, v20 offset:9872
	ds_read_b32 v19, v19 offset:9880
	v_mov_b32_e32 v20, 0
	v_cmp_gt_u32_e64 s[14:15], 2, v5
	s_waitcnt lgkmcnt(0)
	v_fma_f32 v19, v21, v19, 0
	s_and_saveexec_b64 s[20:21], s[14:15]
	s_cbranch_execz .LBB18_425
; %bb.424:
	v_lshlrev_b32_e32 v21, 2, v0
	ds_read_b32 v21, v21 offset:10128
	ds_read_b32 v20, v20 offset:10140
	s_waitcnt lgkmcnt(0)
	v_fmac_f32_e32 v19, v21, v20
.LBB18_425:
	s_or_b64 exec, exec, s[20:21]
.LBB18_426:
	s_or_b64 exec, exec, s[16:17]
	s_and_saveexec_b64 s[14:15], s[30:31]
	s_cbranch_execz .LBB18_428
; %bb.427:
	v_mov_b32_e32 v20, 0
	ds_read_b32 v20, v20 offset:9620
	s_waitcnt lgkmcnt(0)
	v_mul_f32_e32 v19, v19, v20
	v_xor_b32_e32 v20, 0x80000000, v19
	ds_write_b32 v4, v20
.LBB18_428:
	s_or_b64 exec, exec, s[14:15]
	s_waitcnt lgkmcnt(0)
	s_barrier
	s_and_saveexec_b64 s[14:15], s[26:27]
	s_cbranch_execz .LBB18_430
; %bb.429:
	v_mov_b32_e32 v20, 0
	ds_read_b32 v20, v20 offset:9616
	ds_read_b32 v21, v4
	s_waitcnt lgkmcnt(0)
	v_fma_f32 v19, -v20, v21, v19
.LBB18_430:
	s_or_b64 exec, exec, s[14:15]
	s_barrier
	s_and_saveexec_b64 s[14:15], s[26:27]
	s_cbranch_execz .LBB18_432
; %bb.431:
	v_mov_b32_e32 v20, 0
	ds_read_b32 v20, v20 offset:9360
	s_waitcnt lgkmcnt(0)
	v_mul_f32_e32 v19, v19, v20
	v_xor_b32_e32 v20, 0x80000000, v19
	ds_write_b32 v4, v20
.LBB18_432:
	s_or_b64 exec, exec, s[14:15]
	s_waitcnt lgkmcnt(0)
	s_barrier
	s_barrier
	s_and_saveexec_b64 s[14:15], s[2:3]
; %bb.433:
	v_lshlrev_b32_e32 v20, 2, v1
	v_lshl_or_b32 v20, v3, 8, v20
	ds_write_b32 v20, v19 offset:9872
; %bb.434:
	s_or_b64 exec, exec, s[14:15]
	s_waitcnt lgkmcnt(0)
	s_barrier
	s_barrier
	s_and_saveexec_b64 s[14:15], s[34:35]
	s_cbranch_execz .LBB18_436
; %bb.435:
	v_lshlrev_b32_e32 v19, 2, v0
	s_movk_i32 s16, 0xfc
	v_mad_u32_u24 v20, v0, s16, v19
	ds_read_b32 v21, v20 offset:9872
	s_waitcnt lgkmcnt(0)
	ds_write_b32 v19, v21 offset:9368
	ds_read_b32 v20, v20 offset:9876
	s_waitcnt lgkmcnt(0)
	ds_write_b32 v19, v20 offset:9624
.LBB18_436:
	s_or_b64 exec, exec, s[14:15]
	s_waitcnt lgkmcnt(0)
	s_barrier
	s_and_saveexec_b64 s[14:15], vcc
	s_cbranch_execz .LBB18_438
; %bb.437:
	v_mov_b32_e32 v21, 0
	ds_read_b64 v[19:20], v21 offset:9616
	ds_read_b32 v21, v21 offset:9360
	s_movk_i32 s16, 0x2400
	s_waitcnt lgkmcnt(0)
	v_mul_f32_e32 v20, v21, v20
	v_mul_f32_e32 v19, v19, v20
	v_add_u32_e64 v20, s16, 0
	ds_write2_b32 v20, v19, v19 offset0:37 offset1:100
.LBB18_438:
	s_or_b64 exec, exec, s[14:15]
	v_mov_b32_e32 v19, 0
	s_waitcnt lgkmcnt(0)
	s_barrier
	buffer_wbinvl1_vol
	s_and_saveexec_b64 s[16:17], s[18:19]
	s_cbranch_execz .LBB18_444
; %bb.439:
	v_lshlrev_b32_e32 v21, 2, v6
	v_lshlrev_b32_e32 v20, 8, v11
	ds_read_b32 v19, v21 offset:9344
	ds_read_b32 v22, v20 offset:9360
	v_cmp_gt_u32_e64 s[14:15], 12, v5
	s_waitcnt lgkmcnt(0)
	v_fma_f32 v19, v19, v22, 0
	s_and_saveexec_b64 s[20:21], s[14:15]
	s_cbranch_execnz .LBB18_1228
; %bb.440:
	s_or_b64 exec, exec, s[20:21]
	v_cmp_gt_u32_e64 s[14:15], 8, v5
	s_and_saveexec_b64 s[20:21], s[14:15]
	s_cbranch_execnz .LBB18_1229
.LBB18_441:
	s_or_b64 exec, exec, s[20:21]
	v_cmp_gt_u32_e64 s[14:15], 4, v5
	s_and_saveexec_b64 s[20:21], s[14:15]
	s_cbranch_execz .LBB18_443
.LBB18_442:
	v_lshlrev_b32_e32 v20, 2, v0
	v_mov_b32_e32 v21, 0
	ds_read_b32 v20, v20 offset:10112
	ds_read_b32 v21, v21 offset:10140
	s_waitcnt lgkmcnt(0)
	v_fmac_f32_e32 v19, v20, v21
.LBB18_443:
	s_or_b64 exec, exec, s[20:21]
.LBB18_444:
	s_or_b64 exec, exec, s[16:17]
	s_and_saveexec_b64 s[14:15], s[38:39]
	s_cbranch_execz .LBB18_446
; %bb.445:
	v_mov_b32_e32 v20, 0
	ds_read_b32 v20, v20 offset:9100
	s_waitcnt lgkmcnt(0)
	v_mul_f32_e32 v19, v19, v20
	v_xor_b32_e32 v20, 0x80000000, v19
	ds_write_b32 v12, v20
.LBB18_446:
	s_or_b64 exec, exec, s[14:15]
	s_waitcnt lgkmcnt(0)
	s_barrier
	s_and_saveexec_b64 s[14:15], s[40:41]
	s_cbranch_execz .LBB18_448
; %bb.447:
	v_lshlrev_b32_e32 v20, 2, v6
	ds_read_b32 v20, v20 offset:9088
	ds_read_b32 v21, v12
	s_waitcnt lgkmcnt(0)
	v_fma_f32 v19, -v20, v21, v19
.LBB18_448:
	s_or_b64 exec, exec, s[14:15]
	s_barrier
	s_and_saveexec_b64 s[14:15], s[42:43]
	s_cbranch_execz .LBB18_450
; %bb.449:
	v_mov_b32_e32 v20, 0
	ds_read_b32 v20, v20 offset:8840
	s_waitcnt lgkmcnt(0)
	v_mul_f32_e32 v19, v19, v20
	v_xor_b32_e32 v20, 0x80000000, v19
	ds_write_b32 v12, v20
.LBB18_450:
	s_or_b64 exec, exec, s[14:15]
	s_waitcnt lgkmcnt(0)
	s_barrier
	s_and_saveexec_b64 s[14:15], s[44:45]
	s_cbranch_execz .LBB18_452
; %bb.451:
	v_lshlrev_b32_e32 v20, 2, v6
	ds_read_b32 v20, v20 offset:8832
	ds_read_b32 v21, v12
	s_waitcnt lgkmcnt(0)
	v_fma_f32 v19, -v20, v21, v19
.LBB18_452:
	s_or_b64 exec, exec, s[14:15]
	s_barrier
	s_and_saveexec_b64 s[14:15], s[46:47]
	s_cbranch_execz .LBB18_454
; %bb.453:
	v_mov_b32_e32 v20, 0
	ds_read_b32 v20, v20 offset:8580
	s_waitcnt lgkmcnt(0)
	v_mul_f32_e32 v19, v19, v20
	v_xor_b32_e32 v20, 0x80000000, v19
	ds_write_b32 v12, v20
.LBB18_454:
	s_or_b64 exec, exec, s[14:15]
	s_waitcnt lgkmcnt(0)
	s_barrier
	s_and_saveexec_b64 s[14:15], s[36:37]
	s_cbranch_execz .LBB18_456
; %bb.455:
	v_mov_b32_e32 v20, 0
	ds_read_b32 v20, v20 offset:8576
	ds_read_b32 v21, v12
	s_waitcnt lgkmcnt(0)
	v_fma_f32 v19, -v20, v21, v19
.LBB18_456:
	s_or_b64 exec, exec, s[14:15]
	s_barrier
	s_and_saveexec_b64 s[14:15], s[36:37]
	s_cbranch_execz .LBB18_458
; %bb.457:
	v_mov_b32_e32 v20, 0
	ds_read_b32 v20, v20 offset:8320
	s_waitcnt lgkmcnt(0)
	v_mul_f32_e32 v19, v19, v20
	v_xor_b32_e32 v20, 0x80000000, v19
	ds_write_b32 v12, v20
.LBB18_458:
	s_or_b64 exec, exec, s[14:15]
	s_waitcnt lgkmcnt(0)
	s_barrier
	s_barrier
	s_and_saveexec_b64 s[14:15], s[18:19]
; %bb.459:
	v_lshlrev_b32_e32 v20, 2, v6
	v_lshl_or_b32 v20, v11, 8, v20
	ds_write_b32 v20, v19 offset:9344
; %bb.460:
	s_or_b64 exec, exec, s[14:15]
	s_waitcnt lgkmcnt(0)
	s_barrier
	s_barrier
	s_and_saveexec_b64 s[14:15], s[48:49]
	s_cbranch_execz .LBB18_462
; %bb.461:
	v_lshlrev_b32_e32 v19, 8, v0
	ds_read_b32 v20, v19 offset:9344
	s_movk_i32 s16, 0xff04
	v_mad_i32_i24 v21, v0, s16, v19
	s_waitcnt lgkmcnt(0)
	ds_write_b32 v21, v20 offset:8336
	ds_read_b32 v20, v19 offset:9348
	s_waitcnt lgkmcnt(0)
	ds_write_b32 v21, v20 offset:8592
	ds_read_b32 v20, v19 offset:9352
	s_waitcnt lgkmcnt(0)
	ds_write_b32 v21, v20 offset:8848
	ds_read_b32 v19, v19 offset:9356
	s_waitcnt lgkmcnt(0)
	ds_write_b32 v21, v19 offset:9104
.LBB18_462:
	s_or_b64 exec, exec, s[14:15]
	s_waitcnt lgkmcnt(0)
	s_barrier
	s_and_saveexec_b64 s[14:15], vcc
	s_cbranch_execz .LBB18_464
; %bb.463:
	v_mov_b32_e32 v21, 0
	ds_read_b64 v[19:20], v21 offset:9096
	ds_read_b32 v21, v21 offset:8840
	s_movk_i32 s16, 0x2000
	s_waitcnt lgkmcnt(0)
	v_mul_f32_e32 v20, v21, v20
	v_mul_f32_e32 v19, v19, v20
	v_add_u32_e64 v20, s16, 0
	ds_write2_b32 v20, v19, v19 offset0:163 offset1:226
.LBB18_464:
	s_or_b64 exec, exec, s[14:15]
	v_mov_b32_e32 v19, 0
	s_waitcnt lgkmcnt(0)
	s_barrier
	buffer_wbinvl1_vol
	s_and_saveexec_b64 s[16:17], s[2:3]
	s_cbranch_execz .LBB18_468
; %bb.465:
	v_lshlrev_b32_e32 v19, 8, v3
	v_lshlrev_b32_e32 v20, 2, v1
	ds_read_b32 v21, v20 offset:8832
	ds_read_b32 v19, v19 offset:8840
	v_mov_b32_e32 v20, 0
	v_cmp_gt_u32_e64 s[14:15], 2, v5
	s_waitcnt lgkmcnt(0)
	v_fma_f32 v19, v21, v19, 0
	s_and_saveexec_b64 s[20:21], s[14:15]
	s_cbranch_execz .LBB18_467
; %bb.466:
	v_lshlrev_b32_e32 v21, 2, v0
	ds_read_b32 v21, v21 offset:9088
	ds_read_b32 v20, v20 offset:9100
	s_waitcnt lgkmcnt(0)
	v_fmac_f32_e32 v19, v21, v20
.LBB18_467:
	s_or_b64 exec, exec, s[20:21]
.LBB18_468:
	s_or_b64 exec, exec, s[16:17]
	s_and_saveexec_b64 s[14:15], s[30:31]
	s_cbranch_execz .LBB18_470
; %bb.469:
	v_mov_b32_e32 v20, 0
	ds_read_b32 v20, v20 offset:8580
	s_waitcnt lgkmcnt(0)
	v_mul_f32_e32 v19, v19, v20
	v_xor_b32_e32 v20, 0x80000000, v19
	ds_write_b32 v4, v20
.LBB18_470:
	s_or_b64 exec, exec, s[14:15]
	s_waitcnt lgkmcnt(0)
	s_barrier
	s_and_saveexec_b64 s[14:15], s[26:27]
	s_cbranch_execz .LBB18_472
; %bb.471:
	v_mov_b32_e32 v20, 0
	ds_read_b32 v20, v20 offset:8576
	ds_read_b32 v21, v4
	s_waitcnt lgkmcnt(0)
	v_fma_f32 v19, -v20, v21, v19
.LBB18_472:
	s_or_b64 exec, exec, s[14:15]
	s_barrier
	s_and_saveexec_b64 s[14:15], s[26:27]
	s_cbranch_execz .LBB18_474
; %bb.473:
	v_mov_b32_e32 v20, 0
	ds_read_b32 v20, v20 offset:8320
	s_waitcnt lgkmcnt(0)
	v_mul_f32_e32 v19, v19, v20
	v_xor_b32_e32 v20, 0x80000000, v19
	ds_write_b32 v4, v20
.LBB18_474:
	s_or_b64 exec, exec, s[14:15]
	s_waitcnt lgkmcnt(0)
	s_barrier
	s_barrier
	s_and_saveexec_b64 s[14:15], s[2:3]
; %bb.475:
	v_lshlrev_b32_e32 v20, 2, v1
	v_lshl_or_b32 v20, v3, 8, v20
	ds_write_b32 v20, v19 offset:8832
; %bb.476:
	s_or_b64 exec, exec, s[14:15]
	s_waitcnt lgkmcnt(0)
	s_barrier
	s_barrier
	s_and_saveexec_b64 s[14:15], s[34:35]
	s_cbranch_execz .LBB18_478
; %bb.477:
	v_lshlrev_b32_e32 v19, 2, v0
	s_movk_i32 s16, 0xfc
	v_mad_u32_u24 v20, v0, s16, v19
	ds_read_b32 v21, v20 offset:8832
	s_waitcnt lgkmcnt(0)
	ds_write_b32 v19, v21 offset:8328
	ds_read_b32 v20, v20 offset:8836
	s_waitcnt lgkmcnt(0)
	ds_write_b32 v19, v20 offset:8584
.LBB18_478:
	s_or_b64 exec, exec, s[14:15]
	s_waitcnt lgkmcnt(0)
	s_barrier
	s_and_saveexec_b64 s[14:15], vcc
	s_cbranch_execz .LBB18_480
; %bb.479:
	v_mov_b32_e32 v21, 0
	ds_read_b64 v[19:20], v21 offset:8576
	ds_read_b32 v21, v21 offset:8320
	s_movk_i32 s16, 0x2000
	s_waitcnt lgkmcnt(0)
	v_mul_f32_e32 v20, v21, v20
	v_mul_f32_e32 v19, v19, v20
	v_add_u32_e64 v20, s16, 0
	ds_write2_b32 v20, v19, v19 offset0:33 offset1:96
.LBB18_480:
	s_or_b64 exec, exec, s[14:15]
	s_movk_i32 s14, 0x3ff
	v_lshrrev_b32_e32 v22, 5, v5
	v_cmp_lt_u32_e64 s[16:17], s14, v5
	s_movk_i32 s14, 0x400
	v_and_b32_e32 v19, 31, v0
	v_sub_u32_e32 v20, 31, v22
	v_cmp_gt_u32_e64 s[14:15], s14, v5
	v_mov_b32_e32 v21, 0
	s_waitcnt lgkmcnt(0)
	s_barrier
	buffer_wbinvl1_vol
	s_and_saveexec_b64 s[90:91], s[14:15]
	s_cbranch_execz .LBB18_542
; %bb.481:
	v_lshlrev_b32_e32 v24, 2, v19
	v_lshlrev_b32_e32 v23, 8, v20
	ds_read_b32 v21, v24 offset:8192
	ds_read_b32 v25, v23 offset:8320
	s_movk_i32 s20, 0x3e0
	v_cmp_gt_u32_e64 s[20:21], s20, v5
	s_waitcnt lgkmcnt(0)
	v_fma_f32 v21, v21, v25, 0
	s_and_saveexec_b64 s[92:93], s[20:21]
	s_cbranch_execz .LBB18_483
; %bb.482:
	ds_read_b32 v25, v24 offset:8448
	ds_read_b32 v26, v23 offset:8324
	s_waitcnt lgkmcnt(0)
	v_fmac_f32_e32 v21, v25, v26
.LBB18_483:
	s_or_b64 exec, exec, s[92:93]
	s_movk_i32 s20, 0x3c0
	v_cmp_gt_u32_e64 s[20:21], s20, v5
	s_and_saveexec_b64 s[92:93], s[20:21]
	s_cbranch_execz .LBB18_485
; %bb.484:
	ds_read_b32 v25, v24 offset:8704
	ds_read_b32 v26, v23 offset:8328
	s_waitcnt lgkmcnt(0)
	v_fmac_f32_e32 v21, v25, v26
.LBB18_485:
	s_or_b64 exec, exec, s[92:93]
	s_movk_i32 s20, 0x3a0
	v_cmp_gt_u32_e64 s[20:21], s20, v5
	s_and_saveexec_b64 s[92:93], s[20:21]
	s_cbranch_execz .LBB18_487
; %bb.486:
	ds_read_b32 v25, v24 offset:8960
	ds_read_b32 v26, v23 offset:8332
	s_waitcnt lgkmcnt(0)
	v_fmac_f32_e32 v21, v25, v26
.LBB18_487:
	s_or_b64 exec, exec, s[92:93]
	s_movk_i32 s20, 0x380
	v_cmp_gt_u32_e64 s[20:21], s20, v5
	s_and_saveexec_b64 s[92:93], s[20:21]
	s_cbranch_execz .LBB18_489
; %bb.488:
	ds_read_b32 v25, v24 offset:9216
	ds_read_b32 v26, v23 offset:8336
	s_waitcnt lgkmcnt(0)
	v_fmac_f32_e32 v21, v25, v26
.LBB18_489:
	s_or_b64 exec, exec, s[92:93]
	s_movk_i32 s20, 0x360
	v_cmp_gt_u32_e64 s[20:21], s20, v5
	s_and_saveexec_b64 s[92:93], s[20:21]
	s_cbranch_execz .LBB18_491
; %bb.490:
	ds_read_b32 v25, v24 offset:9472
	ds_read_b32 v26, v23 offset:8340
	s_waitcnt lgkmcnt(0)
	v_fmac_f32_e32 v21, v25, v26
.LBB18_491:
	s_or_b64 exec, exec, s[92:93]
	s_movk_i32 s20, 0x340
	v_cmp_gt_u32_e64 s[20:21], s20, v5
	s_and_saveexec_b64 s[92:93], s[20:21]
	s_cbranch_execz .LBB18_493
; %bb.492:
	ds_read_b32 v25, v24 offset:9728
	ds_read_b32 v26, v23 offset:8344
	s_waitcnt lgkmcnt(0)
	v_fmac_f32_e32 v21, v25, v26
.LBB18_493:
	s_or_b64 exec, exec, s[92:93]
	s_movk_i32 s20, 0x320
	v_cmp_gt_u32_e64 s[20:21], s20, v5
	s_and_saveexec_b64 s[92:93], s[20:21]
	s_cbranch_execz .LBB18_495
; %bb.494:
	ds_read_b32 v25, v24 offset:9984
	ds_read_b32 v26, v23 offset:8348
	s_waitcnt lgkmcnt(0)
	v_fmac_f32_e32 v21, v25, v26
.LBB18_495:
	s_or_b64 exec, exec, s[92:93]
	s_movk_i32 s20, 0x300
	v_cmp_gt_u32_e64 s[20:21], s20, v5
	s_and_saveexec_b64 s[92:93], s[20:21]
	s_cbranch_execz .LBB18_497
; %bb.496:
	ds_read_b32 v25, v24 offset:10240
	ds_read_b32 v26, v23 offset:8352
	s_waitcnt lgkmcnt(0)
	v_fmac_f32_e32 v21, v25, v26
.LBB18_497:
	s_or_b64 exec, exec, s[92:93]
	s_movk_i32 s20, 0x2e0
	v_cmp_gt_u32_e64 s[20:21], s20, v5
	s_and_saveexec_b64 s[92:93], s[20:21]
	s_cbranch_execz .LBB18_499
; %bb.498:
	ds_read_b32 v25, v24 offset:10496
	ds_read_b32 v26, v23 offset:8356
	s_waitcnt lgkmcnt(0)
	v_fmac_f32_e32 v21, v25, v26
.LBB18_499:
	s_or_b64 exec, exec, s[92:93]
	s_movk_i32 s20, 0x2c0
	v_cmp_gt_u32_e64 s[20:21], s20, v5
	s_and_saveexec_b64 s[92:93], s[20:21]
	s_cbranch_execz .LBB18_501
; %bb.500:
	ds_read_b32 v25, v24 offset:10752
	ds_read_b32 v26, v23 offset:8360
	s_waitcnt lgkmcnt(0)
	v_fmac_f32_e32 v21, v25, v26
.LBB18_501:
	s_or_b64 exec, exec, s[92:93]
	s_movk_i32 s20, 0x2a0
	v_cmp_gt_u32_e64 s[20:21], s20, v5
	s_and_saveexec_b64 s[92:93], s[20:21]
	s_cbranch_execz .LBB18_503
; %bb.502:
	ds_read_b32 v25, v24 offset:11008
	ds_read_b32 v26, v23 offset:8364
	s_waitcnt lgkmcnt(0)
	v_fmac_f32_e32 v21, v25, v26
.LBB18_503:
	s_or_b64 exec, exec, s[92:93]
	s_movk_i32 s20, 0x280
	v_cmp_gt_u32_e64 s[20:21], s20, v5
	s_and_saveexec_b64 s[92:93], s[20:21]
	s_cbranch_execz .LBB18_505
; %bb.504:
	ds_read_b32 v25, v24 offset:11264
	ds_read_b32 v26, v23 offset:8368
	s_waitcnt lgkmcnt(0)
	v_fmac_f32_e32 v21, v25, v26
.LBB18_505:
	s_or_b64 exec, exec, s[92:93]
	s_movk_i32 s20, 0x260
	v_cmp_gt_u32_e64 s[20:21], s20, v5
	s_and_saveexec_b64 s[92:93], s[20:21]
	s_cbranch_execz .LBB18_507
; %bb.506:
	ds_read_b32 v25, v24 offset:11520
	ds_read_b32 v26, v23 offset:8372
	s_waitcnt lgkmcnt(0)
	v_fmac_f32_e32 v21, v25, v26
.LBB18_507:
	s_or_b64 exec, exec, s[92:93]
	s_movk_i32 s20, 0x240
	v_cmp_gt_u32_e64 s[20:21], s20, v5
	s_and_saveexec_b64 s[92:93], s[20:21]
	s_cbranch_execz .LBB18_509
; %bb.508:
	ds_read_b32 v25, v24 offset:11776
	ds_read_b32 v26, v23 offset:8376
	s_waitcnt lgkmcnt(0)
	v_fmac_f32_e32 v21, v25, v26
.LBB18_509:
	s_or_b64 exec, exec, s[92:93]
	s_movk_i32 s20, 0x220
	v_cmp_gt_u32_e64 s[20:21], s20, v5
	s_and_saveexec_b64 s[92:93], s[20:21]
	s_cbranch_execz .LBB18_511
; %bb.510:
	ds_read_b32 v25, v24 offset:12032
	ds_read_b32 v26, v23 offset:8380
	s_waitcnt lgkmcnt(0)
	v_fmac_f32_e32 v21, v25, v26
.LBB18_511:
	s_or_b64 exec, exec, s[92:93]
	s_movk_i32 s20, 0x200
	v_cmp_gt_u32_e64 s[20:21], s20, v5
	s_and_saveexec_b64 s[92:93], s[20:21]
	s_cbranch_execz .LBB18_513
; %bb.512:
	ds_read_b32 v25, v24 offset:12288
	ds_read_b32 v26, v23 offset:8384
	s_waitcnt lgkmcnt(0)
	v_fmac_f32_e32 v21, v25, v26
.LBB18_513:
	s_or_b64 exec, exec, s[92:93]
	s_movk_i32 s20, 0x1e0
	v_cmp_gt_u32_e64 s[20:21], s20, v5
	s_and_saveexec_b64 s[92:93], s[20:21]
	s_cbranch_execz .LBB18_515
; %bb.514:
	ds_read_b32 v25, v24 offset:12544
	ds_read_b32 v26, v23 offset:8388
	s_waitcnt lgkmcnt(0)
	v_fmac_f32_e32 v21, v25, v26
.LBB18_515:
	s_or_b64 exec, exec, s[92:93]
	s_movk_i32 s20, 0x1c0
	v_cmp_gt_u32_e64 s[20:21], s20, v5
	s_and_saveexec_b64 s[92:93], s[20:21]
	s_cbranch_execz .LBB18_517
; %bb.516:
	ds_read_b32 v25, v24 offset:12800
	ds_read_b32 v26, v23 offset:8392
	s_waitcnt lgkmcnt(0)
	v_fmac_f32_e32 v21, v25, v26
.LBB18_517:
	s_or_b64 exec, exec, s[92:93]
	s_movk_i32 s20, 0x1a0
	v_cmp_gt_u32_e64 s[20:21], s20, v5
	s_and_saveexec_b64 s[92:93], s[20:21]
	s_cbranch_execz .LBB18_519
; %bb.518:
	ds_read_b32 v25, v24 offset:13056
	ds_read_b32 v26, v23 offset:8396
	s_waitcnt lgkmcnt(0)
	v_fmac_f32_e32 v21, v25, v26
.LBB18_519:
	s_or_b64 exec, exec, s[92:93]
	s_movk_i32 s20, 0x180
	v_cmp_gt_u32_e64 s[20:21], s20, v5
	s_and_saveexec_b64 s[92:93], s[20:21]
	s_cbranch_execz .LBB18_521
; %bb.520:
	ds_read_b32 v25, v24 offset:13312
	ds_read_b32 v26, v23 offset:8400
	s_waitcnt lgkmcnt(0)
	v_fmac_f32_e32 v21, v25, v26
.LBB18_521:
	s_or_b64 exec, exec, s[92:93]
	s_movk_i32 s20, 0x160
	v_cmp_gt_u32_e64 s[20:21], s20, v5
	s_and_saveexec_b64 s[92:93], s[20:21]
	s_cbranch_execz .LBB18_523
; %bb.522:
	ds_read_b32 v25, v24 offset:13568
	ds_read_b32 v26, v23 offset:8404
	s_waitcnt lgkmcnt(0)
	v_fmac_f32_e32 v21, v25, v26
.LBB18_523:
	s_or_b64 exec, exec, s[92:93]
	s_movk_i32 s20, 0x140
	v_cmp_gt_u32_e64 s[20:21], s20, v5
	s_and_saveexec_b64 s[92:93], s[20:21]
	s_cbranch_execz .LBB18_525
; %bb.524:
	ds_read_b32 v25, v24 offset:13824
	ds_read_b32 v26, v23 offset:8408
	s_waitcnt lgkmcnt(0)
	v_fmac_f32_e32 v21, v25, v26
.LBB18_525:
	s_or_b64 exec, exec, s[92:93]
	s_movk_i32 s20, 0x120
	v_cmp_gt_u32_e64 s[20:21], s20, v5
	s_and_saveexec_b64 s[92:93], s[20:21]
	s_cbranch_execz .LBB18_527
; %bb.526:
	ds_read_b32 v25, v24 offset:14080
	ds_read_b32 v26, v23 offset:8412
	s_waitcnt lgkmcnt(0)
	v_fmac_f32_e32 v21, v25, v26
.LBB18_527:
	s_or_b64 exec, exec, s[92:93]
	s_and_saveexec_b64 s[20:21], s[10:11]
	s_cbranch_execz .LBB18_529
; %bb.528:
	ds_read_b32 v25, v24 offset:14336
	ds_read_b32 v26, v23 offset:8416
	s_waitcnt lgkmcnt(0)
	v_fmac_f32_e32 v21, v25, v26
.LBB18_529:
	s_or_b64 exec, exec, s[20:21]
	s_movk_i32 s20, 0xe0
	v_cmp_gt_u32_e64 s[20:21], s20, v5
	s_and_saveexec_b64 s[92:93], s[20:21]
	s_cbranch_execz .LBB18_531
; %bb.530:
	ds_read_b32 v25, v24 offset:14592
	ds_read_b32 v26, v23 offset:8420
	s_waitcnt lgkmcnt(0)
	v_fmac_f32_e32 v21, v25, v26
.LBB18_531:
	s_or_b64 exec, exec, s[92:93]
	s_movk_i32 s20, 0xc0
	v_cmp_gt_u32_e64 s[20:21], s20, v5
	;; [unrolled: 11-line block ×5, first 2 shown]
	s_and_saveexec_b64 s[92:93], s[20:21]
	s_cbranch_execnz .LBB18_1230
; %bb.538:
	s_or_b64 exec, exec, s[92:93]
	s_and_saveexec_b64 s[20:21], s[8:9]
	s_cbranch_execnz .LBB18_1231
.LBB18_539:
	s_or_b64 exec, exec, s[20:21]
	v_cmp_gt_u32_e64 s[20:21], 32, v5
	s_and_saveexec_b64 s[92:93], s[20:21]
	s_cbranch_execz .LBB18_541
.LBB18_540:
	v_lshlrev_b32_e32 v23, 2, v0
	v_mov_b32_e32 v24, 0
	ds_read_b32 v23, v23 offset:16128
	ds_read_b32 v24, v24 offset:16380
	s_waitcnt lgkmcnt(0)
	v_fmac_f32_e32 v21, v23, v24
.LBB18_541:
	s_or_b64 exec, exec, s[92:93]
.LBB18_542:
	s_or_b64 exec, exec, s[90:91]
	v_mov_b32_e32 v23, 0x4000
	v_cmp_eq_u32_e64 s[20:21], 31, v19
	s_xor_b64 s[90:91], s[16:17], -1
	v_lshl_add_u32 v22, v22, 2, v23
	s_and_b64 s[20:21], s[20:21], s[90:91]
	s_and_saveexec_b64 s[16:17], s[20:21]
	s_cbranch_execz .LBB18_544
; %bb.543:
	v_mov_b32_e32 v23, 0
	ds_read_b32 v23, v23 offset:8060
	s_waitcnt lgkmcnt(0)
	v_mul_f32_e32 v21, v21, v23
	v_xor_b32_e32 v23, 0x80000000, v21
	ds_write_b32 v22, v23
.LBB18_544:
	s_or_b64 exec, exec, s[16:17]
	v_cmp_ne_u32_e64 s[16:17], 31, v19
	s_and_b64 s[20:21], s[16:17], s[90:91]
	s_waitcnt lgkmcnt(0)
	s_barrier
	s_and_saveexec_b64 s[16:17], s[20:21]
	s_cbranch_execz .LBB18_546
; %bb.545:
	v_lshlrev_b32_e32 v23, 2, v19
	ds_read_b32 v23, v23 offset:7936
	ds_read_b32 v24, v22
	s_waitcnt lgkmcnt(0)
	v_fma_f32 v21, -v23, v24, v21
.LBB18_546:
	s_or_b64 exec, exec, s[16:17]
	v_cmp_eq_u32_e64 s[16:17], 30, v19
	s_and_b64 s[20:21], s[16:17], s[90:91]
	s_barrier
	s_and_saveexec_b64 s[16:17], s[20:21]
	s_cbranch_execz .LBB18_548
; %bb.547:
	v_mov_b32_e32 v23, 0
	ds_read_b32 v23, v23 offset:7800
	s_waitcnt lgkmcnt(0)
	v_mul_f32_e32 v21, v21, v23
	v_xor_b32_e32 v23, 0x80000000, v21
	ds_write_b32 v22, v23
.LBB18_548:
	s_or_b64 exec, exec, s[16:17]
	v_cmp_gt_u32_e64 s[16:17], 30, v19
	s_and_b64 s[20:21], s[16:17], s[90:91]
	s_waitcnt lgkmcnt(0)
	s_barrier
	s_and_saveexec_b64 s[16:17], s[20:21]
	s_cbranch_execz .LBB18_550
; %bb.549:
	v_lshlrev_b32_e32 v23, 2, v19
	ds_read_b32 v23, v23 offset:7680
	ds_read_b32 v24, v22
	s_waitcnt lgkmcnt(0)
	v_fma_f32 v21, -v23, v24, v21
.LBB18_550:
	s_or_b64 exec, exec, s[16:17]
	v_cmp_eq_u32_e64 s[16:17], 29, v19
	s_and_b64 s[20:21], s[16:17], s[90:91]
	s_barrier
	s_and_saveexec_b64 s[16:17], s[20:21]
	s_cbranch_execz .LBB18_552
; %bb.551:
	v_mov_b32_e32 v23, 0
	ds_read_b32 v23, v23 offset:7540
	s_waitcnt lgkmcnt(0)
	v_mul_f32_e32 v21, v21, v23
	v_xor_b32_e32 v23, 0x80000000, v21
	ds_write_b32 v22, v23
.LBB18_552:
	s_or_b64 exec, exec, s[16:17]
	v_cmp_gt_u32_e64 s[16:17], 29, v19
	;; [unrolled: 28-line block ×29, first 2 shown]
	s_and_b64 s[20:21], s[16:17], s[90:91]
	s_waitcnt lgkmcnt(0)
	s_barrier
	s_and_saveexec_b64 s[16:17], s[20:21]
	s_cbranch_execz .LBB18_662
; %bb.661:
	v_lshlrev_b32_e32 v23, 2, v19
	ds_read_b32 v23, v23 offset:512
	ds_read_b32 v24, v22
	s_waitcnt lgkmcnt(0)
	v_fma_f32 v21, -v23, v24, v21
.LBB18_662:
	s_or_b64 exec, exec, s[16:17]
	v_cmp_eq_u32_e64 s[16:17], 1, v19
	s_and_b64 s[20:21], s[16:17], s[90:91]
	s_barrier
	s_and_saveexec_b64 s[16:17], s[20:21]
	s_cbranch_execz .LBB18_664
; %bb.663:
	v_mov_b32_e32 v23, 0
	ds_read_b32 v23, v23 offset:260
	s_waitcnt lgkmcnt(0)
	v_mul_f32_e32 v21, v21, v23
	v_xor_b32_e32 v23, 0x80000000, v21
	ds_write_b32 v22, v23
.LBB18_664:
	s_or_b64 exec, exec, s[16:17]
	v_cmp_eq_u32_e64 s[16:17], 0, v19
	s_and_b64 s[16:17], s[16:17], s[90:91]
	s_waitcnt lgkmcnt(0)
	s_barrier
	s_and_saveexec_b64 s[20:21], s[16:17]
	s_cbranch_execz .LBB18_666
; %bb.665:
	v_mov_b32_e32 v23, 0
	ds_read_b32 v23, v23 offset:256
	ds_read_b32 v24, v22
	s_waitcnt lgkmcnt(0)
	v_fma_f32 v21, -v23, v24, v21
.LBB18_666:
	s_or_b64 exec, exec, s[20:21]
	s_barrier
	s_and_saveexec_b64 s[20:21], s[16:17]
	s_cbranch_execz .LBB18_668
; %bb.667:
	v_mov_b32_e32 v23, 0
	ds_read_b32 v23, v23
	s_waitcnt lgkmcnt(0)
	v_mul_f32_e32 v21, v21, v23
	v_xor_b32_e32 v23, 0x80000000, v21
	ds_write_b32 v22, v23
.LBB18_668:
	s_or_b64 exec, exec, s[20:21]
	s_waitcnt lgkmcnt(0)
	s_barrier
	s_barrier
	s_and_saveexec_b64 s[16:17], s[14:15]
; %bb.669:
	v_lshlrev_b32_e32 v19, 2, v19
	v_lshl_or_b32 v19, v20, 8, v19
	ds_write_b32 v19, v21 offset:8192
; %bb.670:
	s_or_b64 exec, exec, s[16:17]
	v_cmp_gt_u32_e64 s[14:15], 32, v0
	s_and_b64 s[14:15], s[12:13], s[14:15]
	s_waitcnt lgkmcnt(0)
	s_barrier
	s_barrier
	s_and_saveexec_b64 s[12:13], s[14:15]
	s_cbranch_execz .LBB18_672
; %bb.671:
	v_lshlrev_b32_e32 v19, 8, v0
	ds_read_b32 v20, v19 offset:8192
	s_movk_i32 s14, 0xff04
	v_mad_i32_i24 v21, v0, s14, v19
	s_waitcnt lgkmcnt(0)
	ds_write_b32 v21, v20 offset:128
	ds_read_b32 v20, v19 offset:8196
	s_waitcnt lgkmcnt(0)
	ds_write_b32 v21, v20 offset:384
	ds_read_b32 v20, v19 offset:8200
	;; [unrolled: 3-line block ×31, first 2 shown]
	s_waitcnt lgkmcnt(0)
	ds_write_b32 v21, v19 offset:8064
.LBB18_672:
	s_or_b64 exec, exec, s[12:13]
	s_waitcnt lgkmcnt(0)
	s_barrier
	s_and_saveexec_b64 s[12:13], vcc
	s_cbranch_execz .LBB18_674
; %bb.673:
	v_mov_b32_e32 v21, 0
	ds_read_b64 v[19:20], v21 offset:8056
	ds_read_b32 v21, v21 offset:7800
	s_movk_i32 s14, 0x1c00
	s_waitcnt lgkmcnt(0)
	v_mul_f32_e32 v20, v21, v20
	v_mul_f32_e32 v19, v19, v20
	v_add_u32_e64 v20, s14, 0
	ds_write2_b32 v20, v19, v19 offset0:159 offset1:222
.LBB18_674:
	s_or_b64 exec, exec, s[12:13]
	v_mov_b32_e32 v19, 0
	s_waitcnt lgkmcnt(0)
	s_barrier
	buffer_wbinvl1_vol
	s_and_saveexec_b64 s[14:15], s[2:3]
	s_cbranch_execz .LBB18_678
; %bb.675:
	v_lshlrev_b32_e32 v19, 8, v3
	v_lshlrev_b32_e32 v20, 2, v1
	ds_read_b32 v21, v20 offset:7792
	ds_read_b32 v19, v19 offset:7800
	v_mov_b32_e32 v20, 0
	v_cmp_gt_u32_e64 s[12:13], 2, v5
	s_waitcnt lgkmcnt(0)
	v_fma_f32 v19, v21, v19, 0
	s_and_saveexec_b64 s[16:17], s[12:13]
	s_cbranch_execz .LBB18_677
; %bb.676:
	v_lshlrev_b32_e32 v21, 2, v0
	ds_read_b32 v21, v21 offset:8048
	ds_read_b32 v20, v20 offset:8060
	s_waitcnt lgkmcnt(0)
	v_fmac_f32_e32 v19, v21, v20
.LBB18_677:
	s_or_b64 exec, exec, s[16:17]
.LBB18_678:
	s_or_b64 exec, exec, s[14:15]
	s_and_saveexec_b64 s[12:13], s[30:31]
	s_cbranch_execz .LBB18_680
; %bb.679:
	v_mov_b32_e32 v20, 0
	ds_read_b32 v20, v20 offset:7540
	s_waitcnt lgkmcnt(0)
	v_mul_f32_e32 v19, v19, v20
	v_xor_b32_e32 v20, 0x80000000, v19
	ds_write_b32 v4, v20
.LBB18_680:
	s_or_b64 exec, exec, s[12:13]
	s_waitcnt lgkmcnt(0)
	s_barrier
	s_and_saveexec_b64 s[12:13], s[26:27]
	s_cbranch_execz .LBB18_682
; %bb.681:
	v_mov_b32_e32 v20, 0
	ds_read_b32 v20, v20 offset:7536
	ds_read_b32 v21, v4
	s_waitcnt lgkmcnt(0)
	v_fma_f32 v19, -v20, v21, v19
.LBB18_682:
	s_or_b64 exec, exec, s[12:13]
	s_barrier
	s_and_saveexec_b64 s[12:13], s[26:27]
	s_cbranch_execz .LBB18_684
; %bb.683:
	v_mov_b32_e32 v20, 0
	ds_read_b32 v20, v20 offset:7280
	s_waitcnt lgkmcnt(0)
	v_mul_f32_e32 v19, v19, v20
	v_xor_b32_e32 v20, 0x80000000, v19
	ds_write_b32 v4, v20
.LBB18_684:
	s_or_b64 exec, exec, s[12:13]
	s_waitcnt lgkmcnt(0)
	s_barrier
	s_barrier
	s_and_saveexec_b64 s[12:13], s[2:3]
; %bb.685:
	v_lshlrev_b32_e32 v20, 2, v1
	v_lshl_or_b32 v20, v3, 8, v20
	ds_write_b32 v20, v19 offset:7792
; %bb.686:
	s_or_b64 exec, exec, s[12:13]
	s_waitcnt lgkmcnt(0)
	s_barrier
	s_barrier
	s_and_saveexec_b64 s[12:13], s[34:35]
	s_cbranch_execz .LBB18_688
; %bb.687:
	v_lshlrev_b32_e32 v19, 2, v0
	s_movk_i32 s14, 0xfc
	v_mad_u32_u24 v20, v0, s14, v19
	ds_read_b32 v21, v20 offset:7792
	s_waitcnt lgkmcnt(0)
	ds_write_b32 v19, v21 offset:7288
	ds_read_b32 v20, v20 offset:7796
	s_waitcnt lgkmcnt(0)
	ds_write_b32 v19, v20 offset:7544
.LBB18_688:
	s_or_b64 exec, exec, s[12:13]
	s_waitcnt lgkmcnt(0)
	s_barrier
	s_and_saveexec_b64 s[12:13], vcc
	s_cbranch_execz .LBB18_690
; %bb.689:
	v_mov_b32_e32 v21, 0
	ds_read_b64 v[19:20], v21 offset:7536
	ds_read_b32 v21, v21 offset:7280
	s_movk_i32 s14, 0x1c00
	s_waitcnt lgkmcnt(0)
	v_mul_f32_e32 v20, v21, v20
	v_mul_f32_e32 v19, v19, v20
	v_add_u32_e64 v20, s14, 0
	ds_write2_b32 v20, v19, v19 offset0:29 offset1:92
.LBB18_690:
	s_or_b64 exec, exec, s[12:13]
	v_mov_b32_e32 v19, 0
	s_waitcnt lgkmcnt(0)
	s_barrier
	buffer_wbinvl1_vol
	s_and_saveexec_b64 s[14:15], s[18:19]
	s_cbranch_execz .LBB18_696
; %bb.691:
	v_lshlrev_b32_e32 v21, 2, v6
	v_lshlrev_b32_e32 v20, 8, v11
	ds_read_b32 v19, v21 offset:7264
	ds_read_b32 v22, v20 offset:7280
	v_cmp_gt_u32_e64 s[12:13], 12, v5
	s_waitcnt lgkmcnt(0)
	v_fma_f32 v19, v19, v22, 0
	s_and_saveexec_b64 s[16:17], s[12:13]
	s_cbranch_execnz .LBB18_1232
; %bb.692:
	s_or_b64 exec, exec, s[16:17]
	v_cmp_gt_u32_e64 s[12:13], 8, v5
	s_and_saveexec_b64 s[16:17], s[12:13]
	s_cbranch_execnz .LBB18_1233
.LBB18_693:
	s_or_b64 exec, exec, s[16:17]
	v_cmp_gt_u32_e64 s[12:13], 4, v5
	s_and_saveexec_b64 s[16:17], s[12:13]
	s_cbranch_execz .LBB18_695
.LBB18_694:
	v_lshlrev_b32_e32 v20, 2, v0
	v_mov_b32_e32 v21, 0
	ds_read_b32 v20, v20 offset:8032
	ds_read_b32 v21, v21 offset:8060
	s_waitcnt lgkmcnt(0)
	v_fmac_f32_e32 v19, v20, v21
.LBB18_695:
	s_or_b64 exec, exec, s[16:17]
.LBB18_696:
	s_or_b64 exec, exec, s[14:15]
	s_and_saveexec_b64 s[12:13], s[38:39]
	s_cbranch_execz .LBB18_698
; %bb.697:
	v_mov_b32_e32 v20, 0
	ds_read_b32 v20, v20 offset:7020
	s_waitcnt lgkmcnt(0)
	v_mul_f32_e32 v19, v19, v20
	v_xor_b32_e32 v20, 0x80000000, v19
	ds_write_b32 v12, v20
.LBB18_698:
	s_or_b64 exec, exec, s[12:13]
	s_waitcnt lgkmcnt(0)
	s_barrier
	s_and_saveexec_b64 s[12:13], s[40:41]
	s_cbranch_execz .LBB18_700
; %bb.699:
	v_lshlrev_b32_e32 v20, 2, v6
	ds_read_b32 v20, v20 offset:7008
	ds_read_b32 v21, v12
	s_waitcnt lgkmcnt(0)
	v_fma_f32 v19, -v20, v21, v19
.LBB18_700:
	s_or_b64 exec, exec, s[12:13]
	s_barrier
	s_and_saveexec_b64 s[12:13], s[42:43]
	s_cbranch_execz .LBB18_702
; %bb.701:
	v_mov_b32_e32 v20, 0
	ds_read_b32 v20, v20 offset:6760
	s_waitcnt lgkmcnt(0)
	v_mul_f32_e32 v19, v19, v20
	v_xor_b32_e32 v20, 0x80000000, v19
	ds_write_b32 v12, v20
.LBB18_702:
	s_or_b64 exec, exec, s[12:13]
	s_waitcnt lgkmcnt(0)
	s_barrier
	s_and_saveexec_b64 s[12:13], s[44:45]
	s_cbranch_execz .LBB18_704
; %bb.703:
	v_lshlrev_b32_e32 v20, 2, v6
	ds_read_b32 v20, v20 offset:6752
	ds_read_b32 v21, v12
	s_waitcnt lgkmcnt(0)
	v_fma_f32 v19, -v20, v21, v19
.LBB18_704:
	s_or_b64 exec, exec, s[12:13]
	s_barrier
	s_and_saveexec_b64 s[12:13], s[46:47]
	s_cbranch_execz .LBB18_706
; %bb.705:
	v_mov_b32_e32 v20, 0
	ds_read_b32 v20, v20 offset:6500
	s_waitcnt lgkmcnt(0)
	v_mul_f32_e32 v19, v19, v20
	v_xor_b32_e32 v20, 0x80000000, v19
	ds_write_b32 v12, v20
.LBB18_706:
	s_or_b64 exec, exec, s[12:13]
	s_waitcnt lgkmcnt(0)
	s_barrier
	s_and_saveexec_b64 s[12:13], s[36:37]
	s_cbranch_execz .LBB18_708
; %bb.707:
	v_mov_b32_e32 v20, 0
	ds_read_b32 v20, v20 offset:6496
	ds_read_b32 v21, v12
	s_waitcnt lgkmcnt(0)
	v_fma_f32 v19, -v20, v21, v19
.LBB18_708:
	s_or_b64 exec, exec, s[12:13]
	s_barrier
	s_and_saveexec_b64 s[12:13], s[36:37]
	s_cbranch_execz .LBB18_710
; %bb.709:
	v_mov_b32_e32 v20, 0
	ds_read_b32 v20, v20 offset:6240
	s_waitcnt lgkmcnt(0)
	v_mul_f32_e32 v19, v19, v20
	v_xor_b32_e32 v20, 0x80000000, v19
	ds_write_b32 v12, v20
.LBB18_710:
	s_or_b64 exec, exec, s[12:13]
	s_waitcnt lgkmcnt(0)
	s_barrier
	s_barrier
	s_and_saveexec_b64 s[12:13], s[18:19]
; %bb.711:
	v_lshlrev_b32_e32 v20, 2, v6
	v_lshl_or_b32 v20, v11, 8, v20
	ds_write_b32 v20, v19 offset:7264
; %bb.712:
	s_or_b64 exec, exec, s[12:13]
	s_waitcnt lgkmcnt(0)
	s_barrier
	s_barrier
	s_and_saveexec_b64 s[12:13], s[48:49]
	s_cbranch_execz .LBB18_714
; %bb.713:
	v_lshlrev_b32_e32 v19, 8, v0
	ds_read_b32 v20, v19 offset:7264
	s_movk_i32 s14, 0xff04
	v_mad_i32_i24 v21, v0, s14, v19
	s_waitcnt lgkmcnt(0)
	ds_write_b32 v21, v20 offset:6256
	ds_read_b32 v20, v19 offset:7268
	s_waitcnt lgkmcnt(0)
	ds_write_b32 v21, v20 offset:6512
	ds_read_b32 v20, v19 offset:7272
	;; [unrolled: 3-line block ×3, first 2 shown]
	s_waitcnt lgkmcnt(0)
	ds_write_b32 v21, v19 offset:7024
.LBB18_714:
	s_or_b64 exec, exec, s[12:13]
	s_waitcnt lgkmcnt(0)
	s_barrier
	s_and_saveexec_b64 s[12:13], vcc
	s_cbranch_execz .LBB18_716
; %bb.715:
	v_mov_b32_e32 v21, 0
	ds_read_b64 v[19:20], v21 offset:7016
	ds_read_b32 v21, v21 offset:6760
	s_movk_i32 s14, 0x1800
	s_waitcnt lgkmcnt(0)
	v_mul_f32_e32 v20, v21, v20
	v_mul_f32_e32 v19, v19, v20
	v_add_u32_e64 v20, s14, 0
	ds_write2_b32 v20, v19, v19 offset0:155 offset1:218
.LBB18_716:
	s_or_b64 exec, exec, s[12:13]
	v_mov_b32_e32 v19, 0
	s_waitcnt lgkmcnt(0)
	s_barrier
	buffer_wbinvl1_vol
	s_and_saveexec_b64 s[14:15], s[2:3]
	s_cbranch_execz .LBB18_720
; %bb.717:
	v_lshlrev_b32_e32 v19, 8, v3
	v_lshlrev_b32_e32 v20, 2, v1
	ds_read_b32 v21, v20 offset:6752
	ds_read_b32 v19, v19 offset:6760
	v_mov_b32_e32 v20, 0
	v_cmp_gt_u32_e64 s[12:13], 2, v5
	s_waitcnt lgkmcnt(0)
	v_fma_f32 v19, v21, v19, 0
	s_and_saveexec_b64 s[16:17], s[12:13]
	s_cbranch_execz .LBB18_719
; %bb.718:
	v_lshlrev_b32_e32 v21, 2, v0
	ds_read_b32 v21, v21 offset:7008
	ds_read_b32 v20, v20 offset:7020
	s_waitcnt lgkmcnt(0)
	v_fmac_f32_e32 v19, v21, v20
.LBB18_719:
	s_or_b64 exec, exec, s[16:17]
.LBB18_720:
	s_or_b64 exec, exec, s[14:15]
	s_and_saveexec_b64 s[12:13], s[30:31]
	s_cbranch_execz .LBB18_722
; %bb.721:
	v_mov_b32_e32 v20, 0
	ds_read_b32 v20, v20 offset:6500
	s_waitcnt lgkmcnt(0)
	v_mul_f32_e32 v19, v19, v20
	v_xor_b32_e32 v20, 0x80000000, v19
	ds_write_b32 v4, v20
.LBB18_722:
	s_or_b64 exec, exec, s[12:13]
	s_waitcnt lgkmcnt(0)
	s_barrier
	s_and_saveexec_b64 s[12:13], s[26:27]
	s_cbranch_execz .LBB18_724
; %bb.723:
	v_mov_b32_e32 v20, 0
	ds_read_b32 v20, v20 offset:6496
	ds_read_b32 v21, v4
	s_waitcnt lgkmcnt(0)
	v_fma_f32 v19, -v20, v21, v19
.LBB18_724:
	s_or_b64 exec, exec, s[12:13]
	s_barrier
	s_and_saveexec_b64 s[12:13], s[26:27]
	s_cbranch_execz .LBB18_726
; %bb.725:
	v_mov_b32_e32 v20, 0
	ds_read_b32 v20, v20 offset:6240
	s_waitcnt lgkmcnt(0)
	v_mul_f32_e32 v19, v19, v20
	v_xor_b32_e32 v20, 0x80000000, v19
	ds_write_b32 v4, v20
.LBB18_726:
	s_or_b64 exec, exec, s[12:13]
	s_waitcnt lgkmcnt(0)
	s_barrier
	s_barrier
	s_and_saveexec_b64 s[12:13], s[2:3]
; %bb.727:
	v_lshlrev_b32_e32 v20, 2, v1
	v_lshl_or_b32 v20, v3, 8, v20
	ds_write_b32 v20, v19 offset:6752
; %bb.728:
	s_or_b64 exec, exec, s[12:13]
	s_waitcnt lgkmcnt(0)
	s_barrier
	s_barrier
	s_and_saveexec_b64 s[12:13], s[34:35]
	s_cbranch_execz .LBB18_730
; %bb.729:
	v_lshlrev_b32_e32 v19, 2, v0
	s_movk_i32 s14, 0xfc
	v_mad_u32_u24 v20, v0, s14, v19
	ds_read_b32 v21, v20 offset:6752
	s_waitcnt lgkmcnt(0)
	ds_write_b32 v19, v21 offset:6248
	ds_read_b32 v20, v20 offset:6756
	s_waitcnt lgkmcnt(0)
	ds_write_b32 v19, v20 offset:6504
.LBB18_730:
	s_or_b64 exec, exec, s[12:13]
	s_waitcnt lgkmcnt(0)
	s_barrier
	s_and_saveexec_b64 s[12:13], vcc
	s_cbranch_execz .LBB18_732
; %bb.731:
	v_mov_b32_e32 v21, 0
	ds_read_b64 v[19:20], v21 offset:6496
	ds_read_b32 v21, v21 offset:6240
	s_movk_i32 s14, 0x1800
	s_waitcnt lgkmcnt(0)
	v_mul_f32_e32 v20, v21, v20
	v_mul_f32_e32 v19, v19, v20
	v_add_u32_e64 v20, s14, 0
	ds_write2_b32 v20, v19, v19 offset0:25 offset1:88
.LBB18_732:
	s_or_b64 exec, exec, s[12:13]
	v_mov_b32_e32 v19, 0
	s_waitcnt lgkmcnt(0)
	s_barrier
	buffer_wbinvl1_vol
	s_and_saveexec_b64 s[14:15], s[8:9]
	s_cbranch_execz .LBB18_742
; %bb.733:
	v_lshlrev_b32_e32 v21, 2, v13
	v_lshlrev_b32_e32 v20, 8, v14
	ds_read_b32 v19, v21 offset:6208
	ds_read_b32 v22, v20 offset:6240
	v_cmp_gt_u32_e64 s[12:13], 56, v5
	s_waitcnt lgkmcnt(0)
	v_fma_f32 v19, v19, v22, 0
	s_and_saveexec_b64 s[16:17], s[12:13]
	s_cbranch_execnz .LBB18_1234
; %bb.734:
	s_or_b64 exec, exec, s[16:17]
	v_cmp_gt_u32_e64 s[12:13], 48, v5
	s_and_saveexec_b64 s[16:17], s[12:13]
	s_cbranch_execnz .LBB18_1235
.LBB18_735:
	s_or_b64 exec, exec, s[16:17]
	v_cmp_gt_u32_e64 s[12:13], 40, v5
	s_and_saveexec_b64 s[16:17], s[12:13]
	s_cbranch_execnz .LBB18_1236
.LBB18_736:
	s_or_b64 exec, exec, s[16:17]
	v_cmp_gt_u32_e64 s[12:13], 32, v5
	s_and_saveexec_b64 s[16:17], s[12:13]
	s_cbranch_execnz .LBB18_1237
.LBB18_737:
	s_or_b64 exec, exec, s[16:17]
	v_cmp_gt_u32_e64 s[12:13], 24, v5
	s_and_saveexec_b64 s[16:17], s[12:13]
	s_cbranch_execnz .LBB18_1238
.LBB18_738:
	s_or_b64 exec, exec, s[16:17]
	s_and_saveexec_b64 s[12:13], s[18:19]
	s_cbranch_execnz .LBB18_1239
.LBB18_739:
	s_or_b64 exec, exec, s[12:13]
	v_cmp_gt_u32_e64 s[12:13], 8, v5
	s_and_saveexec_b64 s[16:17], s[12:13]
	s_cbranch_execz .LBB18_741
.LBB18_740:
	v_lshlrev_b32_e32 v20, 2, v0
	v_mov_b32_e32 v21, 0
	ds_read_b32 v20, v20 offset:8000
	ds_read_b32 v21, v21 offset:8060
	s_waitcnt lgkmcnt(0)
	v_fmac_f32_e32 v19, v20, v21
.LBB18_741:
	s_or_b64 exec, exec, s[16:17]
.LBB18_742:
	s_or_b64 exec, exec, s[14:15]
	s_and_saveexec_b64 s[12:13], s[50:51]
	s_cbranch_execz .LBB18_744
; %bb.743:
	v_mov_b32_e32 v20, 0
	ds_read_b32 v20, v20 offset:5980
	s_waitcnt lgkmcnt(0)
	v_mul_f32_e32 v19, v19, v20
	v_xor_b32_e32 v20, 0x80000000, v19
	ds_write_b32 v15, v20
.LBB18_744:
	s_or_b64 exec, exec, s[12:13]
	s_waitcnt lgkmcnt(0)
	s_barrier
	s_and_saveexec_b64 s[12:13], s[52:53]
	s_cbranch_execz .LBB18_746
; %bb.745:
	v_lshlrev_b32_e32 v20, 2, v13
	ds_read_b32 v20, v20 offset:5952
	ds_read_b32 v21, v15
	s_waitcnt lgkmcnt(0)
	v_fma_f32 v19, -v20, v21, v19
.LBB18_746:
	s_or_b64 exec, exec, s[12:13]
	s_barrier
	s_and_saveexec_b64 s[12:13], s[54:55]
	s_cbranch_execz .LBB18_748
; %bb.747:
	v_mov_b32_e32 v20, 0
	ds_read_b32 v20, v20 offset:5720
	s_waitcnt lgkmcnt(0)
	v_mul_f32_e32 v19, v19, v20
	v_xor_b32_e32 v20, 0x80000000, v19
	ds_write_b32 v15, v20
.LBB18_748:
	s_or_b64 exec, exec, s[12:13]
	s_waitcnt lgkmcnt(0)
	s_barrier
	s_and_saveexec_b64 s[12:13], s[56:57]
	s_cbranch_execz .LBB18_750
; %bb.749:
	v_lshlrev_b32_e32 v20, 2, v13
	ds_read_b32 v20, v20 offset:5696
	ds_read_b32 v21, v15
	s_waitcnt lgkmcnt(0)
	v_fma_f32 v19, -v20, v21, v19
.LBB18_750:
	s_or_b64 exec, exec, s[12:13]
	s_barrier
	;; [unrolled: 24-line block ×6, first 2 shown]
	s_and_saveexec_b64 s[12:13], s[76:77]
	s_cbranch_execz .LBB18_768
; %bb.767:
	v_mov_b32_e32 v20, 0
	ds_read_b32 v20, v20 offset:4420
	s_waitcnt lgkmcnt(0)
	v_mul_f32_e32 v19, v19, v20
	v_xor_b32_e32 v20, 0x80000000, v19
	ds_write_b32 v15, v20
.LBB18_768:
	s_or_b64 exec, exec, s[12:13]
	s_waitcnt lgkmcnt(0)
	s_barrier
	s_and_saveexec_b64 s[12:13], s[60:61]
	s_cbranch_execz .LBB18_770
; %bb.769:
	v_mov_b32_e32 v20, 0
	ds_read_b32 v20, v20 offset:4416
	ds_read_b32 v21, v15
	s_waitcnt lgkmcnt(0)
	v_fma_f32 v19, -v20, v21, v19
.LBB18_770:
	s_or_b64 exec, exec, s[12:13]
	s_barrier
	s_and_saveexec_b64 s[12:13], s[60:61]
	s_cbranch_execz .LBB18_772
; %bb.771:
	v_mov_b32_e32 v20, 0
	ds_read_b32 v20, v20 offset:4160
	s_waitcnt lgkmcnt(0)
	v_mul_f32_e32 v19, v19, v20
	v_xor_b32_e32 v20, 0x80000000, v19
	ds_write_b32 v15, v20
.LBB18_772:
	s_or_b64 exec, exec, s[12:13]
	s_waitcnt lgkmcnt(0)
	s_barrier
	s_barrier
	s_and_saveexec_b64 s[12:13], s[8:9]
; %bb.773:
	v_lshlrev_b32_e32 v20, 2, v13
	v_lshl_or_b32 v20, v14, 8, v20
	ds_write_b32 v20, v19 offset:6208
; %bb.774:
	s_or_b64 exec, exec, s[12:13]
	s_waitcnt lgkmcnt(0)
	s_barrier
	s_barrier
	s_and_saveexec_b64 s[12:13], s[78:79]
	s_cbranch_execz .LBB18_776
; %bb.775:
	v_lshlrev_b32_e32 v19, 8, v0
	ds_read_b32 v20, v19 offset:6208
	s_movk_i32 s14, 0xff04
	v_mad_i32_i24 v21, v0, s14, v19
	s_waitcnt lgkmcnt(0)
	ds_write_b32 v21, v20 offset:4192
	ds_read_b32 v20, v19 offset:6212
	s_waitcnt lgkmcnt(0)
	ds_write_b32 v21, v20 offset:4448
	ds_read_b32 v20, v19 offset:6216
	;; [unrolled: 3-line block ×7, first 2 shown]
	s_waitcnt lgkmcnt(0)
	ds_write_b32 v21, v19 offset:5984
.LBB18_776:
	s_or_b64 exec, exec, s[12:13]
	s_waitcnt lgkmcnt(0)
	s_barrier
	s_and_saveexec_b64 s[12:13], vcc
	s_cbranch_execz .LBB18_778
; %bb.777:
	v_mov_b32_e32 v21, 0
	ds_read_b64 v[19:20], v21 offset:5976
	ds_read_b32 v21, v21 offset:5720
	s_movk_i32 s14, 0x1400
	s_waitcnt lgkmcnt(0)
	v_mul_f32_e32 v20, v21, v20
	v_mul_f32_e32 v19, v19, v20
	v_add_u32_e64 v20, s14, 0
	ds_write2_b32 v20, v19, v19 offset0:151 offset1:214
.LBB18_778:
	s_or_b64 exec, exec, s[12:13]
	v_mov_b32_e32 v19, 0
	s_waitcnt lgkmcnt(0)
	s_barrier
	buffer_wbinvl1_vol
	s_and_saveexec_b64 s[14:15], s[2:3]
	s_cbranch_execz .LBB18_782
; %bb.779:
	v_lshlrev_b32_e32 v19, 8, v3
	v_lshlrev_b32_e32 v20, 2, v1
	ds_read_b32 v21, v20 offset:5712
	ds_read_b32 v19, v19 offset:5720
	v_mov_b32_e32 v20, 0
	v_cmp_gt_u32_e64 s[12:13], 2, v5
	s_waitcnt lgkmcnt(0)
	v_fma_f32 v19, v21, v19, 0
	s_and_saveexec_b64 s[16:17], s[12:13]
	s_cbranch_execz .LBB18_781
; %bb.780:
	v_lshlrev_b32_e32 v21, 2, v0
	ds_read_b32 v21, v21 offset:5968
	ds_read_b32 v20, v20 offset:5980
	s_waitcnt lgkmcnt(0)
	v_fmac_f32_e32 v19, v21, v20
.LBB18_781:
	s_or_b64 exec, exec, s[16:17]
.LBB18_782:
	s_or_b64 exec, exec, s[14:15]
	s_and_saveexec_b64 s[12:13], s[30:31]
	s_cbranch_execz .LBB18_784
; %bb.783:
	v_mov_b32_e32 v20, 0
	ds_read_b32 v20, v20 offset:5460
	s_waitcnt lgkmcnt(0)
	v_mul_f32_e32 v19, v19, v20
	v_xor_b32_e32 v20, 0x80000000, v19
	ds_write_b32 v4, v20
.LBB18_784:
	s_or_b64 exec, exec, s[12:13]
	s_waitcnt lgkmcnt(0)
	s_barrier
	s_and_saveexec_b64 s[12:13], s[26:27]
	s_cbranch_execz .LBB18_786
; %bb.785:
	v_mov_b32_e32 v20, 0
	ds_read_b32 v20, v20 offset:5456
	ds_read_b32 v21, v4
	s_waitcnt lgkmcnt(0)
	v_fma_f32 v19, -v20, v21, v19
.LBB18_786:
	s_or_b64 exec, exec, s[12:13]
	s_barrier
	s_and_saveexec_b64 s[12:13], s[26:27]
	s_cbranch_execz .LBB18_788
; %bb.787:
	v_mov_b32_e32 v20, 0
	ds_read_b32 v20, v20 offset:5200
	s_waitcnt lgkmcnt(0)
	v_mul_f32_e32 v19, v19, v20
	v_xor_b32_e32 v20, 0x80000000, v19
	ds_write_b32 v4, v20
.LBB18_788:
	s_or_b64 exec, exec, s[12:13]
	s_waitcnt lgkmcnt(0)
	s_barrier
	s_barrier
	s_and_saveexec_b64 s[12:13], s[2:3]
; %bb.789:
	v_lshlrev_b32_e32 v20, 2, v1
	v_lshl_or_b32 v20, v3, 8, v20
	ds_write_b32 v20, v19 offset:5712
; %bb.790:
	s_or_b64 exec, exec, s[12:13]
	s_waitcnt lgkmcnt(0)
	s_barrier
	s_barrier
	s_and_saveexec_b64 s[12:13], s[34:35]
	s_cbranch_execz .LBB18_792
; %bb.791:
	v_lshlrev_b32_e32 v19, 2, v0
	s_movk_i32 s14, 0xfc
	v_mad_u32_u24 v20, v0, s14, v19
	ds_read_b32 v21, v20 offset:5712
	s_waitcnt lgkmcnt(0)
	ds_write_b32 v19, v21 offset:5208
	ds_read_b32 v20, v20 offset:5716
	s_waitcnt lgkmcnt(0)
	ds_write_b32 v19, v20 offset:5464
.LBB18_792:
	s_or_b64 exec, exec, s[12:13]
	s_waitcnt lgkmcnt(0)
	s_barrier
	s_and_saveexec_b64 s[12:13], vcc
	s_cbranch_execz .LBB18_794
; %bb.793:
	v_mov_b32_e32 v21, 0
	ds_read_b64 v[19:20], v21 offset:5456
	ds_read_b32 v21, v21 offset:5200
	s_movk_i32 s14, 0x1400
	s_waitcnt lgkmcnt(0)
	v_mul_f32_e32 v20, v21, v20
	v_mul_f32_e32 v19, v19, v20
	v_add_u32_e64 v20, s14, 0
	ds_write2_b32 v20, v19, v19 offset0:21 offset1:84
.LBB18_794:
	s_or_b64 exec, exec, s[12:13]
	v_mov_b32_e32 v19, 0
	s_waitcnt lgkmcnt(0)
	s_barrier
	buffer_wbinvl1_vol
	s_and_saveexec_b64 s[14:15], s[18:19]
	s_cbranch_execz .LBB18_800
; %bb.795:
	v_lshlrev_b32_e32 v21, 2, v6
	v_lshlrev_b32_e32 v20, 8, v11
	ds_read_b32 v19, v21 offset:5184
	ds_read_b32 v22, v20 offset:5200
	v_cmp_gt_u32_e64 s[12:13], 12, v5
	s_waitcnt lgkmcnt(0)
	v_fma_f32 v19, v19, v22, 0
	s_and_saveexec_b64 s[16:17], s[12:13]
	s_cbranch_execnz .LBB18_1240
; %bb.796:
	s_or_b64 exec, exec, s[16:17]
	v_cmp_gt_u32_e64 s[12:13], 8, v5
	s_and_saveexec_b64 s[16:17], s[12:13]
	s_cbranch_execnz .LBB18_1241
.LBB18_797:
	s_or_b64 exec, exec, s[16:17]
	v_cmp_gt_u32_e64 s[12:13], 4, v5
	s_and_saveexec_b64 s[16:17], s[12:13]
	s_cbranch_execz .LBB18_799
.LBB18_798:
	v_lshlrev_b32_e32 v20, 2, v0
	v_mov_b32_e32 v21, 0
	ds_read_b32 v20, v20 offset:5952
	ds_read_b32 v21, v21 offset:5980
	s_waitcnt lgkmcnt(0)
	v_fmac_f32_e32 v19, v20, v21
.LBB18_799:
	s_or_b64 exec, exec, s[16:17]
.LBB18_800:
	s_or_b64 exec, exec, s[14:15]
	s_and_saveexec_b64 s[12:13], s[38:39]
	s_cbranch_execz .LBB18_802
; %bb.801:
	v_mov_b32_e32 v20, 0
	ds_read_b32 v20, v20 offset:4940
	s_waitcnt lgkmcnt(0)
	v_mul_f32_e32 v19, v19, v20
	v_xor_b32_e32 v20, 0x80000000, v19
	ds_write_b32 v12, v20
.LBB18_802:
	s_or_b64 exec, exec, s[12:13]
	s_waitcnt lgkmcnt(0)
	s_barrier
	s_and_saveexec_b64 s[12:13], s[40:41]
	s_cbranch_execz .LBB18_804
; %bb.803:
	v_lshlrev_b32_e32 v20, 2, v6
	ds_read_b32 v20, v20 offset:4928
	ds_read_b32 v21, v12
	s_waitcnt lgkmcnt(0)
	v_fma_f32 v19, -v20, v21, v19
.LBB18_804:
	s_or_b64 exec, exec, s[12:13]
	s_barrier
	s_and_saveexec_b64 s[12:13], s[42:43]
	s_cbranch_execz .LBB18_806
; %bb.805:
	v_mov_b32_e32 v20, 0
	ds_read_b32 v20, v20 offset:4680
	s_waitcnt lgkmcnt(0)
	v_mul_f32_e32 v19, v19, v20
	v_xor_b32_e32 v20, 0x80000000, v19
	ds_write_b32 v12, v20
.LBB18_806:
	s_or_b64 exec, exec, s[12:13]
	s_waitcnt lgkmcnt(0)
	s_barrier
	s_and_saveexec_b64 s[12:13], s[44:45]
	s_cbranch_execz .LBB18_808
; %bb.807:
	v_lshlrev_b32_e32 v20, 2, v6
	ds_read_b32 v20, v20 offset:4672
	ds_read_b32 v21, v12
	s_waitcnt lgkmcnt(0)
	v_fma_f32 v19, -v20, v21, v19
.LBB18_808:
	s_or_b64 exec, exec, s[12:13]
	s_barrier
	s_and_saveexec_b64 s[12:13], s[46:47]
	s_cbranch_execz .LBB18_810
; %bb.809:
	v_mov_b32_e32 v20, 0
	ds_read_b32 v20, v20 offset:4420
	s_waitcnt lgkmcnt(0)
	v_mul_f32_e32 v19, v19, v20
	v_xor_b32_e32 v20, 0x80000000, v19
	ds_write_b32 v12, v20
.LBB18_810:
	s_or_b64 exec, exec, s[12:13]
	s_waitcnt lgkmcnt(0)
	s_barrier
	s_and_saveexec_b64 s[12:13], s[36:37]
	s_cbranch_execz .LBB18_812
; %bb.811:
	v_mov_b32_e32 v20, 0
	ds_read_b32 v20, v20 offset:4416
	ds_read_b32 v21, v12
	s_waitcnt lgkmcnt(0)
	v_fma_f32 v19, -v20, v21, v19
.LBB18_812:
	s_or_b64 exec, exec, s[12:13]
	s_barrier
	s_and_saveexec_b64 s[12:13], s[36:37]
	s_cbranch_execz .LBB18_814
; %bb.813:
	v_mov_b32_e32 v20, 0
	ds_read_b32 v20, v20 offset:4160
	s_waitcnt lgkmcnt(0)
	v_mul_f32_e32 v19, v19, v20
	v_xor_b32_e32 v20, 0x80000000, v19
	ds_write_b32 v12, v20
.LBB18_814:
	s_or_b64 exec, exec, s[12:13]
	s_waitcnt lgkmcnt(0)
	s_barrier
	s_barrier
	s_and_saveexec_b64 s[12:13], s[18:19]
; %bb.815:
	v_lshlrev_b32_e32 v20, 2, v6
	v_lshl_or_b32 v20, v11, 8, v20
	ds_write_b32 v20, v19 offset:5184
; %bb.816:
	s_or_b64 exec, exec, s[12:13]
	s_waitcnt lgkmcnt(0)
	s_barrier
	s_barrier
	s_and_saveexec_b64 s[12:13], s[48:49]
	s_cbranch_execz .LBB18_818
; %bb.817:
	v_lshlrev_b32_e32 v19, 8, v0
	ds_read_b32 v20, v19 offset:5184
	s_movk_i32 s14, 0xff04
	v_mad_i32_i24 v21, v0, s14, v19
	s_waitcnt lgkmcnt(0)
	ds_write_b32 v21, v20 offset:4176
	ds_read_b32 v20, v19 offset:5188
	s_waitcnt lgkmcnt(0)
	ds_write_b32 v21, v20 offset:4432
	ds_read_b32 v20, v19 offset:5192
	;; [unrolled: 3-line block ×3, first 2 shown]
	s_waitcnt lgkmcnt(0)
	ds_write_b32 v21, v19 offset:4944
.LBB18_818:
	s_or_b64 exec, exec, s[12:13]
	s_waitcnt lgkmcnt(0)
	s_barrier
	s_and_saveexec_b64 s[12:13], vcc
	s_cbranch_execz .LBB18_820
; %bb.819:
	v_mov_b32_e32 v21, 0
	ds_read_b64 v[19:20], v21 offset:4936
	ds_read_b32 v21, v21 offset:4680
	s_movk_i32 s14, 0x1000
	s_waitcnt lgkmcnt(0)
	v_mul_f32_e32 v20, v21, v20
	v_mul_f32_e32 v19, v19, v20
	v_add_u32_e64 v20, s14, 0
	ds_write2_b32 v20, v19, v19 offset0:147 offset1:210
.LBB18_820:
	s_or_b64 exec, exec, s[12:13]
	v_mov_b32_e32 v19, 0
	s_waitcnt lgkmcnt(0)
	s_barrier
	buffer_wbinvl1_vol
	s_and_saveexec_b64 s[14:15], s[2:3]
	s_cbranch_execz .LBB18_824
; %bb.821:
	v_lshlrev_b32_e32 v19, 8, v3
	v_lshlrev_b32_e32 v20, 2, v1
	ds_read_b32 v21, v20 offset:4672
	ds_read_b32 v19, v19 offset:4680
	v_mov_b32_e32 v20, 0
	v_cmp_gt_u32_e64 s[12:13], 2, v5
	s_waitcnt lgkmcnt(0)
	v_fma_f32 v19, v21, v19, 0
	s_and_saveexec_b64 s[16:17], s[12:13]
	s_cbranch_execz .LBB18_823
; %bb.822:
	v_lshlrev_b32_e32 v21, 2, v0
	ds_read_b32 v21, v21 offset:4928
	ds_read_b32 v20, v20 offset:4940
	s_waitcnt lgkmcnt(0)
	v_fmac_f32_e32 v19, v21, v20
.LBB18_823:
	s_or_b64 exec, exec, s[16:17]
.LBB18_824:
	s_or_b64 exec, exec, s[14:15]
	s_and_saveexec_b64 s[12:13], s[30:31]
	s_cbranch_execz .LBB18_826
; %bb.825:
	v_mov_b32_e32 v20, 0
	ds_read_b32 v20, v20 offset:4420
	s_waitcnt lgkmcnt(0)
	v_mul_f32_e32 v19, v19, v20
	v_xor_b32_e32 v20, 0x80000000, v19
	ds_write_b32 v4, v20
.LBB18_826:
	s_or_b64 exec, exec, s[12:13]
	s_waitcnt lgkmcnt(0)
	s_barrier
	s_and_saveexec_b64 s[12:13], s[26:27]
	s_cbranch_execz .LBB18_828
; %bb.827:
	v_mov_b32_e32 v20, 0
	ds_read_b32 v20, v20 offset:4416
	ds_read_b32 v21, v4
	s_waitcnt lgkmcnt(0)
	v_fma_f32 v19, -v20, v21, v19
.LBB18_828:
	s_or_b64 exec, exec, s[12:13]
	s_barrier
	s_and_saveexec_b64 s[12:13], s[26:27]
	s_cbranch_execz .LBB18_830
; %bb.829:
	v_mov_b32_e32 v20, 0
	ds_read_b32 v20, v20 offset:4160
	s_waitcnt lgkmcnt(0)
	v_mul_f32_e32 v19, v19, v20
	v_xor_b32_e32 v20, 0x80000000, v19
	ds_write_b32 v4, v20
.LBB18_830:
	s_or_b64 exec, exec, s[12:13]
	s_waitcnt lgkmcnt(0)
	s_barrier
	s_barrier
	s_and_saveexec_b64 s[12:13], s[2:3]
; %bb.831:
	v_lshlrev_b32_e32 v20, 2, v1
	v_lshl_or_b32 v20, v3, 8, v20
	ds_write_b32 v20, v19 offset:4672
; %bb.832:
	s_or_b64 exec, exec, s[12:13]
	s_waitcnt lgkmcnt(0)
	s_barrier
	s_barrier
	s_and_saveexec_b64 s[12:13], s[34:35]
	s_cbranch_execz .LBB18_834
; %bb.833:
	v_lshlrev_b32_e32 v19, 2, v0
	s_movk_i32 s14, 0xfc
	v_mad_u32_u24 v20, v0, s14, v19
	ds_read_b32 v21, v20 offset:4672
	s_waitcnt lgkmcnt(0)
	ds_write_b32 v19, v21 offset:4168
	ds_read_b32 v20, v20 offset:4676
	s_waitcnt lgkmcnt(0)
	ds_write_b32 v19, v20 offset:4424
.LBB18_834:
	s_or_b64 exec, exec, s[12:13]
	s_waitcnt lgkmcnt(0)
	s_barrier
	s_and_saveexec_b64 s[12:13], vcc
	s_cbranch_execz .LBB18_836
; %bb.835:
	v_mov_b32_e32 v21, 0
	ds_read_b64 v[19:20], v21 offset:4416
	ds_read_b32 v21, v21 offset:4160
	s_movk_i32 s14, 0x1000
	s_waitcnt lgkmcnt(0)
	v_mul_f32_e32 v20, v21, v20
	v_mul_f32_e32 v19, v19, v20
	v_add_u32_e64 v20, s14, 0
	ds_write2_b32 v20, v19, v19 offset0:17 offset1:80
.LBB18_836:
	s_or_b64 exec, exec, s[12:13]
	v_mov_b32_e32 v19, 0
	s_waitcnt lgkmcnt(0)
	s_barrier
	buffer_wbinvl1_vol
	s_and_saveexec_b64 s[14:15], s[10:11]
	s_cbranch_execz .LBB18_864
; %bb.837:
	v_lshlrev_b32_e32 v21, 2, v16
	v_lshlrev_b32_e32 v20, 8, v17
	ds_read_b32 v19, v21 offset:4096
	ds_read_b32 v22, v20 offset:4160
	s_movk_i32 s12, 0xf0
	v_cmp_gt_u32_e64 s[12:13], s12, v5
	s_waitcnt lgkmcnt(0)
	v_fma_f32 v19, v19, v22, 0
	s_and_saveexec_b64 s[16:17], s[12:13]
	s_cbranch_execz .LBB18_839
; %bb.838:
	ds_read_b32 v22, v21 offset:4352
	ds_read_b32 v23, v20 offset:4164
	s_waitcnt lgkmcnt(0)
	v_fmac_f32_e32 v19, v22, v23
.LBB18_839:
	s_or_b64 exec, exec, s[16:17]
	s_movk_i32 s12, 0xe0
	v_cmp_gt_u32_e64 s[12:13], s12, v5
	s_and_saveexec_b64 s[16:17], s[12:13]
	s_cbranch_execz .LBB18_841
; %bb.840:
	ds_read_b32 v22, v21 offset:4608
	ds_read_b32 v23, v20 offset:4168
	s_waitcnt lgkmcnt(0)
	v_fmac_f32_e32 v19, v22, v23
.LBB18_841:
	s_or_b64 exec, exec, s[16:17]
	s_movk_i32 s12, 0xd0
	v_cmp_gt_u32_e64 s[12:13], s12, v5
	;; [unrolled: 11-line block ×10, first 2 shown]
	s_and_saveexec_b64 s[16:17], s[12:13]
	s_cbranch_execnz .LBB18_1242
; %bb.858:
	s_or_b64 exec, exec, s[16:17]
	s_and_saveexec_b64 s[12:13], s[8:9]
	s_cbranch_execnz .LBB18_1243
.LBB18_859:
	s_or_b64 exec, exec, s[12:13]
	v_cmp_gt_u32_e64 s[12:13], 48, v5
	s_and_saveexec_b64 s[16:17], s[12:13]
	s_cbranch_execnz .LBB18_1244
.LBB18_860:
	s_or_b64 exec, exec, s[16:17]
	v_cmp_gt_u32_e64 s[12:13], 32, v5
	s_and_saveexec_b64 s[16:17], s[12:13]
	s_cbranch_execnz .LBB18_1245
.LBB18_861:
	s_or_b64 exec, exec, s[16:17]
	v_cmp_gt_u32_e64 s[12:13], 16, v5
	s_and_saveexec_b64 s[16:17], s[12:13]
	s_cbranch_execz .LBB18_863
.LBB18_862:
	v_lshlrev_b32_e32 v20, 2, v0
	v_mov_b32_e32 v21, 0
	ds_read_b32 v20, v20 offset:7936
	ds_read_b32 v21, v21 offset:8060
	s_waitcnt lgkmcnt(0)
	v_fmac_f32_e32 v19, v20, v21
.LBB18_863:
	s_or_b64 exec, exec, s[16:17]
.LBB18_864:
	s_or_b64 exec, exec, s[14:15]
	s_mov_b64 s[12:13], exec
	v_readlane_b32 s14, v27, 3
	v_readlane_b32 s15, v27, 4
	s_and_b64 s[14:15], s[12:13], s[14:15]
	s_mov_b64 exec, s[14:15]
	s_cbranch_execz .LBB18_866
; %bb.865:
	v_mov_b32_e32 v20, 0
	ds_read_b32 v20, v20 offset:3900
	s_waitcnt lgkmcnt(0)
	v_mul_f32_e32 v19, v19, v20
	v_xor_b32_e32 v20, 0x80000000, v19
	ds_write_b32 v18, v20
.LBB18_866:
	s_or_b64 exec, exec, s[12:13]
	s_waitcnt lgkmcnt(0)
	s_barrier
	s_mov_b64 s[12:13], exec
	v_readlane_b32 s14, v27, 5
	v_readlane_b32 s15, v27, 6
	s_and_b64 s[14:15], s[12:13], s[14:15]
	s_mov_b64 exec, s[14:15]
	s_cbranch_execz .LBB18_868
; %bb.867:
	v_lshlrev_b32_e32 v20, 2, v16
	ds_read_b32 v20, v20 offset:3840
	ds_read_b32 v21, v18
	s_waitcnt lgkmcnt(0)
	v_fma_f32 v19, -v20, v21, v19
.LBB18_868:
	s_or_b64 exec, exec, s[12:13]
	s_barrier
	s_mov_b64 s[12:13], exec
	v_readlane_b32 s14, v27, 7
	v_readlane_b32 s15, v27, 8
	s_and_b64 s[14:15], s[12:13], s[14:15]
	s_mov_b64 exec, s[14:15]
	s_cbranch_execz .LBB18_870
; %bb.869:
	v_mov_b32_e32 v20, 0
	ds_read_b32 v20, v20 offset:3640
	s_waitcnt lgkmcnt(0)
	v_mul_f32_e32 v19, v19, v20
	v_xor_b32_e32 v20, 0x80000000, v19
	ds_write_b32 v18, v20
.LBB18_870:
	s_or_b64 exec, exec, s[12:13]
	s_waitcnt lgkmcnt(0)
	s_barrier
	s_mov_b64 s[12:13], exec
	v_readlane_b32 s14, v27, 9
	v_readlane_b32 s15, v27, 10
	s_and_b64 s[14:15], s[12:13], s[14:15]
	s_mov_b64 exec, s[14:15]
	s_cbranch_execz .LBB18_872
; %bb.871:
	v_lshlrev_b32_e32 v20, 2, v16
	ds_read_b32 v20, v20 offset:3584
	ds_read_b32 v21, v18
	s_waitcnt lgkmcnt(0)
	v_fma_f32 v19, -v20, v21, v19
.LBB18_872:
	s_or_b64 exec, exec, s[12:13]
	s_barrier
	;; [unrolled: 32-line block ×12, first 2 shown]
	s_mov_b64 s[12:13], exec
	v_readlane_b32 s14, v27, 51
	v_readlane_b32 s15, v27, 52
	s_and_b64 s[14:15], s[12:13], s[14:15]
	s_mov_b64 exec, s[14:15]
	s_cbranch_execz .LBB18_914
; %bb.913:
	v_mov_b32_e32 v20, 0
	ds_read_b32 v20, v20 offset:780
	s_waitcnt lgkmcnt(0)
	v_mul_f32_e32 v19, v19, v20
	v_xor_b32_e32 v20, 0x80000000, v19
	ds_write_b32 v18, v20
.LBB18_914:
	s_or_b64 exec, exec, s[12:13]
	s_waitcnt lgkmcnt(0)
	s_barrier
	s_and_saveexec_b64 s[12:13], s[0:1]
	s_cbranch_execz .LBB18_916
; %bb.915:
	v_lshlrev_b32_e32 v20, 2, v16
	ds_read_b32 v20, v20 offset:768
	ds_read_b32 v21, v18
	s_waitcnt lgkmcnt(0)
	v_fma_f32 v19, -v20, v21, v19
.LBB18_916:
	s_or_b64 exec, exec, s[12:13]
	s_barrier
	s_mov_b64 s[0:1], exec
	v_readlane_b32 s12, v27, 53
	v_readlane_b32 s13, v27, 54
	s_and_b64 s[12:13], s[0:1], s[12:13]
	s_mov_b64 exec, s[12:13]
	s_cbranch_execz .LBB18_918
; %bb.917:
	v_mov_b32_e32 v20, 0
	ds_read_b32 v20, v20 offset:520
	s_waitcnt lgkmcnt(0)
	v_mul_f32_e32 v19, v19, v20
	v_xor_b32_e32 v20, 0x80000000, v19
	ds_write_b32 v18, v20
.LBB18_918:
	s_or_b64 exec, exec, s[0:1]
	s_waitcnt lgkmcnt(0)
	s_barrier
	s_and_saveexec_b64 s[0:1], s[82:83]
	s_cbranch_execz .LBB18_920
; %bb.919:
	v_lshlrev_b32_e32 v20, 2, v16
	ds_read_b32 v20, v20 offset:512
	ds_read_b32 v21, v18
	s_waitcnt lgkmcnt(0)
	v_fma_f32 v19, -v20, v21, v19
.LBB18_920:
	s_or_b64 exec, exec, s[0:1]
	s_barrier
	s_and_saveexec_b64 s[0:1], s[84:85]
	s_cbranch_execz .LBB18_922
; %bb.921:
	v_mov_b32_e32 v20, 0
	ds_read_b32 v20, v20 offset:260
	s_waitcnt lgkmcnt(0)
	v_mul_f32_e32 v19, v19, v20
	v_xor_b32_e32 v20, 0x80000000, v19
	ds_write_b32 v18, v20
.LBB18_922:
	s_or_b64 exec, exec, s[0:1]
	s_waitcnt lgkmcnt(0)
	s_barrier
	s_and_saveexec_b64 s[0:1], s[86:87]
	s_cbranch_execz .LBB18_924
; %bb.923:
	v_mov_b32_e32 v20, 0
	ds_read_b32 v20, v20 offset:256
	ds_read_b32 v21, v18
	s_waitcnt lgkmcnt(0)
	v_fma_f32 v19, -v20, v21, v19
.LBB18_924:
	s_or_b64 exec, exec, s[0:1]
	s_barrier
	s_and_saveexec_b64 s[0:1], s[86:87]
	s_cbranch_execz .LBB18_926
; %bb.925:
	v_mov_b32_e32 v20, 0
	ds_read_b32 v20, v20
	s_waitcnt lgkmcnt(0)
	v_mul_f32_e32 v19, v19, v20
	v_xor_b32_e32 v20, 0x80000000, v19
	ds_write_b32 v18, v20
.LBB18_926:
	s_or_b64 exec, exec, s[0:1]
	s_waitcnt lgkmcnt(0)
	s_barrier
	s_barrier
	s_and_saveexec_b64 s[0:1], s[10:11]
; %bb.927:
	v_lshlrev_b32_e32 v16, 2, v16
	v_lshl_or_b32 v16, v17, 8, v16
	ds_write_b32 v16, v19 offset:4096
; %bb.928:
	s_or_b64 exec, exec, s[0:1]
	s_waitcnt lgkmcnt(0)
	s_barrier
	s_barrier
	s_and_saveexec_b64 s[0:1], s[88:89]
	s_cbranch_execz .LBB18_930
; %bb.929:
	v_lshlrev_b32_e32 v16, 8, v0
	ds_read_b32 v17, v16 offset:4096
	s_movk_i32 s10, 0xff04
	v_mad_i32_i24 v18, v0, s10, v16
	s_waitcnt lgkmcnt(0)
	ds_write_b32 v18, v17 offset:64
	ds_read_b32 v17, v16 offset:4100
	s_waitcnt lgkmcnt(0)
	ds_write_b32 v18, v17 offset:320
	ds_read_b32 v17, v16 offset:4104
	;; [unrolled: 3-line block ×15, first 2 shown]
	s_waitcnt lgkmcnt(0)
	ds_write_b32 v18, v16 offset:3904
.LBB18_930:
	s_or_b64 exec, exec, s[0:1]
	s_waitcnt lgkmcnt(0)
	s_barrier
	s_and_saveexec_b64 s[0:1], vcc
	s_cbranch_execz .LBB18_932
; %bb.931:
	v_mov_b32_e32 v18, 0
	ds_read_b64 v[16:17], v18 offset:3896
	ds_read_b32 v18, v18 offset:3640
	s_movk_i32 s10, 0xc00
	s_waitcnt lgkmcnt(0)
	v_mul_f32_e32 v17, v18, v17
	v_mul_f32_e32 v16, v16, v17
	v_add_u32_e64 v17, s10, 0
	ds_write2_b32 v17, v16, v16 offset0:143 offset1:206
.LBB18_932:
	s_or_b64 exec, exec, s[0:1]
	v_mov_b32_e32 v16, 0
	s_waitcnt lgkmcnt(0)
	s_barrier
	buffer_wbinvl1_vol
	s_and_saveexec_b64 s[0:1], s[2:3]
	s_cbranch_execz .LBB18_936
; %bb.933:
	v_lshlrev_b32_e32 v16, 8, v3
	v_lshlrev_b32_e32 v17, 2, v1
	ds_read_b32 v18, v17 offset:3632
	ds_read_b32 v16, v16 offset:3640
	v_mov_b32_e32 v17, 0
	v_cmp_gt_u32_e64 s[10:11], 2, v5
	s_waitcnt lgkmcnt(0)
	v_fma_f32 v16, v18, v16, 0
	s_and_saveexec_b64 s[12:13], s[10:11]
	s_cbranch_execz .LBB18_935
; %bb.934:
	v_lshlrev_b32_e32 v18, 2, v0
	ds_read_b32 v18, v18 offset:3888
	ds_read_b32 v17, v17 offset:3900
	s_waitcnt lgkmcnt(0)
	v_fmac_f32_e32 v16, v18, v17
.LBB18_935:
	s_or_b64 exec, exec, s[12:13]
.LBB18_936:
	s_or_b64 exec, exec, s[0:1]
	s_and_saveexec_b64 s[0:1], s[30:31]
	s_cbranch_execz .LBB18_938
; %bb.937:
	v_mov_b32_e32 v17, 0
	ds_read_b32 v17, v17 offset:3380
	s_waitcnt lgkmcnt(0)
	v_mul_f32_e32 v16, v16, v17
	v_xor_b32_e32 v17, 0x80000000, v16
	ds_write_b32 v4, v17
.LBB18_938:
	s_or_b64 exec, exec, s[0:1]
	s_waitcnt lgkmcnt(0)
	s_barrier
	s_and_saveexec_b64 s[0:1], s[26:27]
	s_cbranch_execz .LBB18_940
; %bb.939:
	v_mov_b32_e32 v17, 0
	ds_read_b32 v17, v17 offset:3376
	ds_read_b32 v18, v4
	s_waitcnt lgkmcnt(0)
	v_fma_f32 v16, -v17, v18, v16
.LBB18_940:
	s_or_b64 exec, exec, s[0:1]
	s_barrier
	s_and_saveexec_b64 s[0:1], s[26:27]
	s_cbranch_execz .LBB18_942
; %bb.941:
	v_mov_b32_e32 v17, 0
	ds_read_b32 v17, v17 offset:3120
	s_waitcnt lgkmcnt(0)
	v_mul_f32_e32 v16, v16, v17
	v_xor_b32_e32 v17, 0x80000000, v16
	ds_write_b32 v4, v17
.LBB18_942:
	s_or_b64 exec, exec, s[0:1]
	s_waitcnt lgkmcnt(0)
	s_barrier
	s_barrier
	s_and_saveexec_b64 s[0:1], s[2:3]
; %bb.943:
	v_lshlrev_b32_e32 v17, 2, v1
	v_lshl_or_b32 v17, v3, 8, v17
	ds_write_b32 v17, v16 offset:3632
; %bb.944:
	s_or_b64 exec, exec, s[0:1]
	s_waitcnt lgkmcnt(0)
	s_barrier
	s_barrier
	s_and_saveexec_b64 s[0:1], s[34:35]
	s_cbranch_execz .LBB18_946
; %bb.945:
	v_lshlrev_b32_e32 v16, 2, v0
	s_movk_i32 s10, 0xfc
	v_mad_u32_u24 v17, v0, s10, v16
	ds_read_b32 v18, v17 offset:3632
	s_waitcnt lgkmcnt(0)
	ds_write_b32 v16, v18 offset:3128
	ds_read_b32 v17, v17 offset:3636
	s_waitcnt lgkmcnt(0)
	ds_write_b32 v16, v17 offset:3384
.LBB18_946:
	s_or_b64 exec, exec, s[0:1]
	s_waitcnt lgkmcnt(0)
	s_barrier
	s_and_saveexec_b64 s[0:1], vcc
	s_cbranch_execz .LBB18_948
; %bb.947:
	v_mov_b32_e32 v18, 0
	ds_read_b64 v[16:17], v18 offset:3376
	ds_read_b32 v18, v18 offset:3120
	s_movk_i32 s10, 0xc00
	s_waitcnt lgkmcnt(0)
	v_mul_f32_e32 v17, v18, v17
	v_mul_f32_e32 v16, v16, v17
	v_add_u32_e64 v17, s10, 0
	ds_write2_b32 v17, v16, v16 offset0:13 offset1:76
.LBB18_948:
	s_or_b64 exec, exec, s[0:1]
	v_mov_b32_e32 v16, 0
	s_waitcnt lgkmcnt(0)
	s_barrier
	buffer_wbinvl1_vol
	s_and_saveexec_b64 s[0:1], s[18:19]
	s_cbranch_execz .LBB18_954
; %bb.949:
	v_lshlrev_b32_e32 v18, 2, v6
	v_lshlrev_b32_e32 v17, 8, v11
	ds_read_b32 v16, v18 offset:3104
	ds_read_b32 v19, v17 offset:3120
	v_cmp_gt_u32_e64 s[10:11], 12, v5
	s_waitcnt lgkmcnt(0)
	v_fma_f32 v16, v16, v19, 0
	s_and_saveexec_b64 s[12:13], s[10:11]
	s_cbranch_execnz .LBB18_1246
; %bb.950:
	s_or_b64 exec, exec, s[12:13]
	v_cmp_gt_u32_e64 s[10:11], 8, v5
	s_and_saveexec_b64 s[12:13], s[10:11]
	s_cbranch_execnz .LBB18_1247
.LBB18_951:
	s_or_b64 exec, exec, s[12:13]
	v_cmp_gt_u32_e64 s[10:11], 4, v5
	s_and_saveexec_b64 s[12:13], s[10:11]
	s_cbranch_execz .LBB18_953
.LBB18_952:
	v_lshlrev_b32_e32 v17, 2, v0
	v_mov_b32_e32 v18, 0
	ds_read_b32 v17, v17 offset:3872
	ds_read_b32 v18, v18 offset:3900
	s_waitcnt lgkmcnt(0)
	v_fmac_f32_e32 v16, v17, v18
.LBB18_953:
	s_or_b64 exec, exec, s[12:13]
.LBB18_954:
	s_or_b64 exec, exec, s[0:1]
	s_and_saveexec_b64 s[0:1], s[38:39]
	s_cbranch_execz .LBB18_956
; %bb.955:
	v_mov_b32_e32 v17, 0
	ds_read_b32 v17, v17 offset:2860
	s_waitcnt lgkmcnt(0)
	v_mul_f32_e32 v16, v16, v17
	v_xor_b32_e32 v17, 0x80000000, v16
	ds_write_b32 v12, v17
.LBB18_956:
	s_or_b64 exec, exec, s[0:1]
	s_waitcnt lgkmcnt(0)
	s_barrier
	s_and_saveexec_b64 s[0:1], s[40:41]
	s_cbranch_execz .LBB18_958
; %bb.957:
	v_lshlrev_b32_e32 v17, 2, v6
	ds_read_b32 v17, v17 offset:2848
	ds_read_b32 v18, v12
	s_waitcnt lgkmcnt(0)
	v_fma_f32 v16, -v17, v18, v16
.LBB18_958:
	s_or_b64 exec, exec, s[0:1]
	s_barrier
	s_and_saveexec_b64 s[0:1], s[42:43]
	s_cbranch_execz .LBB18_960
; %bb.959:
	v_mov_b32_e32 v17, 0
	ds_read_b32 v17, v17 offset:2600
	s_waitcnt lgkmcnt(0)
	v_mul_f32_e32 v16, v16, v17
	v_xor_b32_e32 v17, 0x80000000, v16
	ds_write_b32 v12, v17
.LBB18_960:
	s_or_b64 exec, exec, s[0:1]
	s_waitcnt lgkmcnt(0)
	s_barrier
	s_and_saveexec_b64 s[0:1], s[44:45]
	s_cbranch_execz .LBB18_962
; %bb.961:
	v_lshlrev_b32_e32 v17, 2, v6
	ds_read_b32 v17, v17 offset:2592
	ds_read_b32 v18, v12
	s_waitcnt lgkmcnt(0)
	v_fma_f32 v16, -v17, v18, v16
.LBB18_962:
	s_or_b64 exec, exec, s[0:1]
	s_barrier
	s_and_saveexec_b64 s[0:1], s[46:47]
	s_cbranch_execz .LBB18_964
; %bb.963:
	v_mov_b32_e32 v17, 0
	ds_read_b32 v17, v17 offset:2340
	s_waitcnt lgkmcnt(0)
	v_mul_f32_e32 v16, v16, v17
	v_xor_b32_e32 v17, 0x80000000, v16
	ds_write_b32 v12, v17
.LBB18_964:
	s_or_b64 exec, exec, s[0:1]
	s_waitcnt lgkmcnt(0)
	s_barrier
	s_and_saveexec_b64 s[0:1], s[36:37]
	s_cbranch_execz .LBB18_966
; %bb.965:
	v_mov_b32_e32 v17, 0
	ds_read_b32 v17, v17 offset:2336
	ds_read_b32 v18, v12
	s_waitcnt lgkmcnt(0)
	v_fma_f32 v16, -v17, v18, v16
.LBB18_966:
	s_or_b64 exec, exec, s[0:1]
	s_barrier
	s_and_saveexec_b64 s[0:1], s[36:37]
	s_cbranch_execz .LBB18_968
; %bb.967:
	v_mov_b32_e32 v17, 0
	ds_read_b32 v17, v17 offset:2080
	s_waitcnt lgkmcnt(0)
	v_mul_f32_e32 v16, v16, v17
	v_xor_b32_e32 v17, 0x80000000, v16
	ds_write_b32 v12, v17
.LBB18_968:
	s_or_b64 exec, exec, s[0:1]
	s_waitcnt lgkmcnt(0)
	s_barrier
	s_barrier
	s_and_saveexec_b64 s[0:1], s[18:19]
; %bb.969:
	v_lshlrev_b32_e32 v17, 2, v6
	v_lshl_or_b32 v17, v11, 8, v17
	ds_write_b32 v17, v16 offset:3104
; %bb.970:
	s_or_b64 exec, exec, s[0:1]
	s_waitcnt lgkmcnt(0)
	s_barrier
	s_barrier
	s_and_saveexec_b64 s[0:1], s[48:49]
	s_cbranch_execz .LBB18_972
; %bb.971:
	v_lshlrev_b32_e32 v16, 8, v0
	ds_read_b32 v17, v16 offset:3104
	s_movk_i32 s10, 0xff04
	v_mad_i32_i24 v18, v0, s10, v16
	s_waitcnt lgkmcnt(0)
	ds_write_b32 v18, v17 offset:2096
	ds_read_b32 v17, v16 offset:3108
	s_waitcnt lgkmcnt(0)
	ds_write_b32 v18, v17 offset:2352
	ds_read_b32 v17, v16 offset:3112
	;; [unrolled: 3-line block ×3, first 2 shown]
	s_waitcnt lgkmcnt(0)
	ds_write_b32 v18, v16 offset:2864
.LBB18_972:
	s_or_b64 exec, exec, s[0:1]
	s_waitcnt lgkmcnt(0)
	s_barrier
	s_and_saveexec_b64 s[0:1], vcc
	s_cbranch_execz .LBB18_974
; %bb.973:
	v_mov_b32_e32 v18, 0
	ds_read_b64 v[16:17], v18 offset:2856
	ds_read_b32 v18, v18 offset:2600
	s_movk_i32 s10, 0x800
	s_waitcnt lgkmcnt(0)
	v_mul_f32_e32 v17, v18, v17
	v_mul_f32_e32 v16, v16, v17
	v_add_u32_e64 v17, s10, 0
	ds_write2_b32 v17, v16, v16 offset0:139 offset1:202
.LBB18_974:
	s_or_b64 exec, exec, s[0:1]
	v_mov_b32_e32 v16, 0
	s_waitcnt lgkmcnt(0)
	s_barrier
	buffer_wbinvl1_vol
	s_and_saveexec_b64 s[0:1], s[2:3]
	s_cbranch_execz .LBB18_978
; %bb.975:
	v_lshlrev_b32_e32 v16, 8, v3
	v_lshlrev_b32_e32 v17, 2, v1
	ds_read_b32 v18, v17 offset:2592
	ds_read_b32 v16, v16 offset:2600
	v_mov_b32_e32 v17, 0
	v_cmp_gt_u32_e64 s[10:11], 2, v5
	s_waitcnt lgkmcnt(0)
	v_fma_f32 v16, v18, v16, 0
	s_and_saveexec_b64 s[12:13], s[10:11]
	s_cbranch_execz .LBB18_977
; %bb.976:
	v_lshlrev_b32_e32 v18, 2, v0
	ds_read_b32 v18, v18 offset:2848
	ds_read_b32 v17, v17 offset:2860
	s_waitcnt lgkmcnt(0)
	v_fmac_f32_e32 v16, v18, v17
.LBB18_977:
	s_or_b64 exec, exec, s[12:13]
.LBB18_978:
	s_or_b64 exec, exec, s[0:1]
	s_and_saveexec_b64 s[0:1], s[30:31]
	s_cbranch_execz .LBB18_980
; %bb.979:
	v_mov_b32_e32 v17, 0
	ds_read_b32 v17, v17 offset:2340
	s_waitcnt lgkmcnt(0)
	v_mul_f32_e32 v16, v16, v17
	v_xor_b32_e32 v17, 0x80000000, v16
	ds_write_b32 v4, v17
.LBB18_980:
	s_or_b64 exec, exec, s[0:1]
	s_waitcnt lgkmcnt(0)
	s_barrier
	s_and_saveexec_b64 s[0:1], s[26:27]
	s_cbranch_execz .LBB18_982
; %bb.981:
	v_mov_b32_e32 v17, 0
	ds_read_b32 v17, v17 offset:2336
	ds_read_b32 v18, v4
	s_waitcnt lgkmcnt(0)
	v_fma_f32 v16, -v17, v18, v16
.LBB18_982:
	s_or_b64 exec, exec, s[0:1]
	s_barrier
	s_and_saveexec_b64 s[0:1], s[26:27]
	s_cbranch_execz .LBB18_984
; %bb.983:
	v_mov_b32_e32 v17, 0
	ds_read_b32 v17, v17 offset:2080
	s_waitcnt lgkmcnt(0)
	v_mul_f32_e32 v16, v16, v17
	v_xor_b32_e32 v17, 0x80000000, v16
	ds_write_b32 v4, v17
.LBB18_984:
	s_or_b64 exec, exec, s[0:1]
	s_waitcnt lgkmcnt(0)
	s_barrier
	s_barrier
	s_and_saveexec_b64 s[0:1], s[2:3]
; %bb.985:
	v_lshlrev_b32_e32 v17, 2, v1
	v_lshl_or_b32 v17, v3, 8, v17
	ds_write_b32 v17, v16 offset:2592
; %bb.986:
	s_or_b64 exec, exec, s[0:1]
	s_waitcnt lgkmcnt(0)
	s_barrier
	s_barrier
	s_and_saveexec_b64 s[0:1], s[34:35]
	s_cbranch_execz .LBB18_988
; %bb.987:
	v_lshlrev_b32_e32 v16, 2, v0
	s_movk_i32 s10, 0xfc
	v_mad_u32_u24 v17, v0, s10, v16
	ds_read_b32 v18, v17 offset:2592
	s_waitcnt lgkmcnt(0)
	ds_write_b32 v16, v18 offset:2088
	ds_read_b32 v17, v17 offset:2596
	s_waitcnt lgkmcnt(0)
	ds_write_b32 v16, v17 offset:2344
.LBB18_988:
	s_or_b64 exec, exec, s[0:1]
	s_waitcnt lgkmcnt(0)
	s_barrier
	s_and_saveexec_b64 s[0:1], vcc
	s_cbranch_execz .LBB18_990
; %bb.989:
	v_mov_b32_e32 v18, 0
	ds_read_b64 v[16:17], v18 offset:2336
	ds_read_b32 v18, v18 offset:2080
	s_movk_i32 s10, 0x800
	s_waitcnt lgkmcnt(0)
	v_mul_f32_e32 v17, v18, v17
	v_mul_f32_e32 v16, v16, v17
	v_add_u32_e64 v17, s10, 0
	ds_write2_b32 v17, v16, v16 offset0:9 offset1:72
.LBB18_990:
	s_or_b64 exec, exec, s[0:1]
	v_mov_b32_e32 v16, 0
	s_waitcnt lgkmcnt(0)
	s_barrier
	buffer_wbinvl1_vol
	s_and_saveexec_b64 s[0:1], s[8:9]
	s_cbranch_execz .LBB18_1000
; %bb.991:
	v_lshlrev_b32_e32 v18, 2, v13
	v_lshlrev_b32_e32 v17, 8, v14
	ds_read_b32 v16, v18 offset:2048
	ds_read_b32 v19, v17 offset:2080
	v_cmp_gt_u32_e64 s[10:11], 56, v5
	s_waitcnt lgkmcnt(0)
	v_fma_f32 v16, v16, v19, 0
	s_and_saveexec_b64 s[12:13], s[10:11]
	s_cbranch_execnz .LBB18_1248
; %bb.992:
	s_or_b64 exec, exec, s[12:13]
	v_cmp_gt_u32_e64 s[10:11], 48, v5
	s_and_saveexec_b64 s[12:13], s[10:11]
	s_cbranch_execnz .LBB18_1249
.LBB18_993:
	s_or_b64 exec, exec, s[12:13]
	v_cmp_gt_u32_e64 s[10:11], 40, v5
	s_and_saveexec_b64 s[12:13], s[10:11]
	s_cbranch_execnz .LBB18_1250
.LBB18_994:
	s_or_b64 exec, exec, s[12:13]
	v_cmp_gt_u32_e64 s[10:11], 32, v5
	s_and_saveexec_b64 s[12:13], s[10:11]
	s_cbranch_execnz .LBB18_1251
.LBB18_995:
	s_or_b64 exec, exec, s[12:13]
	v_cmp_gt_u32_e64 s[10:11], 24, v5
	s_and_saveexec_b64 s[12:13], s[10:11]
	s_cbranch_execnz .LBB18_1252
.LBB18_996:
	s_or_b64 exec, exec, s[12:13]
	s_and_saveexec_b64 s[10:11], s[18:19]
	s_cbranch_execnz .LBB18_1253
.LBB18_997:
	s_or_b64 exec, exec, s[10:11]
	v_cmp_gt_u32_e64 s[10:11], 8, v5
	s_and_saveexec_b64 s[12:13], s[10:11]
	s_cbranch_execz .LBB18_999
.LBB18_998:
	v_lshlrev_b32_e32 v17, 2, v0
	v_mov_b32_e32 v18, 0
	ds_read_b32 v17, v17 offset:3840
	ds_read_b32 v18, v18 offset:3900
	s_waitcnt lgkmcnt(0)
	v_fmac_f32_e32 v16, v17, v18
.LBB18_999:
	s_or_b64 exec, exec, s[12:13]
.LBB18_1000:
	s_or_b64 exec, exec, s[0:1]
	s_and_saveexec_b64 s[0:1], s[50:51]
	s_cbranch_execz .LBB18_1002
; %bb.1001:
	v_mov_b32_e32 v17, 0
	ds_read_b32 v17, v17 offset:1820
	s_waitcnt lgkmcnt(0)
	v_mul_f32_e32 v16, v16, v17
	v_xor_b32_e32 v17, 0x80000000, v16
	ds_write_b32 v15, v17
.LBB18_1002:
	s_or_b64 exec, exec, s[0:1]
	s_waitcnt lgkmcnt(0)
	s_barrier
	s_and_saveexec_b64 s[0:1], s[52:53]
	v_readlane_b32 s50, v27, 1
	v_readlane_b32 s51, v27, 2
	s_cbranch_execz .LBB18_1004
; %bb.1003:
	v_lshlrev_b32_e32 v17, 2, v13
	ds_read_b32 v17, v17 offset:1792
	ds_read_b32 v18, v15
	s_waitcnt lgkmcnt(0)
	v_fma_f32 v16, -v17, v18, v16
.LBB18_1004:
	s_or_b64 exec, exec, s[0:1]
	s_barrier
	s_and_saveexec_b64 s[0:1], s[54:55]
	s_cbranch_execz .LBB18_1006
; %bb.1005:
	v_mov_b32_e32 v17, 0
	ds_read_b32 v17, v17 offset:1560
	s_waitcnt lgkmcnt(0)
	v_mul_f32_e32 v16, v16, v17
	v_xor_b32_e32 v17, 0x80000000, v16
	ds_write_b32 v15, v17
.LBB18_1006:
	s_or_b64 exec, exec, s[0:1]
	s_waitcnt lgkmcnt(0)
	s_barrier
	s_and_saveexec_b64 s[0:1], s[56:57]
	s_cbranch_execz .LBB18_1008
; %bb.1007:
	v_lshlrev_b32_e32 v17, 2, v13
	ds_read_b32 v17, v17 offset:1536
	ds_read_b32 v18, v15
	s_waitcnt lgkmcnt(0)
	v_fma_f32 v16, -v17, v18, v16
.LBB18_1008:
	s_or_b64 exec, exec, s[0:1]
	s_barrier
	s_and_saveexec_b64 s[0:1], s[58:59]
	s_cbranch_execz .LBB18_1010
; %bb.1009:
	v_mov_b32_e32 v17, 0
	ds_read_b32 v17, v17 offset:1300
	s_waitcnt lgkmcnt(0)
	v_mul_f32_e32 v16, v16, v17
	v_xor_b32_e32 v17, 0x80000000, v16
	ds_write_b32 v15, v17
.LBB18_1010:
	s_or_b64 exec, exec, s[0:1]
	s_waitcnt lgkmcnt(0)
	s_barrier
	s_and_saveexec_b64 s[0:1], s[62:63]
	;; [unrolled: 24-line block ×6, first 2 shown]
	s_cbranch_execz .LBB18_1028
; %bb.1027:
	v_mov_b32_e32 v17, 0
	ds_read_b32 v17, v17 offset:256
	ds_read_b32 v18, v15
	s_waitcnt lgkmcnt(0)
	v_fma_f32 v16, -v17, v18, v16
.LBB18_1028:
	s_or_b64 exec, exec, s[0:1]
	s_barrier
	s_and_saveexec_b64 s[0:1], s[60:61]
	s_cbranch_execz .LBB18_1030
; %bb.1029:
	v_mov_b32_e32 v17, 0
	ds_read_b32 v17, v17
	s_waitcnt lgkmcnt(0)
	v_mul_f32_e32 v16, v16, v17
	v_xor_b32_e32 v17, 0x80000000, v16
	ds_write_b32 v15, v17
.LBB18_1030:
	s_or_b64 exec, exec, s[0:1]
	s_waitcnt lgkmcnt(0)
	s_barrier
	s_barrier
	s_and_saveexec_b64 s[0:1], s[8:9]
; %bb.1031:
	v_lshlrev_b32_e32 v13, 2, v13
	v_lshl_or_b32 v13, v14, 8, v13
	ds_write_b32 v13, v16 offset:2048
; %bb.1032:
	s_or_b64 exec, exec, s[0:1]
	s_waitcnt lgkmcnt(0)
	s_barrier
	s_barrier
	s_and_saveexec_b64 s[0:1], s[78:79]
	s_cbranch_execz .LBB18_1034
; %bb.1033:
	v_lshlrev_b32_e32 v13, 8, v0
	ds_read_b32 v14, v13 offset:2048
	s_movk_i32 s8, 0xff04
	v_mad_i32_i24 v15, v0, s8, v13
	s_waitcnt lgkmcnt(0)
	ds_write_b32 v15, v14 offset:32
	ds_read_b32 v14, v13 offset:2052
	s_waitcnt lgkmcnt(0)
	ds_write_b32 v15, v14 offset:288
	ds_read_b32 v14, v13 offset:2056
	;; [unrolled: 3-line block ×7, first 2 shown]
	s_waitcnt lgkmcnt(0)
	ds_write_b32 v15, v13 offset:1824
.LBB18_1034:
	s_or_b64 exec, exec, s[0:1]
	s_waitcnt lgkmcnt(0)
	s_barrier
	s_and_saveexec_b64 s[0:1], vcc
	s_cbranch_execz .LBB18_1036
; %bb.1035:
	v_mov_b32_e32 v15, 0
	ds_read_b64 v[13:14], v15 offset:1816
	ds_read_b32 v15, v15 offset:1560
	s_movk_i32 s8, 0x400
	s_waitcnt lgkmcnt(0)
	v_mul_f32_e32 v14, v15, v14
	v_mul_f32_e32 v13, v13, v14
	v_add_u32_e64 v14, s8, 0
	ds_write2_b32 v14, v13, v13 offset0:135 offset1:198
.LBB18_1036:
	s_or_b64 exec, exec, s[0:1]
	v_mov_b32_e32 v13, 0
	s_waitcnt lgkmcnt(0)
	s_barrier
	buffer_wbinvl1_vol
	s_and_saveexec_b64 s[0:1], s[2:3]
	s_cbranch_execz .LBB18_1040
; %bb.1037:
	v_lshlrev_b32_e32 v13, 8, v3
	v_lshlrev_b32_e32 v14, 2, v1
	ds_read_b32 v15, v14 offset:1552
	ds_read_b32 v13, v13 offset:1560
	v_mov_b32_e32 v14, 0
	v_cmp_gt_u32_e64 s[8:9], 2, v5
	s_waitcnt lgkmcnt(0)
	v_fma_f32 v13, v15, v13, 0
	s_and_saveexec_b64 s[10:11], s[8:9]
	s_cbranch_execz .LBB18_1039
; %bb.1038:
	v_lshlrev_b32_e32 v15, 2, v0
	ds_read_b32 v15, v15 offset:1808
	ds_read_b32 v14, v14 offset:1820
	s_waitcnt lgkmcnt(0)
	v_fmac_f32_e32 v13, v15, v14
.LBB18_1039:
	s_or_b64 exec, exec, s[10:11]
.LBB18_1040:
	s_or_b64 exec, exec, s[0:1]
	s_and_saveexec_b64 s[0:1], s[30:31]
	s_cbranch_execz .LBB18_1042
; %bb.1041:
	v_mov_b32_e32 v14, 0
	ds_read_b32 v14, v14 offset:1300
	s_waitcnt lgkmcnt(0)
	v_mul_f32_e32 v13, v13, v14
	v_xor_b32_e32 v14, 0x80000000, v13
	ds_write_b32 v4, v14
.LBB18_1042:
	s_or_b64 exec, exec, s[0:1]
	s_waitcnt lgkmcnt(0)
	s_barrier
	s_and_saveexec_b64 s[0:1], s[26:27]
	s_cbranch_execz .LBB18_1044
; %bb.1043:
	v_mov_b32_e32 v14, 0
	ds_read_b32 v14, v14 offset:1296
	ds_read_b32 v15, v4
	s_waitcnt lgkmcnt(0)
	v_fma_f32 v13, -v14, v15, v13
.LBB18_1044:
	s_or_b64 exec, exec, s[0:1]
	s_barrier
	s_and_saveexec_b64 s[0:1], s[26:27]
	s_cbranch_execz .LBB18_1046
; %bb.1045:
	v_mov_b32_e32 v14, 0
	ds_read_b32 v14, v14 offset:1040
	s_waitcnt lgkmcnt(0)
	v_mul_f32_e32 v13, v13, v14
	v_xor_b32_e32 v14, 0x80000000, v13
	ds_write_b32 v4, v14
.LBB18_1046:
	s_or_b64 exec, exec, s[0:1]
	s_waitcnt lgkmcnt(0)
	s_barrier
	s_barrier
	s_and_saveexec_b64 s[0:1], s[2:3]
; %bb.1047:
	v_lshlrev_b32_e32 v14, 2, v1
	v_lshl_or_b32 v14, v3, 8, v14
	ds_write_b32 v14, v13 offset:1552
; %bb.1048:
	s_or_b64 exec, exec, s[0:1]
	s_waitcnt lgkmcnt(0)
	s_barrier
	s_barrier
	s_and_saveexec_b64 s[0:1], s[34:35]
	s_cbranch_execz .LBB18_1050
; %bb.1049:
	v_lshlrev_b32_e32 v13, 2, v0
	s_movk_i32 s8, 0xfc
	v_mad_u32_u24 v14, v0, s8, v13
	ds_read_b32 v15, v14 offset:1552
	s_waitcnt lgkmcnt(0)
	ds_write_b32 v13, v15 offset:1048
	ds_read_b32 v14, v14 offset:1556
	s_waitcnt lgkmcnt(0)
	ds_write_b32 v13, v14 offset:1304
.LBB18_1050:
	s_or_b64 exec, exec, s[0:1]
	s_waitcnt lgkmcnt(0)
	s_barrier
	s_and_saveexec_b64 s[0:1], vcc
	s_cbranch_execz .LBB18_1052
; %bb.1051:
	v_mov_b32_e32 v15, 0
	ds_read_b64 v[13:14], v15 offset:1296
	ds_read_b32 v15, v15 offset:1040
	s_movk_i32 s8, 0x400
	s_waitcnt lgkmcnt(0)
	v_mul_f32_e32 v14, v15, v14
	v_mul_f32_e32 v13, v13, v14
	v_add_u32_e64 v14, s8, 0
	ds_write2_b32 v14, v13, v13 offset0:5 offset1:68
.LBB18_1052:
	s_or_b64 exec, exec, s[0:1]
	v_mov_b32_e32 v13, 0
	s_waitcnt lgkmcnt(0)
	s_barrier
	buffer_wbinvl1_vol
	s_and_saveexec_b64 s[0:1], s[18:19]
	s_cbranch_execz .LBB18_1058
; %bb.1053:
	v_lshlrev_b32_e32 v15, 2, v6
	v_lshlrev_b32_e32 v14, 8, v11
	ds_read_b32 v13, v15 offset:1024
	ds_read_b32 v16, v14 offset:1040
	v_cmp_gt_u32_e64 s[8:9], 12, v5
	s_waitcnt lgkmcnt(0)
	v_fma_f32 v13, v13, v16, 0
	s_and_saveexec_b64 s[10:11], s[8:9]
	s_cbranch_execnz .LBB18_1254
; %bb.1054:
	s_or_b64 exec, exec, s[10:11]
	v_cmp_gt_u32_e64 s[8:9], 8, v5
	s_and_saveexec_b64 s[10:11], s[8:9]
	s_cbranch_execnz .LBB18_1255
.LBB18_1055:
	s_or_b64 exec, exec, s[10:11]
	v_cmp_gt_u32_e64 s[8:9], 4, v5
	s_and_saveexec_b64 s[10:11], s[8:9]
	s_cbranch_execz .LBB18_1057
.LBB18_1056:
	v_lshlrev_b32_e32 v14, 2, v0
	v_mov_b32_e32 v15, 0
	ds_read_b32 v14, v14 offset:1792
	ds_read_b32 v15, v15 offset:1820
	s_waitcnt lgkmcnt(0)
	v_fmac_f32_e32 v13, v14, v15
.LBB18_1057:
	s_or_b64 exec, exec, s[10:11]
.LBB18_1058:
	s_or_b64 exec, exec, s[0:1]
	s_and_saveexec_b64 s[0:1], s[38:39]
	s_cbranch_execz .LBB18_1060
; %bb.1059:
	v_mov_b32_e32 v14, 0
	ds_read_b32 v14, v14 offset:780
	s_waitcnt lgkmcnt(0)
	v_mul_f32_e32 v13, v13, v14
	v_xor_b32_e32 v14, 0x80000000, v13
	ds_write_b32 v12, v14
.LBB18_1060:
	s_or_b64 exec, exec, s[0:1]
	s_waitcnt lgkmcnt(0)
	s_barrier
	s_and_saveexec_b64 s[0:1], s[40:41]
	v_readlane_b32 s38, v27, 0
	s_cbranch_execz .LBB18_1062
; %bb.1061:
	v_lshlrev_b32_e32 v14, 2, v6
	ds_read_b32 v14, v14 offset:768
	ds_read_b32 v15, v12
	s_waitcnt lgkmcnt(0)
	v_fma_f32 v13, -v14, v15, v13
.LBB18_1062:
	s_or_b64 exec, exec, s[0:1]
	s_barrier
	s_and_saveexec_b64 s[0:1], s[42:43]
	s_cbranch_execz .LBB18_1064
; %bb.1063:
	v_mov_b32_e32 v14, 0
	ds_read_b32 v14, v14 offset:520
	s_waitcnt lgkmcnt(0)
	v_mul_f32_e32 v13, v13, v14
	v_xor_b32_e32 v14, 0x80000000, v13
	ds_write_b32 v12, v14
.LBB18_1064:
	s_or_b64 exec, exec, s[0:1]
	s_waitcnt lgkmcnt(0)
	s_barrier
	s_and_saveexec_b64 s[0:1], s[44:45]
	s_cbranch_execz .LBB18_1066
; %bb.1065:
	v_lshlrev_b32_e32 v14, 2, v6
	ds_read_b32 v14, v14 offset:512
	ds_read_b32 v15, v12
	s_waitcnt lgkmcnt(0)
	v_fma_f32 v13, -v14, v15, v13
.LBB18_1066:
	s_or_b64 exec, exec, s[0:1]
	s_barrier
	s_and_saveexec_b64 s[0:1], s[46:47]
	s_cbranch_execz .LBB18_1068
; %bb.1067:
	v_mov_b32_e32 v14, 0
	ds_read_b32 v14, v14 offset:260
	s_waitcnt lgkmcnt(0)
	v_mul_f32_e32 v13, v13, v14
	v_xor_b32_e32 v14, 0x80000000, v13
	ds_write_b32 v12, v14
.LBB18_1068:
	s_or_b64 exec, exec, s[0:1]
	s_waitcnt lgkmcnt(0)
	s_barrier
	s_and_saveexec_b64 s[0:1], s[36:37]
	s_cbranch_execz .LBB18_1070
; %bb.1069:
	v_mov_b32_e32 v14, 0
	ds_read_b32 v14, v14 offset:256
	ds_read_b32 v15, v12
	s_waitcnt lgkmcnt(0)
	v_fma_f32 v13, -v14, v15, v13
.LBB18_1070:
	s_or_b64 exec, exec, s[0:1]
	s_barrier
	s_and_saveexec_b64 s[0:1], s[36:37]
	s_cbranch_execz .LBB18_1072
; %bb.1071:
	v_mov_b32_e32 v14, 0
	ds_read_b32 v14, v14
	s_waitcnt lgkmcnt(0)
	v_mul_f32_e32 v13, v13, v14
	v_xor_b32_e32 v14, 0x80000000, v13
	ds_write_b32 v12, v14
.LBB18_1072:
	s_or_b64 exec, exec, s[0:1]
	s_waitcnt lgkmcnt(0)
	s_barrier
	s_barrier
	s_and_saveexec_b64 s[0:1], s[18:19]
; %bb.1073:
	v_lshlrev_b32_e32 v6, 2, v6
	v_lshl_or_b32 v6, v11, 8, v6
	ds_write_b32 v6, v13 offset:1024
; %bb.1074:
	s_or_b64 exec, exec, s[0:1]
	s_waitcnt lgkmcnt(0)
	s_barrier
	s_barrier
	s_and_saveexec_b64 s[0:1], s[48:49]
	s_cbranch_execz .LBB18_1076
; %bb.1075:
	v_lshlrev_b32_e32 v6, 8, v0
	ds_read_b32 v11, v6 offset:1024
	s_movk_i32 s8, 0xff04
	v_mad_i32_i24 v12, v0, s8, v6
	s_waitcnt lgkmcnt(0)
	ds_write_b32 v12, v11 offset:16
	ds_read_b32 v11, v6 offset:1028
	s_waitcnt lgkmcnt(0)
	ds_write_b32 v12, v11 offset:272
	ds_read_b32 v11, v6 offset:1032
	;; [unrolled: 3-line block ×3, first 2 shown]
	s_waitcnt lgkmcnt(0)
	ds_write_b32 v12, v6 offset:784
.LBB18_1076:
	s_or_b64 exec, exec, s[0:1]
	s_waitcnt lgkmcnt(0)
	s_barrier
	s_and_saveexec_b64 s[0:1], vcc
	s_cbranch_execz .LBB18_1078
; %bb.1077:
	v_mov_b32_e32 v6, 0
	ds_read_b64 v[11:12], v6 offset:776
	ds_read_b32 v13, v6 offset:520
	s_waitcnt lgkmcnt(0)
	v_mul_f32_e32 v12, v13, v12
	v_mul_f32_e32 v11, v11, v12
	ds_write2_b32 v6, v11, v11 offset0:131 offset1:194
.LBB18_1078:
	s_or_b64 exec, exec, s[0:1]
	v_mov_b32_e32 v6, 0
	s_waitcnt lgkmcnt(0)
	s_barrier
	buffer_wbinvl1_vol
	s_and_saveexec_b64 s[0:1], s[2:3]
	s_cbranch_execz .LBB18_1082
; %bb.1079:
	v_lshlrev_b32_e32 v6, 8, v3
	v_lshlrev_b32_e32 v11, 2, v1
	ds_read_b32 v12, v11 offset:512
	ds_read_b32 v6, v6 offset:520
	v_mov_b32_e32 v11, 0
	v_cmp_gt_u32_e64 s[8:9], 2, v5
	s_waitcnt lgkmcnt(0)
	v_fma_f32 v6, v12, v6, 0
	s_and_saveexec_b64 s[10:11], s[8:9]
	s_cbranch_execz .LBB18_1081
; %bb.1080:
	v_lshlrev_b32_e32 v5, 2, v0
	ds_read_b32 v5, v5 offset:768
	ds_read_b32 v11, v11 offset:780
	s_waitcnt lgkmcnt(0)
	v_fmac_f32_e32 v6, v5, v11
.LBB18_1081:
	s_or_b64 exec, exec, s[10:11]
.LBB18_1082:
	s_or_b64 exec, exec, s[0:1]
	s_and_saveexec_b64 s[0:1], s[30:31]
	s_cbranch_execz .LBB18_1084
; %bb.1083:
	v_mov_b32_e32 v5, 0
	ds_read_b32 v5, v5 offset:260
	s_waitcnt lgkmcnt(0)
	v_mul_f32_e32 v6, v6, v5
	v_xor_b32_e32 v5, 0x80000000, v6
	ds_write_b32 v4, v5
.LBB18_1084:
	s_or_b64 exec, exec, s[0:1]
	s_waitcnt lgkmcnt(0)
	s_barrier
	s_and_saveexec_b64 s[0:1], s[26:27]
	s_cbranch_execz .LBB18_1086
; %bb.1085:
	v_mov_b32_e32 v5, 0
	ds_read_b32 v5, v5 offset:256
	ds_read_b32 v11, v4
	s_waitcnt lgkmcnt(0)
	v_fma_f32 v6, -v5, v11, v6
.LBB18_1086:
	s_or_b64 exec, exec, s[0:1]
	s_barrier
	s_and_saveexec_b64 s[0:1], s[26:27]
	s_cbranch_execz .LBB18_1088
; %bb.1087:
	v_mov_b32_e32 v5, 0
	ds_read_b32 v5, v5
	s_waitcnt lgkmcnt(0)
	v_mul_f32_e32 v6, v6, v5
	v_xor_b32_e32 v5, 0x80000000, v6
	ds_write_b32 v4, v5
.LBB18_1088:
	s_or_b64 exec, exec, s[0:1]
	s_waitcnt lgkmcnt(0)
	s_barrier
	s_barrier
	s_and_saveexec_b64 s[0:1], s[2:3]
; %bb.1089:
	v_lshlrev_b32_e32 v1, 2, v1
	v_lshl_or_b32 v1, v3, 8, v1
	ds_write_b32 v1, v6 offset:512
; %bb.1090:
	s_or_b64 exec, exec, s[0:1]
	s_waitcnt lgkmcnt(0)
	s_barrier
	s_barrier
	s_and_saveexec_b64 s[0:1], s[34:35]
	s_cbranch_execz .LBB18_1092
; %bb.1091:
	v_lshlrev_b32_e32 v1, 2, v0
	s_movk_i32 s2, 0xfc
	v_mad_u32_u24 v3, v0, s2, v1
	ds_read_b32 v4, v3 offset:512
	s_waitcnt lgkmcnt(0)
	ds_write_b32 v1, v4 offset:8
	ds_read_b32 v3, v3 offset:516
	s_waitcnt lgkmcnt(0)
	ds_write_b32 v1, v3 offset:264
.LBB18_1092:
	s_or_b64 exec, exec, s[0:1]
	s_waitcnt lgkmcnt(0)
	s_barrier
	s_and_saveexec_b64 s[0:1], vcc
	s_cbranch_execz .LBB18_1094
; %bb.1093:
	v_mov_b32_e32 v1, 0
	ds_read_b64 v[3:4], v1 offset:256
	ds_read_b32 v5, v1
	s_waitcnt lgkmcnt(0)
	v_mul_f32_e32 v4, v5, v4
	v_mul_f32_e32 v3, v3, v4
	ds_write2_b32 v1, v3, v3 offset0:1 offset1:64
.LBB18_1094:
	s_or_b64 exec, exec, s[0:1]
.LBB18_1095:
	s_load_dwordx8 s[12:19], s[4:5], 0x30
	s_load_dwordx2 s[0:1], s[4:5], 0x50
	v_cmp_le_i32_e32 vcc, s94, v0
	v_mov_b32_e32 v12, 0
	v_add_u32_e32 v3, s33, v0
	s_waitcnt lgkmcnt(0)
	s_mul_i32 s3, s19, s28
	s_mul_hi_u32 s8, s18, s28
	s_mul_i32 s2, s18, s28
	s_add_i32 s3, s8, s3
	s_lshl_b64 s[2:3], s[2:3], 2
	s_add_u32 s8, s12, s2
	s_addc_u32 s9, s13, s3
	s_lshl_b64 s[2:3], s[14:15], 2
	s_add_u32 s26, s8, s2
	s_addc_u32 s27, s9, s3
	s_and_b64 s[14:15], vcc, s[22:23]
	v_cmp_eq_u32_e64 s[2:3], 0, v2
	s_xor_b64 s[8:9], s[14:15], -1
	s_and_b64 s[10:11], s[2:3], s[8:9]
	s_barrier
	s_and_saveexec_b64 s[8:9], s[10:11]
	s_cbranch_execz .LBB18_1097
; %bb.1096:
	v_ashrrev_i32_e32 v1, 31, v3
	v_mul_lo_u32 v6, s17, v3
	v_mad_u64_u32 v[4:5], s[10:11], s16, v3, 0
	v_mul_lo_u32 v1, s16, v1
	s_load_dword s4, s[4:5], 0x28
	v_add3_u32 v5, v5, v1, v6
	v_lshlrev_b64 v[4:5], 2, v[4:5]
	v_mov_b32_e32 v1, s27
	v_add_co_u32_e32 v4, vcc, s26, v4
	v_addc_co_u32_e32 v5, vcc, v1, v5, vcc
	global_load_dword v1, v[4:5], off
	s_waitcnt vmcnt(0) lgkmcnt(0)
	v_mul_f32_e64 v12, v1, -s4
.LBB18_1097:
	s_or_b64 exec, exec, s[8:9]
	s_and_b32 s4, 0xffff, s81
	v_mad_u32_u24 v11, v2, s4, v0
	s_cmp_lt_i32 s6, 1
	v_cmp_eq_u32_e64 s[4:5], 0, v11
	s_cbranch_scc1 .LBB18_1123
; %bb.1098:
	v_mad_u64_u32 v[4:5], s[8:9], s24, v3, 0
	s_mov_b32 s24, 0
	v_cmp_gt_u32_e64 s[12:13], 64, v11
	v_mov_b32_e32 v1, v5
	v_mad_u64_u32 v[5:6], s[8:9], s25, v3, v[1:2]
	s_lshl_b64 s[8:9], s[28:29], 2
	s_add_u32 s18, s0, s8
	s_addc_u32 s19, s1, s9
	v_cmp_gt_i32_e64 s[8:9], s7, v3
	v_lshlrev_b64 v[3:4], 2, v[4:5]
	v_mov_b32_e32 v6, 0x5000
	v_mov_b32_e32 v5, s80
	v_add_co_u32_e32 v14, vcc, s95, v3
	v_lshl_add_u32 v1, v11, 2, v6
	v_lshl_or_b32 v13, v2, 2, v6
	s_add_i32 s25, s6, -1
	v_addc_co_u32_e32 v15, vcc, v5, v4, vcc
	v_mov_b32_e32 v16, -1
	v_mov_b32_e32 v4, 0
	s_branch .LBB18_1101
.LBB18_1099:                            ;   in Loop: Header=BB18_1101 Depth=1
	ds_read_b32 v5, v13 offset:192
	s_waitcnt vmcnt(0) lgkmcnt(0)
	v_fmac_f32_e32 v12, v3, v5
.LBB18_1100:                            ;   in Loop: Header=BB18_1101 Depth=1
	s_or_b64 exec, exec, s[20:21]
	s_add_i32 s24, s24, 1
	s_cmp_eq_u32 s24, s6
	s_cbranch_scc1 .LBB18_1123
.LBB18_1101:                            ; =>This Loop Header: Depth=1
                                        ;     Child Loop BB18_1103 Depth 2
	v_cmp_gt_i32_e32 vcc, s24, v16
	s_and_b64 s[20:21], s[4:5], vcc
	s_and_saveexec_b64 s[10:11], s[20:21]
	s_cbranch_execz .LBB18_1104
; %bb.1102:                             ;   in Loop: Header=BB18_1101 Depth=1
	global_load_dword v16, v4, s[18:19]
	s_waitcnt vmcnt(0)
	v_cmp_le_i32_e32 vcc, s24, v16
	s_cbranch_vccnz .LBB18_1104
.LBB18_1103:                            ;   Parent Loop BB18_1101 Depth=1
                                        ; =>  This Inner Loop Header: Depth=2
	buffer_wbinvl1_vol
	global_load_dword v16, v4, s[18:19]
	s_waitcnt vmcnt(0)
	v_cmp_gt_i32_e32 vcc, s24, v16
	s_cbranch_vccnz .LBB18_1103
.LBB18_1104:                            ;   in Loop: Header=BB18_1101 Depth=1
	s_or_b64 exec, exec, s[10:11]
	s_lshl_b32 s30, s24, 6
	buffer_wbinvl1_vol
	s_barrier
	s_and_saveexec_b64 s[10:11], s[12:13]
	s_cbranch_execz .LBB18_1108
; %bb.1105:                             ;   in Loop: Header=BB18_1101 Depth=1
	v_or_b32_e32 v5, s30, v11
	v_cmp_gt_i32_e32 vcc, s7, v5
	v_mov_b32_e32 v3, 0
	s_and_saveexec_b64 s[20:21], vcc
	s_cbranch_execz .LBB18_1107
; %bb.1106:                             ;   in Loop: Header=BB18_1101 Depth=1
	v_mad_u64_u32 v[17:18], s[34:35], s16, v5, 0
	v_mov_b32_e32 v3, v18
	v_mad_u64_u32 v[5:6], s[34:35], s17, v5, v[3:4]
	v_mov_b32_e32 v3, s27
	v_mov_b32_e32 v18, v5
	v_lshlrev_b64 v[5:6], 2, v[17:18]
	v_add_co_u32_e32 v5, vcc, s26, v5
	v_addc_co_u32_e32 v6, vcc, v3, v6, vcc
	global_load_dword v3, v[5:6], off
.LBB18_1107:                            ;   in Loop: Header=BB18_1101 Depth=1
	s_or_b64 exec, exec, s[20:21]
	s_waitcnt vmcnt(0)
	ds_write_b32 v1, v3
.LBB18_1108:                            ;   in Loop: Header=BB18_1101 Depth=1
	s_or_b64 exec, exec, s[10:11]
	v_add_u32_e32 v3, s30, v2
	v_lshlrev_b64 v[5:6], 2, v[3:4]
	s_cmp_lg_u32 s24, s25
	v_add_co_u32_e32 v5, vcc, v14, v5
	s_cselect_b64 s[10:11], -1, 0
	v_addc_co_u32_e32 v6, vcc, v15, v6, vcc
	v_cmp_gt_i32_e32 vcc, s7, v3
	v_cndmask_b32_e64 v17, 0, 1, s[10:11]
	s_and_b64 s[30:31], vcc, s[8:9]
	v_cmp_ne_u32_e64 s[10:11], 1, v17
	s_waitcnt lgkmcnt(0)
	s_barrier
	s_and_saveexec_b64 s[20:21], s[30:31]
	s_cbranch_execz .LBB18_1112
; %bb.1109:                             ;   in Loop: Header=BB18_1101 Depth=1
	s_and_b64 vcc, exec, s[10:11]
	v_mov_b32_e32 v17, v8
	s_cbranch_vccnz .LBB18_1111
; %bb.1110:                             ;   in Loop: Header=BB18_1101 Depth=1
	global_load_dword v17, v[5:6], off
.LBB18_1111:                            ;   in Loop: Header=BB18_1101 Depth=1
	ds_read_b32 v18, v13
	s_waitcnt vmcnt(0) lgkmcnt(0)
	v_fmac_f32_e32 v12, v17, v18
.LBB18_1112:                            ;   in Loop: Header=BB18_1101 Depth=1
	s_or_b64 exec, exec, s[20:21]
	v_add_u32_e32 v17, 16, v3
	v_cmp_gt_i32_e32 vcc, s7, v17
	s_and_b64 s[30:31], vcc, s[8:9]
	s_and_saveexec_b64 s[20:21], s[30:31]
	s_cbranch_execz .LBB18_1116
; %bb.1113:                             ;   in Loop: Header=BB18_1101 Depth=1
	s_and_b64 vcc, exec, s[10:11]
	v_mov_b32_e32 v17, v7
	s_cbranch_vccnz .LBB18_1115
; %bb.1114:                             ;   in Loop: Header=BB18_1101 Depth=1
	global_load_dword v17, v[5:6], off offset:64
.LBB18_1115:                            ;   in Loop: Header=BB18_1101 Depth=1
	ds_read_b32 v18, v13 offset:64
	s_waitcnt vmcnt(0) lgkmcnt(0)
	v_fmac_f32_e32 v12, v17, v18
.LBB18_1116:                            ;   in Loop: Header=BB18_1101 Depth=1
	s_or_b64 exec, exec, s[20:21]
	v_add_u32_e32 v17, 32, v3
	v_cmp_gt_i32_e32 vcc, s7, v17
	s_and_b64 s[30:31], vcc, s[8:9]
	s_and_saveexec_b64 s[20:21], s[30:31]
	s_cbranch_execz .LBB18_1120
; %bb.1117:                             ;   in Loop: Header=BB18_1101 Depth=1
	s_and_b64 vcc, exec, s[10:11]
	v_mov_b32_e32 v17, v10
	s_cbranch_vccnz .LBB18_1119
; %bb.1118:                             ;   in Loop: Header=BB18_1101 Depth=1
	global_load_dword v17, v[5:6], off offset:128
.LBB18_1119:                            ;   in Loop: Header=BB18_1101 Depth=1
	ds_read_b32 v18, v13 offset:128
	s_waitcnt vmcnt(0) lgkmcnt(0)
	v_fmac_f32_e32 v12, v17, v18
.LBB18_1120:                            ;   in Loop: Header=BB18_1101 Depth=1
	s_or_b64 exec, exec, s[20:21]
	v_add_u32_e32 v3, 48, v3
	v_cmp_gt_i32_e32 vcc, s7, v3
	s_and_b64 s[30:31], vcc, s[8:9]
	s_and_saveexec_b64 s[20:21], s[30:31]
	s_cbranch_execz .LBB18_1100
; %bb.1121:                             ;   in Loop: Header=BB18_1101 Depth=1
	s_and_b64 vcc, exec, s[10:11]
	v_mov_b32_e32 v3, v9
	s_cbranch_vccnz .LBB18_1099
; %bb.1122:                             ;   in Loop: Header=BB18_1101 Depth=1
	global_load_dword v3, v[5:6], off offset:192
	s_branch .LBB18_1099
.LBB18_1123:
	v_lshl_add_u32 v1, v2, 6, v0
	s_xor_b64 s[4:5], s[22:23], -1
	v_lshlrev_b32_e32 v1, 2, v1
	ds_write_b32 v1, v12 offset:16384
	s_waitcnt lgkmcnt(0)
	s_barrier
	s_and_saveexec_b64 s[6:7], s[2:3]
	s_cbranch_execz .LBB18_1125
; %bb.1124:
	v_lshlrev_b32_e32 v15, 2, v0
	ds_read2st64_b32 v[3:4], v15 offset0:65 offset1:66
	ds_read2st64_b32 v[5:6], v15 offset0:67 offset1:68
	ds_read2st64_b32 v[7:8], v15 offset0:69 offset1:70
	ds_read2st64_b32 v[9:10], v15 offset0:71 offset1:72
	ds_read2st64_b32 v[13:14], v15 offset0:73 offset1:74
	s_waitcnt lgkmcnt(4)
	v_add_f32_e32 v3, v12, v3
	v_add_f32_e32 v3, v3, v4
	s_waitcnt lgkmcnt(3)
	v_add_f32_e32 v3, v3, v5
	v_add_f32_e32 v3, v3, v6
	;; [unrolled: 3-line block ×4, first 2 shown]
	ds_read2st64_b32 v[3:4], v15 offset0:75 offset1:76
	ds_read2st64_b32 v[5:6], v15 offset0:77 offset1:78
	ds_read_b32 v8, v15 offset:20224
	s_waitcnt lgkmcnt(3)
	v_add_f32_e32 v7, v7, v13
	v_add_f32_e32 v7, v7, v14
	s_waitcnt lgkmcnt(2)
	v_add_f32_e32 v3, v7, v3
	v_add_f32_e32 v3, v3, v4
	;; [unrolled: 3-line block ×3, first 2 shown]
	s_waitcnt lgkmcnt(0)
	v_add_f32_e32 v3, v3, v8
	v_cndmask_b32_e64 v12, -v3, 0, s[14:15]
.LBB18_1125:
	s_or_b64 exec, exec, s[6:7]
	s_and_b64 vcc, exec, s[50:51]
	s_cbranch_vccnz .LBB18_1138
; %bb.1126:
	v_mov_b32_e32 v3, 0x5000
	v_lshl_or_b32 v4, v2, 2, v3
	s_and_saveexec_b64 s[6:7], s[2:3]
; %bb.1127:
	v_lshl_add_u32 v3, v0, 2, v4
	ds_write_b32 v3, v12
; %bb.1128:
	s_or_b64 exec, exec, s[6:7]
	v_cmp_le_u32_e32 vcc, v2, v0
	v_mov_b32_e32 v3, 0
	s_waitcnt lgkmcnt(0)
	s_barrier
	s_and_saveexec_b64 s[6:7], vcc
	s_cbranch_execz .LBB18_1130
; %bb.1129:
	ds_read_b32 v3, v1
	ds_read_b32 v5, v4
	s_waitcnt lgkmcnt(0)
	v_fma_f32 v3, v3, v5, 0
.LBB18_1130:
	s_or_b64 exec, exec, s[6:7]
	v_add_u32_e32 v5, 16, v2
	v_cmp_ge_u32_e32 vcc, v0, v5
	s_and_saveexec_b64 s[6:7], vcc
	s_cbranch_execz .LBB18_1132
; %bb.1131:
	ds_read_b32 v5, v1 offset:4096
	ds_read_b32 v6, v4 offset:64
	s_waitcnt lgkmcnt(0)
	v_fmac_f32_e32 v3, v5, v6
.LBB18_1132:
	s_or_b64 exec, exec, s[6:7]
	v_add_u32_e32 v5, 32, v2
	v_cmp_ge_u32_e32 vcc, v0, v5
	s_and_saveexec_b64 s[6:7], vcc
	s_cbranch_execz .LBB18_1134
; %bb.1133:
	ds_read_b32 v5, v1 offset:8192
	ds_read_b32 v6, v4 offset:128
	s_waitcnt lgkmcnt(0)
	v_fmac_f32_e32 v3, v5, v6
.LBB18_1134:
	s_or_b64 exec, exec, s[6:7]
	v_add_u32_e32 v2, 48, v2
	v_add_u32_e32 v5, 0x4000, v1
	v_cmp_ge_u32_e32 vcc, v0, v2
	s_and_saveexec_b64 s[6:7], vcc
	s_cbranch_execz .LBB18_1136
; %bb.1135:
	ds_read_b32 v1, v1 offset:12288
	ds_read_b32 v2, v4 offset:192
	s_waitcnt lgkmcnt(0)
	v_fmac_f32_e32 v3, v1, v2
.LBB18_1136:
	s_or_b64 exec, exec, s[6:7]
	s_mov_b64 s[8:9], 0
	s_mov_b64 s[6:7], 0
	ds_write_b32 v5, v3
	s_waitcnt lgkmcnt(0)
	s_barrier
                                        ; implicit-def: $vgpr4
                                        ; implicit-def: $vgpr1_vgpr2
	s_and_saveexec_b64 s[10:11], s[2:3]
	s_cbranch_execz .LBB18_1195
; %bb.1137:
	v_lshlrev_b32_e32 v10, 2, v0
	ds_read2st64_b32 v[1:2], v10 offset0:65 offset1:66
	ds_read2st64_b32 v[4:5], v10 offset0:67 offset1:68
	;; [unrolled: 1-line block ×4, first 2 shown]
	s_mov_b64 s[6:7], exec
	s_waitcnt lgkmcnt(3)
	v_add_f32_e32 v1, v3, v1
	v_add_f32_e32 v1, v2, v1
	s_waitcnt lgkmcnt(2)
	v_add_f32_e32 v1, v4, v1
	v_add_f32_e32 v1, v5, v1
	ds_read2st64_b32 v[2:3], v10 offset0:73 offset1:74
	s_waitcnt lgkmcnt(2)
	v_add_f32_e32 v1, v6, v1
	v_add_f32_e32 v1, v7, v1
	s_waitcnt lgkmcnt(1)
	v_add_f32_e32 v1, v8, v1
	v_add_f32_e32 v1, v9, v1
	ds_read2st64_b32 v[4:5], v10 offset0:75 offset1:76
	ds_read2st64_b32 v[6:7], v10 offset0:77 offset1:78
	ds_read_b32 v8, v10 offset:20224
	v_add_u32_e32 v10, s33, v11
	s_waitcnt lgkmcnt(3)
	v_add_f32_e32 v9, v2, v1
	v_mad_u64_u32 v[1:2], s[12:13], s16, v10, 0
	v_add_f32_e32 v3, v3, v9
	s_waitcnt lgkmcnt(2)
	v_add_f32_e32 v3, v4, v3
	v_add_f32_e32 v4, v5, v3
	v_mad_u64_u32 v[2:3], s[12:13], s17, v10, v[2:3]
	s_waitcnt lgkmcnt(1)
	v_add_f32_e32 v3, v6, v4
	v_add_f32_e32 v3, v7, v3
	s_waitcnt lgkmcnt(0)
	v_add_f32_e32 v4, v8, v3
	s_or_b64 exec, exec, s[10:11]
	s_and_b64 vcc, exec, s[8:9]
	s_cbranch_vccnz .LBB18_1139
	s_branch .LBB18_1196
.LBB18_1138:
	s_mov_b64 s[6:7], 0
                                        ; implicit-def: $vgpr4
                                        ; implicit-def: $vgpr1_vgpr2
	s_cbranch_execz .LBB18_1196
.LBB18_1139:
	v_mul_u32_u24_e32 v1, 0x104, v0
	v_lshlrev_b32_e32 v2, 8, v0
	v_sub_u32_e32 v2, v1, v2
	s_mov_b32 s10, 0
	v_mov_b32_e32 v3, 0
	v_mov_b32_e32 v4, v0
	s_branch .LBB18_1141
.LBB18_1140:                            ;   in Loop: Header=BB18_1141 Depth=1
	s_or_b64 exec, exec, s[8:9]
	s_add_i32 s10, s10, 4
	v_add_u32_e32 v2, 0x400, v2
	s_cmp_lg_u32 s10, 64
	v_add_u32_e32 v4, -4, v4
	s_barrier
	s_cbranch_scc0 .LBB18_1157
.LBB18_1141:                            ; =>This Inner Loop Header: Depth=1
	v_cmp_eq_u32_e32 vcc, 0, v4
	s_and_b64 s[12:13], s[2:3], vcc
	s_and_saveexec_b64 s[8:9], s[12:13]
	s_cbranch_execz .LBB18_1143
; %bb.1142:                             ;   in Loop: Header=BB18_1141 Depth=1
	ds_read_b32 v5, v1
	s_waitcnt lgkmcnt(0)
	v_mul_f32_e32 v12, v12, v5
	ds_write_b32 v3, v12 offset:20736
.LBB18_1143:                            ;   in Loop: Header=BB18_1141 Depth=1
	s_or_b64 exec, exec, s[8:9]
	v_cmp_lt_u32_e32 vcc, s10, v0
	s_and_b64 s[12:13], s[2:3], vcc
	s_waitcnt lgkmcnt(0)
	s_barrier
	s_and_saveexec_b64 s[8:9], s[12:13]
	s_cbranch_execz .LBB18_1145
; %bb.1144:                             ;   in Loop: Header=BB18_1141 Depth=1
	ds_read_b32 v5, v2
	ds_read_b32 v6, v3 offset:20736
	s_waitcnt lgkmcnt(0)
	v_fmac_f32_e32 v12, v5, v6
.LBB18_1145:                            ;   in Loop: Header=BB18_1141 Depth=1
	s_or_b64 exec, exec, s[8:9]
	s_or_b32 s11, s10, 1
	v_cmp_eq_u32_e32 vcc, s11, v0
	s_and_b64 s[12:13], s[2:3], vcc
	s_barrier
	s_and_saveexec_b64 s[8:9], s[12:13]
	s_cbranch_execz .LBB18_1147
; %bb.1146:                             ;   in Loop: Header=BB18_1141 Depth=1
	ds_read_b32 v5, v1
	s_waitcnt lgkmcnt(0)
	v_mul_f32_e32 v12, v12, v5
	ds_write_b32 v3, v12 offset:20736
.LBB18_1147:                            ;   in Loop: Header=BB18_1141 Depth=1
	s_or_b64 exec, exec, s[8:9]
	v_cmp_lt_u32_e32 vcc, s11, v0
	s_and_b64 s[12:13], s[2:3], vcc
	s_waitcnt lgkmcnt(0)
	s_barrier
	s_and_saveexec_b64 s[8:9], s[12:13]
	s_cbranch_execz .LBB18_1149
; %bb.1148:                             ;   in Loop: Header=BB18_1141 Depth=1
	ds_read_b32 v5, v2 offset:256
	ds_read_b32 v6, v3 offset:20736
	s_waitcnt lgkmcnt(0)
	v_fmac_f32_e32 v12, v5, v6
.LBB18_1149:                            ;   in Loop: Header=BB18_1141 Depth=1
	s_or_b64 exec, exec, s[8:9]
	s_or_b32 s11, s10, 2
	v_cmp_eq_u32_e32 vcc, s11, v0
	s_and_b64 s[12:13], s[2:3], vcc
	s_barrier
	s_and_saveexec_b64 s[8:9], s[12:13]
	s_cbranch_execz .LBB18_1151
; %bb.1150:                             ;   in Loop: Header=BB18_1141 Depth=1
	ds_read_b32 v5, v1
	s_waitcnt lgkmcnt(0)
	v_mul_f32_e32 v12, v12, v5
	ds_write_b32 v3, v12 offset:20736
.LBB18_1151:                            ;   in Loop: Header=BB18_1141 Depth=1
	s_or_b64 exec, exec, s[8:9]
	v_cmp_lt_u32_e32 vcc, s11, v0
	s_and_b64 s[12:13], s[2:3], vcc
	s_waitcnt lgkmcnt(0)
	s_barrier
	s_and_saveexec_b64 s[8:9], s[12:13]
	s_cbranch_execz .LBB18_1153
; %bb.1152:                             ;   in Loop: Header=BB18_1141 Depth=1
	ds_read_b32 v5, v2 offset:512
	ds_read_b32 v6, v3 offset:20736
	s_waitcnt lgkmcnt(0)
	v_fmac_f32_e32 v12, v5, v6
.LBB18_1153:                            ;   in Loop: Header=BB18_1141 Depth=1
	s_or_b64 exec, exec, s[8:9]
	s_or_b32 s11, s10, 3
	v_cmp_eq_u32_e32 vcc, s11, v0
	s_and_b64 s[12:13], s[2:3], vcc
	s_barrier
	s_and_saveexec_b64 s[8:9], s[12:13]
	s_cbranch_execz .LBB18_1155
; %bb.1154:                             ;   in Loop: Header=BB18_1141 Depth=1
	ds_read_b32 v5, v1
	s_waitcnt lgkmcnt(0)
	v_mul_f32_e32 v12, v12, v5
	ds_write_b32 v3, v12 offset:20736
.LBB18_1155:                            ;   in Loop: Header=BB18_1141 Depth=1
	s_or_b64 exec, exec, s[8:9]
	v_cmp_lt_u32_e32 vcc, s11, v0
	s_and_b64 s[12:13], s[2:3], vcc
	s_waitcnt lgkmcnt(0)
	s_barrier
	s_and_saveexec_b64 s[8:9], s[12:13]
	s_cbranch_execz .LBB18_1140
; %bb.1156:                             ;   in Loop: Header=BB18_1141 Depth=1
	ds_read_b32 v5, v2 offset:768
	ds_read_b32 v6, v3 offset:20736
	s_waitcnt lgkmcnt(0)
	v_fmac_f32_e32 v12, v5, v6
	s_branch .LBB18_1140
.LBB18_1157:
	s_and_b64 vcc, exec, s[4:5]
	s_cbranch_vccz .LBB18_1197
; %bb.1158:
	s_and_b64 s[4:5], s[2:3], exec
	s_cbranch_execz .LBB18_1198
	s_branch .LBB18_1199
.LBB18_1159:
	v_cmp_ne_u32_e32 vcc, v0, v2
	s_and_saveexec_b64 s[12:13], vcc
	s_xor_b64 s[12:13], exec, s[12:13]
; %bb.1160:
	v_or_b32_e32 v1, v2, v0
	v_cmp_gt_u32_e32 vcc, 64, v1
	s_and_b64 s[10:11], vcc, exec
                                        ; implicit-def: $vgpr5_vgpr6
; %bb.1161:
	s_or_saveexec_b64 s[12:13], s[12:13]
	v_mov_b32_e32 v1, 0
	s_xor_b64 exec, exec, s[12:13]
	s_cbranch_execz .LBB18_1163
; %bb.1162:
	v_lshlrev_b64 v[5:6], 2, v[5:6]
	v_mov_b32_e32 v1, s80
	v_add_co_u32_e32 v5, vcc, s95, v5
	v_addc_co_u32_e32 v6, vcc, v1, v6, vcc
	global_load_dword v1, v[5:6], off
	s_or_b64 s[10:11], s[10:11], exec
	s_waitcnt vmcnt(0)
	v_div_scale_f32 v5, s[14:15], v1, v1, 1.0
	v_div_scale_f32 v6, vcc, 1.0, v1, 1.0
	v_rcp_f32_e32 v12, v5
	v_fma_f32 v13, -v5, v12, 1.0
	v_fmac_f32_e32 v12, v13, v12
	v_mul_f32_e32 v13, v6, v12
	v_fma_f32 v14, -v5, v13, v6
	v_fmac_f32_e32 v13, v14, v12
	v_fma_f32 v5, -v5, v13, v6
	v_div_fmas_f32 v5, v5, v12, v13
	v_div_fixup_f32 v1, v5, v1, 1.0
.LBB18_1163:
	s_or_b64 exec, exec, s[12:13]
	s_and_b64 s[10:11], s[10:11], exec
                                        ; implicit-def: $vgpr5_vgpr6
	s_andn2_saveexec_b64 s[8:9], s[8:9]
	s_cbranch_execz .LBB18_14
.LBB18_1164:
	v_lshlrev_b64 v[5:6], 2, v[5:6]
	v_mov_b32_e32 v1, s80
	v_add_co_u32_e32 v5, vcc, s95, v5
	v_addc_co_u32_e32 v6, vcc, v1, v6, vcc
	global_load_dword v1, v[5:6], off
	s_or_b64 s[10:11], s[10:11], exec
	s_waitcnt vmcnt(0)
	v_xor_b32_e32 v1, 0x80000000, v1
	s_or_b64 exec, exec, s[8:9]
	s_and_saveexec_b64 s[8:9], s[10:11]
	s_cbranch_execnz .LBB18_15
	s_branch .LBB18_16
.LBB18_1165:
	v_cmp_ne_u32_e32 vcc, v0, v1
	s_and_saveexec_b64 s[10:11], vcc
	s_xor_b64 s[10:11], exec, s[10:11]
; %bb.1166:
	v_or_b32_e32 v5, v1, v0
	v_cmp_gt_u32_e32 vcc, 64, v5
	s_and_b64 s[8:9], vcc, exec
                                        ; implicit-def: $vgpr5_vgpr6
; %bb.1167:
	s_or_saveexec_b64 s[10:11], s[10:11]
	v_mov_b32_e32 v12, 0
	s_xor_b64 exec, exec, s[10:11]
	s_cbranch_execz .LBB18_1169
; %bb.1168:
	v_lshlrev_b64 v[5:6], 2, v[5:6]
	v_mov_b32_e32 v12, s80
	v_add_co_u32_e32 v5, vcc, s95, v5
	v_addc_co_u32_e32 v6, vcc, v12, v6, vcc
	global_load_dword v5, v[5:6], off
	s_or_b64 s[8:9], s[8:9], exec
	s_waitcnt vmcnt(0)
	v_div_scale_f32 v6, s[12:13], v5, v5, 1.0
	v_div_scale_f32 v12, vcc, 1.0, v5, 1.0
	v_rcp_f32_e32 v13, v6
	v_fma_f32 v14, -v6, v13, 1.0
	v_fmac_f32_e32 v13, v14, v13
	v_mul_f32_e32 v14, v12, v13
	v_fma_f32 v15, -v6, v14, v12
	v_fmac_f32_e32 v14, v15, v13
	v_fma_f32 v6, -v6, v14, v12
	v_div_fmas_f32 v6, v6, v13, v14
	v_div_fixup_f32 v12, v6, v5, 1.0
.LBB18_1169:
	s_or_b64 exec, exec, s[10:11]
	s_and_b64 s[8:9], s[8:9], exec
                                        ; implicit-def: $vgpr5_vgpr6
	s_andn2_saveexec_b64 s[2:3], s[2:3]
	s_cbranch_execz .LBB18_18
.LBB18_1170:
	v_lshlrev_b64 v[5:6], 2, v[5:6]
	v_mov_b32_e32 v12, s80
	v_add_co_u32_e32 v5, vcc, s95, v5
	v_addc_co_u32_e32 v6, vcc, v12, v6, vcc
	global_load_dword v5, v[5:6], off
	s_or_b64 s[8:9], s[8:9], exec
	s_waitcnt vmcnt(0)
	v_xor_b32_e32 v12, 0x80000000, v5
	s_or_b64 exec, exec, s[2:3]
	s_and_saveexec_b64 s[2:3], s[8:9]
	s_cbranch_execnz .LBB18_19
	s_branch .LBB18_20
.LBB18_1171:
	v_cmp_ne_u32_e32 vcc, v0, v1
	s_and_saveexec_b64 s[10:11], vcc
	s_xor_b64 s[10:11], exec, s[10:11]
; %bb.1172:
	v_or_b32_e32 v5, v1, v0
	v_cmp_gt_u32_e32 vcc, 64, v5
	s_and_b64 s[8:9], vcc, exec
                                        ; implicit-def: $vgpr5_vgpr6
; %bb.1173:
	s_or_saveexec_b64 s[10:11], s[10:11]
	v_mov_b32_e32 v12, 0
	s_xor_b64 exec, exec, s[10:11]
	s_cbranch_execz .LBB18_1175
; %bb.1174:
	v_lshlrev_b64 v[5:6], 2, v[5:6]
	v_mov_b32_e32 v12, s80
	v_add_co_u32_e32 v5, vcc, s95, v5
	v_addc_co_u32_e32 v6, vcc, v12, v6, vcc
	global_load_dword v5, v[5:6], off
	s_or_b64 s[8:9], s[8:9], exec
	s_waitcnt vmcnt(0)
	v_div_scale_f32 v6, s[12:13], v5, v5, 1.0
	v_div_scale_f32 v12, vcc, 1.0, v5, 1.0
	v_rcp_f32_e32 v13, v6
	v_fma_f32 v14, -v6, v13, 1.0
	v_fmac_f32_e32 v13, v14, v13
	v_mul_f32_e32 v14, v12, v13
	v_fma_f32 v15, -v6, v14, v12
	v_fmac_f32_e32 v14, v15, v13
	v_fma_f32 v6, -v6, v14, v12
	v_div_fmas_f32 v6, v6, v13, v14
	v_div_fixup_f32 v12, v6, v5, 1.0
.LBB18_1175:
	s_or_b64 exec, exec, s[10:11]
	s_and_b64 s[8:9], s[8:9], exec
                                        ; implicit-def: $vgpr5_vgpr6
	s_andn2_saveexec_b64 s[2:3], s[2:3]
	s_cbranch_execz .LBB18_22
.LBB18_1176:
	v_lshlrev_b64 v[5:6], 2, v[5:6]
	v_mov_b32_e32 v12, s80
	v_add_co_u32_e32 v5, vcc, s95, v5
	v_addc_co_u32_e32 v6, vcc, v12, v6, vcc
	global_load_dword v5, v[5:6], off
	s_or_b64 s[8:9], s[8:9], exec
	s_waitcnt vmcnt(0)
	v_xor_b32_e32 v12, 0x80000000, v5
	s_or_b64 exec, exec, s[2:3]
	s_and_saveexec_b64 s[2:3], s[8:9]
	s_cbranch_execnz .LBB18_23
	s_branch .LBB18_24
.LBB18_1177:
	v_cmp_ne_u32_e32 vcc, v0, v2
	s_xor_b64 s[12:13], s[2:3], -1
	s_or_b64 s[14:15], s[12:13], vcc
	s_mov_b64 s[12:13], 0
	s_and_saveexec_b64 s[16:17], s[14:15]
	s_xor_b64 s[14:15], exec, s[16:17]
; %bb.1178:
	v_or_b32_e32 v1, v2, v0
	v_cmp_gt_u32_e32 vcc, 64, v1
	s_and_b64 s[12:13], vcc, exec
                                        ; implicit-def: $vgpr5_vgpr6
; %bb.1179:
	s_or_saveexec_b64 s[14:15], s[14:15]
	v_mov_b32_e32 v1, 0
	s_xor_b64 exec, exec, s[14:15]
	s_cbranch_execz .LBB18_1181
; %bb.1180:
	v_lshlrev_b64 v[5:6], 2, v[5:6]
	v_mov_b32_e32 v1, s80
	v_add_co_u32_e32 v5, vcc, s95, v5
	v_addc_co_u32_e32 v6, vcc, v1, v6, vcc
	global_load_dword v1, v[5:6], off
	s_or_b64 s[12:13], s[12:13], exec
	s_waitcnt vmcnt(0)
	v_div_scale_f32 v5, s[16:17], v1, v1, 1.0
	v_div_scale_f32 v6, vcc, 1.0, v1, 1.0
	v_rcp_f32_e32 v12, v5
	v_fma_f32 v13, -v5, v12, 1.0
	v_fmac_f32_e32 v12, v13, v12
	v_mul_f32_e32 v13, v6, v12
	v_fma_f32 v14, -v5, v13, v6
	v_fmac_f32_e32 v13, v14, v12
	v_fma_f32 v5, -v5, v13, v6
	v_div_fmas_f32 v5, v5, v12, v13
	v_div_fixup_f32 v1, v5, v1, 1.0
.LBB18_1181:
	s_or_b64 exec, exec, s[14:15]
	s_and_b64 s[12:13], s[12:13], exec
                                        ; implicit-def: $vgpr5_vgpr6
	s_andn2_saveexec_b64 s[8:9], s[8:9]
	s_cbranch_execz .LBB18_36
.LBB18_1182:
	v_lshlrev_b64 v[5:6], 2, v[5:6]
	v_mov_b32_e32 v1, s80
	v_add_co_u32_e32 v5, vcc, s95, v5
	v_addc_co_u32_e32 v6, vcc, v1, v6, vcc
	global_load_dword v1, v[5:6], off
	s_or_b64 s[12:13], s[12:13], exec
	s_waitcnt vmcnt(0)
	v_xor_b32_e32 v1, 0x80000000, v1
	s_or_b64 exec, exec, s[8:9]
	s_and_saveexec_b64 s[8:9], s[12:13]
	s_cbranch_execnz .LBB18_37
	s_branch .LBB18_38
.LBB18_1183:
	v_cmp_ne_u32_e32 vcc, v0, v1
	s_xor_b64 s[12:13], s[2:3], -1
	s_or_b64 s[14:15], s[12:13], vcc
	s_mov_b64 s[12:13], 0
	s_and_saveexec_b64 s[16:17], s[14:15]
	s_xor_b64 s[14:15], exec, s[16:17]
; %bb.1184:
	v_or_b32_e32 v5, v1, v0
	v_cmp_gt_u32_e32 vcc, 64, v5
	s_and_b64 s[12:13], vcc, exec
                                        ; implicit-def: $vgpr5_vgpr6
; %bb.1185:
	s_or_saveexec_b64 s[14:15], s[14:15]
	v_mov_b32_e32 v12, 0
	s_xor_b64 exec, exec, s[14:15]
	s_cbranch_execz .LBB18_1187
; %bb.1186:
	v_lshlrev_b64 v[5:6], 2, v[5:6]
	v_mov_b32_e32 v12, s80
	v_add_co_u32_e32 v5, vcc, s95, v5
	v_addc_co_u32_e32 v6, vcc, v12, v6, vcc
	global_load_dword v5, v[5:6], off
	s_or_b64 s[12:13], s[12:13], exec
	s_waitcnt vmcnt(0)
	v_div_scale_f32 v6, s[16:17], v5, v5, 1.0
	v_div_scale_f32 v12, vcc, 1.0, v5, 1.0
	v_rcp_f32_e32 v13, v6
	v_fma_f32 v14, -v6, v13, 1.0
	v_fmac_f32_e32 v13, v14, v13
	v_mul_f32_e32 v14, v12, v13
	v_fma_f32 v15, -v6, v14, v12
	v_fmac_f32_e32 v14, v15, v13
	v_fma_f32 v6, -v6, v14, v12
	v_div_fmas_f32 v6, v6, v13, v14
	v_div_fixup_f32 v12, v6, v5, 1.0
.LBB18_1187:
	s_or_b64 exec, exec, s[14:15]
	s_and_b64 s[12:13], s[12:13], exec
                                        ; implicit-def: $vgpr5_vgpr6
	s_andn2_saveexec_b64 s[8:9], s[8:9]
	s_cbranch_execz .LBB18_40
.LBB18_1188:
	v_lshlrev_b64 v[5:6], 2, v[5:6]
	v_mov_b32_e32 v12, s80
	v_add_co_u32_e32 v5, vcc, s95, v5
	v_addc_co_u32_e32 v6, vcc, v12, v6, vcc
	global_load_dword v5, v[5:6], off
	s_or_b64 s[12:13], s[12:13], exec
	s_waitcnt vmcnt(0)
	v_xor_b32_e32 v12, 0x80000000, v5
	s_or_b64 exec, exec, s[8:9]
	s_and_saveexec_b64 s[8:9], s[12:13]
	s_cbranch_execnz .LBB18_41
	s_branch .LBB18_42
.LBB18_1189:
	v_cmp_ne_u32_e32 vcc, v0, v1
	s_xor_b64 s[12:13], s[2:3], -1
	s_or_b64 s[14:15], s[12:13], vcc
	s_mov_b64 s[12:13], 0
	s_and_saveexec_b64 s[16:17], s[14:15]
	s_xor_b64 s[14:15], exec, s[16:17]
; %bb.1190:
	v_or_b32_e32 v5, v1, v0
	v_cmp_gt_u32_e32 vcc, 64, v5
	s_and_b64 s[12:13], vcc, exec
                                        ; implicit-def: $vgpr5_vgpr6
; %bb.1191:
	s_or_saveexec_b64 s[14:15], s[14:15]
	v_mov_b32_e32 v12, 0
	s_xor_b64 exec, exec, s[14:15]
	s_cbranch_execz .LBB18_1193
; %bb.1192:
	v_lshlrev_b64 v[5:6], 2, v[5:6]
	v_mov_b32_e32 v12, s80
	v_add_co_u32_e32 v5, vcc, s95, v5
	v_addc_co_u32_e32 v6, vcc, v12, v6, vcc
	global_load_dword v5, v[5:6], off
	s_or_b64 s[12:13], s[12:13], exec
	s_waitcnt vmcnt(0)
	v_div_scale_f32 v6, s[16:17], v5, v5, 1.0
	v_div_scale_f32 v12, vcc, 1.0, v5, 1.0
	v_rcp_f32_e32 v13, v6
	v_fma_f32 v14, -v6, v13, 1.0
	v_fmac_f32_e32 v13, v14, v13
	v_mul_f32_e32 v14, v12, v13
	v_fma_f32 v15, -v6, v14, v12
	v_fmac_f32_e32 v14, v15, v13
	v_fma_f32 v6, -v6, v14, v12
	v_div_fmas_f32 v6, v6, v13, v14
	v_div_fixup_f32 v12, v6, v5, 1.0
.LBB18_1193:
	s_or_b64 exec, exec, s[14:15]
	s_and_b64 s[12:13], s[12:13], exec
                                        ; implicit-def: $vgpr5_vgpr6
	s_andn2_saveexec_b64 s[8:9], s[8:9]
	s_cbranch_execz .LBB18_44
.LBB18_1194:
	v_lshlrev_b64 v[5:6], 2, v[5:6]
	v_mov_b32_e32 v12, s80
	v_add_co_u32_e32 v5, vcc, s95, v5
	v_addc_co_u32_e32 v6, vcc, v12, v6, vcc
	global_load_dword v5, v[5:6], off
	s_or_b64 s[12:13], s[12:13], exec
	s_waitcnt vmcnt(0)
	v_xor_b32_e32 v12, 0x80000000, v5
	s_or_b64 exec, exec, s[8:9]
	s_and_saveexec_b64 s[8:9], s[12:13]
	s_cbranch_execnz .LBB18_45
	s_branch .LBB18_46
.LBB18_1195:
	s_or_b64 exec, exec, s[10:11]
	s_and_b64 vcc, exec, s[8:9]
	s_cbranch_vccnz .LBB18_1139
.LBB18_1196:
	v_mov_b32_e32 v12, v4
	s_and_saveexec_b64 s[2:3], s[6:7]
	s_cbranch_execnz .LBB18_1202
	s_branch .LBB18_1203
.LBB18_1197:
	s_mov_b64 s[4:5], 0
.LBB18_1198:
	v_cmp_gt_i32_e32 vcc, s94, v0
	s_and_b64 s[2:3], s[2:3], vcc
	s_andn2_b64 s[4:5], s[4:5], exec
	s_and_b64 s[2:3], s[2:3], exec
	s_or_b64 s[4:5], s[4:5], s[2:3]
.LBB18_1199:
                                        ; implicit-def: $vgpr1_vgpr2
	s_and_saveexec_b64 s[2:3], s[4:5]
	s_cbranch_execz .LBB18_1201
; %bb.1200:
	v_mov_b32_e32 v0, s38
	v_add_co_u32_e32 v1, vcc, s33, v11
	v_addc_co_u32_e32 v0, vcc, 0, v0, vcc
	v_mul_lo_u32 v0, v0, s16
	v_mul_lo_u32 v3, v1, s17
	v_mad_u64_u32 v[1:2], s[4:5], v1, s16, 0
	s_or_b64 s[6:7], s[6:7], exec
	v_add3_u32 v2, v2, v3, v0
.LBB18_1201:
	s_or_b64 exec, exec, s[2:3]
	s_and_saveexec_b64 s[2:3], s[6:7]
	s_cbranch_execz .LBB18_1203
.LBB18_1202:
	v_lshlrev_b64 v[0:1], 2, v[1:2]
	v_mov_b32_e32 v2, s27
	v_add_co_u32_e32 v0, vcc, s26, v0
	v_addc_co_u32_e32 v1, vcc, v2, v1, vcc
	global_store_dword v[0:1], v12, off
.LBB18_1203:
	s_or_b64 exec, exec, s[2:3]
	v_cmp_eq_u32_e32 vcc, 0, v11
	s_waitcnt vmcnt(0)
	buffer_wbinvl1_vol
	s_barrier
	s_and_saveexec_b64 s[2:3], vcc
	s_cbranch_execz .LBB18_1205
; %bb.1204:
	s_lshl_b64 s[4:5], s[28:29], 2
	s_add_u32 s0, s0, s4
	s_addc_u32 s1, s1, s5
	v_mov_b32_e32 v0, 0
	global_load_dword v1, v0, s[0:1]
	s_waitcnt vmcnt(0)
	v_add_u32_e32 v1, 1, v1
	global_store_dword v0, v1, s[0:1]
.LBB18_1205:
	s_or_b64 exec, exec, s[2:3]
	s_waitcnt vmcnt(0)
	buffer_wbinvl1_vol
	s_endpgm
.LBB18_1206:
	ds_read_b32 v16, v15 offset:15840
	ds_read_b32 v17, v14 offset:15604
	s_waitcnt lgkmcnt(0)
	v_fmac_f32_e32 v13, v16, v17
	s_or_b64 exec, exec, s[14:15]
	v_cmp_gt_u32_e64 s[10:11], 8, v5
	s_and_saveexec_b64 s[14:15], s[10:11]
	s_cbranch_execz .LBB18_79
.LBB18_1207:
	ds_read_b32 v15, v15 offset:16096
	ds_read_b32 v14, v14 offset:15608
	s_waitcnt lgkmcnt(0)
	v_fmac_f32_e32 v13, v15, v14
	s_or_b64 exec, exec, s[14:15]
	v_cmp_gt_u32_e64 s[10:11], 4, v5
	s_and_saveexec_b64 s[14:15], s[10:11]
	s_cbranch_execnz .LBB18_80
	s_branch .LBB18_81
.LBB18_1208:
	ds_read_b32 v19, v18 offset:14784
	ds_read_b32 v20, v17 offset:14564
	s_waitcnt lgkmcnt(0)
	v_fmac_f32_e32 v16, v19, v20
	s_or_b64 exec, exec, s[16:17]
	v_cmp_gt_u32_e64 s[14:15], 48, v5
	s_and_saveexec_b64 s[16:17], s[14:15]
	s_cbranch_execz .LBB18_121
.LBB18_1209:
	ds_read_b32 v19, v18 offset:15040
	ds_read_b32 v20, v17 offset:14568
	s_waitcnt lgkmcnt(0)
	v_fmac_f32_e32 v16, v19, v20
	s_or_b64 exec, exec, s[16:17]
	v_cmp_gt_u32_e64 s[14:15], 40, v5
	s_and_saveexec_b64 s[16:17], s[14:15]
	s_cbranch_execz .LBB18_122
.LBB18_1210:
	ds_read_b32 v19, v18 offset:15296
	ds_read_b32 v20, v17 offset:14572
	s_waitcnt lgkmcnt(0)
	v_fmac_f32_e32 v16, v19, v20
	s_or_b64 exec, exec, s[16:17]
	v_cmp_gt_u32_e64 s[14:15], 32, v5
	s_and_saveexec_b64 s[16:17], s[14:15]
	s_cbranch_execz .LBB18_123
.LBB18_1211:
	ds_read_b32 v19, v18 offset:15552
	ds_read_b32 v20, v17 offset:14576
	s_waitcnt lgkmcnt(0)
	v_fmac_f32_e32 v16, v19, v20
	s_or_b64 exec, exec, s[16:17]
	v_cmp_gt_u32_e64 s[14:15], 24, v5
	s_and_saveexec_b64 s[16:17], s[14:15]
	s_cbranch_execz .LBB18_124
.LBB18_1212:
	ds_read_b32 v19, v18 offset:15808
	ds_read_b32 v20, v17 offset:14580
	s_waitcnt lgkmcnt(0)
	v_fmac_f32_e32 v16, v19, v20
	s_or_b64 exec, exec, s[16:17]
	s_and_saveexec_b64 s[14:15], s[18:19]
	s_cbranch_execz .LBB18_125
.LBB18_1213:
	ds_read_b32 v18, v18 offset:16064
	ds_read_b32 v17, v17 offset:14584
	s_waitcnt lgkmcnt(0)
	v_fmac_f32_e32 v16, v18, v17
	s_or_b64 exec, exec, s[14:15]
	v_cmp_gt_u32_e64 s[14:15], 8, v5
	s_and_saveexec_b64 s[16:17], s[14:15]
	s_cbranch_execnz .LBB18_126
	s_branch .LBB18_127
.LBB18_1214:
	ds_read_b32 v19, v18 offset:13760
	ds_read_b32 v20, v17 offset:13524
	s_waitcnt lgkmcnt(0)
	v_fmac_f32_e32 v16, v19, v20
	s_or_b64 exec, exec, s[14:15]
	v_cmp_gt_u32_e64 s[10:11], 8, v5
	s_and_saveexec_b64 s[14:15], s[10:11]
	s_cbranch_execz .LBB18_183
.LBB18_1215:
	ds_read_b32 v18, v18 offset:14016
	ds_read_b32 v17, v17 offset:13528
	s_waitcnt lgkmcnt(0)
	v_fmac_f32_e32 v16, v18, v17
	s_or_b64 exec, exec, s[14:15]
	v_cmp_gt_u32_e64 s[10:11], 4, v5
	s_and_saveexec_b64 s[14:15], s[10:11]
	s_cbranch_execnz .LBB18_184
	s_branch .LBB18_185
.LBB18_1216:
	ds_read_b32 v22, v21 offset:15232
	ds_read_b32 v23, v20 offset:12524
	s_waitcnt lgkmcnt(0)
	v_fmac_f32_e32 v19, v22, v23
	s_or_b64 exec, exec, s[20:21]
	s_and_saveexec_b64 s[16:17], s[8:9]
	s_cbranch_execz .LBB18_245
.LBB18_1217:
	ds_read_b32 v22, v21 offset:15488
	ds_read_b32 v23, v20 offset:12528
	s_waitcnt lgkmcnt(0)
	v_fmac_f32_e32 v19, v22, v23
	s_or_b64 exec, exec, s[16:17]
	v_cmp_gt_u32_e64 s[16:17], 48, v5
	s_and_saveexec_b64 s[20:21], s[16:17]
	s_cbranch_execz .LBB18_246
.LBB18_1218:
	ds_read_b32 v22, v21 offset:15744
	ds_read_b32 v23, v20 offset:12532
	s_waitcnt lgkmcnt(0)
	v_fmac_f32_e32 v19, v22, v23
	s_or_b64 exec, exec, s[20:21]
	v_cmp_gt_u32_e64 s[16:17], 32, v5
	s_and_saveexec_b64 s[20:21], s[16:17]
	s_cbranch_execz .LBB18_247
.LBB18_1219:
	ds_read_b32 v21, v21 offset:16000
	ds_read_b32 v20, v20 offset:12536
	s_waitcnt lgkmcnt(0)
	v_fmac_f32_e32 v19, v21, v20
	s_or_b64 exec, exec, s[20:21]
	v_cmp_gt_u32_e64 s[16:17], 16, v5
	s_and_saveexec_b64 s[20:21], s[16:17]
	s_cbranch_execnz .LBB18_248
	s_branch .LBB18_249
.LBB18_1220:
	ds_read_b32 v22, v21 offset:11680
	ds_read_b32 v23, v20 offset:11444
	s_waitcnt lgkmcnt(0)
	v_fmac_f32_e32 v19, v22, v23
	s_or_b64 exec, exec, s[20:21]
	v_cmp_gt_u32_e64 s[14:15], 8, v5
	s_and_saveexec_b64 s[20:21], s[14:15]
	s_cbranch_execz .LBB18_337
.LBB18_1221:
	ds_read_b32 v21, v21 offset:11936
	ds_read_b32 v20, v20 offset:11448
	s_waitcnt lgkmcnt(0)
	v_fmac_f32_e32 v19, v21, v20
	s_or_b64 exec, exec, s[20:21]
	v_cmp_gt_u32_e64 s[14:15], 4, v5
	s_and_saveexec_b64 s[20:21], s[14:15]
	s_cbranch_execnz .LBB18_338
	s_branch .LBB18_339
.LBB18_1222:
	ds_read_b32 v22, v21 offset:10624
	ds_read_b32 v23, v20 offset:10404
	s_waitcnt lgkmcnt(0)
	v_fmac_f32_e32 v19, v22, v23
	s_or_b64 exec, exec, s[20:21]
	v_cmp_gt_u32_e64 s[14:15], 48, v5
	s_and_saveexec_b64 s[20:21], s[14:15]
	s_cbranch_execz .LBB18_379
.LBB18_1223:
	ds_read_b32 v22, v21 offset:10880
	ds_read_b32 v23, v20 offset:10408
	s_waitcnt lgkmcnt(0)
	v_fmac_f32_e32 v19, v22, v23
	s_or_b64 exec, exec, s[20:21]
	v_cmp_gt_u32_e64 s[14:15], 40, v5
	s_and_saveexec_b64 s[20:21], s[14:15]
	s_cbranch_execz .LBB18_380
.LBB18_1224:
	ds_read_b32 v22, v21 offset:11136
	ds_read_b32 v23, v20 offset:10412
	s_waitcnt lgkmcnt(0)
	v_fmac_f32_e32 v19, v22, v23
	s_or_b64 exec, exec, s[20:21]
	v_cmp_gt_u32_e64 s[14:15], 32, v5
	s_and_saveexec_b64 s[20:21], s[14:15]
	s_cbranch_execz .LBB18_381
.LBB18_1225:
	ds_read_b32 v22, v21 offset:11392
	ds_read_b32 v23, v20 offset:10416
	s_waitcnt lgkmcnt(0)
	v_fmac_f32_e32 v19, v22, v23
	s_or_b64 exec, exec, s[20:21]
	v_cmp_gt_u32_e64 s[14:15], 24, v5
	s_and_saveexec_b64 s[20:21], s[14:15]
	s_cbranch_execz .LBB18_382
.LBB18_1226:
	ds_read_b32 v22, v21 offset:11648
	ds_read_b32 v23, v20 offset:10420
	s_waitcnt lgkmcnt(0)
	v_fmac_f32_e32 v19, v22, v23
	s_or_b64 exec, exec, s[20:21]
	s_and_saveexec_b64 s[14:15], s[18:19]
	s_cbranch_execz .LBB18_383
.LBB18_1227:
	ds_read_b32 v21, v21 offset:11904
	ds_read_b32 v20, v20 offset:10424
	s_waitcnt lgkmcnt(0)
	v_fmac_f32_e32 v19, v21, v20
	s_or_b64 exec, exec, s[14:15]
	v_cmp_gt_u32_e64 s[14:15], 8, v5
	s_and_saveexec_b64 s[20:21], s[14:15]
	s_cbranch_execnz .LBB18_384
	s_branch .LBB18_385
.LBB18_1228:
	ds_read_b32 v22, v21 offset:9600
	ds_read_b32 v23, v20 offset:9364
	s_waitcnt lgkmcnt(0)
	v_fmac_f32_e32 v19, v22, v23
	s_or_b64 exec, exec, s[20:21]
	v_cmp_gt_u32_e64 s[14:15], 8, v5
	s_and_saveexec_b64 s[20:21], s[14:15]
	s_cbranch_execz .LBB18_441
.LBB18_1229:
	ds_read_b32 v21, v21 offset:9856
	ds_read_b32 v20, v20 offset:9368
	s_waitcnt lgkmcnt(0)
	v_fmac_f32_e32 v19, v21, v20
	s_or_b64 exec, exec, s[20:21]
	v_cmp_gt_u32_e64 s[14:15], 4, v5
	s_and_saveexec_b64 s[20:21], s[14:15]
	s_cbranch_execnz .LBB18_442
	s_branch .LBB18_443
.LBB18_1230:
	ds_read_b32 v25, v24 offset:15616
	ds_read_b32 v26, v23 offset:8436
	s_waitcnt lgkmcnt(0)
	v_fmac_f32_e32 v21, v25, v26
	s_or_b64 exec, exec, s[92:93]
	s_and_saveexec_b64 s[20:21], s[8:9]
	s_cbranch_execz .LBB18_539
.LBB18_1231:
	ds_read_b32 v24, v24 offset:15872
	ds_read_b32 v23, v23 offset:8440
	s_waitcnt lgkmcnt(0)
	v_fmac_f32_e32 v21, v24, v23
	s_or_b64 exec, exec, s[20:21]
	v_cmp_gt_u32_e64 s[20:21], 32, v5
	s_and_saveexec_b64 s[92:93], s[20:21]
	s_cbranch_execnz .LBB18_540
	s_branch .LBB18_541
.LBB18_1232:
	ds_read_b32 v22, v21 offset:7520
	ds_read_b32 v23, v20 offset:7284
	s_waitcnt lgkmcnt(0)
	v_fmac_f32_e32 v19, v22, v23
	s_or_b64 exec, exec, s[16:17]
	v_cmp_gt_u32_e64 s[12:13], 8, v5
	s_and_saveexec_b64 s[16:17], s[12:13]
	s_cbranch_execz .LBB18_693
.LBB18_1233:
	ds_read_b32 v21, v21 offset:7776
	ds_read_b32 v20, v20 offset:7288
	s_waitcnt lgkmcnt(0)
	v_fmac_f32_e32 v19, v21, v20
	s_or_b64 exec, exec, s[16:17]
	v_cmp_gt_u32_e64 s[12:13], 4, v5
	s_and_saveexec_b64 s[16:17], s[12:13]
	s_cbranch_execnz .LBB18_694
	s_branch .LBB18_695
.LBB18_1234:
	ds_read_b32 v22, v21 offset:6464
	ds_read_b32 v23, v20 offset:6244
	s_waitcnt lgkmcnt(0)
	v_fmac_f32_e32 v19, v22, v23
	s_or_b64 exec, exec, s[16:17]
	v_cmp_gt_u32_e64 s[12:13], 48, v5
	s_and_saveexec_b64 s[16:17], s[12:13]
	s_cbranch_execz .LBB18_735
.LBB18_1235:
	ds_read_b32 v22, v21 offset:6720
	ds_read_b32 v23, v20 offset:6248
	s_waitcnt lgkmcnt(0)
	v_fmac_f32_e32 v19, v22, v23
	s_or_b64 exec, exec, s[16:17]
	v_cmp_gt_u32_e64 s[12:13], 40, v5
	s_and_saveexec_b64 s[16:17], s[12:13]
	s_cbranch_execz .LBB18_736
.LBB18_1236:
	ds_read_b32 v22, v21 offset:6976
	ds_read_b32 v23, v20 offset:6252
	s_waitcnt lgkmcnt(0)
	v_fmac_f32_e32 v19, v22, v23
	s_or_b64 exec, exec, s[16:17]
	v_cmp_gt_u32_e64 s[12:13], 32, v5
	s_and_saveexec_b64 s[16:17], s[12:13]
	s_cbranch_execz .LBB18_737
.LBB18_1237:
	ds_read_b32 v22, v21 offset:7232
	ds_read_b32 v23, v20 offset:6256
	s_waitcnt lgkmcnt(0)
	v_fmac_f32_e32 v19, v22, v23
	s_or_b64 exec, exec, s[16:17]
	v_cmp_gt_u32_e64 s[12:13], 24, v5
	s_and_saveexec_b64 s[16:17], s[12:13]
	s_cbranch_execz .LBB18_738
.LBB18_1238:
	ds_read_b32 v22, v21 offset:7488
	ds_read_b32 v23, v20 offset:6260
	s_waitcnt lgkmcnt(0)
	v_fmac_f32_e32 v19, v22, v23
	s_or_b64 exec, exec, s[16:17]
	s_and_saveexec_b64 s[12:13], s[18:19]
	s_cbranch_execz .LBB18_739
.LBB18_1239:
	ds_read_b32 v21, v21 offset:7744
	ds_read_b32 v20, v20 offset:6264
	s_waitcnt lgkmcnt(0)
	v_fmac_f32_e32 v19, v21, v20
	s_or_b64 exec, exec, s[12:13]
	v_cmp_gt_u32_e64 s[12:13], 8, v5
	s_and_saveexec_b64 s[16:17], s[12:13]
	s_cbranch_execnz .LBB18_740
	s_branch .LBB18_741
.LBB18_1240:
	ds_read_b32 v22, v21 offset:5440
	ds_read_b32 v23, v20 offset:5204
	s_waitcnt lgkmcnt(0)
	v_fmac_f32_e32 v19, v22, v23
	s_or_b64 exec, exec, s[16:17]
	v_cmp_gt_u32_e64 s[12:13], 8, v5
	s_and_saveexec_b64 s[16:17], s[12:13]
	s_cbranch_execz .LBB18_797
.LBB18_1241:
	ds_read_b32 v21, v21 offset:5696
	ds_read_b32 v20, v20 offset:5208
	s_waitcnt lgkmcnt(0)
	v_fmac_f32_e32 v19, v21, v20
	s_or_b64 exec, exec, s[16:17]
	v_cmp_gt_u32_e64 s[12:13], 4, v5
	s_and_saveexec_b64 s[16:17], s[12:13]
	s_cbranch_execnz .LBB18_798
	s_branch .LBB18_799
.LBB18_1242:
	ds_read_b32 v22, v21 offset:6912
	ds_read_b32 v23, v20 offset:4204
	s_waitcnt lgkmcnt(0)
	v_fmac_f32_e32 v19, v22, v23
	s_or_b64 exec, exec, s[16:17]
	s_and_saveexec_b64 s[12:13], s[8:9]
	s_cbranch_execz .LBB18_859
.LBB18_1243:
	ds_read_b32 v22, v21 offset:7168
	ds_read_b32 v23, v20 offset:4208
	s_waitcnt lgkmcnt(0)
	v_fmac_f32_e32 v19, v22, v23
	s_or_b64 exec, exec, s[12:13]
	v_cmp_gt_u32_e64 s[12:13], 48, v5
	s_and_saveexec_b64 s[16:17], s[12:13]
	s_cbranch_execz .LBB18_860
.LBB18_1244:
	ds_read_b32 v22, v21 offset:7424
	ds_read_b32 v23, v20 offset:4212
	s_waitcnt lgkmcnt(0)
	v_fmac_f32_e32 v19, v22, v23
	s_or_b64 exec, exec, s[16:17]
	v_cmp_gt_u32_e64 s[12:13], 32, v5
	s_and_saveexec_b64 s[16:17], s[12:13]
	s_cbranch_execz .LBB18_861
.LBB18_1245:
	ds_read_b32 v21, v21 offset:7680
	ds_read_b32 v20, v20 offset:4216
	s_waitcnt lgkmcnt(0)
	v_fmac_f32_e32 v19, v21, v20
	s_or_b64 exec, exec, s[16:17]
	v_cmp_gt_u32_e64 s[12:13], 16, v5
	s_and_saveexec_b64 s[16:17], s[12:13]
	s_cbranch_execnz .LBB18_862
	s_branch .LBB18_863
.LBB18_1246:
	ds_read_b32 v19, v18 offset:3360
	ds_read_b32 v20, v17 offset:3124
	s_waitcnt lgkmcnt(0)
	v_fmac_f32_e32 v16, v19, v20
	s_or_b64 exec, exec, s[12:13]
	v_cmp_gt_u32_e64 s[10:11], 8, v5
	s_and_saveexec_b64 s[12:13], s[10:11]
	s_cbranch_execz .LBB18_951
.LBB18_1247:
	ds_read_b32 v18, v18 offset:3616
	ds_read_b32 v17, v17 offset:3128
	s_waitcnt lgkmcnt(0)
	v_fmac_f32_e32 v16, v18, v17
	s_or_b64 exec, exec, s[12:13]
	v_cmp_gt_u32_e64 s[10:11], 4, v5
	s_and_saveexec_b64 s[12:13], s[10:11]
	s_cbranch_execnz .LBB18_952
	s_branch .LBB18_953
.LBB18_1248:
	ds_read_b32 v19, v18 offset:2304
	ds_read_b32 v20, v17 offset:2084
	s_waitcnt lgkmcnt(0)
	v_fmac_f32_e32 v16, v19, v20
	s_or_b64 exec, exec, s[12:13]
	v_cmp_gt_u32_e64 s[10:11], 48, v5
	s_and_saveexec_b64 s[12:13], s[10:11]
	s_cbranch_execz .LBB18_993
.LBB18_1249:
	ds_read_b32 v19, v18 offset:2560
	ds_read_b32 v20, v17 offset:2088
	s_waitcnt lgkmcnt(0)
	v_fmac_f32_e32 v16, v19, v20
	s_or_b64 exec, exec, s[12:13]
	v_cmp_gt_u32_e64 s[10:11], 40, v5
	s_and_saveexec_b64 s[12:13], s[10:11]
	s_cbranch_execz .LBB18_994
.LBB18_1250:
	ds_read_b32 v19, v18 offset:2816
	ds_read_b32 v20, v17 offset:2092
	s_waitcnt lgkmcnt(0)
	v_fmac_f32_e32 v16, v19, v20
	s_or_b64 exec, exec, s[12:13]
	v_cmp_gt_u32_e64 s[10:11], 32, v5
	s_and_saveexec_b64 s[12:13], s[10:11]
	s_cbranch_execz .LBB18_995
.LBB18_1251:
	ds_read_b32 v19, v18 offset:3072
	ds_read_b32 v20, v17 offset:2096
	s_waitcnt lgkmcnt(0)
	v_fmac_f32_e32 v16, v19, v20
	s_or_b64 exec, exec, s[12:13]
	v_cmp_gt_u32_e64 s[10:11], 24, v5
	s_and_saveexec_b64 s[12:13], s[10:11]
	s_cbranch_execz .LBB18_996
.LBB18_1252:
	ds_read_b32 v19, v18 offset:3328
	ds_read_b32 v20, v17 offset:2100
	s_waitcnt lgkmcnt(0)
	v_fmac_f32_e32 v16, v19, v20
	s_or_b64 exec, exec, s[12:13]
	s_and_saveexec_b64 s[10:11], s[18:19]
	s_cbranch_execz .LBB18_997
.LBB18_1253:
	ds_read_b32 v18, v18 offset:3584
	ds_read_b32 v17, v17 offset:2104
	s_waitcnt lgkmcnt(0)
	v_fmac_f32_e32 v16, v18, v17
	s_or_b64 exec, exec, s[10:11]
	v_cmp_gt_u32_e64 s[10:11], 8, v5
	s_and_saveexec_b64 s[12:13], s[10:11]
	s_cbranch_execnz .LBB18_998
	s_branch .LBB18_999
.LBB18_1254:
	ds_read_b32 v16, v15 offset:1280
	ds_read_b32 v17, v14 offset:1044
	s_waitcnt lgkmcnt(0)
	v_fmac_f32_e32 v13, v16, v17
	s_or_b64 exec, exec, s[10:11]
	v_cmp_gt_u32_e64 s[8:9], 8, v5
	s_and_saveexec_b64 s[10:11], s[8:9]
	s_cbranch_execz .LBB18_1055
.LBB18_1255:
	ds_read_b32 v15, v15 offset:1536
	ds_read_b32 v14, v14 offset:1048
	s_waitcnt lgkmcnt(0)
	v_fmac_f32_e32 v13, v15, v14
	s_or_b64 exec, exec, s[10:11]
	v_cmp_gt_u32_e64 s[8:9], 4, v5
	s_and_saveexec_b64 s[10:11], s[8:9]
	s_cbranch_execnz .LBB18_1056
	s_branch .LBB18_1057
	.section	.rodata,"a",@progbits
	.p2align	6, 0x0
	.amdhsa_kernel _ZL19rocblas_trsv_deviceILi64ELi16ELb0ELb1ELb1ELb0EffPKfPfEviT7_lllT6_T8_lllPii
		.amdhsa_group_segment_fixed_size 20740
		.amdhsa_private_segment_fixed_size 0
		.amdhsa_kernarg_size 352
		.amdhsa_user_sgpr_count 6
		.amdhsa_user_sgpr_private_segment_buffer 1
		.amdhsa_user_sgpr_dispatch_ptr 0
		.amdhsa_user_sgpr_queue_ptr 0
		.amdhsa_user_sgpr_kernarg_segment_ptr 1
		.amdhsa_user_sgpr_dispatch_id 0
		.amdhsa_user_sgpr_flat_scratch_init 0
		.amdhsa_user_sgpr_private_segment_size 0
		.amdhsa_uses_dynamic_stack 0
		.amdhsa_system_sgpr_private_segment_wavefront_offset 0
		.amdhsa_system_sgpr_workgroup_id_x 1
		.amdhsa_system_sgpr_workgroup_id_y 0
		.amdhsa_system_sgpr_workgroup_id_z 1
		.amdhsa_system_sgpr_workgroup_info 0
		.amdhsa_system_vgpr_workitem_id 1
		.amdhsa_next_free_vgpr 29
		.amdhsa_next_free_sgpr 96
		.amdhsa_reserve_vcc 1
		.amdhsa_reserve_flat_scratch 0
		.amdhsa_float_round_mode_32 0
		.amdhsa_float_round_mode_16_64 0
		.amdhsa_float_denorm_mode_32 3
		.amdhsa_float_denorm_mode_16_64 3
		.amdhsa_dx10_clamp 1
		.amdhsa_ieee_mode 1
		.amdhsa_fp16_overflow 0
		.amdhsa_exception_fp_ieee_invalid_op 0
		.amdhsa_exception_fp_denorm_src 0
		.amdhsa_exception_fp_ieee_div_zero 0
		.amdhsa_exception_fp_ieee_overflow 0
		.amdhsa_exception_fp_ieee_underflow 0
		.amdhsa_exception_fp_ieee_inexact 0
		.amdhsa_exception_int_div_zero 0
	.end_amdhsa_kernel
	.section	.text._ZL19rocblas_trsv_deviceILi64ELi16ELb0ELb1ELb1ELb0EffPKfPfEviT7_lllT6_T8_lllPii,"axG",@progbits,_ZL19rocblas_trsv_deviceILi64ELi16ELb0ELb1ELb1ELb0EffPKfPfEviT7_lllT6_T8_lllPii,comdat
.Lfunc_end18:
	.size	_ZL19rocblas_trsv_deviceILi64ELi16ELb0ELb1ELb1ELb0EffPKfPfEviT7_lllT6_T8_lllPii, .Lfunc_end18-_ZL19rocblas_trsv_deviceILi64ELi16ELb0ELb1ELb1ELb0EffPKfPfEviT7_lllT6_T8_lllPii
                                        ; -- End function
	.set _ZL19rocblas_trsv_deviceILi64ELi16ELb0ELb1ELb1ELb0EffPKfPfEviT7_lllT6_T8_lllPii.num_vgpr, 28
	.set _ZL19rocblas_trsv_deviceILi64ELi16ELb0ELb1ELb1ELb0EffPKfPfEviT7_lllT6_T8_lllPii.num_agpr, 0
	.set _ZL19rocblas_trsv_deviceILi64ELi16ELb0ELb1ELb1ELb0EffPKfPfEviT7_lllT6_T8_lllPii.numbered_sgpr, 96
	.set _ZL19rocblas_trsv_deviceILi64ELi16ELb0ELb1ELb1ELb0EffPKfPfEviT7_lllT6_T8_lllPii.num_named_barrier, 0
	.set _ZL19rocblas_trsv_deviceILi64ELi16ELb0ELb1ELb1ELb0EffPKfPfEviT7_lllT6_T8_lllPii.private_seg_size, 0
	.set _ZL19rocblas_trsv_deviceILi64ELi16ELb0ELb1ELb1ELb0EffPKfPfEviT7_lllT6_T8_lllPii.uses_vcc, 1
	.set _ZL19rocblas_trsv_deviceILi64ELi16ELb0ELb1ELb1ELb0EffPKfPfEviT7_lllT6_T8_lllPii.uses_flat_scratch, 0
	.set _ZL19rocblas_trsv_deviceILi64ELi16ELb0ELb1ELb1ELb0EffPKfPfEviT7_lllT6_T8_lllPii.has_dyn_sized_stack, 0
	.set _ZL19rocblas_trsv_deviceILi64ELi16ELb0ELb1ELb1ELb0EffPKfPfEviT7_lllT6_T8_lllPii.has_recursion, 0
	.set _ZL19rocblas_trsv_deviceILi64ELi16ELb0ELb1ELb1ELb0EffPKfPfEviT7_lllT6_T8_lllPii.has_indirect_call, 0
	.section	.AMDGPU.csdata,"",@progbits
; Kernel info:
; codeLenInByte = 40520
; TotalNumSgprs: 100
; NumVgprs: 28
; ScratchSize: 0
; MemoryBound: 0
; FloatMode: 240
; IeeeMode: 1
; LDSByteSize: 20740 bytes/workgroup (compile time only)
; SGPRBlocks: 12
; VGPRBlocks: 7
; NumSGPRsForWavesPerEU: 100
; NumVGPRsForWavesPerEU: 29
; Occupancy: 8
; WaveLimiterHint : 0
; COMPUTE_PGM_RSRC2:SCRATCH_EN: 0
; COMPUTE_PGM_RSRC2:USER_SGPR: 6
; COMPUTE_PGM_RSRC2:TRAP_HANDLER: 0
; COMPUTE_PGM_RSRC2:TGID_X_EN: 1
; COMPUTE_PGM_RSRC2:TGID_Y_EN: 0
; COMPUTE_PGM_RSRC2:TGID_Z_EN: 1
; COMPUTE_PGM_RSRC2:TIDIG_COMP_CNT: 1
	.section	.text._ZL19rocblas_trsv_deviceILi64ELi16ELb1ELb0ELb0ELb1EffPKfPfEviT7_lllT6_T8_lllPii,"axG",@progbits,_ZL19rocblas_trsv_deviceILi64ELi16ELb1ELb0ELb0ELb1EffPKfPfEviT7_lllT6_T8_lllPii,comdat
	.globl	_ZL19rocblas_trsv_deviceILi64ELi16ELb1ELb0ELb0ELb1EffPKfPfEviT7_lllT6_T8_lllPii ; -- Begin function _ZL19rocblas_trsv_deviceILi64ELi16ELb1ELb0ELb0ELb1EffPKfPfEviT7_lllT6_T8_lllPii
	.p2align	8
	.type	_ZL19rocblas_trsv_deviceILi64ELi16ELb1ELb0ELb0ELb1EffPKfPfEviT7_lllT6_T8_lllPii,@function
_ZL19rocblas_trsv_deviceILi64ELi16ELb1ELb0ELb0ELb1EffPKfPfEviT7_lllT6_T8_lllPii: ; @_ZL19rocblas_trsv_deviceILi64ELi16ELb1ELb0ELb0ELb1EffPKfPfEviT7_lllT6_T8_lllPii
; %bb.0:
	s_load_dwordx8 s[16:23], s[4:5], 0x8
	s_load_dword s33, s[4:5], 0x0
	s_load_dword s28, s[4:5], 0x6c
	s_mov_b32 s24, s7
	s_mov_b32 s25, 0
	s_waitcnt lgkmcnt(0)
	s_mul_i32 s0, s23, s7
	s_mul_hi_u32 s1, s22, s7
	s_add_i32 s1, s1, s0
	s_mul_i32 s0, s22, s7
	s_lshl_b64 s[0:1], s[0:1], 2
	s_add_u32 s2, s16, s0
	s_addc_u32 s3, s17, s1
	s_lshl_b64 s[0:1], s[18:19], 2
	s_add_u32 s90, s2, s0
	s_addc_u32 s91, s3, s1
	s_cmp_eq_u32 s6, 0
	s_cbranch_scc1 .LBB19_10
; %bb.1:
	s_lshl_b32 s2, s6, 6
	v_add_u32_e32 v2, s2, v1
	v_subrev_u32_e32 v4, 64, v2
	v_ashrrev_i32_e32 v2, 31, v4
	v_mul_lo_u32 v7, s20, v2
	v_mul_lo_u32 v8, s21, v4
	v_mad_u64_u32 v[2:3], s[0:1], s20, v4, 0
	v_add_u32_e32 v5, s2, v0
	v_ashrrev_i32_e32 v6, 31, v5
	v_add3_u32 v3, v3, v7, v8
	v_lshlrev_b64 v[2:3], 2, v[2:3]
	v_mov_b32_e32 v7, s91
	v_add_co_u32_e64 v8, s[0:1], s90, v2
	v_addc_co_u32_e64 v7, s[0:1], v7, v3, s[0:1]
	v_lshlrev_b64 v[2:3], 2, v[5:6]
	v_cmp_gt_i32_e32 vcc, s33, v5
	v_add_co_u32_e64 v2, s[0:1], v8, v2
	v_addc_co_u32_e64 v3, s[0:1], v7, v3, s[0:1]
	v_cmp_gt_i32_e64 s[0:1], s33, v4
	s_and_b64 s[2:3], vcc, s[0:1]
	v_mov_b32_e32 v8, 0
	v_mov_b32_e32 v7, 0
	s_barrier
	s_and_saveexec_b64 s[0:1], s[2:3]
	s_cbranch_execz .LBB19_3
; %bb.2:
	global_load_dword v7, v[2:3], off
.LBB19_3:
	s_or_b64 exec, exec, s[0:1]
	v_add_u32_e32 v5, 16, v4
	v_cmp_gt_i32_e64 s[0:1], s33, v5
	s_and_b64 s[0:1], vcc, s[0:1]
	s_waitcnt vmcnt(0)
	s_barrier
	s_and_saveexec_b64 s[2:3], s[0:1]
	s_cbranch_execz .LBB19_5
; %bb.4:
	s_lshl_b64 s[0:1], s[20:21], 6
	v_mov_b32_e32 v6, s1
	v_add_co_u32_e64 v5, s[0:1], s0, v2
	v_addc_co_u32_e64 v6, s[0:1], v3, v6, s[0:1]
	global_load_dword v8, v[5:6], off
.LBB19_5:
	s_or_b64 exec, exec, s[2:3]
	v_add_u32_e32 v5, 32, v4
	v_cmp_gt_i32_e64 s[0:1], s33, v5
	s_and_b64 s[0:1], vcc, s[0:1]
	v_mov_b32_e32 v9, 0
	v_mov_b32_e32 v10, 0
	s_waitcnt vmcnt(0)
	s_barrier
	s_and_saveexec_b64 s[2:3], s[0:1]
	s_cbranch_execz .LBB19_7
; %bb.6:
	s_lshl_b64 s[0:1], s[20:21], 7
	v_mov_b32_e32 v6, s1
	v_add_co_u32_e64 v5, s[0:1], s0, v2
	v_addc_co_u32_e64 v6, s[0:1], v3, v6, s[0:1]
	global_load_dword v10, v[5:6], off
.LBB19_7:
	s_or_b64 exec, exec, s[2:3]
	v_add_u32_e32 v4, 48, v4
	v_cmp_gt_i32_e64 s[0:1], s33, v4
	s_and_b64 s[2:3], vcc, s[0:1]
	s_waitcnt vmcnt(0)
	s_barrier
	s_and_saveexec_b64 s[0:1], s[2:3]
	s_cbranch_execz .LBB19_9
; %bb.8:
	v_mov_b32_e32 v4, 0xc0
	v_mad_u64_u32 v[2:3], s[2:3], s20, v4, v[2:3]
	s_mul_i32 s2, s21, 0xc0
	v_add_u32_e32 v3, s2, v3
	global_load_dword v9, v[2:3], off
.LBB19_9:
	s_or_b64 exec, exec, s[0:1]
	s_branch .LBB19_11
.LBB19_10:
                                        ; implicit-def: $vgpr9
                                        ; implicit-def: $vgpr10
                                        ; implicit-def: $vgpr8
                                        ; implicit-def: $vgpr7
.LBB19_11:
	s_ashr_i32 s0, s33, 31
	s_lshr_b32 s0, s0, 26
	s_add_i32 s0, s33, s0
	s_andn2_b32 s0, s0, 63
	s_sub_i32 s7, s33, s0
	s_add_i32 s0, s33, -1
	s_ashr_i32 s1, s0, 31
	s_lshr_b32 s1, s1, 26
	s_add_i32 s0, s0, s1
	s_ashr_i32 s0, s0, 6
	s_cmp_eq_u32 s0, s6
	s_cselect_b64 s[0:1], -1, 0
	s_cmp_lg_u32 s7, 0
	s_cselect_b64 s[2:3], -1, 0
	s_and_b64 s[18:19], s[2:3], s[0:1]
	s_mov_b64 s[2:3], -1
	s_and_b64 vcc, exec, s[18:19]
	v_cmp_le_u32_e64 s[0:1], v0, v1
	v_lshlrev_b32_e32 v6, 2, v0
	s_cbranch_vccnz .LBB19_27
; %bb.12:
	s_add_u32 s2, s20, 1
	s_addc_u32 s3, s21, 0
	s_lshl_b32 s8, s6, 6
	s_ashr_i32 s9, s8, 31
	s_mul_hi_u32 s10, s2, s8
	s_mul_i32 s9, s2, s9
	s_add_i32 s9, s10, s9
	s_mul_i32 s3, s3, s8
	s_add_i32 s3, s9, s3
	s_mul_i32 s2, s2, s8
	s_lshl_b64 s[2:3], s[2:3], 2
	s_add_u32 s2, s90, s2
	s_addc_u32 s3, s91, s3
	v_lshlrev_b32_e32 v4, 2, v0
	v_mov_b32_e32 v3, s3
	v_add_co_u32_e32 v2, vcc, s2, v4
	v_mov_b32_e32 v5, 0
	v_addc_co_u32_e32 v3, vcc, 0, v3, vcc
	s_mov_b64 s[2:3], 0
	s_and_saveexec_b64 s[8:9], s[0:1]
	s_xor_b64 s[0:1], exec, s[8:9]
	s_cbranch_execnz .LBB19_1087
; %bb.13:
	s_andn2_saveexec_b64 s[0:1], s[0:1]
	s_cbranch_execnz .LBB19_1088
.LBB19_14:
	s_or_b64 exec, exec, s[0:1]
	s_and_saveexec_b64 s[0:1], s[2:3]
.LBB19_15:
	v_lshl_add_u32 v11, v1, 8, v4
	ds_write_b32 v11, v5
.LBB19_16:
	s_or_b64 exec, exec, s[0:1]
	v_add_u32_e32 v5, 16, v1
	v_cmp_le_u32_e32 vcc, v0, v5
	s_mov_b64 s[0:1], 0
	s_and_saveexec_b64 s[2:3], vcc
	s_xor_b64 s[2:3], exec, s[2:3]
	s_cbranch_execnz .LBB19_1089
; %bb.17:
	s_or_saveexec_b64 s[2:3], s[2:3]
	v_mov_b32_e32 v11, 0
	s_xor_b64 exec, exec, s[2:3]
	s_cbranch_execnz .LBB19_1090
.LBB19_18:
	s_or_b64 exec, exec, s[2:3]
	s_and_saveexec_b64 s[2:3], s[0:1]
.LBB19_19:
	v_lshl_add_u32 v5, v5, 8, v4
	ds_write_b32 v5, v11
.LBB19_20:
	s_or_b64 exec, exec, s[2:3]
	v_add_u32_e32 v5, 32, v1
	v_cmp_le_u32_e32 vcc, v0, v5
	s_mov_b64 s[0:1], 0
	s_and_saveexec_b64 s[2:3], vcc
	s_xor_b64 s[2:3], exec, s[2:3]
	s_cbranch_execnz .LBB19_1091
; %bb.21:
	s_or_saveexec_b64 s[2:3], s[2:3]
	v_mov_b32_e32 v11, 0
	s_xor_b64 exec, exec, s[2:3]
	s_cbranch_execnz .LBB19_1092
.LBB19_22:
	s_or_b64 exec, exec, s[2:3]
	s_and_saveexec_b64 s[2:3], s[0:1]
.LBB19_23:
	v_lshl_add_u32 v4, v5, 8, v4
	ds_write_b32 v4, v11
.LBB19_24:
	s_or_b64 exec, exec, s[2:3]
	v_add_u32_e32 v4, 48, v1
	v_cmp_le_u32_e32 vcc, v0, v4
	s_mov_b64 s[0:1], -1
	s_mov_b64 s[2:3], 0
	s_mov_b64 s[8:9], 0
	s_and_saveexec_b64 s[10:11], vcc
	s_xor_b64 s[10:11], exec, s[10:11]
; %bb.25:
	v_or_b32_e32 v5, v4, v0
	v_cmp_gt_u32_e32 vcc, 64, v5
	s_and_b64 s[8:9], vcc, exec
	s_xor_b64 s[0:1], exec, -1
; %bb.26:
	s_or_b64 exec, exec, s[10:11]
	v_lshl_add_u32 v5, v4, 6, v0
	s_and_b64 vcc, exec, s[2:3]
	s_cbranch_vccnz .LBB19_28
	s_branch .LBB19_43
.LBB19_27:
	s_mov_b64 s[0:1], 0
	s_mov_b64 s[8:9], 0
                                        ; implicit-def: $vgpr5
                                        ; implicit-def: $vgpr2_vgpr3
                                        ; implicit-def: $vgpr4
	s_and_b64 vcc, exec, s[2:3]
	s_cbranch_vccz .LBB19_43
.LBB19_28:
	s_add_u32 s0, s20, 1
	s_addc_u32 s1, s21, 0
	s_lshl_b32 s2, s6, 6
	s_ashr_i32 s3, s2, 31
	s_mul_hi_u32 s10, s0, s2
	s_mul_i32 s3, s0, s3
	s_add_i32 s3, s10, s3
	s_mul_i32 s1, s1, s2
	s_add_i32 s1, s3, s1
	s_mul_i32 s0, s0, s2
	s_lshl_b64 s[0:1], s[0:1], 2
	s_add_u32 s0, s90, s0
	s_addc_u32 s1, s91, s1
	v_lshlrev_b32_e32 v4, 2, v0
	v_mov_b32_e32 v3, s1
	v_add_co_u32_e64 v2, s[0:1], s0, v4
	v_addc_co_u32_e64 v3, s[0:1], 0, v3, s[0:1]
	v_max_i32_e32 v11, v1, v0
	v_cmp_le_u32_e64 s[0:1], v0, v1
	v_cmp_le_i32_e64 s[2:3], s7, v11
	v_cmp_gt_i32_e32 vcc, s7, v0
	v_mov_b32_e32 v5, 0
	s_or_b64 s[0:1], s[2:3], s[0:1]
	s_mov_b64 s[2:3], 0
	s_and_saveexec_b64 s[10:11], s[0:1]
	s_xor_b64 s[10:11], exec, s[10:11]
	s_cbranch_execnz .LBB19_1093
; %bb.29:
	s_andn2_saveexec_b64 s[10:11], s[10:11]
	s_cbranch_execnz .LBB19_1094
.LBB19_30:
	s_or_b64 exec, exec, s[10:11]
	s_and_saveexec_b64 s[0:1], s[2:3]
.LBB19_31:
	v_lshl_add_u32 v11, v1, 8, v4
	ds_write_b32 v11, v5
.LBB19_32:
	s_or_b64 exec, exec, s[0:1]
	v_add_u32_e32 v5, 16, v1
	v_cmp_gt_u32_e64 s[0:1], v0, v5
	v_cmp_gt_i32_e64 s[2:3], s7, v5
	s_and_b64 s[0:1], s[0:1], s[2:3]
	s_and_b64 s[0:1], s[0:1], vcc
	s_xor_b64 s[0:1], s[0:1], -1
	s_mov_b64 s[2:3], 0
	s_and_saveexec_b64 s[10:11], s[0:1]
	s_xor_b64 s[10:11], exec, s[10:11]
	s_cbranch_execnz .LBB19_1095
; %bb.33:
	s_or_saveexec_b64 s[10:11], s[10:11]
	v_mov_b32_e32 v11, 0
	s_xor_b64 exec, exec, s[10:11]
	s_cbranch_execnz .LBB19_1096
.LBB19_34:
	s_or_b64 exec, exec, s[10:11]
	s_and_saveexec_b64 s[0:1], s[2:3]
.LBB19_35:
	v_lshl_add_u32 v5, v5, 8, v4
	ds_write_b32 v5, v11
.LBB19_36:
	s_or_b64 exec, exec, s[0:1]
	v_add_u32_e32 v5, 32, v1
	v_cmp_gt_u32_e64 s[0:1], v0, v5
	v_cmp_gt_i32_e64 s[2:3], s7, v5
	s_and_b64 s[0:1], s[0:1], s[2:3]
	s_and_b64 s[0:1], s[0:1], vcc
	s_xor_b64 s[0:1], s[0:1], -1
	s_mov_b64 s[2:3], 0
	s_and_saveexec_b64 s[10:11], s[0:1]
	s_xor_b64 s[10:11], exec, s[10:11]
	s_cbranch_execnz .LBB19_1097
; %bb.37:
	s_or_saveexec_b64 s[10:11], s[10:11]
	v_mov_b32_e32 v11, 0
	s_xor_b64 exec, exec, s[10:11]
	s_cbranch_execnz .LBB19_1098
.LBB19_38:
	s_or_b64 exec, exec, s[10:11]
	s_and_saveexec_b64 s[0:1], s[2:3]
.LBB19_39:
	v_lshl_add_u32 v4, v5, 8, v4
	ds_write_b32 v4, v11
.LBB19_40:
	s_or_b64 exec, exec, s[0:1]
	v_add_u32_e32 v4, 48, v1
	v_cmp_gt_u32_e64 s[0:1], v0, v4
	v_cmp_gt_i32_e64 s[2:3], s7, v4
	s_and_b64 s[0:1], s[0:1], s[2:3]
	s_and_b64 s[2:3], s[0:1], vcc
	s_mov_b64 s[0:1], -1
	s_xor_b64 s[10:11], s[2:3], -1
	s_and_saveexec_b64 s[2:3], s[10:11]
; %bb.41:
	v_or_b32_e32 v5, v4, v0
	v_cmp_gt_u32_e32 vcc, 64, v5
	s_andn2_b64 s[0:1], s[8:9], exec
	s_and_b64 s[8:9], vcc, exec
	s_or_b64 s[8:9], s[0:1], s[8:9]
	s_xor_b64 s[0:1], exec, -1
; %bb.42:
	s_or_b64 exec, exec, s[2:3]
	v_lshl_add_u32 v5, v4, 6, v0
.LBB19_43:
	v_mov_b32_e32 v11, 0
	s_and_saveexec_b64 s[2:3], s[0:1]
	s_cbranch_execnz .LBB19_1065
; %bb.44:
	s_or_b64 exec, exec, s[2:3]
	s_and_saveexec_b64 s[0:1], s[8:9]
.LBB19_45:
	v_lshlrev_b32_e32 v2, 2, v5
	ds_write_b32 v2, v11
.LBB19_46:
	s_or_b64 exec, exec, s[0:1]
	s_cmp_lt_i32 s6, 5
	s_cselect_b64 s[0:1], -1, 0
	s_or_b64 s[22:23], s[0:1], s[18:19]
	s_and_b64 vcc, exec, s[22:23]
	s_waitcnt vmcnt(0) lgkmcnt(0)
	s_barrier
	s_cbranch_vccnz .LBB19_1022
; %bb.47:
	v_or_b32_e32 v2, v0, v1
	v_cmp_eq_u32_e32 vcc, 0, v2
	s_and_saveexec_b64 s[0:1], vcc
; %bb.48:
	v_mov_b32_e32 v2, 1.0
	v_mov_b32_e32 v3, 0
	ds_write2_b32 v3, v2, v2 offset1:65
; %bb.49:
	s_or_b64 exec, exec, s[0:1]
	v_lshl_add_u32 v4, v1, 6, v0
	v_and_b32_e32 v12, 1, v0
	v_lshrrev_b32_e32 v5, 1, v4
	v_lshlrev_b32_e32 v2, 2, v12
	v_cmp_lt_u32_e64 s[2:3], 3, v4
	v_cmp_gt_u32_e64 s[0:1], 4, v4
	v_lshl_or_b32 v2, v5, 8, v2
	v_mov_b32_e32 v11, 0
	s_waitcnt lgkmcnt(0)
	s_barrier
	s_and_saveexec_b64 s[10:11], s[0:1]
	s_cbranch_execz .LBB19_53
; %bb.50:
	v_mul_u32_u24_e32 v3, 0x104, v5
	ds_read_b32 v13, v2 offset:8
	ds_read_b32 v3, v3
	v_mov_b32_e32 v11, 0
	v_cmp_gt_u32_e64 s[8:9], 2, v4
	s_waitcnt lgkmcnt(0)
	v_fma_f32 v3, v13, v3, 0
	s_and_saveexec_b64 s[12:13], s[8:9]
	s_cbranch_execz .LBB19_52
; %bb.51:
	v_lshlrev_b32_e32 v13, 2, v0
	ds_read_b32 v13, v13 offset:264
	ds_read_b32 v11, v11 offset:4
	s_waitcnt lgkmcnt(0)
	v_fmac_f32_e32 v3, v13, v11
.LBB19_52:
	s_or_b64 exec, exec, s[12:13]
	v_xor_b32_e32 v11, 0x80000000, v3
.LBB19_53:
	s_or_b64 exec, exec, s[10:11]
	v_mov_b32_e32 v3, 0x4000
	v_cmp_eq_u32_e64 s[8:9], 0, v12
	s_xor_b64 s[10:11], s[2:3], -1
	v_lshl_add_u32 v3, v5, 2, v3
	s_and_b64 s[28:29], s[8:9], s[10:11]
	s_and_saveexec_b64 s[2:3], s[28:29]
; %bb.54:
	ds_write_b32 v3, v11
; %bb.55:
	s_or_b64 exec, exec, s[2:3]
	v_cmp_ne_u32_e64 s[2:3], 0, v12
	s_and_b64 s[26:27], s[2:3], s[10:11]
	s_waitcnt lgkmcnt(0)
	s_barrier
	s_and_saveexec_b64 s[2:3], s[26:27]
	s_cbranch_execz .LBB19_57
; %bb.56:
	v_mov_b32_e32 v12, 0
	ds_read_b32 v12, v12 offset:524
	ds_read_b32 v13, v3
	s_waitcnt lgkmcnt(0)
	v_fmac_f32_e32 v11, v12, v13
.LBB19_57:
	s_or_b64 exec, exec, s[2:3]
	s_barrier
	s_and_saveexec_b64 s[2:3], s[26:27]
; %bb.58:
	ds_write_b32 v3, v11
; %bb.59:
	s_or_b64 exec, exec, s[2:3]
	s_waitcnt lgkmcnt(0)
	s_barrier
	s_barrier
	s_and_saveexec_b64 s[2:3], s[0:1]
; %bb.60:
	v_xor_b32_e32 v11, 0x80000000, v11
	ds_write_b32 v2, v11 offset:8
; %bb.61:
	s_or_b64 exec, exec, s[2:3]
	s_waitcnt lgkmcnt(0)
	s_barrier
	s_barrier
	s_and_saveexec_b64 s[2:3], vcc
; %bb.62:
	v_mov_b32_e32 v11, 1.0
	v_mov_b32_e32 v12, 0
	ds_write2_b32 v12, v11, v11 offset0:130 offset1:195
; %bb.63:
	s_or_b64 exec, exec, s[2:3]
	v_and_b32_e32 v14, 3, v0
	v_lshrrev_b32_e32 v15, 2, v4
	v_lshlrev_b32_e32 v12, 2, v14
	v_cmp_lt_u32_e64 s[8:9], 15, v4
	v_cmp_gt_u32_e64 s[2:3], 16, v4
	v_lshl_or_b32 v11, v15, 8, v12
	v_mov_b32_e32 v16, 0
	s_waitcnt lgkmcnt(0)
	s_barrier
	s_and_saveexec_b64 s[12:13], s[2:3]
	s_cbranch_execz .LBB19_69
; %bb.64:
	v_mul_u32_u24_e32 v16, 0x104, v15
	ds_read_b32 v13, v11 offset:16
	ds_read_b32 v17, v16
	v_cmp_gt_u32_e64 s[10:11], 12, v4
	s_waitcnt lgkmcnt(0)
	v_fma_f32 v13, v13, v17, 0
	s_and_saveexec_b64 s[14:15], s[10:11]
	s_cbranch_execnz .LBB19_1110
; %bb.65:
	s_or_b64 exec, exec, s[14:15]
	v_cmp_gt_u32_e64 s[10:11], 8, v4
	s_and_saveexec_b64 s[14:15], s[10:11]
	s_cbranch_execnz .LBB19_1111
.LBB19_66:
	s_or_b64 exec, exec, s[14:15]
	v_cmp_gt_u32_e64 s[10:11], 4, v4
	s_and_saveexec_b64 s[14:15], s[10:11]
	s_cbranch_execz .LBB19_68
.LBB19_67:
	v_lshlrev_b32_e32 v16, 2, v0
	v_mov_b32_e32 v17, 0
	ds_read_b32 v16, v16 offset:784
	ds_read_b32 v17, v17 offset:12
	s_waitcnt lgkmcnt(0)
	v_fmac_f32_e32 v13, v16, v17
.LBB19_68:
	s_or_b64 exec, exec, s[14:15]
	v_xor_b32_e32 v16, 0x80000000, v13
.LBB19_69:
	s_or_b64 exec, exec, s[12:13]
	v_mov_b32_e32 v13, 0x4000
	v_cmp_eq_u32_e64 s[10:11], 0, v14
	s_xor_b64 s[12:13], s[8:9], -1
	v_lshl_add_u32 v13, v15, 2, v13
	s_and_b64 s[34:35], s[10:11], s[12:13]
	s_and_saveexec_b64 s[8:9], s[34:35]
; %bb.70:
	ds_write_b32 v13, v16
; %bb.71:
	s_or_b64 exec, exec, s[8:9]
	v_cmp_ne_u32_e64 s[8:9], 0, v14
	s_and_b64 s[36:37], s[8:9], s[12:13]
	s_waitcnt lgkmcnt(0)
	s_barrier
	s_and_saveexec_b64 s[8:9], s[36:37]
	s_cbranch_execz .LBB19_73
; %bb.72:
	ds_read_b32 v17, v12 offset:1040
	ds_read_b32 v18, v13
	s_waitcnt lgkmcnt(0)
	v_fmac_f32_e32 v16, v17, v18
.LBB19_73:
	s_or_b64 exec, exec, s[8:9]
	v_cmp_eq_u32_e64 s[8:9], 1, v14
	s_and_b64 s[38:39], s[8:9], s[12:13]
	s_barrier
	s_and_saveexec_b64 s[8:9], s[38:39]
; %bb.74:
	ds_write_b32 v13, v16
; %bb.75:
	s_or_b64 exec, exec, s[8:9]
	v_cmp_lt_u32_e64 s[8:9], 1, v14
	s_and_b64 s[40:41], s[8:9], s[12:13]
	s_waitcnt lgkmcnt(0)
	s_barrier
	s_and_saveexec_b64 s[8:9], s[40:41]
	s_cbranch_execz .LBB19_77
; %bb.76:
	ds_read_b32 v17, v12 offset:1296
	ds_read_b32 v18, v13
	s_waitcnt lgkmcnt(0)
	v_fmac_f32_e32 v16, v17, v18
.LBB19_77:
	s_or_b64 exec, exec, s[8:9]
	v_cmp_eq_u32_e64 s[8:9], 2, v14
	s_and_b64 s[42:43], s[8:9], s[12:13]
	s_barrier
	s_and_saveexec_b64 s[8:9], s[42:43]
; %bb.78:
	ds_write_b32 v13, v16
; %bb.79:
	s_or_b64 exec, exec, s[8:9]
	v_cmp_eq_u32_e64 s[8:9], 3, v14
	s_and_b64 s[30:31], s[8:9], s[12:13]
	s_waitcnt lgkmcnt(0)
	s_barrier
	s_and_saveexec_b64 s[8:9], s[30:31]
	s_cbranch_execz .LBB19_81
; %bb.80:
	v_mov_b32_e32 v17, 0
	ds_read_b32 v17, v17 offset:1564
	ds_read_b32 v18, v13
	s_waitcnt lgkmcnt(0)
	v_fmac_f32_e32 v16, v17, v18
.LBB19_81:
	s_or_b64 exec, exec, s[8:9]
	s_barrier
	s_and_saveexec_b64 s[8:9], s[30:31]
; %bb.82:
	ds_write_b32 v13, v16
; %bb.83:
	s_or_b64 exec, exec, s[8:9]
	s_waitcnt lgkmcnt(0)
	s_barrier
	s_barrier
	s_and_saveexec_b64 s[8:9], s[2:3]
; %bb.84:
	v_xor_b32_e32 v16, 0x80000000, v16
	ds_write_b32 v11, v16 offset:16
; %bb.85:
	s_or_b64 exec, exec, s[8:9]
	s_waitcnt lgkmcnt(0)
	s_barrier
	s_barrier
	s_and_saveexec_b64 s[8:9], vcc
; %bb.86:
	s_movk_i32 s10, 0x400
	v_mov_b32_e32 v16, 1.0
	v_add_u32_e64 v17, s10, 0
	ds_write2_b32 v17, v16, v16 offset0:4 offset1:69
; %bb.87:
	s_or_b64 exec, exec, s[8:9]
	v_mov_b32_e32 v16, 0
	s_waitcnt lgkmcnt(0)
	s_barrier
	s_and_saveexec_b64 s[10:11], s[0:1]
	s_cbranch_execz .LBB19_91
; %bb.88:
	v_mul_u32_u24_e32 v16, 0x104, v5
	ds_read_b32 v18, v2 offset:1048
	ds_read_b32 v16, v16 offset:1040
	v_mov_b32_e32 v17, 0
	v_cmp_gt_u32_e64 s[8:9], 2, v4
	s_waitcnt lgkmcnt(0)
	v_fma_f32 v16, v18, v16, 0
	s_and_saveexec_b64 s[12:13], s[8:9]
	s_cbranch_execz .LBB19_90
; %bb.89:
	v_lshlrev_b32_e32 v18, 2, v0
	ds_read_b32 v18, v18 offset:1304
	ds_read_b32 v17, v17 offset:1044
	s_waitcnt lgkmcnt(0)
	v_fmac_f32_e32 v16, v18, v17
.LBB19_90:
	s_or_b64 exec, exec, s[12:13]
	v_xor_b32_e32 v16, 0x80000000, v16
.LBB19_91:
	s_or_b64 exec, exec, s[10:11]
	s_and_saveexec_b64 s[8:9], s[28:29]
; %bb.92:
	ds_write_b32 v3, v16
; %bb.93:
	s_or_b64 exec, exec, s[8:9]
	s_waitcnt lgkmcnt(0)
	s_barrier
	s_and_saveexec_b64 s[8:9], s[26:27]
	s_cbranch_execz .LBB19_95
; %bb.94:
	v_mov_b32_e32 v17, 0
	ds_read_b32 v17, v17 offset:1564
	ds_read_b32 v18, v3
	s_waitcnt lgkmcnt(0)
	v_fmac_f32_e32 v16, v17, v18
.LBB19_95:
	s_or_b64 exec, exec, s[8:9]
	s_barrier
	s_and_saveexec_b64 s[8:9], s[26:27]
; %bb.96:
	ds_write_b32 v3, v16
; %bb.97:
	s_or_b64 exec, exec, s[8:9]
	s_waitcnt lgkmcnt(0)
	s_barrier
	s_barrier
	s_and_saveexec_b64 s[8:9], s[0:1]
; %bb.98:
	v_xor_b32_e32 v16, 0x80000000, v16
	ds_write_b32 v2, v16 offset:1048
; %bb.99:
	s_or_b64 exec, exec, s[8:9]
	s_waitcnt lgkmcnt(0)
	s_barrier
	s_barrier
	s_and_saveexec_b64 s[8:9], vcc
; %bb.100:
	s_movk_i32 s10, 0x400
	v_mov_b32_e32 v16, 1.0
	v_add_u32_e64 v17, s10, 0
	ds_write2_b32 v17, v16, v16 offset0:134 offset1:199
; %bb.101:
	s_or_b64 exec, exec, s[8:9]
	v_and_b32_e32 v19, 7, v0
	v_lshrrev_b32_e32 v20, 3, v4
	v_lshlrev_b32_e32 v17, 2, v19
	v_cmp_lt_u32_e64 s[8:9], 63, v4
	v_cmp_gt_u32_e64 s[14:15], 64, v4
	v_lshl_or_b32 v16, v20, 8, v17
	v_mov_b32_e32 v21, 0
	s_waitcnt lgkmcnt(0)
	s_barrier
	s_and_saveexec_b64 s[12:13], s[14:15]
	s_cbranch_execz .LBB19_111
; %bb.102:
	v_mul_u32_u24_e32 v21, 0x104, v20
	ds_read_b32 v18, v16 offset:32
	ds_read_b32 v22, v21
	v_cmp_gt_u32_e64 s[10:11], 56, v4
	s_waitcnt lgkmcnt(0)
	v_fma_f32 v18, v18, v22, 0
	s_and_saveexec_b64 s[16:17], s[10:11]
	s_cbranch_execnz .LBB19_1112
; %bb.103:
	s_or_b64 exec, exec, s[16:17]
	v_cmp_gt_u32_e64 s[10:11], 48, v4
	s_and_saveexec_b64 s[16:17], s[10:11]
	s_cbranch_execnz .LBB19_1113
.LBB19_104:
	s_or_b64 exec, exec, s[16:17]
	v_cmp_gt_u32_e64 s[10:11], 40, v4
	s_and_saveexec_b64 s[16:17], s[10:11]
	s_cbranch_execnz .LBB19_1114
.LBB19_105:
	s_or_b64 exec, exec, s[16:17]
	v_cmp_gt_u32_e64 s[10:11], 32, v4
	s_and_saveexec_b64 s[16:17], s[10:11]
	s_cbranch_execnz .LBB19_1115
.LBB19_106:
	s_or_b64 exec, exec, s[16:17]
	v_cmp_gt_u32_e64 s[10:11], 24, v4
	s_and_saveexec_b64 s[16:17], s[10:11]
	s_cbranch_execnz .LBB19_1116
.LBB19_107:
	s_or_b64 exec, exec, s[16:17]
	v_cmp_gt_u32_e64 s[10:11], 16, v4
	s_and_saveexec_b64 s[16:17], s[10:11]
	s_cbranch_execnz .LBB19_1117
.LBB19_108:
	s_or_b64 exec, exec, s[16:17]
	v_cmp_gt_u32_e64 s[10:11], 8, v4
	s_and_saveexec_b64 s[16:17], s[10:11]
	s_cbranch_execz .LBB19_110
.LBB19_109:
	v_lshlrev_b32_e32 v21, 2, v0
	v_mov_b32_e32 v22, 0
	ds_read_b32 v21, v21 offset:1824
	ds_read_b32 v22, v22 offset:28
	s_waitcnt lgkmcnt(0)
	v_fmac_f32_e32 v18, v21, v22
.LBB19_110:
	s_or_b64 exec, exec, s[16:17]
	v_xor_b32_e32 v21, 0x80000000, v18
.LBB19_111:
	s_or_b64 exec, exec, s[12:13]
	v_mov_b32_e32 v18, 0x4000
	v_cmp_eq_u32_e64 s[10:11], 0, v19
	s_xor_b64 s[12:13], s[8:9], -1
	v_lshl_add_u32 v18, v20, 2, v18
	s_and_b64 s[44:45], s[10:11], s[12:13]
	s_and_saveexec_b64 s[8:9], s[44:45]
; %bb.112:
	ds_write_b32 v18, v21
; %bb.113:
	s_or_b64 exec, exec, s[8:9]
	v_cmp_ne_u32_e64 s[8:9], 0, v19
	s_and_b64 s[46:47], s[8:9], s[12:13]
	s_waitcnt lgkmcnt(0)
	s_barrier
	s_and_saveexec_b64 s[8:9], s[46:47]
	s_cbranch_execz .LBB19_115
; %bb.114:
	ds_read_b32 v22, v17 offset:2080
	ds_read_b32 v23, v18
	s_waitcnt lgkmcnt(0)
	v_fmac_f32_e32 v21, v22, v23
.LBB19_115:
	s_or_b64 exec, exec, s[8:9]
	v_cmp_eq_u32_e64 s[8:9], 1, v19
	s_and_b64 s[48:49], s[8:9], s[12:13]
	s_barrier
	s_and_saveexec_b64 s[8:9], s[48:49]
; %bb.116:
	ds_write_b32 v18, v21
; %bb.117:
	s_or_b64 exec, exec, s[8:9]
	v_cmp_lt_u32_e64 s[8:9], 1, v19
	s_and_b64 s[50:51], s[8:9], s[12:13]
	s_waitcnt lgkmcnt(0)
	s_barrier
	s_and_saveexec_b64 s[8:9], s[50:51]
	s_cbranch_execz .LBB19_119
; %bb.118:
	ds_read_b32 v22, v17 offset:2336
	ds_read_b32 v23, v18
	s_waitcnt lgkmcnt(0)
	v_fmac_f32_e32 v21, v22, v23
.LBB19_119:
	s_or_b64 exec, exec, s[8:9]
	v_cmp_eq_u32_e64 s[8:9], 2, v19
	s_and_b64 s[54:55], s[8:9], s[12:13]
	s_barrier
	s_and_saveexec_b64 s[8:9], s[54:55]
; %bb.120:
	ds_write_b32 v18, v21
; %bb.121:
	s_or_b64 exec, exec, s[8:9]
	v_cmp_lt_u32_e64 s[8:9], 2, v19
	;; [unrolled: 21-line block ×5, first 2 shown]
	s_and_b64 s[68:69], s[8:9], s[12:13]
	s_waitcnt lgkmcnt(0)
	s_barrier
	s_and_saveexec_b64 s[8:9], s[68:69]
	s_cbranch_execz .LBB19_135
; %bb.134:
	ds_read_b32 v22, v17 offset:3360
	ds_read_b32 v23, v18
	s_waitcnt lgkmcnt(0)
	v_fmac_f32_e32 v21, v22, v23
.LBB19_135:
	s_or_b64 exec, exec, s[8:9]
	v_cmp_eq_u32_e64 s[8:9], 6, v19
	s_and_b64 s[70:71], s[8:9], s[12:13]
	s_barrier
	s_and_saveexec_b64 s[8:9], s[70:71]
; %bb.136:
	ds_write_b32 v18, v21
; %bb.137:
	s_or_b64 exec, exec, s[8:9]
	v_cmp_eq_u32_e64 s[8:9], 7, v19
	s_and_b64 s[52:53], s[8:9], s[12:13]
	s_waitcnt lgkmcnt(0)
	s_barrier
	s_and_saveexec_b64 s[8:9], s[52:53]
	s_cbranch_execz .LBB19_139
; %bb.138:
	v_mov_b32_e32 v22, 0
	ds_read_b32 v22, v22 offset:3644
	ds_read_b32 v23, v18
	s_waitcnt lgkmcnt(0)
	v_fmac_f32_e32 v21, v22, v23
.LBB19_139:
	s_or_b64 exec, exec, s[8:9]
	s_barrier
	s_and_saveexec_b64 s[8:9], s[52:53]
; %bb.140:
	ds_write_b32 v18, v21
; %bb.141:
	s_or_b64 exec, exec, s[8:9]
	s_waitcnt lgkmcnt(0)
	s_barrier
	s_barrier
	s_and_saveexec_b64 s[8:9], s[14:15]
; %bb.142:
	v_xor_b32_e32 v21, 0x80000000, v21
	ds_write_b32 v16, v21 offset:32
; %bb.143:
	s_or_b64 exec, exec, s[8:9]
	s_waitcnt lgkmcnt(0)
	s_barrier
	s_barrier
	s_and_saveexec_b64 s[8:9], vcc
; %bb.144:
	s_movk_i32 s10, 0x800
	v_mov_b32_e32 v21, 1.0
	v_add_u32_e64 v22, s10, 0
	ds_write2_b32 v22, v21, v21 offset0:8 offset1:73
; %bb.145:
	s_or_b64 exec, exec, s[8:9]
	v_mov_b32_e32 v21, 0
	s_waitcnt lgkmcnt(0)
	s_barrier
	s_and_saveexec_b64 s[10:11], s[0:1]
	s_cbranch_execz .LBB19_149
; %bb.146:
	v_mul_u32_u24_e32 v21, 0x104, v5
	ds_read_b32 v23, v2 offset:2088
	ds_read_b32 v21, v21 offset:2080
	v_mov_b32_e32 v22, 0
	v_cmp_gt_u32_e64 s[8:9], 2, v4
	s_waitcnt lgkmcnt(0)
	v_fma_f32 v21, v23, v21, 0
	s_and_saveexec_b64 s[12:13], s[8:9]
	s_cbranch_execz .LBB19_148
; %bb.147:
	v_lshlrev_b32_e32 v23, 2, v0
	ds_read_b32 v23, v23 offset:2344
	ds_read_b32 v22, v22 offset:2084
	s_waitcnt lgkmcnt(0)
	v_fmac_f32_e32 v21, v23, v22
.LBB19_148:
	s_or_b64 exec, exec, s[12:13]
	v_xor_b32_e32 v21, 0x80000000, v21
.LBB19_149:
	s_or_b64 exec, exec, s[10:11]
	s_and_saveexec_b64 s[8:9], s[28:29]
; %bb.150:
	ds_write_b32 v3, v21
; %bb.151:
	s_or_b64 exec, exec, s[8:9]
	s_waitcnt lgkmcnt(0)
	s_barrier
	s_and_saveexec_b64 s[8:9], s[26:27]
	s_cbranch_execz .LBB19_153
; %bb.152:
	v_mov_b32_e32 v22, 0
	ds_read_b32 v22, v22 offset:2604
	ds_read_b32 v23, v3
	s_waitcnt lgkmcnt(0)
	v_fmac_f32_e32 v21, v22, v23
.LBB19_153:
	s_or_b64 exec, exec, s[8:9]
	s_barrier
	s_and_saveexec_b64 s[8:9], s[26:27]
; %bb.154:
	ds_write_b32 v3, v21
; %bb.155:
	s_or_b64 exec, exec, s[8:9]
	s_waitcnt lgkmcnt(0)
	s_barrier
	s_barrier
	s_and_saveexec_b64 s[8:9], s[0:1]
; %bb.156:
	v_xor_b32_e32 v21, 0x80000000, v21
	ds_write_b32 v2, v21 offset:2088
; %bb.157:
	s_or_b64 exec, exec, s[8:9]
	s_waitcnt lgkmcnt(0)
	s_barrier
	s_barrier
	s_and_saveexec_b64 s[8:9], vcc
; %bb.158:
	s_movk_i32 s10, 0x800
	v_mov_b32_e32 v21, 1.0
	v_add_u32_e64 v22, s10, 0
	ds_write2_b32 v22, v21, v21 offset0:138 offset1:203
; %bb.159:
	s_or_b64 exec, exec, s[8:9]
	v_mov_b32_e32 v21, 0
	s_waitcnt lgkmcnt(0)
	s_barrier
	s_and_saveexec_b64 s[10:11], s[2:3]
	s_cbranch_execz .LBB19_165
; %bb.160:
	v_mul_u32_u24_e32 v22, 0x104, v15
	ds_read_b32 v21, v11 offset:2096
	ds_read_b32 v23, v22 offset:2080
	v_cmp_gt_u32_e64 s[8:9], 12, v4
	s_waitcnt lgkmcnt(0)
	v_fma_f32 v21, v21, v23, 0
	s_and_saveexec_b64 s[12:13], s[8:9]
	s_cbranch_execnz .LBB19_1118
; %bb.161:
	s_or_b64 exec, exec, s[12:13]
	v_cmp_gt_u32_e64 s[8:9], 8, v4
	s_and_saveexec_b64 s[12:13], s[8:9]
	s_cbranch_execnz .LBB19_1119
.LBB19_162:
	s_or_b64 exec, exec, s[12:13]
	v_cmp_gt_u32_e64 s[8:9], 4, v4
	s_and_saveexec_b64 s[12:13], s[8:9]
	s_cbranch_execz .LBB19_164
.LBB19_163:
	v_lshlrev_b32_e32 v22, 2, v0
	v_mov_b32_e32 v23, 0
	ds_read_b32 v22, v22 offset:2864
	ds_read_b32 v23, v23 offset:2092
	s_waitcnt lgkmcnt(0)
	v_fmac_f32_e32 v21, v22, v23
.LBB19_164:
	s_or_b64 exec, exec, s[12:13]
	v_xor_b32_e32 v21, 0x80000000, v21
.LBB19_165:
	s_or_b64 exec, exec, s[10:11]
	s_and_saveexec_b64 s[8:9], s[34:35]
; %bb.166:
	ds_write_b32 v13, v21
; %bb.167:
	s_or_b64 exec, exec, s[8:9]
	s_waitcnt lgkmcnt(0)
	s_barrier
	s_and_saveexec_b64 s[8:9], s[36:37]
	s_cbranch_execz .LBB19_169
; %bb.168:
	ds_read_b32 v22, v12 offset:3120
	ds_read_b32 v23, v13
	s_waitcnt lgkmcnt(0)
	v_fmac_f32_e32 v21, v22, v23
.LBB19_169:
	s_or_b64 exec, exec, s[8:9]
	s_barrier
	s_and_saveexec_b64 s[8:9], s[38:39]
; %bb.170:
	ds_write_b32 v13, v21
; %bb.171:
	s_or_b64 exec, exec, s[8:9]
	s_waitcnt lgkmcnt(0)
	s_barrier
	s_and_saveexec_b64 s[8:9], s[40:41]
	s_cbranch_execz .LBB19_173
; %bb.172:
	ds_read_b32 v22, v12 offset:3376
	ds_read_b32 v23, v13
	s_waitcnt lgkmcnt(0)
	v_fmac_f32_e32 v21, v22, v23
.LBB19_173:
	s_or_b64 exec, exec, s[8:9]
	s_barrier
	s_and_saveexec_b64 s[8:9], s[42:43]
; %bb.174:
	ds_write_b32 v13, v21
; %bb.175:
	s_or_b64 exec, exec, s[8:9]
	s_waitcnt lgkmcnt(0)
	s_barrier
	s_and_saveexec_b64 s[8:9], s[30:31]
	s_cbranch_execz .LBB19_177
; %bb.176:
	v_mov_b32_e32 v22, 0
	ds_read_b32 v22, v22 offset:3644
	ds_read_b32 v23, v13
	s_waitcnt lgkmcnt(0)
	v_fmac_f32_e32 v21, v22, v23
.LBB19_177:
	s_or_b64 exec, exec, s[8:9]
	s_barrier
	s_and_saveexec_b64 s[8:9], s[30:31]
; %bb.178:
	ds_write_b32 v13, v21
; %bb.179:
	s_or_b64 exec, exec, s[8:9]
	s_waitcnt lgkmcnt(0)
	s_barrier
	s_barrier
	s_and_saveexec_b64 s[8:9], s[2:3]
; %bb.180:
	v_xor_b32_e32 v21, 0x80000000, v21
	ds_write_b32 v11, v21 offset:2096
; %bb.181:
	s_or_b64 exec, exec, s[8:9]
	s_waitcnt lgkmcnt(0)
	s_barrier
	s_barrier
	s_and_saveexec_b64 s[8:9], vcc
; %bb.182:
	s_movk_i32 s10, 0xc00
	v_mov_b32_e32 v21, 1.0
	v_add_u32_e64 v22, s10, 0
	ds_write2_b32 v22, v21, v21 offset0:12 offset1:77
; %bb.183:
	s_or_b64 exec, exec, s[8:9]
	v_mov_b32_e32 v21, 0
	s_waitcnt lgkmcnt(0)
	s_barrier
	s_and_saveexec_b64 s[10:11], s[0:1]
	s_cbranch_execz .LBB19_187
; %bb.184:
	v_mul_u32_u24_e32 v21, 0x104, v5
	ds_read_b32 v23, v2 offset:3128
	ds_read_b32 v21, v21 offset:3120
	v_mov_b32_e32 v22, 0
	v_cmp_gt_u32_e64 s[8:9], 2, v4
	s_waitcnt lgkmcnt(0)
	v_fma_f32 v21, v23, v21, 0
	s_and_saveexec_b64 s[12:13], s[8:9]
	s_cbranch_execz .LBB19_186
; %bb.185:
	v_lshlrev_b32_e32 v23, 2, v0
	ds_read_b32 v23, v23 offset:3384
	ds_read_b32 v22, v22 offset:3124
	s_waitcnt lgkmcnt(0)
	v_fmac_f32_e32 v21, v23, v22
.LBB19_186:
	s_or_b64 exec, exec, s[12:13]
	v_xor_b32_e32 v21, 0x80000000, v21
.LBB19_187:
	s_or_b64 exec, exec, s[10:11]
	s_and_saveexec_b64 s[8:9], s[28:29]
; %bb.188:
	ds_write_b32 v3, v21
; %bb.189:
	s_or_b64 exec, exec, s[8:9]
	s_waitcnt lgkmcnt(0)
	s_barrier
	s_and_saveexec_b64 s[8:9], s[26:27]
	s_cbranch_execz .LBB19_191
; %bb.190:
	v_mov_b32_e32 v22, 0
	ds_read_b32 v22, v22 offset:3644
	ds_read_b32 v23, v3
	s_waitcnt lgkmcnt(0)
	v_fmac_f32_e32 v21, v22, v23
.LBB19_191:
	s_or_b64 exec, exec, s[8:9]
	s_barrier
	s_and_saveexec_b64 s[8:9], s[26:27]
; %bb.192:
	ds_write_b32 v3, v21
; %bb.193:
	s_or_b64 exec, exec, s[8:9]
	s_waitcnt lgkmcnt(0)
	s_barrier
	s_barrier
	s_and_saveexec_b64 s[8:9], s[0:1]
; %bb.194:
	v_xor_b32_e32 v21, 0x80000000, v21
	ds_write_b32 v2, v21 offset:3128
; %bb.195:
	s_or_b64 exec, exec, s[8:9]
	s_waitcnt lgkmcnt(0)
	s_barrier
	s_barrier
	s_and_saveexec_b64 s[8:9], vcc
; %bb.196:
	s_movk_i32 s10, 0xc00
	v_mov_b32_e32 v21, 1.0
	v_add_u32_e64 v22, s10, 0
	ds_write2_b32 v22, v21, v21 offset0:142 offset1:207
; %bb.197:
	s_or_b64 exec, exec, s[8:9]
	v_lshrrev_b32_e32 v25, 4, v4
	v_and_b32_e32 v22, 15, v0
	s_movk_i32 s8, 0xff
	v_lshlrev_b32_e32 v24, 6, v25
	v_cmp_lt_u32_e64 s[10:11], s8, v4
	s_movk_i32 s8, 0x100
	v_or_b32_e32 v21, v24, v22
	v_cmp_gt_u32_e64 s[8:9], s8, v4
	v_lshlrev_b32_e32 v21, 2, v21
	v_mov_b32_e32 v26, 0
	s_waitcnt lgkmcnt(0)
	s_barrier
	s_and_saveexec_b64 s[16:17], s[8:9]
	s_cbranch_execz .LBB19_225
; %bb.198:
	v_mul_u32_u24_e32 v26, 0x104, v25
	ds_read_b32 v23, v21 offset:64
	ds_read_b32 v27, v26
	s_movk_i32 s12, 0xf0
	v_cmp_gt_u32_e64 s[12:13], s12, v4
	s_waitcnt lgkmcnt(0)
	v_fma_f32 v23, v23, v27, 0
	s_and_saveexec_b64 s[72:73], s[12:13]
	s_cbranch_execz .LBB19_200
; %bb.199:
	v_lshlrev_b32_e32 v27, 2, v25
	v_sub_u32_e32 v27, v26, v27
	v_lshl_add_u32 v27, v22, 2, v27
	ds_read_b32 v27, v27 offset:320
	ds_read_b32 v28, v26 offset:4
	s_waitcnt lgkmcnt(0)
	v_fmac_f32_e32 v23, v27, v28
.LBB19_200:
	s_or_b64 exec, exec, s[72:73]
	s_movk_i32 s12, 0xe0
	v_cmp_gt_u32_e64 s[12:13], s12, v4
	s_and_saveexec_b64 s[72:73], s[12:13]
	s_cbranch_execz .LBB19_202
; %bb.201:
	v_lshlrev_b32_e32 v27, 2, v25
	v_sub_u32_e32 v27, v26, v27
	v_lshl_add_u32 v27, v22, 2, v27
	ds_read_b32 v27, v27 offset:576
	ds_read_b32 v28, v26 offset:8
	s_waitcnt lgkmcnt(0)
	v_fmac_f32_e32 v23, v27, v28
.LBB19_202:
	s_or_b64 exec, exec, s[72:73]
	s_movk_i32 s12, 0xd0
	v_cmp_gt_u32_e64 s[12:13], s12, v4
	;; [unrolled: 14-line block ×7, first 2 shown]
	s_and_saveexec_b64 s[72:73], s[12:13]
	s_cbranch_execz .LBB19_214
; %bb.213:
	ds_read_b32 v27, v21 offset:2112
	ds_read_b32 v28, v26 offset:32
	s_waitcnt lgkmcnt(0)
	v_fmac_f32_e32 v23, v27, v28
.LBB19_214:
	s_or_b64 exec, exec, s[72:73]
	s_movk_i32 s12, 0x70
	v_cmp_gt_u32_e64 s[12:13], s12, v4
	s_and_saveexec_b64 s[72:73], s[12:13]
	s_cbranch_execz .LBB19_216
; %bb.215:
	v_lshlrev_b32_e32 v27, 2, v25
	v_sub_u32_e32 v27, v26, v27
	v_lshl_add_u32 v27, v22, 2, v27
	ds_read_b32 v27, v27 offset:2368
	ds_read_b32 v28, v26 offset:36
	s_waitcnt lgkmcnt(0)
	v_fmac_f32_e32 v23, v27, v28
.LBB19_216:
	s_or_b64 exec, exec, s[72:73]
	s_movk_i32 s12, 0x60
	v_cmp_gt_u32_e64 s[12:13], s12, v4
	s_and_saveexec_b64 s[72:73], s[12:13]
	s_cbranch_execz .LBB19_218
; %bb.217:
	v_lshlrev_b32_e32 v27, 2, v22
	v_lshl_add_u32 v27, v24, 2, v27
	ds_read_b32 v27, v27 offset:2624
	ds_read_b32 v28, v26 offset:40
	s_waitcnt lgkmcnt(0)
	v_fmac_f32_e32 v23, v27, v28
.LBB19_218:
	s_or_b64 exec, exec, s[72:73]
	s_movk_i32 s12, 0x50
	v_cmp_gt_u32_e64 s[12:13], s12, v4
	s_and_saveexec_b64 s[72:73], s[12:13]
	s_cbranch_execnz .LBB19_1120
; %bb.219:
	s_or_b64 exec, exec, s[72:73]
	v_cmp_gt_u32_e64 s[12:13], 64, v4
	s_and_saveexec_b64 s[72:73], s[12:13]
	s_cbranch_execnz .LBB19_1121
.LBB19_220:
	s_or_b64 exec, exec, s[72:73]
	v_cmp_gt_u32_e64 s[12:13], 48, v4
	s_and_saveexec_b64 s[72:73], s[12:13]
	s_cbranch_execnz .LBB19_1122
.LBB19_221:
	s_or_b64 exec, exec, s[72:73]
	v_cmp_gt_u32_e64 s[12:13], 32, v4
	s_and_saveexec_b64 s[72:73], s[12:13]
	s_cbranch_execnz .LBB19_1123
.LBB19_222:
	s_or_b64 exec, exec, s[72:73]
	v_cmp_gt_u32_e64 s[12:13], 16, v4
	s_and_saveexec_b64 s[72:73], s[12:13]
	s_cbranch_execz .LBB19_224
.LBB19_223:
	v_lshlrev_b32_e32 v26, 2, v0
	v_mov_b32_e32 v27, 0
	ds_read_b32 v26, v26 offset:3904
	ds_read_b32 v27, v27 offset:60
	s_waitcnt lgkmcnt(0)
	v_fmac_f32_e32 v23, v26, v27
.LBB19_224:
	s_or_b64 exec, exec, s[72:73]
	v_xor_b32_e32 v26, 0x80000000, v23
.LBB19_225:
	s_or_b64 exec, exec, s[16:17]
	v_mov_b32_e32 v23, 0x4000
	v_lshl_add_u32 v23, v25, 2, v23
	v_cmp_eq_u32_e64 s[12:13], 0, v22
	s_xor_b64 s[16:17], s[10:11], -1
	s_and_b64 s[12:13], s[12:13], s[16:17]
	s_mov_b64 s[10:11], exec
                                        ; implicit-def: $vgpr34 : SGPR spill to VGPR lane
	v_writelane_b32 v34, s12, 0
	v_writelane_b32 v34, s13, 1
	s_and_b64 s[12:13], s[10:11], s[12:13]
	s_mov_b64 exec, s[12:13]
; %bb.226:
	ds_write_b32 v23, v26
; %bb.227:
	s_or_b64 exec, exec, s[10:11]
	v_cmp_ne_u32_e64 s[10:11], 0, v22
	s_waitcnt lgkmcnt(0)
	s_barrier
	s_and_b64 s[12:13], s[10:11], s[16:17]
	s_mov_b64 s[10:11], exec
	v_writelane_b32 v34, s12, 2
	v_writelane_b32 v34, s13, 3
	s_and_b64 s[12:13], s[10:11], s[12:13]
	s_mov_b64 exec, s[12:13]
	s_cbranch_execz .LBB19_229
; %bb.228:
	v_lshlrev_b32_e32 v27, 2, v22
	ds_read_b32 v27, v27 offset:4160
	ds_read_b32 v28, v23
	s_waitcnt lgkmcnt(0)
	v_fmac_f32_e32 v26, v27, v28
.LBB19_229:
	s_or_b64 exec, exec, s[10:11]
	v_cmp_eq_u32_e64 s[10:11], 1, v22
	s_barrier
	s_and_b64 s[12:13], s[10:11], s[16:17]
	s_mov_b64 s[10:11], exec
	v_writelane_b32 v34, s12, 4
	v_writelane_b32 v34, s13, 5
	s_and_b64 s[12:13], s[10:11], s[12:13]
	s_mov_b64 exec, s[12:13]
; %bb.230:
	ds_write_b32 v23, v26
; %bb.231:
	s_or_b64 exec, exec, s[10:11]
	v_cmp_lt_u32_e64 s[10:11], 1, v22
	s_waitcnt lgkmcnt(0)
	s_barrier
	s_and_b64 s[12:13], s[10:11], s[16:17]
	s_mov_b64 s[10:11], exec
	v_writelane_b32 v34, s12, 6
	v_writelane_b32 v34, s13, 7
	s_and_b64 s[12:13], s[10:11], s[12:13]
	s_mov_b64 exec, s[12:13]
	s_cbranch_execz .LBB19_233
; %bb.232:
	v_lshlrev_b32_e32 v27, 2, v22
	ds_read_b32 v27, v27 offset:4416
	ds_read_b32 v28, v23
	s_waitcnt lgkmcnt(0)
	v_fmac_f32_e32 v26, v27, v28
.LBB19_233:
	s_or_b64 exec, exec, s[10:11]
	v_cmp_eq_u32_e64 s[10:11], 2, v22
	s_barrier
	s_and_b64 s[12:13], s[10:11], s[16:17]
	s_mov_b64 s[10:11], exec
	v_writelane_b32 v34, s12, 8
	v_writelane_b32 v34, s13, 9
	s_and_b64 s[12:13], s[10:11], s[12:13]
	s_mov_b64 exec, s[12:13]
; %bb.234:
	ds_write_b32 v23, v26
; %bb.235:
	s_or_b64 exec, exec, s[10:11]
	v_cmp_lt_u32_e64 s[10:11], 2, v22
	;; [unrolled: 30-line block ×10, first 2 shown]
	s_and_b64 s[92:93], s[10:11], s[16:17]
	s_waitcnt lgkmcnt(0)
	s_barrier
	s_and_saveexec_b64 s[10:11], s[92:93]
	s_cbranch_execz .LBB19_269
; %bb.268:
	v_lshlrev_b32_e32 v27, 2, v22
	ds_read_b32 v27, v27 offset:6720
	ds_read_b32 v28, v23
	s_waitcnt lgkmcnt(0)
	v_fmac_f32_e32 v26, v27, v28
.LBB19_269:
	s_or_b64 exec, exec, s[10:11]
	v_cmp_eq_u32_e64 s[10:11], 11, v22
	s_and_b64 s[94:95], s[10:11], s[16:17]
	s_barrier
	s_and_saveexec_b64 s[10:11], s[94:95]
; %bb.270:
	ds_write_b32 v23, v26
; %bb.271:
	s_or_b64 exec, exec, s[10:11]
	v_cmp_lt_u32_e64 s[10:11], 11, v22
	s_and_b64 s[72:73], s[10:11], s[16:17]
	s_waitcnt lgkmcnt(0)
	s_barrier
	s_and_saveexec_b64 s[10:11], s[72:73]
	s_cbranch_execz .LBB19_273
; %bb.272:
	v_lshlrev_b32_e32 v27, 2, v22
	ds_read_b32 v27, v27 offset:6976
	ds_read_b32 v28, v23
	s_waitcnt lgkmcnt(0)
	v_fmac_f32_e32 v26, v27, v28
.LBB19_273:
	s_or_b64 exec, exec, s[10:11]
	v_cmp_eq_u32_e64 s[10:11], 12, v22
	s_and_b64 s[74:75], s[10:11], s[16:17]
	s_barrier
	s_and_saveexec_b64 s[10:11], s[74:75]
; %bb.274:
	ds_write_b32 v23, v26
; %bb.275:
	s_or_b64 exec, exec, s[10:11]
	v_cmp_lt_u32_e64 s[10:11], 12, v22
	;; [unrolled: 22-line block ×3, first 2 shown]
	s_and_b64 s[80:81], s[10:11], s[16:17]
	s_waitcnt lgkmcnt(0)
	s_barrier
	s_and_saveexec_b64 s[10:11], s[80:81]
	s_cbranch_execz .LBB19_281
; %bb.280:
	v_lshlrev_b32_e32 v27, 2, v22
	ds_read_b32 v27, v27 offset:7488
	ds_read_b32 v28, v23
	s_waitcnt lgkmcnt(0)
	v_fmac_f32_e32 v26, v27, v28
.LBB19_281:
	s_or_b64 exec, exec, s[10:11]
	v_cmp_eq_u32_e64 s[10:11], 14, v22
	s_and_b64 s[82:83], s[10:11], s[16:17]
	s_barrier
	s_and_saveexec_b64 s[10:11], s[82:83]
; %bb.282:
	ds_write_b32 v23, v26
; %bb.283:
	s_or_b64 exec, exec, s[10:11]
	v_cmp_eq_u32_e64 s[10:11], 15, v22
	s_and_b64 s[88:89], s[10:11], s[16:17]
	s_waitcnt lgkmcnt(0)
	s_barrier
	s_and_saveexec_b64 s[10:11], s[88:89]
	s_cbranch_execz .LBB19_285
; %bb.284:
	v_mov_b32_e32 v27, 0
	ds_read_b32 v27, v27 offset:7804
	ds_read_b32 v28, v23
	s_waitcnt lgkmcnt(0)
	v_fmac_f32_e32 v26, v27, v28
.LBB19_285:
	s_or_b64 exec, exec, s[10:11]
	s_barrier
	s_and_saveexec_b64 s[10:11], s[88:89]
; %bb.286:
	ds_write_b32 v23, v26
; %bb.287:
	s_or_b64 exec, exec, s[10:11]
	s_waitcnt lgkmcnt(0)
	s_barrier
	s_barrier
	s_and_saveexec_b64 s[10:11], s[8:9]
; %bb.288:
	v_xor_b32_e32 v26, 0x80000000, v26
	ds_write_b32 v21, v26 offset:64
; %bb.289:
	s_or_b64 exec, exec, s[10:11]
	s_waitcnt lgkmcnt(0)
	s_barrier
	s_barrier
	s_and_saveexec_b64 s[10:11], vcc
; %bb.290:
	s_movk_i32 s12, 0x1000
	v_mov_b32_e32 v26, 1.0
	v_add_u32_e64 v27, s12, 0
	ds_write2_b32 v27, v26, v26 offset0:16 offset1:81
; %bb.291:
	s_or_b64 exec, exec, s[10:11]
	v_mov_b32_e32 v26, 0
	s_waitcnt lgkmcnt(0)
	s_barrier
	s_and_saveexec_b64 s[12:13], s[0:1]
	s_cbranch_execz .LBB19_295
; %bb.292:
	v_mul_u32_u24_e32 v26, 0x104, v5
	ds_read_b32 v28, v2 offset:4168
	ds_read_b32 v26, v26 offset:4160
	v_mov_b32_e32 v27, 0
	v_cmp_gt_u32_e64 s[10:11], 2, v4
	s_waitcnt lgkmcnt(0)
	v_fma_f32 v26, v28, v26, 0
	s_and_saveexec_b64 s[16:17], s[10:11]
	s_cbranch_execz .LBB19_294
; %bb.293:
	v_lshlrev_b32_e32 v28, 2, v0
	ds_read_b32 v28, v28 offset:4424
	ds_read_b32 v27, v27 offset:4164
	s_waitcnt lgkmcnt(0)
	v_fmac_f32_e32 v26, v28, v27
.LBB19_294:
	s_or_b64 exec, exec, s[16:17]
	v_xor_b32_e32 v26, 0x80000000, v26
.LBB19_295:
	s_or_b64 exec, exec, s[12:13]
	s_and_saveexec_b64 s[10:11], s[28:29]
; %bb.296:
	ds_write_b32 v3, v26
; %bb.297:
	s_or_b64 exec, exec, s[10:11]
	s_waitcnt lgkmcnt(0)
	s_barrier
	s_and_saveexec_b64 s[10:11], s[26:27]
	s_cbranch_execz .LBB19_299
; %bb.298:
	v_mov_b32_e32 v27, 0
	ds_read_b32 v27, v27 offset:4684
	ds_read_b32 v28, v3
	s_waitcnt lgkmcnt(0)
	v_fmac_f32_e32 v26, v27, v28
.LBB19_299:
	s_or_b64 exec, exec, s[10:11]
	s_barrier
	s_and_saveexec_b64 s[10:11], s[26:27]
; %bb.300:
	ds_write_b32 v3, v26
; %bb.301:
	s_or_b64 exec, exec, s[10:11]
	s_waitcnt lgkmcnt(0)
	s_barrier
	s_barrier
	s_and_saveexec_b64 s[10:11], s[0:1]
; %bb.302:
	v_xor_b32_e32 v26, 0x80000000, v26
	ds_write_b32 v2, v26 offset:4168
; %bb.303:
	s_or_b64 exec, exec, s[10:11]
	s_waitcnt lgkmcnt(0)
	s_barrier
	s_barrier
	s_and_saveexec_b64 s[10:11], vcc
; %bb.304:
	s_movk_i32 s12, 0x1000
	v_mov_b32_e32 v26, 1.0
	v_add_u32_e64 v27, s12, 0
	ds_write2_b32 v27, v26, v26 offset0:146 offset1:211
; %bb.305:
	s_or_b64 exec, exec, s[10:11]
	v_mov_b32_e32 v26, 0
	s_waitcnt lgkmcnt(0)
	s_barrier
	s_and_saveexec_b64 s[12:13], s[2:3]
	s_cbranch_execz .LBB19_311
; %bb.306:
	v_mul_u32_u24_e32 v27, 0x104, v15
	ds_read_b32 v26, v11 offset:4176
	ds_read_b32 v28, v27 offset:4160
	v_cmp_gt_u32_e64 s[10:11], 12, v4
	s_waitcnt lgkmcnt(0)
	v_fma_f32 v26, v26, v28, 0
	s_and_saveexec_b64 s[16:17], s[10:11]
	s_cbranch_execnz .LBB19_1124
; %bb.307:
	s_or_b64 exec, exec, s[16:17]
	v_cmp_gt_u32_e64 s[10:11], 8, v4
	s_and_saveexec_b64 s[16:17], s[10:11]
	s_cbranch_execnz .LBB19_1125
.LBB19_308:
	s_or_b64 exec, exec, s[16:17]
	v_cmp_gt_u32_e64 s[10:11], 4, v4
	s_and_saveexec_b64 s[16:17], s[10:11]
	s_cbranch_execz .LBB19_310
.LBB19_309:
	v_lshlrev_b32_e32 v27, 2, v0
	v_mov_b32_e32 v28, 0
	ds_read_b32 v27, v27 offset:4944
	ds_read_b32 v28, v28 offset:4172
	s_waitcnt lgkmcnt(0)
	v_fmac_f32_e32 v26, v27, v28
.LBB19_310:
	s_or_b64 exec, exec, s[16:17]
	v_xor_b32_e32 v26, 0x80000000, v26
.LBB19_311:
	s_or_b64 exec, exec, s[12:13]
	s_and_saveexec_b64 s[10:11], s[34:35]
; %bb.312:
	ds_write_b32 v13, v26
; %bb.313:
	s_or_b64 exec, exec, s[10:11]
	s_waitcnt lgkmcnt(0)
	s_barrier
	s_and_saveexec_b64 s[10:11], s[36:37]
	s_cbranch_execz .LBB19_315
; %bb.314:
	ds_read_b32 v27, v12 offset:5200
	ds_read_b32 v28, v13
	s_waitcnt lgkmcnt(0)
	v_fmac_f32_e32 v26, v27, v28
.LBB19_315:
	s_or_b64 exec, exec, s[10:11]
	s_barrier
	s_and_saveexec_b64 s[10:11], s[38:39]
; %bb.316:
	ds_write_b32 v13, v26
; %bb.317:
	s_or_b64 exec, exec, s[10:11]
	s_waitcnt lgkmcnt(0)
	s_barrier
	s_and_saveexec_b64 s[10:11], s[40:41]
	s_cbranch_execz .LBB19_319
; %bb.318:
	ds_read_b32 v27, v12 offset:5456
	ds_read_b32 v28, v13
	s_waitcnt lgkmcnt(0)
	v_fmac_f32_e32 v26, v27, v28
.LBB19_319:
	s_or_b64 exec, exec, s[10:11]
	s_barrier
	s_and_saveexec_b64 s[10:11], s[42:43]
; %bb.320:
	ds_write_b32 v13, v26
; %bb.321:
	s_or_b64 exec, exec, s[10:11]
	s_waitcnt lgkmcnt(0)
	s_barrier
	s_and_saveexec_b64 s[10:11], s[30:31]
	s_cbranch_execz .LBB19_323
; %bb.322:
	v_mov_b32_e32 v27, 0
	ds_read_b32 v27, v27 offset:5724
	ds_read_b32 v28, v13
	s_waitcnt lgkmcnt(0)
	v_fmac_f32_e32 v26, v27, v28
.LBB19_323:
	s_or_b64 exec, exec, s[10:11]
	s_barrier
	s_and_saveexec_b64 s[10:11], s[30:31]
; %bb.324:
	ds_write_b32 v13, v26
; %bb.325:
	s_or_b64 exec, exec, s[10:11]
	s_waitcnt lgkmcnt(0)
	s_barrier
	s_barrier
	s_and_saveexec_b64 s[10:11], s[2:3]
; %bb.326:
	v_xor_b32_e32 v26, 0x80000000, v26
	ds_write_b32 v11, v26 offset:4176
; %bb.327:
	s_or_b64 exec, exec, s[10:11]
	s_waitcnt lgkmcnt(0)
	s_barrier
	s_barrier
	s_and_saveexec_b64 s[10:11], vcc
; %bb.328:
	s_movk_i32 s12, 0x1400
	v_mov_b32_e32 v26, 1.0
	v_add_u32_e64 v27, s12, 0
	ds_write2_b32 v27, v26, v26 offset0:20 offset1:85
; %bb.329:
	s_or_b64 exec, exec, s[10:11]
	v_mov_b32_e32 v26, 0
	s_waitcnt lgkmcnt(0)
	s_barrier
	s_and_saveexec_b64 s[12:13], s[0:1]
	s_cbranch_execz .LBB19_333
; %bb.330:
	v_mul_u32_u24_e32 v26, 0x104, v5
	ds_read_b32 v28, v2 offset:5208
	ds_read_b32 v26, v26 offset:5200
	v_mov_b32_e32 v27, 0
	v_cmp_gt_u32_e64 s[10:11], 2, v4
	s_waitcnt lgkmcnt(0)
	v_fma_f32 v26, v28, v26, 0
	s_and_saveexec_b64 s[16:17], s[10:11]
	s_cbranch_execz .LBB19_332
; %bb.331:
	v_lshlrev_b32_e32 v28, 2, v0
	ds_read_b32 v28, v28 offset:5464
	ds_read_b32 v27, v27 offset:5204
	s_waitcnt lgkmcnt(0)
	v_fmac_f32_e32 v26, v28, v27
.LBB19_332:
	s_or_b64 exec, exec, s[16:17]
	v_xor_b32_e32 v26, 0x80000000, v26
.LBB19_333:
	s_or_b64 exec, exec, s[12:13]
	s_and_saveexec_b64 s[10:11], s[28:29]
; %bb.334:
	ds_write_b32 v3, v26
; %bb.335:
	s_or_b64 exec, exec, s[10:11]
	s_waitcnt lgkmcnt(0)
	s_barrier
	s_and_saveexec_b64 s[10:11], s[26:27]
	s_cbranch_execz .LBB19_337
; %bb.336:
	v_mov_b32_e32 v27, 0
	ds_read_b32 v27, v27 offset:5724
	ds_read_b32 v28, v3
	s_waitcnt lgkmcnt(0)
	v_fmac_f32_e32 v26, v27, v28
.LBB19_337:
	s_or_b64 exec, exec, s[10:11]
	s_barrier
	s_and_saveexec_b64 s[10:11], s[26:27]
; %bb.338:
	ds_write_b32 v3, v26
; %bb.339:
	s_or_b64 exec, exec, s[10:11]
	s_waitcnt lgkmcnt(0)
	s_barrier
	s_barrier
	s_and_saveexec_b64 s[10:11], s[0:1]
; %bb.340:
	v_xor_b32_e32 v26, 0x80000000, v26
	ds_write_b32 v2, v26 offset:5208
; %bb.341:
	s_or_b64 exec, exec, s[10:11]
	s_waitcnt lgkmcnt(0)
	s_barrier
	s_barrier
	s_and_saveexec_b64 s[10:11], vcc
; %bb.342:
	s_movk_i32 s12, 0x1400
	v_mov_b32_e32 v26, 1.0
	v_add_u32_e64 v27, s12, 0
	ds_write2_b32 v27, v26, v26 offset0:150 offset1:215
; %bb.343:
	s_or_b64 exec, exec, s[10:11]
	v_mov_b32_e32 v26, 0
	s_waitcnt lgkmcnt(0)
	s_barrier
	s_and_saveexec_b64 s[12:13], s[14:15]
	s_cbranch_execz .LBB19_353
; %bb.344:
	v_mul_u32_u24_e32 v27, 0x104, v20
	ds_read_b32 v26, v16 offset:4192
	ds_read_b32 v28, v27 offset:4160
	v_cmp_gt_u32_e64 s[10:11], 56, v4
	s_waitcnt lgkmcnt(0)
	v_fma_f32 v26, v26, v28, 0
	s_and_saveexec_b64 s[16:17], s[10:11]
	s_cbranch_execnz .LBB19_1126
; %bb.345:
	s_or_b64 exec, exec, s[16:17]
	v_cmp_gt_u32_e64 s[10:11], 48, v4
	s_and_saveexec_b64 s[16:17], s[10:11]
	s_cbranch_execnz .LBB19_1127
.LBB19_346:
	s_or_b64 exec, exec, s[16:17]
	v_cmp_gt_u32_e64 s[10:11], 40, v4
	s_and_saveexec_b64 s[16:17], s[10:11]
	s_cbranch_execnz .LBB19_1128
.LBB19_347:
	s_or_b64 exec, exec, s[16:17]
	v_cmp_gt_u32_e64 s[10:11], 32, v4
	s_and_saveexec_b64 s[16:17], s[10:11]
	s_cbranch_execnz .LBB19_1129
.LBB19_348:
	s_or_b64 exec, exec, s[16:17]
	v_cmp_gt_u32_e64 s[10:11], 24, v4
	s_and_saveexec_b64 s[16:17], s[10:11]
	s_cbranch_execnz .LBB19_1130
.LBB19_349:
	s_or_b64 exec, exec, s[16:17]
	v_cmp_gt_u32_e64 s[10:11], 16, v4
	s_and_saveexec_b64 s[16:17], s[10:11]
	s_cbranch_execnz .LBB19_1131
.LBB19_350:
	s_or_b64 exec, exec, s[16:17]
	v_cmp_gt_u32_e64 s[10:11], 8, v4
	s_and_saveexec_b64 s[16:17], s[10:11]
	s_cbranch_execz .LBB19_352
.LBB19_351:
	v_lshlrev_b32_e32 v27, 2, v0
	v_mov_b32_e32 v28, 0
	ds_read_b32 v27, v27 offset:5984
	ds_read_b32 v28, v28 offset:4188
	s_waitcnt lgkmcnt(0)
	v_fmac_f32_e32 v26, v27, v28
.LBB19_352:
	s_or_b64 exec, exec, s[16:17]
	v_xor_b32_e32 v26, 0x80000000, v26
.LBB19_353:
	s_or_b64 exec, exec, s[12:13]
	s_and_saveexec_b64 s[10:11], s[44:45]
; %bb.354:
	ds_write_b32 v18, v26
; %bb.355:
	s_or_b64 exec, exec, s[10:11]
	s_waitcnt lgkmcnt(0)
	s_barrier
	s_and_saveexec_b64 s[10:11], s[46:47]
	s_cbranch_execz .LBB19_357
; %bb.356:
	ds_read_b32 v27, v17 offset:6240
	ds_read_b32 v28, v18
	s_waitcnt lgkmcnt(0)
	v_fmac_f32_e32 v26, v27, v28
.LBB19_357:
	s_or_b64 exec, exec, s[10:11]
	s_barrier
	s_and_saveexec_b64 s[10:11], s[48:49]
; %bb.358:
	ds_write_b32 v18, v26
; %bb.359:
	s_or_b64 exec, exec, s[10:11]
	s_waitcnt lgkmcnt(0)
	s_barrier
	s_and_saveexec_b64 s[10:11], s[50:51]
	s_cbranch_execz .LBB19_361
; %bb.360:
	ds_read_b32 v27, v17 offset:6496
	ds_read_b32 v28, v18
	s_waitcnt lgkmcnt(0)
	v_fmac_f32_e32 v26, v27, v28
.LBB19_361:
	s_or_b64 exec, exec, s[10:11]
	s_barrier
	;; [unrolled: 17-line block ×6, first 2 shown]
	s_and_saveexec_b64 s[10:11], s[70:71]
; %bb.378:
	ds_write_b32 v18, v26
; %bb.379:
	s_or_b64 exec, exec, s[10:11]
	s_waitcnt lgkmcnt(0)
	s_barrier
	s_and_saveexec_b64 s[10:11], s[52:53]
	s_cbranch_execz .LBB19_381
; %bb.380:
	v_mov_b32_e32 v27, 0
	ds_read_b32 v27, v27 offset:7804
	ds_read_b32 v28, v18
	s_waitcnt lgkmcnt(0)
	v_fmac_f32_e32 v26, v27, v28
.LBB19_381:
	s_or_b64 exec, exec, s[10:11]
	s_barrier
	s_and_saveexec_b64 s[10:11], s[52:53]
; %bb.382:
	ds_write_b32 v18, v26
; %bb.383:
	s_or_b64 exec, exec, s[10:11]
	s_waitcnt lgkmcnt(0)
	s_barrier
	s_barrier
	s_and_saveexec_b64 s[10:11], s[14:15]
; %bb.384:
	v_xor_b32_e32 v26, 0x80000000, v26
	ds_write_b32 v16, v26 offset:4192
; %bb.385:
	s_or_b64 exec, exec, s[10:11]
	s_waitcnt lgkmcnt(0)
	s_barrier
	s_barrier
	s_and_saveexec_b64 s[10:11], vcc
; %bb.386:
	s_movk_i32 s12, 0x1800
	v_mov_b32_e32 v26, 1.0
	v_add_u32_e64 v27, s12, 0
	ds_write2_b32 v27, v26, v26 offset0:24 offset1:89
; %bb.387:
	s_or_b64 exec, exec, s[10:11]
	v_mov_b32_e32 v26, 0
	s_waitcnt lgkmcnt(0)
	s_barrier
	s_and_saveexec_b64 s[12:13], s[0:1]
	s_cbranch_execz .LBB19_391
; %bb.388:
	v_mul_u32_u24_e32 v26, 0x104, v5
	ds_read_b32 v28, v2 offset:6248
	ds_read_b32 v26, v26 offset:6240
	v_mov_b32_e32 v27, 0
	v_cmp_gt_u32_e64 s[10:11], 2, v4
	s_waitcnt lgkmcnt(0)
	v_fma_f32 v26, v28, v26, 0
	s_and_saveexec_b64 s[16:17], s[10:11]
	s_cbranch_execz .LBB19_390
; %bb.389:
	v_lshlrev_b32_e32 v28, 2, v0
	ds_read_b32 v28, v28 offset:6504
	ds_read_b32 v27, v27 offset:6244
	s_waitcnt lgkmcnt(0)
	v_fmac_f32_e32 v26, v28, v27
.LBB19_390:
	s_or_b64 exec, exec, s[16:17]
	v_xor_b32_e32 v26, 0x80000000, v26
.LBB19_391:
	s_or_b64 exec, exec, s[12:13]
	s_and_saveexec_b64 s[10:11], s[28:29]
; %bb.392:
	ds_write_b32 v3, v26
; %bb.393:
	s_or_b64 exec, exec, s[10:11]
	s_waitcnt lgkmcnt(0)
	s_barrier
	s_and_saveexec_b64 s[10:11], s[26:27]
	s_cbranch_execz .LBB19_395
; %bb.394:
	v_mov_b32_e32 v27, 0
	ds_read_b32 v27, v27 offset:6764
	ds_read_b32 v28, v3
	s_waitcnt lgkmcnt(0)
	v_fmac_f32_e32 v26, v27, v28
.LBB19_395:
	s_or_b64 exec, exec, s[10:11]
	s_barrier
	s_and_saveexec_b64 s[10:11], s[26:27]
; %bb.396:
	ds_write_b32 v3, v26
; %bb.397:
	s_or_b64 exec, exec, s[10:11]
	s_waitcnt lgkmcnt(0)
	s_barrier
	s_barrier
	s_and_saveexec_b64 s[10:11], s[0:1]
; %bb.398:
	v_xor_b32_e32 v26, 0x80000000, v26
	ds_write_b32 v2, v26 offset:6248
; %bb.399:
	s_or_b64 exec, exec, s[10:11]
	s_waitcnt lgkmcnt(0)
	s_barrier
	s_barrier
	s_and_saveexec_b64 s[10:11], vcc
; %bb.400:
	s_movk_i32 s12, 0x1800
	v_mov_b32_e32 v26, 1.0
	v_add_u32_e64 v27, s12, 0
	ds_write2_b32 v27, v26, v26 offset0:154 offset1:219
; %bb.401:
	s_or_b64 exec, exec, s[10:11]
	v_mov_b32_e32 v26, 0
	s_waitcnt lgkmcnt(0)
	s_barrier
	s_and_saveexec_b64 s[12:13], s[2:3]
	s_cbranch_execz .LBB19_407
; %bb.402:
	v_mul_u32_u24_e32 v27, 0x104, v15
	ds_read_b32 v26, v11 offset:6256
	ds_read_b32 v28, v27 offset:6240
	v_cmp_gt_u32_e64 s[10:11], 12, v4
	s_waitcnt lgkmcnt(0)
	v_fma_f32 v26, v26, v28, 0
	s_and_saveexec_b64 s[16:17], s[10:11]
	s_cbranch_execnz .LBB19_1132
; %bb.403:
	s_or_b64 exec, exec, s[16:17]
	v_cmp_gt_u32_e64 s[10:11], 8, v4
	s_and_saveexec_b64 s[16:17], s[10:11]
	s_cbranch_execnz .LBB19_1133
.LBB19_404:
	s_or_b64 exec, exec, s[16:17]
	v_cmp_gt_u32_e64 s[10:11], 4, v4
	s_and_saveexec_b64 s[16:17], s[10:11]
	s_cbranch_execz .LBB19_406
.LBB19_405:
	v_lshlrev_b32_e32 v27, 2, v0
	v_mov_b32_e32 v28, 0
	ds_read_b32 v27, v27 offset:7024
	ds_read_b32 v28, v28 offset:6252
	s_waitcnt lgkmcnt(0)
	v_fmac_f32_e32 v26, v27, v28
.LBB19_406:
	s_or_b64 exec, exec, s[16:17]
	v_xor_b32_e32 v26, 0x80000000, v26
.LBB19_407:
	s_or_b64 exec, exec, s[12:13]
	s_and_saveexec_b64 s[10:11], s[34:35]
; %bb.408:
	ds_write_b32 v13, v26
; %bb.409:
	s_or_b64 exec, exec, s[10:11]
	s_waitcnt lgkmcnt(0)
	s_barrier
	s_and_saveexec_b64 s[10:11], s[36:37]
	s_cbranch_execz .LBB19_411
; %bb.410:
	ds_read_b32 v27, v12 offset:7280
	ds_read_b32 v28, v13
	s_waitcnt lgkmcnt(0)
	v_fmac_f32_e32 v26, v27, v28
.LBB19_411:
	s_or_b64 exec, exec, s[10:11]
	s_barrier
	s_and_saveexec_b64 s[10:11], s[38:39]
; %bb.412:
	ds_write_b32 v13, v26
; %bb.413:
	s_or_b64 exec, exec, s[10:11]
	s_waitcnt lgkmcnt(0)
	s_barrier
	s_and_saveexec_b64 s[10:11], s[40:41]
	s_cbranch_execz .LBB19_415
; %bb.414:
	ds_read_b32 v27, v12 offset:7536
	ds_read_b32 v28, v13
	s_waitcnt lgkmcnt(0)
	v_fmac_f32_e32 v26, v27, v28
.LBB19_415:
	s_or_b64 exec, exec, s[10:11]
	s_barrier
	s_and_saveexec_b64 s[10:11], s[42:43]
; %bb.416:
	ds_write_b32 v13, v26
; %bb.417:
	s_or_b64 exec, exec, s[10:11]
	s_waitcnt lgkmcnt(0)
	s_barrier
	s_and_saveexec_b64 s[10:11], s[30:31]
	s_cbranch_execz .LBB19_419
; %bb.418:
	v_mov_b32_e32 v27, 0
	ds_read_b32 v27, v27 offset:7804
	ds_read_b32 v28, v13
	s_waitcnt lgkmcnt(0)
	v_fmac_f32_e32 v26, v27, v28
.LBB19_419:
	s_or_b64 exec, exec, s[10:11]
	s_barrier
	s_and_saveexec_b64 s[10:11], s[30:31]
; %bb.420:
	ds_write_b32 v13, v26
; %bb.421:
	s_or_b64 exec, exec, s[10:11]
	s_waitcnt lgkmcnt(0)
	s_barrier
	s_barrier
	s_and_saveexec_b64 s[10:11], s[2:3]
; %bb.422:
	v_xor_b32_e32 v26, 0x80000000, v26
	ds_write_b32 v11, v26 offset:6256
; %bb.423:
	s_or_b64 exec, exec, s[10:11]
	s_waitcnt lgkmcnt(0)
	s_barrier
	s_barrier
	s_and_saveexec_b64 s[10:11], vcc
; %bb.424:
	s_movk_i32 s12, 0x1c00
	v_mov_b32_e32 v26, 1.0
	v_add_u32_e64 v27, s12, 0
	ds_write2_b32 v27, v26, v26 offset0:28 offset1:93
; %bb.425:
	s_or_b64 exec, exec, s[10:11]
	v_mov_b32_e32 v26, 0
	s_waitcnt lgkmcnt(0)
	s_barrier
	s_and_saveexec_b64 s[12:13], s[0:1]
	s_cbranch_execz .LBB19_429
; %bb.426:
	v_mul_u32_u24_e32 v26, 0x104, v5
	ds_read_b32 v28, v2 offset:7288
	ds_read_b32 v26, v26 offset:7280
	v_mov_b32_e32 v27, 0
	v_cmp_gt_u32_e64 s[10:11], 2, v4
	s_waitcnt lgkmcnt(0)
	v_fma_f32 v26, v28, v26, 0
	s_and_saveexec_b64 s[16:17], s[10:11]
	s_cbranch_execz .LBB19_428
; %bb.427:
	v_lshlrev_b32_e32 v28, 2, v0
	ds_read_b32 v28, v28 offset:7544
	ds_read_b32 v27, v27 offset:7284
	s_waitcnt lgkmcnt(0)
	v_fmac_f32_e32 v26, v28, v27
.LBB19_428:
	s_or_b64 exec, exec, s[16:17]
	v_xor_b32_e32 v26, 0x80000000, v26
.LBB19_429:
	s_or_b64 exec, exec, s[12:13]
	s_and_saveexec_b64 s[10:11], s[28:29]
; %bb.430:
	ds_write_b32 v3, v26
; %bb.431:
	s_or_b64 exec, exec, s[10:11]
	s_waitcnt lgkmcnt(0)
	s_barrier
	s_and_saveexec_b64 s[10:11], s[26:27]
	s_cbranch_execz .LBB19_433
; %bb.432:
	v_mov_b32_e32 v27, 0
	ds_read_b32 v27, v27 offset:7804
	ds_read_b32 v28, v3
	s_waitcnt lgkmcnt(0)
	v_fmac_f32_e32 v26, v27, v28
.LBB19_433:
	s_or_b64 exec, exec, s[10:11]
	s_barrier
	s_and_saveexec_b64 s[10:11], s[26:27]
; %bb.434:
	ds_write_b32 v3, v26
; %bb.435:
	s_or_b64 exec, exec, s[10:11]
	s_waitcnt lgkmcnt(0)
	s_barrier
	s_barrier
	s_and_saveexec_b64 s[10:11], s[0:1]
; %bb.436:
	v_xor_b32_e32 v26, 0x80000000, v26
	ds_write_b32 v2, v26 offset:7288
; %bb.437:
	s_or_b64 exec, exec, s[10:11]
	s_waitcnt lgkmcnt(0)
	s_barrier
	s_barrier
	s_and_saveexec_b64 s[10:11], vcc
; %bb.438:
	s_movk_i32 s12, 0x1c00
	v_mov_b32_e32 v26, 1.0
	v_add_u32_e64 v27, s12, 0
	ds_write2_b32 v27, v26, v26 offset0:158 offset1:223
; %bb.439:
	s_or_b64 exec, exec, s[10:11]
	v_and_b32_e32 v27, 31, v0
	s_movk_i32 s10, 0x3ff
	v_lshrrev_b32_e32 v30, 5, v4
	v_cmp_lt_u32_e64 s[12:13], s10, v4
	s_movk_i32 s10, 0x400
	v_lshlrev_b32_e32 v28, 2, v27
	v_cmp_gt_u32_e64 s[10:11], s10, v4
	v_lshl_or_b32 v26, v30, 8, v28
	v_mov_b32_e32 v29, 0
	s_waitcnt lgkmcnt(0)
	s_barrier
	s_and_saveexec_b64 s[84:85], s[10:11]
	s_cbranch_execz .LBB19_501
; %bb.440:
	v_mul_u32_u24_e32 v31, 0x104, v30
	ds_read_b32 v29, v26 offset:128
	ds_read_b32 v32, v31
	s_movk_i32 s16, 0x3e0
	v_cmp_gt_u32_e64 s[16:17], s16, v4
	s_waitcnt lgkmcnt(0)
	v_fma_f32 v29, v29, v32, 0
	s_and_saveexec_b64 s[86:87], s[16:17]
	s_cbranch_execz .LBB19_442
; %bb.441:
	ds_read_b32 v32, v26 offset:384
	ds_read_b32 v33, v31 offset:4
	s_waitcnt lgkmcnt(0)
	v_fmac_f32_e32 v29, v32, v33
.LBB19_442:
	s_or_b64 exec, exec, s[86:87]
	s_movk_i32 s16, 0x3c0
	v_cmp_gt_u32_e64 s[16:17], s16, v4
	s_and_saveexec_b64 s[86:87], s[16:17]
	s_cbranch_execz .LBB19_444
; %bb.443:
	ds_read_b32 v32, v26 offset:640
	ds_read_b32 v33, v31 offset:8
	s_waitcnt lgkmcnt(0)
	v_fmac_f32_e32 v29, v32, v33
.LBB19_444:
	s_or_b64 exec, exec, s[86:87]
	s_movk_i32 s16, 0x3a0
	v_cmp_gt_u32_e64 s[16:17], s16, v4
	;; [unrolled: 11-line block ×28, first 2 shown]
	s_and_saveexec_b64 s[86:87], s[16:17]
	s_cbranch_execnz .LBB19_1134
; %bb.497:
	s_or_b64 exec, exec, s[86:87]
	v_cmp_gt_u32_e64 s[16:17], 64, v4
	s_and_saveexec_b64 s[86:87], s[16:17]
	s_cbranch_execnz .LBB19_1135
.LBB19_498:
	s_or_b64 exec, exec, s[86:87]
	v_cmp_gt_u32_e64 s[16:17], 32, v4
	s_and_saveexec_b64 s[86:87], s[16:17]
	s_cbranch_execz .LBB19_500
.LBB19_499:
	v_lshlrev_b32_e32 v31, 2, v0
	v_mov_b32_e32 v32, 0
	ds_read_b32 v31, v31 offset:8064
	ds_read_b32 v32, v32 offset:124
	s_waitcnt lgkmcnt(0)
	v_fmac_f32_e32 v29, v31, v32
.LBB19_500:
	s_or_b64 exec, exec, s[86:87]
	v_xor_b32_e32 v29, 0x80000000, v29
.LBB19_501:
	s_or_b64 exec, exec, s[84:85]
	v_mov_b32_e32 v31, 0x4000
	v_cmp_eq_u32_e64 s[16:17], 0, v27
	s_xor_b64 s[84:85], s[12:13], -1
	v_lshl_or_b32 v30, v30, 2, v31
	s_and_b64 s[16:17], s[16:17], s[84:85]
	s_and_saveexec_b64 s[12:13], s[16:17]
; %bb.502:
	ds_write_b32 v30, v29
; %bb.503:
	s_or_b64 exec, exec, s[12:13]
	v_cmp_ne_u32_e64 s[12:13], 0, v27
	s_and_b64 s[16:17], s[12:13], s[84:85]
	s_waitcnt lgkmcnt(0)
	s_barrier
	s_and_saveexec_b64 s[12:13], s[16:17]
	s_cbranch_execz .LBB19_505
; %bb.504:
	ds_read_b32 v31, v28 offset:8320
	ds_read_b32 v32, v30
	s_waitcnt lgkmcnt(0)
	v_fmac_f32_e32 v29, v31, v32
.LBB19_505:
	s_or_b64 exec, exec, s[12:13]
	v_cmp_eq_u32_e64 s[12:13], 1, v27
	s_and_b64 s[16:17], s[12:13], s[84:85]
	s_barrier
	s_and_saveexec_b64 s[12:13], s[16:17]
; %bb.506:
	ds_write_b32 v30, v29
; %bb.507:
	s_or_b64 exec, exec, s[12:13]
	v_cmp_lt_u32_e64 s[12:13], 1, v27
	s_and_b64 s[16:17], s[12:13], s[84:85]
	s_waitcnt lgkmcnt(0)
	s_barrier
	s_and_saveexec_b64 s[12:13], s[16:17]
	s_cbranch_execz .LBB19_509
; %bb.508:
	ds_read_b32 v31, v28 offset:8576
	ds_read_b32 v32, v30
	s_waitcnt lgkmcnt(0)
	v_fmac_f32_e32 v29, v31, v32
.LBB19_509:
	s_or_b64 exec, exec, s[12:13]
	v_cmp_eq_u32_e64 s[12:13], 2, v27
	s_and_b64 s[16:17], s[12:13], s[84:85]
	s_barrier
	s_and_saveexec_b64 s[12:13], s[16:17]
; %bb.510:
	ds_write_b32 v30, v29
; %bb.511:
	s_or_b64 exec, exec, s[12:13]
	v_cmp_lt_u32_e64 s[12:13], 2, v27
	;; [unrolled: 21-line block ×29, first 2 shown]
	s_and_b64 s[16:17], s[12:13], s[84:85]
	s_waitcnt lgkmcnt(0)
	s_barrier
	s_and_saveexec_b64 s[12:13], s[16:17]
	s_cbranch_execz .LBB19_621
; %bb.620:
	ds_read_b32 v28, v28 offset:15744
	ds_read_b32 v31, v30
	s_waitcnt lgkmcnt(0)
	v_fmac_f32_e32 v29, v28, v31
.LBB19_621:
	s_or_b64 exec, exec, s[12:13]
	v_cmp_eq_u32_e64 s[12:13], 30, v27
	s_and_b64 s[16:17], s[12:13], s[84:85]
	s_barrier
	s_and_saveexec_b64 s[12:13], s[16:17]
; %bb.622:
	ds_write_b32 v30, v29
; %bb.623:
	s_or_b64 exec, exec, s[12:13]
	v_cmp_eq_u32_e64 s[12:13], 31, v27
	s_and_b64 s[12:13], s[12:13], s[84:85]
	s_waitcnt lgkmcnt(0)
	s_barrier
	s_and_saveexec_b64 s[16:17], s[12:13]
	s_cbranch_execz .LBB19_625
; %bb.624:
	v_mov_b32_e32 v27, 0
	ds_read_b32 v27, v27 offset:16124
	ds_read_b32 v28, v30
	s_waitcnt lgkmcnt(0)
	v_fmac_f32_e32 v29, v27, v28
.LBB19_625:
	s_or_b64 exec, exec, s[16:17]
	s_barrier
	s_and_saveexec_b64 s[16:17], s[12:13]
; %bb.626:
	ds_write_b32 v30, v29
; %bb.627:
	s_or_b64 exec, exec, s[16:17]
	s_waitcnt lgkmcnt(0)
	s_barrier
	s_barrier
	s_and_saveexec_b64 s[12:13], s[10:11]
; %bb.628:
	v_xor_b32_e32 v27, 0x80000000, v29
	ds_write_b32 v26, v27 offset:128
; %bb.629:
	s_or_b64 exec, exec, s[12:13]
	s_waitcnt lgkmcnt(0)
	s_barrier
	s_barrier
	s_and_saveexec_b64 s[10:11], vcc
; %bb.630:
	s_movk_i32 s12, 0x2000
	v_mov_b32_e32 v26, 1.0
	v_add_u32_e64 v27, s12, 0
	ds_write2_b32 v27, v26, v26 offset0:32 offset1:97
; %bb.631:
	s_or_b64 exec, exec, s[10:11]
	v_mov_b32_e32 v26, 0
	s_waitcnt lgkmcnt(0)
	s_barrier
	s_and_saveexec_b64 s[12:13], s[0:1]
	s_cbranch_execz .LBB19_635
; %bb.632:
	v_mul_u32_u24_e32 v26, 0x104, v5
	ds_read_b32 v28, v2 offset:8328
	ds_read_b32 v26, v26 offset:8320
	v_mov_b32_e32 v27, 0
	v_cmp_gt_u32_e64 s[10:11], 2, v4
	s_waitcnt lgkmcnt(0)
	v_fma_f32 v26, v28, v26, 0
	s_and_saveexec_b64 s[16:17], s[10:11]
	s_cbranch_execz .LBB19_634
; %bb.633:
	v_lshlrev_b32_e32 v28, 2, v0
	ds_read_b32 v28, v28 offset:8584
	ds_read_b32 v27, v27 offset:8324
	s_waitcnt lgkmcnt(0)
	v_fmac_f32_e32 v26, v28, v27
.LBB19_634:
	s_or_b64 exec, exec, s[16:17]
	v_xor_b32_e32 v26, 0x80000000, v26
.LBB19_635:
	s_or_b64 exec, exec, s[12:13]
	s_and_saveexec_b64 s[10:11], s[28:29]
; %bb.636:
	ds_write_b32 v3, v26
; %bb.637:
	s_or_b64 exec, exec, s[10:11]
	s_waitcnt lgkmcnt(0)
	s_barrier
	s_and_saveexec_b64 s[10:11], s[26:27]
	s_cbranch_execz .LBB19_639
; %bb.638:
	v_mov_b32_e32 v27, 0
	ds_read_b32 v27, v27 offset:8844
	ds_read_b32 v28, v3
	s_waitcnt lgkmcnt(0)
	v_fmac_f32_e32 v26, v27, v28
.LBB19_639:
	s_or_b64 exec, exec, s[10:11]
	s_barrier
	s_and_saveexec_b64 s[10:11], s[26:27]
; %bb.640:
	ds_write_b32 v3, v26
; %bb.641:
	s_or_b64 exec, exec, s[10:11]
	s_waitcnt lgkmcnt(0)
	s_barrier
	s_barrier
	s_and_saveexec_b64 s[10:11], s[0:1]
; %bb.642:
	v_xor_b32_e32 v26, 0x80000000, v26
	ds_write_b32 v2, v26 offset:8328
; %bb.643:
	s_or_b64 exec, exec, s[10:11]
	s_waitcnt lgkmcnt(0)
	s_barrier
	s_barrier
	s_and_saveexec_b64 s[10:11], vcc
; %bb.644:
	s_movk_i32 s12, 0x2000
	v_mov_b32_e32 v26, 1.0
	v_add_u32_e64 v27, s12, 0
	ds_write2_b32 v27, v26, v26 offset0:162 offset1:227
; %bb.645:
	s_or_b64 exec, exec, s[10:11]
	v_mov_b32_e32 v26, 0
	s_waitcnt lgkmcnt(0)
	s_barrier
	s_and_saveexec_b64 s[12:13], s[2:3]
	s_cbranch_execz .LBB19_651
; %bb.646:
	v_mul_u32_u24_e32 v27, 0x104, v15
	ds_read_b32 v26, v11 offset:8336
	ds_read_b32 v28, v27 offset:8320
	v_cmp_gt_u32_e64 s[10:11], 12, v4
	s_waitcnt lgkmcnt(0)
	v_fma_f32 v26, v26, v28, 0
	s_and_saveexec_b64 s[16:17], s[10:11]
	s_cbranch_execnz .LBB19_1136
; %bb.647:
	s_or_b64 exec, exec, s[16:17]
	v_cmp_gt_u32_e64 s[10:11], 8, v4
	s_and_saveexec_b64 s[16:17], s[10:11]
	s_cbranch_execnz .LBB19_1137
.LBB19_648:
	s_or_b64 exec, exec, s[16:17]
	v_cmp_gt_u32_e64 s[10:11], 4, v4
	s_and_saveexec_b64 s[16:17], s[10:11]
	s_cbranch_execz .LBB19_650
.LBB19_649:
	v_lshlrev_b32_e32 v27, 2, v0
	v_mov_b32_e32 v28, 0
	ds_read_b32 v27, v27 offset:9104
	ds_read_b32 v28, v28 offset:8332
	s_waitcnt lgkmcnt(0)
	v_fmac_f32_e32 v26, v27, v28
.LBB19_650:
	s_or_b64 exec, exec, s[16:17]
	v_xor_b32_e32 v26, 0x80000000, v26
.LBB19_651:
	s_or_b64 exec, exec, s[12:13]
	s_and_saveexec_b64 s[10:11], s[34:35]
; %bb.652:
	ds_write_b32 v13, v26
; %bb.653:
	s_or_b64 exec, exec, s[10:11]
	s_waitcnt lgkmcnt(0)
	s_barrier
	s_and_saveexec_b64 s[10:11], s[36:37]
	s_cbranch_execz .LBB19_655
; %bb.654:
	ds_read_b32 v27, v12 offset:9360
	ds_read_b32 v28, v13
	s_waitcnt lgkmcnt(0)
	v_fmac_f32_e32 v26, v27, v28
.LBB19_655:
	s_or_b64 exec, exec, s[10:11]
	s_barrier
	s_and_saveexec_b64 s[10:11], s[38:39]
; %bb.656:
	ds_write_b32 v13, v26
; %bb.657:
	s_or_b64 exec, exec, s[10:11]
	s_waitcnt lgkmcnt(0)
	s_barrier
	s_and_saveexec_b64 s[10:11], s[40:41]
	s_cbranch_execz .LBB19_659
; %bb.658:
	ds_read_b32 v27, v12 offset:9616
	ds_read_b32 v28, v13
	s_waitcnt lgkmcnt(0)
	v_fmac_f32_e32 v26, v27, v28
.LBB19_659:
	s_or_b64 exec, exec, s[10:11]
	s_barrier
	s_and_saveexec_b64 s[10:11], s[42:43]
; %bb.660:
	ds_write_b32 v13, v26
; %bb.661:
	s_or_b64 exec, exec, s[10:11]
	s_waitcnt lgkmcnt(0)
	s_barrier
	s_and_saveexec_b64 s[10:11], s[30:31]
	s_cbranch_execz .LBB19_663
; %bb.662:
	v_mov_b32_e32 v27, 0
	ds_read_b32 v27, v27 offset:9884
	ds_read_b32 v28, v13
	s_waitcnt lgkmcnt(0)
	v_fmac_f32_e32 v26, v27, v28
.LBB19_663:
	s_or_b64 exec, exec, s[10:11]
	s_barrier
	s_and_saveexec_b64 s[10:11], s[30:31]
; %bb.664:
	ds_write_b32 v13, v26
; %bb.665:
	s_or_b64 exec, exec, s[10:11]
	s_waitcnt lgkmcnt(0)
	s_barrier
	s_barrier
	s_and_saveexec_b64 s[10:11], s[2:3]
; %bb.666:
	v_xor_b32_e32 v26, 0x80000000, v26
	ds_write_b32 v11, v26 offset:8336
; %bb.667:
	s_or_b64 exec, exec, s[10:11]
	s_waitcnt lgkmcnt(0)
	s_barrier
	s_barrier
	s_and_saveexec_b64 s[10:11], vcc
; %bb.668:
	s_movk_i32 s12, 0x2400
	v_mov_b32_e32 v26, 1.0
	v_add_u32_e64 v27, s12, 0
	ds_write2_b32 v27, v26, v26 offset0:36 offset1:101
; %bb.669:
	s_or_b64 exec, exec, s[10:11]
	v_mov_b32_e32 v26, 0
	s_waitcnt lgkmcnt(0)
	s_barrier
	s_and_saveexec_b64 s[12:13], s[0:1]
	s_cbranch_execz .LBB19_673
; %bb.670:
	v_mul_u32_u24_e32 v26, 0x104, v5
	ds_read_b32 v28, v2 offset:9368
	ds_read_b32 v26, v26 offset:9360
	v_mov_b32_e32 v27, 0
	v_cmp_gt_u32_e64 s[10:11], 2, v4
	s_waitcnt lgkmcnt(0)
	v_fma_f32 v26, v28, v26, 0
	s_and_saveexec_b64 s[16:17], s[10:11]
	s_cbranch_execz .LBB19_672
; %bb.671:
	v_lshlrev_b32_e32 v28, 2, v0
	ds_read_b32 v28, v28 offset:9624
	ds_read_b32 v27, v27 offset:9364
	s_waitcnt lgkmcnt(0)
	v_fmac_f32_e32 v26, v28, v27
.LBB19_672:
	s_or_b64 exec, exec, s[16:17]
	v_xor_b32_e32 v26, 0x80000000, v26
.LBB19_673:
	s_or_b64 exec, exec, s[12:13]
	s_and_saveexec_b64 s[10:11], s[28:29]
; %bb.674:
	ds_write_b32 v3, v26
; %bb.675:
	s_or_b64 exec, exec, s[10:11]
	s_waitcnt lgkmcnt(0)
	s_barrier
	s_and_saveexec_b64 s[10:11], s[26:27]
	s_cbranch_execz .LBB19_677
; %bb.676:
	v_mov_b32_e32 v27, 0
	ds_read_b32 v27, v27 offset:9884
	ds_read_b32 v28, v3
	s_waitcnt lgkmcnt(0)
	v_fmac_f32_e32 v26, v27, v28
.LBB19_677:
	s_or_b64 exec, exec, s[10:11]
	s_barrier
	s_and_saveexec_b64 s[10:11], s[26:27]
; %bb.678:
	ds_write_b32 v3, v26
; %bb.679:
	s_or_b64 exec, exec, s[10:11]
	s_waitcnt lgkmcnt(0)
	s_barrier
	s_barrier
	s_and_saveexec_b64 s[10:11], s[0:1]
; %bb.680:
	v_xor_b32_e32 v26, 0x80000000, v26
	ds_write_b32 v2, v26 offset:9368
; %bb.681:
	s_or_b64 exec, exec, s[10:11]
	s_waitcnt lgkmcnt(0)
	s_barrier
	s_barrier
	s_and_saveexec_b64 s[10:11], vcc
; %bb.682:
	s_movk_i32 s12, 0x2400
	v_mov_b32_e32 v26, 1.0
	v_add_u32_e64 v27, s12, 0
	ds_write2_b32 v27, v26, v26 offset0:166 offset1:231
; %bb.683:
	s_or_b64 exec, exec, s[10:11]
	v_mov_b32_e32 v26, 0
	s_waitcnt lgkmcnt(0)
	s_barrier
	s_and_saveexec_b64 s[12:13], s[14:15]
	s_cbranch_execz .LBB19_693
; %bb.684:
	v_mul_u32_u24_e32 v27, 0x104, v20
	ds_read_b32 v26, v16 offset:8352
	ds_read_b32 v28, v27 offset:8320
	v_cmp_gt_u32_e64 s[10:11], 56, v4
	s_waitcnt lgkmcnt(0)
	v_fma_f32 v26, v26, v28, 0
	s_and_saveexec_b64 s[16:17], s[10:11]
	s_cbranch_execnz .LBB19_1138
; %bb.685:
	s_or_b64 exec, exec, s[16:17]
	v_cmp_gt_u32_e64 s[10:11], 48, v4
	s_and_saveexec_b64 s[16:17], s[10:11]
	s_cbranch_execnz .LBB19_1139
.LBB19_686:
	s_or_b64 exec, exec, s[16:17]
	v_cmp_gt_u32_e64 s[10:11], 40, v4
	s_and_saveexec_b64 s[16:17], s[10:11]
	s_cbranch_execnz .LBB19_1140
.LBB19_687:
	s_or_b64 exec, exec, s[16:17]
	v_cmp_gt_u32_e64 s[10:11], 32, v4
	s_and_saveexec_b64 s[16:17], s[10:11]
	s_cbranch_execnz .LBB19_1141
.LBB19_688:
	s_or_b64 exec, exec, s[16:17]
	v_cmp_gt_u32_e64 s[10:11], 24, v4
	s_and_saveexec_b64 s[16:17], s[10:11]
	s_cbranch_execnz .LBB19_1142
.LBB19_689:
	s_or_b64 exec, exec, s[16:17]
	v_cmp_gt_u32_e64 s[10:11], 16, v4
	s_and_saveexec_b64 s[16:17], s[10:11]
	s_cbranch_execnz .LBB19_1143
.LBB19_690:
	s_or_b64 exec, exec, s[16:17]
	v_cmp_gt_u32_e64 s[10:11], 8, v4
	s_and_saveexec_b64 s[16:17], s[10:11]
	s_cbranch_execz .LBB19_692
.LBB19_691:
	v_lshlrev_b32_e32 v27, 2, v0
	v_mov_b32_e32 v28, 0
	ds_read_b32 v27, v27 offset:10144
	ds_read_b32 v28, v28 offset:8348
	s_waitcnt lgkmcnt(0)
	v_fmac_f32_e32 v26, v27, v28
.LBB19_692:
	s_or_b64 exec, exec, s[16:17]
	v_xor_b32_e32 v26, 0x80000000, v26
.LBB19_693:
	s_or_b64 exec, exec, s[12:13]
	s_and_saveexec_b64 s[10:11], s[44:45]
; %bb.694:
	ds_write_b32 v18, v26
; %bb.695:
	s_or_b64 exec, exec, s[10:11]
	s_waitcnt lgkmcnt(0)
	s_barrier
	s_and_saveexec_b64 s[10:11], s[46:47]
	s_cbranch_execz .LBB19_697
; %bb.696:
	ds_read_b32 v27, v17 offset:10400
	ds_read_b32 v28, v18
	s_waitcnt lgkmcnt(0)
	v_fmac_f32_e32 v26, v27, v28
.LBB19_697:
	s_or_b64 exec, exec, s[10:11]
	s_barrier
	s_and_saveexec_b64 s[10:11], s[48:49]
; %bb.698:
	ds_write_b32 v18, v26
; %bb.699:
	s_or_b64 exec, exec, s[10:11]
	s_waitcnt lgkmcnt(0)
	s_barrier
	s_and_saveexec_b64 s[10:11], s[50:51]
	s_cbranch_execz .LBB19_701
; %bb.700:
	ds_read_b32 v27, v17 offset:10656
	ds_read_b32 v28, v18
	s_waitcnt lgkmcnt(0)
	v_fmac_f32_e32 v26, v27, v28
.LBB19_701:
	s_or_b64 exec, exec, s[10:11]
	s_barrier
	;; [unrolled: 17-line block ×6, first 2 shown]
	s_and_saveexec_b64 s[10:11], s[70:71]
; %bb.718:
	ds_write_b32 v18, v26
; %bb.719:
	s_or_b64 exec, exec, s[10:11]
	s_waitcnt lgkmcnt(0)
	s_barrier
	s_and_saveexec_b64 s[10:11], s[52:53]
	s_cbranch_execz .LBB19_721
; %bb.720:
	v_mov_b32_e32 v27, 0
	ds_read_b32 v27, v27 offset:11964
	ds_read_b32 v28, v18
	s_waitcnt lgkmcnt(0)
	v_fmac_f32_e32 v26, v27, v28
.LBB19_721:
	s_or_b64 exec, exec, s[10:11]
	s_barrier
	s_and_saveexec_b64 s[10:11], s[52:53]
; %bb.722:
	ds_write_b32 v18, v26
; %bb.723:
	s_or_b64 exec, exec, s[10:11]
	s_waitcnt lgkmcnt(0)
	s_barrier
	s_barrier
	s_and_saveexec_b64 s[10:11], s[14:15]
; %bb.724:
	v_xor_b32_e32 v26, 0x80000000, v26
	ds_write_b32 v16, v26 offset:8352
; %bb.725:
	s_or_b64 exec, exec, s[10:11]
	s_waitcnt lgkmcnt(0)
	s_barrier
	s_barrier
	s_and_saveexec_b64 s[10:11], vcc
; %bb.726:
	s_movk_i32 s12, 0x2800
	v_mov_b32_e32 v26, 1.0
	v_add_u32_e64 v27, s12, 0
	ds_write2_b32 v27, v26, v26 offset0:40 offset1:105
; %bb.727:
	s_or_b64 exec, exec, s[10:11]
	v_mov_b32_e32 v26, 0
	s_waitcnt lgkmcnt(0)
	s_barrier
	s_and_saveexec_b64 s[12:13], s[0:1]
	s_cbranch_execz .LBB19_731
; %bb.728:
	v_mul_u32_u24_e32 v26, 0x104, v5
	ds_read_b32 v28, v2 offset:10408
	ds_read_b32 v26, v26 offset:10400
	v_mov_b32_e32 v27, 0
	v_cmp_gt_u32_e64 s[10:11], 2, v4
	s_waitcnt lgkmcnt(0)
	v_fma_f32 v26, v28, v26, 0
	s_and_saveexec_b64 s[16:17], s[10:11]
	s_cbranch_execz .LBB19_730
; %bb.729:
	v_lshlrev_b32_e32 v28, 2, v0
	ds_read_b32 v28, v28 offset:10664
	ds_read_b32 v27, v27 offset:10404
	s_waitcnt lgkmcnt(0)
	v_fmac_f32_e32 v26, v28, v27
.LBB19_730:
	s_or_b64 exec, exec, s[16:17]
	v_xor_b32_e32 v26, 0x80000000, v26
.LBB19_731:
	s_or_b64 exec, exec, s[12:13]
	s_and_saveexec_b64 s[10:11], s[28:29]
; %bb.732:
	ds_write_b32 v3, v26
; %bb.733:
	s_or_b64 exec, exec, s[10:11]
	s_waitcnt lgkmcnt(0)
	s_barrier
	s_and_saveexec_b64 s[10:11], s[26:27]
	s_cbranch_execz .LBB19_735
; %bb.734:
	v_mov_b32_e32 v27, 0
	ds_read_b32 v27, v27 offset:10924
	ds_read_b32 v28, v3
	s_waitcnt lgkmcnt(0)
	v_fmac_f32_e32 v26, v27, v28
.LBB19_735:
	s_or_b64 exec, exec, s[10:11]
	s_barrier
	s_and_saveexec_b64 s[10:11], s[26:27]
; %bb.736:
	ds_write_b32 v3, v26
; %bb.737:
	s_or_b64 exec, exec, s[10:11]
	s_waitcnt lgkmcnt(0)
	s_barrier
	s_barrier
	s_and_saveexec_b64 s[10:11], s[0:1]
; %bb.738:
	v_xor_b32_e32 v26, 0x80000000, v26
	ds_write_b32 v2, v26 offset:10408
; %bb.739:
	s_or_b64 exec, exec, s[10:11]
	s_waitcnt lgkmcnt(0)
	s_barrier
	s_barrier
	s_and_saveexec_b64 s[10:11], vcc
; %bb.740:
	s_movk_i32 s12, 0x2800
	v_mov_b32_e32 v26, 1.0
	v_add_u32_e64 v27, s12, 0
	ds_write2_b32 v27, v26, v26 offset0:170 offset1:235
; %bb.741:
	s_or_b64 exec, exec, s[10:11]
	v_mov_b32_e32 v26, 0
	s_waitcnt lgkmcnt(0)
	s_barrier
	s_and_saveexec_b64 s[12:13], s[2:3]
	s_cbranch_execz .LBB19_747
; %bb.742:
	v_mul_u32_u24_e32 v27, 0x104, v15
	ds_read_b32 v26, v11 offset:10416
	ds_read_b32 v28, v27 offset:10400
	v_cmp_gt_u32_e64 s[10:11], 12, v4
	s_waitcnt lgkmcnt(0)
	v_fma_f32 v26, v26, v28, 0
	s_and_saveexec_b64 s[16:17], s[10:11]
	s_cbranch_execnz .LBB19_1144
; %bb.743:
	s_or_b64 exec, exec, s[16:17]
	v_cmp_gt_u32_e64 s[10:11], 8, v4
	s_and_saveexec_b64 s[16:17], s[10:11]
	s_cbranch_execnz .LBB19_1145
.LBB19_744:
	s_or_b64 exec, exec, s[16:17]
	v_cmp_gt_u32_e64 s[10:11], 4, v4
	s_and_saveexec_b64 s[16:17], s[10:11]
	s_cbranch_execz .LBB19_746
.LBB19_745:
	v_lshlrev_b32_e32 v27, 2, v0
	v_mov_b32_e32 v28, 0
	ds_read_b32 v27, v27 offset:11184
	ds_read_b32 v28, v28 offset:10412
	s_waitcnt lgkmcnt(0)
	v_fmac_f32_e32 v26, v27, v28
.LBB19_746:
	s_or_b64 exec, exec, s[16:17]
	v_xor_b32_e32 v26, 0x80000000, v26
.LBB19_747:
	s_or_b64 exec, exec, s[12:13]
	s_and_saveexec_b64 s[10:11], s[34:35]
; %bb.748:
	ds_write_b32 v13, v26
; %bb.749:
	s_or_b64 exec, exec, s[10:11]
	s_waitcnt lgkmcnt(0)
	s_barrier
	s_and_saveexec_b64 s[10:11], s[36:37]
	s_cbranch_execz .LBB19_751
; %bb.750:
	ds_read_b32 v27, v12 offset:11440
	ds_read_b32 v28, v13
	s_waitcnt lgkmcnt(0)
	v_fmac_f32_e32 v26, v27, v28
.LBB19_751:
	s_or_b64 exec, exec, s[10:11]
	s_barrier
	s_and_saveexec_b64 s[10:11], s[38:39]
; %bb.752:
	ds_write_b32 v13, v26
; %bb.753:
	s_or_b64 exec, exec, s[10:11]
	s_waitcnt lgkmcnt(0)
	s_barrier
	s_and_saveexec_b64 s[10:11], s[40:41]
	s_cbranch_execz .LBB19_755
; %bb.754:
	ds_read_b32 v27, v12 offset:11696
	ds_read_b32 v28, v13
	s_waitcnt lgkmcnt(0)
	v_fmac_f32_e32 v26, v27, v28
.LBB19_755:
	s_or_b64 exec, exec, s[10:11]
	s_barrier
	s_and_saveexec_b64 s[10:11], s[42:43]
; %bb.756:
	ds_write_b32 v13, v26
; %bb.757:
	s_or_b64 exec, exec, s[10:11]
	s_waitcnt lgkmcnt(0)
	s_barrier
	s_and_saveexec_b64 s[10:11], s[30:31]
	s_cbranch_execz .LBB19_759
; %bb.758:
	v_mov_b32_e32 v27, 0
	ds_read_b32 v27, v27 offset:11964
	ds_read_b32 v28, v13
	s_waitcnt lgkmcnt(0)
	v_fmac_f32_e32 v26, v27, v28
.LBB19_759:
	s_or_b64 exec, exec, s[10:11]
	s_barrier
	s_and_saveexec_b64 s[10:11], s[30:31]
; %bb.760:
	ds_write_b32 v13, v26
; %bb.761:
	s_or_b64 exec, exec, s[10:11]
	s_waitcnt lgkmcnt(0)
	s_barrier
	s_barrier
	s_and_saveexec_b64 s[10:11], s[2:3]
; %bb.762:
	v_xor_b32_e32 v26, 0x80000000, v26
	ds_write_b32 v11, v26 offset:10416
; %bb.763:
	s_or_b64 exec, exec, s[10:11]
	s_waitcnt lgkmcnt(0)
	s_barrier
	s_barrier
	s_and_saveexec_b64 s[10:11], vcc
; %bb.764:
	s_movk_i32 s12, 0x2c00
	v_mov_b32_e32 v26, 1.0
	v_add_u32_e64 v27, s12, 0
	ds_write2_b32 v27, v26, v26 offset0:44 offset1:109
; %bb.765:
	s_or_b64 exec, exec, s[10:11]
	v_mov_b32_e32 v26, 0
	s_waitcnt lgkmcnt(0)
	s_barrier
	s_and_saveexec_b64 s[12:13], s[0:1]
	s_cbranch_execz .LBB19_769
; %bb.766:
	v_mul_u32_u24_e32 v26, 0x104, v5
	ds_read_b32 v28, v2 offset:11448
	ds_read_b32 v26, v26 offset:11440
	v_mov_b32_e32 v27, 0
	v_cmp_gt_u32_e64 s[10:11], 2, v4
	s_waitcnt lgkmcnt(0)
	v_fma_f32 v26, v28, v26, 0
	s_and_saveexec_b64 s[16:17], s[10:11]
	s_cbranch_execz .LBB19_768
; %bb.767:
	v_lshlrev_b32_e32 v28, 2, v0
	ds_read_b32 v28, v28 offset:11704
	ds_read_b32 v27, v27 offset:11444
	s_waitcnt lgkmcnt(0)
	v_fmac_f32_e32 v26, v28, v27
.LBB19_768:
	s_or_b64 exec, exec, s[16:17]
	v_xor_b32_e32 v26, 0x80000000, v26
.LBB19_769:
	s_or_b64 exec, exec, s[12:13]
	s_and_saveexec_b64 s[10:11], s[28:29]
; %bb.770:
	ds_write_b32 v3, v26
; %bb.771:
	s_or_b64 exec, exec, s[10:11]
	s_waitcnt lgkmcnt(0)
	s_barrier
	s_and_saveexec_b64 s[10:11], s[26:27]
	s_cbranch_execz .LBB19_773
; %bb.772:
	v_mov_b32_e32 v27, 0
	ds_read_b32 v27, v27 offset:11964
	ds_read_b32 v28, v3
	s_waitcnt lgkmcnt(0)
	v_fmac_f32_e32 v26, v27, v28
.LBB19_773:
	s_or_b64 exec, exec, s[10:11]
	s_barrier
	s_and_saveexec_b64 s[10:11], s[26:27]
; %bb.774:
	ds_write_b32 v3, v26
; %bb.775:
	s_or_b64 exec, exec, s[10:11]
	s_waitcnt lgkmcnt(0)
	s_barrier
	s_barrier
	s_and_saveexec_b64 s[10:11], s[0:1]
; %bb.776:
	v_xor_b32_e32 v26, 0x80000000, v26
	ds_write_b32 v2, v26 offset:11448
; %bb.777:
	s_or_b64 exec, exec, s[10:11]
	s_waitcnt lgkmcnt(0)
	s_barrier
	s_barrier
	s_and_saveexec_b64 s[10:11], vcc
; %bb.778:
	s_movk_i32 s12, 0x2c00
	v_mov_b32_e32 v26, 1.0
	v_add_u32_e64 v27, s12, 0
	ds_write2_b32 v27, v26, v26 offset0:174 offset1:239
; %bb.779:
	s_or_b64 exec, exec, s[10:11]
	v_mov_b32_e32 v26, 0
	s_waitcnt lgkmcnt(0)
	s_barrier
	s_and_saveexec_b64 s[12:13], s[8:9]
	s_cbranch_execz .LBB19_807
; %bb.780:
	v_mul_u32_u24_e32 v27, 0x104, v25
	ds_read_b32 v26, v21 offset:8384
	ds_read_b32 v28, v27 offset:8320
	s_movk_i32 s10, 0xf0
	v_cmp_gt_u32_e64 s[10:11], s10, v4
	s_waitcnt lgkmcnt(0)
	v_fma_f32 v26, v26, v28, 0
	s_and_saveexec_b64 s[16:17], s[10:11]
	s_cbranch_execz .LBB19_782
; %bb.781:
	v_lshlrev_b32_e32 v28, 2, v25
	v_sub_u32_e32 v28, v27, v28
	v_lshl_add_u32 v28, v22, 2, v28
	ds_read_b32 v28, v28 offset:8640
	ds_read_b32 v29, v27 offset:8324
	s_waitcnt lgkmcnt(0)
	v_fmac_f32_e32 v26, v28, v29
.LBB19_782:
	s_or_b64 exec, exec, s[16:17]
	s_movk_i32 s10, 0xe0
	v_cmp_gt_u32_e64 s[10:11], s10, v4
	s_and_saveexec_b64 s[16:17], s[10:11]
	s_cbranch_execz .LBB19_784
; %bb.783:
	v_lshlrev_b32_e32 v28, 2, v25
	v_sub_u32_e32 v28, v27, v28
	v_lshl_add_u32 v28, v22, 2, v28
	ds_read_b32 v28, v28 offset:8896
	ds_read_b32 v29, v27 offset:8328
	s_waitcnt lgkmcnt(0)
	v_fmac_f32_e32 v26, v28, v29
.LBB19_784:
	s_or_b64 exec, exec, s[16:17]
	s_movk_i32 s10, 0xd0
	v_cmp_gt_u32_e64 s[10:11], s10, v4
	;; [unrolled: 14-line block ×7, first 2 shown]
	s_and_saveexec_b64 s[16:17], s[10:11]
	s_cbranch_execz .LBB19_796
; %bb.795:
	ds_read_b32 v25, v21 offset:10432
	ds_read_b32 v28, v27 offset:8352
	s_waitcnt lgkmcnt(0)
	v_fmac_f32_e32 v26, v25, v28
.LBB19_796:
	s_or_b64 exec, exec, s[16:17]
	s_movk_i32 s10, 0x70
	v_cmp_gt_u32_e64 s[10:11], s10, v4
	s_and_saveexec_b64 s[16:17], s[10:11]
	s_cbranch_execz .LBB19_798
; %bb.797:
	v_lshlrev_b32_e32 v25, 2, v22
	v_lshl_add_u32 v25, v24, 2, v25
	ds_read_b32 v25, v25 offset:10688
	ds_read_b32 v28, v27 offset:8356
	s_waitcnt lgkmcnt(0)
	v_fmac_f32_e32 v26, v25, v28
.LBB19_798:
	s_or_b64 exec, exec, s[16:17]
	s_movk_i32 s10, 0x60
	v_cmp_gt_u32_e64 s[10:11], s10, v4
	s_and_saveexec_b64 s[16:17], s[10:11]
	s_cbranch_execz .LBB19_800
; %bb.799:
	v_lshlrev_b32_e32 v25, 2, v22
	v_lshl_add_u32 v25, v24, 2, v25
	ds_read_b32 v25, v25 offset:10944
	ds_read_b32 v28, v27 offset:8360
	s_waitcnt lgkmcnt(0)
	v_fmac_f32_e32 v26, v25, v28
.LBB19_800:
	s_or_b64 exec, exec, s[16:17]
	s_movk_i32 s10, 0x50
	v_cmp_gt_u32_e64 s[10:11], s10, v4
	s_and_saveexec_b64 s[16:17], s[10:11]
	s_cbranch_execnz .LBB19_1146
; %bb.801:
	s_or_b64 exec, exec, s[16:17]
	v_cmp_gt_u32_e64 s[10:11], 64, v4
	s_and_saveexec_b64 s[16:17], s[10:11]
	s_cbranch_execnz .LBB19_1147
.LBB19_802:
	s_or_b64 exec, exec, s[16:17]
	v_cmp_gt_u32_e64 s[10:11], 48, v4
	s_and_saveexec_b64 s[16:17], s[10:11]
	s_cbranch_execnz .LBB19_1148
.LBB19_803:
	s_or_b64 exec, exec, s[16:17]
	v_cmp_gt_u32_e64 s[10:11], 32, v4
	s_and_saveexec_b64 s[16:17], s[10:11]
	s_cbranch_execnz .LBB19_1149
.LBB19_804:
	s_or_b64 exec, exec, s[16:17]
	v_cmp_gt_u32_e64 s[10:11], 16, v4
	s_and_saveexec_b64 s[16:17], s[10:11]
	s_cbranch_execz .LBB19_806
.LBB19_805:
	v_lshlrev_b32_e32 v24, 2, v0
	v_mov_b32_e32 v25, 0
	ds_read_b32 v24, v24 offset:12224
	ds_read_b32 v25, v25 offset:8380
	s_waitcnt lgkmcnt(0)
	v_fmac_f32_e32 v26, v24, v25
.LBB19_806:
	s_or_b64 exec, exec, s[16:17]
	v_xor_b32_e32 v26, 0x80000000, v26
.LBB19_807:
	s_or_b64 exec, exec, s[12:13]
	s_mov_b64 s[10:11], exec
	v_readlane_b32 s12, v34, 0
	v_readlane_b32 s13, v34, 1
	s_and_b64 s[12:13], s[10:11], s[12:13]
	s_mov_b64 exec, s[12:13]
; %bb.808:
	ds_write_b32 v23, v26
; %bb.809:
	s_or_b64 exec, exec, s[10:11]
	s_waitcnt lgkmcnt(0)
	s_barrier
	s_mov_b64 s[10:11], exec
	v_readlane_b32 s12, v34, 2
	v_readlane_b32 s13, v34, 3
	s_and_b64 s[12:13], s[10:11], s[12:13]
	s_mov_b64 exec, s[12:13]
	s_cbranch_execz .LBB19_811
; %bb.810:
	v_lshlrev_b32_e32 v24, 2, v22
	ds_read_b32 v24, v24 offset:12480
	ds_read_b32 v25, v23
	s_waitcnt lgkmcnt(0)
	v_fmac_f32_e32 v26, v24, v25
.LBB19_811:
	s_or_b64 exec, exec, s[10:11]
	s_barrier
	s_mov_b64 s[10:11], exec
	v_readlane_b32 s12, v34, 4
	v_readlane_b32 s13, v34, 5
	s_and_b64 s[12:13], s[10:11], s[12:13]
	s_mov_b64 exec, s[12:13]
; %bb.812:
	ds_write_b32 v23, v26
; %bb.813:
	s_or_b64 exec, exec, s[10:11]
	s_waitcnt lgkmcnt(0)
	s_barrier
	s_mov_b64 s[10:11], exec
	v_readlane_b32 s12, v34, 6
	v_readlane_b32 s13, v34, 7
	s_and_b64 s[12:13], s[10:11], s[12:13]
	s_mov_b64 exec, s[12:13]
	s_cbranch_execz .LBB19_815
; %bb.814:
	v_lshlrev_b32_e32 v24, 2, v22
	ds_read_b32 v24, v24 offset:12736
	ds_read_b32 v25, v23
	s_waitcnt lgkmcnt(0)
	v_fmac_f32_e32 v26, v24, v25
.LBB19_815:
	s_or_b64 exec, exec, s[10:11]
	s_barrier
	;; [unrolled: 26-line block ×10, first 2 shown]
	s_mov_b64 s[10:11], exec
	v_readlane_b32 s12, v34, 40
	v_readlane_b32 s13, v34, 41
	s_and_b64 s[12:13], s[10:11], s[12:13]
	s_mov_b64 exec, s[12:13]
; %bb.848:
	ds_write_b32 v23, v26
; %bb.849:
	s_or_b64 exec, exec, s[10:11]
	s_waitcnt lgkmcnt(0)
	s_barrier
	s_and_saveexec_b64 s[10:11], s[92:93]
	s_cbranch_execz .LBB19_851
; %bb.850:
	v_lshlrev_b32_e32 v24, 2, v22
	ds_read_b32 v24, v24 offset:15040
	ds_read_b32 v25, v23
	s_waitcnt lgkmcnt(0)
	v_fmac_f32_e32 v26, v24, v25
.LBB19_851:
	s_or_b64 exec, exec, s[10:11]
	s_barrier
	s_and_saveexec_b64 s[10:11], s[94:95]
; %bb.852:
	ds_write_b32 v23, v26
; %bb.853:
	s_or_b64 exec, exec, s[10:11]
	s_waitcnt lgkmcnt(0)
	s_barrier
	s_and_saveexec_b64 s[10:11], s[72:73]
	s_cbranch_execz .LBB19_855
; %bb.854:
	v_lshlrev_b32_e32 v24, 2, v22
	ds_read_b32 v24, v24 offset:15296
	ds_read_b32 v25, v23
	s_waitcnt lgkmcnt(0)
	v_fmac_f32_e32 v26, v24, v25
.LBB19_855:
	s_or_b64 exec, exec, s[10:11]
	s_barrier
	s_and_saveexec_b64 s[10:11], s[74:75]
	;; [unrolled: 18-line block ×4, first 2 shown]
; %bb.864:
	ds_write_b32 v23, v26
; %bb.865:
	s_or_b64 exec, exec, s[10:11]
	s_waitcnt lgkmcnt(0)
	s_barrier
	s_and_saveexec_b64 s[10:11], s[88:89]
	s_cbranch_execz .LBB19_867
; %bb.866:
	v_mov_b32_e32 v22, 0
	ds_read_b32 v22, v22 offset:16124
	ds_read_b32 v24, v23
	s_waitcnt lgkmcnt(0)
	v_fmac_f32_e32 v26, v22, v24
.LBB19_867:
	s_or_b64 exec, exec, s[10:11]
	s_barrier
	s_and_saveexec_b64 s[10:11], s[88:89]
; %bb.868:
	ds_write_b32 v23, v26
; %bb.869:
	s_or_b64 exec, exec, s[10:11]
	s_waitcnt lgkmcnt(0)
	s_barrier
	s_barrier
	s_and_saveexec_b64 s[10:11], s[8:9]
; %bb.870:
	v_xor_b32_e32 v22, 0x80000000, v26
	ds_write_b32 v21, v22 offset:8384
; %bb.871:
	s_or_b64 exec, exec, s[10:11]
	s_waitcnt lgkmcnt(0)
	s_barrier
	s_barrier
	s_and_saveexec_b64 s[8:9], vcc
; %bb.872:
	s_movk_i32 s10, 0x3000
	v_mov_b32_e32 v21, 1.0
	v_add_u32_e64 v22, s10, 0
	ds_write2_b32 v22, v21, v21 offset0:48 offset1:113
; %bb.873:
	s_or_b64 exec, exec, s[8:9]
	v_mov_b32_e32 v21, 0
	s_waitcnt lgkmcnt(0)
	s_barrier
	s_and_saveexec_b64 s[10:11], s[0:1]
	s_cbranch_execz .LBB19_877
; %bb.874:
	v_mul_u32_u24_e32 v21, 0x104, v5
	ds_read_b32 v23, v2 offset:12488
	ds_read_b32 v21, v21 offset:12480
	v_mov_b32_e32 v22, 0
	v_cmp_gt_u32_e64 s[8:9], 2, v4
	s_waitcnt lgkmcnt(0)
	v_fma_f32 v21, v23, v21, 0
	s_and_saveexec_b64 s[12:13], s[8:9]
	s_cbranch_execz .LBB19_876
; %bb.875:
	v_lshlrev_b32_e32 v23, 2, v0
	ds_read_b32 v23, v23 offset:12744
	ds_read_b32 v22, v22 offset:12484
	s_waitcnt lgkmcnt(0)
	v_fmac_f32_e32 v21, v23, v22
.LBB19_876:
	s_or_b64 exec, exec, s[12:13]
	v_xor_b32_e32 v21, 0x80000000, v21
.LBB19_877:
	s_or_b64 exec, exec, s[10:11]
	s_and_saveexec_b64 s[8:9], s[28:29]
; %bb.878:
	ds_write_b32 v3, v21
; %bb.879:
	s_or_b64 exec, exec, s[8:9]
	s_waitcnt lgkmcnt(0)
	s_barrier
	s_and_saveexec_b64 s[8:9], s[26:27]
	s_cbranch_execz .LBB19_881
; %bb.880:
	v_mov_b32_e32 v22, 0
	ds_read_b32 v22, v22 offset:13004
	ds_read_b32 v23, v3
	s_waitcnt lgkmcnt(0)
	v_fmac_f32_e32 v21, v22, v23
.LBB19_881:
	s_or_b64 exec, exec, s[8:9]
	s_barrier
	s_and_saveexec_b64 s[8:9], s[26:27]
; %bb.882:
	ds_write_b32 v3, v21
; %bb.883:
	s_or_b64 exec, exec, s[8:9]
	s_waitcnt lgkmcnt(0)
	s_barrier
	s_barrier
	s_and_saveexec_b64 s[8:9], s[0:1]
; %bb.884:
	v_xor_b32_e32 v21, 0x80000000, v21
	ds_write_b32 v2, v21 offset:12488
; %bb.885:
	s_or_b64 exec, exec, s[8:9]
	s_waitcnt lgkmcnt(0)
	s_barrier
	s_barrier
	s_and_saveexec_b64 s[8:9], vcc
; %bb.886:
	s_movk_i32 s10, 0x3000
	v_mov_b32_e32 v21, 1.0
	v_add_u32_e64 v22, s10, 0
	ds_write2_b32 v22, v21, v21 offset0:178 offset1:243
; %bb.887:
	s_or_b64 exec, exec, s[8:9]
	v_mov_b32_e32 v21, 0
	s_waitcnt lgkmcnt(0)
	s_barrier
	s_and_saveexec_b64 s[10:11], s[2:3]
	s_cbranch_execz .LBB19_893
; %bb.888:
	v_mul_u32_u24_e32 v22, 0x104, v15
	ds_read_b32 v21, v11 offset:12496
	ds_read_b32 v23, v22 offset:12480
	v_cmp_gt_u32_e64 s[8:9], 12, v4
	s_waitcnt lgkmcnt(0)
	v_fma_f32 v21, v21, v23, 0
	s_and_saveexec_b64 s[12:13], s[8:9]
	s_cbranch_execnz .LBB19_1150
; %bb.889:
	s_or_b64 exec, exec, s[12:13]
	v_cmp_gt_u32_e64 s[8:9], 8, v4
	s_and_saveexec_b64 s[12:13], s[8:9]
	s_cbranch_execnz .LBB19_1151
.LBB19_890:
	s_or_b64 exec, exec, s[12:13]
	v_cmp_gt_u32_e64 s[8:9], 4, v4
	s_and_saveexec_b64 s[12:13], s[8:9]
	s_cbranch_execz .LBB19_892
.LBB19_891:
	v_lshlrev_b32_e32 v22, 2, v0
	v_mov_b32_e32 v23, 0
	ds_read_b32 v22, v22 offset:13264
	ds_read_b32 v23, v23 offset:12492
	s_waitcnt lgkmcnt(0)
	v_fmac_f32_e32 v21, v22, v23
.LBB19_892:
	s_or_b64 exec, exec, s[12:13]
	v_xor_b32_e32 v21, 0x80000000, v21
.LBB19_893:
	s_or_b64 exec, exec, s[10:11]
	s_and_saveexec_b64 s[8:9], s[34:35]
; %bb.894:
	ds_write_b32 v13, v21
; %bb.895:
	s_or_b64 exec, exec, s[8:9]
	s_waitcnt lgkmcnt(0)
	s_barrier
	s_and_saveexec_b64 s[8:9], s[36:37]
	s_cbranch_execz .LBB19_897
; %bb.896:
	ds_read_b32 v22, v12 offset:13520
	ds_read_b32 v23, v13
	s_waitcnt lgkmcnt(0)
	v_fmac_f32_e32 v21, v22, v23
.LBB19_897:
	s_or_b64 exec, exec, s[8:9]
	s_barrier
	s_and_saveexec_b64 s[8:9], s[38:39]
; %bb.898:
	ds_write_b32 v13, v21
; %bb.899:
	s_or_b64 exec, exec, s[8:9]
	s_waitcnt lgkmcnt(0)
	s_barrier
	s_and_saveexec_b64 s[8:9], s[40:41]
	s_cbranch_execz .LBB19_901
; %bb.900:
	ds_read_b32 v22, v12 offset:13776
	ds_read_b32 v23, v13
	s_waitcnt lgkmcnt(0)
	v_fmac_f32_e32 v21, v22, v23
.LBB19_901:
	s_or_b64 exec, exec, s[8:9]
	s_barrier
	s_and_saveexec_b64 s[8:9], s[42:43]
; %bb.902:
	ds_write_b32 v13, v21
; %bb.903:
	s_or_b64 exec, exec, s[8:9]
	s_waitcnt lgkmcnt(0)
	s_barrier
	s_and_saveexec_b64 s[8:9], s[30:31]
	s_cbranch_execz .LBB19_905
; %bb.904:
	v_mov_b32_e32 v22, 0
	ds_read_b32 v22, v22 offset:14044
	ds_read_b32 v23, v13
	s_waitcnt lgkmcnt(0)
	v_fmac_f32_e32 v21, v22, v23
.LBB19_905:
	s_or_b64 exec, exec, s[8:9]
	s_barrier
	s_and_saveexec_b64 s[8:9], s[30:31]
; %bb.906:
	ds_write_b32 v13, v21
; %bb.907:
	s_or_b64 exec, exec, s[8:9]
	s_waitcnt lgkmcnt(0)
	s_barrier
	s_barrier
	s_and_saveexec_b64 s[8:9], s[2:3]
; %bb.908:
	v_xor_b32_e32 v21, 0x80000000, v21
	ds_write_b32 v11, v21 offset:12496
; %bb.909:
	s_or_b64 exec, exec, s[8:9]
	s_waitcnt lgkmcnt(0)
	s_barrier
	s_barrier
	s_and_saveexec_b64 s[8:9], vcc
; %bb.910:
	s_movk_i32 s10, 0x3400
	v_mov_b32_e32 v21, 1.0
	v_add_u32_e64 v22, s10, 0
	ds_write2_b32 v22, v21, v21 offset0:52 offset1:117
; %bb.911:
	s_or_b64 exec, exec, s[8:9]
	v_mov_b32_e32 v21, 0
	s_waitcnt lgkmcnt(0)
	s_barrier
	s_and_saveexec_b64 s[10:11], s[0:1]
	s_cbranch_execz .LBB19_915
; %bb.912:
	v_mul_u32_u24_e32 v21, 0x104, v5
	ds_read_b32 v23, v2 offset:13528
	ds_read_b32 v21, v21 offset:13520
	v_mov_b32_e32 v22, 0
	v_cmp_gt_u32_e64 s[8:9], 2, v4
	s_waitcnt lgkmcnt(0)
	v_fma_f32 v21, v23, v21, 0
	s_and_saveexec_b64 s[12:13], s[8:9]
	s_cbranch_execz .LBB19_914
; %bb.913:
	v_lshlrev_b32_e32 v23, 2, v0
	ds_read_b32 v23, v23 offset:13784
	ds_read_b32 v22, v22 offset:13524
	s_waitcnt lgkmcnt(0)
	v_fmac_f32_e32 v21, v23, v22
.LBB19_914:
	s_or_b64 exec, exec, s[12:13]
	v_xor_b32_e32 v21, 0x80000000, v21
.LBB19_915:
	s_or_b64 exec, exec, s[10:11]
	s_and_saveexec_b64 s[8:9], s[28:29]
; %bb.916:
	ds_write_b32 v3, v21
; %bb.917:
	s_or_b64 exec, exec, s[8:9]
	s_waitcnt lgkmcnt(0)
	s_barrier
	s_and_saveexec_b64 s[8:9], s[26:27]
	s_cbranch_execz .LBB19_919
; %bb.918:
	v_mov_b32_e32 v22, 0
	ds_read_b32 v22, v22 offset:14044
	ds_read_b32 v23, v3
	s_waitcnt lgkmcnt(0)
	v_fmac_f32_e32 v21, v22, v23
.LBB19_919:
	s_or_b64 exec, exec, s[8:9]
	s_barrier
	s_and_saveexec_b64 s[8:9], s[26:27]
; %bb.920:
	ds_write_b32 v3, v21
; %bb.921:
	s_or_b64 exec, exec, s[8:9]
	s_waitcnt lgkmcnt(0)
	s_barrier
	s_barrier
	s_and_saveexec_b64 s[8:9], s[0:1]
; %bb.922:
	v_xor_b32_e32 v21, 0x80000000, v21
	ds_write_b32 v2, v21 offset:13528
; %bb.923:
	s_or_b64 exec, exec, s[8:9]
	s_waitcnt lgkmcnt(0)
	s_barrier
	s_barrier
	s_and_saveexec_b64 s[8:9], vcc
; %bb.924:
	s_movk_i32 s10, 0x3400
	v_mov_b32_e32 v21, 1.0
	v_add_u32_e64 v22, s10, 0
	ds_write2_b32 v22, v21, v21 offset0:182 offset1:247
; %bb.925:
	s_or_b64 exec, exec, s[8:9]
	v_mov_b32_e32 v21, 0
	s_waitcnt lgkmcnt(0)
	s_barrier
	s_and_saveexec_b64 s[10:11], s[14:15]
	s_cbranch_execz .LBB19_935
; %bb.926:
	v_mul_u32_u24_e32 v22, 0x104, v20
	ds_read_b32 v21, v16 offset:12512
	ds_read_b32 v23, v22 offset:12480
	v_cmp_gt_u32_e64 s[8:9], 56, v4
	s_waitcnt lgkmcnt(0)
	v_fma_f32 v21, v21, v23, 0
	s_and_saveexec_b64 s[12:13], s[8:9]
	s_cbranch_execnz .LBB19_1152
; %bb.927:
	s_or_b64 exec, exec, s[12:13]
	v_cmp_gt_u32_e64 s[8:9], 48, v4
	s_and_saveexec_b64 s[12:13], s[8:9]
	s_cbranch_execnz .LBB19_1153
.LBB19_928:
	s_or_b64 exec, exec, s[12:13]
	v_cmp_gt_u32_e64 s[8:9], 40, v4
	s_and_saveexec_b64 s[12:13], s[8:9]
	s_cbranch_execnz .LBB19_1154
.LBB19_929:
	s_or_b64 exec, exec, s[12:13]
	v_cmp_gt_u32_e64 s[8:9], 32, v4
	s_and_saveexec_b64 s[12:13], s[8:9]
	s_cbranch_execnz .LBB19_1155
.LBB19_930:
	s_or_b64 exec, exec, s[12:13]
	v_cmp_gt_u32_e64 s[8:9], 24, v4
	s_and_saveexec_b64 s[12:13], s[8:9]
	s_cbranch_execnz .LBB19_1156
.LBB19_931:
	s_or_b64 exec, exec, s[12:13]
	v_cmp_gt_u32_e64 s[8:9], 16, v4
	s_and_saveexec_b64 s[12:13], s[8:9]
	s_cbranch_execnz .LBB19_1157
.LBB19_932:
	s_or_b64 exec, exec, s[12:13]
	v_cmp_gt_u32_e64 s[8:9], 8, v4
	s_and_saveexec_b64 s[12:13], s[8:9]
	s_cbranch_execz .LBB19_934
.LBB19_933:
	v_lshlrev_b32_e32 v19, 2, v0
	v_mov_b32_e32 v20, 0
	ds_read_b32 v19, v19 offset:14304
	ds_read_b32 v20, v20 offset:12508
	s_waitcnt lgkmcnt(0)
	v_fmac_f32_e32 v21, v19, v20
.LBB19_934:
	s_or_b64 exec, exec, s[12:13]
	v_xor_b32_e32 v21, 0x80000000, v21
.LBB19_935:
	s_or_b64 exec, exec, s[10:11]
	s_and_saveexec_b64 s[8:9], s[44:45]
; %bb.936:
	ds_write_b32 v18, v21
; %bb.937:
	s_or_b64 exec, exec, s[8:9]
	s_waitcnt lgkmcnt(0)
	s_barrier
	s_and_saveexec_b64 s[8:9], s[46:47]
	s_cbranch_execz .LBB19_939
; %bb.938:
	ds_read_b32 v19, v17 offset:14560
	ds_read_b32 v20, v18
	s_waitcnt lgkmcnt(0)
	v_fmac_f32_e32 v21, v19, v20
.LBB19_939:
	s_or_b64 exec, exec, s[8:9]
	s_barrier
	s_and_saveexec_b64 s[8:9], s[48:49]
; %bb.940:
	ds_write_b32 v18, v21
; %bb.941:
	s_or_b64 exec, exec, s[8:9]
	s_waitcnt lgkmcnt(0)
	s_barrier
	s_and_saveexec_b64 s[8:9], s[50:51]
	s_cbranch_execz .LBB19_943
; %bb.942:
	ds_read_b32 v19, v17 offset:14816
	ds_read_b32 v20, v18
	s_waitcnt lgkmcnt(0)
	v_fmac_f32_e32 v21, v19, v20
.LBB19_943:
	s_or_b64 exec, exec, s[8:9]
	s_barrier
	;; [unrolled: 17-line block ×6, first 2 shown]
	s_and_saveexec_b64 s[8:9], s[70:71]
; %bb.960:
	ds_write_b32 v18, v21
; %bb.961:
	s_or_b64 exec, exec, s[8:9]
	s_waitcnt lgkmcnt(0)
	s_barrier
	s_and_saveexec_b64 s[8:9], s[52:53]
	s_cbranch_execz .LBB19_963
; %bb.962:
	v_mov_b32_e32 v17, 0
	ds_read_b32 v17, v17 offset:16124
	ds_read_b32 v19, v18
	s_waitcnt lgkmcnt(0)
	v_fmac_f32_e32 v21, v17, v19
.LBB19_963:
	s_or_b64 exec, exec, s[8:9]
	s_barrier
	s_and_saveexec_b64 s[8:9], s[52:53]
; %bb.964:
	ds_write_b32 v18, v21
; %bb.965:
	s_or_b64 exec, exec, s[8:9]
	s_waitcnt lgkmcnt(0)
	s_barrier
	s_barrier
	s_and_saveexec_b64 s[8:9], s[14:15]
; %bb.966:
	v_xor_b32_e32 v17, 0x80000000, v21
	ds_write_b32 v16, v17 offset:12512
; %bb.967:
	s_or_b64 exec, exec, s[8:9]
	s_waitcnt lgkmcnt(0)
	s_barrier
	s_barrier
	s_and_saveexec_b64 s[8:9], vcc
; %bb.968:
	s_movk_i32 s10, 0x3800
	v_mov_b32_e32 v16, 1.0
	v_add_u32_e64 v17, s10, 0
	ds_write2_b32 v17, v16, v16 offset0:56 offset1:121
; %bb.969:
	s_or_b64 exec, exec, s[8:9]
	v_mov_b32_e32 v16, 0
	s_waitcnt lgkmcnt(0)
	s_barrier
	s_and_saveexec_b64 s[10:11], s[0:1]
	s_cbranch_execz .LBB19_973
; %bb.970:
	v_mul_u32_u24_e32 v16, 0x104, v5
	ds_read_b32 v18, v2 offset:14568
	ds_read_b32 v16, v16 offset:14560
	v_mov_b32_e32 v17, 0
	v_cmp_gt_u32_e64 s[8:9], 2, v4
	s_waitcnt lgkmcnt(0)
	v_fma_f32 v16, v18, v16, 0
	s_and_saveexec_b64 s[12:13], s[8:9]
	s_cbranch_execz .LBB19_972
; %bb.971:
	v_lshlrev_b32_e32 v18, 2, v0
	ds_read_b32 v18, v18 offset:14824
	ds_read_b32 v17, v17 offset:14564
	s_waitcnt lgkmcnt(0)
	v_fmac_f32_e32 v16, v18, v17
.LBB19_972:
	s_or_b64 exec, exec, s[12:13]
	v_xor_b32_e32 v16, 0x80000000, v16
.LBB19_973:
	s_or_b64 exec, exec, s[10:11]
	s_and_saveexec_b64 s[8:9], s[28:29]
; %bb.974:
	ds_write_b32 v3, v16
; %bb.975:
	s_or_b64 exec, exec, s[8:9]
	s_waitcnt lgkmcnt(0)
	s_barrier
	s_and_saveexec_b64 s[8:9], s[26:27]
	s_cbranch_execz .LBB19_977
; %bb.976:
	v_mov_b32_e32 v17, 0
	ds_read_b32 v17, v17 offset:15084
	ds_read_b32 v18, v3
	s_waitcnt lgkmcnt(0)
	v_fmac_f32_e32 v16, v17, v18
.LBB19_977:
	s_or_b64 exec, exec, s[8:9]
	s_barrier
	s_and_saveexec_b64 s[8:9], s[26:27]
; %bb.978:
	ds_write_b32 v3, v16
; %bb.979:
	s_or_b64 exec, exec, s[8:9]
	s_waitcnt lgkmcnt(0)
	s_barrier
	s_barrier
	s_and_saveexec_b64 s[8:9], s[0:1]
; %bb.980:
	v_xor_b32_e32 v16, 0x80000000, v16
	ds_write_b32 v2, v16 offset:14568
; %bb.981:
	s_or_b64 exec, exec, s[8:9]
	s_waitcnt lgkmcnt(0)
	s_barrier
	s_barrier
	s_and_saveexec_b64 s[8:9], vcc
; %bb.982:
	s_movk_i32 s10, 0x3800
	v_mov_b32_e32 v16, 1.0
	v_add_u32_e64 v17, s10, 0
	ds_write2_b32 v17, v16, v16 offset0:186 offset1:251
; %bb.983:
	s_or_b64 exec, exec, s[8:9]
	v_mov_b32_e32 v16, 0
	s_waitcnt lgkmcnt(0)
	s_barrier
	s_and_saveexec_b64 s[10:11], s[2:3]
	s_cbranch_execz .LBB19_989
; %bb.984:
	v_mul_u32_u24_e32 v17, 0x104, v15
	ds_read_b32 v16, v11 offset:14576
	ds_read_b32 v18, v17 offset:14560
	v_cmp_gt_u32_e64 s[8:9], 12, v4
	s_waitcnt lgkmcnt(0)
	v_fma_f32 v16, v16, v18, 0
	s_and_saveexec_b64 s[12:13], s[8:9]
	s_cbranch_execnz .LBB19_1158
; %bb.985:
	s_or_b64 exec, exec, s[12:13]
	v_cmp_gt_u32_e64 s[8:9], 8, v4
	s_and_saveexec_b64 s[12:13], s[8:9]
	s_cbranch_execnz .LBB19_1159
.LBB19_986:
	s_or_b64 exec, exec, s[12:13]
	v_cmp_gt_u32_e64 s[8:9], 4, v4
	s_and_saveexec_b64 s[12:13], s[8:9]
	s_cbranch_execz .LBB19_988
.LBB19_987:
	v_lshlrev_b32_e32 v14, 2, v0
	v_mov_b32_e32 v15, 0
	ds_read_b32 v14, v14 offset:15344
	ds_read_b32 v15, v15 offset:14572
	s_waitcnt lgkmcnt(0)
	v_fmac_f32_e32 v16, v14, v15
.LBB19_988:
	s_or_b64 exec, exec, s[12:13]
	v_xor_b32_e32 v16, 0x80000000, v16
.LBB19_989:
	s_or_b64 exec, exec, s[10:11]
	s_and_saveexec_b64 s[8:9], s[34:35]
; %bb.990:
	ds_write_b32 v13, v16
; %bb.991:
	s_or_b64 exec, exec, s[8:9]
	s_waitcnt lgkmcnt(0)
	s_barrier
	s_and_saveexec_b64 s[8:9], s[36:37]
	s_cbranch_execz .LBB19_993
; %bb.992:
	ds_read_b32 v14, v12 offset:15600
	ds_read_b32 v15, v13
	s_waitcnt lgkmcnt(0)
	v_fmac_f32_e32 v16, v14, v15
.LBB19_993:
	s_or_b64 exec, exec, s[8:9]
	s_barrier
	s_and_saveexec_b64 s[8:9], s[38:39]
; %bb.994:
	ds_write_b32 v13, v16
; %bb.995:
	s_or_b64 exec, exec, s[8:9]
	s_waitcnt lgkmcnt(0)
	s_barrier
	s_and_saveexec_b64 s[8:9], s[40:41]
	s_cbranch_execz .LBB19_997
; %bb.996:
	ds_read_b32 v12, v12 offset:15856
	ds_read_b32 v14, v13
	s_waitcnt lgkmcnt(0)
	v_fmac_f32_e32 v16, v12, v14
.LBB19_997:
	s_or_b64 exec, exec, s[8:9]
	s_barrier
	s_and_saveexec_b64 s[8:9], s[42:43]
; %bb.998:
	ds_write_b32 v13, v16
; %bb.999:
	s_or_b64 exec, exec, s[8:9]
	s_waitcnt lgkmcnt(0)
	s_barrier
	s_and_saveexec_b64 s[8:9], s[30:31]
	s_cbranch_execz .LBB19_1001
; %bb.1000:
	v_mov_b32_e32 v12, 0
	ds_read_b32 v12, v12 offset:16124
	ds_read_b32 v14, v13
	s_waitcnt lgkmcnt(0)
	v_fmac_f32_e32 v16, v12, v14
.LBB19_1001:
	s_or_b64 exec, exec, s[8:9]
	s_barrier
	s_and_saveexec_b64 s[8:9], s[30:31]
; %bb.1002:
	ds_write_b32 v13, v16
; %bb.1003:
	s_or_b64 exec, exec, s[8:9]
	s_waitcnt lgkmcnt(0)
	s_barrier
	s_barrier
	s_and_saveexec_b64 s[8:9], s[2:3]
; %bb.1004:
	v_xor_b32_e32 v12, 0x80000000, v16
	ds_write_b32 v11, v12 offset:14576
; %bb.1005:
	s_or_b64 exec, exec, s[8:9]
	s_waitcnt lgkmcnt(0)
	s_barrier
	s_barrier
	s_and_saveexec_b64 s[2:3], vcc
; %bb.1006:
	s_movk_i32 s8, 0x3c00
	v_mov_b32_e32 v11, 1.0
	v_add_u32_e64 v12, s8, 0
	ds_write2_b32 v12, v11, v11 offset0:60 offset1:125
; %bb.1007:
	s_or_b64 exec, exec, s[2:3]
	v_mov_b32_e32 v11, 0
	s_waitcnt lgkmcnt(0)
	s_barrier
	s_and_saveexec_b64 s[8:9], s[0:1]
	s_cbranch_execz .LBB19_1011
; %bb.1008:
	v_mul_u32_u24_e32 v5, 0x104, v5
	ds_read_b32 v12, v2 offset:15608
	ds_read_b32 v5, v5 offset:15600
	v_mov_b32_e32 v11, 0
	v_cmp_gt_u32_e64 s[2:3], 2, v4
	s_waitcnt lgkmcnt(0)
	v_fma_f32 v5, v12, v5, 0
	s_and_saveexec_b64 s[10:11], s[2:3]
	s_cbranch_execz .LBB19_1010
; %bb.1009:
	v_lshlrev_b32_e32 v4, 2, v0
	ds_read_b32 v4, v4 offset:15864
	ds_read_b32 v11, v11 offset:15604
	s_waitcnt lgkmcnt(0)
	v_fmac_f32_e32 v5, v4, v11
.LBB19_1010:
	s_or_b64 exec, exec, s[10:11]
	v_xor_b32_e32 v11, 0x80000000, v5
.LBB19_1011:
	s_or_b64 exec, exec, s[8:9]
	s_and_saveexec_b64 s[2:3], s[28:29]
; %bb.1012:
	ds_write_b32 v3, v11
; %bb.1013:
	s_or_b64 exec, exec, s[2:3]
	s_waitcnt lgkmcnt(0)
	s_barrier
	s_and_saveexec_b64 s[2:3], s[26:27]
	s_load_dword s28, s[4:5], 0x6c
	s_cbranch_execz .LBB19_1015
; %bb.1014:
	v_mov_b32_e32 v4, 0
	ds_read_b32 v4, v4 offset:16124
	ds_read_b32 v5, v3
	s_waitcnt lgkmcnt(0)
	v_fmac_f32_e32 v11, v4, v5
.LBB19_1015:
	s_or_b64 exec, exec, s[2:3]
	s_waitcnt lgkmcnt(0)
	s_barrier
	s_and_saveexec_b64 s[2:3], s[26:27]
; %bb.1016:
	ds_write_b32 v3, v11
; %bb.1017:
	s_or_b64 exec, exec, s[2:3]
	s_waitcnt lgkmcnt(0)
	s_barrier
	s_barrier
	s_and_saveexec_b64 s[2:3], s[0:1]
; %bb.1018:
	v_xor_b32_e32 v3, 0x80000000, v11
	ds_write_b32 v2, v3 offset:15608
; %bb.1019:
	s_or_b64 exec, exec, s[2:3]
	s_waitcnt lgkmcnt(0)
	s_barrier
	s_barrier
	s_and_saveexec_b64 s[0:1], vcc
; %bb.1020:
	s_movk_i32 s2, 0x3c00
	v_mov_b32_e32 v2, 1.0
	v_add_u32_e64 v3, s2, 0
	ds_write2_b32 v3, v2, v2 offset0:190 offset1:255
; %bb.1021:
	s_or_b64 exec, exec, s[0:1]
.LBB19_1022:
	s_load_dwordx8 s[8:15], s[4:5], 0x30
	s_load_dwordx2 s[16:17], s[4:5], 0x50
	v_cmp_le_i32_e32 vcc, s7, v0
	v_mov_b32_e32 v12, 0
	v_lshl_add_u32 v2, s6, 6, v0
	s_waitcnt lgkmcnt(0)
	s_mul_i32 s1, s15, s24
	s_mul_hi_u32 s2, s14, s24
	s_mul_i32 s0, s14, s24
	s_add_i32 s1, s2, s1
	s_lshl_b64 s[0:1], s[0:1], 2
	s_add_u32 s2, s8, s0
	s_addc_u32 s3, s9, s1
	s_lshl_b64 s[0:1], s[10:11], 2
	s_add_u32 s36, s2, s0
	s_addc_u32 s37, s3, s1
	s_and_b64 s[14:15], vcc, s[18:19]
	v_cmp_eq_u32_e64 s[0:1], 0, v1
	s_xor_b64 s[2:3], s[14:15], -1
	s_and_b64 s[8:9], s[0:1], s[2:3]
	s_barrier
	s_and_saveexec_b64 s[2:3], s[8:9]
	s_cbranch_execz .LBB19_1024
; %bb.1023:
	v_ashrrev_i32_e32 v5, 31, v2
	v_mul_lo_u32 v11, s13, v2
	v_mad_u64_u32 v[3:4], s[8:9], s12, v2, 0
	v_mul_lo_u32 v5, s12, v5
	s_load_dword s4, s[4:5], 0x28
	v_add3_u32 v4, v4, v5, v11
	v_lshlrev_b64 v[3:4], 2, v[3:4]
	v_mov_b32_e32 v5, s37
	v_add_co_u32_e32 v3, vcc, s36, v3
	v_addc_co_u32_e32 v4, vcc, v5, v4, vcc
	global_load_dword v3, v[3:4], off
	s_waitcnt vmcnt(0) lgkmcnt(0)
	v_mul_f32_e64 v12, v3, -s4
.LBB19_1024:
	s_or_b64 exec, exec, s[2:3]
	s_and_b32 s2, 0xffff, s28
	v_mad_u32_u24 v11, v1, s2, v0
	s_cmp_lt_i32 s6, 1
	v_cmp_eq_u32_e64 s[2:3], 0, v11
	s_cbranch_scc1 .LBB19_1050
; %bb.1025:
	v_mov_b32_e32 v3, 0
	v_mov_b32_e32 v4, 0x5000
	v_lshl_add_u32 v13, v11, 2, v4
	v_lshl_or_b32 v14, v1, 2, v4
	v_lshlrev_b64 v[4:5], 2, v[2:3]
	s_lshl_b64 s[4:5], s[24:25], 2
	s_add_u32 s26, s16, s4
	v_cmp_gt_i32_e64 s[10:11], s33, v2
	v_mov_b32_e32 v15, s91
	v_add_co_u32_e32 v2, vcc, s90, v4
	s_mul_i32 s8, s21, 0xc0
	s_mul_hi_u32 s9, s20, 0xc0
	s_mov_b32 s38, 0
	s_addc_u32 s27, s17, s5
	v_cmp_gt_u32_e64 s[4:5], 64, v11
	s_add_i32 s39, s6, -1
	v_addc_co_u32_e32 v15, vcc, v15, v5, vcc
	s_lshl_b64 s[28:29], s[20:21], 6
	s_lshl_b64 s[30:31], s[20:21], 7
	s_add_i32 s40, s9, s8
	s_mul_i32 s41, s20, 0xc0
	v_mov_b32_e32 v16, -1
	s_branch .LBB19_1028
.LBB19_1026:                            ;   in Loop: Header=BB19_1028 Depth=1
	ds_read_b32 v4, v14 offset:192
	s_waitcnt vmcnt(0) lgkmcnt(0)
	v_fmac_f32_e32 v12, v17, v4
.LBB19_1027:                            ;   in Loop: Header=BB19_1028 Depth=1
	s_or_b64 exec, exec, s[34:35]
	s_add_i32 s38, s38, 1
	s_cmp_eq_u32 s38, s6
	s_cbranch_scc1 .LBB19_1050
.LBB19_1028:                            ; =>This Loop Header: Depth=1
                                        ;     Child Loop BB19_1030 Depth 2
	v_cmp_gt_i32_e32 vcc, s38, v16
	s_and_b64 s[34:35], s[2:3], vcc
	s_and_saveexec_b64 s[8:9], s[34:35]
	s_cbranch_execz .LBB19_1031
; %bb.1029:                             ;   in Loop: Header=BB19_1028 Depth=1
	global_load_dword v16, v3, s[26:27]
	s_waitcnt vmcnt(0)
	v_cmp_le_i32_e32 vcc, s38, v16
	s_cbranch_vccnz .LBB19_1031
.LBB19_1030:                            ;   Parent Loop BB19_1028 Depth=1
                                        ; =>  This Inner Loop Header: Depth=2
	buffer_wbinvl1_vol
	global_load_dword v16, v3, s[26:27]
	s_waitcnt vmcnt(0)
	v_cmp_gt_i32_e32 vcc, s38, v16
	s_cbranch_vccnz .LBB19_1030
.LBB19_1031:                            ;   in Loop: Header=BB19_1028 Depth=1
	s_or_b64 exec, exec, s[8:9]
	s_lshl_b32 s42, s38, 6
	buffer_wbinvl1_vol
	s_barrier
	s_and_saveexec_b64 s[8:9], s[4:5]
	s_cbranch_execz .LBB19_1035
; %bb.1032:                             ;   in Loop: Header=BB19_1028 Depth=1
	v_or_b32_e32 v5, s42, v11
	v_cmp_gt_i32_e32 vcc, s33, v5
	v_mov_b32_e32 v4, 0
	s_and_saveexec_b64 s[34:35], vcc
	s_cbranch_execz .LBB19_1034
; %bb.1033:                             ;   in Loop: Header=BB19_1028 Depth=1
	v_mad_u64_u32 v[17:18], s[44:45], s12, v5, 0
	v_mov_b32_e32 v19, s37
	v_mov_b32_e32 v4, v18
	v_mad_u64_u32 v[4:5], s[44:45], s13, v5, v[4:5]
	v_mov_b32_e32 v18, v4
	v_lshlrev_b64 v[4:5], 2, v[17:18]
	v_add_co_u32_e32 v4, vcc, s36, v4
	v_addc_co_u32_e32 v5, vcc, v19, v5, vcc
	global_load_dword v4, v[4:5], off
.LBB19_1034:                            ;   in Loop: Header=BB19_1028 Depth=1
	s_or_b64 exec, exec, s[34:35]
	s_waitcnt vmcnt(0)
	ds_write_b32 v13, v4
.LBB19_1035:                            ;   in Loop: Header=BB19_1028 Depth=1
	s_or_b64 exec, exec, s[8:9]
	v_add_u32_e32 v17, s42, v1
	v_mad_u64_u32 v[4:5], s[8:9], s20, v17, 0
	s_cmp_lg_u32 s38, s39
	s_waitcnt lgkmcnt(0)
	v_mad_u64_u32 v[18:19], s[8:9], s21, v17, v[5:6]
	s_cselect_b64 s[8:9], -1, 0
	s_barrier
	v_mov_b32_e32 v5, v18
	v_lshlrev_b64 v[4:5], 2, v[4:5]
	v_cndmask_b32_e64 v18, 0, 1, s[8:9]
	v_add_co_u32_e32 v4, vcc, v2, v4
	v_addc_co_u32_e32 v5, vcc, v15, v5, vcc
	v_cmp_gt_i32_e32 vcc, s33, v17
	s_and_b64 s[42:43], s[10:11], vcc
	v_cmp_ne_u32_e64 s[8:9], 1, v18
	s_and_saveexec_b64 s[34:35], s[42:43]
	s_cbranch_execz .LBB19_1039
; %bb.1036:                             ;   in Loop: Header=BB19_1028 Depth=1
	s_and_b64 vcc, exec, s[8:9]
	v_mov_b32_e32 v18, v7
	s_cbranch_vccnz .LBB19_1038
; %bb.1037:                             ;   in Loop: Header=BB19_1028 Depth=1
	global_load_dword v18, v[4:5], off
.LBB19_1038:                            ;   in Loop: Header=BB19_1028 Depth=1
	ds_read_b32 v19, v14
	s_waitcnt vmcnt(0) lgkmcnt(0)
	v_fmac_f32_e32 v12, v18, v19
.LBB19_1039:                            ;   in Loop: Header=BB19_1028 Depth=1
	s_or_b64 exec, exec, s[34:35]
	v_add_u32_e32 v18, 16, v17
	v_cmp_gt_i32_e32 vcc, s33, v18
	s_and_b64 s[42:43], s[10:11], vcc
	s_and_saveexec_b64 s[34:35], s[42:43]
	s_cbranch_execz .LBB19_1043
; %bb.1040:                             ;   in Loop: Header=BB19_1028 Depth=1
	s_and_b64 vcc, exec, s[8:9]
	v_mov_b32_e32 v18, v8
	s_cbranch_vccnz .LBB19_1042
; %bb.1041:                             ;   in Loop: Header=BB19_1028 Depth=1
	v_mov_b32_e32 v19, s29
	v_add_co_u32_e32 v18, vcc, s28, v4
	v_addc_co_u32_e32 v19, vcc, v5, v19, vcc
	global_load_dword v18, v[18:19], off
.LBB19_1042:                            ;   in Loop: Header=BB19_1028 Depth=1
	ds_read_b32 v19, v14 offset:64
	s_waitcnt vmcnt(0) lgkmcnt(0)
	v_fmac_f32_e32 v12, v18, v19
.LBB19_1043:                            ;   in Loop: Header=BB19_1028 Depth=1
	s_or_b64 exec, exec, s[34:35]
	v_add_u32_e32 v18, 32, v17
	v_cmp_gt_i32_e32 vcc, s33, v18
	s_and_b64 s[42:43], s[10:11], vcc
	s_and_saveexec_b64 s[34:35], s[42:43]
	s_cbranch_execz .LBB19_1047
; %bb.1044:                             ;   in Loop: Header=BB19_1028 Depth=1
	s_and_b64 vcc, exec, s[8:9]
	v_mov_b32_e32 v18, v10
	s_cbranch_vccnz .LBB19_1046
; %bb.1045:                             ;   in Loop: Header=BB19_1028 Depth=1
	v_mov_b32_e32 v19, s31
	v_add_co_u32_e32 v18, vcc, s30, v4
	v_addc_co_u32_e32 v19, vcc, v5, v19, vcc
	global_load_dword v18, v[18:19], off
.LBB19_1046:                            ;   in Loop: Header=BB19_1028 Depth=1
	ds_read_b32 v19, v14 offset:128
	s_waitcnt vmcnt(0) lgkmcnt(0)
	v_fmac_f32_e32 v12, v18, v19
.LBB19_1047:                            ;   in Loop: Header=BB19_1028 Depth=1
	s_or_b64 exec, exec, s[34:35]
	v_add_u32_e32 v17, 48, v17
	v_cmp_gt_i32_e32 vcc, s33, v17
	s_and_b64 s[42:43], s[10:11], vcc
	s_and_saveexec_b64 s[34:35], s[42:43]
	s_cbranch_execz .LBB19_1027
; %bb.1048:                             ;   in Loop: Header=BB19_1028 Depth=1
	s_and_b64 vcc, exec, s[8:9]
	v_mov_b32_e32 v17, v9
	s_cbranch_vccnz .LBB19_1026
; %bb.1049:                             ;   in Loop: Header=BB19_1028 Depth=1
	v_mov_b32_e32 v17, s40
	v_add_co_u32_e32 v4, vcc, s41, v4
	v_addc_co_u32_e32 v5, vcc, v5, v17, vcc
	global_load_dword v17, v[4:5], off
	s_branch .LBB19_1026
.LBB19_1050:
	v_lshl_add_u32 v2, v1, 6, v0
	s_xor_b64 s[2:3], s[18:19], -1
	s_xor_b64 s[4:5], s[22:23], -1
	v_lshlrev_b32_e32 v2, 2, v2
	ds_write_b32 v2, v12 offset:16384
	s_waitcnt lgkmcnt(0)
	s_barrier
	s_and_saveexec_b64 s[8:9], s[0:1]
	s_cbranch_execz .LBB19_1052
; %bb.1051:
	v_lshlrev_b32_e32 v5, 2, v0
	ds_read2st64_b32 v[3:4], v5 offset0:65 offset1:66
	ds_read2st64_b32 v[7:8], v5 offset0:67 offset1:68
	;; [unrolled: 1-line block ×5, first 2 shown]
	s_waitcnt lgkmcnt(4)
	v_add_f32_e32 v3, v12, v3
	v_add_f32_e32 v3, v3, v4
	s_waitcnt lgkmcnt(3)
	v_add_f32_e32 v3, v3, v7
	v_add_f32_e32 v3, v3, v8
	;; [unrolled: 3-line block ×4, first 2 shown]
	ds_read2st64_b32 v[3:4], v5 offset0:75 offset1:76
	ds_read2st64_b32 v[7:8], v5 offset0:77 offset1:78
	ds_read_b32 v5, v5 offset:20224
	s_waitcnt lgkmcnt(3)
	v_add_f32_e32 v9, v9, v15
	v_add_f32_e32 v9, v9, v16
	s_waitcnt lgkmcnt(2)
	v_add_f32_e32 v3, v9, v3
	v_add_f32_e32 v3, v3, v4
	;; [unrolled: 3-line block ×3, first 2 shown]
	s_waitcnt lgkmcnt(0)
	v_add_f32_e32 v3, v3, v5
	v_cndmask_b32_e64 v12, -v3, 0, s[14:15]
.LBB19_1052:
	s_or_b64 exec, exec, s[8:9]
	s_andn2_b64 vcc, exec, s[4:5]
	s_cbranch_vccnz .LBB19_1066
; %bb.1053:
	v_mov_b32_e32 v3, 0x5000
	v_lshl_or_b32 v4, v1, 2, v3
	s_and_saveexec_b64 s[4:5], s[0:1]
; %bb.1054:
	v_lshl_add_u32 v3, v0, 2, v4
	ds_write_b32 v3, v12
; %bb.1055:
	s_or_b64 exec, exec, s[4:5]
	v_cmp_ge_u32_e32 vcc, v0, v1
	v_mov_b32_e32 v3, 0
	s_waitcnt lgkmcnt(0)
	s_barrier
	s_and_saveexec_b64 s[4:5], vcc
	s_cbranch_execz .LBB19_1057
; %bb.1056:
	ds_read_b32 v3, v2
	ds_read_b32 v5, v4
	s_waitcnt lgkmcnt(0)
	v_fma_f32 v3, v3, v5, 0
.LBB19_1057:
	s_or_b64 exec, exec, s[4:5]
	v_add_u32_e32 v5, 16, v1
	v_cmp_ge_u32_e32 vcc, v0, v5
	s_and_saveexec_b64 s[4:5], vcc
	s_cbranch_execz .LBB19_1059
; %bb.1058:
	ds_read_b32 v5, v2 offset:4096
	ds_read_b32 v7, v4 offset:64
	s_waitcnt lgkmcnt(0)
	v_fmac_f32_e32 v3, v5, v7
.LBB19_1059:
	s_or_b64 exec, exec, s[4:5]
	v_add_u32_e32 v5, 32, v1
	v_cmp_ge_u32_e32 vcc, v0, v5
	s_and_saveexec_b64 s[4:5], vcc
	s_cbranch_execz .LBB19_1061
; %bb.1060:
	ds_read_b32 v5, v2 offset:8192
	ds_read_b32 v7, v4 offset:128
	s_waitcnt lgkmcnt(0)
	v_fmac_f32_e32 v3, v5, v7
.LBB19_1061:
	s_or_b64 exec, exec, s[4:5]
	v_add_u32_e32 v1, 48, v1
	v_add_u32_e32 v5, 0x4000, v2
	v_cmp_ge_u32_e32 vcc, v0, v1
	s_and_saveexec_b64 s[4:5], vcc
	s_cbranch_execz .LBB19_1063
; %bb.1062:
	ds_read_b32 v1, v2 offset:12288
	ds_read_b32 v2, v4 offset:192
	s_waitcnt lgkmcnt(0)
	v_fmac_f32_e32 v3, v1, v2
.LBB19_1063:
	s_or_b64 exec, exec, s[4:5]
	s_mov_b64 s[8:9], 0
	s_mov_b64 s[4:5], 0
	ds_write_b32 v5, v3
	s_waitcnt lgkmcnt(0)
	s_barrier
                                        ; implicit-def: $vgpr4
                                        ; implicit-def: $vgpr1_vgpr2
	s_and_saveexec_b64 s[10:11], s[0:1]
	s_cbranch_execz .LBB19_1099
; %bb.1064:
	v_lshlrev_b32_e32 v13, 2, v0
	ds_read2st64_b32 v[1:2], v13 offset0:65 offset1:66
	ds_read2st64_b32 v[4:5], v13 offset0:67 offset1:68
	;; [unrolled: 1-line block ×4, first 2 shown]
	s_mov_b64 s[4:5], exec
	s_waitcnt lgkmcnt(3)
	v_add_f32_e32 v1, v3, v1
	v_add_f32_e32 v1, v2, v1
	s_waitcnt lgkmcnt(2)
	v_add_f32_e32 v1, v4, v1
	v_add_f32_e32 v1, v5, v1
	ds_read2st64_b32 v[2:3], v13 offset0:73 offset1:74
	s_waitcnt lgkmcnt(2)
	v_add_f32_e32 v1, v7, v1
	v_add_f32_e32 v1, v8, v1
	s_waitcnt lgkmcnt(1)
	v_add_f32_e32 v1, v9, v1
	v_add_f32_e32 v1, v10, v1
	ds_read2st64_b32 v[4:5], v13 offset0:75 offset1:76
	ds_read2st64_b32 v[7:8], v13 offset0:77 offset1:78
	ds_read_b32 v9, v13 offset:20224
	v_lshl_add_u32 v13, s6, 6, v11
	s_waitcnt lgkmcnt(3)
	v_add_f32_e32 v10, v2, v1
	v_mad_u64_u32 v[1:2], s[14:15], s12, v13, 0
	v_add_f32_e32 v3, v3, v10
	s_waitcnt lgkmcnt(2)
	v_add_f32_e32 v3, v4, v3
	v_add_f32_e32 v4, v5, v3
	v_mad_u64_u32 v[2:3], s[14:15], s13, v13, v[2:3]
	s_waitcnt lgkmcnt(1)
	v_add_f32_e32 v3, v7, v4
	v_add_f32_e32 v3, v8, v3
	s_waitcnt lgkmcnt(0)
	v_add_f32_e32 v4, v9, v3
	s_or_b64 exec, exec, s[10:11]
	s_and_b64 vcc, exec, s[8:9]
	s_cbranch_vccnz .LBB19_1067
	s_branch .LBB19_1100
.LBB19_1065:
	v_mad_u64_u32 v[11:12], s[0:1], s20, v4, 0
	s_or_b64 s[8:9], s[8:9], exec
	v_mad_u64_u32 v[12:13], s[0:1], s21, v4, v[12:13]
	v_lshlrev_b64 v[11:12], 2, v[11:12]
	v_add_co_u32_e32 v2, vcc, v2, v11
	v_addc_co_u32_e32 v3, vcc, v3, v12, vcc
	global_load_dword v2, v[2:3], off
	s_waitcnt vmcnt(0)
	v_xor_b32_e32 v11, 0x80000000, v2
	s_or_b64 exec, exec, s[2:3]
	s_and_saveexec_b64 s[0:1], s[8:9]
	s_cbranch_execnz .LBB19_45
	s_branch .LBB19_46
.LBB19_1066:
	s_mov_b64 s[4:5], 0
                                        ; implicit-def: $vgpr4
                                        ; implicit-def: $vgpr1_vgpr2
	s_cbranch_execz .LBB19_1100
.LBB19_1067:
	s_mov_b32 s10, 0
	v_mov_b32_e32 v1, 0
	v_mov_b32_e32 v2, v0
	s_branch .LBB19_1069
.LBB19_1068:                            ;   in Loop: Header=BB19_1069 Depth=1
	s_or_b64 exec, exec, s[8:9]
	s_add_i32 s10, s10, 4
	v_add_u32_e32 v6, 0x400, v6
	s_cmp_lg_u32 s10, 64
	v_add_u32_e32 v2, -4, v2
	s_barrier
	s_cbranch_scc0 .LBB19_1085
.LBB19_1069:                            ; =>This Inner Loop Header: Depth=1
	v_cmp_eq_u32_e32 vcc, 0, v2
	s_and_b64 s[14:15], s[0:1], vcc
	s_and_saveexec_b64 s[8:9], s[14:15]
; %bb.1070:                             ;   in Loop: Header=BB19_1069 Depth=1
	ds_write_b32 v1, v12 offset:20736
; %bb.1071:                             ;   in Loop: Header=BB19_1069 Depth=1
	s_or_b64 exec, exec, s[8:9]
	v_cmp_lt_u32_e32 vcc, s10, v0
	s_and_b64 s[14:15], s[0:1], vcc
	s_waitcnt lgkmcnt(0)
	s_barrier
	s_and_saveexec_b64 s[8:9], s[14:15]
	s_cbranch_execz .LBB19_1073
; %bb.1072:                             ;   in Loop: Header=BB19_1069 Depth=1
	ds_read_b32 v3, v6
	ds_read_b32 v4, v1 offset:20736
	s_waitcnt lgkmcnt(0)
	v_fmac_f32_e32 v12, v3, v4
.LBB19_1073:                            ;   in Loop: Header=BB19_1069 Depth=1
	s_or_b64 exec, exec, s[8:9]
	s_or_b32 s11, s10, 1
	v_cmp_eq_u32_e32 vcc, s11, v0
	s_and_b64 s[14:15], s[0:1], vcc
	s_barrier
	s_and_saveexec_b64 s[8:9], s[14:15]
; %bb.1074:                             ;   in Loop: Header=BB19_1069 Depth=1
	ds_write_b32 v1, v12 offset:20736
; %bb.1075:                             ;   in Loop: Header=BB19_1069 Depth=1
	s_or_b64 exec, exec, s[8:9]
	v_cmp_lt_u32_e32 vcc, s11, v0
	s_and_b64 s[14:15], s[0:1], vcc
	s_waitcnt lgkmcnt(0)
	s_barrier
	s_and_saveexec_b64 s[8:9], s[14:15]
	s_cbranch_execz .LBB19_1077
; %bb.1076:                             ;   in Loop: Header=BB19_1069 Depth=1
	ds_read_b32 v3, v6 offset:256
	ds_read_b32 v4, v1 offset:20736
	s_waitcnt lgkmcnt(0)
	v_fmac_f32_e32 v12, v3, v4
.LBB19_1077:                            ;   in Loop: Header=BB19_1069 Depth=1
	s_or_b64 exec, exec, s[8:9]
	s_or_b32 s11, s10, 2
	v_cmp_eq_u32_e32 vcc, s11, v0
	s_and_b64 s[14:15], s[0:1], vcc
	s_barrier
	s_and_saveexec_b64 s[8:9], s[14:15]
; %bb.1078:                             ;   in Loop: Header=BB19_1069 Depth=1
	ds_write_b32 v1, v12 offset:20736
; %bb.1079:                             ;   in Loop: Header=BB19_1069 Depth=1
	s_or_b64 exec, exec, s[8:9]
	v_cmp_lt_u32_e32 vcc, s11, v0
	s_and_b64 s[14:15], s[0:1], vcc
	s_waitcnt lgkmcnt(0)
	s_barrier
	s_and_saveexec_b64 s[8:9], s[14:15]
	s_cbranch_execz .LBB19_1081
; %bb.1080:                             ;   in Loop: Header=BB19_1069 Depth=1
	ds_read_b32 v3, v6 offset:512
	ds_read_b32 v4, v1 offset:20736
	s_waitcnt lgkmcnt(0)
	v_fmac_f32_e32 v12, v3, v4
.LBB19_1081:                            ;   in Loop: Header=BB19_1069 Depth=1
	s_or_b64 exec, exec, s[8:9]
	s_or_b32 s11, s10, 3
	v_cmp_eq_u32_e32 vcc, s11, v0
	s_and_b64 s[14:15], s[0:1], vcc
	s_barrier
	s_and_saveexec_b64 s[8:9], s[14:15]
; %bb.1082:                             ;   in Loop: Header=BB19_1069 Depth=1
	ds_write_b32 v1, v12 offset:20736
; %bb.1083:                             ;   in Loop: Header=BB19_1069 Depth=1
	s_or_b64 exec, exec, s[8:9]
	v_cmp_lt_u32_e32 vcc, s11, v0
	s_and_b64 s[14:15], s[0:1], vcc
	s_waitcnt lgkmcnt(0)
	s_barrier
	s_and_saveexec_b64 s[8:9], s[14:15]
	s_cbranch_execz .LBB19_1068
; %bb.1084:                             ;   in Loop: Header=BB19_1069 Depth=1
	ds_read_b32 v3, v6 offset:768
	ds_read_b32 v4, v1 offset:20736
	s_waitcnt lgkmcnt(0)
	v_fmac_f32_e32 v12, v3, v4
	s_branch .LBB19_1068
.LBB19_1085:
	s_and_b64 vcc, exec, s[2:3]
	s_cbranch_vccz .LBB19_1101
; %bb.1086:
	s_and_b64 s[2:3], s[0:1], exec
	s_cbranch_execz .LBB19_1102
	s_branch .LBB19_1103
.LBB19_1087:
	v_or_b32_e32 v11, v1, v0
	v_cmp_gt_u32_e32 vcc, 64, v11
	s_and_b64 s[2:3], vcc, exec
	s_andn2_saveexec_b64 s[0:1], s[0:1]
	s_cbranch_execz .LBB19_14
.LBB19_1088:
	v_mad_u64_u32 v[11:12], s[8:9], s20, v1, 0
	s_or_b64 s[2:3], s[2:3], exec
	v_mov_b32_e32 v5, v12
	v_mad_u64_u32 v[12:13], s[8:9], s21, v1, v[5:6]
	v_lshlrev_b64 v[11:12], 2, v[11:12]
	v_add_co_u32_e32 v11, vcc, v2, v11
	v_addc_co_u32_e32 v12, vcc, v3, v12, vcc
	global_load_dword v5, v[11:12], off
	s_waitcnt vmcnt(0)
	v_xor_b32_e32 v5, 0x80000000, v5
	s_or_b64 exec, exec, s[0:1]
	s_and_saveexec_b64 s[0:1], s[2:3]
	s_cbranch_execnz .LBB19_15
	s_branch .LBB19_16
.LBB19_1089:
	v_or_b32_e32 v11, v5, v0
	v_cmp_gt_u32_e32 vcc, 64, v11
	s_and_b64 s[0:1], vcc, exec
	s_or_saveexec_b64 s[2:3], s[2:3]
	v_mov_b32_e32 v11, 0
	s_xor_b64 exec, exec, s[2:3]
	s_cbranch_execz .LBB19_18
.LBB19_1090:
	v_mad_u64_u32 v[11:12], s[8:9], s20, v5, 0
	s_or_b64 s[0:1], s[0:1], exec
	v_mad_u64_u32 v[12:13], s[8:9], s21, v5, v[12:13]
	v_lshlrev_b64 v[11:12], 2, v[11:12]
	v_add_co_u32_e32 v11, vcc, v2, v11
	v_addc_co_u32_e32 v12, vcc, v3, v12, vcc
	global_load_dword v11, v[11:12], off
	s_waitcnt vmcnt(0)
	v_xor_b32_e32 v11, 0x80000000, v11
	s_or_b64 exec, exec, s[2:3]
	s_and_saveexec_b64 s[2:3], s[0:1]
	s_cbranch_execnz .LBB19_19
	s_branch .LBB19_20
.LBB19_1091:
	v_or_b32_e32 v11, v5, v0
	v_cmp_gt_u32_e32 vcc, 64, v11
	s_and_b64 s[0:1], vcc, exec
	s_or_saveexec_b64 s[2:3], s[2:3]
	v_mov_b32_e32 v11, 0
	s_xor_b64 exec, exec, s[2:3]
	s_cbranch_execz .LBB19_22
.LBB19_1092:
	v_mad_u64_u32 v[11:12], s[8:9], s20, v5, 0
	s_or_b64 s[0:1], s[0:1], exec
	v_mad_u64_u32 v[12:13], s[8:9], s21, v5, v[12:13]
	v_lshlrev_b64 v[11:12], 2, v[11:12]
	v_add_co_u32_e32 v11, vcc, v2, v11
	v_addc_co_u32_e32 v12, vcc, v3, v12, vcc
	global_load_dword v11, v[11:12], off
	s_waitcnt vmcnt(0)
	v_xor_b32_e32 v11, 0x80000000, v11
	s_or_b64 exec, exec, s[2:3]
	s_and_saveexec_b64 s[2:3], s[0:1]
	s_cbranch_execnz .LBB19_23
	s_branch .LBB19_24
.LBB19_1093:
	v_or_b32_e32 v11, v1, v0
	v_cmp_gt_u32_e64 s[0:1], 64, v11
	s_and_b64 s[2:3], s[0:1], exec
	s_andn2_saveexec_b64 s[10:11], s[10:11]
	s_cbranch_execz .LBB19_30
.LBB19_1094:
	v_mad_u64_u32 v[11:12], s[0:1], s20, v1, 0
	s_or_b64 s[2:3], s[2:3], exec
	v_mov_b32_e32 v5, v12
	v_mad_u64_u32 v[12:13], s[0:1], s21, v1, v[5:6]
	v_lshlrev_b64 v[11:12], 2, v[11:12]
	v_add_co_u32_e64 v11, s[0:1], v2, v11
	v_addc_co_u32_e64 v12, s[0:1], v3, v12, s[0:1]
	global_load_dword v5, v[11:12], off
	s_waitcnt vmcnt(0)
	v_xor_b32_e32 v5, 0x80000000, v5
	s_or_b64 exec, exec, s[10:11]
	s_and_saveexec_b64 s[0:1], s[2:3]
	s_cbranch_execnz .LBB19_31
	s_branch .LBB19_32
.LBB19_1095:
	v_or_b32_e32 v11, v5, v0
	v_cmp_gt_u32_e64 s[0:1], 64, v11
	s_and_b64 s[2:3], s[0:1], exec
	s_or_saveexec_b64 s[10:11], s[10:11]
	v_mov_b32_e32 v11, 0
	s_xor_b64 exec, exec, s[10:11]
	s_cbranch_execz .LBB19_34
.LBB19_1096:
	v_mad_u64_u32 v[11:12], s[0:1], s20, v5, 0
	s_or_b64 s[2:3], s[2:3], exec
	v_mad_u64_u32 v[12:13], s[0:1], s21, v5, v[12:13]
	v_lshlrev_b64 v[11:12], 2, v[11:12]
	v_add_co_u32_e64 v11, s[0:1], v2, v11
	v_addc_co_u32_e64 v12, s[0:1], v3, v12, s[0:1]
	global_load_dword v11, v[11:12], off
	s_waitcnt vmcnt(0)
	v_xor_b32_e32 v11, 0x80000000, v11
	s_or_b64 exec, exec, s[10:11]
	s_and_saveexec_b64 s[0:1], s[2:3]
	s_cbranch_execnz .LBB19_35
	s_branch .LBB19_36
.LBB19_1097:
	v_or_b32_e32 v11, v5, v0
	v_cmp_gt_u32_e64 s[0:1], 64, v11
	s_and_b64 s[2:3], s[0:1], exec
	s_or_saveexec_b64 s[10:11], s[10:11]
	v_mov_b32_e32 v11, 0
	s_xor_b64 exec, exec, s[10:11]
	s_cbranch_execz .LBB19_38
.LBB19_1098:
	v_mad_u64_u32 v[11:12], s[0:1], s20, v5, 0
	s_or_b64 s[2:3], s[2:3], exec
	v_mad_u64_u32 v[12:13], s[0:1], s21, v5, v[12:13]
	v_lshlrev_b64 v[11:12], 2, v[11:12]
	v_add_co_u32_e64 v11, s[0:1], v2, v11
	v_addc_co_u32_e64 v12, s[0:1], v3, v12, s[0:1]
	global_load_dword v11, v[11:12], off
	s_waitcnt vmcnt(0)
	v_xor_b32_e32 v11, 0x80000000, v11
	s_or_b64 exec, exec, s[10:11]
	s_and_saveexec_b64 s[0:1], s[2:3]
	s_cbranch_execnz .LBB19_39
	s_branch .LBB19_40
.LBB19_1099:
	s_or_b64 exec, exec, s[10:11]
	s_and_b64 vcc, exec, s[8:9]
	s_cbranch_vccnz .LBB19_1067
.LBB19_1100:
	v_mov_b32_e32 v12, v4
	s_and_saveexec_b64 s[0:1], s[4:5]
	s_cbranch_execnz .LBB19_1106
	s_branch .LBB19_1107
.LBB19_1101:
	s_mov_b64 s[2:3], 0
.LBB19_1102:
	v_cmp_gt_i32_e32 vcc, s7, v0
	s_and_b64 s[0:1], s[0:1], vcc
	s_andn2_b64 s[2:3], s[2:3], exec
	s_and_b64 s[0:1], s[0:1], exec
	s_or_b64 s[2:3], s[2:3], s[0:1]
.LBB19_1103:
                                        ; implicit-def: $vgpr1_vgpr2
	s_and_saveexec_b64 s[0:1], s[2:3]
	s_cbranch_execz .LBB19_1105
; %bb.1104:
	s_lshl_b32 s2, s6, 6
	s_ashr_i32 s3, s2, 31
	v_mov_b32_e32 v0, s3
	v_add_co_u32_e32 v1, vcc, s2, v11
	v_addc_co_u32_e32 v0, vcc, 0, v0, vcc
	v_mul_lo_u32 v0, v0, s12
	v_mul_lo_u32 v3, v1, s13
	v_mad_u64_u32 v[1:2], s[2:3], v1, s12, 0
	s_or_b64 s[4:5], s[4:5], exec
	v_add3_u32 v2, v2, v3, v0
.LBB19_1105:
	s_or_b64 exec, exec, s[0:1]
	s_and_saveexec_b64 s[0:1], s[4:5]
	s_cbranch_execz .LBB19_1107
.LBB19_1106:
	v_lshlrev_b64 v[0:1], 2, v[1:2]
	v_mov_b32_e32 v2, s37
	v_add_co_u32_e32 v0, vcc, s36, v0
	v_addc_co_u32_e32 v1, vcc, v2, v1, vcc
	global_store_dword v[0:1], v12, off
.LBB19_1107:
	s_or_b64 exec, exec, s[0:1]
	v_cmp_eq_u32_e32 vcc, 0, v11
	s_waitcnt vmcnt(0)
	buffer_wbinvl1_vol
	s_barrier
	s_and_saveexec_b64 s[0:1], vcc
	s_cbranch_execz .LBB19_1109
; %bb.1108:
	s_lshl_b64 s[2:3], s[24:25], 2
	s_add_u32 s2, s16, s2
	s_addc_u32 s3, s17, s3
	v_mov_b32_e32 v0, 0
	global_load_dword v1, v0, s[2:3]
	s_waitcnt vmcnt(0)
	v_add_u32_e32 v1, 1, v1
	global_store_dword v0, v1, s[2:3]
.LBB19_1109:
	s_or_b64 exec, exec, s[0:1]
	s_waitcnt vmcnt(0)
	buffer_wbinvl1_vol
	s_endpgm
.LBB19_1110:
	v_lshlrev_b32_e32 v17, 2, v15
	v_sub_u32_e32 v17, v16, v17
	v_lshl_add_u32 v17, v14, 2, v17
	ds_read_b32 v17, v17 offset:272
	ds_read_b32 v18, v16 offset:4
	s_waitcnt lgkmcnt(0)
	v_fmac_f32_e32 v13, v17, v18
	s_or_b64 exec, exec, s[14:15]
	v_cmp_gt_u32_e64 s[10:11], 8, v4
	s_and_saveexec_b64 s[14:15], s[10:11]
	s_cbranch_execz .LBB19_66
.LBB19_1111:
	ds_read_b32 v17, v11 offset:528
	ds_read_b32 v16, v16 offset:8
	s_waitcnt lgkmcnt(0)
	v_fmac_f32_e32 v13, v17, v16
	s_or_b64 exec, exec, s[14:15]
	v_cmp_gt_u32_e64 s[10:11], 4, v4
	s_and_saveexec_b64 s[14:15], s[10:11]
	s_cbranch_execnz .LBB19_67
	s_branch .LBB19_68
.LBB19_1112:
	v_lshlrev_b32_e32 v22, 2, v20
	v_sub_u32_e32 v22, v21, v22
	v_lshl_add_u32 v22, v19, 2, v22
	ds_read_b32 v22, v22 offset:288
	ds_read_b32 v23, v21 offset:4
	s_waitcnt lgkmcnt(0)
	v_fmac_f32_e32 v18, v22, v23
	s_or_b64 exec, exec, s[16:17]
	v_cmp_gt_u32_e64 s[10:11], 48, v4
	s_and_saveexec_b64 s[16:17], s[10:11]
	s_cbranch_execz .LBB19_104
.LBB19_1113:
	v_lshlrev_b32_e32 v22, 2, v20
	v_sub_u32_e32 v22, v21, v22
	v_lshl_add_u32 v22, v19, 2, v22
	ds_read_b32 v22, v22 offset:544
	ds_read_b32 v23, v21 offset:8
	s_waitcnt lgkmcnt(0)
	v_fmac_f32_e32 v18, v22, v23
	s_or_b64 exec, exec, s[16:17]
	v_cmp_gt_u32_e64 s[10:11], 40, v4
	s_and_saveexec_b64 s[16:17], s[10:11]
	s_cbranch_execz .LBB19_105
.LBB19_1114:
	v_lshlrev_b32_e32 v22, 2, v20
	v_sub_u32_e32 v22, v21, v22
	v_lshl_add_u32 v22, v19, 2, v22
	ds_read_b32 v22, v22 offset:800
	ds_read_b32 v23, v21 offset:12
	s_waitcnt lgkmcnt(0)
	v_fmac_f32_e32 v18, v22, v23
	s_or_b64 exec, exec, s[16:17]
	v_cmp_gt_u32_e64 s[10:11], 32, v4
	s_and_saveexec_b64 s[16:17], s[10:11]
	s_cbranch_execz .LBB19_106
.LBB19_1115:
	ds_read_b32 v22, v16 offset:1056
	ds_read_b32 v23, v21 offset:16
	s_waitcnt lgkmcnt(0)
	v_fmac_f32_e32 v18, v22, v23
	s_or_b64 exec, exec, s[16:17]
	v_cmp_gt_u32_e64 s[10:11], 24, v4
	s_and_saveexec_b64 s[16:17], s[10:11]
	s_cbranch_execz .LBB19_107
.LBB19_1116:
	v_lshlrev_b32_e32 v22, 2, v20
	v_sub_u32_e32 v22, v21, v22
	v_lshl_add_u32 v22, v19, 2, v22
	ds_read_b32 v22, v22 offset:1312
	ds_read_b32 v23, v21 offset:20
	s_waitcnt lgkmcnt(0)
	v_fmac_f32_e32 v18, v22, v23
	s_or_b64 exec, exec, s[16:17]
	v_cmp_gt_u32_e64 s[10:11], 16, v4
	s_and_saveexec_b64 s[16:17], s[10:11]
	s_cbranch_execz .LBB19_108
.LBB19_1117:
	ds_read_b32 v22, v16 offset:1568
	ds_read_b32 v21, v21 offset:24
	s_waitcnt lgkmcnt(0)
	v_fmac_f32_e32 v18, v22, v21
	s_or_b64 exec, exec, s[16:17]
	v_cmp_gt_u32_e64 s[10:11], 8, v4
	s_and_saveexec_b64 s[16:17], s[10:11]
	s_cbranch_execnz .LBB19_109
	s_branch .LBB19_110
.LBB19_1118:
	v_lshlrev_b32_e32 v23, 2, v15
	v_sub_u32_e32 v23, v22, v23
	v_lshl_add_u32 v23, v14, 2, v23
	ds_read_b32 v23, v23 offset:2352
	ds_read_b32 v24, v22 offset:2084
	s_waitcnt lgkmcnt(0)
	v_fmac_f32_e32 v21, v23, v24
	s_or_b64 exec, exec, s[12:13]
	v_cmp_gt_u32_e64 s[8:9], 8, v4
	s_and_saveexec_b64 s[12:13], s[8:9]
	s_cbranch_execz .LBB19_162
.LBB19_1119:
	ds_read_b32 v23, v11 offset:2608
	ds_read_b32 v22, v22 offset:2088
	s_waitcnt lgkmcnt(0)
	v_fmac_f32_e32 v21, v23, v22
	s_or_b64 exec, exec, s[12:13]
	v_cmp_gt_u32_e64 s[8:9], 4, v4
	s_and_saveexec_b64 s[12:13], s[8:9]
	s_cbranch_execnz .LBB19_163
	s_branch .LBB19_164
.LBB19_1120:
	v_lshlrev_b32_e32 v27, 2, v22
	v_lshl_add_u32 v27, v24, 2, v27
	ds_read_b32 v27, v27 offset:2880
	ds_read_b32 v28, v26 offset:44
	s_waitcnt lgkmcnt(0)
	v_fmac_f32_e32 v23, v27, v28
	s_or_b64 exec, exec, s[72:73]
	v_cmp_gt_u32_e64 s[12:13], 64, v4
	s_and_saveexec_b64 s[72:73], s[12:13]
	s_cbranch_execz .LBB19_220
.LBB19_1121:
	ds_read_b32 v27, v21 offset:3136
	ds_read_b32 v28, v26 offset:48
	s_waitcnt lgkmcnt(0)
	v_fmac_f32_e32 v23, v27, v28
	s_or_b64 exec, exec, s[72:73]
	v_cmp_gt_u32_e64 s[12:13], 48, v4
	s_and_saveexec_b64 s[72:73], s[12:13]
	s_cbranch_execz .LBB19_221
.LBB19_1122:
	v_lshlrev_b32_e32 v27, 2, v22
	v_lshl_add_u32 v27, v24, 2, v27
	ds_read_b32 v27, v27 offset:3392
	ds_read_b32 v28, v26 offset:52
	s_waitcnt lgkmcnt(0)
	v_fmac_f32_e32 v23, v27, v28
	s_or_b64 exec, exec, s[72:73]
	v_cmp_gt_u32_e64 s[12:13], 32, v4
	s_and_saveexec_b64 s[72:73], s[12:13]
	s_cbranch_execz .LBB19_222
.LBB19_1123:
	ds_read_b32 v27, v21 offset:3648
	ds_read_b32 v26, v26 offset:56
	s_waitcnt lgkmcnt(0)
	v_fmac_f32_e32 v23, v27, v26
	s_or_b64 exec, exec, s[72:73]
	v_cmp_gt_u32_e64 s[12:13], 16, v4
	s_and_saveexec_b64 s[72:73], s[12:13]
	s_cbranch_execnz .LBB19_223
	s_branch .LBB19_224
.LBB19_1124:
	v_lshlrev_b32_e32 v28, 2, v15
	v_sub_u32_e32 v28, v27, v28
	v_lshl_add_u32 v28, v14, 2, v28
	ds_read_b32 v28, v28 offset:4432
	ds_read_b32 v29, v27 offset:4164
	s_waitcnt lgkmcnt(0)
	v_fmac_f32_e32 v26, v28, v29
	s_or_b64 exec, exec, s[16:17]
	v_cmp_gt_u32_e64 s[10:11], 8, v4
	s_and_saveexec_b64 s[16:17], s[10:11]
	s_cbranch_execz .LBB19_308
.LBB19_1125:
	ds_read_b32 v28, v11 offset:4688
	ds_read_b32 v27, v27 offset:4168
	s_waitcnt lgkmcnt(0)
	v_fmac_f32_e32 v26, v28, v27
	s_or_b64 exec, exec, s[16:17]
	v_cmp_gt_u32_e64 s[10:11], 4, v4
	s_and_saveexec_b64 s[16:17], s[10:11]
	s_cbranch_execnz .LBB19_309
	s_branch .LBB19_310
.LBB19_1126:
	v_lshlrev_b32_e32 v28, 2, v20
	v_sub_u32_e32 v28, v27, v28
	v_lshl_add_u32 v28, v19, 2, v28
	ds_read_b32 v28, v28 offset:4448
	ds_read_b32 v29, v27 offset:4164
	s_waitcnt lgkmcnt(0)
	v_fmac_f32_e32 v26, v28, v29
	s_or_b64 exec, exec, s[16:17]
	v_cmp_gt_u32_e64 s[10:11], 48, v4
	s_and_saveexec_b64 s[16:17], s[10:11]
	s_cbranch_execz .LBB19_346
.LBB19_1127:
	v_lshlrev_b32_e32 v28, 2, v20
	v_sub_u32_e32 v28, v27, v28
	v_lshl_add_u32 v28, v19, 2, v28
	ds_read_b32 v28, v28 offset:4704
	ds_read_b32 v29, v27 offset:4168
	s_waitcnt lgkmcnt(0)
	v_fmac_f32_e32 v26, v28, v29
	s_or_b64 exec, exec, s[16:17]
	v_cmp_gt_u32_e64 s[10:11], 40, v4
	s_and_saveexec_b64 s[16:17], s[10:11]
	s_cbranch_execz .LBB19_347
.LBB19_1128:
	v_lshlrev_b32_e32 v28, 2, v20
	v_sub_u32_e32 v28, v27, v28
	v_lshl_add_u32 v28, v19, 2, v28
	ds_read_b32 v28, v28 offset:4960
	ds_read_b32 v29, v27 offset:4172
	s_waitcnt lgkmcnt(0)
	v_fmac_f32_e32 v26, v28, v29
	s_or_b64 exec, exec, s[16:17]
	v_cmp_gt_u32_e64 s[10:11], 32, v4
	s_and_saveexec_b64 s[16:17], s[10:11]
	s_cbranch_execz .LBB19_348
.LBB19_1129:
	ds_read_b32 v28, v16 offset:5216
	ds_read_b32 v29, v27 offset:4176
	s_waitcnt lgkmcnt(0)
	v_fmac_f32_e32 v26, v28, v29
	s_or_b64 exec, exec, s[16:17]
	v_cmp_gt_u32_e64 s[10:11], 24, v4
	s_and_saveexec_b64 s[16:17], s[10:11]
	s_cbranch_execz .LBB19_349
.LBB19_1130:
	v_lshlrev_b32_e32 v28, 2, v20
	v_sub_u32_e32 v28, v27, v28
	v_lshl_add_u32 v28, v19, 2, v28
	ds_read_b32 v28, v28 offset:5472
	ds_read_b32 v29, v27 offset:4180
	s_waitcnt lgkmcnt(0)
	v_fmac_f32_e32 v26, v28, v29
	s_or_b64 exec, exec, s[16:17]
	v_cmp_gt_u32_e64 s[10:11], 16, v4
	s_and_saveexec_b64 s[16:17], s[10:11]
	s_cbranch_execz .LBB19_350
.LBB19_1131:
	ds_read_b32 v28, v16 offset:5728
	ds_read_b32 v27, v27 offset:4184
	s_waitcnt lgkmcnt(0)
	v_fmac_f32_e32 v26, v28, v27
	s_or_b64 exec, exec, s[16:17]
	v_cmp_gt_u32_e64 s[10:11], 8, v4
	s_and_saveexec_b64 s[16:17], s[10:11]
	s_cbranch_execnz .LBB19_351
	s_branch .LBB19_352
.LBB19_1132:
	v_lshlrev_b32_e32 v28, 2, v15
	v_sub_u32_e32 v28, v27, v28
	v_lshl_add_u32 v28, v14, 2, v28
	ds_read_b32 v28, v28 offset:6512
	ds_read_b32 v29, v27 offset:6244
	s_waitcnt lgkmcnt(0)
	v_fmac_f32_e32 v26, v28, v29
	s_or_b64 exec, exec, s[16:17]
	v_cmp_gt_u32_e64 s[10:11], 8, v4
	s_and_saveexec_b64 s[16:17], s[10:11]
	s_cbranch_execz .LBB19_404
.LBB19_1133:
	ds_read_b32 v28, v11 offset:6768
	ds_read_b32 v27, v27 offset:6248
	s_waitcnt lgkmcnt(0)
	v_fmac_f32_e32 v26, v28, v27
	s_or_b64 exec, exec, s[16:17]
	v_cmp_gt_u32_e64 s[10:11], 4, v4
	s_and_saveexec_b64 s[16:17], s[10:11]
	s_cbranch_execnz .LBB19_405
	s_branch .LBB19_406
.LBB19_1134:
	ds_read_b32 v32, v26 offset:7552
	ds_read_b32 v33, v31 offset:116
	s_waitcnt lgkmcnt(0)
	v_fmac_f32_e32 v29, v32, v33
	s_or_b64 exec, exec, s[86:87]
	v_cmp_gt_u32_e64 s[16:17], 64, v4
	s_and_saveexec_b64 s[86:87], s[16:17]
	s_cbranch_execz .LBB19_498
.LBB19_1135:
	ds_read_b32 v32, v26 offset:7808
	ds_read_b32 v31, v31 offset:120
	s_waitcnt lgkmcnt(0)
	v_fmac_f32_e32 v29, v32, v31
	s_or_b64 exec, exec, s[86:87]
	v_cmp_gt_u32_e64 s[16:17], 32, v4
	s_and_saveexec_b64 s[86:87], s[16:17]
	s_cbranch_execnz .LBB19_499
	s_branch .LBB19_500
.LBB19_1136:
	v_lshlrev_b32_e32 v28, 2, v15
	v_sub_u32_e32 v28, v27, v28
	v_lshl_add_u32 v28, v14, 2, v28
	ds_read_b32 v28, v28 offset:8592
	ds_read_b32 v29, v27 offset:8324
	s_waitcnt lgkmcnt(0)
	v_fmac_f32_e32 v26, v28, v29
	s_or_b64 exec, exec, s[16:17]
	v_cmp_gt_u32_e64 s[10:11], 8, v4
	s_and_saveexec_b64 s[16:17], s[10:11]
	s_cbranch_execz .LBB19_648
.LBB19_1137:
	ds_read_b32 v28, v11 offset:8848
	ds_read_b32 v27, v27 offset:8328
	s_waitcnt lgkmcnt(0)
	v_fmac_f32_e32 v26, v28, v27
	s_or_b64 exec, exec, s[16:17]
	v_cmp_gt_u32_e64 s[10:11], 4, v4
	s_and_saveexec_b64 s[16:17], s[10:11]
	s_cbranch_execnz .LBB19_649
	s_branch .LBB19_650
.LBB19_1138:
	v_lshlrev_b32_e32 v28, 2, v20
	v_sub_u32_e32 v28, v27, v28
	v_lshl_add_u32 v28, v19, 2, v28
	ds_read_b32 v28, v28 offset:8608
	ds_read_b32 v29, v27 offset:8324
	s_waitcnt lgkmcnt(0)
	v_fmac_f32_e32 v26, v28, v29
	s_or_b64 exec, exec, s[16:17]
	v_cmp_gt_u32_e64 s[10:11], 48, v4
	s_and_saveexec_b64 s[16:17], s[10:11]
	s_cbranch_execz .LBB19_686
.LBB19_1139:
	v_lshlrev_b32_e32 v28, 2, v20
	v_sub_u32_e32 v28, v27, v28
	v_lshl_add_u32 v28, v19, 2, v28
	ds_read_b32 v28, v28 offset:8864
	ds_read_b32 v29, v27 offset:8328
	s_waitcnt lgkmcnt(0)
	v_fmac_f32_e32 v26, v28, v29
	s_or_b64 exec, exec, s[16:17]
	v_cmp_gt_u32_e64 s[10:11], 40, v4
	s_and_saveexec_b64 s[16:17], s[10:11]
	s_cbranch_execz .LBB19_687
.LBB19_1140:
	v_lshlrev_b32_e32 v28, 2, v20
	v_sub_u32_e32 v28, v27, v28
	v_lshl_add_u32 v28, v19, 2, v28
	ds_read_b32 v28, v28 offset:9120
	ds_read_b32 v29, v27 offset:8332
	s_waitcnt lgkmcnt(0)
	v_fmac_f32_e32 v26, v28, v29
	s_or_b64 exec, exec, s[16:17]
	v_cmp_gt_u32_e64 s[10:11], 32, v4
	s_and_saveexec_b64 s[16:17], s[10:11]
	s_cbranch_execz .LBB19_688
.LBB19_1141:
	ds_read_b32 v28, v16 offset:9376
	ds_read_b32 v29, v27 offset:8336
	s_waitcnt lgkmcnt(0)
	v_fmac_f32_e32 v26, v28, v29
	s_or_b64 exec, exec, s[16:17]
	v_cmp_gt_u32_e64 s[10:11], 24, v4
	s_and_saveexec_b64 s[16:17], s[10:11]
	s_cbranch_execz .LBB19_689
.LBB19_1142:
	v_lshlrev_b32_e32 v28, 2, v20
	v_sub_u32_e32 v28, v27, v28
	v_lshl_add_u32 v28, v19, 2, v28
	ds_read_b32 v28, v28 offset:9632
	ds_read_b32 v29, v27 offset:8340
	s_waitcnt lgkmcnt(0)
	v_fmac_f32_e32 v26, v28, v29
	s_or_b64 exec, exec, s[16:17]
	v_cmp_gt_u32_e64 s[10:11], 16, v4
	s_and_saveexec_b64 s[16:17], s[10:11]
	s_cbranch_execz .LBB19_690
.LBB19_1143:
	ds_read_b32 v28, v16 offset:9888
	ds_read_b32 v27, v27 offset:8344
	s_waitcnt lgkmcnt(0)
	v_fmac_f32_e32 v26, v28, v27
	s_or_b64 exec, exec, s[16:17]
	v_cmp_gt_u32_e64 s[10:11], 8, v4
	s_and_saveexec_b64 s[16:17], s[10:11]
	s_cbranch_execnz .LBB19_691
	s_branch .LBB19_692
.LBB19_1144:
	v_lshlrev_b32_e32 v28, 2, v15
	v_sub_u32_e32 v28, v27, v28
	v_lshl_add_u32 v28, v14, 2, v28
	ds_read_b32 v28, v28 offset:10672
	ds_read_b32 v29, v27 offset:10404
	s_waitcnt lgkmcnt(0)
	v_fmac_f32_e32 v26, v28, v29
	s_or_b64 exec, exec, s[16:17]
	v_cmp_gt_u32_e64 s[10:11], 8, v4
	s_and_saveexec_b64 s[16:17], s[10:11]
	s_cbranch_execz .LBB19_744
.LBB19_1145:
	ds_read_b32 v28, v11 offset:10928
	ds_read_b32 v27, v27 offset:10408
	s_waitcnt lgkmcnt(0)
	v_fmac_f32_e32 v26, v28, v27
	s_or_b64 exec, exec, s[16:17]
	v_cmp_gt_u32_e64 s[10:11], 4, v4
	s_and_saveexec_b64 s[16:17], s[10:11]
	s_cbranch_execnz .LBB19_745
	s_branch .LBB19_746
.LBB19_1146:
	v_lshlrev_b32_e32 v25, 2, v22
	v_lshl_add_u32 v25, v24, 2, v25
	ds_read_b32 v25, v25 offset:11200
	ds_read_b32 v28, v27 offset:8364
	s_waitcnt lgkmcnt(0)
	v_fmac_f32_e32 v26, v25, v28
	s_or_b64 exec, exec, s[16:17]
	v_cmp_gt_u32_e64 s[10:11], 64, v4
	s_and_saveexec_b64 s[16:17], s[10:11]
	s_cbranch_execz .LBB19_802
.LBB19_1147:
	ds_read_b32 v25, v21 offset:11456
	ds_read_b32 v28, v27 offset:8368
	s_waitcnt lgkmcnt(0)
	v_fmac_f32_e32 v26, v25, v28
	s_or_b64 exec, exec, s[16:17]
	v_cmp_gt_u32_e64 s[10:11], 48, v4
	s_and_saveexec_b64 s[16:17], s[10:11]
	s_cbranch_execz .LBB19_803
.LBB19_1148:
	v_lshlrev_b32_e32 v25, 2, v22
	v_lshl_add_u32 v24, v24, 2, v25
	ds_read_b32 v24, v24 offset:11712
	ds_read_b32 v25, v27 offset:8372
	s_waitcnt lgkmcnt(0)
	v_fmac_f32_e32 v26, v24, v25
	s_or_b64 exec, exec, s[16:17]
	v_cmp_gt_u32_e64 s[10:11], 32, v4
	s_and_saveexec_b64 s[16:17], s[10:11]
	s_cbranch_execz .LBB19_804
.LBB19_1149:
	ds_read_b32 v24, v21 offset:11968
	ds_read_b32 v25, v27 offset:8376
	s_waitcnt lgkmcnt(0)
	v_fmac_f32_e32 v26, v24, v25
	s_or_b64 exec, exec, s[16:17]
	v_cmp_gt_u32_e64 s[10:11], 16, v4
	s_and_saveexec_b64 s[16:17], s[10:11]
	s_cbranch_execnz .LBB19_805
	s_branch .LBB19_806
.LBB19_1150:
	v_lshlrev_b32_e32 v23, 2, v15
	v_sub_u32_e32 v23, v22, v23
	v_lshl_add_u32 v23, v14, 2, v23
	ds_read_b32 v23, v23 offset:12752
	ds_read_b32 v24, v22 offset:12484
	s_waitcnt lgkmcnt(0)
	v_fmac_f32_e32 v21, v23, v24
	s_or_b64 exec, exec, s[12:13]
	v_cmp_gt_u32_e64 s[8:9], 8, v4
	s_and_saveexec_b64 s[12:13], s[8:9]
	s_cbranch_execz .LBB19_890
.LBB19_1151:
	ds_read_b32 v23, v11 offset:13008
	ds_read_b32 v22, v22 offset:12488
	s_waitcnt lgkmcnt(0)
	v_fmac_f32_e32 v21, v23, v22
	s_or_b64 exec, exec, s[12:13]
	v_cmp_gt_u32_e64 s[8:9], 4, v4
	s_and_saveexec_b64 s[12:13], s[8:9]
	s_cbranch_execnz .LBB19_891
	s_branch .LBB19_892
.LBB19_1152:
	v_lshlrev_b32_e32 v23, 2, v20
	v_sub_u32_e32 v23, v22, v23
	v_lshl_add_u32 v23, v19, 2, v23
	ds_read_b32 v23, v23 offset:12768
	ds_read_b32 v24, v22 offset:12484
	s_waitcnt lgkmcnt(0)
	v_fmac_f32_e32 v21, v23, v24
	s_or_b64 exec, exec, s[12:13]
	v_cmp_gt_u32_e64 s[8:9], 48, v4
	s_and_saveexec_b64 s[12:13], s[8:9]
	s_cbranch_execz .LBB19_928
.LBB19_1153:
	v_lshlrev_b32_e32 v23, 2, v20
	v_sub_u32_e32 v23, v22, v23
	v_lshl_add_u32 v23, v19, 2, v23
	ds_read_b32 v23, v23 offset:13024
	ds_read_b32 v24, v22 offset:12488
	s_waitcnt lgkmcnt(0)
	v_fmac_f32_e32 v21, v23, v24
	s_or_b64 exec, exec, s[12:13]
	v_cmp_gt_u32_e64 s[8:9], 40, v4
	s_and_saveexec_b64 s[12:13], s[8:9]
	s_cbranch_execz .LBB19_929
.LBB19_1154:
	v_lshlrev_b32_e32 v23, 2, v20
	v_sub_u32_e32 v23, v22, v23
	v_lshl_add_u32 v23, v19, 2, v23
	ds_read_b32 v23, v23 offset:13280
	ds_read_b32 v24, v22 offset:12492
	s_waitcnt lgkmcnt(0)
	v_fmac_f32_e32 v21, v23, v24
	s_or_b64 exec, exec, s[12:13]
	v_cmp_gt_u32_e64 s[8:9], 32, v4
	s_and_saveexec_b64 s[12:13], s[8:9]
	s_cbranch_execz .LBB19_930
.LBB19_1155:
	ds_read_b32 v23, v16 offset:13536
	ds_read_b32 v24, v22 offset:12496
	s_waitcnt lgkmcnt(0)
	v_fmac_f32_e32 v21, v23, v24
	s_or_b64 exec, exec, s[12:13]
	v_cmp_gt_u32_e64 s[8:9], 24, v4
	s_and_saveexec_b64 s[12:13], s[8:9]
	s_cbranch_execz .LBB19_931
.LBB19_1156:
	v_lshlrev_b32_e32 v20, 2, v20
	v_sub_u32_e32 v20, v22, v20
	v_lshl_add_u32 v19, v19, 2, v20
	ds_read_b32 v19, v19 offset:13792
	ds_read_b32 v20, v22 offset:12500
	s_waitcnt lgkmcnt(0)
	v_fmac_f32_e32 v21, v19, v20
	s_or_b64 exec, exec, s[12:13]
	v_cmp_gt_u32_e64 s[8:9], 16, v4
	s_and_saveexec_b64 s[12:13], s[8:9]
	s_cbranch_execz .LBB19_932
.LBB19_1157:
	ds_read_b32 v19, v16 offset:14048
	ds_read_b32 v20, v22 offset:12504
	s_waitcnt lgkmcnt(0)
	v_fmac_f32_e32 v21, v19, v20
	s_or_b64 exec, exec, s[12:13]
	v_cmp_gt_u32_e64 s[8:9], 8, v4
	s_and_saveexec_b64 s[12:13], s[8:9]
	s_cbranch_execnz .LBB19_933
	s_branch .LBB19_934
.LBB19_1158:
	v_lshlrev_b32_e32 v15, 2, v15
	v_sub_u32_e32 v15, v17, v15
	v_lshl_add_u32 v14, v14, 2, v15
	ds_read_b32 v14, v14 offset:14832
	ds_read_b32 v15, v17 offset:14564
	s_waitcnt lgkmcnt(0)
	v_fmac_f32_e32 v16, v14, v15
	s_or_b64 exec, exec, s[12:13]
	v_cmp_gt_u32_e64 s[8:9], 8, v4
	s_and_saveexec_b64 s[12:13], s[8:9]
	s_cbranch_execz .LBB19_986
.LBB19_1159:
	ds_read_b32 v14, v11 offset:15088
	ds_read_b32 v15, v17 offset:14568
	s_waitcnt lgkmcnt(0)
	v_fmac_f32_e32 v16, v14, v15
	s_or_b64 exec, exec, s[12:13]
	v_cmp_gt_u32_e64 s[8:9], 4, v4
	s_and_saveexec_b64 s[12:13], s[8:9]
	s_cbranch_execnz .LBB19_987
	s_branch .LBB19_988
	.section	.rodata,"a",@progbits
	.p2align	6, 0x0
	.amdhsa_kernel _ZL19rocblas_trsv_deviceILi64ELi16ELb1ELb0ELb0ELb1EffPKfPfEviT7_lllT6_T8_lllPii
		.amdhsa_group_segment_fixed_size 20740
		.amdhsa_private_segment_fixed_size 0
		.amdhsa_kernarg_size 352
		.amdhsa_user_sgpr_count 6
		.amdhsa_user_sgpr_private_segment_buffer 1
		.amdhsa_user_sgpr_dispatch_ptr 0
		.amdhsa_user_sgpr_queue_ptr 0
		.amdhsa_user_sgpr_kernarg_segment_ptr 1
		.amdhsa_user_sgpr_dispatch_id 0
		.amdhsa_user_sgpr_flat_scratch_init 0
		.amdhsa_user_sgpr_private_segment_size 0
		.amdhsa_uses_dynamic_stack 0
		.amdhsa_system_sgpr_private_segment_wavefront_offset 0
		.amdhsa_system_sgpr_workgroup_id_x 1
		.amdhsa_system_sgpr_workgroup_id_y 0
		.amdhsa_system_sgpr_workgroup_id_z 1
		.amdhsa_system_sgpr_workgroup_info 0
		.amdhsa_system_vgpr_workitem_id 1
		.amdhsa_next_free_vgpr 35
		.amdhsa_next_free_sgpr 96
		.amdhsa_reserve_vcc 1
		.amdhsa_reserve_flat_scratch 0
		.amdhsa_float_round_mode_32 0
		.amdhsa_float_round_mode_16_64 0
		.amdhsa_float_denorm_mode_32 3
		.amdhsa_float_denorm_mode_16_64 3
		.amdhsa_dx10_clamp 1
		.amdhsa_ieee_mode 1
		.amdhsa_fp16_overflow 0
		.amdhsa_exception_fp_ieee_invalid_op 0
		.amdhsa_exception_fp_denorm_src 0
		.amdhsa_exception_fp_ieee_div_zero 0
		.amdhsa_exception_fp_ieee_overflow 0
		.amdhsa_exception_fp_ieee_underflow 0
		.amdhsa_exception_fp_ieee_inexact 0
		.amdhsa_exception_int_div_zero 0
	.end_amdhsa_kernel
	.section	.text._ZL19rocblas_trsv_deviceILi64ELi16ELb1ELb0ELb0ELb1EffPKfPfEviT7_lllT6_T8_lllPii,"axG",@progbits,_ZL19rocblas_trsv_deviceILi64ELi16ELb1ELb0ELb0ELb1EffPKfPfEviT7_lllT6_T8_lllPii,comdat
.Lfunc_end19:
	.size	_ZL19rocblas_trsv_deviceILi64ELi16ELb1ELb0ELb0ELb1EffPKfPfEviT7_lllT6_T8_lllPii, .Lfunc_end19-_ZL19rocblas_trsv_deviceILi64ELi16ELb1ELb0ELb0ELb1EffPKfPfEviT7_lllT6_T8_lllPii
                                        ; -- End function
	.set _ZL19rocblas_trsv_deviceILi64ELi16ELb1ELb0ELb0ELb1EffPKfPfEviT7_lllT6_T8_lllPii.num_vgpr, 35
	.set _ZL19rocblas_trsv_deviceILi64ELi16ELb1ELb0ELb0ELb1EffPKfPfEviT7_lllT6_T8_lllPii.num_agpr, 0
	.set _ZL19rocblas_trsv_deviceILi64ELi16ELb1ELb0ELb0ELb1EffPKfPfEviT7_lllT6_T8_lllPii.numbered_sgpr, 96
	.set _ZL19rocblas_trsv_deviceILi64ELi16ELb1ELb0ELb0ELb1EffPKfPfEviT7_lllT6_T8_lllPii.num_named_barrier, 0
	.set _ZL19rocblas_trsv_deviceILi64ELi16ELb1ELb0ELb0ELb1EffPKfPfEviT7_lllT6_T8_lllPii.private_seg_size, 0
	.set _ZL19rocblas_trsv_deviceILi64ELi16ELb1ELb0ELb0ELb1EffPKfPfEviT7_lllT6_T8_lllPii.uses_vcc, 1
	.set _ZL19rocblas_trsv_deviceILi64ELi16ELb1ELb0ELb0ELb1EffPKfPfEviT7_lllT6_T8_lllPii.uses_flat_scratch, 0
	.set _ZL19rocblas_trsv_deviceILi64ELi16ELb1ELb0ELb0ELb1EffPKfPfEviT7_lllT6_T8_lllPii.has_dyn_sized_stack, 0
	.set _ZL19rocblas_trsv_deviceILi64ELi16ELb1ELb0ELb0ELb1EffPKfPfEviT7_lllT6_T8_lllPii.has_recursion, 0
	.set _ZL19rocblas_trsv_deviceILi64ELi16ELb1ELb0ELb0ELb1EffPKfPfEviT7_lllT6_T8_lllPii.has_indirect_call, 0
	.section	.AMDGPU.csdata,"",@progbits
; Kernel info:
; codeLenInByte = 28508
; TotalNumSgprs: 100
; NumVgprs: 35
; ScratchSize: 0
; MemoryBound: 0
; FloatMode: 240
; IeeeMode: 1
; LDSByteSize: 20740 bytes/workgroup (compile time only)
; SGPRBlocks: 12
; VGPRBlocks: 8
; NumSGPRsForWavesPerEU: 100
; NumVGPRsForWavesPerEU: 35
; Occupancy: 7
; WaveLimiterHint : 0
; COMPUTE_PGM_RSRC2:SCRATCH_EN: 0
; COMPUTE_PGM_RSRC2:USER_SGPR: 6
; COMPUTE_PGM_RSRC2:TRAP_HANDLER: 0
; COMPUTE_PGM_RSRC2:TGID_X_EN: 1
; COMPUTE_PGM_RSRC2:TGID_Y_EN: 0
; COMPUTE_PGM_RSRC2:TGID_Z_EN: 1
; COMPUTE_PGM_RSRC2:TIDIG_COMP_CNT: 1
	.section	.text._ZL19rocblas_trsv_deviceILi64ELi16ELb1ELb1ELb0ELb1EffPKfPfEviT7_lllT6_T8_lllPii,"axG",@progbits,_ZL19rocblas_trsv_deviceILi64ELi16ELb1ELb1ELb0ELb1EffPKfPfEviT7_lllT6_T8_lllPii,comdat
	.globl	_ZL19rocblas_trsv_deviceILi64ELi16ELb1ELb1ELb0ELb1EffPKfPfEviT7_lllT6_T8_lllPii ; -- Begin function _ZL19rocblas_trsv_deviceILi64ELi16ELb1ELb1ELb0ELb1EffPKfPfEviT7_lllT6_T8_lllPii
	.p2align	8
	.type	_ZL19rocblas_trsv_deviceILi64ELi16ELb1ELb1ELb0ELb1EffPKfPfEviT7_lllT6_T8_lllPii,@function
_ZL19rocblas_trsv_deviceILi64ELi16ELb1ELb1ELb0ELb1EffPKfPfEviT7_lllT6_T8_lllPii: ; @_ZL19rocblas_trsv_deviceILi64ELi16ELb1ELb1ELb0ELb1EffPKfPfEviT7_lllT6_T8_lllPii
; %bb.0:
	s_load_dwordx8 s[20:27], s[4:5], 0x8
	s_load_dword s30, s[4:5], 0x0
	s_mov_b32 s28, s7
	s_mov_b32 s29, 0
	s_load_dword s89, s[4:5], 0x6c
	s_waitcnt lgkmcnt(0)
	s_mul_i32 s0, s27, s7
	s_mul_hi_u32 s1, s26, s7
	s_add_i32 s1, s1, s0
	s_mul_i32 s0, s26, s7
	s_load_dword s7, s[4:5], 0x60
	s_lshl_b64 s[0:1], s[0:1], 2
	s_add_u32 s2, s20, s0
	s_addc_u32 s3, s21, s1
	s_lshl_b64 s[0:1], s[22:23], 2
	s_add_u32 s87, s2, s0
	s_addc_u32 s88, s3, s1
	s_waitcnt lgkmcnt(0)
	s_add_i32 s7, s7, -1
	s_sub_i32 s33, s7, s6
	s_cmp_eq_u32 s6, 0
	s_cbranch_scc1 .LBB20_10
; %bb.1:
	s_lshl_b32 s2, s33, 6
	v_add_u32_e32 v6, s2, v0
	v_ashrrev_i32_e32 v2, 31, v6
	v_mul_lo_u32 v7, s24, v2
	v_mul_lo_u32 v8, s25, v6
	v_mad_u64_u32 v[4:5], s[0:1], s24, v6, 0
	v_add3_u32 v2, v1, s2, 64
	v_ashrrev_i32_e32 v3, 31, v2
	v_add3_u32 v5, v5, v7, v8
	v_lshlrev_b64 v[4:5], 2, v[4:5]
	v_cmp_gt_i32_e32 vcc, s30, v6
	v_mov_b32_e32 v6, s88
	v_add_co_u32_e64 v7, s[0:1], s87, v4
	v_lshlrev_b64 v[3:4], 2, v[2:3]
	v_addc_co_u32_e64 v5, s[0:1], v6, v5, s[0:1]
	v_add_co_u32_e64 v3, s[0:1], v7, v3
	v_addc_co_u32_e64 v4, s[0:1], v5, v4, s[0:1]
	v_cmp_gt_i32_e64 s[0:1], s30, v2
	s_and_b64 s[2:3], s[0:1], vcc
	v_mov_b32_e32 v6, 0
	v_mov_b32_e32 v7, 0
	s_barrier
	s_and_saveexec_b64 s[0:1], s[2:3]
	s_cbranch_execz .LBB20_3
; %bb.2:
	global_load_dword v7, v[3:4], off
.LBB20_3:
	s_or_b64 exec, exec, s[0:1]
	v_add_u32_e32 v5, 16, v2
	v_cmp_gt_i32_e64 s[0:1], s30, v5
	s_and_b64 s[2:3], s[0:1], vcc
	s_waitcnt vmcnt(0)
	s_barrier
	s_and_saveexec_b64 s[0:1], s[2:3]
	s_cbranch_execz .LBB20_5
; %bb.4:
	global_load_dword v6, v[3:4], off offset:64
.LBB20_5:
	s_or_b64 exec, exec, s[0:1]
	v_add_u32_e32 v5, 32, v2
	v_cmp_gt_i32_e64 s[0:1], s30, v5
	s_and_b64 s[2:3], s[0:1], vcc
	v_mov_b32_e32 v8, 0
	v_mov_b32_e32 v9, 0
	s_waitcnt vmcnt(0)
	s_barrier
	s_and_saveexec_b64 s[0:1], s[2:3]
	s_cbranch_execz .LBB20_7
; %bb.6:
	global_load_dword v9, v[3:4], off offset:128
.LBB20_7:
	s_or_b64 exec, exec, s[0:1]
	v_add_u32_e32 v2, 48, v2
	v_cmp_gt_i32_e64 s[0:1], s30, v2
	s_and_b64 s[2:3], s[0:1], vcc
	s_waitcnt vmcnt(0)
	s_barrier
	s_and_saveexec_b64 s[0:1], s[2:3]
	s_cbranch_execz .LBB20_9
; %bb.8:
	global_load_dword v8, v[3:4], off offset:192
.LBB20_9:
	s_or_b64 exec, exec, s[0:1]
	s_branch .LBB20_11
.LBB20_10:
                                        ; implicit-def: $vgpr8
                                        ; implicit-def: $vgpr9
                                        ; implicit-def: $vgpr6
                                        ; implicit-def: $vgpr7
.LBB20_11:
	s_ashr_i32 s31, s30, 31
	s_lshr_b32 s0, s31, 26
	s_add_i32 s0, s30, s0
	s_andn2_b32 s0, s0, 63
	s_sub_i32 s86, s30, s0
	s_add_i32 s0, s30, -1
	s_ashr_i32 s1, s0, 31
	s_lshr_b32 s1, s1, 26
	s_add_i32 s0, s0, s1
	s_ashr_i32 s0, s0, 6
	s_cmp_eq_u32 s0, s33
	s_cselect_b64 s[0:1], -1, 0
	s_cmp_lg_u32 s86, 0
	s_cselect_b64 s[2:3], -1, 0
	s_and_b64 s[22:23], s[2:3], s[0:1]
	s_cmp_lt_i32 s6, 5
	s_cselect_b64 s[2:3], -1, 0
	s_mov_b64 s[12:13], -1
	s_or_b64 s[0:1], s[2:3], s[22:23]
	v_lshlrev_b32_e32 v4, 6, v0
	s_and_b64 vcc, exec, s[22:23]
	v_cmp_le_u32_e64 s[8:9], v0, v1
	s_cbranch_vccnz .LBB20_27
; %bb.12:
	s_add_u32 s10, s24, 1
	s_addc_u32 s11, s25, 0
	s_lshl_b32 s12, s33, 6
	s_ashr_i32 s13, s12, 31
	s_mul_hi_u32 s14, s10, s12
	s_mul_i32 s13, s10, s13
	s_add_i32 s13, s14, s13
	s_mul_i32 s11, s11, s12
	s_add_i32 s11, s13, s11
	s_mul_i32 s10, s10, s12
	s_lshl_b64 s[10:11], s[10:11], 2
	s_add_u32 s10, s87, s10
	s_addc_u32 s11, s88, s11
	v_lshlrev_b32_e32 v2, 2, v0
	v_mov_b32_e32 v3, s11
	v_add_co_u32_e32 v2, vcc, s10, v2
	v_mov_b32_e32 v5, 0
	v_addc_co_u32_e32 v3, vcc, 0, v3, vcc
	s_mov_b64 s[10:11], 0
	s_and_saveexec_b64 s[12:13], s[8:9]
	s_xor_b64 s[8:9], exec, s[12:13]
	s_cbranch_execnz .LBB20_1154
; %bb.13:
	s_andn2_saveexec_b64 s[8:9], s[8:9]
	s_cbranch_execnz .LBB20_1155
.LBB20_14:
	s_or_b64 exec, exec, s[8:9]
	s_and_saveexec_b64 s[8:9], s[10:11]
.LBB20_15:
	v_add_u32_e32 v10, v1, v4
	v_lshl_add_u32 v11, v1, 6, v0
	v_cndmask_b32_e64 v10, v11, v10, s[2:3]
	v_lshlrev_b32_e32 v10, 2, v10
	ds_write_b32 v10, v5
.LBB20_16:
	s_or_b64 exec, exec, s[8:9]
	v_add_u32_e32 v5, 16, v1
	v_cmp_le_u32_e32 vcc, v0, v5
	s_mov_b64 s[2:3], 0
	s_and_saveexec_b64 s[8:9], vcc
	s_xor_b64 s[8:9], exec, s[8:9]
	s_cbranch_execnz .LBB20_1156
; %bb.17:
	s_or_saveexec_b64 s[8:9], s[8:9]
	v_mov_b32_e32 v10, 0
	s_xor_b64 exec, exec, s[8:9]
	s_cbranch_execnz .LBB20_1157
.LBB20_18:
	s_or_b64 exec, exec, s[8:9]
	s_and_saveexec_b64 s[8:9], s[2:3]
.LBB20_19:
	v_add_u32_e32 v11, v5, v4
	v_lshl_add_u32 v5, v5, 6, v0
	v_cndmask_b32_e64 v5, v5, v11, s[0:1]
	v_lshlrev_b32_e32 v5, 2, v5
	ds_write_b32 v5, v10
.LBB20_20:
	s_or_b64 exec, exec, s[8:9]
	v_add_u32_e32 v5, 32, v1
	v_cmp_le_u32_e32 vcc, v0, v5
	s_mov_b64 s[2:3], 0
	s_and_saveexec_b64 s[8:9], vcc
	s_xor_b64 s[8:9], exec, s[8:9]
	s_cbranch_execnz .LBB20_1158
; %bb.21:
	s_or_saveexec_b64 s[8:9], s[8:9]
	v_mov_b32_e32 v10, 0
	s_xor_b64 exec, exec, s[8:9]
	s_cbranch_execnz .LBB20_1159
.LBB20_22:
	s_or_b64 exec, exec, s[8:9]
	s_and_saveexec_b64 s[8:9], s[2:3]
.LBB20_23:
	v_add_u32_e32 v11, v5, v4
	v_lshl_add_u32 v5, v5, 6, v0
	v_cndmask_b32_e64 v5, v5, v11, s[0:1]
	v_lshlrev_b32_e32 v5, 2, v5
	ds_write_b32 v5, v10
.LBB20_24:
	s_or_b64 exec, exec, s[8:9]
	v_add_u32_e32 v5, 48, v1
	v_add_u32_e32 v10, v5, v4
	v_lshl_add_u32 v11, v5, 6, v0
	v_cmp_le_u32_e32 vcc, v0, v5
	s_mov_b64 s[2:3], -1
	s_mov_b64 s[12:13], 0
	s_mov_b64 s[10:11], 0
	s_and_saveexec_b64 s[8:9], vcc
	s_xor_b64 s[8:9], exec, s[8:9]
; %bb.25:
	v_or_b32_e32 v12, v5, v0
	v_cmp_gt_u32_e32 vcc, 64, v12
	s_and_b64 s[10:11], vcc, exec
	s_xor_b64 s[2:3], exec, -1
; %bb.26:
	s_or_b64 exec, exec, s[8:9]
	v_cndmask_b32_e64 v10, v11, v10, s[0:1]
	s_and_b64 vcc, exec, s[12:13]
	s_cbranch_vccnz .LBB20_28
	s_branch .LBB20_43
.LBB20_27:
	s_mov_b64 s[2:3], 0
	s_mov_b64 s[10:11], 0
                                        ; implicit-def: $vgpr10
                                        ; implicit-def: $vgpr2_vgpr3
                                        ; implicit-def: $vgpr5
	s_and_b64 vcc, exec, s[12:13]
	s_cbranch_vccz .LBB20_43
.LBB20_28:
	s_add_u32 s2, s24, 1
	s_addc_u32 s3, s25, 0
	s_lshl_b32 s8, s33, 6
	s_ashr_i32 s9, s8, 31
	s_mul_hi_u32 s12, s2, s8
	s_mul_i32 s9, s2, s9
	s_add_i32 s9, s12, s9
	s_mul_i32 s3, s3, s8
	s_add_i32 s3, s9, s3
	s_mul_i32 s2, s2, s8
	s_lshl_b64 s[2:3], s[2:3], 2
	s_add_u32 s2, s87, s2
	s_addc_u32 s3, s88, s3
	v_lshlrev_b32_e32 v2, 2, v0
	v_mov_b32_e32 v3, s3
	v_add_co_u32_e64 v2, s[2:3], s2, v2
	v_addc_co_u32_e64 v3, s[2:3], 0, v3, s[2:3]
	v_max_i32_e32 v10, v1, v0
	v_cmp_le_u32_e64 s[2:3], v0, v1
	v_cmp_le_i32_e64 s[8:9], s86, v10
	v_cmp_gt_i32_e32 vcc, s86, v0
	v_mov_b32_e32 v5, 0
	s_or_b64 s[2:3], s[8:9], s[2:3]
	s_mov_b64 s[8:9], 0
	s_and_saveexec_b64 s[12:13], s[2:3]
	s_xor_b64 s[12:13], exec, s[12:13]
	s_cbranch_execnz .LBB20_1160
; %bb.29:
	s_andn2_saveexec_b64 s[12:13], s[12:13]
	s_cbranch_execnz .LBB20_1161
.LBB20_30:
	s_or_b64 exec, exec, s[12:13]
	s_and_saveexec_b64 s[2:3], s[8:9]
.LBB20_31:
	v_lshlrev_b32_e32 v10, 2, v4
	v_lshl_add_u32 v10, v1, 2, v10
	ds_write_b32 v10, v5
.LBB20_32:
	s_or_b64 exec, exec, s[2:3]
	v_add_u32_e32 v5, 16, v1
	v_cmp_gt_u32_e64 s[2:3], v0, v5
	v_cmp_gt_i32_e64 s[8:9], s86, v5
	s_and_b64 s[2:3], s[2:3], s[8:9]
	s_and_b64 s[2:3], s[2:3], vcc
	s_xor_b64 s[2:3], s[2:3], -1
	s_mov_b64 s[8:9], 0
	s_and_saveexec_b64 s[12:13], s[2:3]
	s_xor_b64 s[12:13], exec, s[12:13]
	s_cbranch_execnz .LBB20_1162
; %bb.33:
	s_or_saveexec_b64 s[12:13], s[12:13]
	v_mov_b32_e32 v10, 0
	s_xor_b64 exec, exec, s[12:13]
	s_cbranch_execnz .LBB20_1163
.LBB20_34:
	s_or_b64 exec, exec, s[12:13]
	s_and_saveexec_b64 s[2:3], s[8:9]
.LBB20_35:
	v_add_u32_e32 v11, v5, v4
	v_lshl_add_u32 v5, v5, 6, v0
	v_cndmask_b32_e64 v5, v5, v11, s[0:1]
	v_lshlrev_b32_e32 v5, 2, v5
	ds_write_b32 v5, v10
.LBB20_36:
	s_or_b64 exec, exec, s[2:3]
	v_add_u32_e32 v5, 32, v1
	v_cmp_gt_u32_e64 s[2:3], v0, v5
	v_cmp_gt_i32_e64 s[8:9], s86, v5
	s_and_b64 s[2:3], s[2:3], s[8:9]
	s_and_b64 s[2:3], s[2:3], vcc
	s_xor_b64 s[2:3], s[2:3], -1
	s_mov_b64 s[8:9], 0
	s_and_saveexec_b64 s[12:13], s[2:3]
	s_xor_b64 s[12:13], exec, s[12:13]
	s_cbranch_execnz .LBB20_1164
; %bb.37:
	s_or_saveexec_b64 s[12:13], s[12:13]
	v_mov_b32_e32 v10, 0
	s_xor_b64 exec, exec, s[12:13]
	s_cbranch_execnz .LBB20_1165
.LBB20_38:
	s_or_b64 exec, exec, s[12:13]
	s_and_saveexec_b64 s[2:3], s[8:9]
.LBB20_39:
	v_add_u32_e32 v11, v5, v4
	v_lshl_add_u32 v5, v5, 6, v0
	v_cndmask_b32_e64 v5, v5, v11, s[0:1]
	v_lshlrev_b32_e32 v5, 2, v5
	ds_write_b32 v5, v10
.LBB20_40:
	s_or_b64 exec, exec, s[2:3]
	v_add_u32_e32 v5, 48, v1
	v_cmp_gt_u32_e64 s[2:3], v0, v5
	v_cmp_gt_i32_e64 s[8:9], s86, v5
	s_and_b64 s[2:3], s[2:3], s[8:9]
	s_and_b64 s[8:9], s[2:3], vcc
	v_add_u32_e32 v4, v5, v4
	v_lshl_add_u32 v10, v5, 6, v0
	s_mov_b64 s[2:3], -1
	s_xor_b64 s[12:13], s[8:9], -1
	s_and_saveexec_b64 s[8:9], s[12:13]
; %bb.41:
	v_or_b32_e32 v11, v5, v0
	v_cmp_gt_u32_e32 vcc, 64, v11
	s_andn2_b64 s[2:3], s[10:11], exec
	s_and_b64 s[10:11], vcc, exec
	s_or_b64 s[10:11], s[2:3], s[10:11]
	s_xor_b64 s[2:3], exec, -1
; %bb.42:
	s_or_b64 exec, exec, s[8:9]
	v_cndmask_b32_e64 v10, v10, v4, s[0:1]
.LBB20_43:
	v_mov_b32_e32 v4, 0
	s_and_saveexec_b64 s[8:9], s[2:3]
	s_cbranch_execnz .LBB20_1127
; %bb.44:
	s_or_b64 exec, exec, s[8:9]
	s_xor_b64 s[0:1], s[0:1], -1
	s_and_saveexec_b64 s[2:3], s[10:11]
.LBB20_45:
	v_lshlrev_b32_e32 v2, 2, v10
	ds_write_b32 v2, v4
.LBB20_46:
	s_or_b64 exec, exec, s[2:3]
	v_cndmask_b32_e64 v2, 0, 1, s[0:1]
	v_cmp_ne_u32_e64 s[40:41], 1, v2
	s_andn2_b64 vcc, exec, s[0:1]
	s_waitcnt vmcnt(0) lgkmcnt(0)
	s_barrier
	s_cbranch_vccnz .LBB20_1084
; %bb.47:
	v_or_b32_e32 v2, v0, v1
	v_cmp_eq_u32_e32 vcc, 0, v2
	s_and_saveexec_b64 s[0:1], vcc
	s_cbranch_execz .LBB20_49
; %bb.48:
	v_mov_b32_e32 v4, 0
	ds_read_b32 v2, v4 offset:4
	v_mov_b32_e32 v3, 1.0
	ds_write_b32 v4, v3
	s_waitcnt lgkmcnt(1)
	ds_write_b64 v4, v[2:3] offset:256
.LBB20_49:
	s_or_b64 exec, exec, s[0:1]
	v_lshl_add_u32 v4, v1, 6, v0
	v_and_b32_e32 v11, 1, v0
	v_lshrrev_b32_e32 v5, 1, v4
	v_lshlrev_b32_e32 v2, 2, v11
	v_cmp_lt_u32_e64 s[8:9], 3, v4
	v_cmp_gt_u32_e64 s[2:3], 4, v4
	v_lshl_or_b32 v2, v5, 8, v2
	v_mov_b32_e32 v10, 0
	s_waitcnt lgkmcnt(0)
	s_barrier
	s_and_saveexec_b64 s[0:1], s[2:3]
	s_cbranch_execz .LBB20_53
; %bb.50:
	v_mul_u32_u24_e32 v3, 0x104, v5
	ds_read_b32 v12, v2 offset:8
	ds_read_b32 v3, v3
	v_mov_b32_e32 v10, 0
	v_cmp_gt_u32_e64 s[10:11], 2, v4
	s_waitcnt lgkmcnt(0)
	v_fma_f32 v3, v12, v3, 0
	s_and_saveexec_b64 s[12:13], s[10:11]
	s_cbranch_execz .LBB20_52
; %bb.51:
	v_lshlrev_b32_e32 v12, 2, v0
	ds_read_b32 v12, v12 offset:264
	ds_read_b32 v10, v10 offset:4
	s_waitcnt lgkmcnt(0)
	v_fmac_f32_e32 v3, v12, v10
.LBB20_52:
	s_or_b64 exec, exec, s[12:13]
	v_xor_b32_e32 v10, 0x80000000, v3
.LBB20_53:
	s_or_b64 exec, exec, s[0:1]
	v_mov_b32_e32 v3, 0x4000
	v_cmp_eq_u32_e64 s[10:11], 0, v11
	s_xor_b64 s[0:1], s[8:9], -1
	v_lshl_add_u32 v3, v5, 2, v3
	s_and_b64 s[34:35], s[10:11], s[0:1]
	s_and_saveexec_b64 s[8:9], s[34:35]
; %bb.54:
	ds_write_b32 v3, v10
; %bb.55:
	s_or_b64 exec, exec, s[8:9]
	v_cmp_ne_u32_e64 s[8:9], 0, v11
	s_and_b64 s[26:27], s[8:9], s[0:1]
	s_waitcnt lgkmcnt(0)
	s_barrier
	s_and_saveexec_b64 s[0:1], s[26:27]
	s_cbranch_execz .LBB20_57
; %bb.56:
	v_mov_b32_e32 v11, 0
	ds_read_b32 v11, v11 offset:524
	ds_read_b32 v12, v3
	s_waitcnt lgkmcnt(0)
	v_fmac_f32_e32 v10, v11, v12
.LBB20_57:
	s_or_b64 exec, exec, s[0:1]
	s_barrier
	s_and_saveexec_b64 s[0:1], s[26:27]
; %bb.58:
	ds_write_b32 v3, v10
; %bb.59:
	s_or_b64 exec, exec, s[0:1]
	s_waitcnt lgkmcnt(0)
	s_barrier
	s_barrier
	s_and_saveexec_b64 s[0:1], s[2:3]
; %bb.60:
	v_xor_b32_e32 v10, 0x80000000, v10
	ds_write_b32 v2, v10 offset:8
; %bb.61:
	s_or_b64 exec, exec, s[0:1]
	v_cmp_eq_u32_e64 s[12:13], 0, v1
	v_cmp_gt_u32_e64 s[8:9], 2, v0
	s_and_b64 s[36:37], s[12:13], s[8:9]
	s_waitcnt lgkmcnt(0)
	s_barrier
	s_barrier
	s_and_saveexec_b64 s[0:1], s[36:37]
	s_cbranch_execz .LBB20_63
; %bb.62:
	v_lshlrev_b32_e32 v10, 2, v0
	s_movk_i32 s8, 0xfc
	v_mad_u32_u24 v11, v0, s8, v10
	ds_read_b32 v12, v11 offset:8
	s_waitcnt lgkmcnt(0)
	ds_write_b32 v10, v12 offset:512
	ds_read_b32 v11, v11 offset:12
	s_waitcnt lgkmcnt(0)
	ds_write_b32 v10, v11 offset:768
.LBB20_63:
	s_or_b64 exec, exec, s[0:1]
	s_waitcnt lgkmcnt(0)
	s_barrier
	s_and_saveexec_b64 s[0:1], vcc
	s_cbranch_execz .LBB20_65
; %bb.64:
	v_mov_b32_e32 v12, 0
	ds_read_b32 v10, v12 offset:524
	v_mov_b32_e32 v11, 1.0
	ds_write_b32 v12, v11 offset:520
	s_waitcnt lgkmcnt(1)
	ds_write_b64 v12, v[10:11] offset:776
.LBB20_65:
	s_or_b64 exec, exec, s[0:1]
	v_and_b32_e32 v13, 3, v0
	v_lshrrev_b32_e32 v14, 2, v4
	v_lshlrev_b32_e32 v11, 2, v13
	v_cmp_lt_u32_e64 s[8:9], 15, v4
	v_cmp_gt_u32_e64 s[18:19], 16, v4
	v_lshl_or_b32 v10, v14, 8, v11
	v_mov_b32_e32 v15, 0
	s_waitcnt lgkmcnt(0)
	s_barrier
	s_and_saveexec_b64 s[0:1], s[18:19]
	s_cbranch_execz .LBB20_71
; %bb.66:
	v_mul_u32_u24_e32 v15, 0x104, v14
	ds_read_b32 v12, v10 offset:16
	ds_read_b32 v16, v15
	v_cmp_gt_u32_e64 s[10:11], 12, v4
	s_waitcnt lgkmcnt(0)
	v_fma_f32 v12, v12, v16, 0
	s_and_saveexec_b64 s[14:15], s[10:11]
	s_cbranch_execnz .LBB20_1170
; %bb.67:
	s_or_b64 exec, exec, s[14:15]
	v_cmp_gt_u32_e64 s[10:11], 8, v4
	s_and_saveexec_b64 s[14:15], s[10:11]
	s_cbranch_execnz .LBB20_1171
.LBB20_68:
	s_or_b64 exec, exec, s[14:15]
	v_cmp_gt_u32_e64 s[10:11], 4, v4
	s_and_saveexec_b64 s[14:15], s[10:11]
	s_cbranch_execz .LBB20_70
.LBB20_69:
	v_lshlrev_b32_e32 v15, 2, v0
	v_mov_b32_e32 v16, 0
	ds_read_b32 v15, v15 offset:784
	ds_read_b32 v16, v16 offset:12
	s_waitcnt lgkmcnt(0)
	v_fmac_f32_e32 v12, v15, v16
.LBB20_70:
	s_or_b64 exec, exec, s[14:15]
	v_xor_b32_e32 v15, 0x80000000, v12
.LBB20_71:
                                        ; implicit-def: $vgpr33 : SGPR spill to VGPR lane
	v_writelane_b32 v33, s40, 0
	v_writelane_b32 v33, s41, 1
	s_or_b64 exec, exec, s[0:1]
	v_mov_b32_e32 v12, 0x4000
	v_cmp_eq_u32_e64 s[10:11], 0, v13
	s_xor_b64 s[0:1], s[8:9], -1
	v_lshl_add_u32 v12, v14, 2, v12
	s_and_b64 s[40:41], s[10:11], s[0:1]
	s_and_saveexec_b64 s[8:9], s[40:41]
; %bb.72:
	ds_write_b32 v12, v15
; %bb.73:
	s_or_b64 exec, exec, s[8:9]
	v_cmp_ne_u32_e64 s[8:9], 0, v13
	s_and_b64 s[42:43], s[8:9], s[0:1]
	s_waitcnt lgkmcnt(0)
	s_barrier
	s_and_saveexec_b64 s[8:9], s[42:43]
	s_cbranch_execz .LBB20_75
; %bb.74:
	ds_read_b32 v16, v11 offset:1040
	ds_read_b32 v17, v12
	s_waitcnt lgkmcnt(0)
	v_fmac_f32_e32 v15, v16, v17
.LBB20_75:
	s_or_b64 exec, exec, s[8:9]
	v_cmp_eq_u32_e64 s[8:9], 1, v13
	s_and_b64 s[44:45], s[8:9], s[0:1]
	s_barrier
	s_and_saveexec_b64 s[8:9], s[44:45]
; %bb.76:
	ds_write_b32 v12, v15
; %bb.77:
	s_or_b64 exec, exec, s[8:9]
	v_cmp_lt_u32_e64 s[8:9], 1, v13
	s_and_b64 s[46:47], s[8:9], s[0:1]
	s_waitcnt lgkmcnt(0)
	s_barrier
	s_and_saveexec_b64 s[8:9], s[46:47]
	s_cbranch_execz .LBB20_79
; %bb.78:
	ds_read_b32 v16, v11 offset:1296
	ds_read_b32 v17, v12
	s_waitcnt lgkmcnt(0)
	v_fmac_f32_e32 v15, v16, v17
.LBB20_79:
	s_or_b64 exec, exec, s[8:9]
	v_cmp_eq_u32_e64 s[8:9], 2, v13
	s_and_b64 s[48:49], s[8:9], s[0:1]
	s_barrier
	s_and_saveexec_b64 s[8:9], s[48:49]
; %bb.80:
	ds_write_b32 v12, v15
; %bb.81:
	s_or_b64 exec, exec, s[8:9]
	v_cmp_eq_u32_e64 s[8:9], 3, v13
	s_and_b64 s[38:39], s[8:9], s[0:1]
	s_waitcnt lgkmcnt(0)
	s_barrier
	s_and_saveexec_b64 s[0:1], s[38:39]
	s_cbranch_execz .LBB20_83
; %bb.82:
	v_mov_b32_e32 v16, 0
	ds_read_b32 v16, v16 offset:1564
	ds_read_b32 v17, v12
	s_waitcnt lgkmcnt(0)
	v_fmac_f32_e32 v15, v16, v17
.LBB20_83:
	s_or_b64 exec, exec, s[0:1]
	s_barrier
	s_and_saveexec_b64 s[0:1], s[38:39]
; %bb.84:
	ds_write_b32 v12, v15
; %bb.85:
	s_or_b64 exec, exec, s[0:1]
	s_waitcnt lgkmcnt(0)
	s_barrier
	s_barrier
	s_and_saveexec_b64 s[0:1], s[18:19]
; %bb.86:
	v_xor_b32_e32 v15, 0x80000000, v15
	ds_write_b32 v10, v15 offset:16
; %bb.87:
	s_or_b64 exec, exec, s[0:1]
	v_cmp_gt_u32_e64 s[8:9], 4, v0
	s_and_b64 s[50:51], s[12:13], s[8:9]
	s_waitcnt lgkmcnt(0)
	s_barrier
	s_barrier
	s_and_saveexec_b64 s[0:1], s[50:51]
	s_cbranch_execz .LBB20_89
; %bb.88:
	v_lshlrev_b32_e32 v15, 8, v0
	ds_read_b32 v16, v15 offset:16
	s_movk_i32 s8, 0xff04
	v_mad_i32_i24 v17, v0, s8, v15
	s_waitcnt lgkmcnt(0)
	ds_write_b32 v17, v16 offset:1024
	ds_read_b32 v16, v15 offset:20
	s_waitcnt lgkmcnt(0)
	ds_write_b32 v17, v16 offset:1280
	ds_read_b32 v16, v15 offset:24
	;; [unrolled: 3-line block ×3, first 2 shown]
	s_waitcnt lgkmcnt(0)
	ds_write_b32 v17, v15 offset:1792
.LBB20_89:
	s_or_b64 exec, exec, s[0:1]
	s_waitcnt lgkmcnt(0)
	s_barrier
	s_and_saveexec_b64 s[0:1], vcc
	s_cbranch_execz .LBB20_91
; %bb.90:
	v_mov_b32_e32 v17, 0
	ds_read_b32 v15, v17 offset:1044
	v_mov_b32_e32 v16, 1.0
	ds_write_b32 v17, v16 offset:1040
	s_waitcnt lgkmcnt(1)
	ds_write_b64 v17, v[15:16] offset:1296
.LBB20_91:
	s_or_b64 exec, exec, s[0:1]
	v_mov_b32_e32 v15, 0
	s_waitcnt lgkmcnt(0)
	s_barrier
	s_and_saveexec_b64 s[0:1], s[2:3]
	s_cbranch_execz .LBB20_95
; %bb.92:
	v_mul_u32_u24_e32 v15, 0x104, v5
	ds_read_b32 v17, v2 offset:1048
	ds_read_b32 v15, v15 offset:1040
	v_mov_b32_e32 v16, 0
	v_cmp_gt_u32_e64 s[8:9], 2, v4
	s_waitcnt lgkmcnt(0)
	v_fma_f32 v15, v17, v15, 0
	s_and_saveexec_b64 s[10:11], s[8:9]
	s_cbranch_execz .LBB20_94
; %bb.93:
	v_lshlrev_b32_e32 v17, 2, v0
	ds_read_b32 v17, v17 offset:1304
	ds_read_b32 v16, v16 offset:1044
	s_waitcnt lgkmcnt(0)
	v_fmac_f32_e32 v15, v17, v16
.LBB20_94:
	s_or_b64 exec, exec, s[10:11]
	v_xor_b32_e32 v15, 0x80000000, v15
.LBB20_95:
	s_or_b64 exec, exec, s[0:1]
	s_and_saveexec_b64 s[0:1], s[34:35]
; %bb.96:
	ds_write_b32 v3, v15
; %bb.97:
	s_or_b64 exec, exec, s[0:1]
	s_waitcnt lgkmcnt(0)
	s_barrier
	s_and_saveexec_b64 s[0:1], s[26:27]
	s_cbranch_execz .LBB20_99
; %bb.98:
	v_mov_b32_e32 v16, 0
	ds_read_b32 v16, v16 offset:1564
	ds_read_b32 v17, v3
	s_waitcnt lgkmcnt(0)
	v_fmac_f32_e32 v15, v16, v17
.LBB20_99:
	s_or_b64 exec, exec, s[0:1]
	s_barrier
	s_and_saveexec_b64 s[0:1], s[26:27]
; %bb.100:
	ds_write_b32 v3, v15
; %bb.101:
	s_or_b64 exec, exec, s[0:1]
	s_waitcnt lgkmcnt(0)
	s_barrier
	s_barrier
	s_and_saveexec_b64 s[0:1], s[2:3]
; %bb.102:
	v_xor_b32_e32 v15, 0x80000000, v15
	ds_write_b32 v2, v15 offset:1048
; %bb.103:
	s_or_b64 exec, exec, s[0:1]
	s_waitcnt lgkmcnt(0)
	s_barrier
	s_barrier
	s_and_saveexec_b64 s[0:1], s[36:37]
	s_cbranch_execz .LBB20_105
; %bb.104:
	v_lshlrev_b32_e32 v15, 2, v0
	s_movk_i32 s8, 0xfc
	v_mad_u32_u24 v16, v0, s8, v15
	ds_read_b32 v17, v16 offset:1048
	s_waitcnt lgkmcnt(0)
	ds_write_b32 v15, v17 offset:1552
	ds_read_b32 v16, v16 offset:1052
	s_waitcnt lgkmcnt(0)
	ds_write_b32 v15, v16 offset:1808
.LBB20_105:
	s_or_b64 exec, exec, s[0:1]
	s_waitcnt lgkmcnt(0)
	s_barrier
	s_and_saveexec_b64 s[0:1], vcc
	s_cbranch_execz .LBB20_107
; %bb.106:
	v_mov_b32_e32 v17, 0
	ds_read_b32 v15, v17 offset:1564
	v_mov_b32_e32 v16, 1.0
	ds_write_b32 v17, v16 offset:1560
	s_waitcnt lgkmcnt(1)
	ds_write_b64 v17, v[15:16] offset:1816
.LBB20_107:
	s_or_b64 exec, exec, s[0:1]
	v_and_b32_e32 v18, 7, v0
	v_lshrrev_b32_e32 v19, 3, v4
	v_lshlrev_b32_e32 v16, 2, v18
	v_cmp_lt_u32_e64 s[10:11], 63, v4
	v_cmp_gt_u32_e64 s[8:9], 64, v4
	v_lshl_or_b32 v15, v19, 8, v16
	v_mov_b32_e32 v20, 0
	s_waitcnt lgkmcnt(0)
	s_barrier
	s_and_saveexec_b64 s[0:1], s[8:9]
	s_cbranch_execz .LBB20_117
; %bb.108:
	v_mul_u32_u24_e32 v20, 0x104, v19
	ds_read_b32 v17, v15 offset:32
	ds_read_b32 v21, v20
	v_cmp_gt_u32_e64 s[14:15], 56, v4
	s_waitcnt lgkmcnt(0)
	v_fma_f32 v17, v17, v21, 0
	s_and_saveexec_b64 s[16:17], s[14:15]
	s_cbranch_execnz .LBB20_1172
; %bb.109:
	s_or_b64 exec, exec, s[16:17]
	v_cmp_gt_u32_e64 s[14:15], 48, v4
	s_and_saveexec_b64 s[16:17], s[14:15]
	s_cbranch_execnz .LBB20_1173
.LBB20_110:
	s_or_b64 exec, exec, s[16:17]
	v_cmp_gt_u32_e64 s[14:15], 40, v4
	s_and_saveexec_b64 s[16:17], s[14:15]
	s_cbranch_execnz .LBB20_1174
.LBB20_111:
	s_or_b64 exec, exec, s[16:17]
	v_cmp_gt_u32_e64 s[14:15], 32, v4
	s_and_saveexec_b64 s[16:17], s[14:15]
	s_cbranch_execnz .LBB20_1175
.LBB20_112:
	s_or_b64 exec, exec, s[16:17]
	v_cmp_gt_u32_e64 s[14:15], 24, v4
	s_and_saveexec_b64 s[16:17], s[14:15]
	s_cbranch_execnz .LBB20_1176
.LBB20_113:
	s_or_b64 exec, exec, s[16:17]
	v_cmp_gt_u32_e64 s[14:15], 16, v4
	s_and_saveexec_b64 s[16:17], s[14:15]
	s_cbranch_execnz .LBB20_1177
.LBB20_114:
	s_or_b64 exec, exec, s[16:17]
	v_cmp_gt_u32_e64 s[14:15], 8, v4
	s_and_saveexec_b64 s[16:17], s[14:15]
	s_cbranch_execz .LBB20_116
.LBB20_115:
	v_lshlrev_b32_e32 v20, 2, v0
	v_mov_b32_e32 v21, 0
	ds_read_b32 v20, v20 offset:1824
	ds_read_b32 v21, v21 offset:28
	s_waitcnt lgkmcnt(0)
	v_fmac_f32_e32 v17, v20, v21
.LBB20_116:
	s_or_b64 exec, exec, s[16:17]
	v_xor_b32_e32 v20, 0x80000000, v17
.LBB20_117:
	s_or_b64 exec, exec, s[0:1]
	v_mov_b32_e32 v17, 0x4000
	v_cmp_eq_u32_e64 s[14:15], 0, v18
	s_xor_b64 s[0:1], s[10:11], -1
	v_lshl_add_u32 v17, v19, 2, v17
	s_and_b64 s[52:53], s[14:15], s[0:1]
	s_and_saveexec_b64 s[10:11], s[52:53]
; %bb.118:
	ds_write_b32 v17, v20
; %bb.119:
	s_or_b64 exec, exec, s[10:11]
	v_cmp_ne_u32_e64 s[10:11], 0, v18
	s_and_b64 s[54:55], s[10:11], s[0:1]
	s_waitcnt lgkmcnt(0)
	s_barrier
	s_and_saveexec_b64 s[10:11], s[54:55]
	s_cbranch_execz .LBB20_121
; %bb.120:
	ds_read_b32 v21, v16 offset:2080
	ds_read_b32 v22, v17
	s_waitcnt lgkmcnt(0)
	v_fmac_f32_e32 v20, v21, v22
.LBB20_121:
	s_or_b64 exec, exec, s[10:11]
	v_cmp_eq_u32_e64 s[10:11], 1, v18
	s_and_b64 s[56:57], s[10:11], s[0:1]
	s_barrier
	s_and_saveexec_b64 s[10:11], s[56:57]
; %bb.122:
	ds_write_b32 v17, v20
; %bb.123:
	s_or_b64 exec, exec, s[10:11]
	v_cmp_lt_u32_e64 s[10:11], 1, v18
	s_and_b64 s[58:59], s[10:11], s[0:1]
	s_waitcnt lgkmcnt(0)
	s_barrier
	s_and_saveexec_b64 s[10:11], s[58:59]
	s_cbranch_execz .LBB20_125
; %bb.124:
	ds_read_b32 v21, v16 offset:2336
	ds_read_b32 v22, v17
	s_waitcnt lgkmcnt(0)
	v_fmac_f32_e32 v20, v21, v22
.LBB20_125:
	s_or_b64 exec, exec, s[10:11]
	v_cmp_eq_u32_e64 s[10:11], 2, v18
	s_and_b64 s[62:63], s[10:11], s[0:1]
	s_barrier
	s_and_saveexec_b64 s[10:11], s[62:63]
; %bb.126:
	ds_write_b32 v17, v20
; %bb.127:
	s_or_b64 exec, exec, s[10:11]
	v_cmp_lt_u32_e64 s[10:11], 2, v18
	;; [unrolled: 21-line block ×5, first 2 shown]
	s_and_b64 s[76:77], s[10:11], s[0:1]
	s_waitcnt lgkmcnt(0)
	s_barrier
	s_and_saveexec_b64 s[10:11], s[76:77]
	s_cbranch_execz .LBB20_141
; %bb.140:
	ds_read_b32 v21, v16 offset:3360
	ds_read_b32 v22, v17
	s_waitcnt lgkmcnt(0)
	v_fmac_f32_e32 v20, v21, v22
.LBB20_141:
	s_or_b64 exec, exec, s[10:11]
	v_cmp_eq_u32_e64 s[10:11], 6, v18
	s_and_b64 s[78:79], s[10:11], s[0:1]
	s_barrier
	s_and_saveexec_b64 s[10:11], s[78:79]
; %bb.142:
	ds_write_b32 v17, v20
; %bb.143:
	s_or_b64 exec, exec, s[10:11]
	v_cmp_eq_u32_e64 s[10:11], 7, v18
	s_and_b64 s[60:61], s[10:11], s[0:1]
	s_waitcnt lgkmcnt(0)
	s_barrier
	s_and_saveexec_b64 s[0:1], s[60:61]
	s_cbranch_execz .LBB20_145
; %bb.144:
	v_mov_b32_e32 v21, 0
	ds_read_b32 v21, v21 offset:3644
	ds_read_b32 v22, v17
	s_waitcnt lgkmcnt(0)
	v_fmac_f32_e32 v20, v21, v22
.LBB20_145:
	s_or_b64 exec, exec, s[0:1]
	s_barrier
	s_and_saveexec_b64 s[0:1], s[60:61]
; %bb.146:
	ds_write_b32 v17, v20
; %bb.147:
	s_or_b64 exec, exec, s[0:1]
	s_waitcnt lgkmcnt(0)
	s_barrier
	s_barrier
	s_and_saveexec_b64 s[0:1], s[8:9]
; %bb.148:
	v_xor_b32_e32 v20, 0x80000000, v20
	ds_write_b32 v15, v20 offset:32
; %bb.149:
	s_or_b64 exec, exec, s[0:1]
	v_cmp_gt_u32_e64 s[10:11], 8, v0
	s_and_b64 s[80:81], s[12:13], s[10:11]
	s_waitcnt lgkmcnt(0)
	s_barrier
	s_barrier
	s_and_saveexec_b64 s[0:1], s[80:81]
	s_cbranch_execz .LBB20_151
; %bb.150:
	v_lshlrev_b32_e32 v20, 8, v0
	ds_read_b32 v21, v20 offset:32
	s_movk_i32 s10, 0xff04
	v_mad_i32_i24 v22, v0, s10, v20
	s_waitcnt lgkmcnt(0)
	ds_write_b32 v22, v21 offset:2048
	ds_read_b32 v21, v20 offset:36
	s_waitcnt lgkmcnt(0)
	ds_write_b32 v22, v21 offset:2304
	ds_read_b32 v21, v20 offset:40
	;; [unrolled: 3-line block ×7, first 2 shown]
	s_waitcnt lgkmcnt(0)
	ds_write_b32 v22, v20 offset:3840
.LBB20_151:
	s_or_b64 exec, exec, s[0:1]
	s_waitcnt lgkmcnt(0)
	s_barrier
	s_and_saveexec_b64 s[0:1], vcc
	s_cbranch_execz .LBB20_153
; %bb.152:
	v_mov_b32_e32 v22, 0
	ds_read_b32 v20, v22 offset:2084
	v_mov_b32_e32 v21, 1.0
	ds_write_b32 v22, v21 offset:2080
	s_waitcnt lgkmcnt(1)
	ds_write_b64 v22, v[20:21] offset:2336
.LBB20_153:
	s_or_b64 exec, exec, s[0:1]
	v_mov_b32_e32 v20, 0
	s_waitcnt lgkmcnt(0)
	s_barrier
	s_and_saveexec_b64 s[0:1], s[2:3]
	s_cbranch_execz .LBB20_157
; %bb.154:
	v_mul_u32_u24_e32 v20, 0x104, v5
	ds_read_b32 v22, v2 offset:2088
	ds_read_b32 v20, v20 offset:2080
	v_mov_b32_e32 v21, 0
	v_cmp_gt_u32_e64 s[10:11], 2, v4
	s_waitcnt lgkmcnt(0)
	v_fma_f32 v20, v22, v20, 0
	s_and_saveexec_b64 s[14:15], s[10:11]
	s_cbranch_execz .LBB20_156
; %bb.155:
	v_lshlrev_b32_e32 v22, 2, v0
	ds_read_b32 v22, v22 offset:2344
	ds_read_b32 v21, v21 offset:2084
	s_waitcnt lgkmcnt(0)
	v_fmac_f32_e32 v20, v22, v21
.LBB20_156:
	s_or_b64 exec, exec, s[14:15]
	v_xor_b32_e32 v20, 0x80000000, v20
.LBB20_157:
	s_or_b64 exec, exec, s[0:1]
	s_and_saveexec_b64 s[0:1], s[34:35]
; %bb.158:
	ds_write_b32 v3, v20
; %bb.159:
	s_or_b64 exec, exec, s[0:1]
	s_waitcnt lgkmcnt(0)
	s_barrier
	s_and_saveexec_b64 s[0:1], s[26:27]
	s_cbranch_execz .LBB20_161
; %bb.160:
	v_mov_b32_e32 v21, 0
	ds_read_b32 v21, v21 offset:2604
	ds_read_b32 v22, v3
	s_waitcnt lgkmcnt(0)
	v_fmac_f32_e32 v20, v21, v22
.LBB20_161:
	s_or_b64 exec, exec, s[0:1]
	s_barrier
	s_and_saveexec_b64 s[0:1], s[26:27]
; %bb.162:
	ds_write_b32 v3, v20
; %bb.163:
	s_or_b64 exec, exec, s[0:1]
	s_waitcnt lgkmcnt(0)
	s_barrier
	s_barrier
	s_and_saveexec_b64 s[0:1], s[2:3]
; %bb.164:
	v_xor_b32_e32 v20, 0x80000000, v20
	ds_write_b32 v2, v20 offset:2088
; %bb.165:
	s_or_b64 exec, exec, s[0:1]
	s_waitcnt lgkmcnt(0)
	s_barrier
	s_barrier
	s_and_saveexec_b64 s[0:1], s[36:37]
	s_cbranch_execz .LBB20_167
; %bb.166:
	v_lshlrev_b32_e32 v20, 2, v0
	s_movk_i32 s10, 0xfc
	v_mad_u32_u24 v21, v0, s10, v20
	ds_read_b32 v22, v21 offset:2088
	s_waitcnt lgkmcnt(0)
	ds_write_b32 v20, v22 offset:2592
	ds_read_b32 v21, v21 offset:2092
	s_waitcnt lgkmcnt(0)
	ds_write_b32 v20, v21 offset:2848
.LBB20_167:
	s_or_b64 exec, exec, s[0:1]
	s_waitcnt lgkmcnt(0)
	s_barrier
	s_and_saveexec_b64 s[0:1], vcc
	s_cbranch_execz .LBB20_169
; %bb.168:
	v_mov_b32_e32 v22, 0
	ds_read_b32 v20, v22 offset:2604
	v_mov_b32_e32 v21, 1.0
	ds_write_b32 v22, v21 offset:2600
	s_waitcnt lgkmcnt(1)
	ds_write_b64 v22, v[20:21] offset:2856
.LBB20_169:
	s_or_b64 exec, exec, s[0:1]
	v_mov_b32_e32 v20, 0
	s_waitcnt lgkmcnt(0)
	s_barrier
	s_and_saveexec_b64 s[0:1], s[18:19]
	s_cbranch_execz .LBB20_175
; %bb.170:
	v_mul_u32_u24_e32 v21, 0x104, v14
	ds_read_b32 v20, v10 offset:2096
	ds_read_b32 v22, v21 offset:2080
	v_cmp_gt_u32_e64 s[10:11], 12, v4
	s_waitcnt lgkmcnt(0)
	v_fma_f32 v20, v20, v22, 0
	s_and_saveexec_b64 s[14:15], s[10:11]
	s_cbranch_execnz .LBB20_1178
; %bb.171:
	s_or_b64 exec, exec, s[14:15]
	v_cmp_gt_u32_e64 s[10:11], 8, v4
	s_and_saveexec_b64 s[14:15], s[10:11]
	s_cbranch_execnz .LBB20_1179
.LBB20_172:
	s_or_b64 exec, exec, s[14:15]
	v_cmp_gt_u32_e64 s[10:11], 4, v4
	s_and_saveexec_b64 s[14:15], s[10:11]
	s_cbranch_execz .LBB20_174
.LBB20_173:
	v_lshlrev_b32_e32 v21, 2, v0
	v_mov_b32_e32 v22, 0
	ds_read_b32 v21, v21 offset:2864
	ds_read_b32 v22, v22 offset:2092
	s_waitcnt lgkmcnt(0)
	v_fmac_f32_e32 v20, v21, v22
.LBB20_174:
	s_or_b64 exec, exec, s[14:15]
	v_xor_b32_e32 v20, 0x80000000, v20
.LBB20_175:
	s_or_b64 exec, exec, s[0:1]
	s_and_saveexec_b64 s[0:1], s[40:41]
; %bb.176:
	ds_write_b32 v12, v20
; %bb.177:
	s_or_b64 exec, exec, s[0:1]
	s_waitcnt lgkmcnt(0)
	s_barrier
	s_and_saveexec_b64 s[0:1], s[42:43]
	s_cbranch_execz .LBB20_179
; %bb.178:
	ds_read_b32 v21, v11 offset:3120
	ds_read_b32 v22, v12
	s_waitcnt lgkmcnt(0)
	v_fmac_f32_e32 v20, v21, v22
.LBB20_179:
	s_or_b64 exec, exec, s[0:1]
	s_barrier
	s_and_saveexec_b64 s[0:1], s[44:45]
; %bb.180:
	ds_write_b32 v12, v20
; %bb.181:
	s_or_b64 exec, exec, s[0:1]
	s_waitcnt lgkmcnt(0)
	s_barrier
	s_and_saveexec_b64 s[0:1], s[46:47]
	s_cbranch_execz .LBB20_183
; %bb.182:
	ds_read_b32 v21, v11 offset:3376
	ds_read_b32 v22, v12
	s_waitcnt lgkmcnt(0)
	v_fmac_f32_e32 v20, v21, v22
.LBB20_183:
	s_or_b64 exec, exec, s[0:1]
	s_barrier
	s_and_saveexec_b64 s[0:1], s[48:49]
; %bb.184:
	ds_write_b32 v12, v20
; %bb.185:
	s_or_b64 exec, exec, s[0:1]
	s_waitcnt lgkmcnt(0)
	s_barrier
	s_and_saveexec_b64 s[0:1], s[38:39]
	s_cbranch_execz .LBB20_187
; %bb.186:
	v_mov_b32_e32 v21, 0
	ds_read_b32 v21, v21 offset:3644
	ds_read_b32 v22, v12
	s_waitcnt lgkmcnt(0)
	v_fmac_f32_e32 v20, v21, v22
.LBB20_187:
	s_or_b64 exec, exec, s[0:1]
	s_barrier
	s_and_saveexec_b64 s[0:1], s[38:39]
; %bb.188:
	ds_write_b32 v12, v20
; %bb.189:
	s_or_b64 exec, exec, s[0:1]
	s_waitcnt lgkmcnt(0)
	s_barrier
	s_barrier
	s_and_saveexec_b64 s[0:1], s[18:19]
; %bb.190:
	v_xor_b32_e32 v20, 0x80000000, v20
	ds_write_b32 v10, v20 offset:2096
; %bb.191:
	s_or_b64 exec, exec, s[0:1]
	s_waitcnt lgkmcnt(0)
	s_barrier
	s_barrier
	s_and_saveexec_b64 s[0:1], s[50:51]
	s_cbranch_execz .LBB20_193
; %bb.192:
	v_lshlrev_b32_e32 v20, 8, v0
	ds_read_b32 v21, v20 offset:2096
	s_movk_i32 s10, 0xff04
	v_mad_i32_i24 v22, v0, s10, v20
	s_waitcnt lgkmcnt(0)
	ds_write_b32 v22, v21 offset:3104
	ds_read_b32 v21, v20 offset:2100
	s_waitcnt lgkmcnt(0)
	ds_write_b32 v22, v21 offset:3360
	ds_read_b32 v21, v20 offset:2104
	;; [unrolled: 3-line block ×3, first 2 shown]
	s_waitcnt lgkmcnt(0)
	ds_write_b32 v22, v20 offset:3872
.LBB20_193:
	s_or_b64 exec, exec, s[0:1]
	s_waitcnt lgkmcnt(0)
	s_barrier
	s_and_saveexec_b64 s[0:1], vcc
	s_cbranch_execz .LBB20_195
; %bb.194:
	v_mov_b32_e32 v22, 0
	ds_read_b32 v20, v22 offset:3124
	v_mov_b32_e32 v21, 1.0
	ds_write_b32 v22, v21 offset:3120
	s_waitcnt lgkmcnt(1)
	ds_write_b64 v22, v[20:21] offset:3376
.LBB20_195:
	s_or_b64 exec, exec, s[0:1]
	v_mov_b32_e32 v20, 0
	s_waitcnt lgkmcnt(0)
	s_barrier
	s_and_saveexec_b64 s[0:1], s[2:3]
	s_cbranch_execz .LBB20_199
; %bb.196:
	v_mul_u32_u24_e32 v20, 0x104, v5
	ds_read_b32 v22, v2 offset:3128
	ds_read_b32 v20, v20 offset:3120
	v_mov_b32_e32 v21, 0
	v_cmp_gt_u32_e64 s[10:11], 2, v4
	s_waitcnt lgkmcnt(0)
	v_fma_f32 v20, v22, v20, 0
	s_and_saveexec_b64 s[14:15], s[10:11]
	s_cbranch_execz .LBB20_198
; %bb.197:
	v_lshlrev_b32_e32 v22, 2, v0
	ds_read_b32 v22, v22 offset:3384
	ds_read_b32 v21, v21 offset:3124
	s_waitcnt lgkmcnt(0)
	v_fmac_f32_e32 v20, v22, v21
.LBB20_198:
	s_or_b64 exec, exec, s[14:15]
	v_xor_b32_e32 v20, 0x80000000, v20
.LBB20_199:
	s_or_b64 exec, exec, s[0:1]
	s_and_saveexec_b64 s[0:1], s[34:35]
; %bb.200:
	ds_write_b32 v3, v20
; %bb.201:
	s_or_b64 exec, exec, s[0:1]
	s_waitcnt lgkmcnt(0)
	s_barrier
	s_and_saveexec_b64 s[0:1], s[26:27]
	s_cbranch_execz .LBB20_203
; %bb.202:
	v_mov_b32_e32 v21, 0
	ds_read_b32 v21, v21 offset:3644
	ds_read_b32 v22, v3
	s_waitcnt lgkmcnt(0)
	v_fmac_f32_e32 v20, v21, v22
.LBB20_203:
	s_or_b64 exec, exec, s[0:1]
	s_barrier
	s_and_saveexec_b64 s[0:1], s[26:27]
; %bb.204:
	ds_write_b32 v3, v20
; %bb.205:
	s_or_b64 exec, exec, s[0:1]
	s_waitcnt lgkmcnt(0)
	s_barrier
	s_barrier
	s_and_saveexec_b64 s[0:1], s[2:3]
; %bb.206:
	v_xor_b32_e32 v20, 0x80000000, v20
	ds_write_b32 v2, v20 offset:3128
; %bb.207:
	s_or_b64 exec, exec, s[0:1]
	s_waitcnt lgkmcnt(0)
	s_barrier
	s_barrier
	s_and_saveexec_b64 s[0:1], s[36:37]
	s_cbranch_execz .LBB20_209
; %bb.208:
	v_lshlrev_b32_e32 v20, 2, v0
	s_movk_i32 s10, 0xfc
	v_mad_u32_u24 v21, v0, s10, v20
	ds_read_b32 v22, v21 offset:3128
	s_waitcnt lgkmcnt(0)
	ds_write_b32 v20, v22 offset:3632
	ds_read_b32 v21, v21 offset:3132
	s_waitcnt lgkmcnt(0)
	ds_write_b32 v20, v21 offset:3888
.LBB20_209:
	s_or_b64 exec, exec, s[0:1]
	s_waitcnt lgkmcnt(0)
	s_barrier
	s_and_saveexec_b64 s[0:1], vcc
	s_cbranch_execz .LBB20_211
; %bb.210:
	v_mov_b32_e32 v22, 0
	ds_read_b32 v20, v22 offset:3644
	v_mov_b32_e32 v21, 1.0
	ds_write_b32 v22, v21 offset:3640
	s_waitcnt lgkmcnt(1)
	ds_write_b64 v22, v[20:21] offset:3896
.LBB20_211:
	s_or_b64 exec, exec, s[0:1]
	v_lshrrev_b32_e32 v24, 4, v4
	v_and_b32_e32 v21, 15, v0
	s_movk_i32 s0, 0xff
	v_lshlrev_b32_e32 v23, 6, v24
	v_cmp_lt_u32_e64 s[14:15], s0, v4
	s_movk_i32 s0, 0x100
	v_or_b32_e32 v20, v23, v21
	v_cmp_gt_u32_e64 s[10:11], s0, v4
	v_lshlrev_b32_e32 v20, 2, v20
	v_mov_b32_e32 v25, 0
	s_waitcnt lgkmcnt(0)
	s_barrier
	s_and_saveexec_b64 s[0:1], s[10:11]
	s_cbranch_execz .LBB20_239
; %bb.212:
	v_mul_u32_u24_e32 v25, 0x104, v24
	ds_read_b32 v22, v20 offset:64
	ds_read_b32 v26, v25
	s_movk_i32 s16, 0xf0
	v_cmp_gt_u32_e64 s[16:17], s16, v4
	s_waitcnt lgkmcnt(0)
	v_fma_f32 v22, v22, v26, 0
	s_and_saveexec_b64 s[20:21], s[16:17]
	s_cbranch_execz .LBB20_214
; %bb.213:
	v_lshlrev_b32_e32 v26, 2, v24
	v_sub_u32_e32 v26, v25, v26
	v_lshl_add_u32 v26, v21, 2, v26
	ds_read_b32 v26, v26 offset:320
	ds_read_b32 v27, v25 offset:4
	s_waitcnt lgkmcnt(0)
	v_fmac_f32_e32 v22, v26, v27
.LBB20_214:
	s_or_b64 exec, exec, s[20:21]
	s_movk_i32 s16, 0xe0
	v_cmp_gt_u32_e64 s[16:17], s16, v4
	s_and_saveexec_b64 s[20:21], s[16:17]
	s_cbranch_execz .LBB20_216
; %bb.215:
	v_lshlrev_b32_e32 v26, 2, v24
	v_sub_u32_e32 v26, v25, v26
	v_lshl_add_u32 v26, v21, 2, v26
	ds_read_b32 v26, v26 offset:576
	ds_read_b32 v27, v25 offset:8
	s_waitcnt lgkmcnt(0)
	v_fmac_f32_e32 v22, v26, v27
.LBB20_216:
	s_or_b64 exec, exec, s[20:21]
	s_movk_i32 s16, 0xd0
	v_cmp_gt_u32_e64 s[16:17], s16, v4
	;; [unrolled: 14-line block ×7, first 2 shown]
	s_and_saveexec_b64 s[20:21], s[16:17]
	s_cbranch_execz .LBB20_228
; %bb.227:
	ds_read_b32 v26, v20 offset:2112
	ds_read_b32 v27, v25 offset:32
	s_waitcnt lgkmcnt(0)
	v_fmac_f32_e32 v22, v26, v27
.LBB20_228:
	s_or_b64 exec, exec, s[20:21]
	s_movk_i32 s16, 0x70
	v_cmp_gt_u32_e64 s[16:17], s16, v4
	s_and_saveexec_b64 s[20:21], s[16:17]
	s_cbranch_execz .LBB20_230
; %bb.229:
	v_lshlrev_b32_e32 v26, 2, v24
	v_sub_u32_e32 v26, v25, v26
	v_lshl_add_u32 v26, v21, 2, v26
	ds_read_b32 v26, v26 offset:2368
	ds_read_b32 v27, v25 offset:36
	s_waitcnt lgkmcnt(0)
	v_fmac_f32_e32 v22, v26, v27
.LBB20_230:
	s_or_b64 exec, exec, s[20:21]
	s_movk_i32 s16, 0x60
	v_cmp_gt_u32_e64 s[16:17], s16, v4
	s_and_saveexec_b64 s[20:21], s[16:17]
	s_cbranch_execz .LBB20_232
; %bb.231:
	v_lshlrev_b32_e32 v26, 2, v21
	v_lshl_add_u32 v26, v23, 2, v26
	ds_read_b32 v26, v26 offset:2624
	ds_read_b32 v27, v25 offset:40
	s_waitcnt lgkmcnt(0)
	v_fmac_f32_e32 v22, v26, v27
.LBB20_232:
	s_or_b64 exec, exec, s[20:21]
	s_movk_i32 s16, 0x50
	v_cmp_gt_u32_e64 s[16:17], s16, v4
	s_and_saveexec_b64 s[20:21], s[16:17]
	s_cbranch_execnz .LBB20_1180
; %bb.233:
	s_or_b64 exec, exec, s[20:21]
	v_cmp_gt_u32_e64 s[16:17], 64, v4
	s_and_saveexec_b64 s[20:21], s[16:17]
	s_cbranch_execnz .LBB20_1181
.LBB20_234:
	s_or_b64 exec, exec, s[20:21]
	v_cmp_gt_u32_e64 s[16:17], 48, v4
	s_and_saveexec_b64 s[20:21], s[16:17]
	s_cbranch_execnz .LBB20_1182
.LBB20_235:
	s_or_b64 exec, exec, s[20:21]
	v_cmp_gt_u32_e64 s[16:17], 32, v4
	s_and_saveexec_b64 s[20:21], s[16:17]
	s_cbranch_execnz .LBB20_1183
.LBB20_236:
	s_or_b64 exec, exec, s[20:21]
	v_cmp_gt_u32_e64 s[16:17], 16, v4
	s_and_saveexec_b64 s[20:21], s[16:17]
	s_cbranch_execz .LBB20_238
.LBB20_237:
	v_lshlrev_b32_e32 v25, 2, v0
	v_mov_b32_e32 v26, 0
	ds_read_b32 v25, v25 offset:3904
	ds_read_b32 v26, v26 offset:60
	s_waitcnt lgkmcnt(0)
	v_fmac_f32_e32 v22, v25, v26
.LBB20_238:
	s_or_b64 exec, exec, s[20:21]
	v_xor_b32_e32 v25, 0x80000000, v22
.LBB20_239:
	s_or_b64 exec, exec, s[0:1]
	v_mov_b32_e32 v22, 0x4000
	v_lshl_add_u32 v22, v24, 2, v22
	v_cmp_eq_u32_e64 s[16:17], 0, v21
	s_xor_b64 s[0:1], s[14:15], -1
	s_and_b64 s[16:17], s[16:17], s[0:1]
	s_mov_b64 s[14:15], exec
	v_writelane_b32 v33, s16, 2
	v_writelane_b32 v33, s17, 3
	s_and_b64 s[16:17], s[14:15], s[16:17]
	s_mov_b64 exec, s[16:17]
; %bb.240:
	ds_write_b32 v22, v25
; %bb.241:
	s_or_b64 exec, exec, s[14:15]
	v_cmp_ne_u32_e64 s[14:15], 0, v21
	s_waitcnt lgkmcnt(0)
	s_barrier
	s_and_b64 s[16:17], s[14:15], s[0:1]
	s_mov_b64 s[14:15], exec
	v_writelane_b32 v33, s16, 4
	v_writelane_b32 v33, s17, 5
	s_and_b64 s[16:17], s[14:15], s[16:17]
	s_mov_b64 exec, s[16:17]
	s_cbranch_execz .LBB20_243
; %bb.242:
	v_lshlrev_b32_e32 v26, 2, v21
	ds_read_b32 v26, v26 offset:4160
	ds_read_b32 v27, v22
	s_waitcnt lgkmcnt(0)
	v_fmac_f32_e32 v25, v26, v27
.LBB20_243:
	s_or_b64 exec, exec, s[14:15]
	v_cmp_eq_u32_e64 s[14:15], 1, v21
	s_barrier
	s_and_b64 s[16:17], s[14:15], s[0:1]
	s_mov_b64 s[14:15], exec
	v_writelane_b32 v33, s16, 6
	v_writelane_b32 v33, s17, 7
	s_and_b64 s[16:17], s[14:15], s[16:17]
	s_mov_b64 exec, s[16:17]
; %bb.244:
	ds_write_b32 v22, v25
; %bb.245:
	s_or_b64 exec, exec, s[14:15]
	v_cmp_lt_u32_e64 s[14:15], 1, v21
	s_waitcnt lgkmcnt(0)
	s_barrier
	s_and_b64 s[16:17], s[14:15], s[0:1]
	s_mov_b64 s[14:15], exec
	v_writelane_b32 v33, s16, 8
	v_writelane_b32 v33, s17, 9
	s_and_b64 s[16:17], s[14:15], s[16:17]
	s_mov_b64 exec, s[16:17]
	s_cbranch_execz .LBB20_247
; %bb.246:
	v_lshlrev_b32_e32 v26, 2, v21
	ds_read_b32 v26, v26 offset:4416
	ds_read_b32 v27, v22
	s_waitcnt lgkmcnt(0)
	v_fmac_f32_e32 v25, v26, v27
.LBB20_247:
	s_or_b64 exec, exec, s[14:15]
	v_cmp_eq_u32_e64 s[14:15], 2, v21
	s_barrier
	s_and_b64 s[16:17], s[14:15], s[0:1]
	s_mov_b64 s[14:15], exec
	v_writelane_b32 v33, s16, 10
	v_writelane_b32 v33, s17, 11
	s_and_b64 s[16:17], s[14:15], s[16:17]
	s_mov_b64 exec, s[16:17]
; %bb.248:
	ds_write_b32 v22, v25
; %bb.249:
	s_or_b64 exec, exec, s[14:15]
	v_cmp_lt_u32_e64 s[14:15], 2, v21
	s_waitcnt lgkmcnt(0)
	s_barrier
	s_and_b64 s[16:17], s[14:15], s[0:1]
	s_mov_b64 s[14:15], exec
	v_writelane_b32 v33, s16, 12
	v_writelane_b32 v33, s17, 13
	s_and_b64 s[16:17], s[14:15], s[16:17]
	s_mov_b64 exec, s[16:17]
	s_cbranch_execz .LBB20_251
; %bb.250:
	v_lshlrev_b32_e32 v26, 2, v21
	ds_read_b32 v26, v26 offset:4672
	ds_read_b32 v27, v22
	s_waitcnt lgkmcnt(0)
	v_fmac_f32_e32 v25, v26, v27
.LBB20_251:
	s_or_b64 exec, exec, s[14:15]
	v_cmp_eq_u32_e64 s[14:15], 3, v21
	s_barrier
	s_and_b64 s[16:17], s[14:15], s[0:1]
	s_mov_b64 s[14:15], exec
	v_writelane_b32 v33, s16, 14
	v_writelane_b32 v33, s17, 15
	s_and_b64 s[16:17], s[14:15], s[16:17]
	s_mov_b64 exec, s[16:17]
; %bb.252:
	ds_write_b32 v22, v25
; %bb.253:
	s_or_b64 exec, exec, s[14:15]
	v_cmp_lt_u32_e64 s[14:15], 3, v21
	s_waitcnt lgkmcnt(0)
	s_barrier
	s_and_b64 s[16:17], s[14:15], s[0:1]
	s_mov_b64 s[14:15], exec
	v_writelane_b32 v33, s16, 16
	v_writelane_b32 v33, s17, 17
	s_and_b64 s[16:17], s[14:15], s[16:17]
	s_mov_b64 exec, s[16:17]
	s_cbranch_execz .LBB20_255
; %bb.254:
	v_lshlrev_b32_e32 v26, 2, v21
	ds_read_b32 v26, v26 offset:4928
	ds_read_b32 v27, v22
	s_waitcnt lgkmcnt(0)
	v_fmac_f32_e32 v25, v26, v27
.LBB20_255:
	s_or_b64 exec, exec, s[14:15]
	v_cmp_eq_u32_e64 s[14:15], 4, v21
	s_barrier
	s_and_b64 s[16:17], s[14:15], s[0:1]
	s_mov_b64 s[14:15], exec
	v_writelane_b32 v33, s16, 18
	v_writelane_b32 v33, s17, 19
	s_and_b64 s[16:17], s[14:15], s[16:17]
	s_mov_b64 exec, s[16:17]
; %bb.256:
	ds_write_b32 v22, v25
; %bb.257:
	s_or_b64 exec, exec, s[14:15]
	v_cmp_lt_u32_e64 s[14:15], 4, v21
	s_waitcnt lgkmcnt(0)
	s_barrier
	s_and_b64 s[16:17], s[14:15], s[0:1]
	s_mov_b64 s[14:15], exec
	v_writelane_b32 v33, s16, 20
	v_writelane_b32 v33, s17, 21
	s_and_b64 s[16:17], s[14:15], s[16:17]
	s_mov_b64 exec, s[16:17]
	s_cbranch_execz .LBB20_259
; %bb.258:
	v_lshlrev_b32_e32 v26, 2, v21
	ds_read_b32 v26, v26 offset:5184
	ds_read_b32 v27, v22
	s_waitcnt lgkmcnt(0)
	v_fmac_f32_e32 v25, v26, v27
.LBB20_259:
	s_or_b64 exec, exec, s[14:15]
	v_cmp_eq_u32_e64 s[14:15], 5, v21
	s_barrier
	s_and_b64 s[16:17], s[14:15], s[0:1]
	s_mov_b64 s[14:15], exec
	v_writelane_b32 v33, s16, 22
	v_writelane_b32 v33, s17, 23
	s_and_b64 s[16:17], s[14:15], s[16:17]
	s_mov_b64 exec, s[16:17]
; %bb.260:
	ds_write_b32 v22, v25
; %bb.261:
	s_or_b64 exec, exec, s[14:15]
	v_cmp_lt_u32_e64 s[14:15], 5, v21
	s_waitcnt lgkmcnt(0)
	s_barrier
	s_and_b64 s[16:17], s[14:15], s[0:1]
	s_mov_b64 s[14:15], exec
	v_writelane_b32 v33, s16, 24
	v_writelane_b32 v33, s17, 25
	s_and_b64 s[16:17], s[14:15], s[16:17]
	s_mov_b64 exec, s[16:17]
	s_cbranch_execz .LBB20_263
; %bb.262:
	v_lshlrev_b32_e32 v26, 2, v21
	ds_read_b32 v26, v26 offset:5440
	ds_read_b32 v27, v22
	s_waitcnt lgkmcnt(0)
	v_fmac_f32_e32 v25, v26, v27
.LBB20_263:
	s_or_b64 exec, exec, s[14:15]
	v_cmp_eq_u32_e64 s[14:15], 6, v21
	s_barrier
	s_and_b64 s[16:17], s[14:15], s[0:1]
	s_mov_b64 s[14:15], exec
	v_writelane_b32 v33, s16, 26
	v_writelane_b32 v33, s17, 27
	s_and_b64 s[16:17], s[14:15], s[16:17]
	s_mov_b64 exec, s[16:17]
; %bb.264:
	ds_write_b32 v22, v25
; %bb.265:
	s_or_b64 exec, exec, s[14:15]
	v_cmp_lt_u32_e64 s[14:15], 6, v21
	s_waitcnt lgkmcnt(0)
	s_barrier
	s_and_b64 s[16:17], s[14:15], s[0:1]
	s_mov_b64 s[14:15], exec
	v_writelane_b32 v33, s16, 28
	v_writelane_b32 v33, s17, 29
	s_and_b64 s[16:17], s[14:15], s[16:17]
	s_mov_b64 exec, s[16:17]
	s_cbranch_execz .LBB20_267
; %bb.266:
	v_lshlrev_b32_e32 v26, 2, v21
	ds_read_b32 v26, v26 offset:5696
	ds_read_b32 v27, v22
	s_waitcnt lgkmcnt(0)
	v_fmac_f32_e32 v25, v26, v27
.LBB20_267:
	s_or_b64 exec, exec, s[14:15]
	v_cmp_eq_u32_e64 s[14:15], 7, v21
	s_barrier
	s_and_b64 s[16:17], s[14:15], s[0:1]
	s_mov_b64 s[14:15], exec
	v_writelane_b32 v33, s16, 30
	v_writelane_b32 v33, s17, 31
	s_and_b64 s[16:17], s[14:15], s[16:17]
	s_mov_b64 exec, s[16:17]
; %bb.268:
	ds_write_b32 v22, v25
; %bb.269:
	s_or_b64 exec, exec, s[14:15]
	v_cmp_lt_u32_e64 s[14:15], 7, v21
	s_waitcnt lgkmcnt(0)
	s_barrier
	s_and_b64 s[16:17], s[14:15], s[0:1]
	s_mov_b64 s[14:15], exec
	v_writelane_b32 v33, s16, 32
	v_writelane_b32 v33, s17, 33
	s_and_b64 s[16:17], s[14:15], s[16:17]
	s_mov_b64 exec, s[16:17]
	s_cbranch_execz .LBB20_271
; %bb.270:
	v_lshlrev_b32_e32 v26, 2, v21
	ds_read_b32 v26, v26 offset:5952
	ds_read_b32 v27, v22
	s_waitcnt lgkmcnt(0)
	v_fmac_f32_e32 v25, v26, v27
.LBB20_271:
	s_or_b64 exec, exec, s[14:15]
	v_cmp_eq_u32_e64 s[14:15], 8, v21
	s_barrier
	s_and_b64 s[16:17], s[14:15], s[0:1]
	s_mov_b64 s[14:15], exec
	v_writelane_b32 v33, s16, 34
	v_writelane_b32 v33, s17, 35
	s_and_b64 s[16:17], s[14:15], s[16:17]
	s_mov_b64 exec, s[16:17]
; %bb.272:
	ds_write_b32 v22, v25
; %bb.273:
	s_or_b64 exec, exec, s[14:15]
	v_cmp_lt_u32_e64 s[14:15], 8, v21
	s_waitcnt lgkmcnt(0)
	s_barrier
	s_and_b64 s[16:17], s[14:15], s[0:1]
	s_mov_b64 s[14:15], exec
	v_writelane_b32 v33, s16, 36
	v_writelane_b32 v33, s17, 37
	s_and_b64 s[16:17], s[14:15], s[16:17]
	s_mov_b64 exec, s[16:17]
	s_cbranch_execz .LBB20_275
; %bb.274:
	v_lshlrev_b32_e32 v26, 2, v21
	ds_read_b32 v26, v26 offset:6208
	ds_read_b32 v27, v22
	s_waitcnt lgkmcnt(0)
	v_fmac_f32_e32 v25, v26, v27
.LBB20_275:
	s_or_b64 exec, exec, s[14:15]
	v_cmp_eq_u32_e64 s[14:15], 9, v21
	s_barrier
	s_and_b64 s[16:17], s[14:15], s[0:1]
	s_mov_b64 s[14:15], exec
	v_writelane_b32 v33, s16, 38
	v_writelane_b32 v33, s17, 39
	s_and_b64 s[16:17], s[14:15], s[16:17]
	s_mov_b64 exec, s[16:17]
; %bb.276:
	ds_write_b32 v22, v25
; %bb.277:
	s_or_b64 exec, exec, s[14:15]
	v_cmp_lt_u32_e64 s[14:15], 9, v21
	s_waitcnt lgkmcnt(0)
	s_barrier
	s_and_b64 s[16:17], s[14:15], s[0:1]
	s_mov_b64 s[14:15], exec
	v_writelane_b32 v33, s16, 40
	v_writelane_b32 v33, s17, 41
	s_and_b64 s[16:17], s[14:15], s[16:17]
	s_mov_b64 exec, s[16:17]
	s_cbranch_execz .LBB20_279
; %bb.278:
	v_lshlrev_b32_e32 v26, 2, v21
	ds_read_b32 v26, v26 offset:6464
	ds_read_b32 v27, v22
	s_waitcnt lgkmcnt(0)
	v_fmac_f32_e32 v25, v26, v27
.LBB20_279:
	s_or_b64 exec, exec, s[14:15]
	v_cmp_eq_u32_e64 s[14:15], 10, v21
	s_barrier
	s_and_b64 s[16:17], s[14:15], s[0:1]
	s_mov_b64 s[14:15], exec
	v_writelane_b32 v33, s16, 42
	v_writelane_b32 v33, s17, 43
	s_and_b64 s[16:17], s[14:15], s[16:17]
	s_mov_b64 exec, s[16:17]
; %bb.280:
	ds_write_b32 v22, v25
; %bb.281:
	s_or_b64 exec, exec, s[14:15]
	v_cmp_lt_u32_e64 s[14:15], 10, v21
	s_waitcnt lgkmcnt(0)
	s_barrier
	s_and_b64 s[16:17], s[14:15], s[0:1]
	s_mov_b64 s[14:15], exec
	v_writelane_b32 v33, s16, 44
	v_writelane_b32 v33, s17, 45
	s_and_b64 s[16:17], s[14:15], s[16:17]
	s_mov_b64 exec, s[16:17]
	s_cbranch_execz .LBB20_283
; %bb.282:
	v_lshlrev_b32_e32 v26, 2, v21
	ds_read_b32 v26, v26 offset:6720
	ds_read_b32 v27, v22
	s_waitcnt lgkmcnt(0)
	v_fmac_f32_e32 v25, v26, v27
.LBB20_283:
	s_or_b64 exec, exec, s[14:15]
	v_cmp_eq_u32_e64 s[14:15], 11, v21
	s_barrier
	s_and_b64 s[16:17], s[14:15], s[0:1]
	s_mov_b64 s[14:15], exec
	v_writelane_b32 v33, s16, 46
	v_writelane_b32 v33, s17, 47
	s_and_b64 s[16:17], s[14:15], s[16:17]
	s_mov_b64 exec, s[16:17]
; %bb.284:
	ds_write_b32 v22, v25
; %bb.285:
	s_or_b64 exec, exec, s[14:15]
	v_cmp_lt_u32_e64 s[14:15], 11, v21
	s_waitcnt lgkmcnt(0)
	s_barrier
	s_and_b64 s[16:17], s[14:15], s[0:1]
	s_mov_b64 s[14:15], exec
	v_writelane_b32 v33, s16, 48
	v_writelane_b32 v33, s17, 49
	s_and_b64 s[16:17], s[14:15], s[16:17]
	s_mov_b64 exec, s[16:17]
	s_cbranch_execz .LBB20_287
; %bb.286:
	v_lshlrev_b32_e32 v26, 2, v21
	ds_read_b32 v26, v26 offset:6976
	ds_read_b32 v27, v22
	s_waitcnt lgkmcnt(0)
	v_fmac_f32_e32 v25, v26, v27
.LBB20_287:
	s_or_b64 exec, exec, s[14:15]
	v_cmp_eq_u32_e64 s[14:15], 12, v21
	s_barrier
	s_and_b64 s[16:17], s[14:15], s[0:1]
	s_mov_b64 s[14:15], exec
	v_writelane_b32 v33, s16, 50
	v_writelane_b32 v33, s17, 51
	s_and_b64 s[16:17], s[14:15], s[16:17]
	s_mov_b64 exec, s[16:17]
; %bb.288:
	ds_write_b32 v22, v25
; %bb.289:
	s_or_b64 exec, exec, s[14:15]
	v_cmp_lt_u32_e64 s[14:15], 12, v21
	s_waitcnt lgkmcnt(0)
	s_barrier
	s_and_b64 s[16:17], s[14:15], s[0:1]
	s_mov_b64 s[14:15], exec
	v_writelane_b32 v33, s16, 52
	v_writelane_b32 v33, s17, 53
	s_and_b64 s[16:17], s[14:15], s[16:17]
	s_mov_b64 exec, s[16:17]
	s_cbranch_execz .LBB20_291
; %bb.290:
	v_lshlrev_b32_e32 v26, 2, v21
	ds_read_b32 v26, v26 offset:7232
	ds_read_b32 v27, v22
	s_waitcnt lgkmcnt(0)
	v_fmac_f32_e32 v25, v26, v27
.LBB20_291:
	s_or_b64 exec, exec, s[14:15]
	v_cmp_eq_u32_e64 s[14:15], 13, v21
	s_barrier
	s_and_b64 s[16:17], s[14:15], s[0:1]
	s_mov_b64 s[14:15], exec
	v_writelane_b32 v33, s16, 54
	v_writelane_b32 v33, s17, 55
	s_and_b64 s[16:17], s[14:15], s[16:17]
	s_mov_b64 exec, s[16:17]
; %bb.292:
	ds_write_b32 v22, v25
; %bb.293:
	s_or_b64 exec, exec, s[14:15]
	v_cmp_lt_u32_e64 s[14:15], 13, v21
	s_and_b64 s[92:93], s[14:15], s[0:1]
	s_waitcnt lgkmcnt(0)
	s_barrier
	s_and_saveexec_b64 s[14:15], s[92:93]
	s_cbranch_execz .LBB20_295
; %bb.294:
	v_lshlrev_b32_e32 v26, 2, v21
	ds_read_b32 v26, v26 offset:7488
	ds_read_b32 v27, v22
	s_waitcnt lgkmcnt(0)
	v_fmac_f32_e32 v25, v26, v27
.LBB20_295:
	s_or_b64 exec, exec, s[14:15]
	v_cmp_eq_u32_e64 s[14:15], 14, v21
	s_and_b64 s[94:95], s[14:15], s[0:1]
	s_barrier
	s_and_saveexec_b64 s[14:15], s[94:95]
; %bb.296:
	ds_write_b32 v22, v25
; %bb.297:
	s_or_b64 exec, exec, s[14:15]
	v_cmp_eq_u32_e64 s[14:15], 15, v21
	s_and_b64 s[90:91], s[14:15], s[0:1]
	s_waitcnt lgkmcnt(0)
	s_barrier
	s_and_saveexec_b64 s[0:1], s[90:91]
	s_cbranch_execz .LBB20_299
; %bb.298:
	v_mov_b32_e32 v26, 0
	ds_read_b32 v26, v26 offset:7804
	ds_read_b32 v27, v22
	s_waitcnt lgkmcnt(0)
	v_fmac_f32_e32 v25, v26, v27
.LBB20_299:
	s_or_b64 exec, exec, s[0:1]
	s_barrier
	s_and_saveexec_b64 s[0:1], s[90:91]
; %bb.300:
	ds_write_b32 v22, v25
; %bb.301:
	s_or_b64 exec, exec, s[0:1]
	s_waitcnt lgkmcnt(0)
	s_barrier
	s_barrier
	s_and_saveexec_b64 s[0:1], s[10:11]
; %bb.302:
	v_xor_b32_e32 v25, 0x80000000, v25
	ds_write_b32 v20, v25 offset:64
; %bb.303:
	s_or_b64 exec, exec, s[0:1]
	v_cmp_gt_u32_e64 s[14:15], 16, v0
	s_and_b64 s[0:1], s[12:13], s[14:15]
	s_waitcnt lgkmcnt(0)
	s_barrier
	s_barrier
	s_and_saveexec_b64 s[14:15], s[0:1]
	s_cbranch_execz .LBB20_305
; %bb.304:
	v_lshlrev_b32_e32 v25, 8, v0
	ds_read_b32 v26, v25 offset:64
	s_movk_i32 s16, 0xff04
	v_mad_i32_i24 v27, v0, s16, v25
	s_waitcnt lgkmcnt(0)
	ds_write_b32 v27, v26 offset:4096
	ds_read_b32 v26, v25 offset:68
	s_waitcnt lgkmcnt(0)
	ds_write_b32 v27, v26 offset:4352
	ds_read_b32 v26, v25 offset:72
	;; [unrolled: 3-line block ×15, first 2 shown]
	s_waitcnt lgkmcnt(0)
	ds_write_b32 v27, v25 offset:7936
.LBB20_305:
	s_or_b64 exec, exec, s[14:15]
	s_waitcnt lgkmcnt(0)
	s_barrier
	s_and_saveexec_b64 s[14:15], vcc
	s_cbranch_execz .LBB20_307
; %bb.306:
	v_mov_b32_e32 v27, 0
	ds_read_b32 v25, v27 offset:4164
	v_mov_b32_e32 v26, 1.0
	ds_write_b32 v27, v26 offset:4160
	s_waitcnt lgkmcnt(1)
	ds_write_b64 v27, v[25:26] offset:4416
.LBB20_307:
	s_or_b64 exec, exec, s[14:15]
	v_mov_b32_e32 v25, 0
	s_waitcnt lgkmcnt(0)
	s_barrier
	s_and_saveexec_b64 s[16:17], s[2:3]
	s_cbranch_execz .LBB20_311
; %bb.308:
	v_mul_u32_u24_e32 v25, 0x104, v5
	ds_read_b32 v27, v2 offset:4168
	ds_read_b32 v25, v25 offset:4160
	v_mov_b32_e32 v26, 0
	v_cmp_gt_u32_e64 s[14:15], 2, v4
	s_waitcnt lgkmcnt(0)
	v_fma_f32 v25, v27, v25, 0
	s_and_saveexec_b64 s[20:21], s[14:15]
	s_cbranch_execz .LBB20_310
; %bb.309:
	v_lshlrev_b32_e32 v27, 2, v0
	ds_read_b32 v27, v27 offset:4424
	ds_read_b32 v26, v26 offset:4164
	s_waitcnt lgkmcnt(0)
	v_fmac_f32_e32 v25, v27, v26
.LBB20_310:
	s_or_b64 exec, exec, s[20:21]
	v_xor_b32_e32 v25, 0x80000000, v25
.LBB20_311:
	s_or_b64 exec, exec, s[16:17]
	s_and_saveexec_b64 s[14:15], s[34:35]
; %bb.312:
	ds_write_b32 v3, v25
; %bb.313:
	s_or_b64 exec, exec, s[14:15]
	s_waitcnt lgkmcnt(0)
	s_barrier
	s_and_saveexec_b64 s[14:15], s[26:27]
	s_cbranch_execz .LBB20_315
; %bb.314:
	v_mov_b32_e32 v26, 0
	ds_read_b32 v26, v26 offset:4684
	ds_read_b32 v27, v3
	s_waitcnt lgkmcnt(0)
	v_fmac_f32_e32 v25, v26, v27
.LBB20_315:
	s_or_b64 exec, exec, s[14:15]
	s_barrier
	s_and_saveexec_b64 s[14:15], s[26:27]
; %bb.316:
	ds_write_b32 v3, v25
; %bb.317:
	s_or_b64 exec, exec, s[14:15]
	s_waitcnt lgkmcnt(0)
	s_barrier
	s_barrier
	s_and_saveexec_b64 s[14:15], s[2:3]
; %bb.318:
	v_xor_b32_e32 v25, 0x80000000, v25
	ds_write_b32 v2, v25 offset:4168
; %bb.319:
	s_or_b64 exec, exec, s[14:15]
	s_waitcnt lgkmcnt(0)
	s_barrier
	s_barrier
	s_and_saveexec_b64 s[14:15], s[36:37]
	s_cbranch_execz .LBB20_321
; %bb.320:
	v_lshlrev_b32_e32 v25, 2, v0
	s_movk_i32 s16, 0xfc
	v_mad_u32_u24 v26, v0, s16, v25
	ds_read_b32 v27, v26 offset:4168
	s_waitcnt lgkmcnt(0)
	ds_write_b32 v25, v27 offset:4672
	ds_read_b32 v26, v26 offset:4172
	s_waitcnt lgkmcnt(0)
	ds_write_b32 v25, v26 offset:4928
.LBB20_321:
	s_or_b64 exec, exec, s[14:15]
	s_waitcnt lgkmcnt(0)
	s_barrier
	s_and_saveexec_b64 s[14:15], vcc
	s_cbranch_execz .LBB20_323
; %bb.322:
	v_mov_b32_e32 v27, 0
	ds_read_b32 v25, v27 offset:4684
	v_mov_b32_e32 v26, 1.0
	ds_write_b32 v27, v26 offset:4680
	s_waitcnt lgkmcnt(1)
	ds_write_b64 v27, v[25:26] offset:4936
.LBB20_323:
	s_or_b64 exec, exec, s[14:15]
	v_mov_b32_e32 v25, 0
	s_waitcnt lgkmcnt(0)
	s_barrier
	s_and_saveexec_b64 s[16:17], s[18:19]
	s_cbranch_execz .LBB20_329
; %bb.324:
	v_mul_u32_u24_e32 v26, 0x104, v14
	ds_read_b32 v25, v10 offset:4176
	ds_read_b32 v27, v26 offset:4160
	v_cmp_gt_u32_e64 s[14:15], 12, v4
	s_waitcnt lgkmcnt(0)
	v_fma_f32 v25, v25, v27, 0
	s_and_saveexec_b64 s[20:21], s[14:15]
	s_cbranch_execnz .LBB20_1184
; %bb.325:
	s_or_b64 exec, exec, s[20:21]
	v_cmp_gt_u32_e64 s[14:15], 8, v4
	s_and_saveexec_b64 s[20:21], s[14:15]
	s_cbranch_execnz .LBB20_1185
.LBB20_326:
	s_or_b64 exec, exec, s[20:21]
	v_cmp_gt_u32_e64 s[14:15], 4, v4
	s_and_saveexec_b64 s[20:21], s[14:15]
	s_cbranch_execz .LBB20_328
.LBB20_327:
	v_lshlrev_b32_e32 v26, 2, v0
	v_mov_b32_e32 v27, 0
	ds_read_b32 v26, v26 offset:4944
	ds_read_b32 v27, v27 offset:4172
	s_waitcnt lgkmcnt(0)
	v_fmac_f32_e32 v25, v26, v27
.LBB20_328:
	s_or_b64 exec, exec, s[20:21]
	v_xor_b32_e32 v25, 0x80000000, v25
.LBB20_329:
	s_or_b64 exec, exec, s[16:17]
	s_and_saveexec_b64 s[14:15], s[40:41]
; %bb.330:
	ds_write_b32 v12, v25
; %bb.331:
	s_or_b64 exec, exec, s[14:15]
	s_waitcnt lgkmcnt(0)
	s_barrier
	s_and_saveexec_b64 s[14:15], s[42:43]
	s_cbranch_execz .LBB20_333
; %bb.332:
	ds_read_b32 v26, v11 offset:5200
	ds_read_b32 v27, v12
	s_waitcnt lgkmcnt(0)
	v_fmac_f32_e32 v25, v26, v27
.LBB20_333:
	s_or_b64 exec, exec, s[14:15]
	s_barrier
	s_and_saveexec_b64 s[14:15], s[44:45]
; %bb.334:
	ds_write_b32 v12, v25
; %bb.335:
	s_or_b64 exec, exec, s[14:15]
	s_waitcnt lgkmcnt(0)
	s_barrier
	s_and_saveexec_b64 s[14:15], s[46:47]
	s_cbranch_execz .LBB20_337
; %bb.336:
	ds_read_b32 v26, v11 offset:5456
	ds_read_b32 v27, v12
	s_waitcnt lgkmcnt(0)
	v_fmac_f32_e32 v25, v26, v27
.LBB20_337:
	s_or_b64 exec, exec, s[14:15]
	s_barrier
	s_and_saveexec_b64 s[14:15], s[48:49]
; %bb.338:
	ds_write_b32 v12, v25
; %bb.339:
	s_or_b64 exec, exec, s[14:15]
	s_waitcnt lgkmcnt(0)
	s_barrier
	s_and_saveexec_b64 s[14:15], s[38:39]
	s_cbranch_execz .LBB20_341
; %bb.340:
	v_mov_b32_e32 v26, 0
	ds_read_b32 v26, v26 offset:5724
	ds_read_b32 v27, v12
	s_waitcnt lgkmcnt(0)
	v_fmac_f32_e32 v25, v26, v27
.LBB20_341:
	s_or_b64 exec, exec, s[14:15]
	s_barrier
	s_and_saveexec_b64 s[14:15], s[38:39]
; %bb.342:
	ds_write_b32 v12, v25
; %bb.343:
	s_or_b64 exec, exec, s[14:15]
	s_waitcnt lgkmcnt(0)
	s_barrier
	s_barrier
	s_and_saveexec_b64 s[14:15], s[18:19]
; %bb.344:
	v_xor_b32_e32 v25, 0x80000000, v25
	ds_write_b32 v10, v25 offset:4176
; %bb.345:
	s_or_b64 exec, exec, s[14:15]
	s_waitcnt lgkmcnt(0)
	s_barrier
	s_barrier
	s_and_saveexec_b64 s[14:15], s[50:51]
	s_cbranch_execz .LBB20_347
; %bb.346:
	v_lshlrev_b32_e32 v25, 8, v0
	ds_read_b32 v26, v25 offset:4176
	s_movk_i32 s16, 0xff04
	v_mad_i32_i24 v27, v0, s16, v25
	s_waitcnt lgkmcnt(0)
	ds_write_b32 v27, v26 offset:5184
	ds_read_b32 v26, v25 offset:4180
	s_waitcnt lgkmcnt(0)
	ds_write_b32 v27, v26 offset:5440
	ds_read_b32 v26, v25 offset:4184
	;; [unrolled: 3-line block ×3, first 2 shown]
	s_waitcnt lgkmcnt(0)
	ds_write_b32 v27, v25 offset:5952
.LBB20_347:
	s_or_b64 exec, exec, s[14:15]
	s_waitcnt lgkmcnt(0)
	s_barrier
	s_and_saveexec_b64 s[14:15], vcc
	s_cbranch_execz .LBB20_349
; %bb.348:
	v_mov_b32_e32 v27, 0
	ds_read_b32 v25, v27 offset:5204
	v_mov_b32_e32 v26, 1.0
	ds_write_b32 v27, v26 offset:5200
	s_waitcnt lgkmcnt(1)
	ds_write_b64 v27, v[25:26] offset:5456
.LBB20_349:
	s_or_b64 exec, exec, s[14:15]
	v_mov_b32_e32 v25, 0
	s_waitcnt lgkmcnt(0)
	s_barrier
	s_and_saveexec_b64 s[16:17], s[2:3]
	s_cbranch_execz .LBB20_353
; %bb.350:
	v_mul_u32_u24_e32 v25, 0x104, v5
	ds_read_b32 v27, v2 offset:5208
	ds_read_b32 v25, v25 offset:5200
	v_mov_b32_e32 v26, 0
	v_cmp_gt_u32_e64 s[14:15], 2, v4
	s_waitcnt lgkmcnt(0)
	v_fma_f32 v25, v27, v25, 0
	s_and_saveexec_b64 s[20:21], s[14:15]
	s_cbranch_execz .LBB20_352
; %bb.351:
	v_lshlrev_b32_e32 v27, 2, v0
	ds_read_b32 v27, v27 offset:5464
	ds_read_b32 v26, v26 offset:5204
	s_waitcnt lgkmcnt(0)
	v_fmac_f32_e32 v25, v27, v26
.LBB20_352:
	s_or_b64 exec, exec, s[20:21]
	v_xor_b32_e32 v25, 0x80000000, v25
.LBB20_353:
	s_or_b64 exec, exec, s[16:17]
	s_and_saveexec_b64 s[14:15], s[34:35]
; %bb.354:
	ds_write_b32 v3, v25
; %bb.355:
	s_or_b64 exec, exec, s[14:15]
	s_waitcnt lgkmcnt(0)
	s_barrier
	s_and_saveexec_b64 s[14:15], s[26:27]
	s_cbranch_execz .LBB20_357
; %bb.356:
	v_mov_b32_e32 v26, 0
	ds_read_b32 v26, v26 offset:5724
	ds_read_b32 v27, v3
	s_waitcnt lgkmcnt(0)
	v_fmac_f32_e32 v25, v26, v27
.LBB20_357:
	s_or_b64 exec, exec, s[14:15]
	s_barrier
	s_and_saveexec_b64 s[14:15], s[26:27]
; %bb.358:
	ds_write_b32 v3, v25
; %bb.359:
	s_or_b64 exec, exec, s[14:15]
	s_waitcnt lgkmcnt(0)
	s_barrier
	s_barrier
	s_and_saveexec_b64 s[14:15], s[2:3]
; %bb.360:
	v_xor_b32_e32 v25, 0x80000000, v25
	ds_write_b32 v2, v25 offset:5208
; %bb.361:
	s_or_b64 exec, exec, s[14:15]
	s_waitcnt lgkmcnt(0)
	s_barrier
	s_barrier
	s_and_saveexec_b64 s[14:15], s[36:37]
	s_cbranch_execz .LBB20_363
; %bb.362:
	v_lshlrev_b32_e32 v25, 2, v0
	s_movk_i32 s16, 0xfc
	v_mad_u32_u24 v26, v0, s16, v25
	ds_read_b32 v27, v26 offset:5208
	s_waitcnt lgkmcnt(0)
	ds_write_b32 v25, v27 offset:5712
	ds_read_b32 v26, v26 offset:5212
	s_waitcnt lgkmcnt(0)
	ds_write_b32 v25, v26 offset:5968
.LBB20_363:
	s_or_b64 exec, exec, s[14:15]
	s_waitcnt lgkmcnt(0)
	s_barrier
	s_and_saveexec_b64 s[14:15], vcc
	s_cbranch_execz .LBB20_365
; %bb.364:
	v_mov_b32_e32 v27, 0
	ds_read_b32 v25, v27 offset:5724
	v_mov_b32_e32 v26, 1.0
	ds_write_b32 v27, v26 offset:5720
	s_waitcnt lgkmcnt(1)
	ds_write_b64 v27, v[25:26] offset:5976
.LBB20_365:
	s_or_b64 exec, exec, s[14:15]
	v_mov_b32_e32 v25, 0
	s_waitcnt lgkmcnt(0)
	s_barrier
	s_and_saveexec_b64 s[16:17], s[8:9]
	s_cbranch_execz .LBB20_375
; %bb.366:
	v_mul_u32_u24_e32 v26, 0x104, v19
	ds_read_b32 v25, v15 offset:4192
	ds_read_b32 v27, v26 offset:4160
	v_cmp_gt_u32_e64 s[14:15], 56, v4
	s_waitcnt lgkmcnt(0)
	v_fma_f32 v25, v25, v27, 0
	s_and_saveexec_b64 s[20:21], s[14:15]
	s_cbranch_execnz .LBB20_1186
; %bb.367:
	s_or_b64 exec, exec, s[20:21]
	v_cmp_gt_u32_e64 s[14:15], 48, v4
	s_and_saveexec_b64 s[20:21], s[14:15]
	s_cbranch_execnz .LBB20_1187
.LBB20_368:
	s_or_b64 exec, exec, s[20:21]
	v_cmp_gt_u32_e64 s[14:15], 40, v4
	s_and_saveexec_b64 s[20:21], s[14:15]
	s_cbranch_execnz .LBB20_1188
.LBB20_369:
	s_or_b64 exec, exec, s[20:21]
	v_cmp_gt_u32_e64 s[14:15], 32, v4
	s_and_saveexec_b64 s[20:21], s[14:15]
	s_cbranch_execnz .LBB20_1189
.LBB20_370:
	s_or_b64 exec, exec, s[20:21]
	v_cmp_gt_u32_e64 s[14:15], 24, v4
	s_and_saveexec_b64 s[20:21], s[14:15]
	s_cbranch_execnz .LBB20_1190
.LBB20_371:
	s_or_b64 exec, exec, s[20:21]
	v_cmp_gt_u32_e64 s[14:15], 16, v4
	s_and_saveexec_b64 s[20:21], s[14:15]
	s_cbranch_execnz .LBB20_1191
.LBB20_372:
	s_or_b64 exec, exec, s[20:21]
	v_cmp_gt_u32_e64 s[14:15], 8, v4
	s_and_saveexec_b64 s[20:21], s[14:15]
	s_cbranch_execz .LBB20_374
.LBB20_373:
	v_lshlrev_b32_e32 v26, 2, v0
	v_mov_b32_e32 v27, 0
	ds_read_b32 v26, v26 offset:5984
	ds_read_b32 v27, v27 offset:4188
	s_waitcnt lgkmcnt(0)
	v_fmac_f32_e32 v25, v26, v27
.LBB20_374:
	s_or_b64 exec, exec, s[20:21]
	v_xor_b32_e32 v25, 0x80000000, v25
.LBB20_375:
	s_or_b64 exec, exec, s[16:17]
	s_and_saveexec_b64 s[14:15], s[52:53]
; %bb.376:
	ds_write_b32 v17, v25
; %bb.377:
	s_or_b64 exec, exec, s[14:15]
	s_waitcnt lgkmcnt(0)
	s_barrier
	s_and_saveexec_b64 s[14:15], s[54:55]
	s_cbranch_execz .LBB20_379
; %bb.378:
	ds_read_b32 v26, v16 offset:6240
	ds_read_b32 v27, v17
	s_waitcnt lgkmcnt(0)
	v_fmac_f32_e32 v25, v26, v27
.LBB20_379:
	s_or_b64 exec, exec, s[14:15]
	s_barrier
	s_and_saveexec_b64 s[14:15], s[56:57]
; %bb.380:
	ds_write_b32 v17, v25
; %bb.381:
	s_or_b64 exec, exec, s[14:15]
	s_waitcnt lgkmcnt(0)
	s_barrier
	s_and_saveexec_b64 s[14:15], s[58:59]
	s_cbranch_execz .LBB20_383
; %bb.382:
	ds_read_b32 v26, v16 offset:6496
	ds_read_b32 v27, v17
	s_waitcnt lgkmcnt(0)
	v_fmac_f32_e32 v25, v26, v27
.LBB20_383:
	s_or_b64 exec, exec, s[14:15]
	s_barrier
	;; [unrolled: 17-line block ×6, first 2 shown]
	s_and_saveexec_b64 s[14:15], s[78:79]
; %bb.400:
	ds_write_b32 v17, v25
; %bb.401:
	s_or_b64 exec, exec, s[14:15]
	s_waitcnt lgkmcnt(0)
	s_barrier
	s_and_saveexec_b64 s[14:15], s[60:61]
	s_cbranch_execz .LBB20_403
; %bb.402:
	v_mov_b32_e32 v26, 0
	ds_read_b32 v26, v26 offset:7804
	ds_read_b32 v27, v17
	s_waitcnt lgkmcnt(0)
	v_fmac_f32_e32 v25, v26, v27
.LBB20_403:
	s_or_b64 exec, exec, s[14:15]
	s_barrier
	s_and_saveexec_b64 s[14:15], s[60:61]
; %bb.404:
	ds_write_b32 v17, v25
; %bb.405:
	s_or_b64 exec, exec, s[14:15]
	s_waitcnt lgkmcnt(0)
	s_barrier
	s_barrier
	s_and_saveexec_b64 s[14:15], s[8:9]
; %bb.406:
	v_xor_b32_e32 v25, 0x80000000, v25
	ds_write_b32 v15, v25 offset:4192
; %bb.407:
	s_or_b64 exec, exec, s[14:15]
	s_waitcnt lgkmcnt(0)
	s_barrier
	s_barrier
	s_and_saveexec_b64 s[14:15], s[80:81]
	s_cbranch_execz .LBB20_409
; %bb.408:
	v_lshlrev_b32_e32 v25, 8, v0
	ds_read_b32 v26, v25 offset:4192
	s_movk_i32 s16, 0xff04
	v_mad_i32_i24 v27, v0, s16, v25
	s_waitcnt lgkmcnt(0)
	ds_write_b32 v27, v26 offset:6208
	ds_read_b32 v26, v25 offset:4196
	s_waitcnt lgkmcnt(0)
	ds_write_b32 v27, v26 offset:6464
	ds_read_b32 v26, v25 offset:4200
	;; [unrolled: 3-line block ×7, first 2 shown]
	s_waitcnt lgkmcnt(0)
	ds_write_b32 v27, v25 offset:8000
.LBB20_409:
	s_or_b64 exec, exec, s[14:15]
	s_waitcnt lgkmcnt(0)
	s_barrier
	s_and_saveexec_b64 s[14:15], vcc
	s_cbranch_execz .LBB20_411
; %bb.410:
	v_mov_b32_e32 v27, 0
	ds_read_b32 v25, v27 offset:6244
	v_mov_b32_e32 v26, 1.0
	ds_write_b32 v27, v26 offset:6240
	s_waitcnt lgkmcnt(1)
	ds_write_b64 v27, v[25:26] offset:6496
.LBB20_411:
	s_or_b64 exec, exec, s[14:15]
	v_mov_b32_e32 v25, 0
	s_waitcnt lgkmcnt(0)
	s_barrier
	s_and_saveexec_b64 s[16:17], s[2:3]
	s_cbranch_execz .LBB20_415
; %bb.412:
	v_mul_u32_u24_e32 v25, 0x104, v5
	ds_read_b32 v27, v2 offset:6248
	ds_read_b32 v25, v25 offset:6240
	v_mov_b32_e32 v26, 0
	v_cmp_gt_u32_e64 s[14:15], 2, v4
	s_waitcnt lgkmcnt(0)
	v_fma_f32 v25, v27, v25, 0
	s_and_saveexec_b64 s[20:21], s[14:15]
	s_cbranch_execz .LBB20_414
; %bb.413:
	v_lshlrev_b32_e32 v27, 2, v0
	ds_read_b32 v27, v27 offset:6504
	ds_read_b32 v26, v26 offset:6244
	s_waitcnt lgkmcnt(0)
	v_fmac_f32_e32 v25, v27, v26
.LBB20_414:
	s_or_b64 exec, exec, s[20:21]
	v_xor_b32_e32 v25, 0x80000000, v25
.LBB20_415:
	s_or_b64 exec, exec, s[16:17]
	s_and_saveexec_b64 s[14:15], s[34:35]
; %bb.416:
	ds_write_b32 v3, v25
; %bb.417:
	s_or_b64 exec, exec, s[14:15]
	s_waitcnt lgkmcnt(0)
	s_barrier
	s_and_saveexec_b64 s[14:15], s[26:27]
	s_cbranch_execz .LBB20_419
; %bb.418:
	v_mov_b32_e32 v26, 0
	ds_read_b32 v26, v26 offset:6764
	ds_read_b32 v27, v3
	s_waitcnt lgkmcnt(0)
	v_fmac_f32_e32 v25, v26, v27
.LBB20_419:
	s_or_b64 exec, exec, s[14:15]
	s_barrier
	s_and_saveexec_b64 s[14:15], s[26:27]
; %bb.420:
	ds_write_b32 v3, v25
; %bb.421:
	s_or_b64 exec, exec, s[14:15]
	s_waitcnt lgkmcnt(0)
	s_barrier
	s_barrier
	s_and_saveexec_b64 s[14:15], s[2:3]
; %bb.422:
	v_xor_b32_e32 v25, 0x80000000, v25
	ds_write_b32 v2, v25 offset:6248
; %bb.423:
	s_or_b64 exec, exec, s[14:15]
	s_waitcnt lgkmcnt(0)
	s_barrier
	s_barrier
	s_and_saveexec_b64 s[14:15], s[36:37]
	s_cbranch_execz .LBB20_425
; %bb.424:
	v_lshlrev_b32_e32 v25, 2, v0
	s_movk_i32 s16, 0xfc
	v_mad_u32_u24 v26, v0, s16, v25
	ds_read_b32 v27, v26 offset:6248
	s_waitcnt lgkmcnt(0)
	ds_write_b32 v25, v27 offset:6752
	ds_read_b32 v26, v26 offset:6252
	s_waitcnt lgkmcnt(0)
	ds_write_b32 v25, v26 offset:7008
.LBB20_425:
	s_or_b64 exec, exec, s[14:15]
	s_waitcnt lgkmcnt(0)
	s_barrier
	s_and_saveexec_b64 s[14:15], vcc
	s_cbranch_execz .LBB20_427
; %bb.426:
	v_mov_b32_e32 v27, 0
	ds_read_b32 v25, v27 offset:6764
	v_mov_b32_e32 v26, 1.0
	ds_write_b32 v27, v26 offset:6760
	s_waitcnt lgkmcnt(1)
	ds_write_b64 v27, v[25:26] offset:7016
.LBB20_427:
	s_or_b64 exec, exec, s[14:15]
	v_mov_b32_e32 v25, 0
	s_waitcnt lgkmcnt(0)
	s_barrier
	s_and_saveexec_b64 s[16:17], s[18:19]
	s_cbranch_execz .LBB20_433
; %bb.428:
	v_mul_u32_u24_e32 v26, 0x104, v14
	ds_read_b32 v25, v10 offset:6256
	ds_read_b32 v27, v26 offset:6240
	v_cmp_gt_u32_e64 s[14:15], 12, v4
	s_waitcnt lgkmcnt(0)
	v_fma_f32 v25, v25, v27, 0
	s_and_saveexec_b64 s[20:21], s[14:15]
	s_cbranch_execnz .LBB20_1192
; %bb.429:
	s_or_b64 exec, exec, s[20:21]
	v_cmp_gt_u32_e64 s[14:15], 8, v4
	s_and_saveexec_b64 s[20:21], s[14:15]
	s_cbranch_execnz .LBB20_1193
.LBB20_430:
	s_or_b64 exec, exec, s[20:21]
	v_cmp_gt_u32_e64 s[14:15], 4, v4
	s_and_saveexec_b64 s[20:21], s[14:15]
	s_cbranch_execz .LBB20_432
.LBB20_431:
	v_lshlrev_b32_e32 v26, 2, v0
	v_mov_b32_e32 v27, 0
	ds_read_b32 v26, v26 offset:7024
	ds_read_b32 v27, v27 offset:6252
	s_waitcnt lgkmcnt(0)
	v_fmac_f32_e32 v25, v26, v27
.LBB20_432:
	s_or_b64 exec, exec, s[20:21]
	v_xor_b32_e32 v25, 0x80000000, v25
.LBB20_433:
	s_or_b64 exec, exec, s[16:17]
	s_and_saveexec_b64 s[14:15], s[40:41]
; %bb.434:
	ds_write_b32 v12, v25
; %bb.435:
	s_or_b64 exec, exec, s[14:15]
	s_waitcnt lgkmcnt(0)
	s_barrier
	s_and_saveexec_b64 s[14:15], s[42:43]
	s_cbranch_execz .LBB20_437
; %bb.436:
	ds_read_b32 v26, v11 offset:7280
	ds_read_b32 v27, v12
	s_waitcnt lgkmcnt(0)
	v_fmac_f32_e32 v25, v26, v27
.LBB20_437:
	s_or_b64 exec, exec, s[14:15]
	s_barrier
	s_and_saveexec_b64 s[14:15], s[44:45]
; %bb.438:
	ds_write_b32 v12, v25
; %bb.439:
	s_or_b64 exec, exec, s[14:15]
	s_waitcnt lgkmcnt(0)
	s_barrier
	s_and_saveexec_b64 s[14:15], s[46:47]
	s_cbranch_execz .LBB20_441
; %bb.440:
	ds_read_b32 v26, v11 offset:7536
	ds_read_b32 v27, v12
	s_waitcnt lgkmcnt(0)
	v_fmac_f32_e32 v25, v26, v27
.LBB20_441:
	s_or_b64 exec, exec, s[14:15]
	s_barrier
	s_and_saveexec_b64 s[14:15], s[48:49]
; %bb.442:
	ds_write_b32 v12, v25
; %bb.443:
	s_or_b64 exec, exec, s[14:15]
	s_waitcnt lgkmcnt(0)
	s_barrier
	s_and_saveexec_b64 s[14:15], s[38:39]
	s_cbranch_execz .LBB20_445
; %bb.444:
	v_mov_b32_e32 v26, 0
	ds_read_b32 v26, v26 offset:7804
	ds_read_b32 v27, v12
	s_waitcnt lgkmcnt(0)
	v_fmac_f32_e32 v25, v26, v27
.LBB20_445:
	s_or_b64 exec, exec, s[14:15]
	s_barrier
	s_and_saveexec_b64 s[14:15], s[38:39]
; %bb.446:
	ds_write_b32 v12, v25
; %bb.447:
	s_or_b64 exec, exec, s[14:15]
	s_waitcnt lgkmcnt(0)
	s_barrier
	s_barrier
	s_and_saveexec_b64 s[14:15], s[18:19]
; %bb.448:
	v_xor_b32_e32 v25, 0x80000000, v25
	ds_write_b32 v10, v25 offset:6256
; %bb.449:
	s_or_b64 exec, exec, s[14:15]
	s_waitcnt lgkmcnt(0)
	s_barrier
	s_barrier
	s_and_saveexec_b64 s[14:15], s[50:51]
	s_cbranch_execz .LBB20_451
; %bb.450:
	v_lshlrev_b32_e32 v25, 8, v0
	ds_read_b32 v26, v25 offset:6256
	s_movk_i32 s16, 0xff04
	v_mad_i32_i24 v27, v0, s16, v25
	s_waitcnt lgkmcnt(0)
	ds_write_b32 v27, v26 offset:7264
	ds_read_b32 v26, v25 offset:6260
	s_waitcnt lgkmcnt(0)
	ds_write_b32 v27, v26 offset:7520
	ds_read_b32 v26, v25 offset:6264
	;; [unrolled: 3-line block ×3, first 2 shown]
	s_waitcnt lgkmcnt(0)
	ds_write_b32 v27, v25 offset:8032
.LBB20_451:
	s_or_b64 exec, exec, s[14:15]
	s_waitcnt lgkmcnt(0)
	s_barrier
	s_and_saveexec_b64 s[14:15], vcc
	s_cbranch_execz .LBB20_453
; %bb.452:
	v_mov_b32_e32 v27, 0
	ds_read_b32 v25, v27 offset:7284
	v_mov_b32_e32 v26, 1.0
	ds_write_b32 v27, v26 offset:7280
	s_waitcnt lgkmcnt(1)
	ds_write_b64 v27, v[25:26] offset:7536
.LBB20_453:
	s_or_b64 exec, exec, s[14:15]
	v_mov_b32_e32 v25, 0
	s_waitcnt lgkmcnt(0)
	s_barrier
	s_and_saveexec_b64 s[16:17], s[2:3]
	s_cbranch_execz .LBB20_457
; %bb.454:
	v_mul_u32_u24_e32 v25, 0x104, v5
	ds_read_b32 v27, v2 offset:7288
	ds_read_b32 v25, v25 offset:7280
	v_mov_b32_e32 v26, 0
	v_cmp_gt_u32_e64 s[14:15], 2, v4
	s_waitcnt lgkmcnt(0)
	v_fma_f32 v25, v27, v25, 0
	s_and_saveexec_b64 s[20:21], s[14:15]
	s_cbranch_execz .LBB20_456
; %bb.455:
	v_lshlrev_b32_e32 v27, 2, v0
	ds_read_b32 v27, v27 offset:7544
	ds_read_b32 v26, v26 offset:7284
	s_waitcnt lgkmcnt(0)
	v_fmac_f32_e32 v25, v27, v26
.LBB20_456:
	s_or_b64 exec, exec, s[20:21]
	v_xor_b32_e32 v25, 0x80000000, v25
.LBB20_457:
	s_or_b64 exec, exec, s[16:17]
	s_and_saveexec_b64 s[14:15], s[34:35]
; %bb.458:
	ds_write_b32 v3, v25
; %bb.459:
	s_or_b64 exec, exec, s[14:15]
	s_waitcnt lgkmcnt(0)
	s_barrier
	s_and_saveexec_b64 s[14:15], s[26:27]
	s_cbranch_execz .LBB20_461
; %bb.460:
	v_mov_b32_e32 v26, 0
	ds_read_b32 v26, v26 offset:7804
	ds_read_b32 v27, v3
	s_waitcnt lgkmcnt(0)
	v_fmac_f32_e32 v25, v26, v27
.LBB20_461:
	s_or_b64 exec, exec, s[14:15]
	s_barrier
	s_and_saveexec_b64 s[14:15], s[26:27]
; %bb.462:
	ds_write_b32 v3, v25
; %bb.463:
	s_or_b64 exec, exec, s[14:15]
	s_waitcnt lgkmcnt(0)
	s_barrier
	s_barrier
	s_and_saveexec_b64 s[14:15], s[2:3]
; %bb.464:
	v_xor_b32_e32 v25, 0x80000000, v25
	ds_write_b32 v2, v25 offset:7288
; %bb.465:
	s_or_b64 exec, exec, s[14:15]
	s_waitcnt lgkmcnt(0)
	s_barrier
	s_barrier
	s_and_saveexec_b64 s[14:15], s[36:37]
	s_cbranch_execz .LBB20_467
; %bb.466:
	v_lshlrev_b32_e32 v25, 2, v0
	s_movk_i32 s16, 0xfc
	v_mad_u32_u24 v26, v0, s16, v25
	ds_read_b32 v27, v26 offset:7288
	s_waitcnt lgkmcnt(0)
	ds_write_b32 v25, v27 offset:7792
	ds_read_b32 v26, v26 offset:7292
	s_waitcnt lgkmcnt(0)
	ds_write_b32 v25, v26 offset:8048
.LBB20_467:
	s_or_b64 exec, exec, s[14:15]
	s_waitcnt lgkmcnt(0)
	s_barrier
	s_and_saveexec_b64 s[14:15], vcc
	s_cbranch_execz .LBB20_469
; %bb.468:
	v_mov_b32_e32 v27, 0
	ds_read_b32 v25, v27 offset:7804
	v_mov_b32_e32 v26, 1.0
	ds_write_b32 v27, v26 offset:7800
	s_waitcnt lgkmcnt(1)
	ds_write_b64 v27, v[25:26] offset:8056
.LBB20_469:
	s_or_b64 exec, exec, s[14:15]
	v_and_b32_e32 v26, 31, v0
	s_movk_i32 s14, 0x3ff
	v_lshrrev_b32_e32 v29, 5, v4
	v_cmp_lt_u32_e64 s[16:17], s14, v4
	s_movk_i32 s14, 0x400
	v_lshlrev_b32_e32 v27, 2, v26
	v_cmp_gt_u32_e64 s[14:15], s14, v4
	v_lshl_or_b32 v25, v29, 8, v27
	v_mov_b32_e32 v28, 0
	s_waitcnt lgkmcnt(0)
	s_barrier
	s_and_saveexec_b64 s[82:83], s[14:15]
	s_cbranch_execz .LBB20_531
; %bb.470:
	v_mul_u32_u24_e32 v30, 0x104, v29
	ds_read_b32 v28, v25 offset:128
	ds_read_b32 v31, v30
	s_movk_i32 s20, 0x3e0
	v_cmp_gt_u32_e64 s[20:21], s20, v4
	s_waitcnt lgkmcnt(0)
	v_fma_f32 v28, v28, v31, 0
	s_and_saveexec_b64 s[84:85], s[20:21]
	s_cbranch_execz .LBB20_472
; %bb.471:
	ds_read_b32 v31, v25 offset:384
	ds_read_b32 v32, v30 offset:4
	s_waitcnt lgkmcnt(0)
	v_fmac_f32_e32 v28, v31, v32
.LBB20_472:
	s_or_b64 exec, exec, s[84:85]
	s_movk_i32 s20, 0x3c0
	v_cmp_gt_u32_e64 s[20:21], s20, v4
	s_and_saveexec_b64 s[84:85], s[20:21]
	s_cbranch_execz .LBB20_474
; %bb.473:
	ds_read_b32 v31, v25 offset:640
	ds_read_b32 v32, v30 offset:8
	s_waitcnt lgkmcnt(0)
	v_fmac_f32_e32 v28, v31, v32
.LBB20_474:
	s_or_b64 exec, exec, s[84:85]
	s_movk_i32 s20, 0x3a0
	v_cmp_gt_u32_e64 s[20:21], s20, v4
	;; [unrolled: 11-line block ×28, first 2 shown]
	s_and_saveexec_b64 s[84:85], s[20:21]
	s_cbranch_execnz .LBB20_1194
; %bb.527:
	s_or_b64 exec, exec, s[84:85]
	v_cmp_gt_u32_e64 s[20:21], 64, v4
	s_and_saveexec_b64 s[84:85], s[20:21]
	s_cbranch_execnz .LBB20_1195
.LBB20_528:
	s_or_b64 exec, exec, s[84:85]
	v_cmp_gt_u32_e64 s[20:21], 32, v4
	s_and_saveexec_b64 s[84:85], s[20:21]
	s_cbranch_execz .LBB20_530
.LBB20_529:
	v_lshlrev_b32_e32 v30, 2, v0
	v_mov_b32_e32 v31, 0
	ds_read_b32 v30, v30 offset:8064
	ds_read_b32 v31, v31 offset:124
	s_waitcnt lgkmcnt(0)
	v_fmac_f32_e32 v28, v30, v31
.LBB20_530:
	s_or_b64 exec, exec, s[84:85]
	v_xor_b32_e32 v28, 0x80000000, v28
.LBB20_531:
	s_or_b64 exec, exec, s[82:83]
	v_mov_b32_e32 v30, 0x4000
	v_cmp_eq_u32_e64 s[20:21], 0, v26
	s_xor_b64 s[82:83], s[16:17], -1
	v_lshl_or_b32 v29, v29, 2, v30
	s_and_b64 s[20:21], s[20:21], s[82:83]
	s_and_saveexec_b64 s[16:17], s[20:21]
; %bb.532:
	ds_write_b32 v29, v28
; %bb.533:
	s_or_b64 exec, exec, s[16:17]
	v_cmp_ne_u32_e64 s[16:17], 0, v26
	s_and_b64 s[20:21], s[16:17], s[82:83]
	s_waitcnt lgkmcnt(0)
	s_barrier
	s_and_saveexec_b64 s[16:17], s[20:21]
	s_cbranch_execz .LBB20_535
; %bb.534:
	ds_read_b32 v30, v27 offset:8320
	ds_read_b32 v31, v29
	s_waitcnt lgkmcnt(0)
	v_fmac_f32_e32 v28, v30, v31
.LBB20_535:
	s_or_b64 exec, exec, s[16:17]
	v_cmp_eq_u32_e64 s[16:17], 1, v26
	s_and_b64 s[20:21], s[16:17], s[82:83]
	s_barrier
	s_and_saveexec_b64 s[16:17], s[20:21]
; %bb.536:
	ds_write_b32 v29, v28
; %bb.537:
	s_or_b64 exec, exec, s[16:17]
	v_cmp_lt_u32_e64 s[16:17], 1, v26
	s_and_b64 s[20:21], s[16:17], s[82:83]
	s_waitcnt lgkmcnt(0)
	s_barrier
	s_and_saveexec_b64 s[16:17], s[20:21]
	s_cbranch_execz .LBB20_539
; %bb.538:
	ds_read_b32 v30, v27 offset:8576
	ds_read_b32 v31, v29
	s_waitcnt lgkmcnt(0)
	v_fmac_f32_e32 v28, v30, v31
.LBB20_539:
	s_or_b64 exec, exec, s[16:17]
	v_cmp_eq_u32_e64 s[16:17], 2, v26
	s_and_b64 s[20:21], s[16:17], s[82:83]
	s_barrier
	s_and_saveexec_b64 s[16:17], s[20:21]
; %bb.540:
	ds_write_b32 v29, v28
; %bb.541:
	s_or_b64 exec, exec, s[16:17]
	v_cmp_lt_u32_e64 s[16:17], 2, v26
	;; [unrolled: 21-line block ×29, first 2 shown]
	s_and_b64 s[20:21], s[16:17], s[82:83]
	s_waitcnt lgkmcnt(0)
	s_barrier
	s_and_saveexec_b64 s[16:17], s[20:21]
	s_cbranch_execz .LBB20_651
; %bb.650:
	ds_read_b32 v27, v27 offset:15744
	ds_read_b32 v30, v29
	s_waitcnt lgkmcnt(0)
	v_fmac_f32_e32 v28, v27, v30
.LBB20_651:
	s_or_b64 exec, exec, s[16:17]
	v_cmp_eq_u32_e64 s[16:17], 30, v26
	s_and_b64 s[20:21], s[16:17], s[82:83]
	s_barrier
	s_and_saveexec_b64 s[16:17], s[20:21]
; %bb.652:
	ds_write_b32 v29, v28
; %bb.653:
	s_or_b64 exec, exec, s[16:17]
	v_cmp_eq_u32_e64 s[16:17], 31, v26
	s_and_b64 s[16:17], s[16:17], s[82:83]
	s_waitcnt lgkmcnt(0)
	s_barrier
	s_and_saveexec_b64 s[20:21], s[16:17]
	s_cbranch_execz .LBB20_655
; %bb.654:
	v_mov_b32_e32 v26, 0
	ds_read_b32 v26, v26 offset:16124
	ds_read_b32 v27, v29
	s_waitcnt lgkmcnt(0)
	v_fmac_f32_e32 v28, v26, v27
.LBB20_655:
	s_or_b64 exec, exec, s[20:21]
	s_barrier
	s_and_saveexec_b64 s[20:21], s[16:17]
; %bb.656:
	ds_write_b32 v29, v28
; %bb.657:
	s_or_b64 exec, exec, s[20:21]
	s_waitcnt lgkmcnt(0)
	s_barrier
	s_barrier
	s_and_saveexec_b64 s[16:17], s[14:15]
; %bb.658:
	v_xor_b32_e32 v26, 0x80000000, v28
	ds_write_b32 v25, v26 offset:128
; %bb.659:
	s_or_b64 exec, exec, s[16:17]
	v_cmp_gt_u32_e64 s[14:15], 32, v0
	s_and_b64 s[14:15], s[12:13], s[14:15]
	s_waitcnt lgkmcnt(0)
	s_barrier
	s_barrier
	s_and_saveexec_b64 s[12:13], s[14:15]
	s_cbranch_execz .LBB20_661
; %bb.660:
	v_lshlrev_b32_e32 v25, 8, v0
	ds_read_b32 v26, v25 offset:128
	s_movk_i32 s14, 0xff04
	v_mad_i32_i24 v27, v0, s14, v25
	s_waitcnt lgkmcnt(0)
	ds_write_b32 v27, v26 offset:8192
	ds_read_b32 v26, v25 offset:132
	s_waitcnt lgkmcnt(0)
	ds_write_b32 v27, v26 offset:8448
	ds_read_b32 v26, v25 offset:136
	;; [unrolled: 3-line block ×31, first 2 shown]
	s_waitcnt lgkmcnt(0)
	ds_write_b32 v27, v25 offset:16128
.LBB20_661:
	s_or_b64 exec, exec, s[12:13]
	s_waitcnt lgkmcnt(0)
	s_barrier
	s_and_saveexec_b64 s[12:13], vcc
	s_cbranch_execz .LBB20_663
; %bb.662:
	v_mov_b32_e32 v27, 0
	ds_read_b32 v25, v27 offset:8324
	v_mov_b32_e32 v26, 1.0
	ds_write_b32 v27, v26 offset:8320
	s_waitcnt lgkmcnt(1)
	ds_write_b64 v27, v[25:26] offset:8576
.LBB20_663:
	s_or_b64 exec, exec, s[12:13]
	v_mov_b32_e32 v25, 0
	s_waitcnt lgkmcnt(0)
	s_barrier
	s_and_saveexec_b64 s[14:15], s[2:3]
	s_cbranch_execz .LBB20_667
; %bb.664:
	v_mul_u32_u24_e32 v25, 0x104, v5
	ds_read_b32 v27, v2 offset:8328
	ds_read_b32 v25, v25 offset:8320
	v_mov_b32_e32 v26, 0
	v_cmp_gt_u32_e64 s[12:13], 2, v4
	s_waitcnt lgkmcnt(0)
	v_fma_f32 v25, v27, v25, 0
	s_and_saveexec_b64 s[16:17], s[12:13]
	s_cbranch_execz .LBB20_666
; %bb.665:
	v_lshlrev_b32_e32 v27, 2, v0
	ds_read_b32 v27, v27 offset:8584
	ds_read_b32 v26, v26 offset:8324
	s_waitcnt lgkmcnt(0)
	v_fmac_f32_e32 v25, v27, v26
.LBB20_666:
	s_or_b64 exec, exec, s[16:17]
	v_xor_b32_e32 v25, 0x80000000, v25
.LBB20_667:
	s_or_b64 exec, exec, s[14:15]
	s_and_saveexec_b64 s[12:13], s[34:35]
; %bb.668:
	ds_write_b32 v3, v25
; %bb.669:
	s_or_b64 exec, exec, s[12:13]
	s_waitcnt lgkmcnt(0)
	s_barrier
	s_and_saveexec_b64 s[12:13], s[26:27]
	s_cbranch_execz .LBB20_671
; %bb.670:
	v_mov_b32_e32 v26, 0
	ds_read_b32 v26, v26 offset:8844
	ds_read_b32 v27, v3
	s_waitcnt lgkmcnt(0)
	v_fmac_f32_e32 v25, v26, v27
.LBB20_671:
	s_or_b64 exec, exec, s[12:13]
	s_barrier
	s_and_saveexec_b64 s[12:13], s[26:27]
; %bb.672:
	ds_write_b32 v3, v25
; %bb.673:
	s_or_b64 exec, exec, s[12:13]
	s_waitcnt lgkmcnt(0)
	s_barrier
	s_barrier
	s_and_saveexec_b64 s[12:13], s[2:3]
; %bb.674:
	v_xor_b32_e32 v25, 0x80000000, v25
	ds_write_b32 v2, v25 offset:8328
; %bb.675:
	s_or_b64 exec, exec, s[12:13]
	s_waitcnt lgkmcnt(0)
	s_barrier
	s_barrier
	s_and_saveexec_b64 s[12:13], s[36:37]
	s_cbranch_execz .LBB20_677
; %bb.676:
	v_lshlrev_b32_e32 v25, 2, v0
	s_movk_i32 s14, 0xfc
	v_mad_u32_u24 v26, v0, s14, v25
	ds_read_b32 v27, v26 offset:8328
	s_waitcnt lgkmcnt(0)
	ds_write_b32 v25, v27 offset:8832
	ds_read_b32 v26, v26 offset:8332
	s_waitcnt lgkmcnt(0)
	ds_write_b32 v25, v26 offset:9088
.LBB20_677:
	s_or_b64 exec, exec, s[12:13]
	s_waitcnt lgkmcnt(0)
	s_barrier
	s_and_saveexec_b64 s[12:13], vcc
	s_cbranch_execz .LBB20_679
; %bb.678:
	v_mov_b32_e32 v27, 0
	ds_read_b32 v25, v27 offset:8844
	v_mov_b32_e32 v26, 1.0
	ds_write_b32 v27, v26 offset:8840
	s_waitcnt lgkmcnt(1)
	ds_write_b64 v27, v[25:26] offset:9096
.LBB20_679:
	s_or_b64 exec, exec, s[12:13]
	v_mov_b32_e32 v25, 0
	s_waitcnt lgkmcnt(0)
	s_barrier
	s_and_saveexec_b64 s[14:15], s[18:19]
	s_cbranch_execz .LBB20_685
; %bb.680:
	v_mul_u32_u24_e32 v26, 0x104, v14
	ds_read_b32 v25, v10 offset:8336
	ds_read_b32 v27, v26 offset:8320
	v_cmp_gt_u32_e64 s[12:13], 12, v4
	s_waitcnt lgkmcnt(0)
	v_fma_f32 v25, v25, v27, 0
	s_and_saveexec_b64 s[16:17], s[12:13]
	s_cbranch_execnz .LBB20_1196
; %bb.681:
	s_or_b64 exec, exec, s[16:17]
	v_cmp_gt_u32_e64 s[12:13], 8, v4
	s_and_saveexec_b64 s[16:17], s[12:13]
	s_cbranch_execnz .LBB20_1197
.LBB20_682:
	s_or_b64 exec, exec, s[16:17]
	v_cmp_gt_u32_e64 s[12:13], 4, v4
	s_and_saveexec_b64 s[16:17], s[12:13]
	s_cbranch_execz .LBB20_684
.LBB20_683:
	v_lshlrev_b32_e32 v26, 2, v0
	v_mov_b32_e32 v27, 0
	ds_read_b32 v26, v26 offset:9104
	ds_read_b32 v27, v27 offset:8332
	s_waitcnt lgkmcnt(0)
	v_fmac_f32_e32 v25, v26, v27
.LBB20_684:
	s_or_b64 exec, exec, s[16:17]
	v_xor_b32_e32 v25, 0x80000000, v25
.LBB20_685:
	s_or_b64 exec, exec, s[14:15]
	s_and_saveexec_b64 s[12:13], s[40:41]
; %bb.686:
	ds_write_b32 v12, v25
; %bb.687:
	s_or_b64 exec, exec, s[12:13]
	s_waitcnt lgkmcnt(0)
	s_barrier
	s_and_saveexec_b64 s[12:13], s[42:43]
	s_cbranch_execz .LBB20_689
; %bb.688:
	ds_read_b32 v26, v11 offset:9360
	ds_read_b32 v27, v12
	s_waitcnt lgkmcnt(0)
	v_fmac_f32_e32 v25, v26, v27
.LBB20_689:
	s_or_b64 exec, exec, s[12:13]
	s_barrier
	s_and_saveexec_b64 s[12:13], s[44:45]
; %bb.690:
	ds_write_b32 v12, v25
; %bb.691:
	s_or_b64 exec, exec, s[12:13]
	s_waitcnt lgkmcnt(0)
	s_barrier
	s_and_saveexec_b64 s[12:13], s[46:47]
	s_cbranch_execz .LBB20_693
; %bb.692:
	ds_read_b32 v26, v11 offset:9616
	ds_read_b32 v27, v12
	s_waitcnt lgkmcnt(0)
	v_fmac_f32_e32 v25, v26, v27
.LBB20_693:
	s_or_b64 exec, exec, s[12:13]
	s_barrier
	s_and_saveexec_b64 s[12:13], s[48:49]
; %bb.694:
	ds_write_b32 v12, v25
; %bb.695:
	s_or_b64 exec, exec, s[12:13]
	s_waitcnt lgkmcnt(0)
	s_barrier
	s_and_saveexec_b64 s[12:13], s[38:39]
	s_cbranch_execz .LBB20_697
; %bb.696:
	v_mov_b32_e32 v26, 0
	ds_read_b32 v26, v26 offset:9884
	ds_read_b32 v27, v12
	s_waitcnt lgkmcnt(0)
	v_fmac_f32_e32 v25, v26, v27
.LBB20_697:
	s_or_b64 exec, exec, s[12:13]
	s_barrier
	s_and_saveexec_b64 s[12:13], s[38:39]
; %bb.698:
	ds_write_b32 v12, v25
; %bb.699:
	s_or_b64 exec, exec, s[12:13]
	s_waitcnt lgkmcnt(0)
	s_barrier
	s_barrier
	s_and_saveexec_b64 s[12:13], s[18:19]
; %bb.700:
	v_xor_b32_e32 v25, 0x80000000, v25
	ds_write_b32 v10, v25 offset:8336
; %bb.701:
	s_or_b64 exec, exec, s[12:13]
	s_waitcnt lgkmcnt(0)
	s_barrier
	s_barrier
	s_and_saveexec_b64 s[12:13], s[50:51]
	s_cbranch_execz .LBB20_703
; %bb.702:
	v_lshlrev_b32_e32 v25, 8, v0
	ds_read_b32 v26, v25 offset:8336
	s_movk_i32 s14, 0xff04
	v_mad_i32_i24 v27, v0, s14, v25
	s_waitcnt lgkmcnt(0)
	ds_write_b32 v27, v26 offset:9344
	ds_read_b32 v26, v25 offset:8340
	s_waitcnt lgkmcnt(0)
	ds_write_b32 v27, v26 offset:9600
	ds_read_b32 v26, v25 offset:8344
	;; [unrolled: 3-line block ×3, first 2 shown]
	s_waitcnt lgkmcnt(0)
	ds_write_b32 v27, v25 offset:10112
.LBB20_703:
	s_or_b64 exec, exec, s[12:13]
	s_waitcnt lgkmcnt(0)
	s_barrier
	s_and_saveexec_b64 s[12:13], vcc
	s_cbranch_execz .LBB20_705
; %bb.704:
	v_mov_b32_e32 v27, 0
	ds_read_b32 v25, v27 offset:9364
	v_mov_b32_e32 v26, 1.0
	ds_write_b32 v27, v26 offset:9360
	s_waitcnt lgkmcnt(1)
	ds_write_b64 v27, v[25:26] offset:9616
.LBB20_705:
	s_or_b64 exec, exec, s[12:13]
	v_mov_b32_e32 v25, 0
	s_waitcnt lgkmcnt(0)
	s_barrier
	s_and_saveexec_b64 s[14:15], s[2:3]
	s_cbranch_execz .LBB20_709
; %bb.706:
	v_mul_u32_u24_e32 v25, 0x104, v5
	ds_read_b32 v27, v2 offset:9368
	ds_read_b32 v25, v25 offset:9360
	v_mov_b32_e32 v26, 0
	v_cmp_gt_u32_e64 s[12:13], 2, v4
	s_waitcnt lgkmcnt(0)
	v_fma_f32 v25, v27, v25, 0
	s_and_saveexec_b64 s[16:17], s[12:13]
	s_cbranch_execz .LBB20_708
; %bb.707:
	v_lshlrev_b32_e32 v27, 2, v0
	ds_read_b32 v27, v27 offset:9624
	ds_read_b32 v26, v26 offset:9364
	s_waitcnt lgkmcnt(0)
	v_fmac_f32_e32 v25, v27, v26
.LBB20_708:
	s_or_b64 exec, exec, s[16:17]
	v_xor_b32_e32 v25, 0x80000000, v25
.LBB20_709:
	s_or_b64 exec, exec, s[14:15]
	s_and_saveexec_b64 s[12:13], s[34:35]
; %bb.710:
	ds_write_b32 v3, v25
; %bb.711:
	s_or_b64 exec, exec, s[12:13]
	s_waitcnt lgkmcnt(0)
	s_barrier
	s_and_saveexec_b64 s[12:13], s[26:27]
	s_cbranch_execz .LBB20_713
; %bb.712:
	v_mov_b32_e32 v26, 0
	ds_read_b32 v26, v26 offset:9884
	ds_read_b32 v27, v3
	s_waitcnt lgkmcnt(0)
	v_fmac_f32_e32 v25, v26, v27
.LBB20_713:
	s_or_b64 exec, exec, s[12:13]
	s_barrier
	s_and_saveexec_b64 s[12:13], s[26:27]
; %bb.714:
	ds_write_b32 v3, v25
; %bb.715:
	s_or_b64 exec, exec, s[12:13]
	s_waitcnt lgkmcnt(0)
	s_barrier
	s_barrier
	s_and_saveexec_b64 s[12:13], s[2:3]
; %bb.716:
	v_xor_b32_e32 v25, 0x80000000, v25
	ds_write_b32 v2, v25 offset:9368
; %bb.717:
	s_or_b64 exec, exec, s[12:13]
	s_waitcnt lgkmcnt(0)
	s_barrier
	s_barrier
	s_and_saveexec_b64 s[12:13], s[36:37]
	s_cbranch_execz .LBB20_719
; %bb.718:
	v_lshlrev_b32_e32 v25, 2, v0
	s_movk_i32 s14, 0xfc
	v_mad_u32_u24 v26, v0, s14, v25
	ds_read_b32 v27, v26 offset:9368
	s_waitcnt lgkmcnt(0)
	ds_write_b32 v25, v27 offset:9872
	ds_read_b32 v26, v26 offset:9372
	s_waitcnt lgkmcnt(0)
	ds_write_b32 v25, v26 offset:10128
.LBB20_719:
	s_or_b64 exec, exec, s[12:13]
	s_waitcnt lgkmcnt(0)
	s_barrier
	s_and_saveexec_b64 s[12:13], vcc
	s_cbranch_execz .LBB20_721
; %bb.720:
	v_mov_b32_e32 v27, 0
	ds_read_b32 v25, v27 offset:9884
	v_mov_b32_e32 v26, 1.0
	ds_write_b32 v27, v26 offset:9880
	s_waitcnt lgkmcnt(1)
	ds_write_b64 v27, v[25:26] offset:10136
.LBB20_721:
	s_or_b64 exec, exec, s[12:13]
	v_mov_b32_e32 v25, 0
	s_waitcnt lgkmcnt(0)
	s_barrier
	s_and_saveexec_b64 s[14:15], s[8:9]
	s_cbranch_execz .LBB20_731
; %bb.722:
	v_mul_u32_u24_e32 v26, 0x104, v19
	ds_read_b32 v25, v15 offset:8352
	ds_read_b32 v27, v26 offset:8320
	v_cmp_gt_u32_e64 s[12:13], 56, v4
	s_waitcnt lgkmcnt(0)
	v_fma_f32 v25, v25, v27, 0
	s_and_saveexec_b64 s[16:17], s[12:13]
	s_cbranch_execnz .LBB20_1198
; %bb.723:
	s_or_b64 exec, exec, s[16:17]
	v_cmp_gt_u32_e64 s[12:13], 48, v4
	s_and_saveexec_b64 s[16:17], s[12:13]
	s_cbranch_execnz .LBB20_1199
.LBB20_724:
	s_or_b64 exec, exec, s[16:17]
	v_cmp_gt_u32_e64 s[12:13], 40, v4
	s_and_saveexec_b64 s[16:17], s[12:13]
	s_cbranch_execnz .LBB20_1200
.LBB20_725:
	s_or_b64 exec, exec, s[16:17]
	v_cmp_gt_u32_e64 s[12:13], 32, v4
	s_and_saveexec_b64 s[16:17], s[12:13]
	s_cbranch_execnz .LBB20_1201
.LBB20_726:
	s_or_b64 exec, exec, s[16:17]
	v_cmp_gt_u32_e64 s[12:13], 24, v4
	s_and_saveexec_b64 s[16:17], s[12:13]
	s_cbranch_execnz .LBB20_1202
.LBB20_727:
	s_or_b64 exec, exec, s[16:17]
	v_cmp_gt_u32_e64 s[12:13], 16, v4
	s_and_saveexec_b64 s[16:17], s[12:13]
	s_cbranch_execnz .LBB20_1203
.LBB20_728:
	s_or_b64 exec, exec, s[16:17]
	v_cmp_gt_u32_e64 s[12:13], 8, v4
	s_and_saveexec_b64 s[16:17], s[12:13]
	s_cbranch_execz .LBB20_730
.LBB20_729:
	v_lshlrev_b32_e32 v26, 2, v0
	v_mov_b32_e32 v27, 0
	ds_read_b32 v26, v26 offset:10144
	ds_read_b32 v27, v27 offset:8348
	s_waitcnt lgkmcnt(0)
	v_fmac_f32_e32 v25, v26, v27
.LBB20_730:
	s_or_b64 exec, exec, s[16:17]
	v_xor_b32_e32 v25, 0x80000000, v25
.LBB20_731:
	s_or_b64 exec, exec, s[14:15]
	s_and_saveexec_b64 s[12:13], s[52:53]
; %bb.732:
	ds_write_b32 v17, v25
; %bb.733:
	s_or_b64 exec, exec, s[12:13]
	s_waitcnt lgkmcnt(0)
	s_barrier
	s_and_saveexec_b64 s[12:13], s[54:55]
	s_cbranch_execz .LBB20_735
; %bb.734:
	ds_read_b32 v26, v16 offset:10400
	ds_read_b32 v27, v17
	s_waitcnt lgkmcnt(0)
	v_fmac_f32_e32 v25, v26, v27
.LBB20_735:
	s_or_b64 exec, exec, s[12:13]
	s_barrier
	s_and_saveexec_b64 s[12:13], s[56:57]
; %bb.736:
	ds_write_b32 v17, v25
; %bb.737:
	s_or_b64 exec, exec, s[12:13]
	s_waitcnt lgkmcnt(0)
	s_barrier
	s_and_saveexec_b64 s[12:13], s[58:59]
	s_cbranch_execz .LBB20_739
; %bb.738:
	ds_read_b32 v26, v16 offset:10656
	ds_read_b32 v27, v17
	s_waitcnt lgkmcnt(0)
	v_fmac_f32_e32 v25, v26, v27
.LBB20_739:
	s_or_b64 exec, exec, s[12:13]
	s_barrier
	s_and_saveexec_b64 s[12:13], s[62:63]
; %bb.740:
	ds_write_b32 v17, v25
; %bb.741:
	s_or_b64 exec, exec, s[12:13]
	s_waitcnt lgkmcnt(0)
	s_barrier
	s_and_saveexec_b64 s[12:13], s[64:65]
	s_cbranch_execz .LBB20_743
; %bb.742:
	ds_read_b32 v26, v16 offset:10912
	ds_read_b32 v27, v17
	s_waitcnt lgkmcnt(0)
	v_fmac_f32_e32 v25, v26, v27
.LBB20_743:
	s_or_b64 exec, exec, s[12:13]
	s_barrier
	s_and_saveexec_b64 s[12:13], s[66:67]
; %bb.744:
	ds_write_b32 v17, v25
; %bb.745:
	s_or_b64 exec, exec, s[12:13]
	s_waitcnt lgkmcnt(0)
	s_barrier
	s_and_saveexec_b64 s[12:13], s[68:69]
	s_cbranch_execz .LBB20_747
; %bb.746:
	ds_read_b32 v26, v16 offset:11168
	ds_read_b32 v27, v17
	s_waitcnt lgkmcnt(0)
	v_fmac_f32_e32 v25, v26, v27
.LBB20_747:
	s_or_b64 exec, exec, s[12:13]
	s_barrier
	s_and_saveexec_b64 s[12:13], s[70:71]
; %bb.748:
	ds_write_b32 v17, v25
; %bb.749:
	s_or_b64 exec, exec, s[12:13]
	s_waitcnt lgkmcnt(0)
	s_barrier
	s_and_saveexec_b64 s[12:13], s[72:73]
	s_cbranch_execz .LBB20_751
; %bb.750:
	ds_read_b32 v26, v16 offset:11424
	ds_read_b32 v27, v17
	s_waitcnt lgkmcnt(0)
	v_fmac_f32_e32 v25, v26, v27
.LBB20_751:
	s_or_b64 exec, exec, s[12:13]
	s_barrier
	s_and_saveexec_b64 s[12:13], s[74:75]
; %bb.752:
	ds_write_b32 v17, v25
; %bb.753:
	s_or_b64 exec, exec, s[12:13]
	s_waitcnt lgkmcnt(0)
	s_barrier
	s_and_saveexec_b64 s[12:13], s[76:77]
	s_cbranch_execz .LBB20_755
; %bb.754:
	ds_read_b32 v26, v16 offset:11680
	ds_read_b32 v27, v17
	s_waitcnt lgkmcnt(0)
	v_fmac_f32_e32 v25, v26, v27
.LBB20_755:
	s_or_b64 exec, exec, s[12:13]
	s_barrier
	s_and_saveexec_b64 s[12:13], s[78:79]
; %bb.756:
	ds_write_b32 v17, v25
; %bb.757:
	s_or_b64 exec, exec, s[12:13]
	s_waitcnt lgkmcnt(0)
	s_barrier
	s_and_saveexec_b64 s[12:13], s[60:61]
	s_cbranch_execz .LBB20_759
; %bb.758:
	v_mov_b32_e32 v26, 0
	ds_read_b32 v26, v26 offset:11964
	ds_read_b32 v27, v17
	s_waitcnt lgkmcnt(0)
	v_fmac_f32_e32 v25, v26, v27
.LBB20_759:
	s_or_b64 exec, exec, s[12:13]
	s_barrier
	s_and_saveexec_b64 s[12:13], s[60:61]
; %bb.760:
	ds_write_b32 v17, v25
; %bb.761:
	s_or_b64 exec, exec, s[12:13]
	s_waitcnt lgkmcnt(0)
	s_barrier
	s_barrier
	s_and_saveexec_b64 s[12:13], s[8:9]
; %bb.762:
	v_xor_b32_e32 v25, 0x80000000, v25
	ds_write_b32 v15, v25 offset:8352
; %bb.763:
	s_or_b64 exec, exec, s[12:13]
	s_waitcnt lgkmcnt(0)
	s_barrier
	s_barrier
	s_and_saveexec_b64 s[12:13], s[80:81]
	s_cbranch_execz .LBB20_765
; %bb.764:
	v_lshlrev_b32_e32 v25, 8, v0
	ds_read_b32 v26, v25 offset:8352
	s_movk_i32 s14, 0xff04
	v_mad_i32_i24 v27, v0, s14, v25
	s_waitcnt lgkmcnt(0)
	ds_write_b32 v27, v26 offset:10368
	ds_read_b32 v26, v25 offset:8356
	s_waitcnt lgkmcnt(0)
	ds_write_b32 v27, v26 offset:10624
	ds_read_b32 v26, v25 offset:8360
	;; [unrolled: 3-line block ×7, first 2 shown]
	s_waitcnt lgkmcnt(0)
	ds_write_b32 v27, v25 offset:12160
.LBB20_765:
	s_or_b64 exec, exec, s[12:13]
	s_waitcnt lgkmcnt(0)
	s_barrier
	s_and_saveexec_b64 s[12:13], vcc
	s_cbranch_execz .LBB20_767
; %bb.766:
	v_mov_b32_e32 v27, 0
	ds_read_b32 v25, v27 offset:10404
	v_mov_b32_e32 v26, 1.0
	ds_write_b32 v27, v26 offset:10400
	s_waitcnt lgkmcnt(1)
	ds_write_b64 v27, v[25:26] offset:10656
.LBB20_767:
	s_or_b64 exec, exec, s[12:13]
	v_mov_b32_e32 v25, 0
	s_waitcnt lgkmcnt(0)
	s_barrier
	s_and_saveexec_b64 s[14:15], s[2:3]
	s_cbranch_execz .LBB20_771
; %bb.768:
	v_mul_u32_u24_e32 v25, 0x104, v5
	ds_read_b32 v27, v2 offset:10408
	ds_read_b32 v25, v25 offset:10400
	v_mov_b32_e32 v26, 0
	v_cmp_gt_u32_e64 s[12:13], 2, v4
	s_waitcnt lgkmcnt(0)
	v_fma_f32 v25, v27, v25, 0
	s_and_saveexec_b64 s[16:17], s[12:13]
	s_cbranch_execz .LBB20_770
; %bb.769:
	v_lshlrev_b32_e32 v27, 2, v0
	ds_read_b32 v27, v27 offset:10664
	ds_read_b32 v26, v26 offset:10404
	s_waitcnt lgkmcnt(0)
	v_fmac_f32_e32 v25, v27, v26
.LBB20_770:
	s_or_b64 exec, exec, s[16:17]
	v_xor_b32_e32 v25, 0x80000000, v25
.LBB20_771:
	s_or_b64 exec, exec, s[14:15]
	s_and_saveexec_b64 s[12:13], s[34:35]
; %bb.772:
	ds_write_b32 v3, v25
; %bb.773:
	s_or_b64 exec, exec, s[12:13]
	s_waitcnt lgkmcnt(0)
	s_barrier
	s_and_saveexec_b64 s[12:13], s[26:27]
	s_cbranch_execz .LBB20_775
; %bb.774:
	v_mov_b32_e32 v26, 0
	ds_read_b32 v26, v26 offset:10924
	ds_read_b32 v27, v3
	s_waitcnt lgkmcnt(0)
	v_fmac_f32_e32 v25, v26, v27
.LBB20_775:
	s_or_b64 exec, exec, s[12:13]
	s_barrier
	s_and_saveexec_b64 s[12:13], s[26:27]
; %bb.776:
	ds_write_b32 v3, v25
; %bb.777:
	s_or_b64 exec, exec, s[12:13]
	s_waitcnt lgkmcnt(0)
	s_barrier
	s_barrier
	s_and_saveexec_b64 s[12:13], s[2:3]
; %bb.778:
	v_xor_b32_e32 v25, 0x80000000, v25
	ds_write_b32 v2, v25 offset:10408
; %bb.779:
	s_or_b64 exec, exec, s[12:13]
	s_waitcnt lgkmcnt(0)
	s_barrier
	s_barrier
	s_and_saveexec_b64 s[12:13], s[36:37]
	s_cbranch_execz .LBB20_781
; %bb.780:
	v_lshlrev_b32_e32 v25, 2, v0
	s_movk_i32 s14, 0xfc
	v_mad_u32_u24 v26, v0, s14, v25
	ds_read_b32 v27, v26 offset:10408
	s_waitcnt lgkmcnt(0)
	ds_write_b32 v25, v27 offset:10912
	ds_read_b32 v26, v26 offset:10412
	s_waitcnt lgkmcnt(0)
	ds_write_b32 v25, v26 offset:11168
.LBB20_781:
	s_or_b64 exec, exec, s[12:13]
	s_waitcnt lgkmcnt(0)
	s_barrier
	s_and_saveexec_b64 s[12:13], vcc
	s_cbranch_execz .LBB20_783
; %bb.782:
	v_mov_b32_e32 v27, 0
	ds_read_b32 v25, v27 offset:10924
	v_mov_b32_e32 v26, 1.0
	ds_write_b32 v27, v26 offset:10920
	s_waitcnt lgkmcnt(1)
	ds_write_b64 v27, v[25:26] offset:11176
.LBB20_783:
	s_or_b64 exec, exec, s[12:13]
	v_mov_b32_e32 v25, 0
	s_waitcnt lgkmcnt(0)
	s_barrier
	s_and_saveexec_b64 s[14:15], s[18:19]
	s_cbranch_execz .LBB20_789
; %bb.784:
	v_mul_u32_u24_e32 v26, 0x104, v14
	ds_read_b32 v25, v10 offset:10416
	ds_read_b32 v27, v26 offset:10400
	v_cmp_gt_u32_e64 s[12:13], 12, v4
	s_waitcnt lgkmcnt(0)
	v_fma_f32 v25, v25, v27, 0
	s_and_saveexec_b64 s[16:17], s[12:13]
	s_cbranch_execnz .LBB20_1204
; %bb.785:
	s_or_b64 exec, exec, s[16:17]
	v_cmp_gt_u32_e64 s[12:13], 8, v4
	s_and_saveexec_b64 s[16:17], s[12:13]
	s_cbranch_execnz .LBB20_1205
.LBB20_786:
	s_or_b64 exec, exec, s[16:17]
	v_cmp_gt_u32_e64 s[12:13], 4, v4
	s_and_saveexec_b64 s[16:17], s[12:13]
	s_cbranch_execz .LBB20_788
.LBB20_787:
	v_lshlrev_b32_e32 v26, 2, v0
	v_mov_b32_e32 v27, 0
	ds_read_b32 v26, v26 offset:11184
	ds_read_b32 v27, v27 offset:10412
	s_waitcnt lgkmcnt(0)
	v_fmac_f32_e32 v25, v26, v27
.LBB20_788:
	s_or_b64 exec, exec, s[16:17]
	v_xor_b32_e32 v25, 0x80000000, v25
.LBB20_789:
	s_or_b64 exec, exec, s[14:15]
	s_and_saveexec_b64 s[12:13], s[40:41]
; %bb.790:
	ds_write_b32 v12, v25
; %bb.791:
	s_or_b64 exec, exec, s[12:13]
	s_waitcnt lgkmcnt(0)
	s_barrier
	s_and_saveexec_b64 s[12:13], s[42:43]
	s_cbranch_execz .LBB20_793
; %bb.792:
	ds_read_b32 v26, v11 offset:11440
	ds_read_b32 v27, v12
	s_waitcnt lgkmcnt(0)
	v_fmac_f32_e32 v25, v26, v27
.LBB20_793:
	s_or_b64 exec, exec, s[12:13]
	s_barrier
	s_and_saveexec_b64 s[12:13], s[44:45]
; %bb.794:
	ds_write_b32 v12, v25
; %bb.795:
	s_or_b64 exec, exec, s[12:13]
	s_waitcnt lgkmcnt(0)
	s_barrier
	s_and_saveexec_b64 s[12:13], s[46:47]
	s_cbranch_execz .LBB20_797
; %bb.796:
	ds_read_b32 v26, v11 offset:11696
	ds_read_b32 v27, v12
	s_waitcnt lgkmcnt(0)
	v_fmac_f32_e32 v25, v26, v27
.LBB20_797:
	s_or_b64 exec, exec, s[12:13]
	s_barrier
	s_and_saveexec_b64 s[12:13], s[48:49]
; %bb.798:
	ds_write_b32 v12, v25
; %bb.799:
	s_or_b64 exec, exec, s[12:13]
	s_waitcnt lgkmcnt(0)
	s_barrier
	s_and_saveexec_b64 s[12:13], s[38:39]
	s_cbranch_execz .LBB20_801
; %bb.800:
	v_mov_b32_e32 v26, 0
	ds_read_b32 v26, v26 offset:11964
	ds_read_b32 v27, v12
	s_waitcnt lgkmcnt(0)
	v_fmac_f32_e32 v25, v26, v27
.LBB20_801:
	s_or_b64 exec, exec, s[12:13]
	s_barrier
	s_and_saveexec_b64 s[12:13], s[38:39]
; %bb.802:
	ds_write_b32 v12, v25
; %bb.803:
	s_or_b64 exec, exec, s[12:13]
	s_waitcnt lgkmcnt(0)
	s_barrier
	s_barrier
	s_and_saveexec_b64 s[12:13], s[18:19]
; %bb.804:
	v_xor_b32_e32 v25, 0x80000000, v25
	ds_write_b32 v10, v25 offset:10416
; %bb.805:
	s_or_b64 exec, exec, s[12:13]
	s_waitcnt lgkmcnt(0)
	s_barrier
	s_barrier
	s_and_saveexec_b64 s[12:13], s[50:51]
	s_cbranch_execz .LBB20_807
; %bb.806:
	v_lshlrev_b32_e32 v25, 8, v0
	ds_read_b32 v26, v25 offset:10416
	s_movk_i32 s14, 0xff04
	v_mad_i32_i24 v27, v0, s14, v25
	s_waitcnt lgkmcnt(0)
	ds_write_b32 v27, v26 offset:11424
	ds_read_b32 v26, v25 offset:10420
	s_waitcnt lgkmcnt(0)
	ds_write_b32 v27, v26 offset:11680
	ds_read_b32 v26, v25 offset:10424
	;; [unrolled: 3-line block ×3, first 2 shown]
	s_waitcnt lgkmcnt(0)
	ds_write_b32 v27, v25 offset:12192
.LBB20_807:
	s_or_b64 exec, exec, s[12:13]
	s_waitcnt lgkmcnt(0)
	s_barrier
	s_and_saveexec_b64 s[12:13], vcc
	s_cbranch_execz .LBB20_809
; %bb.808:
	v_mov_b32_e32 v27, 0
	ds_read_b32 v25, v27 offset:11444
	v_mov_b32_e32 v26, 1.0
	ds_write_b32 v27, v26 offset:11440
	s_waitcnt lgkmcnt(1)
	ds_write_b64 v27, v[25:26] offset:11696
.LBB20_809:
	s_or_b64 exec, exec, s[12:13]
	v_mov_b32_e32 v25, 0
	s_waitcnt lgkmcnt(0)
	s_barrier
	s_and_saveexec_b64 s[14:15], s[2:3]
	s_cbranch_execz .LBB20_813
; %bb.810:
	v_mul_u32_u24_e32 v25, 0x104, v5
	ds_read_b32 v27, v2 offset:11448
	ds_read_b32 v25, v25 offset:11440
	v_mov_b32_e32 v26, 0
	v_cmp_gt_u32_e64 s[12:13], 2, v4
	s_waitcnt lgkmcnt(0)
	v_fma_f32 v25, v27, v25, 0
	s_and_saveexec_b64 s[16:17], s[12:13]
	s_cbranch_execz .LBB20_812
; %bb.811:
	v_lshlrev_b32_e32 v27, 2, v0
	ds_read_b32 v27, v27 offset:11704
	ds_read_b32 v26, v26 offset:11444
	s_waitcnt lgkmcnt(0)
	v_fmac_f32_e32 v25, v27, v26
.LBB20_812:
	s_or_b64 exec, exec, s[16:17]
	v_xor_b32_e32 v25, 0x80000000, v25
.LBB20_813:
	s_or_b64 exec, exec, s[14:15]
	s_and_saveexec_b64 s[12:13], s[34:35]
; %bb.814:
	ds_write_b32 v3, v25
; %bb.815:
	s_or_b64 exec, exec, s[12:13]
	s_waitcnt lgkmcnt(0)
	s_barrier
	s_and_saveexec_b64 s[12:13], s[26:27]
	s_cbranch_execz .LBB20_817
; %bb.816:
	v_mov_b32_e32 v26, 0
	ds_read_b32 v26, v26 offset:11964
	ds_read_b32 v27, v3
	s_waitcnt lgkmcnt(0)
	v_fmac_f32_e32 v25, v26, v27
.LBB20_817:
	s_or_b64 exec, exec, s[12:13]
	s_barrier
	s_and_saveexec_b64 s[12:13], s[26:27]
; %bb.818:
	ds_write_b32 v3, v25
; %bb.819:
	s_or_b64 exec, exec, s[12:13]
	s_waitcnt lgkmcnt(0)
	s_barrier
	s_barrier
	s_and_saveexec_b64 s[12:13], s[2:3]
; %bb.820:
	v_xor_b32_e32 v25, 0x80000000, v25
	ds_write_b32 v2, v25 offset:11448
; %bb.821:
	s_or_b64 exec, exec, s[12:13]
	s_waitcnt lgkmcnt(0)
	s_barrier
	s_barrier
	s_and_saveexec_b64 s[12:13], s[36:37]
	s_cbranch_execz .LBB20_823
; %bb.822:
	v_lshlrev_b32_e32 v25, 2, v0
	s_movk_i32 s14, 0xfc
	v_mad_u32_u24 v26, v0, s14, v25
	ds_read_b32 v27, v26 offset:11448
	s_waitcnt lgkmcnt(0)
	ds_write_b32 v25, v27 offset:11952
	ds_read_b32 v26, v26 offset:11452
	s_waitcnt lgkmcnt(0)
	ds_write_b32 v25, v26 offset:12208
.LBB20_823:
	s_or_b64 exec, exec, s[12:13]
	s_waitcnt lgkmcnt(0)
	s_barrier
	s_and_saveexec_b64 s[12:13], vcc
	s_cbranch_execz .LBB20_825
; %bb.824:
	v_mov_b32_e32 v27, 0
	ds_read_b32 v25, v27 offset:11964
	v_mov_b32_e32 v26, 1.0
	ds_write_b32 v27, v26 offset:11960
	s_waitcnt lgkmcnt(1)
	ds_write_b64 v27, v[25:26] offset:12216
.LBB20_825:
	s_or_b64 exec, exec, s[12:13]
	v_mov_b32_e32 v25, 0
	s_waitcnt lgkmcnt(0)
	s_barrier
	s_and_saveexec_b64 s[14:15], s[10:11]
	s_cbranch_execz .LBB20_853
; %bb.826:
	v_mul_u32_u24_e32 v26, 0x104, v24
	ds_read_b32 v25, v20 offset:8384
	ds_read_b32 v27, v26 offset:8320
	s_movk_i32 s12, 0xf0
	v_cmp_gt_u32_e64 s[12:13], s12, v4
	s_waitcnt lgkmcnt(0)
	v_fma_f32 v25, v25, v27, 0
	s_and_saveexec_b64 s[16:17], s[12:13]
	s_cbranch_execz .LBB20_828
; %bb.827:
	v_lshlrev_b32_e32 v27, 2, v24
	v_sub_u32_e32 v27, v26, v27
	v_lshl_add_u32 v27, v21, 2, v27
	ds_read_b32 v27, v27 offset:8640
	ds_read_b32 v28, v26 offset:8324
	s_waitcnt lgkmcnt(0)
	v_fmac_f32_e32 v25, v27, v28
.LBB20_828:
	s_or_b64 exec, exec, s[16:17]
	s_movk_i32 s12, 0xe0
	v_cmp_gt_u32_e64 s[12:13], s12, v4
	s_and_saveexec_b64 s[16:17], s[12:13]
	s_cbranch_execz .LBB20_830
; %bb.829:
	v_lshlrev_b32_e32 v27, 2, v24
	v_sub_u32_e32 v27, v26, v27
	v_lshl_add_u32 v27, v21, 2, v27
	ds_read_b32 v27, v27 offset:8896
	ds_read_b32 v28, v26 offset:8328
	s_waitcnt lgkmcnt(0)
	v_fmac_f32_e32 v25, v27, v28
.LBB20_830:
	s_or_b64 exec, exec, s[16:17]
	s_movk_i32 s12, 0xd0
	v_cmp_gt_u32_e64 s[12:13], s12, v4
	;; [unrolled: 14-line block ×7, first 2 shown]
	s_and_saveexec_b64 s[16:17], s[12:13]
	s_cbranch_execz .LBB20_842
; %bb.841:
	ds_read_b32 v24, v20 offset:10432
	ds_read_b32 v27, v26 offset:8352
	s_waitcnt lgkmcnt(0)
	v_fmac_f32_e32 v25, v24, v27
.LBB20_842:
	s_or_b64 exec, exec, s[16:17]
	s_movk_i32 s12, 0x70
	v_cmp_gt_u32_e64 s[12:13], s12, v4
	s_and_saveexec_b64 s[16:17], s[12:13]
	s_cbranch_execz .LBB20_844
; %bb.843:
	v_lshlrev_b32_e32 v24, 2, v21
	v_lshl_add_u32 v24, v23, 2, v24
	ds_read_b32 v24, v24 offset:10688
	ds_read_b32 v27, v26 offset:8356
	s_waitcnt lgkmcnt(0)
	v_fmac_f32_e32 v25, v24, v27
.LBB20_844:
	s_or_b64 exec, exec, s[16:17]
	s_movk_i32 s12, 0x60
	v_cmp_gt_u32_e64 s[12:13], s12, v4
	s_and_saveexec_b64 s[16:17], s[12:13]
	s_cbranch_execz .LBB20_846
; %bb.845:
	v_lshlrev_b32_e32 v24, 2, v21
	v_lshl_add_u32 v24, v23, 2, v24
	ds_read_b32 v24, v24 offset:10944
	ds_read_b32 v27, v26 offset:8360
	s_waitcnt lgkmcnt(0)
	v_fmac_f32_e32 v25, v24, v27
.LBB20_846:
	s_or_b64 exec, exec, s[16:17]
	s_movk_i32 s12, 0x50
	v_cmp_gt_u32_e64 s[12:13], s12, v4
	s_and_saveexec_b64 s[16:17], s[12:13]
	s_cbranch_execnz .LBB20_1206
; %bb.847:
	s_or_b64 exec, exec, s[16:17]
	v_cmp_gt_u32_e64 s[12:13], 64, v4
	s_and_saveexec_b64 s[16:17], s[12:13]
	s_cbranch_execnz .LBB20_1207
.LBB20_848:
	s_or_b64 exec, exec, s[16:17]
	v_cmp_gt_u32_e64 s[12:13], 48, v4
	s_and_saveexec_b64 s[16:17], s[12:13]
	s_cbranch_execnz .LBB20_1208
.LBB20_849:
	s_or_b64 exec, exec, s[16:17]
	v_cmp_gt_u32_e64 s[12:13], 32, v4
	s_and_saveexec_b64 s[16:17], s[12:13]
	s_cbranch_execnz .LBB20_1209
.LBB20_850:
	s_or_b64 exec, exec, s[16:17]
	v_cmp_gt_u32_e64 s[12:13], 16, v4
	s_and_saveexec_b64 s[16:17], s[12:13]
	s_cbranch_execz .LBB20_852
.LBB20_851:
	v_lshlrev_b32_e32 v23, 2, v0
	v_mov_b32_e32 v24, 0
	ds_read_b32 v23, v23 offset:12224
	ds_read_b32 v24, v24 offset:8380
	s_waitcnt lgkmcnt(0)
	v_fmac_f32_e32 v25, v23, v24
.LBB20_852:
	s_or_b64 exec, exec, s[16:17]
	v_xor_b32_e32 v25, 0x80000000, v25
.LBB20_853:
	s_or_b64 exec, exec, s[14:15]
	s_mov_b64 s[12:13], exec
	v_readlane_b32 s14, v33, 2
	v_readlane_b32 s15, v33, 3
	s_and_b64 s[14:15], s[12:13], s[14:15]
	s_mov_b64 exec, s[14:15]
; %bb.854:
	ds_write_b32 v22, v25
; %bb.855:
	s_or_b64 exec, exec, s[12:13]
	s_waitcnt lgkmcnt(0)
	s_barrier
	s_mov_b64 s[12:13], exec
	v_readlane_b32 s14, v33, 4
	v_readlane_b32 s15, v33, 5
	s_and_b64 s[14:15], s[12:13], s[14:15]
	s_mov_b64 exec, s[14:15]
	s_cbranch_execz .LBB20_857
; %bb.856:
	v_lshlrev_b32_e32 v23, 2, v21
	ds_read_b32 v23, v23 offset:12480
	ds_read_b32 v24, v22
	s_waitcnt lgkmcnt(0)
	v_fmac_f32_e32 v25, v23, v24
.LBB20_857:
	s_or_b64 exec, exec, s[12:13]
	s_barrier
	s_mov_b64 s[12:13], exec
	v_readlane_b32 s14, v33, 6
	v_readlane_b32 s15, v33, 7
	s_and_b64 s[14:15], s[12:13], s[14:15]
	s_mov_b64 exec, s[14:15]
; %bb.858:
	ds_write_b32 v22, v25
; %bb.859:
	s_or_b64 exec, exec, s[12:13]
	s_waitcnt lgkmcnt(0)
	s_barrier
	s_mov_b64 s[12:13], exec
	v_readlane_b32 s14, v33, 8
	v_readlane_b32 s15, v33, 9
	s_and_b64 s[14:15], s[12:13], s[14:15]
	s_mov_b64 exec, s[14:15]
	s_cbranch_execz .LBB20_861
; %bb.860:
	v_lshlrev_b32_e32 v23, 2, v21
	ds_read_b32 v23, v23 offset:12736
	ds_read_b32 v24, v22
	s_waitcnt lgkmcnt(0)
	v_fmac_f32_e32 v25, v23, v24
.LBB20_861:
	s_or_b64 exec, exec, s[12:13]
	s_barrier
	;; [unrolled: 26-line block ×13, first 2 shown]
	s_mov_b64 s[12:13], exec
	v_readlane_b32 s14, v33, 54
	v_readlane_b32 s15, v33, 55
	s_and_b64 s[14:15], s[12:13], s[14:15]
	s_mov_b64 exec, s[14:15]
; %bb.906:
	ds_write_b32 v22, v25
; %bb.907:
	s_or_b64 exec, exec, s[12:13]
	s_waitcnt lgkmcnt(0)
	s_barrier
	s_and_saveexec_b64 s[12:13], s[92:93]
	s_cbranch_execz .LBB20_909
; %bb.908:
	v_lshlrev_b32_e32 v21, 2, v21
	ds_read_b32 v21, v21 offset:15808
	ds_read_b32 v23, v22
	s_waitcnt lgkmcnt(0)
	v_fmac_f32_e32 v25, v21, v23
.LBB20_909:
	s_or_b64 exec, exec, s[12:13]
	s_barrier
	s_and_saveexec_b64 s[12:13], s[94:95]
; %bb.910:
	ds_write_b32 v22, v25
; %bb.911:
	s_or_b64 exec, exec, s[12:13]
	s_waitcnt lgkmcnt(0)
	s_barrier
	s_and_saveexec_b64 s[12:13], s[90:91]
	s_cbranch_execz .LBB20_913
; %bb.912:
	v_mov_b32_e32 v21, 0
	ds_read_b32 v21, v21 offset:16124
	ds_read_b32 v23, v22
	s_waitcnt lgkmcnt(0)
	v_fmac_f32_e32 v25, v21, v23
.LBB20_913:
	s_or_b64 exec, exec, s[12:13]
	s_barrier
	s_and_saveexec_b64 s[12:13], s[90:91]
; %bb.914:
	ds_write_b32 v22, v25
; %bb.915:
	s_or_b64 exec, exec, s[12:13]
	s_waitcnt lgkmcnt(0)
	s_barrier
	s_barrier
	s_and_saveexec_b64 s[12:13], s[10:11]
; %bb.916:
	v_xor_b32_e32 v21, 0x80000000, v25
	ds_write_b32 v20, v21 offset:8384
; %bb.917:
	s_or_b64 exec, exec, s[12:13]
	s_waitcnt lgkmcnt(0)
	s_barrier
	s_barrier
	s_and_saveexec_b64 s[10:11], s[0:1]
	s_cbranch_execz .LBB20_919
; %bb.918:
	v_lshlrev_b32_e32 v20, 8, v0
	ds_read_b32 v21, v20 offset:8384
	s_movk_i32 s0, 0xff04
	v_mad_i32_i24 v22, v0, s0, v20
	s_waitcnt lgkmcnt(0)
	ds_write_b32 v22, v21 offset:12416
	ds_read_b32 v21, v20 offset:8388
	s_waitcnt lgkmcnt(0)
	ds_write_b32 v22, v21 offset:12672
	ds_read_b32 v21, v20 offset:8392
	;; [unrolled: 3-line block ×15, first 2 shown]
	s_waitcnt lgkmcnt(0)
	ds_write_b32 v22, v20 offset:16256
.LBB20_919:
	s_or_b64 exec, exec, s[10:11]
	s_waitcnt lgkmcnt(0)
	s_barrier
	s_and_saveexec_b64 s[0:1], vcc
	s_cbranch_execz .LBB20_921
; %bb.920:
	v_mov_b32_e32 v22, 0
	ds_read_b32 v20, v22 offset:12484
	v_mov_b32_e32 v21, 1.0
	ds_write_b32 v22, v21 offset:12480
	s_waitcnt lgkmcnt(1)
	ds_write_b64 v22, v[20:21] offset:12736
.LBB20_921:
	s_or_b64 exec, exec, s[0:1]
	v_mov_b32_e32 v20, 0
	s_waitcnt lgkmcnt(0)
	s_barrier
	s_and_saveexec_b64 s[0:1], s[2:3]
	s_cbranch_execz .LBB20_925
; %bb.922:
	v_mul_u32_u24_e32 v20, 0x104, v5
	ds_read_b32 v22, v2 offset:12488
	ds_read_b32 v20, v20 offset:12480
	v_mov_b32_e32 v21, 0
	v_cmp_gt_u32_e64 s[10:11], 2, v4
	s_waitcnt lgkmcnt(0)
	v_fma_f32 v20, v22, v20, 0
	s_and_saveexec_b64 s[12:13], s[10:11]
	s_cbranch_execz .LBB20_924
; %bb.923:
	v_lshlrev_b32_e32 v22, 2, v0
	ds_read_b32 v22, v22 offset:12744
	ds_read_b32 v21, v21 offset:12484
	s_waitcnt lgkmcnt(0)
	v_fmac_f32_e32 v20, v22, v21
.LBB20_924:
	s_or_b64 exec, exec, s[12:13]
	v_xor_b32_e32 v20, 0x80000000, v20
.LBB20_925:
	s_or_b64 exec, exec, s[0:1]
	s_and_saveexec_b64 s[0:1], s[34:35]
; %bb.926:
	ds_write_b32 v3, v20
; %bb.927:
	s_or_b64 exec, exec, s[0:1]
	s_waitcnt lgkmcnt(0)
	s_barrier
	s_and_saveexec_b64 s[0:1], s[26:27]
	s_cbranch_execz .LBB20_929
; %bb.928:
	v_mov_b32_e32 v21, 0
	ds_read_b32 v21, v21 offset:13004
	ds_read_b32 v22, v3
	s_waitcnt lgkmcnt(0)
	v_fmac_f32_e32 v20, v21, v22
.LBB20_929:
	s_or_b64 exec, exec, s[0:1]
	s_barrier
	s_and_saveexec_b64 s[0:1], s[26:27]
; %bb.930:
	ds_write_b32 v3, v20
; %bb.931:
	s_or_b64 exec, exec, s[0:1]
	s_waitcnt lgkmcnt(0)
	s_barrier
	s_barrier
	s_and_saveexec_b64 s[0:1], s[2:3]
; %bb.932:
	v_xor_b32_e32 v20, 0x80000000, v20
	ds_write_b32 v2, v20 offset:12488
; %bb.933:
	s_or_b64 exec, exec, s[0:1]
	s_waitcnt lgkmcnt(0)
	s_barrier
	s_barrier
	s_and_saveexec_b64 s[0:1], s[36:37]
	s_cbranch_execz .LBB20_935
; %bb.934:
	v_lshlrev_b32_e32 v20, 2, v0
	s_movk_i32 s10, 0xfc
	v_mad_u32_u24 v21, v0, s10, v20
	ds_read_b32 v22, v21 offset:12488
	s_waitcnt lgkmcnt(0)
	ds_write_b32 v20, v22 offset:12992
	ds_read_b32 v21, v21 offset:12492
	s_waitcnt lgkmcnt(0)
	ds_write_b32 v20, v21 offset:13248
.LBB20_935:
	s_or_b64 exec, exec, s[0:1]
	s_waitcnt lgkmcnt(0)
	s_barrier
	s_and_saveexec_b64 s[0:1], vcc
	s_cbranch_execz .LBB20_937
; %bb.936:
	v_mov_b32_e32 v22, 0
	ds_read_b32 v20, v22 offset:13004
	v_mov_b32_e32 v21, 1.0
	ds_write_b32 v22, v21 offset:13000
	s_waitcnt lgkmcnt(1)
	ds_write_b64 v22, v[20:21] offset:13256
.LBB20_937:
	s_or_b64 exec, exec, s[0:1]
	v_mov_b32_e32 v20, 0
	s_waitcnt lgkmcnt(0)
	s_barrier
	s_and_saveexec_b64 s[0:1], s[18:19]
	s_cbranch_execz .LBB20_943
; %bb.938:
	v_mul_u32_u24_e32 v21, 0x104, v14
	ds_read_b32 v20, v10 offset:12496
	ds_read_b32 v22, v21 offset:12480
	v_cmp_gt_u32_e64 s[10:11], 12, v4
	s_waitcnt lgkmcnt(0)
	v_fma_f32 v20, v20, v22, 0
	s_and_saveexec_b64 s[12:13], s[10:11]
	s_cbranch_execnz .LBB20_1210
; %bb.939:
	s_or_b64 exec, exec, s[12:13]
	v_cmp_gt_u32_e64 s[10:11], 8, v4
	s_and_saveexec_b64 s[12:13], s[10:11]
	s_cbranch_execnz .LBB20_1211
.LBB20_940:
	s_or_b64 exec, exec, s[12:13]
	v_cmp_gt_u32_e64 s[10:11], 4, v4
	s_and_saveexec_b64 s[12:13], s[10:11]
	s_cbranch_execz .LBB20_942
.LBB20_941:
	v_lshlrev_b32_e32 v21, 2, v0
	v_mov_b32_e32 v22, 0
	ds_read_b32 v21, v21 offset:13264
	ds_read_b32 v22, v22 offset:12492
	s_waitcnt lgkmcnt(0)
	v_fmac_f32_e32 v20, v21, v22
.LBB20_942:
	s_or_b64 exec, exec, s[12:13]
	v_xor_b32_e32 v20, 0x80000000, v20
.LBB20_943:
	s_or_b64 exec, exec, s[0:1]
	s_and_saveexec_b64 s[0:1], s[40:41]
; %bb.944:
	ds_write_b32 v12, v20
; %bb.945:
	s_or_b64 exec, exec, s[0:1]
	s_waitcnt lgkmcnt(0)
	s_barrier
	s_and_saveexec_b64 s[0:1], s[42:43]
	s_cbranch_execz .LBB20_947
; %bb.946:
	ds_read_b32 v21, v11 offset:13520
	ds_read_b32 v22, v12
	s_waitcnt lgkmcnt(0)
	v_fmac_f32_e32 v20, v21, v22
.LBB20_947:
	s_or_b64 exec, exec, s[0:1]
	s_barrier
	s_and_saveexec_b64 s[0:1], s[44:45]
; %bb.948:
	ds_write_b32 v12, v20
; %bb.949:
	s_or_b64 exec, exec, s[0:1]
	s_waitcnt lgkmcnt(0)
	s_barrier
	s_and_saveexec_b64 s[0:1], s[46:47]
	s_cbranch_execz .LBB20_951
; %bb.950:
	ds_read_b32 v21, v11 offset:13776
	ds_read_b32 v22, v12
	s_waitcnt lgkmcnt(0)
	v_fmac_f32_e32 v20, v21, v22
.LBB20_951:
	s_or_b64 exec, exec, s[0:1]
	s_barrier
	s_and_saveexec_b64 s[0:1], s[48:49]
; %bb.952:
	ds_write_b32 v12, v20
; %bb.953:
	s_or_b64 exec, exec, s[0:1]
	s_waitcnt lgkmcnt(0)
	s_barrier
	s_and_saveexec_b64 s[0:1], s[38:39]
	s_cbranch_execz .LBB20_955
; %bb.954:
	v_mov_b32_e32 v21, 0
	ds_read_b32 v21, v21 offset:14044
	ds_read_b32 v22, v12
	s_waitcnt lgkmcnt(0)
	v_fmac_f32_e32 v20, v21, v22
.LBB20_955:
	s_or_b64 exec, exec, s[0:1]
	s_barrier
	s_and_saveexec_b64 s[0:1], s[38:39]
; %bb.956:
	ds_write_b32 v12, v20
; %bb.957:
	s_or_b64 exec, exec, s[0:1]
	s_waitcnt lgkmcnt(0)
	s_barrier
	s_barrier
	s_and_saveexec_b64 s[0:1], s[18:19]
; %bb.958:
	v_xor_b32_e32 v20, 0x80000000, v20
	ds_write_b32 v10, v20 offset:12496
; %bb.959:
	s_or_b64 exec, exec, s[0:1]
	s_waitcnt lgkmcnt(0)
	s_barrier
	s_barrier
	s_and_saveexec_b64 s[0:1], s[50:51]
	s_cbranch_execz .LBB20_961
; %bb.960:
	v_lshlrev_b32_e32 v20, 8, v0
	ds_read_b32 v21, v20 offset:12496
	s_movk_i32 s10, 0xff04
	v_mad_i32_i24 v22, v0, s10, v20
	s_waitcnt lgkmcnt(0)
	ds_write_b32 v22, v21 offset:13504
	ds_read_b32 v21, v20 offset:12500
	s_waitcnt lgkmcnt(0)
	ds_write_b32 v22, v21 offset:13760
	ds_read_b32 v21, v20 offset:12504
	;; [unrolled: 3-line block ×3, first 2 shown]
	s_waitcnt lgkmcnt(0)
	ds_write_b32 v22, v20 offset:14272
.LBB20_961:
	s_or_b64 exec, exec, s[0:1]
	s_waitcnt lgkmcnt(0)
	s_barrier
	s_and_saveexec_b64 s[0:1], vcc
	s_cbranch_execz .LBB20_963
; %bb.962:
	v_mov_b32_e32 v22, 0
	ds_read_b32 v20, v22 offset:13524
	v_mov_b32_e32 v21, 1.0
	ds_write_b32 v22, v21 offset:13520
	s_waitcnt lgkmcnt(1)
	ds_write_b64 v22, v[20:21] offset:13776
.LBB20_963:
	s_or_b64 exec, exec, s[0:1]
	v_mov_b32_e32 v20, 0
	s_waitcnt lgkmcnt(0)
	s_barrier
	s_and_saveexec_b64 s[0:1], s[2:3]
	s_cbranch_execz .LBB20_967
; %bb.964:
	v_mul_u32_u24_e32 v20, 0x104, v5
	ds_read_b32 v22, v2 offset:13528
	ds_read_b32 v20, v20 offset:13520
	v_mov_b32_e32 v21, 0
	v_cmp_gt_u32_e64 s[10:11], 2, v4
	s_waitcnt lgkmcnt(0)
	v_fma_f32 v20, v22, v20, 0
	s_and_saveexec_b64 s[12:13], s[10:11]
	s_cbranch_execz .LBB20_966
; %bb.965:
	v_lshlrev_b32_e32 v22, 2, v0
	ds_read_b32 v22, v22 offset:13784
	ds_read_b32 v21, v21 offset:13524
	s_waitcnt lgkmcnt(0)
	v_fmac_f32_e32 v20, v22, v21
.LBB20_966:
	s_or_b64 exec, exec, s[12:13]
	v_xor_b32_e32 v20, 0x80000000, v20
.LBB20_967:
	s_or_b64 exec, exec, s[0:1]
	s_and_saveexec_b64 s[0:1], s[34:35]
; %bb.968:
	ds_write_b32 v3, v20
; %bb.969:
	s_or_b64 exec, exec, s[0:1]
	s_waitcnt lgkmcnt(0)
	s_barrier
	s_and_saveexec_b64 s[0:1], s[26:27]
	s_cbranch_execz .LBB20_971
; %bb.970:
	v_mov_b32_e32 v21, 0
	ds_read_b32 v21, v21 offset:14044
	ds_read_b32 v22, v3
	s_waitcnt lgkmcnt(0)
	v_fmac_f32_e32 v20, v21, v22
.LBB20_971:
	s_or_b64 exec, exec, s[0:1]
	s_barrier
	s_and_saveexec_b64 s[0:1], s[26:27]
; %bb.972:
	ds_write_b32 v3, v20
; %bb.973:
	s_or_b64 exec, exec, s[0:1]
	s_waitcnt lgkmcnt(0)
	s_barrier
	s_barrier
	s_and_saveexec_b64 s[0:1], s[2:3]
; %bb.974:
	v_xor_b32_e32 v20, 0x80000000, v20
	ds_write_b32 v2, v20 offset:13528
; %bb.975:
	s_or_b64 exec, exec, s[0:1]
	s_waitcnt lgkmcnt(0)
	s_barrier
	s_barrier
	s_and_saveexec_b64 s[0:1], s[36:37]
	s_cbranch_execz .LBB20_977
; %bb.976:
	v_lshlrev_b32_e32 v20, 2, v0
	s_movk_i32 s10, 0xfc
	v_mad_u32_u24 v21, v0, s10, v20
	ds_read_b32 v22, v21 offset:13528
	s_waitcnt lgkmcnt(0)
	ds_write_b32 v20, v22 offset:14032
	ds_read_b32 v21, v21 offset:13532
	s_waitcnt lgkmcnt(0)
	ds_write_b32 v20, v21 offset:14288
.LBB20_977:
	s_or_b64 exec, exec, s[0:1]
	s_waitcnt lgkmcnt(0)
	s_barrier
	s_and_saveexec_b64 s[0:1], vcc
	s_cbranch_execz .LBB20_979
; %bb.978:
	v_mov_b32_e32 v22, 0
	ds_read_b32 v20, v22 offset:14044
	v_mov_b32_e32 v21, 1.0
	ds_write_b32 v22, v21 offset:14040
	s_waitcnt lgkmcnt(1)
	ds_write_b64 v22, v[20:21] offset:14296
.LBB20_979:
	s_or_b64 exec, exec, s[0:1]
	v_mov_b32_e32 v20, 0
	s_waitcnt lgkmcnt(0)
	s_barrier
	s_and_saveexec_b64 s[0:1], s[8:9]
	s_cbranch_execz .LBB20_989
; %bb.980:
	v_mul_u32_u24_e32 v21, 0x104, v19
	ds_read_b32 v20, v15 offset:12512
	ds_read_b32 v22, v21 offset:12480
	v_cmp_gt_u32_e64 s[10:11], 56, v4
	s_waitcnt lgkmcnt(0)
	v_fma_f32 v20, v20, v22, 0
	s_and_saveexec_b64 s[12:13], s[10:11]
	s_cbranch_execnz .LBB20_1212
; %bb.981:
	s_or_b64 exec, exec, s[12:13]
	v_cmp_gt_u32_e64 s[10:11], 48, v4
	s_and_saveexec_b64 s[12:13], s[10:11]
	s_cbranch_execnz .LBB20_1213
.LBB20_982:
	s_or_b64 exec, exec, s[12:13]
	v_cmp_gt_u32_e64 s[10:11], 40, v4
	s_and_saveexec_b64 s[12:13], s[10:11]
	s_cbranch_execnz .LBB20_1214
.LBB20_983:
	s_or_b64 exec, exec, s[12:13]
	v_cmp_gt_u32_e64 s[10:11], 32, v4
	s_and_saveexec_b64 s[12:13], s[10:11]
	s_cbranch_execnz .LBB20_1215
.LBB20_984:
	s_or_b64 exec, exec, s[12:13]
	v_cmp_gt_u32_e64 s[10:11], 24, v4
	s_and_saveexec_b64 s[12:13], s[10:11]
	s_cbranch_execnz .LBB20_1216
.LBB20_985:
	s_or_b64 exec, exec, s[12:13]
	v_cmp_gt_u32_e64 s[10:11], 16, v4
	s_and_saveexec_b64 s[12:13], s[10:11]
	s_cbranch_execnz .LBB20_1217
.LBB20_986:
	s_or_b64 exec, exec, s[12:13]
	v_cmp_gt_u32_e64 s[10:11], 8, v4
	s_and_saveexec_b64 s[12:13], s[10:11]
	s_cbranch_execz .LBB20_988
.LBB20_987:
	v_lshlrev_b32_e32 v18, 2, v0
	v_mov_b32_e32 v19, 0
	ds_read_b32 v18, v18 offset:14304
	ds_read_b32 v19, v19 offset:12508
	s_waitcnt lgkmcnt(0)
	v_fmac_f32_e32 v20, v18, v19
.LBB20_988:
	s_or_b64 exec, exec, s[12:13]
	v_xor_b32_e32 v20, 0x80000000, v20
.LBB20_989:
	s_or_b64 exec, exec, s[0:1]
	s_and_saveexec_b64 s[0:1], s[52:53]
; %bb.990:
	ds_write_b32 v17, v20
; %bb.991:
	s_or_b64 exec, exec, s[0:1]
	s_waitcnt lgkmcnt(0)
	s_barrier
	s_and_saveexec_b64 s[0:1], s[54:55]
	s_cbranch_execz .LBB20_993
; %bb.992:
	ds_read_b32 v18, v16 offset:14560
	ds_read_b32 v19, v17
	s_waitcnt lgkmcnt(0)
	v_fmac_f32_e32 v20, v18, v19
.LBB20_993:
	s_or_b64 exec, exec, s[0:1]
	s_barrier
	s_and_saveexec_b64 s[0:1], s[56:57]
; %bb.994:
	ds_write_b32 v17, v20
; %bb.995:
	s_or_b64 exec, exec, s[0:1]
	s_waitcnt lgkmcnt(0)
	s_barrier
	s_and_saveexec_b64 s[0:1], s[58:59]
	s_cbranch_execz .LBB20_997
; %bb.996:
	ds_read_b32 v18, v16 offset:14816
	ds_read_b32 v19, v17
	s_waitcnt lgkmcnt(0)
	v_fmac_f32_e32 v20, v18, v19
.LBB20_997:
	s_or_b64 exec, exec, s[0:1]
	s_barrier
	;; [unrolled: 17-line block ×6, first 2 shown]
	s_and_saveexec_b64 s[0:1], s[78:79]
; %bb.1014:
	ds_write_b32 v17, v20
; %bb.1015:
	s_or_b64 exec, exec, s[0:1]
	s_waitcnt lgkmcnt(0)
	s_barrier
	s_and_saveexec_b64 s[0:1], s[60:61]
	s_cbranch_execz .LBB20_1017
; %bb.1016:
	v_mov_b32_e32 v16, 0
	ds_read_b32 v16, v16 offset:16124
	ds_read_b32 v18, v17
	s_waitcnt lgkmcnt(0)
	v_fmac_f32_e32 v20, v16, v18
.LBB20_1017:
	s_or_b64 exec, exec, s[0:1]
	s_barrier
	s_and_saveexec_b64 s[0:1], s[60:61]
; %bb.1018:
	ds_write_b32 v17, v20
; %bb.1019:
	s_or_b64 exec, exec, s[0:1]
	s_waitcnt lgkmcnt(0)
	s_barrier
	s_barrier
	s_and_saveexec_b64 s[0:1], s[8:9]
; %bb.1020:
	v_xor_b32_e32 v16, 0x80000000, v20
	ds_write_b32 v15, v16 offset:12512
; %bb.1021:
	s_or_b64 exec, exec, s[0:1]
	s_waitcnt lgkmcnt(0)
	s_barrier
	s_barrier
	s_and_saveexec_b64 s[0:1], s[80:81]
	s_cbranch_execz .LBB20_1023
; %bb.1022:
	v_lshlrev_b32_e32 v15, 8, v0
	ds_read_b32 v16, v15 offset:12512
	s_movk_i32 s8, 0xff04
	v_mad_i32_i24 v17, v0, s8, v15
	s_waitcnt lgkmcnt(0)
	ds_write_b32 v17, v16 offset:14528
	ds_read_b32 v16, v15 offset:12516
	s_waitcnt lgkmcnt(0)
	ds_write_b32 v17, v16 offset:14784
	ds_read_b32 v16, v15 offset:12520
	;; [unrolled: 3-line block ×7, first 2 shown]
	s_waitcnt lgkmcnt(0)
	ds_write_b32 v17, v15 offset:16320
.LBB20_1023:
	s_or_b64 exec, exec, s[0:1]
	s_waitcnt lgkmcnt(0)
	s_barrier
	s_and_saveexec_b64 s[0:1], vcc
	s_cbranch_execz .LBB20_1025
; %bb.1024:
	v_mov_b32_e32 v17, 0
	ds_read_b32 v15, v17 offset:14564
	v_mov_b32_e32 v16, 1.0
	ds_write_b32 v17, v16 offset:14560
	s_waitcnt lgkmcnt(1)
	ds_write_b64 v17, v[15:16] offset:14816
.LBB20_1025:
	s_or_b64 exec, exec, s[0:1]
	v_mov_b32_e32 v15, 0
	s_waitcnt lgkmcnt(0)
	s_barrier
	s_and_saveexec_b64 s[0:1], s[2:3]
	s_cbranch_execz .LBB20_1029
; %bb.1026:
	v_mul_u32_u24_e32 v15, 0x104, v5
	ds_read_b32 v17, v2 offset:14568
	ds_read_b32 v15, v15 offset:14560
	v_mov_b32_e32 v16, 0
	v_cmp_gt_u32_e64 s[8:9], 2, v4
	s_waitcnt lgkmcnt(0)
	v_fma_f32 v15, v17, v15, 0
	s_and_saveexec_b64 s[10:11], s[8:9]
	s_cbranch_execz .LBB20_1028
; %bb.1027:
	v_lshlrev_b32_e32 v17, 2, v0
	ds_read_b32 v17, v17 offset:14824
	ds_read_b32 v16, v16 offset:14564
	s_waitcnt lgkmcnt(0)
	v_fmac_f32_e32 v15, v17, v16
.LBB20_1028:
	s_or_b64 exec, exec, s[10:11]
	v_xor_b32_e32 v15, 0x80000000, v15
.LBB20_1029:
	s_or_b64 exec, exec, s[0:1]
	s_and_saveexec_b64 s[0:1], s[34:35]
; %bb.1030:
	ds_write_b32 v3, v15
; %bb.1031:
	s_or_b64 exec, exec, s[0:1]
	s_waitcnt lgkmcnt(0)
	s_barrier
	s_and_saveexec_b64 s[0:1], s[26:27]
	s_cbranch_execz .LBB20_1033
; %bb.1032:
	v_mov_b32_e32 v16, 0
	ds_read_b32 v16, v16 offset:15084
	ds_read_b32 v17, v3
	s_waitcnt lgkmcnt(0)
	v_fmac_f32_e32 v15, v16, v17
.LBB20_1033:
	s_or_b64 exec, exec, s[0:1]
	s_barrier
	s_and_saveexec_b64 s[0:1], s[26:27]
; %bb.1034:
	ds_write_b32 v3, v15
; %bb.1035:
	s_or_b64 exec, exec, s[0:1]
	s_waitcnt lgkmcnt(0)
	s_barrier
	s_barrier
	s_and_saveexec_b64 s[0:1], s[2:3]
; %bb.1036:
	v_xor_b32_e32 v15, 0x80000000, v15
	ds_write_b32 v2, v15 offset:14568
; %bb.1037:
	s_or_b64 exec, exec, s[0:1]
	s_waitcnt lgkmcnt(0)
	s_barrier
	s_barrier
	s_and_saveexec_b64 s[0:1], s[36:37]
	s_cbranch_execz .LBB20_1039
; %bb.1038:
	v_lshlrev_b32_e32 v15, 2, v0
	s_movk_i32 s8, 0xfc
	v_mad_u32_u24 v16, v0, s8, v15
	ds_read_b32 v17, v16 offset:14568
	s_waitcnt lgkmcnt(0)
	ds_write_b32 v15, v17 offset:15072
	ds_read_b32 v16, v16 offset:14572
	s_waitcnt lgkmcnt(0)
	ds_write_b32 v15, v16 offset:15328
.LBB20_1039:
	s_or_b64 exec, exec, s[0:1]
	s_waitcnt lgkmcnt(0)
	s_barrier
	s_and_saveexec_b64 s[0:1], vcc
	s_cbranch_execz .LBB20_1041
; %bb.1040:
	v_mov_b32_e32 v17, 0
	ds_read_b32 v15, v17 offset:15084
	v_mov_b32_e32 v16, 1.0
	ds_write_b32 v17, v16 offset:15080
	s_waitcnt lgkmcnt(1)
	ds_write_b64 v17, v[15:16] offset:15336
.LBB20_1041:
	s_or_b64 exec, exec, s[0:1]
	v_mov_b32_e32 v15, 0
	s_waitcnt lgkmcnt(0)
	s_barrier
	s_and_saveexec_b64 s[0:1], s[18:19]
	s_cbranch_execz .LBB20_1047
; %bb.1042:
	v_mul_u32_u24_e32 v16, 0x104, v14
	ds_read_b32 v15, v10 offset:14576
	ds_read_b32 v17, v16 offset:14560
	v_cmp_gt_u32_e64 s[8:9], 12, v4
	s_waitcnt lgkmcnt(0)
	v_fma_f32 v15, v15, v17, 0
	s_and_saveexec_b64 s[10:11], s[8:9]
	s_cbranch_execnz .LBB20_1218
; %bb.1043:
	s_or_b64 exec, exec, s[10:11]
	v_cmp_gt_u32_e64 s[8:9], 8, v4
	s_and_saveexec_b64 s[10:11], s[8:9]
	s_cbranch_execnz .LBB20_1219
.LBB20_1044:
	s_or_b64 exec, exec, s[10:11]
	v_cmp_gt_u32_e64 s[8:9], 4, v4
	s_and_saveexec_b64 s[10:11], s[8:9]
	s_cbranch_execz .LBB20_1046
.LBB20_1045:
	v_lshlrev_b32_e32 v13, 2, v0
	v_mov_b32_e32 v14, 0
	ds_read_b32 v13, v13 offset:15344
	ds_read_b32 v14, v14 offset:14572
	s_waitcnt lgkmcnt(0)
	v_fmac_f32_e32 v15, v13, v14
.LBB20_1046:
	s_or_b64 exec, exec, s[10:11]
	v_xor_b32_e32 v15, 0x80000000, v15
.LBB20_1047:
	s_or_b64 exec, exec, s[0:1]
	s_and_saveexec_b64 s[0:1], s[40:41]
; %bb.1048:
	ds_write_b32 v12, v15
; %bb.1049:
	s_or_b64 exec, exec, s[0:1]
	s_waitcnt lgkmcnt(0)
	s_barrier
	s_and_saveexec_b64 s[0:1], s[42:43]
	v_readlane_b32 s40, v33, 0
	v_readlane_b32 s41, v33, 1
	s_cbranch_execz .LBB20_1051
; %bb.1050:
	ds_read_b32 v13, v11 offset:15600
	ds_read_b32 v14, v12
	s_waitcnt lgkmcnt(0)
	v_fmac_f32_e32 v15, v13, v14
.LBB20_1051:
	s_or_b64 exec, exec, s[0:1]
	s_barrier
	s_and_saveexec_b64 s[0:1], s[44:45]
; %bb.1052:
	ds_write_b32 v12, v15
; %bb.1053:
	s_or_b64 exec, exec, s[0:1]
	s_waitcnt lgkmcnt(0)
	s_barrier
	s_and_saveexec_b64 s[0:1], s[46:47]
	s_cbranch_execz .LBB20_1055
; %bb.1054:
	ds_read_b32 v11, v11 offset:15856
	ds_read_b32 v13, v12
	s_waitcnt lgkmcnt(0)
	v_fmac_f32_e32 v15, v11, v13
.LBB20_1055:
	s_or_b64 exec, exec, s[0:1]
	s_barrier
	s_and_saveexec_b64 s[0:1], s[48:49]
; %bb.1056:
	ds_write_b32 v12, v15
; %bb.1057:
	s_or_b64 exec, exec, s[0:1]
	s_waitcnt lgkmcnt(0)
	s_barrier
	s_and_saveexec_b64 s[0:1], s[38:39]
	s_cbranch_execz .LBB20_1059
; %bb.1058:
	v_mov_b32_e32 v11, 0
	ds_read_b32 v11, v11 offset:16124
	ds_read_b32 v13, v12
	s_waitcnt lgkmcnt(0)
	v_fmac_f32_e32 v15, v11, v13
.LBB20_1059:
	s_or_b64 exec, exec, s[0:1]
	s_barrier
	s_and_saveexec_b64 s[0:1], s[38:39]
; %bb.1060:
	ds_write_b32 v12, v15
; %bb.1061:
	s_or_b64 exec, exec, s[0:1]
	s_waitcnt lgkmcnt(0)
	s_barrier
	s_barrier
	s_and_saveexec_b64 s[0:1], s[18:19]
; %bb.1062:
	v_xor_b32_e32 v11, 0x80000000, v15
	ds_write_b32 v10, v11 offset:14576
; %bb.1063:
	s_or_b64 exec, exec, s[0:1]
	s_waitcnt lgkmcnt(0)
	s_barrier
	s_barrier
	s_and_saveexec_b64 s[0:1], s[50:51]
	s_cbranch_execz .LBB20_1065
; %bb.1064:
	v_lshlrev_b32_e32 v10, 8, v0
	ds_read_b32 v11, v10 offset:14576
	s_movk_i32 s8, 0xff04
	v_mad_i32_i24 v12, v0, s8, v10
	s_waitcnt lgkmcnt(0)
	ds_write_b32 v12, v11 offset:15584
	ds_read_b32 v11, v10 offset:14580
	s_waitcnt lgkmcnt(0)
	ds_write_b32 v12, v11 offset:15840
	ds_read_b32 v11, v10 offset:14584
	;; [unrolled: 3-line block ×3, first 2 shown]
	s_waitcnt lgkmcnt(0)
	ds_write_b32 v12, v10 offset:16352
.LBB20_1065:
	s_or_b64 exec, exec, s[0:1]
	s_waitcnt lgkmcnt(0)
	s_barrier
	s_and_saveexec_b64 s[0:1], vcc
	s_cbranch_execz .LBB20_1067
; %bb.1066:
	v_mov_b32_e32 v12, 0
	ds_read_b32 v10, v12 offset:15604
	v_mov_b32_e32 v11, 1.0
	ds_write_b32 v12, v11 offset:15600
	s_waitcnt lgkmcnt(1)
	ds_write_b64 v12, v[10:11] offset:15856
.LBB20_1067:
	s_or_b64 exec, exec, s[0:1]
	v_mov_b32_e32 v10, 0
	s_waitcnt lgkmcnt(0)
	s_barrier
	s_and_saveexec_b64 s[0:1], s[2:3]
	s_cbranch_execz .LBB20_1071
; %bb.1068:
	v_mul_u32_u24_e32 v5, 0x104, v5
	ds_read_b32 v11, v2 offset:15608
	ds_read_b32 v5, v5 offset:15600
	v_mov_b32_e32 v10, 0
	v_cmp_gt_u32_e64 s[8:9], 2, v4
	s_waitcnt lgkmcnt(0)
	v_fma_f32 v5, v11, v5, 0
	s_and_saveexec_b64 s[10:11], s[8:9]
	s_cbranch_execz .LBB20_1070
; %bb.1069:
	v_lshlrev_b32_e32 v4, 2, v0
	ds_read_b32 v4, v4 offset:15864
	ds_read_b32 v10, v10 offset:15604
	s_waitcnt lgkmcnt(0)
	v_fmac_f32_e32 v5, v4, v10
.LBB20_1070:
	s_or_b64 exec, exec, s[10:11]
	v_xor_b32_e32 v10, 0x80000000, v5
.LBB20_1071:
	s_or_b64 exec, exec, s[0:1]
	s_and_saveexec_b64 s[0:1], s[34:35]
; %bb.1072:
	ds_write_b32 v3, v10
; %bb.1073:
	s_or_b64 exec, exec, s[0:1]
	s_waitcnt lgkmcnt(0)
	s_barrier
	s_and_saveexec_b64 s[0:1], s[26:27]
	s_cbranch_execz .LBB20_1075
; %bb.1074:
	v_mov_b32_e32 v4, 0
	ds_read_b32 v4, v4 offset:16124
	ds_read_b32 v5, v3
	s_waitcnt lgkmcnt(0)
	v_fmac_f32_e32 v10, v4, v5
.LBB20_1075:
	s_or_b64 exec, exec, s[0:1]
	s_barrier
	s_and_saveexec_b64 s[0:1], s[26:27]
; %bb.1076:
	ds_write_b32 v3, v10
; %bb.1077:
	s_or_b64 exec, exec, s[0:1]
	s_waitcnt lgkmcnt(0)
	s_barrier
	s_barrier
	s_and_saveexec_b64 s[0:1], s[2:3]
; %bb.1078:
	v_xor_b32_e32 v3, 0x80000000, v10
	ds_write_b32 v2, v3 offset:15608
; %bb.1079:
	s_or_b64 exec, exec, s[0:1]
	s_waitcnt lgkmcnt(0)
	s_barrier
	s_barrier
	s_and_saveexec_b64 s[0:1], s[36:37]
	s_cbranch_execz .LBB20_1081
; %bb.1080:
	v_lshlrev_b32_e32 v2, 2, v0
	s_movk_i32 s2, 0xfc
	v_mad_u32_u24 v3, v0, s2, v2
	ds_read_b32 v4, v3 offset:15608
	s_waitcnt lgkmcnt(0)
	ds_write_b32 v2, v4 offset:16112
	ds_read_b32 v3, v3 offset:15612
	s_waitcnt lgkmcnt(0)
	ds_write_b32 v2, v3 offset:16368
.LBB20_1081:
	s_or_b64 exec, exec, s[0:1]
	s_waitcnt lgkmcnt(0)
	s_barrier
	s_and_saveexec_b64 s[0:1], vcc
	s_cbranch_execz .LBB20_1083
; %bb.1082:
	v_mov_b32_e32 v4, 0
	ds_read_b32 v2, v4 offset:16124
	v_mov_b32_e32 v3, 1.0
	ds_write_b32 v4, v3 offset:16120
	s_waitcnt lgkmcnt(1)
	ds_write_b64 v4, v[2:3] offset:16376
.LBB20_1083:
	s_or_b64 exec, exec, s[0:1]
.LBB20_1084:
	s_load_dwordx8 s[12:19], s[4:5], 0x30
	s_load_dwordx2 s[0:1], s[4:5], 0x50
	v_cmp_le_i32_e32 vcc, s86, v0
	v_mov_b32_e32 v11, 0
	v_lshl_add_u32 v2, s33, 6, v0
	s_waitcnt lgkmcnt(0)
	s_mul_i32 s3, s19, s28
	s_mul_hi_u32 s8, s18, s28
	s_mul_i32 s2, s18, s28
	s_add_i32 s3, s8, s3
	s_lshl_b64 s[2:3], s[2:3], 2
	s_add_u32 s8, s12, s2
	s_addc_u32 s9, s13, s3
	s_lshl_b64 s[2:3], s[14:15], 2
	s_add_u32 s26, s8, s2
	s_addc_u32 s27, s9, s3
	s_and_b64 s[14:15], vcc, s[22:23]
	v_cmp_eq_u32_e64 s[2:3], 0, v1
	s_xor_b64 s[8:9], s[14:15], -1
	s_and_b64 s[10:11], s[2:3], s[8:9]
	s_barrier
	s_and_saveexec_b64 s[8:9], s[10:11]
	s_cbranch_execz .LBB20_1086
; %bb.1085:
	v_ashrrev_i32_e32 v5, 31, v2
	v_mul_lo_u32 v10, s17, v2
	v_mad_u64_u32 v[3:4], s[10:11], s16, v2, 0
	v_mul_lo_u32 v5, s16, v5
	s_load_dword s4, s[4:5], 0x28
	v_add3_u32 v4, v4, v5, v10
	v_lshlrev_b64 v[3:4], 2, v[3:4]
	v_mov_b32_e32 v5, s27
	v_add_co_u32_e32 v3, vcc, s26, v3
	v_addc_co_u32_e32 v4, vcc, v5, v4, vcc
	global_load_dword v3, v[3:4], off
	s_waitcnt vmcnt(0) lgkmcnt(0)
	v_mul_f32_e64 v11, v3, -s4
.LBB20_1086:
	s_or_b64 exec, exec, s[8:9]
	s_and_b32 s4, 0xffff, s89
	v_mad_u32_u24 v10, v1, s4, v0
	s_cmp_lt_i32 s6, 1
	v_cmp_eq_u32_e64 s[4:5], 0, v10
	s_cbranch_scc1 .LBB20_1112
; %bb.1087:
	v_ashrrev_i32_e32 v5, 31, v2
	v_mul_lo_u32 v12, s25, v2
	v_mad_u64_u32 v[3:4], s[8:9], s24, v2, 0
	v_mul_lo_u32 v5, s24, v5
	s_lshl_b64 s[8:9], s[28:29], 2
	s_add_u32 s18, s0, s8
	s_addc_u32 s19, s1, s9
	v_add3_u32 v4, v4, v5, v12
	v_cmp_gt_i32_e64 s[8:9], s30, v2
	v_lshlrev_b64 v[2:3], 2, v[3:4]
	v_mov_b32_e32 v5, 0x5000
	v_mov_b32_e32 v4, s88
	v_add_co_u32_e32 v14, vcc, s87, v2
	s_mov_b32 s24, 0
	v_cmp_gt_u32_e64 s[12:13], 64, v10
	v_lshl_add_u32 v12, v10, 2, v5
	v_lshl_or_b32 v13, v1, 2, v5
	s_add_i32 s25, s33, 1
	v_addc_co_u32_e32 v15, vcc, v4, v3, vcc
	v_mov_b32_e32 v17, -1
	v_mov_b32_e32 v16, 0
	s_branch .LBB20_1090
.LBB20_1088:                            ;   in Loop: Header=BB20_1090 Depth=1
	ds_read_b32 v2, v13 offset:192
	s_waitcnt vmcnt(0) lgkmcnt(0)
	v_fmac_f32_e32 v11, v4, v2
.LBB20_1089:                            ;   in Loop: Header=BB20_1090 Depth=1
	s_or_b64 exec, exec, s[20:21]
	s_add_i32 s24, s24, 1
	s_cmp_eq_u32 s24, s6
	s_cbranch_scc1 .LBB20_1112
.LBB20_1090:                            ; =>This Loop Header: Depth=1
                                        ;     Child Loop BB20_1092 Depth 2
	v_cmp_gt_i32_e32 vcc, s24, v17
	s_and_b64 s[20:21], s[4:5], vcc
	s_and_saveexec_b64 s[10:11], s[20:21]
	s_cbranch_execz .LBB20_1093
; %bb.1091:                             ;   in Loop: Header=BB20_1090 Depth=1
	global_load_dword v17, v16, s[18:19]
	s_waitcnt vmcnt(0)
	v_cmp_le_i32_e32 vcc, s24, v17
	s_cbranch_vccnz .LBB20_1093
.LBB20_1092:                            ;   Parent Loop BB20_1090 Depth=1
                                        ; =>  This Inner Loop Header: Depth=2
	buffer_wbinvl1_vol
	global_load_dword v17, v16, s[18:19]
	s_waitcnt vmcnt(0)
	v_cmp_gt_i32_e32 vcc, s24, v17
	s_cbranch_vccnz .LBB20_1092
.LBB20_1093:                            ;   in Loop: Header=BB20_1090 Depth=1
	s_or_b64 exec, exec, s[10:11]
	s_sub_i32 s34, s7, s24
	s_lshl_b32 s35, s34, 6
	buffer_wbinvl1_vol
	s_barrier
	s_and_saveexec_b64 s[10:11], s[12:13]
	s_cbranch_execz .LBB20_1097
; %bb.1094:                             ;   in Loop: Header=BB20_1090 Depth=1
	s_ashr_i32 s20, s35, 31
	v_mov_b32_e32 v3, s20
	v_or_b32_e32 v2, s35, v10
	v_cmp_gt_i64_e32 vcc, s[30:31], v[2:3]
	v_mov_b32_e32 v4, 0
	s_and_saveexec_b64 s[20:21], vcc
	s_cbranch_execz .LBB20_1096
; %bb.1095:                             ;   in Loop: Header=BB20_1090 Depth=1
	v_mul_lo_u32 v4, v3, s16
	v_mul_lo_u32 v5, v2, s17
	v_mad_u64_u32 v[2:3], s[36:37], v2, s16, 0
	v_add3_u32 v3, v3, v5, v4
	v_lshlrev_b64 v[2:3], 2, v[2:3]
	v_mov_b32_e32 v4, s27
	v_add_co_u32_e32 v2, vcc, s26, v2
	v_addc_co_u32_e32 v3, vcc, v4, v3, vcc
	global_load_dword v4, v[2:3], off
.LBB20_1096:                            ;   in Loop: Header=BB20_1090 Depth=1
	s_or_b64 exec, exec, s[20:21]
	s_waitcnt vmcnt(0)
	ds_write_b32 v12, v4
.LBB20_1097:                            ;   in Loop: Header=BB20_1090 Depth=1
	s_or_b64 exec, exec, s[10:11]
	v_add_u32_e32 v4, s35, v1
	v_ashrrev_i32_e32 v5, 31, v4
	v_lshlrev_b64 v[2:3], 2, v[4:5]
	s_cmp_lg_u32 s34, s25
	v_add_co_u32_e32 v2, vcc, v14, v2
	s_cselect_b64 s[10:11], -1, 0
	v_addc_co_u32_e32 v3, vcc, v15, v3, vcc
	v_cmp_gt_i32_e32 vcc, s30, v4
	v_cndmask_b32_e64 v5, 0, 1, s[10:11]
	s_and_b64 s[34:35], vcc, s[8:9]
	v_cmp_ne_u32_e64 s[10:11], 1, v5
	s_waitcnt lgkmcnt(0)
	s_barrier
	s_and_saveexec_b64 s[20:21], s[34:35]
	s_cbranch_execz .LBB20_1101
; %bb.1098:                             ;   in Loop: Header=BB20_1090 Depth=1
	s_and_b64 vcc, exec, s[10:11]
	v_mov_b32_e32 v5, v7
	s_cbranch_vccnz .LBB20_1100
; %bb.1099:                             ;   in Loop: Header=BB20_1090 Depth=1
	global_load_dword v5, v[2:3], off
.LBB20_1100:                            ;   in Loop: Header=BB20_1090 Depth=1
	ds_read_b32 v18, v13
	s_waitcnt vmcnt(0) lgkmcnt(0)
	v_fmac_f32_e32 v11, v5, v18
.LBB20_1101:                            ;   in Loop: Header=BB20_1090 Depth=1
	s_or_b64 exec, exec, s[20:21]
	v_add_u32_e32 v5, 16, v4
	v_cmp_gt_i32_e32 vcc, s30, v5
	s_and_b64 s[34:35], vcc, s[8:9]
	s_and_saveexec_b64 s[20:21], s[34:35]
	s_cbranch_execz .LBB20_1105
; %bb.1102:                             ;   in Loop: Header=BB20_1090 Depth=1
	s_and_b64 vcc, exec, s[10:11]
	v_mov_b32_e32 v5, v6
	s_cbranch_vccnz .LBB20_1104
; %bb.1103:                             ;   in Loop: Header=BB20_1090 Depth=1
	global_load_dword v5, v[2:3], off offset:64
.LBB20_1104:                            ;   in Loop: Header=BB20_1090 Depth=1
	ds_read_b32 v18, v13 offset:64
	s_waitcnt vmcnt(0) lgkmcnt(0)
	v_fmac_f32_e32 v11, v5, v18
.LBB20_1105:                            ;   in Loop: Header=BB20_1090 Depth=1
	s_or_b64 exec, exec, s[20:21]
	v_add_u32_e32 v5, 32, v4
	v_cmp_gt_i32_e32 vcc, s30, v5
	s_and_b64 s[34:35], vcc, s[8:9]
	s_and_saveexec_b64 s[20:21], s[34:35]
	s_cbranch_execz .LBB20_1109
; %bb.1106:                             ;   in Loop: Header=BB20_1090 Depth=1
	s_and_b64 vcc, exec, s[10:11]
	v_mov_b32_e32 v5, v9
	s_cbranch_vccnz .LBB20_1108
; %bb.1107:                             ;   in Loop: Header=BB20_1090 Depth=1
	global_load_dword v5, v[2:3], off offset:128
.LBB20_1108:                            ;   in Loop: Header=BB20_1090 Depth=1
	ds_read_b32 v18, v13 offset:128
	s_waitcnt vmcnt(0) lgkmcnt(0)
	v_fmac_f32_e32 v11, v5, v18
.LBB20_1109:                            ;   in Loop: Header=BB20_1090 Depth=1
	s_or_b64 exec, exec, s[20:21]
	v_add_u32_e32 v4, 48, v4
	v_cmp_gt_i32_e32 vcc, s30, v4
	s_and_b64 s[34:35], vcc, s[8:9]
	s_and_saveexec_b64 s[20:21], s[34:35]
	s_cbranch_execz .LBB20_1089
; %bb.1110:                             ;   in Loop: Header=BB20_1090 Depth=1
	s_and_b64 vcc, exec, s[10:11]
	v_mov_b32_e32 v4, v8
	s_cbranch_vccnz .LBB20_1088
; %bb.1111:                             ;   in Loop: Header=BB20_1090 Depth=1
	global_load_dword v4, v[2:3], off offset:192
	s_branch .LBB20_1088
.LBB20_1112:
	v_lshl_add_u32 v2, v1, 6, v0
	s_xor_b64 s[4:5], s[22:23], -1
	v_lshlrev_b32_e32 v2, 2, v2
	ds_write_b32 v2, v11 offset:16384
	s_waitcnt lgkmcnt(0)
	s_barrier
	s_and_saveexec_b64 s[6:7], s[2:3]
	s_cbranch_execz .LBB20_1114
; %bb.1113:
	v_lshlrev_b32_e32 v9, 2, v0
	ds_read2st64_b32 v[3:4], v9 offset0:65 offset1:66
	ds_read2st64_b32 v[5:6], v9 offset0:67 offset1:68
	;; [unrolled: 1-line block ×5, first 2 shown]
	s_waitcnt lgkmcnt(4)
	v_add_f32_e32 v3, v11, v3
	v_add_f32_e32 v3, v3, v4
	s_waitcnt lgkmcnt(3)
	v_add_f32_e32 v3, v3, v5
	v_add_f32_e32 v3, v3, v6
	;; [unrolled: 3-line block ×4, first 2 shown]
	ds_read2st64_b32 v[3:4], v9 offset0:75 offset1:76
	ds_read2st64_b32 v[5:6], v9 offset0:77 offset1:78
	ds_read_b32 v8, v9 offset:20224
	s_waitcnt lgkmcnt(3)
	v_add_f32_e32 v7, v7, v14
	v_add_f32_e32 v7, v7, v15
	s_waitcnt lgkmcnt(2)
	v_add_f32_e32 v3, v7, v3
	v_add_f32_e32 v3, v3, v4
	s_waitcnt lgkmcnt(1)
	v_add_f32_e32 v3, v3, v5
	v_add_f32_e32 v3, v3, v6
	s_waitcnt lgkmcnt(0)
	v_add_f32_e32 v3, v3, v8
	v_cndmask_b32_e64 v11, -v3, 0, s[14:15]
.LBB20_1114:
	s_or_b64 exec, exec, s[6:7]
	s_and_b64 vcc, exec, s[40:41]
	s_cbranch_vccnz .LBB20_1128
; %bb.1115:
	v_mov_b32_e32 v3, 0x5000
	v_lshl_or_b32 v4, v1, 2, v3
	s_and_saveexec_b64 s[6:7], s[2:3]
; %bb.1116:
	v_lshl_add_u32 v3, v0, 2, v4
	ds_write_b32 v3, v11
; %bb.1117:
	s_or_b64 exec, exec, s[6:7]
	v_cmp_le_u32_e32 vcc, v0, v1
	v_mov_b32_e32 v3, 0
	s_waitcnt lgkmcnt(0)
	s_barrier
	s_and_saveexec_b64 s[6:7], vcc
	s_cbranch_execz .LBB20_1119
; %bb.1118:
	ds_read_b32 v3, v2
	ds_read_b32 v5, v4
	s_waitcnt lgkmcnt(0)
	v_fma_f32 v3, v3, v5, 0
.LBB20_1119:
	s_or_b64 exec, exec, s[6:7]
	v_add_u32_e32 v5, 16, v1
	v_cmp_le_u32_e32 vcc, v0, v5
	s_and_saveexec_b64 s[6:7], vcc
	s_cbranch_execz .LBB20_1121
; %bb.1120:
	ds_read_b32 v5, v2 offset:4096
	ds_read_b32 v6, v4 offset:64
	s_waitcnt lgkmcnt(0)
	v_fmac_f32_e32 v3, v5, v6
.LBB20_1121:
	s_or_b64 exec, exec, s[6:7]
	v_add_u32_e32 v5, 32, v1
	v_cmp_le_u32_e32 vcc, v0, v5
	s_and_saveexec_b64 s[6:7], vcc
	s_cbranch_execz .LBB20_1123
; %bb.1122:
	ds_read_b32 v5, v2 offset:8192
	ds_read_b32 v6, v4 offset:128
	s_waitcnt lgkmcnt(0)
	v_fmac_f32_e32 v3, v5, v6
.LBB20_1123:
	s_or_b64 exec, exec, s[6:7]
	v_add_u32_e32 v1, 48, v1
	v_add_u32_e32 v5, 0x4000, v2
	v_cmp_le_u32_e32 vcc, v0, v1
	s_and_saveexec_b64 s[6:7], vcc
	s_cbranch_execz .LBB20_1125
; %bb.1124:
	ds_read_b32 v1, v2 offset:12288
	ds_read_b32 v2, v4 offset:192
	s_waitcnt lgkmcnt(0)
	v_fmac_f32_e32 v3, v1, v2
.LBB20_1125:
	s_or_b64 exec, exec, s[6:7]
	s_mov_b64 s[8:9], 0
	s_mov_b64 s[6:7], 0
	ds_write_b32 v5, v3
	s_waitcnt lgkmcnt(0)
	s_barrier
                                        ; implicit-def: $vgpr1
	s_and_saveexec_b64 s[10:11], s[2:3]
	s_cbranch_execz .LBB20_1166
; %bb.1126:
	v_lshlrev_b32_e32 v12, 2, v0
	ds_read2st64_b32 v[1:2], v12 offset0:65 offset1:66
	ds_read2st64_b32 v[4:5], v12 offset0:67 offset1:68
	;; [unrolled: 1-line block ×4, first 2 shown]
	s_mov_b64 s[6:7], exec
	s_waitcnt lgkmcnt(3)
	v_add_f32_e32 v1, v3, v1
	v_add_f32_e32 v1, v2, v1
	s_waitcnt lgkmcnt(2)
	v_add_f32_e32 v1, v4, v1
	v_add_f32_e32 v1, v5, v1
	s_waitcnt lgkmcnt(1)
	v_add_f32_e32 v1, v6, v1
	v_add_f32_e32 v1, v7, v1
	s_waitcnt lgkmcnt(0)
	v_add_f32_e32 v3, v8, v1
	ds_read2st64_b32 v[1:2], v12 offset0:73 offset1:74
	v_add_f32_e32 v7, v9, v3
	ds_read2st64_b32 v[3:4], v12 offset0:75 offset1:76
	ds_read2st64_b32 v[5:6], v12 offset0:77 offset1:78
	ds_read_b32 v8, v12 offset:20224
	s_waitcnt lgkmcnt(3)
	v_add_f32_e32 v1, v1, v7
	v_add_f32_e32 v1, v2, v1
	s_waitcnt lgkmcnt(2)
	v_add_f32_e32 v1, v3, v1
	v_add_f32_e32 v1, v4, v1
	;; [unrolled: 3-line block ×3, first 2 shown]
	s_waitcnt lgkmcnt(0)
	v_add_f32_e32 v1, v8, v1
	s_or_b64 exec, exec, s[10:11]
	s_and_b64 vcc, exec, s[8:9]
	s_cbranch_vccnz .LBB20_1129
	s_branch .LBB20_1167
.LBB20_1127:
	v_mad_u64_u32 v[11:12], s[2:3], s24, v5, 0
	s_or_b64 s[10:11], s[10:11], exec
	v_mov_b32_e32 v4, v12
	v_mad_u64_u32 v[4:5], s[2:3], s25, v5, v[4:5]
	v_mov_b32_e32 v12, v4
	v_lshlrev_b64 v[4:5], 2, v[11:12]
	v_add_co_u32_e32 v2, vcc, v2, v4
	v_addc_co_u32_e32 v3, vcc, v3, v5, vcc
	global_load_dword v2, v[2:3], off
	s_waitcnt vmcnt(0)
	v_xor_b32_e32 v4, 0x80000000, v2
	s_or_b64 exec, exec, s[8:9]
	s_xor_b64 s[0:1], s[0:1], -1
	s_and_saveexec_b64 s[2:3], s[10:11]
	s_cbranch_execnz .LBB20_45
	s_branch .LBB20_46
.LBB20_1128:
	s_mov_b64 s[6:7], 0
                                        ; implicit-def: $vgpr1
	s_cbranch_execz .LBB20_1167
.LBB20_1129:
	v_mov_b32_e32 v1, 0x3c00
	v_lshl_add_u32 v1, v0, 2, v1
	v_mov_b32_e32 v3, 63
	v_mov_b32_e32 v2, 0
	s_branch .LBB20_1131
.LBB20_1130:                            ;   in Loop: Header=BB20_1131 Depth=1
	s_or_b64 exec, exec, s[8:9]
	v_subrev_co_u32_e32 v3, vcc, 1, v3
	s_andn2_b64 vcc, exec, vcc
	v_add_u32_e32 v1, 0xfffffc00, v1
	s_barrier
	s_cbranch_vccz .LBB20_1147
.LBB20_1131:                            ; =>This Inner Loop Header: Depth=1
	v_cmp_eq_u32_e32 vcc, v0, v3
	s_and_b64 s[10:11], s[2:3], vcc
	s_and_saveexec_b64 s[8:9], s[10:11]
; %bb.1132:                             ;   in Loop: Header=BB20_1131 Depth=1
	ds_write_b32 v2, v11 offset:20736
; %bb.1133:                             ;   in Loop: Header=BB20_1131 Depth=1
	s_or_b64 exec, exec, s[8:9]
	v_cmp_lt_u32_e32 vcc, v0, v3
	s_and_b64 s[10:11], s[2:3], vcc
	s_waitcnt lgkmcnt(0)
	s_barrier
	s_and_saveexec_b64 s[8:9], s[10:11]
	s_cbranch_execz .LBB20_1135
; %bb.1134:                             ;   in Loop: Header=BB20_1131 Depth=1
	ds_read_b32 v4, v1 offset:768
	ds_read_b32 v5, v2 offset:20736
	s_waitcnt lgkmcnt(0)
	v_fmac_f32_e32 v11, v4, v5
.LBB20_1135:                            ;   in Loop: Header=BB20_1131 Depth=1
	s_or_b64 exec, exec, s[8:9]
	v_add_u32_e32 v3, -1, v3
	v_cmp_eq_u32_e32 vcc, v0, v3
	s_and_b64 s[10:11], s[2:3], vcc
	s_barrier
	s_and_saveexec_b64 s[8:9], s[10:11]
; %bb.1136:                             ;   in Loop: Header=BB20_1131 Depth=1
	ds_write_b32 v2, v11 offset:20736
; %bb.1137:                             ;   in Loop: Header=BB20_1131 Depth=1
	s_or_b64 exec, exec, s[8:9]
	v_cmp_lt_u32_e32 vcc, v0, v3
	s_and_b64 s[10:11], s[2:3], vcc
	s_waitcnt lgkmcnt(0)
	s_barrier
	s_and_saveexec_b64 s[8:9], s[10:11]
	s_cbranch_execz .LBB20_1139
; %bb.1138:                             ;   in Loop: Header=BB20_1131 Depth=1
	ds_read_b32 v4, v1 offset:512
	ds_read_b32 v5, v2 offset:20736
	s_waitcnt lgkmcnt(0)
	v_fmac_f32_e32 v11, v4, v5
.LBB20_1139:                            ;   in Loop: Header=BB20_1131 Depth=1
	s_or_b64 exec, exec, s[8:9]
	v_add_u32_e32 v3, -1, v3
	v_cmp_eq_u32_e32 vcc, v0, v3
	s_and_b64 s[10:11], s[2:3], vcc
	s_barrier
	s_and_saveexec_b64 s[8:9], s[10:11]
; %bb.1140:                             ;   in Loop: Header=BB20_1131 Depth=1
	ds_write_b32 v2, v11 offset:20736
; %bb.1141:                             ;   in Loop: Header=BB20_1131 Depth=1
	s_or_b64 exec, exec, s[8:9]
	v_cmp_lt_u32_e32 vcc, v0, v3
	s_and_b64 s[10:11], s[2:3], vcc
	s_waitcnt lgkmcnt(0)
	s_barrier
	s_and_saveexec_b64 s[8:9], s[10:11]
	s_cbranch_execz .LBB20_1143
; %bb.1142:                             ;   in Loop: Header=BB20_1131 Depth=1
	ds_read_b32 v4, v1 offset:256
	ds_read_b32 v5, v2 offset:20736
	s_waitcnt lgkmcnt(0)
	v_fmac_f32_e32 v11, v4, v5
.LBB20_1143:                            ;   in Loop: Header=BB20_1131 Depth=1
	s_or_b64 exec, exec, s[8:9]
	v_add_u32_e32 v3, -1, v3
	v_cmp_eq_u32_e32 vcc, v0, v3
	s_and_b64 s[10:11], s[2:3], vcc
	s_barrier
	s_and_saveexec_b64 s[8:9], s[10:11]
; %bb.1144:                             ;   in Loop: Header=BB20_1131 Depth=1
	ds_write_b32 v2, v11 offset:20736
; %bb.1145:                             ;   in Loop: Header=BB20_1131 Depth=1
	s_or_b64 exec, exec, s[8:9]
	v_cmp_lt_u32_e32 vcc, v0, v3
	s_and_b64 s[10:11], s[2:3], vcc
	s_waitcnt lgkmcnt(0)
	s_barrier
	s_and_saveexec_b64 s[8:9], s[10:11]
	s_cbranch_execz .LBB20_1130
; %bb.1146:                             ;   in Loop: Header=BB20_1131 Depth=1
	ds_read_b32 v4, v1
	ds_read_b32 v5, v2 offset:20736
	s_waitcnt lgkmcnt(0)
	v_fmac_f32_e32 v11, v4, v5
	s_branch .LBB20_1130
.LBB20_1147:
	s_mov_b64 s[8:9], -1
	s_and_b64 vcc, exec, s[4:5]
	s_cbranch_vccnz .LBB20_1168
; %bb.1148:
	s_andn2_b64 vcc, exec, s[8:9]
	s_cbranch_vccz .LBB20_1169
.LBB20_1149:
	s_and_saveexec_b64 s[2:3], s[6:7]
	s_cbranch_execz .LBB20_1151
.LBB20_1150:
	s_lshl_b32 s4, s33, 6
	s_ashr_i32 s5, s4, 31
	v_mov_b32_e32 v0, s5
	v_add_co_u32_e32 v1, vcc, s4, v10
	v_addc_co_u32_e32 v0, vcc, 0, v0, vcc
	v_mul_lo_u32 v2, v0, s16
	v_mul_lo_u32 v3, v1, s17
	v_mad_u64_u32 v[0:1], s[4:5], v1, s16, 0
	v_add3_u32 v1, v1, v3, v2
	v_lshlrev_b64 v[0:1], 2, v[0:1]
	v_mov_b32_e32 v2, s27
	v_add_co_u32_e32 v0, vcc, s26, v0
	v_addc_co_u32_e32 v1, vcc, v2, v1, vcc
	global_store_dword v[0:1], v11, off
.LBB20_1151:
	s_or_b64 exec, exec, s[2:3]
	v_cmp_eq_u32_e32 vcc, 0, v10
	s_waitcnt vmcnt(0)
	buffer_wbinvl1_vol
	s_barrier
	s_and_saveexec_b64 s[2:3], vcc
	s_cbranch_execz .LBB20_1153
; %bb.1152:
	s_lshl_b64 s[4:5], s[28:29], 2
	s_add_u32 s0, s0, s4
	s_addc_u32 s1, s1, s5
	v_mov_b32_e32 v0, 0
	global_load_dword v1, v0, s[0:1]
	s_waitcnt vmcnt(0)
	v_add_u32_e32 v1, 1, v1
	global_store_dword v0, v1, s[0:1]
.LBB20_1153:
	s_or_b64 exec, exec, s[2:3]
	s_waitcnt vmcnt(0)
	buffer_wbinvl1_vol
	s_endpgm
.LBB20_1154:
	v_or_b32_e32 v10, v1, v0
	v_cmp_gt_u32_e32 vcc, 64, v10
	s_and_b64 s[10:11], vcc, exec
	s_andn2_saveexec_b64 s[8:9], s[8:9]
	s_cbranch_execz .LBB20_14
.LBB20_1155:
	v_mad_u64_u32 v[10:11], s[12:13], s24, v1, 0
	s_or_b64 s[10:11], s[10:11], exec
	v_mov_b32_e32 v5, v11
	v_mad_u64_u32 v[11:12], s[12:13], s25, v1, v[5:6]
	v_lshlrev_b64 v[10:11], 2, v[10:11]
	v_add_co_u32_e32 v10, vcc, v2, v10
	v_addc_co_u32_e32 v11, vcc, v3, v11, vcc
	global_load_dword v5, v[10:11], off
	s_waitcnt vmcnt(0)
	v_xor_b32_e32 v5, 0x80000000, v5
	s_or_b64 exec, exec, s[8:9]
	s_and_saveexec_b64 s[8:9], s[10:11]
	s_cbranch_execnz .LBB20_15
	s_branch .LBB20_16
.LBB20_1156:
	v_or_b32_e32 v10, v5, v0
	v_cmp_gt_u32_e32 vcc, 64, v10
	s_and_b64 s[2:3], vcc, exec
	s_or_saveexec_b64 s[8:9], s[8:9]
	v_mov_b32_e32 v10, 0
	s_xor_b64 exec, exec, s[8:9]
	s_cbranch_execz .LBB20_18
.LBB20_1157:
	v_mad_u64_u32 v[10:11], s[10:11], s24, v5, 0
	s_or_b64 s[2:3], s[2:3], exec
	v_mad_u64_u32 v[11:12], s[10:11], s25, v5, v[11:12]
	v_lshlrev_b64 v[10:11], 2, v[10:11]
	v_add_co_u32_e32 v10, vcc, v2, v10
	v_addc_co_u32_e32 v11, vcc, v3, v11, vcc
	global_load_dword v10, v[10:11], off
	s_waitcnt vmcnt(0)
	v_xor_b32_e32 v10, 0x80000000, v10
	s_or_b64 exec, exec, s[8:9]
	s_and_saveexec_b64 s[8:9], s[2:3]
	s_cbranch_execnz .LBB20_19
	s_branch .LBB20_20
.LBB20_1158:
	v_or_b32_e32 v10, v5, v0
	v_cmp_gt_u32_e32 vcc, 64, v10
	s_and_b64 s[2:3], vcc, exec
	s_or_saveexec_b64 s[8:9], s[8:9]
	v_mov_b32_e32 v10, 0
	s_xor_b64 exec, exec, s[8:9]
	s_cbranch_execz .LBB20_22
.LBB20_1159:
	v_mad_u64_u32 v[10:11], s[10:11], s24, v5, 0
	s_or_b64 s[2:3], s[2:3], exec
	v_mad_u64_u32 v[11:12], s[10:11], s25, v5, v[11:12]
	v_lshlrev_b64 v[10:11], 2, v[10:11]
	v_add_co_u32_e32 v10, vcc, v2, v10
	v_addc_co_u32_e32 v11, vcc, v3, v11, vcc
	global_load_dword v10, v[10:11], off
	s_waitcnt vmcnt(0)
	v_xor_b32_e32 v10, 0x80000000, v10
	s_or_b64 exec, exec, s[8:9]
	s_and_saveexec_b64 s[8:9], s[2:3]
	s_cbranch_execnz .LBB20_23
	s_branch .LBB20_24
.LBB20_1160:
	v_or_b32_e32 v10, v1, v0
	v_cmp_gt_u32_e64 s[2:3], 64, v10
	s_and_b64 s[8:9], s[2:3], exec
	s_andn2_saveexec_b64 s[12:13], s[12:13]
	s_cbranch_execz .LBB20_30
.LBB20_1161:
	v_mad_u64_u32 v[10:11], s[2:3], s24, v1, 0
	s_or_b64 s[8:9], s[8:9], exec
	v_mov_b32_e32 v5, v11
	v_mad_u64_u32 v[11:12], s[2:3], s25, v1, v[5:6]
	v_lshlrev_b64 v[10:11], 2, v[10:11]
	v_add_co_u32_e64 v10, s[2:3], v2, v10
	v_addc_co_u32_e64 v11, s[2:3], v3, v11, s[2:3]
	global_load_dword v5, v[10:11], off
	s_waitcnt vmcnt(0)
	v_xor_b32_e32 v5, 0x80000000, v5
	s_or_b64 exec, exec, s[12:13]
	s_and_saveexec_b64 s[2:3], s[8:9]
	s_cbranch_execnz .LBB20_31
	s_branch .LBB20_32
.LBB20_1162:
	v_or_b32_e32 v10, v5, v0
	v_cmp_gt_u32_e64 s[2:3], 64, v10
	s_and_b64 s[8:9], s[2:3], exec
	s_or_saveexec_b64 s[12:13], s[12:13]
	v_mov_b32_e32 v10, 0
	s_xor_b64 exec, exec, s[12:13]
	s_cbranch_execz .LBB20_34
.LBB20_1163:
	v_mad_u64_u32 v[10:11], s[2:3], s24, v5, 0
	s_or_b64 s[8:9], s[8:9], exec
	v_mad_u64_u32 v[11:12], s[2:3], s25, v5, v[11:12]
	v_lshlrev_b64 v[10:11], 2, v[10:11]
	v_add_co_u32_e64 v10, s[2:3], v2, v10
	v_addc_co_u32_e64 v11, s[2:3], v3, v11, s[2:3]
	global_load_dword v10, v[10:11], off
	s_waitcnt vmcnt(0)
	v_xor_b32_e32 v10, 0x80000000, v10
	s_or_b64 exec, exec, s[12:13]
	s_and_saveexec_b64 s[2:3], s[8:9]
	s_cbranch_execnz .LBB20_35
	s_branch .LBB20_36
.LBB20_1164:
	v_or_b32_e32 v10, v5, v0
	v_cmp_gt_u32_e64 s[2:3], 64, v10
	s_and_b64 s[8:9], s[2:3], exec
	s_or_saveexec_b64 s[12:13], s[12:13]
	v_mov_b32_e32 v10, 0
	s_xor_b64 exec, exec, s[12:13]
	s_cbranch_execz .LBB20_38
.LBB20_1165:
	v_mad_u64_u32 v[10:11], s[2:3], s24, v5, 0
	s_or_b64 s[8:9], s[8:9], exec
	v_mad_u64_u32 v[11:12], s[2:3], s25, v5, v[11:12]
	v_lshlrev_b64 v[10:11], 2, v[10:11]
	v_add_co_u32_e64 v10, s[2:3], v2, v10
	v_addc_co_u32_e64 v11, s[2:3], v3, v11, s[2:3]
	global_load_dword v10, v[10:11], off
	s_waitcnt vmcnt(0)
	v_xor_b32_e32 v10, 0x80000000, v10
	s_or_b64 exec, exec, s[12:13]
	s_and_saveexec_b64 s[2:3], s[8:9]
	s_cbranch_execnz .LBB20_39
	s_branch .LBB20_40
.LBB20_1166:
	s_or_b64 exec, exec, s[10:11]
	s_and_b64 vcc, exec, s[8:9]
	s_cbranch_vccnz .LBB20_1129
.LBB20_1167:
	v_mov_b32_e32 v11, v1
	s_and_saveexec_b64 s[2:3], s[6:7]
	s_cbranch_execnz .LBB20_1150
	s_branch .LBB20_1151
.LBB20_1168:
	s_andn2_b64 s[4:5], s[6:7], exec
	s_and_b64 s[6:7], s[2:3], exec
	s_or_b64 s[6:7], s[4:5], s[6:7]
	s_cbranch_execnz .LBB20_1149
.LBB20_1169:
	v_cmp_gt_i32_e32 vcc, s86, v0
	s_and_b64 s[2:3], s[2:3], vcc
	s_andn2_b64 s[4:5], s[6:7], exec
	s_and_b64 s[2:3], s[2:3], exec
	s_or_b64 s[6:7], s[4:5], s[2:3]
	s_and_saveexec_b64 s[2:3], s[6:7]
	s_cbranch_execnz .LBB20_1150
	s_branch .LBB20_1151
.LBB20_1170:
	v_lshlrev_b32_e32 v16, 2, v14
	v_sub_u32_e32 v16, v15, v16
	v_lshl_add_u32 v16, v13, 2, v16
	ds_read_b32 v16, v16 offset:272
	ds_read_b32 v17, v15 offset:4
	s_waitcnt lgkmcnt(0)
	v_fmac_f32_e32 v12, v16, v17
	s_or_b64 exec, exec, s[14:15]
	v_cmp_gt_u32_e64 s[10:11], 8, v4
	s_and_saveexec_b64 s[14:15], s[10:11]
	s_cbranch_execz .LBB20_68
.LBB20_1171:
	ds_read_b32 v16, v10 offset:528
	ds_read_b32 v15, v15 offset:8
	s_waitcnt lgkmcnt(0)
	v_fmac_f32_e32 v12, v16, v15
	s_or_b64 exec, exec, s[14:15]
	v_cmp_gt_u32_e64 s[10:11], 4, v4
	s_and_saveexec_b64 s[14:15], s[10:11]
	s_cbranch_execnz .LBB20_69
	s_branch .LBB20_70
.LBB20_1172:
	v_lshlrev_b32_e32 v21, 2, v19
	v_sub_u32_e32 v21, v20, v21
	v_lshl_add_u32 v21, v18, 2, v21
	ds_read_b32 v21, v21 offset:288
	ds_read_b32 v22, v20 offset:4
	s_waitcnt lgkmcnt(0)
	v_fmac_f32_e32 v17, v21, v22
	s_or_b64 exec, exec, s[16:17]
	v_cmp_gt_u32_e64 s[14:15], 48, v4
	s_and_saveexec_b64 s[16:17], s[14:15]
	s_cbranch_execz .LBB20_110
.LBB20_1173:
	v_lshlrev_b32_e32 v21, 2, v19
	v_sub_u32_e32 v21, v20, v21
	v_lshl_add_u32 v21, v18, 2, v21
	ds_read_b32 v21, v21 offset:544
	ds_read_b32 v22, v20 offset:8
	s_waitcnt lgkmcnt(0)
	v_fmac_f32_e32 v17, v21, v22
	s_or_b64 exec, exec, s[16:17]
	v_cmp_gt_u32_e64 s[14:15], 40, v4
	s_and_saveexec_b64 s[16:17], s[14:15]
	s_cbranch_execz .LBB20_111
.LBB20_1174:
	v_lshlrev_b32_e32 v21, 2, v19
	v_sub_u32_e32 v21, v20, v21
	v_lshl_add_u32 v21, v18, 2, v21
	ds_read_b32 v21, v21 offset:800
	ds_read_b32 v22, v20 offset:12
	s_waitcnt lgkmcnt(0)
	v_fmac_f32_e32 v17, v21, v22
	s_or_b64 exec, exec, s[16:17]
	v_cmp_gt_u32_e64 s[14:15], 32, v4
	s_and_saveexec_b64 s[16:17], s[14:15]
	s_cbranch_execz .LBB20_112
.LBB20_1175:
	ds_read_b32 v21, v15 offset:1056
	ds_read_b32 v22, v20 offset:16
	s_waitcnt lgkmcnt(0)
	v_fmac_f32_e32 v17, v21, v22
	s_or_b64 exec, exec, s[16:17]
	v_cmp_gt_u32_e64 s[14:15], 24, v4
	s_and_saveexec_b64 s[16:17], s[14:15]
	s_cbranch_execz .LBB20_113
.LBB20_1176:
	v_lshlrev_b32_e32 v21, 2, v19
	v_sub_u32_e32 v21, v20, v21
	v_lshl_add_u32 v21, v18, 2, v21
	ds_read_b32 v21, v21 offset:1312
	ds_read_b32 v22, v20 offset:20
	s_waitcnt lgkmcnt(0)
	v_fmac_f32_e32 v17, v21, v22
	s_or_b64 exec, exec, s[16:17]
	v_cmp_gt_u32_e64 s[14:15], 16, v4
	s_and_saveexec_b64 s[16:17], s[14:15]
	s_cbranch_execz .LBB20_114
.LBB20_1177:
	ds_read_b32 v21, v15 offset:1568
	ds_read_b32 v20, v20 offset:24
	s_waitcnt lgkmcnt(0)
	v_fmac_f32_e32 v17, v21, v20
	s_or_b64 exec, exec, s[16:17]
	v_cmp_gt_u32_e64 s[14:15], 8, v4
	s_and_saveexec_b64 s[16:17], s[14:15]
	s_cbranch_execnz .LBB20_115
	s_branch .LBB20_116
.LBB20_1178:
	v_lshlrev_b32_e32 v22, 2, v14
	v_sub_u32_e32 v22, v21, v22
	v_lshl_add_u32 v22, v13, 2, v22
	ds_read_b32 v22, v22 offset:2352
	ds_read_b32 v23, v21 offset:2084
	s_waitcnt lgkmcnt(0)
	v_fmac_f32_e32 v20, v22, v23
	s_or_b64 exec, exec, s[14:15]
	v_cmp_gt_u32_e64 s[10:11], 8, v4
	s_and_saveexec_b64 s[14:15], s[10:11]
	s_cbranch_execz .LBB20_172
.LBB20_1179:
	ds_read_b32 v22, v10 offset:2608
	ds_read_b32 v21, v21 offset:2088
	s_waitcnt lgkmcnt(0)
	v_fmac_f32_e32 v20, v22, v21
	s_or_b64 exec, exec, s[14:15]
	v_cmp_gt_u32_e64 s[10:11], 4, v4
	s_and_saveexec_b64 s[14:15], s[10:11]
	s_cbranch_execnz .LBB20_173
	s_branch .LBB20_174
.LBB20_1180:
	v_lshlrev_b32_e32 v26, 2, v21
	v_lshl_add_u32 v26, v23, 2, v26
	ds_read_b32 v26, v26 offset:2880
	ds_read_b32 v27, v25 offset:44
	s_waitcnt lgkmcnt(0)
	v_fmac_f32_e32 v22, v26, v27
	s_or_b64 exec, exec, s[20:21]
	v_cmp_gt_u32_e64 s[16:17], 64, v4
	s_and_saveexec_b64 s[20:21], s[16:17]
	s_cbranch_execz .LBB20_234
.LBB20_1181:
	ds_read_b32 v26, v20 offset:3136
	ds_read_b32 v27, v25 offset:48
	s_waitcnt lgkmcnt(0)
	v_fmac_f32_e32 v22, v26, v27
	s_or_b64 exec, exec, s[20:21]
	v_cmp_gt_u32_e64 s[16:17], 48, v4
	s_and_saveexec_b64 s[20:21], s[16:17]
	s_cbranch_execz .LBB20_235
.LBB20_1182:
	v_lshlrev_b32_e32 v26, 2, v21
	v_lshl_add_u32 v26, v23, 2, v26
	ds_read_b32 v26, v26 offset:3392
	ds_read_b32 v27, v25 offset:52
	s_waitcnt lgkmcnt(0)
	v_fmac_f32_e32 v22, v26, v27
	s_or_b64 exec, exec, s[20:21]
	v_cmp_gt_u32_e64 s[16:17], 32, v4
	s_and_saveexec_b64 s[20:21], s[16:17]
	s_cbranch_execz .LBB20_236
.LBB20_1183:
	ds_read_b32 v26, v20 offset:3648
	ds_read_b32 v25, v25 offset:56
	s_waitcnt lgkmcnt(0)
	v_fmac_f32_e32 v22, v26, v25
	s_or_b64 exec, exec, s[20:21]
	v_cmp_gt_u32_e64 s[16:17], 16, v4
	s_and_saveexec_b64 s[20:21], s[16:17]
	s_cbranch_execnz .LBB20_237
	s_branch .LBB20_238
.LBB20_1184:
	v_lshlrev_b32_e32 v27, 2, v14
	v_sub_u32_e32 v27, v26, v27
	v_lshl_add_u32 v27, v13, 2, v27
	ds_read_b32 v27, v27 offset:4432
	ds_read_b32 v28, v26 offset:4164
	s_waitcnt lgkmcnt(0)
	v_fmac_f32_e32 v25, v27, v28
	s_or_b64 exec, exec, s[20:21]
	v_cmp_gt_u32_e64 s[14:15], 8, v4
	s_and_saveexec_b64 s[20:21], s[14:15]
	s_cbranch_execz .LBB20_326
.LBB20_1185:
	ds_read_b32 v27, v10 offset:4688
	ds_read_b32 v26, v26 offset:4168
	s_waitcnt lgkmcnt(0)
	v_fmac_f32_e32 v25, v27, v26
	s_or_b64 exec, exec, s[20:21]
	v_cmp_gt_u32_e64 s[14:15], 4, v4
	s_and_saveexec_b64 s[20:21], s[14:15]
	s_cbranch_execnz .LBB20_327
	s_branch .LBB20_328
.LBB20_1186:
	v_lshlrev_b32_e32 v27, 2, v19
	v_sub_u32_e32 v27, v26, v27
	v_lshl_add_u32 v27, v18, 2, v27
	ds_read_b32 v27, v27 offset:4448
	ds_read_b32 v28, v26 offset:4164
	s_waitcnt lgkmcnt(0)
	v_fmac_f32_e32 v25, v27, v28
	s_or_b64 exec, exec, s[20:21]
	v_cmp_gt_u32_e64 s[14:15], 48, v4
	s_and_saveexec_b64 s[20:21], s[14:15]
	s_cbranch_execz .LBB20_368
.LBB20_1187:
	v_lshlrev_b32_e32 v27, 2, v19
	v_sub_u32_e32 v27, v26, v27
	v_lshl_add_u32 v27, v18, 2, v27
	ds_read_b32 v27, v27 offset:4704
	ds_read_b32 v28, v26 offset:4168
	s_waitcnt lgkmcnt(0)
	v_fmac_f32_e32 v25, v27, v28
	s_or_b64 exec, exec, s[20:21]
	v_cmp_gt_u32_e64 s[14:15], 40, v4
	s_and_saveexec_b64 s[20:21], s[14:15]
	s_cbranch_execz .LBB20_369
.LBB20_1188:
	v_lshlrev_b32_e32 v27, 2, v19
	v_sub_u32_e32 v27, v26, v27
	v_lshl_add_u32 v27, v18, 2, v27
	ds_read_b32 v27, v27 offset:4960
	ds_read_b32 v28, v26 offset:4172
	s_waitcnt lgkmcnt(0)
	v_fmac_f32_e32 v25, v27, v28
	s_or_b64 exec, exec, s[20:21]
	v_cmp_gt_u32_e64 s[14:15], 32, v4
	s_and_saveexec_b64 s[20:21], s[14:15]
	s_cbranch_execz .LBB20_370
.LBB20_1189:
	ds_read_b32 v27, v15 offset:5216
	ds_read_b32 v28, v26 offset:4176
	s_waitcnt lgkmcnt(0)
	v_fmac_f32_e32 v25, v27, v28
	s_or_b64 exec, exec, s[20:21]
	v_cmp_gt_u32_e64 s[14:15], 24, v4
	s_and_saveexec_b64 s[20:21], s[14:15]
	s_cbranch_execz .LBB20_371
.LBB20_1190:
	v_lshlrev_b32_e32 v27, 2, v19
	v_sub_u32_e32 v27, v26, v27
	v_lshl_add_u32 v27, v18, 2, v27
	ds_read_b32 v27, v27 offset:5472
	ds_read_b32 v28, v26 offset:4180
	s_waitcnt lgkmcnt(0)
	v_fmac_f32_e32 v25, v27, v28
	s_or_b64 exec, exec, s[20:21]
	v_cmp_gt_u32_e64 s[14:15], 16, v4
	s_and_saveexec_b64 s[20:21], s[14:15]
	s_cbranch_execz .LBB20_372
.LBB20_1191:
	ds_read_b32 v27, v15 offset:5728
	ds_read_b32 v26, v26 offset:4184
	s_waitcnt lgkmcnt(0)
	v_fmac_f32_e32 v25, v27, v26
	s_or_b64 exec, exec, s[20:21]
	v_cmp_gt_u32_e64 s[14:15], 8, v4
	s_and_saveexec_b64 s[20:21], s[14:15]
	s_cbranch_execnz .LBB20_373
	s_branch .LBB20_374
.LBB20_1192:
	v_lshlrev_b32_e32 v27, 2, v14
	v_sub_u32_e32 v27, v26, v27
	v_lshl_add_u32 v27, v13, 2, v27
	ds_read_b32 v27, v27 offset:6512
	ds_read_b32 v28, v26 offset:6244
	s_waitcnt lgkmcnt(0)
	v_fmac_f32_e32 v25, v27, v28
	s_or_b64 exec, exec, s[20:21]
	v_cmp_gt_u32_e64 s[14:15], 8, v4
	s_and_saveexec_b64 s[20:21], s[14:15]
	s_cbranch_execz .LBB20_430
.LBB20_1193:
	ds_read_b32 v27, v10 offset:6768
	ds_read_b32 v26, v26 offset:6248
	s_waitcnt lgkmcnt(0)
	v_fmac_f32_e32 v25, v27, v26
	s_or_b64 exec, exec, s[20:21]
	v_cmp_gt_u32_e64 s[14:15], 4, v4
	s_and_saveexec_b64 s[20:21], s[14:15]
	s_cbranch_execnz .LBB20_431
	s_branch .LBB20_432
.LBB20_1194:
	ds_read_b32 v31, v25 offset:7552
	ds_read_b32 v32, v30 offset:116
	s_waitcnt lgkmcnt(0)
	v_fmac_f32_e32 v28, v31, v32
	s_or_b64 exec, exec, s[84:85]
	v_cmp_gt_u32_e64 s[20:21], 64, v4
	s_and_saveexec_b64 s[84:85], s[20:21]
	s_cbranch_execz .LBB20_528
.LBB20_1195:
	ds_read_b32 v31, v25 offset:7808
	ds_read_b32 v30, v30 offset:120
	s_waitcnt lgkmcnt(0)
	v_fmac_f32_e32 v28, v31, v30
	s_or_b64 exec, exec, s[84:85]
	v_cmp_gt_u32_e64 s[20:21], 32, v4
	s_and_saveexec_b64 s[84:85], s[20:21]
	s_cbranch_execnz .LBB20_529
	s_branch .LBB20_530
.LBB20_1196:
	v_lshlrev_b32_e32 v27, 2, v14
	v_sub_u32_e32 v27, v26, v27
	v_lshl_add_u32 v27, v13, 2, v27
	ds_read_b32 v27, v27 offset:8592
	ds_read_b32 v28, v26 offset:8324
	s_waitcnt lgkmcnt(0)
	v_fmac_f32_e32 v25, v27, v28
	s_or_b64 exec, exec, s[16:17]
	v_cmp_gt_u32_e64 s[12:13], 8, v4
	s_and_saveexec_b64 s[16:17], s[12:13]
	s_cbranch_execz .LBB20_682
.LBB20_1197:
	ds_read_b32 v27, v10 offset:8848
	ds_read_b32 v26, v26 offset:8328
	s_waitcnt lgkmcnt(0)
	v_fmac_f32_e32 v25, v27, v26
	s_or_b64 exec, exec, s[16:17]
	v_cmp_gt_u32_e64 s[12:13], 4, v4
	s_and_saveexec_b64 s[16:17], s[12:13]
	s_cbranch_execnz .LBB20_683
	s_branch .LBB20_684
.LBB20_1198:
	v_lshlrev_b32_e32 v27, 2, v19
	v_sub_u32_e32 v27, v26, v27
	v_lshl_add_u32 v27, v18, 2, v27
	ds_read_b32 v27, v27 offset:8608
	ds_read_b32 v28, v26 offset:8324
	s_waitcnt lgkmcnt(0)
	v_fmac_f32_e32 v25, v27, v28
	s_or_b64 exec, exec, s[16:17]
	v_cmp_gt_u32_e64 s[12:13], 48, v4
	s_and_saveexec_b64 s[16:17], s[12:13]
	s_cbranch_execz .LBB20_724
.LBB20_1199:
	v_lshlrev_b32_e32 v27, 2, v19
	v_sub_u32_e32 v27, v26, v27
	v_lshl_add_u32 v27, v18, 2, v27
	ds_read_b32 v27, v27 offset:8864
	ds_read_b32 v28, v26 offset:8328
	s_waitcnt lgkmcnt(0)
	v_fmac_f32_e32 v25, v27, v28
	s_or_b64 exec, exec, s[16:17]
	v_cmp_gt_u32_e64 s[12:13], 40, v4
	s_and_saveexec_b64 s[16:17], s[12:13]
	s_cbranch_execz .LBB20_725
.LBB20_1200:
	v_lshlrev_b32_e32 v27, 2, v19
	v_sub_u32_e32 v27, v26, v27
	v_lshl_add_u32 v27, v18, 2, v27
	ds_read_b32 v27, v27 offset:9120
	ds_read_b32 v28, v26 offset:8332
	s_waitcnt lgkmcnt(0)
	v_fmac_f32_e32 v25, v27, v28
	s_or_b64 exec, exec, s[16:17]
	v_cmp_gt_u32_e64 s[12:13], 32, v4
	s_and_saveexec_b64 s[16:17], s[12:13]
	s_cbranch_execz .LBB20_726
.LBB20_1201:
	ds_read_b32 v27, v15 offset:9376
	ds_read_b32 v28, v26 offset:8336
	s_waitcnt lgkmcnt(0)
	v_fmac_f32_e32 v25, v27, v28
	s_or_b64 exec, exec, s[16:17]
	v_cmp_gt_u32_e64 s[12:13], 24, v4
	s_and_saveexec_b64 s[16:17], s[12:13]
	s_cbranch_execz .LBB20_727
.LBB20_1202:
	v_lshlrev_b32_e32 v27, 2, v19
	v_sub_u32_e32 v27, v26, v27
	v_lshl_add_u32 v27, v18, 2, v27
	ds_read_b32 v27, v27 offset:9632
	ds_read_b32 v28, v26 offset:8340
	s_waitcnt lgkmcnt(0)
	v_fmac_f32_e32 v25, v27, v28
	s_or_b64 exec, exec, s[16:17]
	v_cmp_gt_u32_e64 s[12:13], 16, v4
	s_and_saveexec_b64 s[16:17], s[12:13]
	s_cbranch_execz .LBB20_728
.LBB20_1203:
	ds_read_b32 v27, v15 offset:9888
	ds_read_b32 v26, v26 offset:8344
	s_waitcnt lgkmcnt(0)
	v_fmac_f32_e32 v25, v27, v26
	s_or_b64 exec, exec, s[16:17]
	v_cmp_gt_u32_e64 s[12:13], 8, v4
	s_and_saveexec_b64 s[16:17], s[12:13]
	s_cbranch_execnz .LBB20_729
	s_branch .LBB20_730
.LBB20_1204:
	v_lshlrev_b32_e32 v27, 2, v14
	v_sub_u32_e32 v27, v26, v27
	v_lshl_add_u32 v27, v13, 2, v27
	ds_read_b32 v27, v27 offset:10672
	ds_read_b32 v28, v26 offset:10404
	s_waitcnt lgkmcnt(0)
	v_fmac_f32_e32 v25, v27, v28
	s_or_b64 exec, exec, s[16:17]
	v_cmp_gt_u32_e64 s[12:13], 8, v4
	s_and_saveexec_b64 s[16:17], s[12:13]
	s_cbranch_execz .LBB20_786
.LBB20_1205:
	ds_read_b32 v27, v10 offset:10928
	ds_read_b32 v26, v26 offset:10408
	s_waitcnt lgkmcnt(0)
	v_fmac_f32_e32 v25, v27, v26
	s_or_b64 exec, exec, s[16:17]
	v_cmp_gt_u32_e64 s[12:13], 4, v4
	s_and_saveexec_b64 s[16:17], s[12:13]
	s_cbranch_execnz .LBB20_787
	s_branch .LBB20_788
.LBB20_1206:
	v_lshlrev_b32_e32 v24, 2, v21
	v_lshl_add_u32 v24, v23, 2, v24
	ds_read_b32 v24, v24 offset:11200
	ds_read_b32 v27, v26 offset:8364
	s_waitcnt lgkmcnt(0)
	v_fmac_f32_e32 v25, v24, v27
	s_or_b64 exec, exec, s[16:17]
	v_cmp_gt_u32_e64 s[12:13], 64, v4
	s_and_saveexec_b64 s[16:17], s[12:13]
	s_cbranch_execz .LBB20_848
.LBB20_1207:
	ds_read_b32 v24, v20 offset:11456
	ds_read_b32 v27, v26 offset:8368
	s_waitcnt lgkmcnt(0)
	v_fmac_f32_e32 v25, v24, v27
	s_or_b64 exec, exec, s[16:17]
	v_cmp_gt_u32_e64 s[12:13], 48, v4
	s_and_saveexec_b64 s[16:17], s[12:13]
	s_cbranch_execz .LBB20_849
.LBB20_1208:
	v_lshlrev_b32_e32 v24, 2, v21
	v_lshl_add_u32 v23, v23, 2, v24
	ds_read_b32 v23, v23 offset:11712
	ds_read_b32 v24, v26 offset:8372
	s_waitcnt lgkmcnt(0)
	v_fmac_f32_e32 v25, v23, v24
	s_or_b64 exec, exec, s[16:17]
	v_cmp_gt_u32_e64 s[12:13], 32, v4
	s_and_saveexec_b64 s[16:17], s[12:13]
	s_cbranch_execz .LBB20_850
.LBB20_1209:
	ds_read_b32 v23, v20 offset:11968
	ds_read_b32 v24, v26 offset:8376
	s_waitcnt lgkmcnt(0)
	v_fmac_f32_e32 v25, v23, v24
	s_or_b64 exec, exec, s[16:17]
	v_cmp_gt_u32_e64 s[12:13], 16, v4
	s_and_saveexec_b64 s[16:17], s[12:13]
	s_cbranch_execnz .LBB20_851
	s_branch .LBB20_852
.LBB20_1210:
	v_lshlrev_b32_e32 v22, 2, v14
	v_sub_u32_e32 v22, v21, v22
	v_lshl_add_u32 v22, v13, 2, v22
	ds_read_b32 v22, v22 offset:12752
	ds_read_b32 v23, v21 offset:12484
	s_waitcnt lgkmcnt(0)
	v_fmac_f32_e32 v20, v22, v23
	s_or_b64 exec, exec, s[12:13]
	v_cmp_gt_u32_e64 s[10:11], 8, v4
	s_and_saveexec_b64 s[12:13], s[10:11]
	s_cbranch_execz .LBB20_940
.LBB20_1211:
	ds_read_b32 v22, v10 offset:13008
	ds_read_b32 v21, v21 offset:12488
	s_waitcnt lgkmcnt(0)
	v_fmac_f32_e32 v20, v22, v21
	s_or_b64 exec, exec, s[12:13]
	v_cmp_gt_u32_e64 s[10:11], 4, v4
	s_and_saveexec_b64 s[12:13], s[10:11]
	s_cbranch_execnz .LBB20_941
	s_branch .LBB20_942
.LBB20_1212:
	v_lshlrev_b32_e32 v22, 2, v19
	v_sub_u32_e32 v22, v21, v22
	v_lshl_add_u32 v22, v18, 2, v22
	ds_read_b32 v22, v22 offset:12768
	ds_read_b32 v23, v21 offset:12484
	s_waitcnt lgkmcnt(0)
	v_fmac_f32_e32 v20, v22, v23
	s_or_b64 exec, exec, s[12:13]
	v_cmp_gt_u32_e64 s[10:11], 48, v4
	s_and_saveexec_b64 s[12:13], s[10:11]
	s_cbranch_execz .LBB20_982
.LBB20_1213:
	v_lshlrev_b32_e32 v22, 2, v19
	v_sub_u32_e32 v22, v21, v22
	v_lshl_add_u32 v22, v18, 2, v22
	ds_read_b32 v22, v22 offset:13024
	ds_read_b32 v23, v21 offset:12488
	s_waitcnt lgkmcnt(0)
	v_fmac_f32_e32 v20, v22, v23
	s_or_b64 exec, exec, s[12:13]
	v_cmp_gt_u32_e64 s[10:11], 40, v4
	s_and_saveexec_b64 s[12:13], s[10:11]
	s_cbranch_execz .LBB20_983
.LBB20_1214:
	v_lshlrev_b32_e32 v22, 2, v19
	v_sub_u32_e32 v22, v21, v22
	v_lshl_add_u32 v22, v18, 2, v22
	ds_read_b32 v22, v22 offset:13280
	ds_read_b32 v23, v21 offset:12492
	s_waitcnt lgkmcnt(0)
	v_fmac_f32_e32 v20, v22, v23
	s_or_b64 exec, exec, s[12:13]
	v_cmp_gt_u32_e64 s[10:11], 32, v4
	s_and_saveexec_b64 s[12:13], s[10:11]
	s_cbranch_execz .LBB20_984
.LBB20_1215:
	ds_read_b32 v22, v15 offset:13536
	ds_read_b32 v23, v21 offset:12496
	s_waitcnt lgkmcnt(0)
	v_fmac_f32_e32 v20, v22, v23
	s_or_b64 exec, exec, s[12:13]
	v_cmp_gt_u32_e64 s[10:11], 24, v4
	s_and_saveexec_b64 s[12:13], s[10:11]
	s_cbranch_execz .LBB20_985
.LBB20_1216:
	v_lshlrev_b32_e32 v19, 2, v19
	v_sub_u32_e32 v19, v21, v19
	v_lshl_add_u32 v18, v18, 2, v19
	ds_read_b32 v18, v18 offset:13792
	ds_read_b32 v19, v21 offset:12500
	s_waitcnt lgkmcnt(0)
	v_fmac_f32_e32 v20, v18, v19
	s_or_b64 exec, exec, s[12:13]
	v_cmp_gt_u32_e64 s[10:11], 16, v4
	s_and_saveexec_b64 s[12:13], s[10:11]
	s_cbranch_execz .LBB20_986
.LBB20_1217:
	ds_read_b32 v18, v15 offset:14048
	ds_read_b32 v19, v21 offset:12504
	s_waitcnt lgkmcnt(0)
	v_fmac_f32_e32 v20, v18, v19
	s_or_b64 exec, exec, s[12:13]
	v_cmp_gt_u32_e64 s[10:11], 8, v4
	s_and_saveexec_b64 s[12:13], s[10:11]
	s_cbranch_execnz .LBB20_987
	s_branch .LBB20_988
.LBB20_1218:
	v_lshlrev_b32_e32 v14, 2, v14
	v_sub_u32_e32 v14, v16, v14
	v_lshl_add_u32 v13, v13, 2, v14
	ds_read_b32 v13, v13 offset:14832
	ds_read_b32 v14, v16 offset:14564
	s_waitcnt lgkmcnt(0)
	v_fmac_f32_e32 v15, v13, v14
	s_or_b64 exec, exec, s[10:11]
	v_cmp_gt_u32_e64 s[8:9], 8, v4
	s_and_saveexec_b64 s[10:11], s[8:9]
	s_cbranch_execz .LBB20_1044
.LBB20_1219:
	ds_read_b32 v13, v10 offset:15088
	ds_read_b32 v14, v16 offset:14568
	s_waitcnt lgkmcnt(0)
	v_fmac_f32_e32 v15, v13, v14
	s_or_b64 exec, exec, s[10:11]
	v_cmp_gt_u32_e64 s[8:9], 4, v4
	s_and_saveexec_b64 s[10:11], s[8:9]
	s_cbranch_execnz .LBB20_1045
	s_branch .LBB20_1046
	.section	.rodata,"a",@progbits
	.p2align	6, 0x0
	.amdhsa_kernel _ZL19rocblas_trsv_deviceILi64ELi16ELb1ELb1ELb0ELb1EffPKfPfEviT7_lllT6_T8_lllPii
		.amdhsa_group_segment_fixed_size 20740
		.amdhsa_private_segment_fixed_size 0
		.amdhsa_kernarg_size 352
		.amdhsa_user_sgpr_count 6
		.amdhsa_user_sgpr_private_segment_buffer 1
		.amdhsa_user_sgpr_dispatch_ptr 0
		.amdhsa_user_sgpr_queue_ptr 0
		.amdhsa_user_sgpr_kernarg_segment_ptr 1
		.amdhsa_user_sgpr_dispatch_id 0
		.amdhsa_user_sgpr_flat_scratch_init 0
		.amdhsa_user_sgpr_private_segment_size 0
		.amdhsa_uses_dynamic_stack 0
		.amdhsa_system_sgpr_private_segment_wavefront_offset 0
		.amdhsa_system_sgpr_workgroup_id_x 1
		.amdhsa_system_sgpr_workgroup_id_y 0
		.amdhsa_system_sgpr_workgroup_id_z 1
		.amdhsa_system_sgpr_workgroup_info 0
		.amdhsa_system_vgpr_workitem_id 1
		.amdhsa_next_free_vgpr 34
		.amdhsa_next_free_sgpr 96
		.amdhsa_reserve_vcc 1
		.amdhsa_reserve_flat_scratch 0
		.amdhsa_float_round_mode_32 0
		.amdhsa_float_round_mode_16_64 0
		.amdhsa_float_denorm_mode_32 3
		.amdhsa_float_denorm_mode_16_64 3
		.amdhsa_dx10_clamp 1
		.amdhsa_ieee_mode 1
		.amdhsa_fp16_overflow 0
		.amdhsa_exception_fp_ieee_invalid_op 0
		.amdhsa_exception_fp_denorm_src 0
		.amdhsa_exception_fp_ieee_div_zero 0
		.amdhsa_exception_fp_ieee_overflow 0
		.amdhsa_exception_fp_ieee_underflow 0
		.amdhsa_exception_fp_ieee_inexact 0
		.amdhsa_exception_int_div_zero 0
	.end_amdhsa_kernel
	.section	.text._ZL19rocblas_trsv_deviceILi64ELi16ELb1ELb1ELb0ELb1EffPKfPfEviT7_lllT6_T8_lllPii,"axG",@progbits,_ZL19rocblas_trsv_deviceILi64ELi16ELb1ELb1ELb0ELb1EffPKfPfEviT7_lllT6_T8_lllPii,comdat
.Lfunc_end20:
	.size	_ZL19rocblas_trsv_deviceILi64ELi16ELb1ELb1ELb0ELb1EffPKfPfEviT7_lllT6_T8_lllPii, .Lfunc_end20-_ZL19rocblas_trsv_deviceILi64ELi16ELb1ELb1ELb0ELb1EffPKfPfEviT7_lllT6_T8_lllPii
                                        ; -- End function
	.set _ZL19rocblas_trsv_deviceILi64ELi16ELb1ELb1ELb0ELb1EffPKfPfEviT7_lllT6_T8_lllPii.num_vgpr, 34
	.set _ZL19rocblas_trsv_deviceILi64ELi16ELb1ELb1ELb0ELb1EffPKfPfEviT7_lllT6_T8_lllPii.num_agpr, 0
	.set _ZL19rocblas_trsv_deviceILi64ELi16ELb1ELb1ELb0ELb1EffPKfPfEviT7_lllT6_T8_lllPii.numbered_sgpr, 96
	.set _ZL19rocblas_trsv_deviceILi64ELi16ELb1ELb1ELb0ELb1EffPKfPfEviT7_lllT6_T8_lllPii.num_named_barrier, 0
	.set _ZL19rocblas_trsv_deviceILi64ELi16ELb1ELb1ELb0ELb1EffPKfPfEviT7_lllT6_T8_lllPii.private_seg_size, 0
	.set _ZL19rocblas_trsv_deviceILi64ELi16ELb1ELb1ELb0ELb1EffPKfPfEviT7_lllT6_T8_lllPii.uses_vcc, 1
	.set _ZL19rocblas_trsv_deviceILi64ELi16ELb1ELb1ELb0ELb1EffPKfPfEviT7_lllT6_T8_lllPii.uses_flat_scratch, 0
	.set _ZL19rocblas_trsv_deviceILi64ELi16ELb1ELb1ELb0ELb1EffPKfPfEviT7_lllT6_T8_lllPii.has_dyn_sized_stack, 0
	.set _ZL19rocblas_trsv_deviceILi64ELi16ELb1ELb1ELb0ELb1EffPKfPfEviT7_lllT6_T8_lllPii.has_recursion, 0
	.set _ZL19rocblas_trsv_deviceILi64ELi16ELb1ELb1ELb0ELb1EffPKfPfEviT7_lllT6_T8_lllPii.has_indirect_call, 0
	.section	.AMDGPU.csdata,"",@progbits
; Kernel info:
; codeLenInByte = 33768
; TotalNumSgprs: 100
; NumVgprs: 34
; ScratchSize: 0
; MemoryBound: 0
; FloatMode: 240
; IeeeMode: 1
; LDSByteSize: 20740 bytes/workgroup (compile time only)
; SGPRBlocks: 12
; VGPRBlocks: 8
; NumSGPRsForWavesPerEU: 100
; NumVGPRsForWavesPerEU: 34
; Occupancy: 7
; WaveLimiterHint : 0
; COMPUTE_PGM_RSRC2:SCRATCH_EN: 0
; COMPUTE_PGM_RSRC2:USER_SGPR: 6
; COMPUTE_PGM_RSRC2:TRAP_HANDLER: 0
; COMPUTE_PGM_RSRC2:TGID_X_EN: 1
; COMPUTE_PGM_RSRC2:TGID_Y_EN: 0
; COMPUTE_PGM_RSRC2:TGID_Z_EN: 1
; COMPUTE_PGM_RSRC2:TIDIG_COMP_CNT: 1
	.section	.text._ZL19rocblas_trsv_deviceILi64ELi16ELb1ELb1ELb1ELb1EffPKfPfEviT7_lllT6_T8_lllPii,"axG",@progbits,_ZL19rocblas_trsv_deviceILi64ELi16ELb1ELb1ELb1ELb1EffPKfPfEviT7_lllT6_T8_lllPii,comdat
	.globl	_ZL19rocblas_trsv_deviceILi64ELi16ELb1ELb1ELb1ELb1EffPKfPfEviT7_lllT6_T8_lllPii ; -- Begin function _ZL19rocblas_trsv_deviceILi64ELi16ELb1ELb1ELb1ELb1EffPKfPfEviT7_lllT6_T8_lllPii
	.p2align	8
	.type	_ZL19rocblas_trsv_deviceILi64ELi16ELb1ELb1ELb1ELb1EffPKfPfEviT7_lllT6_T8_lllPii,@function
_ZL19rocblas_trsv_deviceILi64ELi16ELb1ELb1ELb1ELb1EffPKfPfEviT7_lllT6_T8_lllPii: ; @_ZL19rocblas_trsv_deviceILi64ELi16ELb1ELb1ELb1ELb1EffPKfPfEviT7_lllT6_T8_lllPii
; %bb.0:
	s_load_dwordx8 s[20:27], s[4:5], 0x8
	s_load_dword s30, s[4:5], 0x0
	s_mov_b32 s28, s7
	s_mov_b32 s29, 0
	s_load_dword s89, s[4:5], 0x6c
	s_waitcnt lgkmcnt(0)
	s_mul_i32 s0, s27, s7
	s_mul_hi_u32 s1, s26, s7
	s_add_i32 s1, s1, s0
	s_mul_i32 s0, s26, s7
	s_load_dword s7, s[4:5], 0x60
	s_lshl_b64 s[0:1], s[0:1], 2
	s_add_u32 s2, s20, s0
	s_addc_u32 s3, s21, s1
	s_lshl_b64 s[0:1], s[22:23], 2
	s_add_u32 s87, s2, s0
	s_addc_u32 s88, s3, s1
	s_waitcnt lgkmcnt(0)
	s_add_i32 s7, s7, -1
	s_sub_i32 s33, s7, s6
	s_cmp_eq_u32 s6, 0
	s_cbranch_scc1 .LBB21_10
; %bb.1:
	s_lshl_b32 s2, s33, 6
	v_add_u32_e32 v6, s2, v0
	v_ashrrev_i32_e32 v2, 31, v6
	v_mul_lo_u32 v7, s24, v2
	v_mul_lo_u32 v8, s25, v6
	v_mad_u64_u32 v[4:5], s[0:1], s24, v6, 0
	v_add3_u32 v2, v1, s2, 64
	v_ashrrev_i32_e32 v3, 31, v2
	v_add3_u32 v5, v5, v7, v8
	v_lshlrev_b64 v[4:5], 2, v[4:5]
	v_cmp_gt_i32_e32 vcc, s30, v6
	v_mov_b32_e32 v6, s88
	v_add_co_u32_e64 v7, s[0:1], s87, v4
	v_lshlrev_b64 v[3:4], 2, v[2:3]
	v_addc_co_u32_e64 v5, s[0:1], v6, v5, s[0:1]
	v_add_co_u32_e64 v3, s[0:1], v7, v3
	v_addc_co_u32_e64 v4, s[0:1], v5, v4, s[0:1]
	v_cmp_gt_i32_e64 s[0:1], s30, v2
	s_and_b64 s[2:3], s[0:1], vcc
	v_mov_b32_e32 v6, 0
	v_mov_b32_e32 v7, 0
	s_barrier
	s_and_saveexec_b64 s[0:1], s[2:3]
	s_cbranch_execz .LBB21_3
; %bb.2:
	global_load_dword v7, v[3:4], off
.LBB21_3:
	s_or_b64 exec, exec, s[0:1]
	v_add_u32_e32 v5, 16, v2
	v_cmp_gt_i32_e64 s[0:1], s30, v5
	s_and_b64 s[2:3], s[0:1], vcc
	s_waitcnt vmcnt(0)
	s_barrier
	s_and_saveexec_b64 s[0:1], s[2:3]
	s_cbranch_execz .LBB21_5
; %bb.4:
	global_load_dword v6, v[3:4], off offset:64
.LBB21_5:
	s_or_b64 exec, exec, s[0:1]
	v_add_u32_e32 v5, 32, v2
	v_cmp_gt_i32_e64 s[0:1], s30, v5
	s_and_b64 s[2:3], s[0:1], vcc
	v_mov_b32_e32 v8, 0
	v_mov_b32_e32 v9, 0
	s_waitcnt vmcnt(0)
	s_barrier
	s_and_saveexec_b64 s[0:1], s[2:3]
	s_cbranch_execz .LBB21_7
; %bb.6:
	global_load_dword v9, v[3:4], off offset:128
.LBB21_7:
	s_or_b64 exec, exec, s[0:1]
	v_add_u32_e32 v2, 48, v2
	v_cmp_gt_i32_e64 s[0:1], s30, v2
	s_and_b64 s[2:3], s[0:1], vcc
	s_waitcnt vmcnt(0)
	s_barrier
	s_and_saveexec_b64 s[0:1], s[2:3]
	s_cbranch_execz .LBB21_9
; %bb.8:
	global_load_dword v8, v[3:4], off offset:192
.LBB21_9:
	s_or_b64 exec, exec, s[0:1]
	s_branch .LBB21_11
.LBB21_10:
                                        ; implicit-def: $vgpr8
                                        ; implicit-def: $vgpr9
                                        ; implicit-def: $vgpr6
                                        ; implicit-def: $vgpr7
.LBB21_11:
	s_ashr_i32 s31, s30, 31
	s_lshr_b32 s0, s31, 26
	s_add_i32 s0, s30, s0
	s_andn2_b32 s0, s0, 63
	s_sub_i32 s86, s30, s0
	s_add_i32 s0, s30, -1
	s_ashr_i32 s1, s0, 31
	s_lshr_b32 s1, s1, 26
	s_add_i32 s0, s0, s1
	s_ashr_i32 s0, s0, 6
	s_cmp_eq_u32 s0, s33
	s_cselect_b64 s[0:1], -1, 0
	s_cmp_lg_u32 s86, 0
	s_cselect_b64 s[2:3], -1, 0
	s_and_b64 s[22:23], s[2:3], s[0:1]
	s_cmp_lt_i32 s6, 5
	s_cselect_b64 s[2:3], -1, 0
	s_mov_b64 s[12:13], -1
	s_or_b64 s[0:1], s[2:3], s[22:23]
	v_lshlrev_b32_e32 v4, 6, v0
	s_and_b64 vcc, exec, s[22:23]
	v_cmp_le_u32_e64 s[8:9], v0, v1
	s_cbranch_vccnz .LBB21_27
; %bb.12:
	s_add_u32 s10, s24, 1
	s_addc_u32 s11, s25, 0
	s_lshl_b32 s12, s33, 6
	s_ashr_i32 s13, s12, 31
	s_mul_hi_u32 s14, s10, s12
	s_mul_i32 s13, s10, s13
	s_add_i32 s13, s14, s13
	s_mul_i32 s11, s11, s12
	s_add_i32 s11, s13, s11
	s_mul_i32 s10, s10, s12
	s_lshl_b64 s[10:11], s[10:11], 2
	s_add_u32 s10, s87, s10
	s_addc_u32 s11, s88, s11
	v_lshlrev_b32_e32 v2, 2, v0
	v_mov_b32_e32 v3, s11
	v_add_co_u32_e32 v2, vcc, s10, v2
	v_mov_b32_e32 v5, 0
	v_addc_co_u32_e32 v3, vcc, 0, v3, vcc
	s_mov_b64 s[10:11], 0
	s_and_saveexec_b64 s[12:13], s[8:9]
	s_xor_b64 s[8:9], exec, s[12:13]
	s_cbranch_execnz .LBB21_1154
; %bb.13:
	s_andn2_saveexec_b64 s[8:9], s[8:9]
	s_cbranch_execnz .LBB21_1155
.LBB21_14:
	s_or_b64 exec, exec, s[8:9]
	s_and_saveexec_b64 s[8:9], s[10:11]
.LBB21_15:
	v_add_u32_e32 v10, v1, v4
	v_lshl_add_u32 v11, v1, 6, v0
	v_cndmask_b32_e64 v10, v11, v10, s[2:3]
	v_lshlrev_b32_e32 v10, 2, v10
	ds_write_b32 v10, v5
.LBB21_16:
	s_or_b64 exec, exec, s[8:9]
	v_add_u32_e32 v5, 16, v1
	v_cmp_le_u32_e32 vcc, v0, v5
	s_mov_b64 s[2:3], 0
	s_and_saveexec_b64 s[8:9], vcc
	s_xor_b64 s[8:9], exec, s[8:9]
	s_cbranch_execnz .LBB21_1156
; %bb.17:
	s_or_saveexec_b64 s[8:9], s[8:9]
	v_mov_b32_e32 v10, 0
	s_xor_b64 exec, exec, s[8:9]
	s_cbranch_execnz .LBB21_1157
.LBB21_18:
	s_or_b64 exec, exec, s[8:9]
	s_and_saveexec_b64 s[8:9], s[2:3]
.LBB21_19:
	v_add_u32_e32 v11, v5, v4
	v_lshl_add_u32 v5, v5, 6, v0
	v_cndmask_b32_e64 v5, v5, v11, s[0:1]
	v_lshlrev_b32_e32 v5, 2, v5
	ds_write_b32 v5, v10
.LBB21_20:
	s_or_b64 exec, exec, s[8:9]
	v_add_u32_e32 v5, 32, v1
	v_cmp_le_u32_e32 vcc, v0, v5
	s_mov_b64 s[2:3], 0
	s_and_saveexec_b64 s[8:9], vcc
	s_xor_b64 s[8:9], exec, s[8:9]
	s_cbranch_execnz .LBB21_1158
; %bb.21:
	s_or_saveexec_b64 s[8:9], s[8:9]
	v_mov_b32_e32 v10, 0
	s_xor_b64 exec, exec, s[8:9]
	s_cbranch_execnz .LBB21_1159
.LBB21_22:
	s_or_b64 exec, exec, s[8:9]
	s_and_saveexec_b64 s[8:9], s[2:3]
.LBB21_23:
	v_add_u32_e32 v11, v5, v4
	v_lshl_add_u32 v5, v5, 6, v0
	v_cndmask_b32_e64 v5, v5, v11, s[0:1]
	v_lshlrev_b32_e32 v5, 2, v5
	ds_write_b32 v5, v10
.LBB21_24:
	s_or_b64 exec, exec, s[8:9]
	v_add_u32_e32 v5, 48, v1
	v_add_u32_e32 v10, v5, v4
	v_lshl_add_u32 v11, v5, 6, v0
	v_cmp_le_u32_e32 vcc, v0, v5
	s_mov_b64 s[2:3], -1
	s_mov_b64 s[12:13], 0
	s_mov_b64 s[10:11], 0
	s_and_saveexec_b64 s[8:9], vcc
	s_xor_b64 s[8:9], exec, s[8:9]
; %bb.25:
	v_or_b32_e32 v12, v5, v0
	v_cmp_gt_u32_e32 vcc, 64, v12
	s_and_b64 s[10:11], vcc, exec
	s_xor_b64 s[2:3], exec, -1
; %bb.26:
	s_or_b64 exec, exec, s[8:9]
	v_cndmask_b32_e64 v10, v11, v10, s[0:1]
	s_and_b64 vcc, exec, s[12:13]
	s_cbranch_vccnz .LBB21_28
	s_branch .LBB21_43
.LBB21_27:
	s_mov_b64 s[2:3], 0
	s_mov_b64 s[10:11], 0
                                        ; implicit-def: $vgpr10
                                        ; implicit-def: $vgpr2_vgpr3
                                        ; implicit-def: $vgpr5
	s_and_b64 vcc, exec, s[12:13]
	s_cbranch_vccz .LBB21_43
.LBB21_28:
	s_add_u32 s2, s24, 1
	s_addc_u32 s3, s25, 0
	s_lshl_b32 s8, s33, 6
	s_ashr_i32 s9, s8, 31
	s_mul_hi_u32 s12, s2, s8
	s_mul_i32 s9, s2, s9
	s_add_i32 s9, s12, s9
	s_mul_i32 s3, s3, s8
	s_add_i32 s3, s9, s3
	s_mul_i32 s2, s2, s8
	s_lshl_b64 s[2:3], s[2:3], 2
	s_add_u32 s2, s87, s2
	s_addc_u32 s3, s88, s3
	v_lshlrev_b32_e32 v2, 2, v0
	v_mov_b32_e32 v3, s3
	v_add_co_u32_e64 v2, s[2:3], s2, v2
	v_addc_co_u32_e64 v3, s[2:3], 0, v3, s[2:3]
	v_max_i32_e32 v10, v1, v0
	v_cmp_le_u32_e64 s[2:3], v0, v1
	v_cmp_le_i32_e64 s[8:9], s86, v10
	v_cmp_gt_i32_e32 vcc, s86, v0
	v_mov_b32_e32 v5, 0
	s_or_b64 s[2:3], s[8:9], s[2:3]
	s_mov_b64 s[8:9], 0
	s_and_saveexec_b64 s[12:13], s[2:3]
	s_xor_b64 s[12:13], exec, s[12:13]
	s_cbranch_execnz .LBB21_1160
; %bb.29:
	s_andn2_saveexec_b64 s[12:13], s[12:13]
	s_cbranch_execnz .LBB21_1161
.LBB21_30:
	s_or_b64 exec, exec, s[12:13]
	s_and_saveexec_b64 s[2:3], s[8:9]
.LBB21_31:
	v_lshlrev_b32_e32 v10, 2, v4
	v_lshl_add_u32 v10, v1, 2, v10
	ds_write_b32 v10, v5
.LBB21_32:
	s_or_b64 exec, exec, s[2:3]
	v_add_u32_e32 v5, 16, v1
	v_cmp_gt_u32_e64 s[2:3], v0, v5
	v_cmp_gt_i32_e64 s[8:9], s86, v5
	s_and_b64 s[2:3], s[2:3], s[8:9]
	s_and_b64 s[2:3], s[2:3], vcc
	s_xor_b64 s[2:3], s[2:3], -1
	s_mov_b64 s[8:9], 0
	s_and_saveexec_b64 s[12:13], s[2:3]
	s_xor_b64 s[12:13], exec, s[12:13]
	s_cbranch_execnz .LBB21_1162
; %bb.33:
	s_or_saveexec_b64 s[12:13], s[12:13]
	v_mov_b32_e32 v10, 0
	s_xor_b64 exec, exec, s[12:13]
	s_cbranch_execnz .LBB21_1163
.LBB21_34:
	s_or_b64 exec, exec, s[12:13]
	s_and_saveexec_b64 s[2:3], s[8:9]
.LBB21_35:
	v_add_u32_e32 v11, v5, v4
	v_lshl_add_u32 v5, v5, 6, v0
	v_cndmask_b32_e64 v5, v5, v11, s[0:1]
	v_lshlrev_b32_e32 v5, 2, v5
	ds_write_b32 v5, v10
.LBB21_36:
	s_or_b64 exec, exec, s[2:3]
	v_add_u32_e32 v5, 32, v1
	v_cmp_gt_u32_e64 s[2:3], v0, v5
	v_cmp_gt_i32_e64 s[8:9], s86, v5
	s_and_b64 s[2:3], s[2:3], s[8:9]
	s_and_b64 s[2:3], s[2:3], vcc
	s_xor_b64 s[2:3], s[2:3], -1
	s_mov_b64 s[8:9], 0
	s_and_saveexec_b64 s[12:13], s[2:3]
	s_xor_b64 s[12:13], exec, s[12:13]
	s_cbranch_execnz .LBB21_1164
; %bb.37:
	s_or_saveexec_b64 s[12:13], s[12:13]
	v_mov_b32_e32 v10, 0
	s_xor_b64 exec, exec, s[12:13]
	s_cbranch_execnz .LBB21_1165
.LBB21_38:
	s_or_b64 exec, exec, s[12:13]
	s_and_saveexec_b64 s[2:3], s[8:9]
.LBB21_39:
	v_add_u32_e32 v11, v5, v4
	v_lshl_add_u32 v5, v5, 6, v0
	v_cndmask_b32_e64 v5, v5, v11, s[0:1]
	v_lshlrev_b32_e32 v5, 2, v5
	ds_write_b32 v5, v10
.LBB21_40:
	s_or_b64 exec, exec, s[2:3]
	v_add_u32_e32 v5, 48, v1
	v_cmp_gt_u32_e64 s[2:3], v0, v5
	v_cmp_gt_i32_e64 s[8:9], s86, v5
	s_and_b64 s[2:3], s[2:3], s[8:9]
	s_and_b64 s[8:9], s[2:3], vcc
	v_add_u32_e32 v4, v5, v4
	v_lshl_add_u32 v10, v5, 6, v0
	s_mov_b64 s[2:3], -1
	s_xor_b64 s[12:13], s[8:9], -1
	s_and_saveexec_b64 s[8:9], s[12:13]
; %bb.41:
	v_or_b32_e32 v11, v5, v0
	v_cmp_gt_u32_e32 vcc, 64, v11
	s_andn2_b64 s[2:3], s[10:11], exec
	s_and_b64 s[10:11], vcc, exec
	s_or_b64 s[10:11], s[2:3], s[10:11]
	s_xor_b64 s[2:3], exec, -1
; %bb.42:
	s_or_b64 exec, exec, s[8:9]
	v_cndmask_b32_e64 v10, v10, v4, s[0:1]
.LBB21_43:
	v_mov_b32_e32 v4, 0
	s_and_saveexec_b64 s[8:9], s[2:3]
	s_cbranch_execnz .LBB21_1127
; %bb.44:
	s_or_b64 exec, exec, s[8:9]
	s_xor_b64 s[0:1], s[0:1], -1
	s_and_saveexec_b64 s[2:3], s[10:11]
.LBB21_45:
	v_lshlrev_b32_e32 v2, 2, v10
	ds_write_b32 v2, v4
.LBB21_46:
	s_or_b64 exec, exec, s[2:3]
	v_cndmask_b32_e64 v2, 0, 1, s[0:1]
	v_cmp_ne_u32_e64 s[40:41], 1, v2
	s_andn2_b64 vcc, exec, s[0:1]
	s_waitcnt vmcnt(0) lgkmcnt(0)
	s_barrier
	s_cbranch_vccnz .LBB21_1084
; %bb.47:
	v_or_b32_e32 v2, v0, v1
	v_cmp_eq_u32_e32 vcc, 0, v2
	s_and_saveexec_b64 s[0:1], vcc
	s_cbranch_execz .LBB21_49
; %bb.48:
	v_mov_b32_e32 v4, 0
	ds_read_b32 v2, v4 offset:4
	v_mov_b32_e32 v3, 1.0
	ds_write_b32 v4, v3
	s_waitcnt lgkmcnt(1)
	ds_write_b64 v4, v[2:3] offset:256
.LBB21_49:
	s_or_b64 exec, exec, s[0:1]
	v_lshl_add_u32 v4, v1, 6, v0
	v_and_b32_e32 v11, 1, v0
	v_lshrrev_b32_e32 v5, 1, v4
	v_lshlrev_b32_e32 v2, 2, v11
	v_cmp_lt_u32_e64 s[8:9], 3, v4
	v_cmp_gt_u32_e64 s[2:3], 4, v4
	v_lshl_or_b32 v2, v5, 8, v2
	v_mov_b32_e32 v10, 0
	s_waitcnt lgkmcnt(0)
	s_barrier
	s_and_saveexec_b64 s[0:1], s[2:3]
	s_cbranch_execz .LBB21_53
; %bb.50:
	v_mul_u32_u24_e32 v3, 0x104, v5
	ds_read_b32 v12, v2 offset:8
	ds_read_b32 v3, v3
	v_mov_b32_e32 v10, 0
	v_cmp_gt_u32_e64 s[10:11], 2, v4
	s_waitcnt lgkmcnt(0)
	v_fma_f32 v3, v12, v3, 0
	s_and_saveexec_b64 s[12:13], s[10:11]
	s_cbranch_execz .LBB21_52
; %bb.51:
	v_lshlrev_b32_e32 v12, 2, v0
	ds_read_b32 v12, v12 offset:264
	ds_read_b32 v10, v10 offset:4
	s_waitcnt lgkmcnt(0)
	v_fmac_f32_e32 v3, v12, v10
.LBB21_52:
	s_or_b64 exec, exec, s[12:13]
	v_xor_b32_e32 v10, 0x80000000, v3
.LBB21_53:
	s_or_b64 exec, exec, s[0:1]
	v_mov_b32_e32 v3, 0x4000
	v_cmp_eq_u32_e64 s[10:11], 0, v11
	s_xor_b64 s[0:1], s[8:9], -1
	v_lshl_add_u32 v3, v5, 2, v3
	s_and_b64 s[34:35], s[10:11], s[0:1]
	s_and_saveexec_b64 s[8:9], s[34:35]
; %bb.54:
	ds_write_b32 v3, v10
; %bb.55:
	s_or_b64 exec, exec, s[8:9]
	v_cmp_ne_u32_e64 s[8:9], 0, v11
	s_and_b64 s[26:27], s[8:9], s[0:1]
	s_waitcnt lgkmcnt(0)
	s_barrier
	s_and_saveexec_b64 s[0:1], s[26:27]
	s_cbranch_execz .LBB21_57
; %bb.56:
	v_mov_b32_e32 v11, 0
	ds_read_b32 v11, v11 offset:524
	ds_read_b32 v12, v3
	s_waitcnt lgkmcnt(0)
	v_fmac_f32_e32 v10, v11, v12
.LBB21_57:
	s_or_b64 exec, exec, s[0:1]
	s_barrier
	s_and_saveexec_b64 s[0:1], s[26:27]
; %bb.58:
	ds_write_b32 v3, v10
; %bb.59:
	s_or_b64 exec, exec, s[0:1]
	s_waitcnt lgkmcnt(0)
	s_barrier
	s_barrier
	s_and_saveexec_b64 s[0:1], s[2:3]
; %bb.60:
	v_xor_b32_e32 v10, 0x80000000, v10
	ds_write_b32 v2, v10 offset:8
; %bb.61:
	s_or_b64 exec, exec, s[0:1]
	v_cmp_eq_u32_e64 s[12:13], 0, v1
	v_cmp_gt_u32_e64 s[8:9], 2, v0
	s_and_b64 s[36:37], s[12:13], s[8:9]
	s_waitcnt lgkmcnt(0)
	s_barrier
	s_barrier
	s_and_saveexec_b64 s[0:1], s[36:37]
	s_cbranch_execz .LBB21_63
; %bb.62:
	v_lshlrev_b32_e32 v10, 2, v0
	s_movk_i32 s8, 0xfc
	v_mad_u32_u24 v11, v0, s8, v10
	ds_read_b32 v12, v11 offset:8
	s_waitcnt lgkmcnt(0)
	ds_write_b32 v10, v12 offset:512
	ds_read_b32 v11, v11 offset:12
	s_waitcnt lgkmcnt(0)
	ds_write_b32 v10, v11 offset:768
.LBB21_63:
	s_or_b64 exec, exec, s[0:1]
	s_waitcnt lgkmcnt(0)
	s_barrier
	s_and_saveexec_b64 s[0:1], vcc
	s_cbranch_execz .LBB21_65
; %bb.64:
	v_mov_b32_e32 v12, 0
	ds_read_b32 v10, v12 offset:524
	v_mov_b32_e32 v11, 1.0
	ds_write_b32 v12, v11 offset:520
	s_waitcnt lgkmcnt(1)
	ds_write_b64 v12, v[10:11] offset:776
.LBB21_65:
	s_or_b64 exec, exec, s[0:1]
	v_and_b32_e32 v13, 3, v0
	v_lshrrev_b32_e32 v14, 2, v4
	v_lshlrev_b32_e32 v11, 2, v13
	v_cmp_lt_u32_e64 s[8:9], 15, v4
	v_cmp_gt_u32_e64 s[18:19], 16, v4
	v_lshl_or_b32 v10, v14, 8, v11
	v_mov_b32_e32 v15, 0
	s_waitcnt lgkmcnt(0)
	s_barrier
	s_and_saveexec_b64 s[0:1], s[18:19]
	s_cbranch_execz .LBB21_71
; %bb.66:
	v_mul_u32_u24_e32 v15, 0x104, v14
	ds_read_b32 v12, v10 offset:16
	ds_read_b32 v16, v15
	v_cmp_gt_u32_e64 s[10:11], 12, v4
	s_waitcnt lgkmcnt(0)
	v_fma_f32 v12, v12, v16, 0
	s_and_saveexec_b64 s[14:15], s[10:11]
	s_cbranch_execnz .LBB21_1170
; %bb.67:
	s_or_b64 exec, exec, s[14:15]
	v_cmp_gt_u32_e64 s[10:11], 8, v4
	s_and_saveexec_b64 s[14:15], s[10:11]
	s_cbranch_execnz .LBB21_1171
.LBB21_68:
	s_or_b64 exec, exec, s[14:15]
	v_cmp_gt_u32_e64 s[10:11], 4, v4
	s_and_saveexec_b64 s[14:15], s[10:11]
	s_cbranch_execz .LBB21_70
.LBB21_69:
	v_lshlrev_b32_e32 v15, 2, v0
	v_mov_b32_e32 v16, 0
	ds_read_b32 v15, v15 offset:784
	ds_read_b32 v16, v16 offset:12
	s_waitcnt lgkmcnt(0)
	v_fmac_f32_e32 v12, v15, v16
.LBB21_70:
	s_or_b64 exec, exec, s[14:15]
	v_xor_b32_e32 v15, 0x80000000, v12
.LBB21_71:
                                        ; implicit-def: $vgpr33 : SGPR spill to VGPR lane
	v_writelane_b32 v33, s40, 0
	v_writelane_b32 v33, s41, 1
	s_or_b64 exec, exec, s[0:1]
	v_mov_b32_e32 v12, 0x4000
	v_cmp_eq_u32_e64 s[10:11], 0, v13
	s_xor_b64 s[0:1], s[8:9], -1
	v_lshl_add_u32 v12, v14, 2, v12
	s_and_b64 s[40:41], s[10:11], s[0:1]
	s_and_saveexec_b64 s[8:9], s[40:41]
; %bb.72:
	ds_write_b32 v12, v15
; %bb.73:
	s_or_b64 exec, exec, s[8:9]
	v_cmp_ne_u32_e64 s[8:9], 0, v13
	s_and_b64 s[42:43], s[8:9], s[0:1]
	s_waitcnt lgkmcnt(0)
	s_barrier
	s_and_saveexec_b64 s[8:9], s[42:43]
	s_cbranch_execz .LBB21_75
; %bb.74:
	ds_read_b32 v16, v11 offset:1040
	ds_read_b32 v17, v12
	s_waitcnt lgkmcnt(0)
	v_fmac_f32_e32 v15, v16, v17
.LBB21_75:
	s_or_b64 exec, exec, s[8:9]
	v_cmp_eq_u32_e64 s[8:9], 1, v13
	s_and_b64 s[44:45], s[8:9], s[0:1]
	s_barrier
	s_and_saveexec_b64 s[8:9], s[44:45]
; %bb.76:
	ds_write_b32 v12, v15
; %bb.77:
	s_or_b64 exec, exec, s[8:9]
	v_cmp_lt_u32_e64 s[8:9], 1, v13
	s_and_b64 s[46:47], s[8:9], s[0:1]
	s_waitcnt lgkmcnt(0)
	s_barrier
	s_and_saveexec_b64 s[8:9], s[46:47]
	s_cbranch_execz .LBB21_79
; %bb.78:
	ds_read_b32 v16, v11 offset:1296
	ds_read_b32 v17, v12
	s_waitcnt lgkmcnt(0)
	v_fmac_f32_e32 v15, v16, v17
.LBB21_79:
	s_or_b64 exec, exec, s[8:9]
	v_cmp_eq_u32_e64 s[8:9], 2, v13
	s_and_b64 s[48:49], s[8:9], s[0:1]
	s_barrier
	s_and_saveexec_b64 s[8:9], s[48:49]
; %bb.80:
	ds_write_b32 v12, v15
; %bb.81:
	s_or_b64 exec, exec, s[8:9]
	v_cmp_eq_u32_e64 s[8:9], 3, v13
	s_and_b64 s[38:39], s[8:9], s[0:1]
	s_waitcnt lgkmcnt(0)
	s_barrier
	s_and_saveexec_b64 s[0:1], s[38:39]
	s_cbranch_execz .LBB21_83
; %bb.82:
	v_mov_b32_e32 v16, 0
	ds_read_b32 v16, v16 offset:1564
	ds_read_b32 v17, v12
	s_waitcnt lgkmcnt(0)
	v_fmac_f32_e32 v15, v16, v17
.LBB21_83:
	s_or_b64 exec, exec, s[0:1]
	s_barrier
	s_and_saveexec_b64 s[0:1], s[38:39]
; %bb.84:
	ds_write_b32 v12, v15
; %bb.85:
	s_or_b64 exec, exec, s[0:1]
	s_waitcnt lgkmcnt(0)
	s_barrier
	s_barrier
	s_and_saveexec_b64 s[0:1], s[18:19]
; %bb.86:
	v_xor_b32_e32 v15, 0x80000000, v15
	ds_write_b32 v10, v15 offset:16
; %bb.87:
	s_or_b64 exec, exec, s[0:1]
	v_cmp_gt_u32_e64 s[8:9], 4, v0
	s_and_b64 s[50:51], s[12:13], s[8:9]
	s_waitcnt lgkmcnt(0)
	s_barrier
	s_barrier
	s_and_saveexec_b64 s[0:1], s[50:51]
	s_cbranch_execz .LBB21_89
; %bb.88:
	v_lshlrev_b32_e32 v15, 8, v0
	ds_read_b32 v16, v15 offset:16
	s_movk_i32 s8, 0xff04
	v_mad_i32_i24 v17, v0, s8, v15
	s_waitcnt lgkmcnt(0)
	ds_write_b32 v17, v16 offset:1024
	ds_read_b32 v16, v15 offset:20
	s_waitcnt lgkmcnt(0)
	ds_write_b32 v17, v16 offset:1280
	ds_read_b32 v16, v15 offset:24
	;; [unrolled: 3-line block ×3, first 2 shown]
	s_waitcnt lgkmcnt(0)
	ds_write_b32 v17, v15 offset:1792
.LBB21_89:
	s_or_b64 exec, exec, s[0:1]
	s_waitcnt lgkmcnt(0)
	s_barrier
	s_and_saveexec_b64 s[0:1], vcc
	s_cbranch_execz .LBB21_91
; %bb.90:
	v_mov_b32_e32 v17, 0
	ds_read_b32 v15, v17 offset:1044
	v_mov_b32_e32 v16, 1.0
	ds_write_b32 v17, v16 offset:1040
	s_waitcnt lgkmcnt(1)
	ds_write_b64 v17, v[15:16] offset:1296
.LBB21_91:
	s_or_b64 exec, exec, s[0:1]
	v_mov_b32_e32 v15, 0
	s_waitcnt lgkmcnt(0)
	s_barrier
	s_and_saveexec_b64 s[0:1], s[2:3]
	s_cbranch_execz .LBB21_95
; %bb.92:
	v_mul_u32_u24_e32 v15, 0x104, v5
	ds_read_b32 v17, v2 offset:1048
	ds_read_b32 v15, v15 offset:1040
	v_mov_b32_e32 v16, 0
	v_cmp_gt_u32_e64 s[8:9], 2, v4
	s_waitcnt lgkmcnt(0)
	v_fma_f32 v15, v17, v15, 0
	s_and_saveexec_b64 s[10:11], s[8:9]
	s_cbranch_execz .LBB21_94
; %bb.93:
	v_lshlrev_b32_e32 v17, 2, v0
	ds_read_b32 v17, v17 offset:1304
	ds_read_b32 v16, v16 offset:1044
	s_waitcnt lgkmcnt(0)
	v_fmac_f32_e32 v15, v17, v16
.LBB21_94:
	s_or_b64 exec, exec, s[10:11]
	v_xor_b32_e32 v15, 0x80000000, v15
.LBB21_95:
	s_or_b64 exec, exec, s[0:1]
	s_and_saveexec_b64 s[0:1], s[34:35]
; %bb.96:
	ds_write_b32 v3, v15
; %bb.97:
	s_or_b64 exec, exec, s[0:1]
	s_waitcnt lgkmcnt(0)
	s_barrier
	s_and_saveexec_b64 s[0:1], s[26:27]
	s_cbranch_execz .LBB21_99
; %bb.98:
	v_mov_b32_e32 v16, 0
	ds_read_b32 v16, v16 offset:1564
	ds_read_b32 v17, v3
	s_waitcnt lgkmcnt(0)
	v_fmac_f32_e32 v15, v16, v17
.LBB21_99:
	s_or_b64 exec, exec, s[0:1]
	s_barrier
	s_and_saveexec_b64 s[0:1], s[26:27]
; %bb.100:
	ds_write_b32 v3, v15
; %bb.101:
	s_or_b64 exec, exec, s[0:1]
	s_waitcnt lgkmcnt(0)
	s_barrier
	s_barrier
	s_and_saveexec_b64 s[0:1], s[2:3]
; %bb.102:
	v_xor_b32_e32 v15, 0x80000000, v15
	ds_write_b32 v2, v15 offset:1048
; %bb.103:
	s_or_b64 exec, exec, s[0:1]
	s_waitcnt lgkmcnt(0)
	s_barrier
	s_barrier
	s_and_saveexec_b64 s[0:1], s[36:37]
	s_cbranch_execz .LBB21_105
; %bb.104:
	v_lshlrev_b32_e32 v15, 2, v0
	s_movk_i32 s8, 0xfc
	v_mad_u32_u24 v16, v0, s8, v15
	ds_read_b32 v17, v16 offset:1048
	s_waitcnt lgkmcnt(0)
	ds_write_b32 v15, v17 offset:1552
	ds_read_b32 v16, v16 offset:1052
	s_waitcnt lgkmcnt(0)
	ds_write_b32 v15, v16 offset:1808
.LBB21_105:
	s_or_b64 exec, exec, s[0:1]
	s_waitcnt lgkmcnt(0)
	s_barrier
	s_and_saveexec_b64 s[0:1], vcc
	s_cbranch_execz .LBB21_107
; %bb.106:
	v_mov_b32_e32 v17, 0
	ds_read_b32 v15, v17 offset:1564
	v_mov_b32_e32 v16, 1.0
	ds_write_b32 v17, v16 offset:1560
	s_waitcnt lgkmcnt(1)
	ds_write_b64 v17, v[15:16] offset:1816
.LBB21_107:
	s_or_b64 exec, exec, s[0:1]
	v_and_b32_e32 v18, 7, v0
	v_lshrrev_b32_e32 v19, 3, v4
	v_lshlrev_b32_e32 v16, 2, v18
	v_cmp_lt_u32_e64 s[10:11], 63, v4
	v_cmp_gt_u32_e64 s[8:9], 64, v4
	v_lshl_or_b32 v15, v19, 8, v16
	v_mov_b32_e32 v20, 0
	s_waitcnt lgkmcnt(0)
	s_barrier
	s_and_saveexec_b64 s[0:1], s[8:9]
	s_cbranch_execz .LBB21_117
; %bb.108:
	v_mul_u32_u24_e32 v20, 0x104, v19
	ds_read_b32 v17, v15 offset:32
	ds_read_b32 v21, v20
	v_cmp_gt_u32_e64 s[14:15], 56, v4
	s_waitcnt lgkmcnt(0)
	v_fma_f32 v17, v17, v21, 0
	s_and_saveexec_b64 s[16:17], s[14:15]
	s_cbranch_execnz .LBB21_1172
; %bb.109:
	s_or_b64 exec, exec, s[16:17]
	v_cmp_gt_u32_e64 s[14:15], 48, v4
	s_and_saveexec_b64 s[16:17], s[14:15]
	s_cbranch_execnz .LBB21_1173
.LBB21_110:
	s_or_b64 exec, exec, s[16:17]
	v_cmp_gt_u32_e64 s[14:15], 40, v4
	s_and_saveexec_b64 s[16:17], s[14:15]
	s_cbranch_execnz .LBB21_1174
.LBB21_111:
	s_or_b64 exec, exec, s[16:17]
	v_cmp_gt_u32_e64 s[14:15], 32, v4
	s_and_saveexec_b64 s[16:17], s[14:15]
	s_cbranch_execnz .LBB21_1175
.LBB21_112:
	s_or_b64 exec, exec, s[16:17]
	v_cmp_gt_u32_e64 s[14:15], 24, v4
	s_and_saveexec_b64 s[16:17], s[14:15]
	s_cbranch_execnz .LBB21_1176
.LBB21_113:
	s_or_b64 exec, exec, s[16:17]
	v_cmp_gt_u32_e64 s[14:15], 16, v4
	s_and_saveexec_b64 s[16:17], s[14:15]
	s_cbranch_execnz .LBB21_1177
.LBB21_114:
	s_or_b64 exec, exec, s[16:17]
	v_cmp_gt_u32_e64 s[14:15], 8, v4
	s_and_saveexec_b64 s[16:17], s[14:15]
	s_cbranch_execz .LBB21_116
.LBB21_115:
	v_lshlrev_b32_e32 v20, 2, v0
	v_mov_b32_e32 v21, 0
	ds_read_b32 v20, v20 offset:1824
	ds_read_b32 v21, v21 offset:28
	s_waitcnt lgkmcnt(0)
	v_fmac_f32_e32 v17, v20, v21
.LBB21_116:
	s_or_b64 exec, exec, s[16:17]
	v_xor_b32_e32 v20, 0x80000000, v17
.LBB21_117:
	s_or_b64 exec, exec, s[0:1]
	v_mov_b32_e32 v17, 0x4000
	v_cmp_eq_u32_e64 s[14:15], 0, v18
	s_xor_b64 s[0:1], s[10:11], -1
	v_lshl_add_u32 v17, v19, 2, v17
	s_and_b64 s[52:53], s[14:15], s[0:1]
	s_and_saveexec_b64 s[10:11], s[52:53]
; %bb.118:
	ds_write_b32 v17, v20
; %bb.119:
	s_or_b64 exec, exec, s[10:11]
	v_cmp_ne_u32_e64 s[10:11], 0, v18
	s_and_b64 s[54:55], s[10:11], s[0:1]
	s_waitcnt lgkmcnt(0)
	s_barrier
	s_and_saveexec_b64 s[10:11], s[54:55]
	s_cbranch_execz .LBB21_121
; %bb.120:
	ds_read_b32 v21, v16 offset:2080
	ds_read_b32 v22, v17
	s_waitcnt lgkmcnt(0)
	v_fmac_f32_e32 v20, v21, v22
.LBB21_121:
	s_or_b64 exec, exec, s[10:11]
	v_cmp_eq_u32_e64 s[10:11], 1, v18
	s_and_b64 s[56:57], s[10:11], s[0:1]
	s_barrier
	s_and_saveexec_b64 s[10:11], s[56:57]
; %bb.122:
	ds_write_b32 v17, v20
; %bb.123:
	s_or_b64 exec, exec, s[10:11]
	v_cmp_lt_u32_e64 s[10:11], 1, v18
	s_and_b64 s[58:59], s[10:11], s[0:1]
	s_waitcnt lgkmcnt(0)
	s_barrier
	s_and_saveexec_b64 s[10:11], s[58:59]
	s_cbranch_execz .LBB21_125
; %bb.124:
	ds_read_b32 v21, v16 offset:2336
	ds_read_b32 v22, v17
	s_waitcnt lgkmcnt(0)
	v_fmac_f32_e32 v20, v21, v22
.LBB21_125:
	s_or_b64 exec, exec, s[10:11]
	v_cmp_eq_u32_e64 s[10:11], 2, v18
	s_and_b64 s[62:63], s[10:11], s[0:1]
	s_barrier
	s_and_saveexec_b64 s[10:11], s[62:63]
; %bb.126:
	ds_write_b32 v17, v20
; %bb.127:
	s_or_b64 exec, exec, s[10:11]
	v_cmp_lt_u32_e64 s[10:11], 2, v18
	;; [unrolled: 21-line block ×5, first 2 shown]
	s_and_b64 s[76:77], s[10:11], s[0:1]
	s_waitcnt lgkmcnt(0)
	s_barrier
	s_and_saveexec_b64 s[10:11], s[76:77]
	s_cbranch_execz .LBB21_141
; %bb.140:
	ds_read_b32 v21, v16 offset:3360
	ds_read_b32 v22, v17
	s_waitcnt lgkmcnt(0)
	v_fmac_f32_e32 v20, v21, v22
.LBB21_141:
	s_or_b64 exec, exec, s[10:11]
	v_cmp_eq_u32_e64 s[10:11], 6, v18
	s_and_b64 s[78:79], s[10:11], s[0:1]
	s_barrier
	s_and_saveexec_b64 s[10:11], s[78:79]
; %bb.142:
	ds_write_b32 v17, v20
; %bb.143:
	s_or_b64 exec, exec, s[10:11]
	v_cmp_eq_u32_e64 s[10:11], 7, v18
	s_and_b64 s[60:61], s[10:11], s[0:1]
	s_waitcnt lgkmcnt(0)
	s_barrier
	s_and_saveexec_b64 s[0:1], s[60:61]
	s_cbranch_execz .LBB21_145
; %bb.144:
	v_mov_b32_e32 v21, 0
	ds_read_b32 v21, v21 offset:3644
	ds_read_b32 v22, v17
	s_waitcnt lgkmcnt(0)
	v_fmac_f32_e32 v20, v21, v22
.LBB21_145:
	s_or_b64 exec, exec, s[0:1]
	s_barrier
	s_and_saveexec_b64 s[0:1], s[60:61]
; %bb.146:
	ds_write_b32 v17, v20
; %bb.147:
	s_or_b64 exec, exec, s[0:1]
	s_waitcnt lgkmcnt(0)
	s_barrier
	s_barrier
	s_and_saveexec_b64 s[0:1], s[8:9]
; %bb.148:
	v_xor_b32_e32 v20, 0x80000000, v20
	ds_write_b32 v15, v20 offset:32
; %bb.149:
	s_or_b64 exec, exec, s[0:1]
	v_cmp_gt_u32_e64 s[10:11], 8, v0
	s_and_b64 s[80:81], s[12:13], s[10:11]
	s_waitcnt lgkmcnt(0)
	s_barrier
	s_barrier
	s_and_saveexec_b64 s[0:1], s[80:81]
	s_cbranch_execz .LBB21_151
; %bb.150:
	v_lshlrev_b32_e32 v20, 8, v0
	ds_read_b32 v21, v20 offset:32
	s_movk_i32 s10, 0xff04
	v_mad_i32_i24 v22, v0, s10, v20
	s_waitcnt lgkmcnt(0)
	ds_write_b32 v22, v21 offset:2048
	ds_read_b32 v21, v20 offset:36
	s_waitcnt lgkmcnt(0)
	ds_write_b32 v22, v21 offset:2304
	ds_read_b32 v21, v20 offset:40
	;; [unrolled: 3-line block ×7, first 2 shown]
	s_waitcnt lgkmcnt(0)
	ds_write_b32 v22, v20 offset:3840
.LBB21_151:
	s_or_b64 exec, exec, s[0:1]
	s_waitcnt lgkmcnt(0)
	s_barrier
	s_and_saveexec_b64 s[0:1], vcc
	s_cbranch_execz .LBB21_153
; %bb.152:
	v_mov_b32_e32 v22, 0
	ds_read_b32 v20, v22 offset:2084
	v_mov_b32_e32 v21, 1.0
	ds_write_b32 v22, v21 offset:2080
	s_waitcnt lgkmcnt(1)
	ds_write_b64 v22, v[20:21] offset:2336
.LBB21_153:
	s_or_b64 exec, exec, s[0:1]
	v_mov_b32_e32 v20, 0
	s_waitcnt lgkmcnt(0)
	s_barrier
	s_and_saveexec_b64 s[0:1], s[2:3]
	s_cbranch_execz .LBB21_157
; %bb.154:
	v_mul_u32_u24_e32 v20, 0x104, v5
	ds_read_b32 v22, v2 offset:2088
	ds_read_b32 v20, v20 offset:2080
	v_mov_b32_e32 v21, 0
	v_cmp_gt_u32_e64 s[10:11], 2, v4
	s_waitcnt lgkmcnt(0)
	v_fma_f32 v20, v22, v20, 0
	s_and_saveexec_b64 s[14:15], s[10:11]
	s_cbranch_execz .LBB21_156
; %bb.155:
	v_lshlrev_b32_e32 v22, 2, v0
	ds_read_b32 v22, v22 offset:2344
	ds_read_b32 v21, v21 offset:2084
	s_waitcnt lgkmcnt(0)
	v_fmac_f32_e32 v20, v22, v21
.LBB21_156:
	s_or_b64 exec, exec, s[14:15]
	v_xor_b32_e32 v20, 0x80000000, v20
.LBB21_157:
	s_or_b64 exec, exec, s[0:1]
	s_and_saveexec_b64 s[0:1], s[34:35]
; %bb.158:
	ds_write_b32 v3, v20
; %bb.159:
	s_or_b64 exec, exec, s[0:1]
	s_waitcnt lgkmcnt(0)
	s_barrier
	s_and_saveexec_b64 s[0:1], s[26:27]
	s_cbranch_execz .LBB21_161
; %bb.160:
	v_mov_b32_e32 v21, 0
	ds_read_b32 v21, v21 offset:2604
	ds_read_b32 v22, v3
	s_waitcnt lgkmcnt(0)
	v_fmac_f32_e32 v20, v21, v22
.LBB21_161:
	s_or_b64 exec, exec, s[0:1]
	s_barrier
	s_and_saveexec_b64 s[0:1], s[26:27]
; %bb.162:
	ds_write_b32 v3, v20
; %bb.163:
	s_or_b64 exec, exec, s[0:1]
	s_waitcnt lgkmcnt(0)
	s_barrier
	s_barrier
	s_and_saveexec_b64 s[0:1], s[2:3]
; %bb.164:
	v_xor_b32_e32 v20, 0x80000000, v20
	ds_write_b32 v2, v20 offset:2088
; %bb.165:
	s_or_b64 exec, exec, s[0:1]
	s_waitcnt lgkmcnt(0)
	s_barrier
	s_barrier
	s_and_saveexec_b64 s[0:1], s[36:37]
	s_cbranch_execz .LBB21_167
; %bb.166:
	v_lshlrev_b32_e32 v20, 2, v0
	s_movk_i32 s10, 0xfc
	v_mad_u32_u24 v21, v0, s10, v20
	ds_read_b32 v22, v21 offset:2088
	s_waitcnt lgkmcnt(0)
	ds_write_b32 v20, v22 offset:2592
	ds_read_b32 v21, v21 offset:2092
	s_waitcnt lgkmcnt(0)
	ds_write_b32 v20, v21 offset:2848
.LBB21_167:
	s_or_b64 exec, exec, s[0:1]
	s_waitcnt lgkmcnt(0)
	s_barrier
	s_and_saveexec_b64 s[0:1], vcc
	s_cbranch_execz .LBB21_169
; %bb.168:
	v_mov_b32_e32 v22, 0
	ds_read_b32 v20, v22 offset:2604
	v_mov_b32_e32 v21, 1.0
	ds_write_b32 v22, v21 offset:2600
	s_waitcnt lgkmcnt(1)
	ds_write_b64 v22, v[20:21] offset:2856
.LBB21_169:
	s_or_b64 exec, exec, s[0:1]
	v_mov_b32_e32 v20, 0
	s_waitcnt lgkmcnt(0)
	s_barrier
	s_and_saveexec_b64 s[0:1], s[18:19]
	s_cbranch_execz .LBB21_175
; %bb.170:
	v_mul_u32_u24_e32 v21, 0x104, v14
	ds_read_b32 v20, v10 offset:2096
	ds_read_b32 v22, v21 offset:2080
	v_cmp_gt_u32_e64 s[10:11], 12, v4
	s_waitcnt lgkmcnt(0)
	v_fma_f32 v20, v20, v22, 0
	s_and_saveexec_b64 s[14:15], s[10:11]
	s_cbranch_execnz .LBB21_1178
; %bb.171:
	s_or_b64 exec, exec, s[14:15]
	v_cmp_gt_u32_e64 s[10:11], 8, v4
	s_and_saveexec_b64 s[14:15], s[10:11]
	s_cbranch_execnz .LBB21_1179
.LBB21_172:
	s_or_b64 exec, exec, s[14:15]
	v_cmp_gt_u32_e64 s[10:11], 4, v4
	s_and_saveexec_b64 s[14:15], s[10:11]
	s_cbranch_execz .LBB21_174
.LBB21_173:
	v_lshlrev_b32_e32 v21, 2, v0
	v_mov_b32_e32 v22, 0
	ds_read_b32 v21, v21 offset:2864
	ds_read_b32 v22, v22 offset:2092
	s_waitcnt lgkmcnt(0)
	v_fmac_f32_e32 v20, v21, v22
.LBB21_174:
	s_or_b64 exec, exec, s[14:15]
	v_xor_b32_e32 v20, 0x80000000, v20
.LBB21_175:
	s_or_b64 exec, exec, s[0:1]
	s_and_saveexec_b64 s[0:1], s[40:41]
; %bb.176:
	ds_write_b32 v12, v20
; %bb.177:
	s_or_b64 exec, exec, s[0:1]
	s_waitcnt lgkmcnt(0)
	s_barrier
	s_and_saveexec_b64 s[0:1], s[42:43]
	s_cbranch_execz .LBB21_179
; %bb.178:
	ds_read_b32 v21, v11 offset:3120
	ds_read_b32 v22, v12
	s_waitcnt lgkmcnt(0)
	v_fmac_f32_e32 v20, v21, v22
.LBB21_179:
	s_or_b64 exec, exec, s[0:1]
	s_barrier
	s_and_saveexec_b64 s[0:1], s[44:45]
; %bb.180:
	ds_write_b32 v12, v20
; %bb.181:
	s_or_b64 exec, exec, s[0:1]
	s_waitcnt lgkmcnt(0)
	s_barrier
	s_and_saveexec_b64 s[0:1], s[46:47]
	s_cbranch_execz .LBB21_183
; %bb.182:
	ds_read_b32 v21, v11 offset:3376
	ds_read_b32 v22, v12
	s_waitcnt lgkmcnt(0)
	v_fmac_f32_e32 v20, v21, v22
.LBB21_183:
	s_or_b64 exec, exec, s[0:1]
	s_barrier
	s_and_saveexec_b64 s[0:1], s[48:49]
; %bb.184:
	ds_write_b32 v12, v20
; %bb.185:
	s_or_b64 exec, exec, s[0:1]
	s_waitcnt lgkmcnt(0)
	s_barrier
	s_and_saveexec_b64 s[0:1], s[38:39]
	s_cbranch_execz .LBB21_187
; %bb.186:
	v_mov_b32_e32 v21, 0
	ds_read_b32 v21, v21 offset:3644
	ds_read_b32 v22, v12
	s_waitcnt lgkmcnt(0)
	v_fmac_f32_e32 v20, v21, v22
.LBB21_187:
	s_or_b64 exec, exec, s[0:1]
	s_barrier
	s_and_saveexec_b64 s[0:1], s[38:39]
; %bb.188:
	ds_write_b32 v12, v20
; %bb.189:
	s_or_b64 exec, exec, s[0:1]
	s_waitcnt lgkmcnt(0)
	s_barrier
	s_barrier
	s_and_saveexec_b64 s[0:1], s[18:19]
; %bb.190:
	v_xor_b32_e32 v20, 0x80000000, v20
	ds_write_b32 v10, v20 offset:2096
; %bb.191:
	s_or_b64 exec, exec, s[0:1]
	s_waitcnt lgkmcnt(0)
	s_barrier
	s_barrier
	s_and_saveexec_b64 s[0:1], s[50:51]
	s_cbranch_execz .LBB21_193
; %bb.192:
	v_lshlrev_b32_e32 v20, 8, v0
	ds_read_b32 v21, v20 offset:2096
	s_movk_i32 s10, 0xff04
	v_mad_i32_i24 v22, v0, s10, v20
	s_waitcnt lgkmcnt(0)
	ds_write_b32 v22, v21 offset:3104
	ds_read_b32 v21, v20 offset:2100
	s_waitcnt lgkmcnt(0)
	ds_write_b32 v22, v21 offset:3360
	ds_read_b32 v21, v20 offset:2104
	;; [unrolled: 3-line block ×3, first 2 shown]
	s_waitcnt lgkmcnt(0)
	ds_write_b32 v22, v20 offset:3872
.LBB21_193:
	s_or_b64 exec, exec, s[0:1]
	s_waitcnt lgkmcnt(0)
	s_barrier
	s_and_saveexec_b64 s[0:1], vcc
	s_cbranch_execz .LBB21_195
; %bb.194:
	v_mov_b32_e32 v22, 0
	ds_read_b32 v20, v22 offset:3124
	v_mov_b32_e32 v21, 1.0
	ds_write_b32 v22, v21 offset:3120
	s_waitcnt lgkmcnt(1)
	ds_write_b64 v22, v[20:21] offset:3376
.LBB21_195:
	s_or_b64 exec, exec, s[0:1]
	v_mov_b32_e32 v20, 0
	s_waitcnt lgkmcnt(0)
	s_barrier
	s_and_saveexec_b64 s[0:1], s[2:3]
	s_cbranch_execz .LBB21_199
; %bb.196:
	v_mul_u32_u24_e32 v20, 0x104, v5
	ds_read_b32 v22, v2 offset:3128
	ds_read_b32 v20, v20 offset:3120
	v_mov_b32_e32 v21, 0
	v_cmp_gt_u32_e64 s[10:11], 2, v4
	s_waitcnt lgkmcnt(0)
	v_fma_f32 v20, v22, v20, 0
	s_and_saveexec_b64 s[14:15], s[10:11]
	s_cbranch_execz .LBB21_198
; %bb.197:
	v_lshlrev_b32_e32 v22, 2, v0
	ds_read_b32 v22, v22 offset:3384
	ds_read_b32 v21, v21 offset:3124
	s_waitcnt lgkmcnt(0)
	v_fmac_f32_e32 v20, v22, v21
.LBB21_198:
	s_or_b64 exec, exec, s[14:15]
	v_xor_b32_e32 v20, 0x80000000, v20
.LBB21_199:
	s_or_b64 exec, exec, s[0:1]
	s_and_saveexec_b64 s[0:1], s[34:35]
; %bb.200:
	ds_write_b32 v3, v20
; %bb.201:
	s_or_b64 exec, exec, s[0:1]
	s_waitcnt lgkmcnt(0)
	s_barrier
	s_and_saveexec_b64 s[0:1], s[26:27]
	s_cbranch_execz .LBB21_203
; %bb.202:
	v_mov_b32_e32 v21, 0
	ds_read_b32 v21, v21 offset:3644
	ds_read_b32 v22, v3
	s_waitcnt lgkmcnt(0)
	v_fmac_f32_e32 v20, v21, v22
.LBB21_203:
	s_or_b64 exec, exec, s[0:1]
	s_barrier
	s_and_saveexec_b64 s[0:1], s[26:27]
; %bb.204:
	ds_write_b32 v3, v20
; %bb.205:
	s_or_b64 exec, exec, s[0:1]
	s_waitcnt lgkmcnt(0)
	s_barrier
	s_barrier
	s_and_saveexec_b64 s[0:1], s[2:3]
; %bb.206:
	v_xor_b32_e32 v20, 0x80000000, v20
	ds_write_b32 v2, v20 offset:3128
; %bb.207:
	s_or_b64 exec, exec, s[0:1]
	s_waitcnt lgkmcnt(0)
	s_barrier
	s_barrier
	s_and_saveexec_b64 s[0:1], s[36:37]
	s_cbranch_execz .LBB21_209
; %bb.208:
	v_lshlrev_b32_e32 v20, 2, v0
	s_movk_i32 s10, 0xfc
	v_mad_u32_u24 v21, v0, s10, v20
	ds_read_b32 v22, v21 offset:3128
	s_waitcnt lgkmcnt(0)
	ds_write_b32 v20, v22 offset:3632
	ds_read_b32 v21, v21 offset:3132
	s_waitcnt lgkmcnt(0)
	ds_write_b32 v20, v21 offset:3888
.LBB21_209:
	s_or_b64 exec, exec, s[0:1]
	s_waitcnt lgkmcnt(0)
	s_barrier
	s_and_saveexec_b64 s[0:1], vcc
	s_cbranch_execz .LBB21_211
; %bb.210:
	v_mov_b32_e32 v22, 0
	ds_read_b32 v20, v22 offset:3644
	v_mov_b32_e32 v21, 1.0
	ds_write_b32 v22, v21 offset:3640
	s_waitcnt lgkmcnt(1)
	ds_write_b64 v22, v[20:21] offset:3896
.LBB21_211:
	s_or_b64 exec, exec, s[0:1]
	v_lshrrev_b32_e32 v24, 4, v4
	v_and_b32_e32 v21, 15, v0
	s_movk_i32 s0, 0xff
	v_lshlrev_b32_e32 v23, 6, v24
	v_cmp_lt_u32_e64 s[14:15], s0, v4
	s_movk_i32 s0, 0x100
	v_or_b32_e32 v20, v23, v21
	v_cmp_gt_u32_e64 s[10:11], s0, v4
	v_lshlrev_b32_e32 v20, 2, v20
	v_mov_b32_e32 v25, 0
	s_waitcnt lgkmcnt(0)
	s_barrier
	s_and_saveexec_b64 s[0:1], s[10:11]
	s_cbranch_execz .LBB21_239
; %bb.212:
	v_mul_u32_u24_e32 v25, 0x104, v24
	ds_read_b32 v22, v20 offset:64
	ds_read_b32 v26, v25
	s_movk_i32 s16, 0xf0
	v_cmp_gt_u32_e64 s[16:17], s16, v4
	s_waitcnt lgkmcnt(0)
	v_fma_f32 v22, v22, v26, 0
	s_and_saveexec_b64 s[20:21], s[16:17]
	s_cbranch_execz .LBB21_214
; %bb.213:
	v_lshlrev_b32_e32 v26, 2, v24
	v_sub_u32_e32 v26, v25, v26
	v_lshl_add_u32 v26, v21, 2, v26
	ds_read_b32 v26, v26 offset:320
	ds_read_b32 v27, v25 offset:4
	s_waitcnt lgkmcnt(0)
	v_fmac_f32_e32 v22, v26, v27
.LBB21_214:
	s_or_b64 exec, exec, s[20:21]
	s_movk_i32 s16, 0xe0
	v_cmp_gt_u32_e64 s[16:17], s16, v4
	s_and_saveexec_b64 s[20:21], s[16:17]
	s_cbranch_execz .LBB21_216
; %bb.215:
	v_lshlrev_b32_e32 v26, 2, v24
	v_sub_u32_e32 v26, v25, v26
	v_lshl_add_u32 v26, v21, 2, v26
	ds_read_b32 v26, v26 offset:576
	ds_read_b32 v27, v25 offset:8
	s_waitcnt lgkmcnt(0)
	v_fmac_f32_e32 v22, v26, v27
.LBB21_216:
	s_or_b64 exec, exec, s[20:21]
	s_movk_i32 s16, 0xd0
	v_cmp_gt_u32_e64 s[16:17], s16, v4
	;; [unrolled: 14-line block ×7, first 2 shown]
	s_and_saveexec_b64 s[20:21], s[16:17]
	s_cbranch_execz .LBB21_228
; %bb.227:
	ds_read_b32 v26, v20 offset:2112
	ds_read_b32 v27, v25 offset:32
	s_waitcnt lgkmcnt(0)
	v_fmac_f32_e32 v22, v26, v27
.LBB21_228:
	s_or_b64 exec, exec, s[20:21]
	s_movk_i32 s16, 0x70
	v_cmp_gt_u32_e64 s[16:17], s16, v4
	s_and_saveexec_b64 s[20:21], s[16:17]
	s_cbranch_execz .LBB21_230
; %bb.229:
	v_lshlrev_b32_e32 v26, 2, v24
	v_sub_u32_e32 v26, v25, v26
	v_lshl_add_u32 v26, v21, 2, v26
	ds_read_b32 v26, v26 offset:2368
	ds_read_b32 v27, v25 offset:36
	s_waitcnt lgkmcnt(0)
	v_fmac_f32_e32 v22, v26, v27
.LBB21_230:
	s_or_b64 exec, exec, s[20:21]
	s_movk_i32 s16, 0x60
	v_cmp_gt_u32_e64 s[16:17], s16, v4
	s_and_saveexec_b64 s[20:21], s[16:17]
	s_cbranch_execz .LBB21_232
; %bb.231:
	v_lshlrev_b32_e32 v26, 2, v21
	v_lshl_add_u32 v26, v23, 2, v26
	ds_read_b32 v26, v26 offset:2624
	ds_read_b32 v27, v25 offset:40
	s_waitcnt lgkmcnt(0)
	v_fmac_f32_e32 v22, v26, v27
.LBB21_232:
	s_or_b64 exec, exec, s[20:21]
	s_movk_i32 s16, 0x50
	v_cmp_gt_u32_e64 s[16:17], s16, v4
	s_and_saveexec_b64 s[20:21], s[16:17]
	s_cbranch_execnz .LBB21_1180
; %bb.233:
	s_or_b64 exec, exec, s[20:21]
	v_cmp_gt_u32_e64 s[16:17], 64, v4
	s_and_saveexec_b64 s[20:21], s[16:17]
	s_cbranch_execnz .LBB21_1181
.LBB21_234:
	s_or_b64 exec, exec, s[20:21]
	v_cmp_gt_u32_e64 s[16:17], 48, v4
	s_and_saveexec_b64 s[20:21], s[16:17]
	s_cbranch_execnz .LBB21_1182
.LBB21_235:
	s_or_b64 exec, exec, s[20:21]
	v_cmp_gt_u32_e64 s[16:17], 32, v4
	s_and_saveexec_b64 s[20:21], s[16:17]
	s_cbranch_execnz .LBB21_1183
.LBB21_236:
	s_or_b64 exec, exec, s[20:21]
	v_cmp_gt_u32_e64 s[16:17], 16, v4
	s_and_saveexec_b64 s[20:21], s[16:17]
	s_cbranch_execz .LBB21_238
.LBB21_237:
	v_lshlrev_b32_e32 v25, 2, v0
	v_mov_b32_e32 v26, 0
	ds_read_b32 v25, v25 offset:3904
	ds_read_b32 v26, v26 offset:60
	s_waitcnt lgkmcnt(0)
	v_fmac_f32_e32 v22, v25, v26
.LBB21_238:
	s_or_b64 exec, exec, s[20:21]
	v_xor_b32_e32 v25, 0x80000000, v22
.LBB21_239:
	s_or_b64 exec, exec, s[0:1]
	v_mov_b32_e32 v22, 0x4000
	v_lshl_add_u32 v22, v24, 2, v22
	v_cmp_eq_u32_e64 s[16:17], 0, v21
	s_xor_b64 s[0:1], s[14:15], -1
	s_and_b64 s[16:17], s[16:17], s[0:1]
	s_mov_b64 s[14:15], exec
	v_writelane_b32 v33, s16, 2
	v_writelane_b32 v33, s17, 3
	s_and_b64 s[16:17], s[14:15], s[16:17]
	s_mov_b64 exec, s[16:17]
; %bb.240:
	ds_write_b32 v22, v25
; %bb.241:
	s_or_b64 exec, exec, s[14:15]
	v_cmp_ne_u32_e64 s[14:15], 0, v21
	s_waitcnt lgkmcnt(0)
	s_barrier
	s_and_b64 s[16:17], s[14:15], s[0:1]
	s_mov_b64 s[14:15], exec
	v_writelane_b32 v33, s16, 4
	v_writelane_b32 v33, s17, 5
	s_and_b64 s[16:17], s[14:15], s[16:17]
	s_mov_b64 exec, s[16:17]
	s_cbranch_execz .LBB21_243
; %bb.242:
	v_lshlrev_b32_e32 v26, 2, v21
	ds_read_b32 v26, v26 offset:4160
	ds_read_b32 v27, v22
	s_waitcnt lgkmcnt(0)
	v_fmac_f32_e32 v25, v26, v27
.LBB21_243:
	s_or_b64 exec, exec, s[14:15]
	v_cmp_eq_u32_e64 s[14:15], 1, v21
	s_barrier
	s_and_b64 s[16:17], s[14:15], s[0:1]
	s_mov_b64 s[14:15], exec
	v_writelane_b32 v33, s16, 6
	v_writelane_b32 v33, s17, 7
	s_and_b64 s[16:17], s[14:15], s[16:17]
	s_mov_b64 exec, s[16:17]
; %bb.244:
	ds_write_b32 v22, v25
; %bb.245:
	s_or_b64 exec, exec, s[14:15]
	v_cmp_lt_u32_e64 s[14:15], 1, v21
	s_waitcnt lgkmcnt(0)
	s_barrier
	s_and_b64 s[16:17], s[14:15], s[0:1]
	s_mov_b64 s[14:15], exec
	v_writelane_b32 v33, s16, 8
	v_writelane_b32 v33, s17, 9
	s_and_b64 s[16:17], s[14:15], s[16:17]
	s_mov_b64 exec, s[16:17]
	s_cbranch_execz .LBB21_247
; %bb.246:
	v_lshlrev_b32_e32 v26, 2, v21
	ds_read_b32 v26, v26 offset:4416
	ds_read_b32 v27, v22
	s_waitcnt lgkmcnt(0)
	v_fmac_f32_e32 v25, v26, v27
.LBB21_247:
	s_or_b64 exec, exec, s[14:15]
	v_cmp_eq_u32_e64 s[14:15], 2, v21
	s_barrier
	s_and_b64 s[16:17], s[14:15], s[0:1]
	s_mov_b64 s[14:15], exec
	v_writelane_b32 v33, s16, 10
	v_writelane_b32 v33, s17, 11
	s_and_b64 s[16:17], s[14:15], s[16:17]
	s_mov_b64 exec, s[16:17]
; %bb.248:
	ds_write_b32 v22, v25
; %bb.249:
	s_or_b64 exec, exec, s[14:15]
	v_cmp_lt_u32_e64 s[14:15], 2, v21
	;; [unrolled: 30-line block ×13, first 2 shown]
	s_and_b64 s[92:93], s[14:15], s[0:1]
	s_waitcnt lgkmcnt(0)
	s_barrier
	s_and_saveexec_b64 s[14:15], s[92:93]
	s_cbranch_execz .LBB21_295
; %bb.294:
	v_lshlrev_b32_e32 v26, 2, v21
	ds_read_b32 v26, v26 offset:7488
	ds_read_b32 v27, v22
	s_waitcnt lgkmcnt(0)
	v_fmac_f32_e32 v25, v26, v27
.LBB21_295:
	s_or_b64 exec, exec, s[14:15]
	v_cmp_eq_u32_e64 s[14:15], 14, v21
	s_and_b64 s[94:95], s[14:15], s[0:1]
	s_barrier
	s_and_saveexec_b64 s[14:15], s[94:95]
; %bb.296:
	ds_write_b32 v22, v25
; %bb.297:
	s_or_b64 exec, exec, s[14:15]
	v_cmp_eq_u32_e64 s[14:15], 15, v21
	s_and_b64 s[90:91], s[14:15], s[0:1]
	s_waitcnt lgkmcnt(0)
	s_barrier
	s_and_saveexec_b64 s[0:1], s[90:91]
	s_cbranch_execz .LBB21_299
; %bb.298:
	v_mov_b32_e32 v26, 0
	ds_read_b32 v26, v26 offset:7804
	ds_read_b32 v27, v22
	s_waitcnt lgkmcnt(0)
	v_fmac_f32_e32 v25, v26, v27
.LBB21_299:
	s_or_b64 exec, exec, s[0:1]
	s_barrier
	s_and_saveexec_b64 s[0:1], s[90:91]
; %bb.300:
	ds_write_b32 v22, v25
; %bb.301:
	s_or_b64 exec, exec, s[0:1]
	s_waitcnt lgkmcnt(0)
	s_barrier
	s_barrier
	s_and_saveexec_b64 s[0:1], s[10:11]
; %bb.302:
	v_xor_b32_e32 v25, 0x80000000, v25
	ds_write_b32 v20, v25 offset:64
; %bb.303:
	s_or_b64 exec, exec, s[0:1]
	v_cmp_gt_u32_e64 s[14:15], 16, v0
	s_and_b64 s[0:1], s[12:13], s[14:15]
	s_waitcnt lgkmcnt(0)
	s_barrier
	s_barrier
	s_and_saveexec_b64 s[14:15], s[0:1]
	s_cbranch_execz .LBB21_305
; %bb.304:
	v_lshlrev_b32_e32 v25, 8, v0
	ds_read_b32 v26, v25 offset:64
	s_movk_i32 s16, 0xff04
	v_mad_i32_i24 v27, v0, s16, v25
	s_waitcnt lgkmcnt(0)
	ds_write_b32 v27, v26 offset:4096
	ds_read_b32 v26, v25 offset:68
	s_waitcnt lgkmcnt(0)
	ds_write_b32 v27, v26 offset:4352
	ds_read_b32 v26, v25 offset:72
	;; [unrolled: 3-line block ×15, first 2 shown]
	s_waitcnt lgkmcnt(0)
	ds_write_b32 v27, v25 offset:7936
.LBB21_305:
	s_or_b64 exec, exec, s[14:15]
	s_waitcnt lgkmcnt(0)
	s_barrier
	s_and_saveexec_b64 s[14:15], vcc
	s_cbranch_execz .LBB21_307
; %bb.306:
	v_mov_b32_e32 v27, 0
	ds_read_b32 v25, v27 offset:4164
	v_mov_b32_e32 v26, 1.0
	ds_write_b32 v27, v26 offset:4160
	s_waitcnt lgkmcnt(1)
	ds_write_b64 v27, v[25:26] offset:4416
.LBB21_307:
	s_or_b64 exec, exec, s[14:15]
	v_mov_b32_e32 v25, 0
	s_waitcnt lgkmcnt(0)
	s_barrier
	s_and_saveexec_b64 s[16:17], s[2:3]
	s_cbranch_execz .LBB21_311
; %bb.308:
	v_mul_u32_u24_e32 v25, 0x104, v5
	ds_read_b32 v27, v2 offset:4168
	ds_read_b32 v25, v25 offset:4160
	v_mov_b32_e32 v26, 0
	v_cmp_gt_u32_e64 s[14:15], 2, v4
	s_waitcnt lgkmcnt(0)
	v_fma_f32 v25, v27, v25, 0
	s_and_saveexec_b64 s[20:21], s[14:15]
	s_cbranch_execz .LBB21_310
; %bb.309:
	v_lshlrev_b32_e32 v27, 2, v0
	ds_read_b32 v27, v27 offset:4424
	ds_read_b32 v26, v26 offset:4164
	s_waitcnt lgkmcnt(0)
	v_fmac_f32_e32 v25, v27, v26
.LBB21_310:
	s_or_b64 exec, exec, s[20:21]
	v_xor_b32_e32 v25, 0x80000000, v25
.LBB21_311:
	s_or_b64 exec, exec, s[16:17]
	s_and_saveexec_b64 s[14:15], s[34:35]
; %bb.312:
	ds_write_b32 v3, v25
; %bb.313:
	s_or_b64 exec, exec, s[14:15]
	s_waitcnt lgkmcnt(0)
	s_barrier
	s_and_saveexec_b64 s[14:15], s[26:27]
	s_cbranch_execz .LBB21_315
; %bb.314:
	v_mov_b32_e32 v26, 0
	ds_read_b32 v26, v26 offset:4684
	ds_read_b32 v27, v3
	s_waitcnt lgkmcnt(0)
	v_fmac_f32_e32 v25, v26, v27
.LBB21_315:
	s_or_b64 exec, exec, s[14:15]
	s_barrier
	s_and_saveexec_b64 s[14:15], s[26:27]
; %bb.316:
	ds_write_b32 v3, v25
; %bb.317:
	s_or_b64 exec, exec, s[14:15]
	s_waitcnt lgkmcnt(0)
	s_barrier
	s_barrier
	s_and_saveexec_b64 s[14:15], s[2:3]
; %bb.318:
	v_xor_b32_e32 v25, 0x80000000, v25
	ds_write_b32 v2, v25 offset:4168
; %bb.319:
	s_or_b64 exec, exec, s[14:15]
	s_waitcnt lgkmcnt(0)
	s_barrier
	s_barrier
	s_and_saveexec_b64 s[14:15], s[36:37]
	s_cbranch_execz .LBB21_321
; %bb.320:
	v_lshlrev_b32_e32 v25, 2, v0
	s_movk_i32 s16, 0xfc
	v_mad_u32_u24 v26, v0, s16, v25
	ds_read_b32 v27, v26 offset:4168
	s_waitcnt lgkmcnt(0)
	ds_write_b32 v25, v27 offset:4672
	ds_read_b32 v26, v26 offset:4172
	s_waitcnt lgkmcnt(0)
	ds_write_b32 v25, v26 offset:4928
.LBB21_321:
	s_or_b64 exec, exec, s[14:15]
	s_waitcnt lgkmcnt(0)
	s_barrier
	s_and_saveexec_b64 s[14:15], vcc
	s_cbranch_execz .LBB21_323
; %bb.322:
	v_mov_b32_e32 v27, 0
	ds_read_b32 v25, v27 offset:4684
	v_mov_b32_e32 v26, 1.0
	ds_write_b32 v27, v26 offset:4680
	s_waitcnt lgkmcnt(1)
	ds_write_b64 v27, v[25:26] offset:4936
.LBB21_323:
	s_or_b64 exec, exec, s[14:15]
	v_mov_b32_e32 v25, 0
	s_waitcnt lgkmcnt(0)
	s_barrier
	s_and_saveexec_b64 s[16:17], s[18:19]
	s_cbranch_execz .LBB21_329
; %bb.324:
	v_mul_u32_u24_e32 v26, 0x104, v14
	ds_read_b32 v25, v10 offset:4176
	ds_read_b32 v27, v26 offset:4160
	v_cmp_gt_u32_e64 s[14:15], 12, v4
	s_waitcnt lgkmcnt(0)
	v_fma_f32 v25, v25, v27, 0
	s_and_saveexec_b64 s[20:21], s[14:15]
	s_cbranch_execnz .LBB21_1184
; %bb.325:
	s_or_b64 exec, exec, s[20:21]
	v_cmp_gt_u32_e64 s[14:15], 8, v4
	s_and_saveexec_b64 s[20:21], s[14:15]
	s_cbranch_execnz .LBB21_1185
.LBB21_326:
	s_or_b64 exec, exec, s[20:21]
	v_cmp_gt_u32_e64 s[14:15], 4, v4
	s_and_saveexec_b64 s[20:21], s[14:15]
	s_cbranch_execz .LBB21_328
.LBB21_327:
	v_lshlrev_b32_e32 v26, 2, v0
	v_mov_b32_e32 v27, 0
	ds_read_b32 v26, v26 offset:4944
	ds_read_b32 v27, v27 offset:4172
	s_waitcnt lgkmcnt(0)
	v_fmac_f32_e32 v25, v26, v27
.LBB21_328:
	s_or_b64 exec, exec, s[20:21]
	v_xor_b32_e32 v25, 0x80000000, v25
.LBB21_329:
	s_or_b64 exec, exec, s[16:17]
	s_and_saveexec_b64 s[14:15], s[40:41]
; %bb.330:
	ds_write_b32 v12, v25
; %bb.331:
	s_or_b64 exec, exec, s[14:15]
	s_waitcnt lgkmcnt(0)
	s_barrier
	s_and_saveexec_b64 s[14:15], s[42:43]
	s_cbranch_execz .LBB21_333
; %bb.332:
	ds_read_b32 v26, v11 offset:5200
	ds_read_b32 v27, v12
	s_waitcnt lgkmcnt(0)
	v_fmac_f32_e32 v25, v26, v27
.LBB21_333:
	s_or_b64 exec, exec, s[14:15]
	s_barrier
	s_and_saveexec_b64 s[14:15], s[44:45]
; %bb.334:
	ds_write_b32 v12, v25
; %bb.335:
	s_or_b64 exec, exec, s[14:15]
	s_waitcnt lgkmcnt(0)
	s_barrier
	s_and_saveexec_b64 s[14:15], s[46:47]
	s_cbranch_execz .LBB21_337
; %bb.336:
	ds_read_b32 v26, v11 offset:5456
	ds_read_b32 v27, v12
	s_waitcnt lgkmcnt(0)
	v_fmac_f32_e32 v25, v26, v27
.LBB21_337:
	s_or_b64 exec, exec, s[14:15]
	s_barrier
	s_and_saveexec_b64 s[14:15], s[48:49]
; %bb.338:
	ds_write_b32 v12, v25
; %bb.339:
	s_or_b64 exec, exec, s[14:15]
	s_waitcnt lgkmcnt(0)
	s_barrier
	s_and_saveexec_b64 s[14:15], s[38:39]
	s_cbranch_execz .LBB21_341
; %bb.340:
	v_mov_b32_e32 v26, 0
	ds_read_b32 v26, v26 offset:5724
	ds_read_b32 v27, v12
	s_waitcnt lgkmcnt(0)
	v_fmac_f32_e32 v25, v26, v27
.LBB21_341:
	s_or_b64 exec, exec, s[14:15]
	s_barrier
	s_and_saveexec_b64 s[14:15], s[38:39]
; %bb.342:
	ds_write_b32 v12, v25
; %bb.343:
	s_or_b64 exec, exec, s[14:15]
	s_waitcnt lgkmcnt(0)
	s_barrier
	s_barrier
	s_and_saveexec_b64 s[14:15], s[18:19]
; %bb.344:
	v_xor_b32_e32 v25, 0x80000000, v25
	ds_write_b32 v10, v25 offset:4176
; %bb.345:
	s_or_b64 exec, exec, s[14:15]
	s_waitcnt lgkmcnt(0)
	s_barrier
	s_barrier
	s_and_saveexec_b64 s[14:15], s[50:51]
	s_cbranch_execz .LBB21_347
; %bb.346:
	v_lshlrev_b32_e32 v25, 8, v0
	ds_read_b32 v26, v25 offset:4176
	s_movk_i32 s16, 0xff04
	v_mad_i32_i24 v27, v0, s16, v25
	s_waitcnt lgkmcnt(0)
	ds_write_b32 v27, v26 offset:5184
	ds_read_b32 v26, v25 offset:4180
	s_waitcnt lgkmcnt(0)
	ds_write_b32 v27, v26 offset:5440
	ds_read_b32 v26, v25 offset:4184
	;; [unrolled: 3-line block ×3, first 2 shown]
	s_waitcnt lgkmcnt(0)
	ds_write_b32 v27, v25 offset:5952
.LBB21_347:
	s_or_b64 exec, exec, s[14:15]
	s_waitcnt lgkmcnt(0)
	s_barrier
	s_and_saveexec_b64 s[14:15], vcc
	s_cbranch_execz .LBB21_349
; %bb.348:
	v_mov_b32_e32 v27, 0
	ds_read_b32 v25, v27 offset:5204
	v_mov_b32_e32 v26, 1.0
	ds_write_b32 v27, v26 offset:5200
	s_waitcnt lgkmcnt(1)
	ds_write_b64 v27, v[25:26] offset:5456
.LBB21_349:
	s_or_b64 exec, exec, s[14:15]
	v_mov_b32_e32 v25, 0
	s_waitcnt lgkmcnt(0)
	s_barrier
	s_and_saveexec_b64 s[16:17], s[2:3]
	s_cbranch_execz .LBB21_353
; %bb.350:
	v_mul_u32_u24_e32 v25, 0x104, v5
	ds_read_b32 v27, v2 offset:5208
	ds_read_b32 v25, v25 offset:5200
	v_mov_b32_e32 v26, 0
	v_cmp_gt_u32_e64 s[14:15], 2, v4
	s_waitcnt lgkmcnt(0)
	v_fma_f32 v25, v27, v25, 0
	s_and_saveexec_b64 s[20:21], s[14:15]
	s_cbranch_execz .LBB21_352
; %bb.351:
	v_lshlrev_b32_e32 v27, 2, v0
	ds_read_b32 v27, v27 offset:5464
	ds_read_b32 v26, v26 offset:5204
	s_waitcnt lgkmcnt(0)
	v_fmac_f32_e32 v25, v27, v26
.LBB21_352:
	s_or_b64 exec, exec, s[20:21]
	v_xor_b32_e32 v25, 0x80000000, v25
.LBB21_353:
	s_or_b64 exec, exec, s[16:17]
	s_and_saveexec_b64 s[14:15], s[34:35]
; %bb.354:
	ds_write_b32 v3, v25
; %bb.355:
	s_or_b64 exec, exec, s[14:15]
	s_waitcnt lgkmcnt(0)
	s_barrier
	s_and_saveexec_b64 s[14:15], s[26:27]
	s_cbranch_execz .LBB21_357
; %bb.356:
	v_mov_b32_e32 v26, 0
	ds_read_b32 v26, v26 offset:5724
	ds_read_b32 v27, v3
	s_waitcnt lgkmcnt(0)
	v_fmac_f32_e32 v25, v26, v27
.LBB21_357:
	s_or_b64 exec, exec, s[14:15]
	s_barrier
	s_and_saveexec_b64 s[14:15], s[26:27]
; %bb.358:
	ds_write_b32 v3, v25
; %bb.359:
	s_or_b64 exec, exec, s[14:15]
	s_waitcnt lgkmcnt(0)
	s_barrier
	s_barrier
	s_and_saveexec_b64 s[14:15], s[2:3]
; %bb.360:
	v_xor_b32_e32 v25, 0x80000000, v25
	ds_write_b32 v2, v25 offset:5208
; %bb.361:
	s_or_b64 exec, exec, s[14:15]
	s_waitcnt lgkmcnt(0)
	s_barrier
	s_barrier
	s_and_saveexec_b64 s[14:15], s[36:37]
	s_cbranch_execz .LBB21_363
; %bb.362:
	v_lshlrev_b32_e32 v25, 2, v0
	s_movk_i32 s16, 0xfc
	v_mad_u32_u24 v26, v0, s16, v25
	ds_read_b32 v27, v26 offset:5208
	s_waitcnt lgkmcnt(0)
	ds_write_b32 v25, v27 offset:5712
	ds_read_b32 v26, v26 offset:5212
	s_waitcnt lgkmcnt(0)
	ds_write_b32 v25, v26 offset:5968
.LBB21_363:
	s_or_b64 exec, exec, s[14:15]
	s_waitcnt lgkmcnt(0)
	s_barrier
	s_and_saveexec_b64 s[14:15], vcc
	s_cbranch_execz .LBB21_365
; %bb.364:
	v_mov_b32_e32 v27, 0
	ds_read_b32 v25, v27 offset:5724
	v_mov_b32_e32 v26, 1.0
	ds_write_b32 v27, v26 offset:5720
	s_waitcnt lgkmcnt(1)
	ds_write_b64 v27, v[25:26] offset:5976
.LBB21_365:
	s_or_b64 exec, exec, s[14:15]
	v_mov_b32_e32 v25, 0
	s_waitcnt lgkmcnt(0)
	s_barrier
	s_and_saveexec_b64 s[16:17], s[8:9]
	s_cbranch_execz .LBB21_375
; %bb.366:
	v_mul_u32_u24_e32 v26, 0x104, v19
	ds_read_b32 v25, v15 offset:4192
	ds_read_b32 v27, v26 offset:4160
	v_cmp_gt_u32_e64 s[14:15], 56, v4
	s_waitcnt lgkmcnt(0)
	v_fma_f32 v25, v25, v27, 0
	s_and_saveexec_b64 s[20:21], s[14:15]
	s_cbranch_execnz .LBB21_1186
; %bb.367:
	s_or_b64 exec, exec, s[20:21]
	v_cmp_gt_u32_e64 s[14:15], 48, v4
	s_and_saveexec_b64 s[20:21], s[14:15]
	s_cbranch_execnz .LBB21_1187
.LBB21_368:
	s_or_b64 exec, exec, s[20:21]
	v_cmp_gt_u32_e64 s[14:15], 40, v4
	s_and_saveexec_b64 s[20:21], s[14:15]
	s_cbranch_execnz .LBB21_1188
.LBB21_369:
	s_or_b64 exec, exec, s[20:21]
	v_cmp_gt_u32_e64 s[14:15], 32, v4
	s_and_saveexec_b64 s[20:21], s[14:15]
	s_cbranch_execnz .LBB21_1189
.LBB21_370:
	s_or_b64 exec, exec, s[20:21]
	v_cmp_gt_u32_e64 s[14:15], 24, v4
	s_and_saveexec_b64 s[20:21], s[14:15]
	s_cbranch_execnz .LBB21_1190
.LBB21_371:
	s_or_b64 exec, exec, s[20:21]
	v_cmp_gt_u32_e64 s[14:15], 16, v4
	s_and_saveexec_b64 s[20:21], s[14:15]
	s_cbranch_execnz .LBB21_1191
.LBB21_372:
	s_or_b64 exec, exec, s[20:21]
	v_cmp_gt_u32_e64 s[14:15], 8, v4
	s_and_saveexec_b64 s[20:21], s[14:15]
	s_cbranch_execz .LBB21_374
.LBB21_373:
	v_lshlrev_b32_e32 v26, 2, v0
	v_mov_b32_e32 v27, 0
	ds_read_b32 v26, v26 offset:5984
	ds_read_b32 v27, v27 offset:4188
	s_waitcnt lgkmcnt(0)
	v_fmac_f32_e32 v25, v26, v27
.LBB21_374:
	s_or_b64 exec, exec, s[20:21]
	v_xor_b32_e32 v25, 0x80000000, v25
.LBB21_375:
	s_or_b64 exec, exec, s[16:17]
	s_and_saveexec_b64 s[14:15], s[52:53]
; %bb.376:
	ds_write_b32 v17, v25
; %bb.377:
	s_or_b64 exec, exec, s[14:15]
	s_waitcnt lgkmcnt(0)
	s_barrier
	s_and_saveexec_b64 s[14:15], s[54:55]
	s_cbranch_execz .LBB21_379
; %bb.378:
	ds_read_b32 v26, v16 offset:6240
	ds_read_b32 v27, v17
	s_waitcnt lgkmcnt(0)
	v_fmac_f32_e32 v25, v26, v27
.LBB21_379:
	s_or_b64 exec, exec, s[14:15]
	s_barrier
	s_and_saveexec_b64 s[14:15], s[56:57]
; %bb.380:
	ds_write_b32 v17, v25
; %bb.381:
	s_or_b64 exec, exec, s[14:15]
	s_waitcnt lgkmcnt(0)
	s_barrier
	s_and_saveexec_b64 s[14:15], s[58:59]
	s_cbranch_execz .LBB21_383
; %bb.382:
	ds_read_b32 v26, v16 offset:6496
	ds_read_b32 v27, v17
	s_waitcnt lgkmcnt(0)
	v_fmac_f32_e32 v25, v26, v27
.LBB21_383:
	s_or_b64 exec, exec, s[14:15]
	s_barrier
	;; [unrolled: 17-line block ×6, first 2 shown]
	s_and_saveexec_b64 s[14:15], s[78:79]
; %bb.400:
	ds_write_b32 v17, v25
; %bb.401:
	s_or_b64 exec, exec, s[14:15]
	s_waitcnt lgkmcnt(0)
	s_barrier
	s_and_saveexec_b64 s[14:15], s[60:61]
	s_cbranch_execz .LBB21_403
; %bb.402:
	v_mov_b32_e32 v26, 0
	ds_read_b32 v26, v26 offset:7804
	ds_read_b32 v27, v17
	s_waitcnt lgkmcnt(0)
	v_fmac_f32_e32 v25, v26, v27
.LBB21_403:
	s_or_b64 exec, exec, s[14:15]
	s_barrier
	s_and_saveexec_b64 s[14:15], s[60:61]
; %bb.404:
	ds_write_b32 v17, v25
; %bb.405:
	s_or_b64 exec, exec, s[14:15]
	s_waitcnt lgkmcnt(0)
	s_barrier
	s_barrier
	s_and_saveexec_b64 s[14:15], s[8:9]
; %bb.406:
	v_xor_b32_e32 v25, 0x80000000, v25
	ds_write_b32 v15, v25 offset:4192
; %bb.407:
	s_or_b64 exec, exec, s[14:15]
	s_waitcnt lgkmcnt(0)
	s_barrier
	s_barrier
	s_and_saveexec_b64 s[14:15], s[80:81]
	s_cbranch_execz .LBB21_409
; %bb.408:
	v_lshlrev_b32_e32 v25, 8, v0
	ds_read_b32 v26, v25 offset:4192
	s_movk_i32 s16, 0xff04
	v_mad_i32_i24 v27, v0, s16, v25
	s_waitcnt lgkmcnt(0)
	ds_write_b32 v27, v26 offset:6208
	ds_read_b32 v26, v25 offset:4196
	s_waitcnt lgkmcnt(0)
	ds_write_b32 v27, v26 offset:6464
	ds_read_b32 v26, v25 offset:4200
	;; [unrolled: 3-line block ×7, first 2 shown]
	s_waitcnt lgkmcnt(0)
	ds_write_b32 v27, v25 offset:8000
.LBB21_409:
	s_or_b64 exec, exec, s[14:15]
	s_waitcnt lgkmcnt(0)
	s_barrier
	s_and_saveexec_b64 s[14:15], vcc
	s_cbranch_execz .LBB21_411
; %bb.410:
	v_mov_b32_e32 v27, 0
	ds_read_b32 v25, v27 offset:6244
	v_mov_b32_e32 v26, 1.0
	ds_write_b32 v27, v26 offset:6240
	s_waitcnt lgkmcnt(1)
	ds_write_b64 v27, v[25:26] offset:6496
.LBB21_411:
	s_or_b64 exec, exec, s[14:15]
	v_mov_b32_e32 v25, 0
	s_waitcnt lgkmcnt(0)
	s_barrier
	s_and_saveexec_b64 s[16:17], s[2:3]
	s_cbranch_execz .LBB21_415
; %bb.412:
	v_mul_u32_u24_e32 v25, 0x104, v5
	ds_read_b32 v27, v2 offset:6248
	ds_read_b32 v25, v25 offset:6240
	v_mov_b32_e32 v26, 0
	v_cmp_gt_u32_e64 s[14:15], 2, v4
	s_waitcnt lgkmcnt(0)
	v_fma_f32 v25, v27, v25, 0
	s_and_saveexec_b64 s[20:21], s[14:15]
	s_cbranch_execz .LBB21_414
; %bb.413:
	v_lshlrev_b32_e32 v27, 2, v0
	ds_read_b32 v27, v27 offset:6504
	ds_read_b32 v26, v26 offset:6244
	s_waitcnt lgkmcnt(0)
	v_fmac_f32_e32 v25, v27, v26
.LBB21_414:
	s_or_b64 exec, exec, s[20:21]
	v_xor_b32_e32 v25, 0x80000000, v25
.LBB21_415:
	s_or_b64 exec, exec, s[16:17]
	s_and_saveexec_b64 s[14:15], s[34:35]
; %bb.416:
	ds_write_b32 v3, v25
; %bb.417:
	s_or_b64 exec, exec, s[14:15]
	s_waitcnt lgkmcnt(0)
	s_barrier
	s_and_saveexec_b64 s[14:15], s[26:27]
	s_cbranch_execz .LBB21_419
; %bb.418:
	v_mov_b32_e32 v26, 0
	ds_read_b32 v26, v26 offset:6764
	ds_read_b32 v27, v3
	s_waitcnt lgkmcnt(0)
	v_fmac_f32_e32 v25, v26, v27
.LBB21_419:
	s_or_b64 exec, exec, s[14:15]
	s_barrier
	s_and_saveexec_b64 s[14:15], s[26:27]
; %bb.420:
	ds_write_b32 v3, v25
; %bb.421:
	s_or_b64 exec, exec, s[14:15]
	s_waitcnt lgkmcnt(0)
	s_barrier
	s_barrier
	s_and_saveexec_b64 s[14:15], s[2:3]
; %bb.422:
	v_xor_b32_e32 v25, 0x80000000, v25
	ds_write_b32 v2, v25 offset:6248
; %bb.423:
	s_or_b64 exec, exec, s[14:15]
	s_waitcnt lgkmcnt(0)
	s_barrier
	s_barrier
	s_and_saveexec_b64 s[14:15], s[36:37]
	s_cbranch_execz .LBB21_425
; %bb.424:
	v_lshlrev_b32_e32 v25, 2, v0
	s_movk_i32 s16, 0xfc
	v_mad_u32_u24 v26, v0, s16, v25
	ds_read_b32 v27, v26 offset:6248
	s_waitcnt lgkmcnt(0)
	ds_write_b32 v25, v27 offset:6752
	ds_read_b32 v26, v26 offset:6252
	s_waitcnt lgkmcnt(0)
	ds_write_b32 v25, v26 offset:7008
.LBB21_425:
	s_or_b64 exec, exec, s[14:15]
	s_waitcnt lgkmcnt(0)
	s_barrier
	s_and_saveexec_b64 s[14:15], vcc
	s_cbranch_execz .LBB21_427
; %bb.426:
	v_mov_b32_e32 v27, 0
	ds_read_b32 v25, v27 offset:6764
	v_mov_b32_e32 v26, 1.0
	ds_write_b32 v27, v26 offset:6760
	s_waitcnt lgkmcnt(1)
	ds_write_b64 v27, v[25:26] offset:7016
.LBB21_427:
	s_or_b64 exec, exec, s[14:15]
	v_mov_b32_e32 v25, 0
	s_waitcnt lgkmcnt(0)
	s_barrier
	s_and_saveexec_b64 s[16:17], s[18:19]
	s_cbranch_execz .LBB21_433
; %bb.428:
	v_mul_u32_u24_e32 v26, 0x104, v14
	ds_read_b32 v25, v10 offset:6256
	ds_read_b32 v27, v26 offset:6240
	v_cmp_gt_u32_e64 s[14:15], 12, v4
	s_waitcnt lgkmcnt(0)
	v_fma_f32 v25, v25, v27, 0
	s_and_saveexec_b64 s[20:21], s[14:15]
	s_cbranch_execnz .LBB21_1192
; %bb.429:
	s_or_b64 exec, exec, s[20:21]
	v_cmp_gt_u32_e64 s[14:15], 8, v4
	s_and_saveexec_b64 s[20:21], s[14:15]
	s_cbranch_execnz .LBB21_1193
.LBB21_430:
	s_or_b64 exec, exec, s[20:21]
	v_cmp_gt_u32_e64 s[14:15], 4, v4
	s_and_saveexec_b64 s[20:21], s[14:15]
	s_cbranch_execz .LBB21_432
.LBB21_431:
	v_lshlrev_b32_e32 v26, 2, v0
	v_mov_b32_e32 v27, 0
	ds_read_b32 v26, v26 offset:7024
	ds_read_b32 v27, v27 offset:6252
	s_waitcnt lgkmcnt(0)
	v_fmac_f32_e32 v25, v26, v27
.LBB21_432:
	s_or_b64 exec, exec, s[20:21]
	v_xor_b32_e32 v25, 0x80000000, v25
.LBB21_433:
	s_or_b64 exec, exec, s[16:17]
	s_and_saveexec_b64 s[14:15], s[40:41]
; %bb.434:
	ds_write_b32 v12, v25
; %bb.435:
	s_or_b64 exec, exec, s[14:15]
	s_waitcnt lgkmcnt(0)
	s_barrier
	s_and_saveexec_b64 s[14:15], s[42:43]
	s_cbranch_execz .LBB21_437
; %bb.436:
	ds_read_b32 v26, v11 offset:7280
	ds_read_b32 v27, v12
	s_waitcnt lgkmcnt(0)
	v_fmac_f32_e32 v25, v26, v27
.LBB21_437:
	s_or_b64 exec, exec, s[14:15]
	s_barrier
	s_and_saveexec_b64 s[14:15], s[44:45]
; %bb.438:
	ds_write_b32 v12, v25
; %bb.439:
	s_or_b64 exec, exec, s[14:15]
	s_waitcnt lgkmcnt(0)
	s_barrier
	s_and_saveexec_b64 s[14:15], s[46:47]
	s_cbranch_execz .LBB21_441
; %bb.440:
	ds_read_b32 v26, v11 offset:7536
	ds_read_b32 v27, v12
	s_waitcnt lgkmcnt(0)
	v_fmac_f32_e32 v25, v26, v27
.LBB21_441:
	s_or_b64 exec, exec, s[14:15]
	s_barrier
	s_and_saveexec_b64 s[14:15], s[48:49]
; %bb.442:
	ds_write_b32 v12, v25
; %bb.443:
	s_or_b64 exec, exec, s[14:15]
	s_waitcnt lgkmcnt(0)
	s_barrier
	s_and_saveexec_b64 s[14:15], s[38:39]
	s_cbranch_execz .LBB21_445
; %bb.444:
	v_mov_b32_e32 v26, 0
	ds_read_b32 v26, v26 offset:7804
	ds_read_b32 v27, v12
	s_waitcnt lgkmcnt(0)
	v_fmac_f32_e32 v25, v26, v27
.LBB21_445:
	s_or_b64 exec, exec, s[14:15]
	s_barrier
	s_and_saveexec_b64 s[14:15], s[38:39]
; %bb.446:
	ds_write_b32 v12, v25
; %bb.447:
	s_or_b64 exec, exec, s[14:15]
	s_waitcnt lgkmcnt(0)
	s_barrier
	s_barrier
	s_and_saveexec_b64 s[14:15], s[18:19]
; %bb.448:
	v_xor_b32_e32 v25, 0x80000000, v25
	ds_write_b32 v10, v25 offset:6256
; %bb.449:
	s_or_b64 exec, exec, s[14:15]
	s_waitcnt lgkmcnt(0)
	s_barrier
	s_barrier
	s_and_saveexec_b64 s[14:15], s[50:51]
	s_cbranch_execz .LBB21_451
; %bb.450:
	v_lshlrev_b32_e32 v25, 8, v0
	ds_read_b32 v26, v25 offset:6256
	s_movk_i32 s16, 0xff04
	v_mad_i32_i24 v27, v0, s16, v25
	s_waitcnt lgkmcnt(0)
	ds_write_b32 v27, v26 offset:7264
	ds_read_b32 v26, v25 offset:6260
	s_waitcnt lgkmcnt(0)
	ds_write_b32 v27, v26 offset:7520
	ds_read_b32 v26, v25 offset:6264
	;; [unrolled: 3-line block ×3, first 2 shown]
	s_waitcnt lgkmcnt(0)
	ds_write_b32 v27, v25 offset:8032
.LBB21_451:
	s_or_b64 exec, exec, s[14:15]
	s_waitcnt lgkmcnt(0)
	s_barrier
	s_and_saveexec_b64 s[14:15], vcc
	s_cbranch_execz .LBB21_453
; %bb.452:
	v_mov_b32_e32 v27, 0
	ds_read_b32 v25, v27 offset:7284
	v_mov_b32_e32 v26, 1.0
	ds_write_b32 v27, v26 offset:7280
	s_waitcnt lgkmcnt(1)
	ds_write_b64 v27, v[25:26] offset:7536
.LBB21_453:
	s_or_b64 exec, exec, s[14:15]
	v_mov_b32_e32 v25, 0
	s_waitcnt lgkmcnt(0)
	s_barrier
	s_and_saveexec_b64 s[16:17], s[2:3]
	s_cbranch_execz .LBB21_457
; %bb.454:
	v_mul_u32_u24_e32 v25, 0x104, v5
	ds_read_b32 v27, v2 offset:7288
	ds_read_b32 v25, v25 offset:7280
	v_mov_b32_e32 v26, 0
	v_cmp_gt_u32_e64 s[14:15], 2, v4
	s_waitcnt lgkmcnt(0)
	v_fma_f32 v25, v27, v25, 0
	s_and_saveexec_b64 s[20:21], s[14:15]
	s_cbranch_execz .LBB21_456
; %bb.455:
	v_lshlrev_b32_e32 v27, 2, v0
	ds_read_b32 v27, v27 offset:7544
	ds_read_b32 v26, v26 offset:7284
	s_waitcnt lgkmcnt(0)
	v_fmac_f32_e32 v25, v27, v26
.LBB21_456:
	s_or_b64 exec, exec, s[20:21]
	v_xor_b32_e32 v25, 0x80000000, v25
.LBB21_457:
	s_or_b64 exec, exec, s[16:17]
	s_and_saveexec_b64 s[14:15], s[34:35]
; %bb.458:
	ds_write_b32 v3, v25
; %bb.459:
	s_or_b64 exec, exec, s[14:15]
	s_waitcnt lgkmcnt(0)
	s_barrier
	s_and_saveexec_b64 s[14:15], s[26:27]
	s_cbranch_execz .LBB21_461
; %bb.460:
	v_mov_b32_e32 v26, 0
	ds_read_b32 v26, v26 offset:7804
	ds_read_b32 v27, v3
	s_waitcnt lgkmcnt(0)
	v_fmac_f32_e32 v25, v26, v27
.LBB21_461:
	s_or_b64 exec, exec, s[14:15]
	s_barrier
	s_and_saveexec_b64 s[14:15], s[26:27]
; %bb.462:
	ds_write_b32 v3, v25
; %bb.463:
	s_or_b64 exec, exec, s[14:15]
	s_waitcnt lgkmcnt(0)
	s_barrier
	s_barrier
	s_and_saveexec_b64 s[14:15], s[2:3]
; %bb.464:
	v_xor_b32_e32 v25, 0x80000000, v25
	ds_write_b32 v2, v25 offset:7288
; %bb.465:
	s_or_b64 exec, exec, s[14:15]
	s_waitcnt lgkmcnt(0)
	s_barrier
	s_barrier
	s_and_saveexec_b64 s[14:15], s[36:37]
	s_cbranch_execz .LBB21_467
; %bb.466:
	v_lshlrev_b32_e32 v25, 2, v0
	s_movk_i32 s16, 0xfc
	v_mad_u32_u24 v26, v0, s16, v25
	ds_read_b32 v27, v26 offset:7288
	s_waitcnt lgkmcnt(0)
	ds_write_b32 v25, v27 offset:7792
	ds_read_b32 v26, v26 offset:7292
	s_waitcnt lgkmcnt(0)
	ds_write_b32 v25, v26 offset:8048
.LBB21_467:
	s_or_b64 exec, exec, s[14:15]
	s_waitcnt lgkmcnt(0)
	s_barrier
	s_and_saveexec_b64 s[14:15], vcc
	s_cbranch_execz .LBB21_469
; %bb.468:
	v_mov_b32_e32 v27, 0
	ds_read_b32 v25, v27 offset:7804
	v_mov_b32_e32 v26, 1.0
	ds_write_b32 v27, v26 offset:7800
	s_waitcnt lgkmcnt(1)
	ds_write_b64 v27, v[25:26] offset:8056
.LBB21_469:
	s_or_b64 exec, exec, s[14:15]
	v_and_b32_e32 v26, 31, v0
	s_movk_i32 s14, 0x3ff
	v_lshrrev_b32_e32 v29, 5, v4
	v_cmp_lt_u32_e64 s[16:17], s14, v4
	s_movk_i32 s14, 0x400
	v_lshlrev_b32_e32 v27, 2, v26
	v_cmp_gt_u32_e64 s[14:15], s14, v4
	v_lshl_or_b32 v25, v29, 8, v27
	v_mov_b32_e32 v28, 0
	s_waitcnt lgkmcnt(0)
	s_barrier
	s_and_saveexec_b64 s[82:83], s[14:15]
	s_cbranch_execz .LBB21_531
; %bb.470:
	v_mul_u32_u24_e32 v30, 0x104, v29
	ds_read_b32 v28, v25 offset:128
	ds_read_b32 v31, v30
	s_movk_i32 s20, 0x3e0
	v_cmp_gt_u32_e64 s[20:21], s20, v4
	s_waitcnt lgkmcnt(0)
	v_fma_f32 v28, v28, v31, 0
	s_and_saveexec_b64 s[84:85], s[20:21]
	s_cbranch_execz .LBB21_472
; %bb.471:
	ds_read_b32 v31, v25 offset:384
	ds_read_b32 v32, v30 offset:4
	s_waitcnt lgkmcnt(0)
	v_fmac_f32_e32 v28, v31, v32
.LBB21_472:
	s_or_b64 exec, exec, s[84:85]
	s_movk_i32 s20, 0x3c0
	v_cmp_gt_u32_e64 s[20:21], s20, v4
	s_and_saveexec_b64 s[84:85], s[20:21]
	s_cbranch_execz .LBB21_474
; %bb.473:
	ds_read_b32 v31, v25 offset:640
	ds_read_b32 v32, v30 offset:8
	s_waitcnt lgkmcnt(0)
	v_fmac_f32_e32 v28, v31, v32
.LBB21_474:
	s_or_b64 exec, exec, s[84:85]
	s_movk_i32 s20, 0x3a0
	v_cmp_gt_u32_e64 s[20:21], s20, v4
	;; [unrolled: 11-line block ×28, first 2 shown]
	s_and_saveexec_b64 s[84:85], s[20:21]
	s_cbranch_execnz .LBB21_1194
; %bb.527:
	s_or_b64 exec, exec, s[84:85]
	v_cmp_gt_u32_e64 s[20:21], 64, v4
	s_and_saveexec_b64 s[84:85], s[20:21]
	s_cbranch_execnz .LBB21_1195
.LBB21_528:
	s_or_b64 exec, exec, s[84:85]
	v_cmp_gt_u32_e64 s[20:21], 32, v4
	s_and_saveexec_b64 s[84:85], s[20:21]
	s_cbranch_execz .LBB21_530
.LBB21_529:
	v_lshlrev_b32_e32 v30, 2, v0
	v_mov_b32_e32 v31, 0
	ds_read_b32 v30, v30 offset:8064
	ds_read_b32 v31, v31 offset:124
	s_waitcnt lgkmcnt(0)
	v_fmac_f32_e32 v28, v30, v31
.LBB21_530:
	s_or_b64 exec, exec, s[84:85]
	v_xor_b32_e32 v28, 0x80000000, v28
.LBB21_531:
	s_or_b64 exec, exec, s[82:83]
	v_mov_b32_e32 v30, 0x4000
	v_cmp_eq_u32_e64 s[20:21], 0, v26
	s_xor_b64 s[82:83], s[16:17], -1
	v_lshl_or_b32 v29, v29, 2, v30
	s_and_b64 s[20:21], s[20:21], s[82:83]
	s_and_saveexec_b64 s[16:17], s[20:21]
; %bb.532:
	ds_write_b32 v29, v28
; %bb.533:
	s_or_b64 exec, exec, s[16:17]
	v_cmp_ne_u32_e64 s[16:17], 0, v26
	s_and_b64 s[20:21], s[16:17], s[82:83]
	s_waitcnt lgkmcnt(0)
	s_barrier
	s_and_saveexec_b64 s[16:17], s[20:21]
	s_cbranch_execz .LBB21_535
; %bb.534:
	ds_read_b32 v30, v27 offset:8320
	ds_read_b32 v31, v29
	s_waitcnt lgkmcnt(0)
	v_fmac_f32_e32 v28, v30, v31
.LBB21_535:
	s_or_b64 exec, exec, s[16:17]
	v_cmp_eq_u32_e64 s[16:17], 1, v26
	s_and_b64 s[20:21], s[16:17], s[82:83]
	s_barrier
	s_and_saveexec_b64 s[16:17], s[20:21]
; %bb.536:
	ds_write_b32 v29, v28
; %bb.537:
	s_or_b64 exec, exec, s[16:17]
	v_cmp_lt_u32_e64 s[16:17], 1, v26
	s_and_b64 s[20:21], s[16:17], s[82:83]
	s_waitcnt lgkmcnt(0)
	s_barrier
	s_and_saveexec_b64 s[16:17], s[20:21]
	s_cbranch_execz .LBB21_539
; %bb.538:
	ds_read_b32 v30, v27 offset:8576
	ds_read_b32 v31, v29
	s_waitcnt lgkmcnt(0)
	v_fmac_f32_e32 v28, v30, v31
.LBB21_539:
	s_or_b64 exec, exec, s[16:17]
	v_cmp_eq_u32_e64 s[16:17], 2, v26
	s_and_b64 s[20:21], s[16:17], s[82:83]
	s_barrier
	s_and_saveexec_b64 s[16:17], s[20:21]
; %bb.540:
	ds_write_b32 v29, v28
; %bb.541:
	s_or_b64 exec, exec, s[16:17]
	v_cmp_lt_u32_e64 s[16:17], 2, v26
	;; [unrolled: 21-line block ×29, first 2 shown]
	s_and_b64 s[20:21], s[16:17], s[82:83]
	s_waitcnt lgkmcnt(0)
	s_barrier
	s_and_saveexec_b64 s[16:17], s[20:21]
	s_cbranch_execz .LBB21_651
; %bb.650:
	ds_read_b32 v27, v27 offset:15744
	ds_read_b32 v30, v29
	s_waitcnt lgkmcnt(0)
	v_fmac_f32_e32 v28, v27, v30
.LBB21_651:
	s_or_b64 exec, exec, s[16:17]
	v_cmp_eq_u32_e64 s[16:17], 30, v26
	s_and_b64 s[20:21], s[16:17], s[82:83]
	s_barrier
	s_and_saveexec_b64 s[16:17], s[20:21]
; %bb.652:
	ds_write_b32 v29, v28
; %bb.653:
	s_or_b64 exec, exec, s[16:17]
	v_cmp_eq_u32_e64 s[16:17], 31, v26
	s_and_b64 s[16:17], s[16:17], s[82:83]
	s_waitcnt lgkmcnt(0)
	s_barrier
	s_and_saveexec_b64 s[20:21], s[16:17]
	s_cbranch_execz .LBB21_655
; %bb.654:
	v_mov_b32_e32 v26, 0
	ds_read_b32 v26, v26 offset:16124
	ds_read_b32 v27, v29
	s_waitcnt lgkmcnt(0)
	v_fmac_f32_e32 v28, v26, v27
.LBB21_655:
	s_or_b64 exec, exec, s[20:21]
	s_barrier
	s_and_saveexec_b64 s[20:21], s[16:17]
; %bb.656:
	ds_write_b32 v29, v28
; %bb.657:
	s_or_b64 exec, exec, s[20:21]
	s_waitcnt lgkmcnt(0)
	s_barrier
	s_barrier
	s_and_saveexec_b64 s[16:17], s[14:15]
; %bb.658:
	v_xor_b32_e32 v26, 0x80000000, v28
	ds_write_b32 v25, v26 offset:128
; %bb.659:
	s_or_b64 exec, exec, s[16:17]
	v_cmp_gt_u32_e64 s[14:15], 32, v0
	s_and_b64 s[14:15], s[12:13], s[14:15]
	s_waitcnt lgkmcnt(0)
	s_barrier
	s_barrier
	s_and_saveexec_b64 s[12:13], s[14:15]
	s_cbranch_execz .LBB21_661
; %bb.660:
	v_lshlrev_b32_e32 v25, 8, v0
	ds_read_b32 v26, v25 offset:128
	s_movk_i32 s14, 0xff04
	v_mad_i32_i24 v27, v0, s14, v25
	s_waitcnt lgkmcnt(0)
	ds_write_b32 v27, v26 offset:8192
	ds_read_b32 v26, v25 offset:132
	s_waitcnt lgkmcnt(0)
	ds_write_b32 v27, v26 offset:8448
	ds_read_b32 v26, v25 offset:136
	;; [unrolled: 3-line block ×31, first 2 shown]
	s_waitcnt lgkmcnt(0)
	ds_write_b32 v27, v25 offset:16128
.LBB21_661:
	s_or_b64 exec, exec, s[12:13]
	s_waitcnt lgkmcnt(0)
	s_barrier
	s_and_saveexec_b64 s[12:13], vcc
	s_cbranch_execz .LBB21_663
; %bb.662:
	v_mov_b32_e32 v27, 0
	ds_read_b32 v25, v27 offset:8324
	v_mov_b32_e32 v26, 1.0
	ds_write_b32 v27, v26 offset:8320
	s_waitcnt lgkmcnt(1)
	ds_write_b64 v27, v[25:26] offset:8576
.LBB21_663:
	s_or_b64 exec, exec, s[12:13]
	v_mov_b32_e32 v25, 0
	s_waitcnt lgkmcnt(0)
	s_barrier
	s_and_saveexec_b64 s[14:15], s[2:3]
	s_cbranch_execz .LBB21_667
; %bb.664:
	v_mul_u32_u24_e32 v25, 0x104, v5
	ds_read_b32 v27, v2 offset:8328
	ds_read_b32 v25, v25 offset:8320
	v_mov_b32_e32 v26, 0
	v_cmp_gt_u32_e64 s[12:13], 2, v4
	s_waitcnt lgkmcnt(0)
	v_fma_f32 v25, v27, v25, 0
	s_and_saveexec_b64 s[16:17], s[12:13]
	s_cbranch_execz .LBB21_666
; %bb.665:
	v_lshlrev_b32_e32 v27, 2, v0
	ds_read_b32 v27, v27 offset:8584
	ds_read_b32 v26, v26 offset:8324
	s_waitcnt lgkmcnt(0)
	v_fmac_f32_e32 v25, v27, v26
.LBB21_666:
	s_or_b64 exec, exec, s[16:17]
	v_xor_b32_e32 v25, 0x80000000, v25
.LBB21_667:
	s_or_b64 exec, exec, s[14:15]
	s_and_saveexec_b64 s[12:13], s[34:35]
; %bb.668:
	ds_write_b32 v3, v25
; %bb.669:
	s_or_b64 exec, exec, s[12:13]
	s_waitcnt lgkmcnt(0)
	s_barrier
	s_and_saveexec_b64 s[12:13], s[26:27]
	s_cbranch_execz .LBB21_671
; %bb.670:
	v_mov_b32_e32 v26, 0
	ds_read_b32 v26, v26 offset:8844
	ds_read_b32 v27, v3
	s_waitcnt lgkmcnt(0)
	v_fmac_f32_e32 v25, v26, v27
.LBB21_671:
	s_or_b64 exec, exec, s[12:13]
	s_barrier
	s_and_saveexec_b64 s[12:13], s[26:27]
; %bb.672:
	ds_write_b32 v3, v25
; %bb.673:
	s_or_b64 exec, exec, s[12:13]
	s_waitcnt lgkmcnt(0)
	s_barrier
	s_barrier
	s_and_saveexec_b64 s[12:13], s[2:3]
; %bb.674:
	v_xor_b32_e32 v25, 0x80000000, v25
	ds_write_b32 v2, v25 offset:8328
; %bb.675:
	s_or_b64 exec, exec, s[12:13]
	s_waitcnt lgkmcnt(0)
	s_barrier
	s_barrier
	s_and_saveexec_b64 s[12:13], s[36:37]
	s_cbranch_execz .LBB21_677
; %bb.676:
	v_lshlrev_b32_e32 v25, 2, v0
	s_movk_i32 s14, 0xfc
	v_mad_u32_u24 v26, v0, s14, v25
	ds_read_b32 v27, v26 offset:8328
	s_waitcnt lgkmcnt(0)
	ds_write_b32 v25, v27 offset:8832
	ds_read_b32 v26, v26 offset:8332
	s_waitcnt lgkmcnt(0)
	ds_write_b32 v25, v26 offset:9088
.LBB21_677:
	s_or_b64 exec, exec, s[12:13]
	s_waitcnt lgkmcnt(0)
	s_barrier
	s_and_saveexec_b64 s[12:13], vcc
	s_cbranch_execz .LBB21_679
; %bb.678:
	v_mov_b32_e32 v27, 0
	ds_read_b32 v25, v27 offset:8844
	v_mov_b32_e32 v26, 1.0
	ds_write_b32 v27, v26 offset:8840
	s_waitcnt lgkmcnt(1)
	ds_write_b64 v27, v[25:26] offset:9096
.LBB21_679:
	s_or_b64 exec, exec, s[12:13]
	v_mov_b32_e32 v25, 0
	s_waitcnt lgkmcnt(0)
	s_barrier
	s_and_saveexec_b64 s[14:15], s[18:19]
	s_cbranch_execz .LBB21_685
; %bb.680:
	v_mul_u32_u24_e32 v26, 0x104, v14
	ds_read_b32 v25, v10 offset:8336
	ds_read_b32 v27, v26 offset:8320
	v_cmp_gt_u32_e64 s[12:13], 12, v4
	s_waitcnt lgkmcnt(0)
	v_fma_f32 v25, v25, v27, 0
	s_and_saveexec_b64 s[16:17], s[12:13]
	s_cbranch_execnz .LBB21_1196
; %bb.681:
	s_or_b64 exec, exec, s[16:17]
	v_cmp_gt_u32_e64 s[12:13], 8, v4
	s_and_saveexec_b64 s[16:17], s[12:13]
	s_cbranch_execnz .LBB21_1197
.LBB21_682:
	s_or_b64 exec, exec, s[16:17]
	v_cmp_gt_u32_e64 s[12:13], 4, v4
	s_and_saveexec_b64 s[16:17], s[12:13]
	s_cbranch_execz .LBB21_684
.LBB21_683:
	v_lshlrev_b32_e32 v26, 2, v0
	v_mov_b32_e32 v27, 0
	ds_read_b32 v26, v26 offset:9104
	ds_read_b32 v27, v27 offset:8332
	s_waitcnt lgkmcnt(0)
	v_fmac_f32_e32 v25, v26, v27
.LBB21_684:
	s_or_b64 exec, exec, s[16:17]
	v_xor_b32_e32 v25, 0x80000000, v25
.LBB21_685:
	s_or_b64 exec, exec, s[14:15]
	s_and_saveexec_b64 s[12:13], s[40:41]
; %bb.686:
	ds_write_b32 v12, v25
; %bb.687:
	s_or_b64 exec, exec, s[12:13]
	s_waitcnt lgkmcnt(0)
	s_barrier
	s_and_saveexec_b64 s[12:13], s[42:43]
	s_cbranch_execz .LBB21_689
; %bb.688:
	ds_read_b32 v26, v11 offset:9360
	ds_read_b32 v27, v12
	s_waitcnt lgkmcnt(0)
	v_fmac_f32_e32 v25, v26, v27
.LBB21_689:
	s_or_b64 exec, exec, s[12:13]
	s_barrier
	s_and_saveexec_b64 s[12:13], s[44:45]
; %bb.690:
	ds_write_b32 v12, v25
; %bb.691:
	s_or_b64 exec, exec, s[12:13]
	s_waitcnt lgkmcnt(0)
	s_barrier
	s_and_saveexec_b64 s[12:13], s[46:47]
	s_cbranch_execz .LBB21_693
; %bb.692:
	ds_read_b32 v26, v11 offset:9616
	ds_read_b32 v27, v12
	s_waitcnt lgkmcnt(0)
	v_fmac_f32_e32 v25, v26, v27
.LBB21_693:
	s_or_b64 exec, exec, s[12:13]
	s_barrier
	s_and_saveexec_b64 s[12:13], s[48:49]
; %bb.694:
	ds_write_b32 v12, v25
; %bb.695:
	s_or_b64 exec, exec, s[12:13]
	s_waitcnt lgkmcnt(0)
	s_barrier
	s_and_saveexec_b64 s[12:13], s[38:39]
	s_cbranch_execz .LBB21_697
; %bb.696:
	v_mov_b32_e32 v26, 0
	ds_read_b32 v26, v26 offset:9884
	ds_read_b32 v27, v12
	s_waitcnt lgkmcnt(0)
	v_fmac_f32_e32 v25, v26, v27
.LBB21_697:
	s_or_b64 exec, exec, s[12:13]
	s_barrier
	s_and_saveexec_b64 s[12:13], s[38:39]
; %bb.698:
	ds_write_b32 v12, v25
; %bb.699:
	s_or_b64 exec, exec, s[12:13]
	s_waitcnt lgkmcnt(0)
	s_barrier
	s_barrier
	s_and_saveexec_b64 s[12:13], s[18:19]
; %bb.700:
	v_xor_b32_e32 v25, 0x80000000, v25
	ds_write_b32 v10, v25 offset:8336
; %bb.701:
	s_or_b64 exec, exec, s[12:13]
	s_waitcnt lgkmcnt(0)
	s_barrier
	s_barrier
	s_and_saveexec_b64 s[12:13], s[50:51]
	s_cbranch_execz .LBB21_703
; %bb.702:
	v_lshlrev_b32_e32 v25, 8, v0
	ds_read_b32 v26, v25 offset:8336
	s_movk_i32 s14, 0xff04
	v_mad_i32_i24 v27, v0, s14, v25
	s_waitcnt lgkmcnt(0)
	ds_write_b32 v27, v26 offset:9344
	ds_read_b32 v26, v25 offset:8340
	s_waitcnt lgkmcnt(0)
	ds_write_b32 v27, v26 offset:9600
	ds_read_b32 v26, v25 offset:8344
	;; [unrolled: 3-line block ×3, first 2 shown]
	s_waitcnt lgkmcnt(0)
	ds_write_b32 v27, v25 offset:10112
.LBB21_703:
	s_or_b64 exec, exec, s[12:13]
	s_waitcnt lgkmcnt(0)
	s_barrier
	s_and_saveexec_b64 s[12:13], vcc
	s_cbranch_execz .LBB21_705
; %bb.704:
	v_mov_b32_e32 v27, 0
	ds_read_b32 v25, v27 offset:9364
	v_mov_b32_e32 v26, 1.0
	ds_write_b32 v27, v26 offset:9360
	s_waitcnt lgkmcnt(1)
	ds_write_b64 v27, v[25:26] offset:9616
.LBB21_705:
	s_or_b64 exec, exec, s[12:13]
	v_mov_b32_e32 v25, 0
	s_waitcnt lgkmcnt(0)
	s_barrier
	s_and_saveexec_b64 s[14:15], s[2:3]
	s_cbranch_execz .LBB21_709
; %bb.706:
	v_mul_u32_u24_e32 v25, 0x104, v5
	ds_read_b32 v27, v2 offset:9368
	ds_read_b32 v25, v25 offset:9360
	v_mov_b32_e32 v26, 0
	v_cmp_gt_u32_e64 s[12:13], 2, v4
	s_waitcnt lgkmcnt(0)
	v_fma_f32 v25, v27, v25, 0
	s_and_saveexec_b64 s[16:17], s[12:13]
	s_cbranch_execz .LBB21_708
; %bb.707:
	v_lshlrev_b32_e32 v27, 2, v0
	ds_read_b32 v27, v27 offset:9624
	ds_read_b32 v26, v26 offset:9364
	s_waitcnt lgkmcnt(0)
	v_fmac_f32_e32 v25, v27, v26
.LBB21_708:
	s_or_b64 exec, exec, s[16:17]
	v_xor_b32_e32 v25, 0x80000000, v25
.LBB21_709:
	s_or_b64 exec, exec, s[14:15]
	s_and_saveexec_b64 s[12:13], s[34:35]
; %bb.710:
	ds_write_b32 v3, v25
; %bb.711:
	s_or_b64 exec, exec, s[12:13]
	s_waitcnt lgkmcnt(0)
	s_barrier
	s_and_saveexec_b64 s[12:13], s[26:27]
	s_cbranch_execz .LBB21_713
; %bb.712:
	v_mov_b32_e32 v26, 0
	ds_read_b32 v26, v26 offset:9884
	ds_read_b32 v27, v3
	s_waitcnt lgkmcnt(0)
	v_fmac_f32_e32 v25, v26, v27
.LBB21_713:
	s_or_b64 exec, exec, s[12:13]
	s_barrier
	s_and_saveexec_b64 s[12:13], s[26:27]
; %bb.714:
	ds_write_b32 v3, v25
; %bb.715:
	s_or_b64 exec, exec, s[12:13]
	s_waitcnt lgkmcnt(0)
	s_barrier
	s_barrier
	s_and_saveexec_b64 s[12:13], s[2:3]
; %bb.716:
	v_xor_b32_e32 v25, 0x80000000, v25
	ds_write_b32 v2, v25 offset:9368
; %bb.717:
	s_or_b64 exec, exec, s[12:13]
	s_waitcnt lgkmcnt(0)
	s_barrier
	s_barrier
	s_and_saveexec_b64 s[12:13], s[36:37]
	s_cbranch_execz .LBB21_719
; %bb.718:
	v_lshlrev_b32_e32 v25, 2, v0
	s_movk_i32 s14, 0xfc
	v_mad_u32_u24 v26, v0, s14, v25
	ds_read_b32 v27, v26 offset:9368
	s_waitcnt lgkmcnt(0)
	ds_write_b32 v25, v27 offset:9872
	ds_read_b32 v26, v26 offset:9372
	s_waitcnt lgkmcnt(0)
	ds_write_b32 v25, v26 offset:10128
.LBB21_719:
	s_or_b64 exec, exec, s[12:13]
	s_waitcnt lgkmcnt(0)
	s_barrier
	s_and_saveexec_b64 s[12:13], vcc
	s_cbranch_execz .LBB21_721
; %bb.720:
	v_mov_b32_e32 v27, 0
	ds_read_b32 v25, v27 offset:9884
	v_mov_b32_e32 v26, 1.0
	ds_write_b32 v27, v26 offset:9880
	s_waitcnt lgkmcnt(1)
	ds_write_b64 v27, v[25:26] offset:10136
.LBB21_721:
	s_or_b64 exec, exec, s[12:13]
	v_mov_b32_e32 v25, 0
	s_waitcnt lgkmcnt(0)
	s_barrier
	s_and_saveexec_b64 s[14:15], s[8:9]
	s_cbranch_execz .LBB21_731
; %bb.722:
	v_mul_u32_u24_e32 v26, 0x104, v19
	ds_read_b32 v25, v15 offset:8352
	ds_read_b32 v27, v26 offset:8320
	v_cmp_gt_u32_e64 s[12:13], 56, v4
	s_waitcnt lgkmcnt(0)
	v_fma_f32 v25, v25, v27, 0
	s_and_saveexec_b64 s[16:17], s[12:13]
	s_cbranch_execnz .LBB21_1198
; %bb.723:
	s_or_b64 exec, exec, s[16:17]
	v_cmp_gt_u32_e64 s[12:13], 48, v4
	s_and_saveexec_b64 s[16:17], s[12:13]
	s_cbranch_execnz .LBB21_1199
.LBB21_724:
	s_or_b64 exec, exec, s[16:17]
	v_cmp_gt_u32_e64 s[12:13], 40, v4
	s_and_saveexec_b64 s[16:17], s[12:13]
	s_cbranch_execnz .LBB21_1200
.LBB21_725:
	s_or_b64 exec, exec, s[16:17]
	v_cmp_gt_u32_e64 s[12:13], 32, v4
	s_and_saveexec_b64 s[16:17], s[12:13]
	s_cbranch_execnz .LBB21_1201
.LBB21_726:
	s_or_b64 exec, exec, s[16:17]
	v_cmp_gt_u32_e64 s[12:13], 24, v4
	s_and_saveexec_b64 s[16:17], s[12:13]
	s_cbranch_execnz .LBB21_1202
.LBB21_727:
	s_or_b64 exec, exec, s[16:17]
	v_cmp_gt_u32_e64 s[12:13], 16, v4
	s_and_saveexec_b64 s[16:17], s[12:13]
	s_cbranch_execnz .LBB21_1203
.LBB21_728:
	s_or_b64 exec, exec, s[16:17]
	v_cmp_gt_u32_e64 s[12:13], 8, v4
	s_and_saveexec_b64 s[16:17], s[12:13]
	s_cbranch_execz .LBB21_730
.LBB21_729:
	v_lshlrev_b32_e32 v26, 2, v0
	v_mov_b32_e32 v27, 0
	ds_read_b32 v26, v26 offset:10144
	ds_read_b32 v27, v27 offset:8348
	s_waitcnt lgkmcnt(0)
	v_fmac_f32_e32 v25, v26, v27
.LBB21_730:
	s_or_b64 exec, exec, s[16:17]
	v_xor_b32_e32 v25, 0x80000000, v25
.LBB21_731:
	s_or_b64 exec, exec, s[14:15]
	s_and_saveexec_b64 s[12:13], s[52:53]
; %bb.732:
	ds_write_b32 v17, v25
; %bb.733:
	s_or_b64 exec, exec, s[12:13]
	s_waitcnt lgkmcnt(0)
	s_barrier
	s_and_saveexec_b64 s[12:13], s[54:55]
	s_cbranch_execz .LBB21_735
; %bb.734:
	ds_read_b32 v26, v16 offset:10400
	ds_read_b32 v27, v17
	s_waitcnt lgkmcnt(0)
	v_fmac_f32_e32 v25, v26, v27
.LBB21_735:
	s_or_b64 exec, exec, s[12:13]
	s_barrier
	s_and_saveexec_b64 s[12:13], s[56:57]
; %bb.736:
	ds_write_b32 v17, v25
; %bb.737:
	s_or_b64 exec, exec, s[12:13]
	s_waitcnt lgkmcnt(0)
	s_barrier
	s_and_saveexec_b64 s[12:13], s[58:59]
	s_cbranch_execz .LBB21_739
; %bb.738:
	ds_read_b32 v26, v16 offset:10656
	ds_read_b32 v27, v17
	s_waitcnt lgkmcnt(0)
	v_fmac_f32_e32 v25, v26, v27
.LBB21_739:
	s_or_b64 exec, exec, s[12:13]
	s_barrier
	;; [unrolled: 17-line block ×6, first 2 shown]
	s_and_saveexec_b64 s[12:13], s[78:79]
; %bb.756:
	ds_write_b32 v17, v25
; %bb.757:
	s_or_b64 exec, exec, s[12:13]
	s_waitcnt lgkmcnt(0)
	s_barrier
	s_and_saveexec_b64 s[12:13], s[60:61]
	s_cbranch_execz .LBB21_759
; %bb.758:
	v_mov_b32_e32 v26, 0
	ds_read_b32 v26, v26 offset:11964
	ds_read_b32 v27, v17
	s_waitcnt lgkmcnt(0)
	v_fmac_f32_e32 v25, v26, v27
.LBB21_759:
	s_or_b64 exec, exec, s[12:13]
	s_barrier
	s_and_saveexec_b64 s[12:13], s[60:61]
; %bb.760:
	ds_write_b32 v17, v25
; %bb.761:
	s_or_b64 exec, exec, s[12:13]
	s_waitcnt lgkmcnt(0)
	s_barrier
	s_barrier
	s_and_saveexec_b64 s[12:13], s[8:9]
; %bb.762:
	v_xor_b32_e32 v25, 0x80000000, v25
	ds_write_b32 v15, v25 offset:8352
; %bb.763:
	s_or_b64 exec, exec, s[12:13]
	s_waitcnt lgkmcnt(0)
	s_barrier
	s_barrier
	s_and_saveexec_b64 s[12:13], s[80:81]
	s_cbranch_execz .LBB21_765
; %bb.764:
	v_lshlrev_b32_e32 v25, 8, v0
	ds_read_b32 v26, v25 offset:8352
	s_movk_i32 s14, 0xff04
	v_mad_i32_i24 v27, v0, s14, v25
	s_waitcnt lgkmcnt(0)
	ds_write_b32 v27, v26 offset:10368
	ds_read_b32 v26, v25 offset:8356
	s_waitcnt lgkmcnt(0)
	ds_write_b32 v27, v26 offset:10624
	ds_read_b32 v26, v25 offset:8360
	;; [unrolled: 3-line block ×7, first 2 shown]
	s_waitcnt lgkmcnt(0)
	ds_write_b32 v27, v25 offset:12160
.LBB21_765:
	s_or_b64 exec, exec, s[12:13]
	s_waitcnt lgkmcnt(0)
	s_barrier
	s_and_saveexec_b64 s[12:13], vcc
	s_cbranch_execz .LBB21_767
; %bb.766:
	v_mov_b32_e32 v27, 0
	ds_read_b32 v25, v27 offset:10404
	v_mov_b32_e32 v26, 1.0
	ds_write_b32 v27, v26 offset:10400
	s_waitcnt lgkmcnt(1)
	ds_write_b64 v27, v[25:26] offset:10656
.LBB21_767:
	s_or_b64 exec, exec, s[12:13]
	v_mov_b32_e32 v25, 0
	s_waitcnt lgkmcnt(0)
	s_barrier
	s_and_saveexec_b64 s[14:15], s[2:3]
	s_cbranch_execz .LBB21_771
; %bb.768:
	v_mul_u32_u24_e32 v25, 0x104, v5
	ds_read_b32 v27, v2 offset:10408
	ds_read_b32 v25, v25 offset:10400
	v_mov_b32_e32 v26, 0
	v_cmp_gt_u32_e64 s[12:13], 2, v4
	s_waitcnt lgkmcnt(0)
	v_fma_f32 v25, v27, v25, 0
	s_and_saveexec_b64 s[16:17], s[12:13]
	s_cbranch_execz .LBB21_770
; %bb.769:
	v_lshlrev_b32_e32 v27, 2, v0
	ds_read_b32 v27, v27 offset:10664
	ds_read_b32 v26, v26 offset:10404
	s_waitcnt lgkmcnt(0)
	v_fmac_f32_e32 v25, v27, v26
.LBB21_770:
	s_or_b64 exec, exec, s[16:17]
	v_xor_b32_e32 v25, 0x80000000, v25
.LBB21_771:
	s_or_b64 exec, exec, s[14:15]
	s_and_saveexec_b64 s[12:13], s[34:35]
; %bb.772:
	ds_write_b32 v3, v25
; %bb.773:
	s_or_b64 exec, exec, s[12:13]
	s_waitcnt lgkmcnt(0)
	s_barrier
	s_and_saveexec_b64 s[12:13], s[26:27]
	s_cbranch_execz .LBB21_775
; %bb.774:
	v_mov_b32_e32 v26, 0
	ds_read_b32 v26, v26 offset:10924
	ds_read_b32 v27, v3
	s_waitcnt lgkmcnt(0)
	v_fmac_f32_e32 v25, v26, v27
.LBB21_775:
	s_or_b64 exec, exec, s[12:13]
	s_barrier
	s_and_saveexec_b64 s[12:13], s[26:27]
; %bb.776:
	ds_write_b32 v3, v25
; %bb.777:
	s_or_b64 exec, exec, s[12:13]
	s_waitcnt lgkmcnt(0)
	s_barrier
	s_barrier
	s_and_saveexec_b64 s[12:13], s[2:3]
; %bb.778:
	v_xor_b32_e32 v25, 0x80000000, v25
	ds_write_b32 v2, v25 offset:10408
; %bb.779:
	s_or_b64 exec, exec, s[12:13]
	s_waitcnt lgkmcnt(0)
	s_barrier
	s_barrier
	s_and_saveexec_b64 s[12:13], s[36:37]
	s_cbranch_execz .LBB21_781
; %bb.780:
	v_lshlrev_b32_e32 v25, 2, v0
	s_movk_i32 s14, 0xfc
	v_mad_u32_u24 v26, v0, s14, v25
	ds_read_b32 v27, v26 offset:10408
	s_waitcnt lgkmcnt(0)
	ds_write_b32 v25, v27 offset:10912
	ds_read_b32 v26, v26 offset:10412
	s_waitcnt lgkmcnt(0)
	ds_write_b32 v25, v26 offset:11168
.LBB21_781:
	s_or_b64 exec, exec, s[12:13]
	s_waitcnt lgkmcnt(0)
	s_barrier
	s_and_saveexec_b64 s[12:13], vcc
	s_cbranch_execz .LBB21_783
; %bb.782:
	v_mov_b32_e32 v27, 0
	ds_read_b32 v25, v27 offset:10924
	v_mov_b32_e32 v26, 1.0
	ds_write_b32 v27, v26 offset:10920
	s_waitcnt lgkmcnt(1)
	ds_write_b64 v27, v[25:26] offset:11176
.LBB21_783:
	s_or_b64 exec, exec, s[12:13]
	v_mov_b32_e32 v25, 0
	s_waitcnt lgkmcnt(0)
	s_barrier
	s_and_saveexec_b64 s[14:15], s[18:19]
	s_cbranch_execz .LBB21_789
; %bb.784:
	v_mul_u32_u24_e32 v26, 0x104, v14
	ds_read_b32 v25, v10 offset:10416
	ds_read_b32 v27, v26 offset:10400
	v_cmp_gt_u32_e64 s[12:13], 12, v4
	s_waitcnt lgkmcnt(0)
	v_fma_f32 v25, v25, v27, 0
	s_and_saveexec_b64 s[16:17], s[12:13]
	s_cbranch_execnz .LBB21_1204
; %bb.785:
	s_or_b64 exec, exec, s[16:17]
	v_cmp_gt_u32_e64 s[12:13], 8, v4
	s_and_saveexec_b64 s[16:17], s[12:13]
	s_cbranch_execnz .LBB21_1205
.LBB21_786:
	s_or_b64 exec, exec, s[16:17]
	v_cmp_gt_u32_e64 s[12:13], 4, v4
	s_and_saveexec_b64 s[16:17], s[12:13]
	s_cbranch_execz .LBB21_788
.LBB21_787:
	v_lshlrev_b32_e32 v26, 2, v0
	v_mov_b32_e32 v27, 0
	ds_read_b32 v26, v26 offset:11184
	ds_read_b32 v27, v27 offset:10412
	s_waitcnt lgkmcnt(0)
	v_fmac_f32_e32 v25, v26, v27
.LBB21_788:
	s_or_b64 exec, exec, s[16:17]
	v_xor_b32_e32 v25, 0x80000000, v25
.LBB21_789:
	s_or_b64 exec, exec, s[14:15]
	s_and_saveexec_b64 s[12:13], s[40:41]
; %bb.790:
	ds_write_b32 v12, v25
; %bb.791:
	s_or_b64 exec, exec, s[12:13]
	s_waitcnt lgkmcnt(0)
	s_barrier
	s_and_saveexec_b64 s[12:13], s[42:43]
	s_cbranch_execz .LBB21_793
; %bb.792:
	ds_read_b32 v26, v11 offset:11440
	ds_read_b32 v27, v12
	s_waitcnt lgkmcnt(0)
	v_fmac_f32_e32 v25, v26, v27
.LBB21_793:
	s_or_b64 exec, exec, s[12:13]
	s_barrier
	s_and_saveexec_b64 s[12:13], s[44:45]
; %bb.794:
	ds_write_b32 v12, v25
; %bb.795:
	s_or_b64 exec, exec, s[12:13]
	s_waitcnt lgkmcnt(0)
	s_barrier
	s_and_saveexec_b64 s[12:13], s[46:47]
	s_cbranch_execz .LBB21_797
; %bb.796:
	ds_read_b32 v26, v11 offset:11696
	ds_read_b32 v27, v12
	s_waitcnt lgkmcnt(0)
	v_fmac_f32_e32 v25, v26, v27
.LBB21_797:
	s_or_b64 exec, exec, s[12:13]
	s_barrier
	s_and_saveexec_b64 s[12:13], s[48:49]
; %bb.798:
	ds_write_b32 v12, v25
; %bb.799:
	s_or_b64 exec, exec, s[12:13]
	s_waitcnt lgkmcnt(0)
	s_barrier
	s_and_saveexec_b64 s[12:13], s[38:39]
	s_cbranch_execz .LBB21_801
; %bb.800:
	v_mov_b32_e32 v26, 0
	ds_read_b32 v26, v26 offset:11964
	ds_read_b32 v27, v12
	s_waitcnt lgkmcnt(0)
	v_fmac_f32_e32 v25, v26, v27
.LBB21_801:
	s_or_b64 exec, exec, s[12:13]
	s_barrier
	s_and_saveexec_b64 s[12:13], s[38:39]
; %bb.802:
	ds_write_b32 v12, v25
; %bb.803:
	s_or_b64 exec, exec, s[12:13]
	s_waitcnt lgkmcnt(0)
	s_barrier
	s_barrier
	s_and_saveexec_b64 s[12:13], s[18:19]
; %bb.804:
	v_xor_b32_e32 v25, 0x80000000, v25
	ds_write_b32 v10, v25 offset:10416
; %bb.805:
	s_or_b64 exec, exec, s[12:13]
	s_waitcnt lgkmcnt(0)
	s_barrier
	s_barrier
	s_and_saveexec_b64 s[12:13], s[50:51]
	s_cbranch_execz .LBB21_807
; %bb.806:
	v_lshlrev_b32_e32 v25, 8, v0
	ds_read_b32 v26, v25 offset:10416
	s_movk_i32 s14, 0xff04
	v_mad_i32_i24 v27, v0, s14, v25
	s_waitcnt lgkmcnt(0)
	ds_write_b32 v27, v26 offset:11424
	ds_read_b32 v26, v25 offset:10420
	s_waitcnt lgkmcnt(0)
	ds_write_b32 v27, v26 offset:11680
	ds_read_b32 v26, v25 offset:10424
	s_waitcnt lgkmcnt(0)
	ds_write_b32 v27, v26 offset:11936
	ds_read_b32 v25, v25 offset:10428
	s_waitcnt lgkmcnt(0)
	ds_write_b32 v27, v25 offset:12192
.LBB21_807:
	s_or_b64 exec, exec, s[12:13]
	s_waitcnt lgkmcnt(0)
	s_barrier
	s_and_saveexec_b64 s[12:13], vcc
	s_cbranch_execz .LBB21_809
; %bb.808:
	v_mov_b32_e32 v27, 0
	ds_read_b32 v25, v27 offset:11444
	v_mov_b32_e32 v26, 1.0
	ds_write_b32 v27, v26 offset:11440
	s_waitcnt lgkmcnt(1)
	ds_write_b64 v27, v[25:26] offset:11696
.LBB21_809:
	s_or_b64 exec, exec, s[12:13]
	v_mov_b32_e32 v25, 0
	s_waitcnt lgkmcnt(0)
	s_barrier
	s_and_saveexec_b64 s[14:15], s[2:3]
	s_cbranch_execz .LBB21_813
; %bb.810:
	v_mul_u32_u24_e32 v25, 0x104, v5
	ds_read_b32 v27, v2 offset:11448
	ds_read_b32 v25, v25 offset:11440
	v_mov_b32_e32 v26, 0
	v_cmp_gt_u32_e64 s[12:13], 2, v4
	s_waitcnt lgkmcnt(0)
	v_fma_f32 v25, v27, v25, 0
	s_and_saveexec_b64 s[16:17], s[12:13]
	s_cbranch_execz .LBB21_812
; %bb.811:
	v_lshlrev_b32_e32 v27, 2, v0
	ds_read_b32 v27, v27 offset:11704
	ds_read_b32 v26, v26 offset:11444
	s_waitcnt lgkmcnt(0)
	v_fmac_f32_e32 v25, v27, v26
.LBB21_812:
	s_or_b64 exec, exec, s[16:17]
	v_xor_b32_e32 v25, 0x80000000, v25
.LBB21_813:
	s_or_b64 exec, exec, s[14:15]
	s_and_saveexec_b64 s[12:13], s[34:35]
; %bb.814:
	ds_write_b32 v3, v25
; %bb.815:
	s_or_b64 exec, exec, s[12:13]
	s_waitcnt lgkmcnt(0)
	s_barrier
	s_and_saveexec_b64 s[12:13], s[26:27]
	s_cbranch_execz .LBB21_817
; %bb.816:
	v_mov_b32_e32 v26, 0
	ds_read_b32 v26, v26 offset:11964
	ds_read_b32 v27, v3
	s_waitcnt lgkmcnt(0)
	v_fmac_f32_e32 v25, v26, v27
.LBB21_817:
	s_or_b64 exec, exec, s[12:13]
	s_barrier
	s_and_saveexec_b64 s[12:13], s[26:27]
; %bb.818:
	ds_write_b32 v3, v25
; %bb.819:
	s_or_b64 exec, exec, s[12:13]
	s_waitcnt lgkmcnt(0)
	s_barrier
	s_barrier
	s_and_saveexec_b64 s[12:13], s[2:3]
; %bb.820:
	v_xor_b32_e32 v25, 0x80000000, v25
	ds_write_b32 v2, v25 offset:11448
; %bb.821:
	s_or_b64 exec, exec, s[12:13]
	s_waitcnt lgkmcnt(0)
	s_barrier
	s_barrier
	s_and_saveexec_b64 s[12:13], s[36:37]
	s_cbranch_execz .LBB21_823
; %bb.822:
	v_lshlrev_b32_e32 v25, 2, v0
	s_movk_i32 s14, 0xfc
	v_mad_u32_u24 v26, v0, s14, v25
	ds_read_b32 v27, v26 offset:11448
	s_waitcnt lgkmcnt(0)
	ds_write_b32 v25, v27 offset:11952
	ds_read_b32 v26, v26 offset:11452
	s_waitcnt lgkmcnt(0)
	ds_write_b32 v25, v26 offset:12208
.LBB21_823:
	s_or_b64 exec, exec, s[12:13]
	s_waitcnt lgkmcnt(0)
	s_barrier
	s_and_saveexec_b64 s[12:13], vcc
	s_cbranch_execz .LBB21_825
; %bb.824:
	v_mov_b32_e32 v27, 0
	ds_read_b32 v25, v27 offset:11964
	v_mov_b32_e32 v26, 1.0
	ds_write_b32 v27, v26 offset:11960
	s_waitcnt lgkmcnt(1)
	ds_write_b64 v27, v[25:26] offset:12216
.LBB21_825:
	s_or_b64 exec, exec, s[12:13]
	v_mov_b32_e32 v25, 0
	s_waitcnt lgkmcnt(0)
	s_barrier
	s_and_saveexec_b64 s[14:15], s[10:11]
	s_cbranch_execz .LBB21_853
; %bb.826:
	v_mul_u32_u24_e32 v26, 0x104, v24
	ds_read_b32 v25, v20 offset:8384
	ds_read_b32 v27, v26 offset:8320
	s_movk_i32 s12, 0xf0
	v_cmp_gt_u32_e64 s[12:13], s12, v4
	s_waitcnt lgkmcnt(0)
	v_fma_f32 v25, v25, v27, 0
	s_and_saveexec_b64 s[16:17], s[12:13]
	s_cbranch_execz .LBB21_828
; %bb.827:
	v_lshlrev_b32_e32 v27, 2, v24
	v_sub_u32_e32 v27, v26, v27
	v_lshl_add_u32 v27, v21, 2, v27
	ds_read_b32 v27, v27 offset:8640
	ds_read_b32 v28, v26 offset:8324
	s_waitcnt lgkmcnt(0)
	v_fmac_f32_e32 v25, v27, v28
.LBB21_828:
	s_or_b64 exec, exec, s[16:17]
	s_movk_i32 s12, 0xe0
	v_cmp_gt_u32_e64 s[12:13], s12, v4
	s_and_saveexec_b64 s[16:17], s[12:13]
	s_cbranch_execz .LBB21_830
; %bb.829:
	v_lshlrev_b32_e32 v27, 2, v24
	v_sub_u32_e32 v27, v26, v27
	v_lshl_add_u32 v27, v21, 2, v27
	ds_read_b32 v27, v27 offset:8896
	ds_read_b32 v28, v26 offset:8328
	s_waitcnt lgkmcnt(0)
	v_fmac_f32_e32 v25, v27, v28
.LBB21_830:
	s_or_b64 exec, exec, s[16:17]
	s_movk_i32 s12, 0xd0
	v_cmp_gt_u32_e64 s[12:13], s12, v4
	;; [unrolled: 14-line block ×7, first 2 shown]
	s_and_saveexec_b64 s[16:17], s[12:13]
	s_cbranch_execz .LBB21_842
; %bb.841:
	ds_read_b32 v24, v20 offset:10432
	ds_read_b32 v27, v26 offset:8352
	s_waitcnt lgkmcnt(0)
	v_fmac_f32_e32 v25, v24, v27
.LBB21_842:
	s_or_b64 exec, exec, s[16:17]
	s_movk_i32 s12, 0x70
	v_cmp_gt_u32_e64 s[12:13], s12, v4
	s_and_saveexec_b64 s[16:17], s[12:13]
	s_cbranch_execz .LBB21_844
; %bb.843:
	v_lshlrev_b32_e32 v24, 2, v21
	v_lshl_add_u32 v24, v23, 2, v24
	ds_read_b32 v24, v24 offset:10688
	ds_read_b32 v27, v26 offset:8356
	s_waitcnt lgkmcnt(0)
	v_fmac_f32_e32 v25, v24, v27
.LBB21_844:
	s_or_b64 exec, exec, s[16:17]
	s_movk_i32 s12, 0x60
	v_cmp_gt_u32_e64 s[12:13], s12, v4
	s_and_saveexec_b64 s[16:17], s[12:13]
	s_cbranch_execz .LBB21_846
; %bb.845:
	v_lshlrev_b32_e32 v24, 2, v21
	v_lshl_add_u32 v24, v23, 2, v24
	ds_read_b32 v24, v24 offset:10944
	ds_read_b32 v27, v26 offset:8360
	s_waitcnt lgkmcnt(0)
	v_fmac_f32_e32 v25, v24, v27
.LBB21_846:
	s_or_b64 exec, exec, s[16:17]
	s_movk_i32 s12, 0x50
	v_cmp_gt_u32_e64 s[12:13], s12, v4
	s_and_saveexec_b64 s[16:17], s[12:13]
	s_cbranch_execnz .LBB21_1206
; %bb.847:
	s_or_b64 exec, exec, s[16:17]
	v_cmp_gt_u32_e64 s[12:13], 64, v4
	s_and_saveexec_b64 s[16:17], s[12:13]
	s_cbranch_execnz .LBB21_1207
.LBB21_848:
	s_or_b64 exec, exec, s[16:17]
	v_cmp_gt_u32_e64 s[12:13], 48, v4
	s_and_saveexec_b64 s[16:17], s[12:13]
	s_cbranch_execnz .LBB21_1208
.LBB21_849:
	s_or_b64 exec, exec, s[16:17]
	v_cmp_gt_u32_e64 s[12:13], 32, v4
	s_and_saveexec_b64 s[16:17], s[12:13]
	s_cbranch_execnz .LBB21_1209
.LBB21_850:
	s_or_b64 exec, exec, s[16:17]
	v_cmp_gt_u32_e64 s[12:13], 16, v4
	s_and_saveexec_b64 s[16:17], s[12:13]
	s_cbranch_execz .LBB21_852
.LBB21_851:
	v_lshlrev_b32_e32 v23, 2, v0
	v_mov_b32_e32 v24, 0
	ds_read_b32 v23, v23 offset:12224
	ds_read_b32 v24, v24 offset:8380
	s_waitcnt lgkmcnt(0)
	v_fmac_f32_e32 v25, v23, v24
.LBB21_852:
	s_or_b64 exec, exec, s[16:17]
	v_xor_b32_e32 v25, 0x80000000, v25
.LBB21_853:
	s_or_b64 exec, exec, s[14:15]
	s_mov_b64 s[12:13], exec
	v_readlane_b32 s14, v33, 2
	v_readlane_b32 s15, v33, 3
	s_and_b64 s[14:15], s[12:13], s[14:15]
	s_mov_b64 exec, s[14:15]
; %bb.854:
	ds_write_b32 v22, v25
; %bb.855:
	s_or_b64 exec, exec, s[12:13]
	s_waitcnt lgkmcnt(0)
	s_barrier
	s_mov_b64 s[12:13], exec
	v_readlane_b32 s14, v33, 4
	v_readlane_b32 s15, v33, 5
	s_and_b64 s[14:15], s[12:13], s[14:15]
	s_mov_b64 exec, s[14:15]
	s_cbranch_execz .LBB21_857
; %bb.856:
	v_lshlrev_b32_e32 v23, 2, v21
	ds_read_b32 v23, v23 offset:12480
	ds_read_b32 v24, v22
	s_waitcnt lgkmcnt(0)
	v_fmac_f32_e32 v25, v23, v24
.LBB21_857:
	s_or_b64 exec, exec, s[12:13]
	s_barrier
	s_mov_b64 s[12:13], exec
	v_readlane_b32 s14, v33, 6
	v_readlane_b32 s15, v33, 7
	s_and_b64 s[14:15], s[12:13], s[14:15]
	s_mov_b64 exec, s[14:15]
; %bb.858:
	ds_write_b32 v22, v25
; %bb.859:
	s_or_b64 exec, exec, s[12:13]
	s_waitcnt lgkmcnt(0)
	s_barrier
	s_mov_b64 s[12:13], exec
	v_readlane_b32 s14, v33, 8
	v_readlane_b32 s15, v33, 9
	s_and_b64 s[14:15], s[12:13], s[14:15]
	s_mov_b64 exec, s[14:15]
	s_cbranch_execz .LBB21_861
; %bb.860:
	v_lshlrev_b32_e32 v23, 2, v21
	ds_read_b32 v23, v23 offset:12736
	ds_read_b32 v24, v22
	s_waitcnt lgkmcnt(0)
	v_fmac_f32_e32 v25, v23, v24
.LBB21_861:
	s_or_b64 exec, exec, s[12:13]
	s_barrier
	;; [unrolled: 26-line block ×13, first 2 shown]
	s_mov_b64 s[12:13], exec
	v_readlane_b32 s14, v33, 54
	v_readlane_b32 s15, v33, 55
	s_and_b64 s[14:15], s[12:13], s[14:15]
	s_mov_b64 exec, s[14:15]
; %bb.906:
	ds_write_b32 v22, v25
; %bb.907:
	s_or_b64 exec, exec, s[12:13]
	s_waitcnt lgkmcnt(0)
	s_barrier
	s_and_saveexec_b64 s[12:13], s[92:93]
	s_cbranch_execz .LBB21_909
; %bb.908:
	v_lshlrev_b32_e32 v21, 2, v21
	ds_read_b32 v21, v21 offset:15808
	ds_read_b32 v23, v22
	s_waitcnt lgkmcnt(0)
	v_fmac_f32_e32 v25, v21, v23
.LBB21_909:
	s_or_b64 exec, exec, s[12:13]
	s_barrier
	s_and_saveexec_b64 s[12:13], s[94:95]
; %bb.910:
	ds_write_b32 v22, v25
; %bb.911:
	s_or_b64 exec, exec, s[12:13]
	s_waitcnt lgkmcnt(0)
	s_barrier
	s_and_saveexec_b64 s[12:13], s[90:91]
	s_cbranch_execz .LBB21_913
; %bb.912:
	v_mov_b32_e32 v21, 0
	ds_read_b32 v21, v21 offset:16124
	ds_read_b32 v23, v22
	s_waitcnt lgkmcnt(0)
	v_fmac_f32_e32 v25, v21, v23
.LBB21_913:
	s_or_b64 exec, exec, s[12:13]
	s_barrier
	s_and_saveexec_b64 s[12:13], s[90:91]
; %bb.914:
	ds_write_b32 v22, v25
; %bb.915:
	s_or_b64 exec, exec, s[12:13]
	s_waitcnt lgkmcnt(0)
	s_barrier
	s_barrier
	s_and_saveexec_b64 s[12:13], s[10:11]
; %bb.916:
	v_xor_b32_e32 v21, 0x80000000, v25
	ds_write_b32 v20, v21 offset:8384
; %bb.917:
	s_or_b64 exec, exec, s[12:13]
	s_waitcnt lgkmcnt(0)
	s_barrier
	s_barrier
	s_and_saveexec_b64 s[10:11], s[0:1]
	s_cbranch_execz .LBB21_919
; %bb.918:
	v_lshlrev_b32_e32 v20, 8, v0
	ds_read_b32 v21, v20 offset:8384
	s_movk_i32 s0, 0xff04
	v_mad_i32_i24 v22, v0, s0, v20
	s_waitcnt lgkmcnt(0)
	ds_write_b32 v22, v21 offset:12416
	ds_read_b32 v21, v20 offset:8388
	s_waitcnt lgkmcnt(0)
	ds_write_b32 v22, v21 offset:12672
	ds_read_b32 v21, v20 offset:8392
	;; [unrolled: 3-line block ×15, first 2 shown]
	s_waitcnt lgkmcnt(0)
	ds_write_b32 v22, v20 offset:16256
.LBB21_919:
	s_or_b64 exec, exec, s[10:11]
	s_waitcnt lgkmcnt(0)
	s_barrier
	s_and_saveexec_b64 s[0:1], vcc
	s_cbranch_execz .LBB21_921
; %bb.920:
	v_mov_b32_e32 v22, 0
	ds_read_b32 v20, v22 offset:12484
	v_mov_b32_e32 v21, 1.0
	ds_write_b32 v22, v21 offset:12480
	s_waitcnt lgkmcnt(1)
	ds_write_b64 v22, v[20:21] offset:12736
.LBB21_921:
	s_or_b64 exec, exec, s[0:1]
	v_mov_b32_e32 v20, 0
	s_waitcnt lgkmcnt(0)
	s_barrier
	s_and_saveexec_b64 s[0:1], s[2:3]
	s_cbranch_execz .LBB21_925
; %bb.922:
	v_mul_u32_u24_e32 v20, 0x104, v5
	ds_read_b32 v22, v2 offset:12488
	ds_read_b32 v20, v20 offset:12480
	v_mov_b32_e32 v21, 0
	v_cmp_gt_u32_e64 s[10:11], 2, v4
	s_waitcnt lgkmcnt(0)
	v_fma_f32 v20, v22, v20, 0
	s_and_saveexec_b64 s[12:13], s[10:11]
	s_cbranch_execz .LBB21_924
; %bb.923:
	v_lshlrev_b32_e32 v22, 2, v0
	ds_read_b32 v22, v22 offset:12744
	ds_read_b32 v21, v21 offset:12484
	s_waitcnt lgkmcnt(0)
	v_fmac_f32_e32 v20, v22, v21
.LBB21_924:
	s_or_b64 exec, exec, s[12:13]
	v_xor_b32_e32 v20, 0x80000000, v20
.LBB21_925:
	s_or_b64 exec, exec, s[0:1]
	s_and_saveexec_b64 s[0:1], s[34:35]
; %bb.926:
	ds_write_b32 v3, v20
; %bb.927:
	s_or_b64 exec, exec, s[0:1]
	s_waitcnt lgkmcnt(0)
	s_barrier
	s_and_saveexec_b64 s[0:1], s[26:27]
	s_cbranch_execz .LBB21_929
; %bb.928:
	v_mov_b32_e32 v21, 0
	ds_read_b32 v21, v21 offset:13004
	ds_read_b32 v22, v3
	s_waitcnt lgkmcnt(0)
	v_fmac_f32_e32 v20, v21, v22
.LBB21_929:
	s_or_b64 exec, exec, s[0:1]
	s_barrier
	s_and_saveexec_b64 s[0:1], s[26:27]
; %bb.930:
	ds_write_b32 v3, v20
; %bb.931:
	s_or_b64 exec, exec, s[0:1]
	s_waitcnt lgkmcnt(0)
	s_barrier
	s_barrier
	s_and_saveexec_b64 s[0:1], s[2:3]
; %bb.932:
	v_xor_b32_e32 v20, 0x80000000, v20
	ds_write_b32 v2, v20 offset:12488
; %bb.933:
	s_or_b64 exec, exec, s[0:1]
	s_waitcnt lgkmcnt(0)
	s_barrier
	s_barrier
	s_and_saveexec_b64 s[0:1], s[36:37]
	s_cbranch_execz .LBB21_935
; %bb.934:
	v_lshlrev_b32_e32 v20, 2, v0
	s_movk_i32 s10, 0xfc
	v_mad_u32_u24 v21, v0, s10, v20
	ds_read_b32 v22, v21 offset:12488
	s_waitcnt lgkmcnt(0)
	ds_write_b32 v20, v22 offset:12992
	ds_read_b32 v21, v21 offset:12492
	s_waitcnt lgkmcnt(0)
	ds_write_b32 v20, v21 offset:13248
.LBB21_935:
	s_or_b64 exec, exec, s[0:1]
	s_waitcnt lgkmcnt(0)
	s_barrier
	s_and_saveexec_b64 s[0:1], vcc
	s_cbranch_execz .LBB21_937
; %bb.936:
	v_mov_b32_e32 v22, 0
	ds_read_b32 v20, v22 offset:13004
	v_mov_b32_e32 v21, 1.0
	ds_write_b32 v22, v21 offset:13000
	s_waitcnt lgkmcnt(1)
	ds_write_b64 v22, v[20:21] offset:13256
.LBB21_937:
	s_or_b64 exec, exec, s[0:1]
	v_mov_b32_e32 v20, 0
	s_waitcnt lgkmcnt(0)
	s_barrier
	s_and_saveexec_b64 s[0:1], s[18:19]
	s_cbranch_execz .LBB21_943
; %bb.938:
	v_mul_u32_u24_e32 v21, 0x104, v14
	ds_read_b32 v20, v10 offset:12496
	ds_read_b32 v22, v21 offset:12480
	v_cmp_gt_u32_e64 s[10:11], 12, v4
	s_waitcnt lgkmcnt(0)
	v_fma_f32 v20, v20, v22, 0
	s_and_saveexec_b64 s[12:13], s[10:11]
	s_cbranch_execnz .LBB21_1210
; %bb.939:
	s_or_b64 exec, exec, s[12:13]
	v_cmp_gt_u32_e64 s[10:11], 8, v4
	s_and_saveexec_b64 s[12:13], s[10:11]
	s_cbranch_execnz .LBB21_1211
.LBB21_940:
	s_or_b64 exec, exec, s[12:13]
	v_cmp_gt_u32_e64 s[10:11], 4, v4
	s_and_saveexec_b64 s[12:13], s[10:11]
	s_cbranch_execz .LBB21_942
.LBB21_941:
	v_lshlrev_b32_e32 v21, 2, v0
	v_mov_b32_e32 v22, 0
	ds_read_b32 v21, v21 offset:13264
	ds_read_b32 v22, v22 offset:12492
	s_waitcnt lgkmcnt(0)
	v_fmac_f32_e32 v20, v21, v22
.LBB21_942:
	s_or_b64 exec, exec, s[12:13]
	v_xor_b32_e32 v20, 0x80000000, v20
.LBB21_943:
	s_or_b64 exec, exec, s[0:1]
	s_and_saveexec_b64 s[0:1], s[40:41]
; %bb.944:
	ds_write_b32 v12, v20
; %bb.945:
	s_or_b64 exec, exec, s[0:1]
	s_waitcnt lgkmcnt(0)
	s_barrier
	s_and_saveexec_b64 s[0:1], s[42:43]
	s_cbranch_execz .LBB21_947
; %bb.946:
	ds_read_b32 v21, v11 offset:13520
	ds_read_b32 v22, v12
	s_waitcnt lgkmcnt(0)
	v_fmac_f32_e32 v20, v21, v22
.LBB21_947:
	s_or_b64 exec, exec, s[0:1]
	s_barrier
	s_and_saveexec_b64 s[0:1], s[44:45]
; %bb.948:
	ds_write_b32 v12, v20
; %bb.949:
	s_or_b64 exec, exec, s[0:1]
	s_waitcnt lgkmcnt(0)
	s_barrier
	s_and_saveexec_b64 s[0:1], s[46:47]
	s_cbranch_execz .LBB21_951
; %bb.950:
	ds_read_b32 v21, v11 offset:13776
	ds_read_b32 v22, v12
	s_waitcnt lgkmcnt(0)
	v_fmac_f32_e32 v20, v21, v22
.LBB21_951:
	s_or_b64 exec, exec, s[0:1]
	s_barrier
	s_and_saveexec_b64 s[0:1], s[48:49]
; %bb.952:
	ds_write_b32 v12, v20
; %bb.953:
	s_or_b64 exec, exec, s[0:1]
	s_waitcnt lgkmcnt(0)
	s_barrier
	s_and_saveexec_b64 s[0:1], s[38:39]
	s_cbranch_execz .LBB21_955
; %bb.954:
	v_mov_b32_e32 v21, 0
	ds_read_b32 v21, v21 offset:14044
	ds_read_b32 v22, v12
	s_waitcnt lgkmcnt(0)
	v_fmac_f32_e32 v20, v21, v22
.LBB21_955:
	s_or_b64 exec, exec, s[0:1]
	s_barrier
	s_and_saveexec_b64 s[0:1], s[38:39]
; %bb.956:
	ds_write_b32 v12, v20
; %bb.957:
	s_or_b64 exec, exec, s[0:1]
	s_waitcnt lgkmcnt(0)
	s_barrier
	s_barrier
	s_and_saveexec_b64 s[0:1], s[18:19]
; %bb.958:
	v_xor_b32_e32 v20, 0x80000000, v20
	ds_write_b32 v10, v20 offset:12496
; %bb.959:
	s_or_b64 exec, exec, s[0:1]
	s_waitcnt lgkmcnt(0)
	s_barrier
	s_barrier
	s_and_saveexec_b64 s[0:1], s[50:51]
	s_cbranch_execz .LBB21_961
; %bb.960:
	v_lshlrev_b32_e32 v20, 8, v0
	ds_read_b32 v21, v20 offset:12496
	s_movk_i32 s10, 0xff04
	v_mad_i32_i24 v22, v0, s10, v20
	s_waitcnt lgkmcnt(0)
	ds_write_b32 v22, v21 offset:13504
	ds_read_b32 v21, v20 offset:12500
	s_waitcnt lgkmcnt(0)
	ds_write_b32 v22, v21 offset:13760
	ds_read_b32 v21, v20 offset:12504
	;; [unrolled: 3-line block ×3, first 2 shown]
	s_waitcnt lgkmcnt(0)
	ds_write_b32 v22, v20 offset:14272
.LBB21_961:
	s_or_b64 exec, exec, s[0:1]
	s_waitcnt lgkmcnt(0)
	s_barrier
	s_and_saveexec_b64 s[0:1], vcc
	s_cbranch_execz .LBB21_963
; %bb.962:
	v_mov_b32_e32 v22, 0
	ds_read_b32 v20, v22 offset:13524
	v_mov_b32_e32 v21, 1.0
	ds_write_b32 v22, v21 offset:13520
	s_waitcnt lgkmcnt(1)
	ds_write_b64 v22, v[20:21] offset:13776
.LBB21_963:
	s_or_b64 exec, exec, s[0:1]
	v_mov_b32_e32 v20, 0
	s_waitcnt lgkmcnt(0)
	s_barrier
	s_and_saveexec_b64 s[0:1], s[2:3]
	s_cbranch_execz .LBB21_967
; %bb.964:
	v_mul_u32_u24_e32 v20, 0x104, v5
	ds_read_b32 v22, v2 offset:13528
	ds_read_b32 v20, v20 offset:13520
	v_mov_b32_e32 v21, 0
	v_cmp_gt_u32_e64 s[10:11], 2, v4
	s_waitcnt lgkmcnt(0)
	v_fma_f32 v20, v22, v20, 0
	s_and_saveexec_b64 s[12:13], s[10:11]
	s_cbranch_execz .LBB21_966
; %bb.965:
	v_lshlrev_b32_e32 v22, 2, v0
	ds_read_b32 v22, v22 offset:13784
	ds_read_b32 v21, v21 offset:13524
	s_waitcnt lgkmcnt(0)
	v_fmac_f32_e32 v20, v22, v21
.LBB21_966:
	s_or_b64 exec, exec, s[12:13]
	v_xor_b32_e32 v20, 0x80000000, v20
.LBB21_967:
	s_or_b64 exec, exec, s[0:1]
	s_and_saveexec_b64 s[0:1], s[34:35]
; %bb.968:
	ds_write_b32 v3, v20
; %bb.969:
	s_or_b64 exec, exec, s[0:1]
	s_waitcnt lgkmcnt(0)
	s_barrier
	s_and_saveexec_b64 s[0:1], s[26:27]
	s_cbranch_execz .LBB21_971
; %bb.970:
	v_mov_b32_e32 v21, 0
	ds_read_b32 v21, v21 offset:14044
	ds_read_b32 v22, v3
	s_waitcnt lgkmcnt(0)
	v_fmac_f32_e32 v20, v21, v22
.LBB21_971:
	s_or_b64 exec, exec, s[0:1]
	s_barrier
	s_and_saveexec_b64 s[0:1], s[26:27]
; %bb.972:
	ds_write_b32 v3, v20
; %bb.973:
	s_or_b64 exec, exec, s[0:1]
	s_waitcnt lgkmcnt(0)
	s_barrier
	s_barrier
	s_and_saveexec_b64 s[0:1], s[2:3]
; %bb.974:
	v_xor_b32_e32 v20, 0x80000000, v20
	ds_write_b32 v2, v20 offset:13528
; %bb.975:
	s_or_b64 exec, exec, s[0:1]
	s_waitcnt lgkmcnt(0)
	s_barrier
	s_barrier
	s_and_saveexec_b64 s[0:1], s[36:37]
	s_cbranch_execz .LBB21_977
; %bb.976:
	v_lshlrev_b32_e32 v20, 2, v0
	s_movk_i32 s10, 0xfc
	v_mad_u32_u24 v21, v0, s10, v20
	ds_read_b32 v22, v21 offset:13528
	s_waitcnt lgkmcnt(0)
	ds_write_b32 v20, v22 offset:14032
	ds_read_b32 v21, v21 offset:13532
	s_waitcnt lgkmcnt(0)
	ds_write_b32 v20, v21 offset:14288
.LBB21_977:
	s_or_b64 exec, exec, s[0:1]
	s_waitcnt lgkmcnt(0)
	s_barrier
	s_and_saveexec_b64 s[0:1], vcc
	s_cbranch_execz .LBB21_979
; %bb.978:
	v_mov_b32_e32 v22, 0
	ds_read_b32 v20, v22 offset:14044
	v_mov_b32_e32 v21, 1.0
	ds_write_b32 v22, v21 offset:14040
	s_waitcnt lgkmcnt(1)
	ds_write_b64 v22, v[20:21] offset:14296
.LBB21_979:
	s_or_b64 exec, exec, s[0:1]
	v_mov_b32_e32 v20, 0
	s_waitcnt lgkmcnt(0)
	s_barrier
	s_and_saveexec_b64 s[0:1], s[8:9]
	s_cbranch_execz .LBB21_989
; %bb.980:
	v_mul_u32_u24_e32 v21, 0x104, v19
	ds_read_b32 v20, v15 offset:12512
	ds_read_b32 v22, v21 offset:12480
	v_cmp_gt_u32_e64 s[10:11], 56, v4
	s_waitcnt lgkmcnt(0)
	v_fma_f32 v20, v20, v22, 0
	s_and_saveexec_b64 s[12:13], s[10:11]
	s_cbranch_execnz .LBB21_1212
; %bb.981:
	s_or_b64 exec, exec, s[12:13]
	v_cmp_gt_u32_e64 s[10:11], 48, v4
	s_and_saveexec_b64 s[12:13], s[10:11]
	s_cbranch_execnz .LBB21_1213
.LBB21_982:
	s_or_b64 exec, exec, s[12:13]
	v_cmp_gt_u32_e64 s[10:11], 40, v4
	s_and_saveexec_b64 s[12:13], s[10:11]
	s_cbranch_execnz .LBB21_1214
.LBB21_983:
	s_or_b64 exec, exec, s[12:13]
	v_cmp_gt_u32_e64 s[10:11], 32, v4
	s_and_saveexec_b64 s[12:13], s[10:11]
	s_cbranch_execnz .LBB21_1215
.LBB21_984:
	s_or_b64 exec, exec, s[12:13]
	v_cmp_gt_u32_e64 s[10:11], 24, v4
	s_and_saveexec_b64 s[12:13], s[10:11]
	s_cbranch_execnz .LBB21_1216
.LBB21_985:
	s_or_b64 exec, exec, s[12:13]
	v_cmp_gt_u32_e64 s[10:11], 16, v4
	s_and_saveexec_b64 s[12:13], s[10:11]
	s_cbranch_execnz .LBB21_1217
.LBB21_986:
	s_or_b64 exec, exec, s[12:13]
	v_cmp_gt_u32_e64 s[10:11], 8, v4
	s_and_saveexec_b64 s[12:13], s[10:11]
	s_cbranch_execz .LBB21_988
.LBB21_987:
	v_lshlrev_b32_e32 v18, 2, v0
	v_mov_b32_e32 v19, 0
	ds_read_b32 v18, v18 offset:14304
	ds_read_b32 v19, v19 offset:12508
	s_waitcnt lgkmcnt(0)
	v_fmac_f32_e32 v20, v18, v19
.LBB21_988:
	s_or_b64 exec, exec, s[12:13]
	v_xor_b32_e32 v20, 0x80000000, v20
.LBB21_989:
	s_or_b64 exec, exec, s[0:1]
	s_and_saveexec_b64 s[0:1], s[52:53]
; %bb.990:
	ds_write_b32 v17, v20
; %bb.991:
	s_or_b64 exec, exec, s[0:1]
	s_waitcnt lgkmcnt(0)
	s_barrier
	s_and_saveexec_b64 s[0:1], s[54:55]
	s_cbranch_execz .LBB21_993
; %bb.992:
	ds_read_b32 v18, v16 offset:14560
	ds_read_b32 v19, v17
	s_waitcnt lgkmcnt(0)
	v_fmac_f32_e32 v20, v18, v19
.LBB21_993:
	s_or_b64 exec, exec, s[0:1]
	s_barrier
	s_and_saveexec_b64 s[0:1], s[56:57]
; %bb.994:
	ds_write_b32 v17, v20
; %bb.995:
	s_or_b64 exec, exec, s[0:1]
	s_waitcnt lgkmcnt(0)
	s_barrier
	s_and_saveexec_b64 s[0:1], s[58:59]
	s_cbranch_execz .LBB21_997
; %bb.996:
	ds_read_b32 v18, v16 offset:14816
	ds_read_b32 v19, v17
	s_waitcnt lgkmcnt(0)
	v_fmac_f32_e32 v20, v18, v19
.LBB21_997:
	s_or_b64 exec, exec, s[0:1]
	s_barrier
	;; [unrolled: 17-line block ×6, first 2 shown]
	s_and_saveexec_b64 s[0:1], s[78:79]
; %bb.1014:
	ds_write_b32 v17, v20
; %bb.1015:
	s_or_b64 exec, exec, s[0:1]
	s_waitcnt lgkmcnt(0)
	s_barrier
	s_and_saveexec_b64 s[0:1], s[60:61]
	s_cbranch_execz .LBB21_1017
; %bb.1016:
	v_mov_b32_e32 v16, 0
	ds_read_b32 v16, v16 offset:16124
	ds_read_b32 v18, v17
	s_waitcnt lgkmcnt(0)
	v_fmac_f32_e32 v20, v16, v18
.LBB21_1017:
	s_or_b64 exec, exec, s[0:1]
	s_barrier
	s_and_saveexec_b64 s[0:1], s[60:61]
; %bb.1018:
	ds_write_b32 v17, v20
; %bb.1019:
	s_or_b64 exec, exec, s[0:1]
	s_waitcnt lgkmcnt(0)
	s_barrier
	s_barrier
	s_and_saveexec_b64 s[0:1], s[8:9]
; %bb.1020:
	v_xor_b32_e32 v16, 0x80000000, v20
	ds_write_b32 v15, v16 offset:12512
; %bb.1021:
	s_or_b64 exec, exec, s[0:1]
	s_waitcnt lgkmcnt(0)
	s_barrier
	s_barrier
	s_and_saveexec_b64 s[0:1], s[80:81]
	s_cbranch_execz .LBB21_1023
; %bb.1022:
	v_lshlrev_b32_e32 v15, 8, v0
	ds_read_b32 v16, v15 offset:12512
	s_movk_i32 s8, 0xff04
	v_mad_i32_i24 v17, v0, s8, v15
	s_waitcnt lgkmcnt(0)
	ds_write_b32 v17, v16 offset:14528
	ds_read_b32 v16, v15 offset:12516
	s_waitcnt lgkmcnt(0)
	ds_write_b32 v17, v16 offset:14784
	ds_read_b32 v16, v15 offset:12520
	;; [unrolled: 3-line block ×7, first 2 shown]
	s_waitcnt lgkmcnt(0)
	ds_write_b32 v17, v15 offset:16320
.LBB21_1023:
	s_or_b64 exec, exec, s[0:1]
	s_waitcnt lgkmcnt(0)
	s_barrier
	s_and_saveexec_b64 s[0:1], vcc
	s_cbranch_execz .LBB21_1025
; %bb.1024:
	v_mov_b32_e32 v17, 0
	ds_read_b32 v15, v17 offset:14564
	v_mov_b32_e32 v16, 1.0
	ds_write_b32 v17, v16 offset:14560
	s_waitcnt lgkmcnt(1)
	ds_write_b64 v17, v[15:16] offset:14816
.LBB21_1025:
	s_or_b64 exec, exec, s[0:1]
	v_mov_b32_e32 v15, 0
	s_waitcnt lgkmcnt(0)
	s_barrier
	s_and_saveexec_b64 s[0:1], s[2:3]
	s_cbranch_execz .LBB21_1029
; %bb.1026:
	v_mul_u32_u24_e32 v15, 0x104, v5
	ds_read_b32 v17, v2 offset:14568
	ds_read_b32 v15, v15 offset:14560
	v_mov_b32_e32 v16, 0
	v_cmp_gt_u32_e64 s[8:9], 2, v4
	s_waitcnt lgkmcnt(0)
	v_fma_f32 v15, v17, v15, 0
	s_and_saveexec_b64 s[10:11], s[8:9]
	s_cbranch_execz .LBB21_1028
; %bb.1027:
	v_lshlrev_b32_e32 v17, 2, v0
	ds_read_b32 v17, v17 offset:14824
	ds_read_b32 v16, v16 offset:14564
	s_waitcnt lgkmcnt(0)
	v_fmac_f32_e32 v15, v17, v16
.LBB21_1028:
	s_or_b64 exec, exec, s[10:11]
	v_xor_b32_e32 v15, 0x80000000, v15
.LBB21_1029:
	s_or_b64 exec, exec, s[0:1]
	s_and_saveexec_b64 s[0:1], s[34:35]
; %bb.1030:
	ds_write_b32 v3, v15
; %bb.1031:
	s_or_b64 exec, exec, s[0:1]
	s_waitcnt lgkmcnt(0)
	s_barrier
	s_and_saveexec_b64 s[0:1], s[26:27]
	s_cbranch_execz .LBB21_1033
; %bb.1032:
	v_mov_b32_e32 v16, 0
	ds_read_b32 v16, v16 offset:15084
	ds_read_b32 v17, v3
	s_waitcnt lgkmcnt(0)
	v_fmac_f32_e32 v15, v16, v17
.LBB21_1033:
	s_or_b64 exec, exec, s[0:1]
	s_barrier
	s_and_saveexec_b64 s[0:1], s[26:27]
; %bb.1034:
	ds_write_b32 v3, v15
; %bb.1035:
	s_or_b64 exec, exec, s[0:1]
	s_waitcnt lgkmcnt(0)
	s_barrier
	s_barrier
	s_and_saveexec_b64 s[0:1], s[2:3]
; %bb.1036:
	v_xor_b32_e32 v15, 0x80000000, v15
	ds_write_b32 v2, v15 offset:14568
; %bb.1037:
	s_or_b64 exec, exec, s[0:1]
	s_waitcnt lgkmcnt(0)
	s_barrier
	s_barrier
	s_and_saveexec_b64 s[0:1], s[36:37]
	s_cbranch_execz .LBB21_1039
; %bb.1038:
	v_lshlrev_b32_e32 v15, 2, v0
	s_movk_i32 s8, 0xfc
	v_mad_u32_u24 v16, v0, s8, v15
	ds_read_b32 v17, v16 offset:14568
	s_waitcnt lgkmcnt(0)
	ds_write_b32 v15, v17 offset:15072
	ds_read_b32 v16, v16 offset:14572
	s_waitcnt lgkmcnt(0)
	ds_write_b32 v15, v16 offset:15328
.LBB21_1039:
	s_or_b64 exec, exec, s[0:1]
	s_waitcnt lgkmcnt(0)
	s_barrier
	s_and_saveexec_b64 s[0:1], vcc
	s_cbranch_execz .LBB21_1041
; %bb.1040:
	v_mov_b32_e32 v17, 0
	ds_read_b32 v15, v17 offset:15084
	v_mov_b32_e32 v16, 1.0
	ds_write_b32 v17, v16 offset:15080
	s_waitcnt lgkmcnt(1)
	ds_write_b64 v17, v[15:16] offset:15336
.LBB21_1041:
	s_or_b64 exec, exec, s[0:1]
	v_mov_b32_e32 v15, 0
	s_waitcnt lgkmcnt(0)
	s_barrier
	s_and_saveexec_b64 s[0:1], s[18:19]
	s_cbranch_execz .LBB21_1047
; %bb.1042:
	v_mul_u32_u24_e32 v16, 0x104, v14
	ds_read_b32 v15, v10 offset:14576
	ds_read_b32 v17, v16 offset:14560
	v_cmp_gt_u32_e64 s[8:9], 12, v4
	s_waitcnt lgkmcnt(0)
	v_fma_f32 v15, v15, v17, 0
	s_and_saveexec_b64 s[10:11], s[8:9]
	s_cbranch_execnz .LBB21_1218
; %bb.1043:
	s_or_b64 exec, exec, s[10:11]
	v_cmp_gt_u32_e64 s[8:9], 8, v4
	s_and_saveexec_b64 s[10:11], s[8:9]
	s_cbranch_execnz .LBB21_1219
.LBB21_1044:
	s_or_b64 exec, exec, s[10:11]
	v_cmp_gt_u32_e64 s[8:9], 4, v4
	s_and_saveexec_b64 s[10:11], s[8:9]
	s_cbranch_execz .LBB21_1046
.LBB21_1045:
	v_lshlrev_b32_e32 v13, 2, v0
	v_mov_b32_e32 v14, 0
	ds_read_b32 v13, v13 offset:15344
	ds_read_b32 v14, v14 offset:14572
	s_waitcnt lgkmcnt(0)
	v_fmac_f32_e32 v15, v13, v14
.LBB21_1046:
	s_or_b64 exec, exec, s[10:11]
	v_xor_b32_e32 v15, 0x80000000, v15
.LBB21_1047:
	s_or_b64 exec, exec, s[0:1]
	s_and_saveexec_b64 s[0:1], s[40:41]
; %bb.1048:
	ds_write_b32 v12, v15
; %bb.1049:
	s_or_b64 exec, exec, s[0:1]
	s_waitcnt lgkmcnt(0)
	s_barrier
	s_and_saveexec_b64 s[0:1], s[42:43]
	v_readlane_b32 s40, v33, 0
	v_readlane_b32 s41, v33, 1
	s_cbranch_execz .LBB21_1051
; %bb.1050:
	ds_read_b32 v13, v11 offset:15600
	ds_read_b32 v14, v12
	s_waitcnt lgkmcnt(0)
	v_fmac_f32_e32 v15, v13, v14
.LBB21_1051:
	s_or_b64 exec, exec, s[0:1]
	s_barrier
	s_and_saveexec_b64 s[0:1], s[44:45]
; %bb.1052:
	ds_write_b32 v12, v15
; %bb.1053:
	s_or_b64 exec, exec, s[0:1]
	s_waitcnt lgkmcnt(0)
	s_barrier
	s_and_saveexec_b64 s[0:1], s[46:47]
	s_cbranch_execz .LBB21_1055
; %bb.1054:
	ds_read_b32 v11, v11 offset:15856
	ds_read_b32 v13, v12
	s_waitcnt lgkmcnt(0)
	v_fmac_f32_e32 v15, v11, v13
.LBB21_1055:
	s_or_b64 exec, exec, s[0:1]
	s_barrier
	s_and_saveexec_b64 s[0:1], s[48:49]
; %bb.1056:
	ds_write_b32 v12, v15
; %bb.1057:
	s_or_b64 exec, exec, s[0:1]
	s_waitcnt lgkmcnt(0)
	s_barrier
	s_and_saveexec_b64 s[0:1], s[38:39]
	s_cbranch_execz .LBB21_1059
; %bb.1058:
	v_mov_b32_e32 v11, 0
	ds_read_b32 v11, v11 offset:16124
	ds_read_b32 v13, v12
	s_waitcnt lgkmcnt(0)
	v_fmac_f32_e32 v15, v11, v13
.LBB21_1059:
	s_or_b64 exec, exec, s[0:1]
	s_barrier
	s_and_saveexec_b64 s[0:1], s[38:39]
; %bb.1060:
	ds_write_b32 v12, v15
; %bb.1061:
	s_or_b64 exec, exec, s[0:1]
	s_waitcnt lgkmcnt(0)
	s_barrier
	s_barrier
	s_and_saveexec_b64 s[0:1], s[18:19]
; %bb.1062:
	v_xor_b32_e32 v11, 0x80000000, v15
	ds_write_b32 v10, v11 offset:14576
; %bb.1063:
	s_or_b64 exec, exec, s[0:1]
	s_waitcnt lgkmcnt(0)
	s_barrier
	s_barrier
	s_and_saveexec_b64 s[0:1], s[50:51]
	s_cbranch_execz .LBB21_1065
; %bb.1064:
	v_lshlrev_b32_e32 v10, 8, v0
	ds_read_b32 v11, v10 offset:14576
	s_movk_i32 s8, 0xff04
	v_mad_i32_i24 v12, v0, s8, v10
	s_waitcnt lgkmcnt(0)
	ds_write_b32 v12, v11 offset:15584
	ds_read_b32 v11, v10 offset:14580
	s_waitcnt lgkmcnt(0)
	ds_write_b32 v12, v11 offset:15840
	ds_read_b32 v11, v10 offset:14584
	s_waitcnt lgkmcnt(0)
	ds_write_b32 v12, v11 offset:16096
	ds_read_b32 v10, v10 offset:14588
	s_waitcnt lgkmcnt(0)
	ds_write_b32 v12, v10 offset:16352
.LBB21_1065:
	s_or_b64 exec, exec, s[0:1]
	s_waitcnt lgkmcnt(0)
	s_barrier
	s_and_saveexec_b64 s[0:1], vcc
	s_cbranch_execz .LBB21_1067
; %bb.1066:
	v_mov_b32_e32 v12, 0
	ds_read_b32 v10, v12 offset:15604
	v_mov_b32_e32 v11, 1.0
	ds_write_b32 v12, v11 offset:15600
	s_waitcnt lgkmcnt(1)
	ds_write_b64 v12, v[10:11] offset:15856
.LBB21_1067:
	s_or_b64 exec, exec, s[0:1]
	v_mov_b32_e32 v10, 0
	s_waitcnt lgkmcnt(0)
	s_barrier
	s_and_saveexec_b64 s[0:1], s[2:3]
	s_cbranch_execz .LBB21_1071
; %bb.1068:
	v_mul_u32_u24_e32 v5, 0x104, v5
	ds_read_b32 v11, v2 offset:15608
	ds_read_b32 v5, v5 offset:15600
	v_mov_b32_e32 v10, 0
	v_cmp_gt_u32_e64 s[8:9], 2, v4
	s_waitcnt lgkmcnt(0)
	v_fma_f32 v5, v11, v5, 0
	s_and_saveexec_b64 s[10:11], s[8:9]
	s_cbranch_execz .LBB21_1070
; %bb.1069:
	v_lshlrev_b32_e32 v4, 2, v0
	ds_read_b32 v4, v4 offset:15864
	ds_read_b32 v10, v10 offset:15604
	s_waitcnt lgkmcnt(0)
	v_fmac_f32_e32 v5, v4, v10
.LBB21_1070:
	s_or_b64 exec, exec, s[10:11]
	v_xor_b32_e32 v10, 0x80000000, v5
.LBB21_1071:
	s_or_b64 exec, exec, s[0:1]
	s_and_saveexec_b64 s[0:1], s[34:35]
; %bb.1072:
	ds_write_b32 v3, v10
; %bb.1073:
	s_or_b64 exec, exec, s[0:1]
	s_waitcnt lgkmcnt(0)
	s_barrier
	s_and_saveexec_b64 s[0:1], s[26:27]
	s_cbranch_execz .LBB21_1075
; %bb.1074:
	v_mov_b32_e32 v4, 0
	ds_read_b32 v4, v4 offset:16124
	ds_read_b32 v5, v3
	s_waitcnt lgkmcnt(0)
	v_fmac_f32_e32 v10, v4, v5
.LBB21_1075:
	s_or_b64 exec, exec, s[0:1]
	s_barrier
	s_and_saveexec_b64 s[0:1], s[26:27]
; %bb.1076:
	ds_write_b32 v3, v10
; %bb.1077:
	s_or_b64 exec, exec, s[0:1]
	s_waitcnt lgkmcnt(0)
	s_barrier
	s_barrier
	s_and_saveexec_b64 s[0:1], s[2:3]
; %bb.1078:
	v_xor_b32_e32 v3, 0x80000000, v10
	ds_write_b32 v2, v3 offset:15608
; %bb.1079:
	s_or_b64 exec, exec, s[0:1]
	s_waitcnt lgkmcnt(0)
	s_barrier
	s_barrier
	s_and_saveexec_b64 s[0:1], s[36:37]
	s_cbranch_execz .LBB21_1081
; %bb.1080:
	v_lshlrev_b32_e32 v2, 2, v0
	s_movk_i32 s2, 0xfc
	v_mad_u32_u24 v3, v0, s2, v2
	ds_read_b32 v4, v3 offset:15608
	s_waitcnt lgkmcnt(0)
	ds_write_b32 v2, v4 offset:16112
	ds_read_b32 v3, v3 offset:15612
	s_waitcnt lgkmcnt(0)
	ds_write_b32 v2, v3 offset:16368
.LBB21_1081:
	s_or_b64 exec, exec, s[0:1]
	s_waitcnt lgkmcnt(0)
	s_barrier
	s_and_saveexec_b64 s[0:1], vcc
	s_cbranch_execz .LBB21_1083
; %bb.1082:
	v_mov_b32_e32 v4, 0
	ds_read_b32 v2, v4 offset:16124
	v_mov_b32_e32 v3, 1.0
	ds_write_b32 v4, v3 offset:16120
	s_waitcnt lgkmcnt(1)
	ds_write_b64 v4, v[2:3] offset:16376
.LBB21_1083:
	s_or_b64 exec, exec, s[0:1]
.LBB21_1084:
	s_load_dwordx8 s[12:19], s[4:5], 0x30
	s_load_dwordx2 s[0:1], s[4:5], 0x50
	v_cmp_le_i32_e32 vcc, s86, v0
	v_mov_b32_e32 v11, 0
	v_lshl_add_u32 v2, s33, 6, v0
	s_waitcnt lgkmcnt(0)
	s_mul_i32 s3, s19, s28
	s_mul_hi_u32 s8, s18, s28
	s_mul_i32 s2, s18, s28
	s_add_i32 s3, s8, s3
	s_lshl_b64 s[2:3], s[2:3], 2
	s_add_u32 s8, s12, s2
	s_addc_u32 s9, s13, s3
	s_lshl_b64 s[2:3], s[14:15], 2
	s_add_u32 s26, s8, s2
	s_addc_u32 s27, s9, s3
	s_and_b64 s[14:15], vcc, s[22:23]
	v_cmp_eq_u32_e64 s[2:3], 0, v1
	s_xor_b64 s[8:9], s[14:15], -1
	s_and_b64 s[10:11], s[2:3], s[8:9]
	s_barrier
	s_and_saveexec_b64 s[8:9], s[10:11]
	s_cbranch_execz .LBB21_1086
; %bb.1085:
	v_ashrrev_i32_e32 v5, 31, v2
	v_mul_lo_u32 v10, s17, v2
	v_mad_u64_u32 v[3:4], s[10:11], s16, v2, 0
	v_mul_lo_u32 v5, s16, v5
	s_load_dword s4, s[4:5], 0x28
	v_add3_u32 v4, v4, v5, v10
	v_lshlrev_b64 v[3:4], 2, v[3:4]
	v_mov_b32_e32 v5, s27
	v_add_co_u32_e32 v3, vcc, s26, v3
	v_addc_co_u32_e32 v4, vcc, v5, v4, vcc
	global_load_dword v3, v[3:4], off
	s_waitcnt vmcnt(0) lgkmcnt(0)
	v_mul_f32_e64 v11, v3, -s4
.LBB21_1086:
	s_or_b64 exec, exec, s[8:9]
	s_and_b32 s4, 0xffff, s89
	v_mad_u32_u24 v10, v1, s4, v0
	s_cmp_lt_i32 s6, 1
	v_cmp_eq_u32_e64 s[4:5], 0, v10
	s_cbranch_scc1 .LBB21_1112
; %bb.1087:
	v_ashrrev_i32_e32 v5, 31, v2
	v_mul_lo_u32 v12, s25, v2
	v_mad_u64_u32 v[3:4], s[8:9], s24, v2, 0
	v_mul_lo_u32 v5, s24, v5
	s_lshl_b64 s[8:9], s[28:29], 2
	s_add_u32 s18, s0, s8
	s_addc_u32 s19, s1, s9
	v_add3_u32 v4, v4, v5, v12
	v_cmp_gt_i32_e64 s[8:9], s30, v2
	v_lshlrev_b64 v[2:3], 2, v[3:4]
	v_mov_b32_e32 v5, 0x5000
	v_mov_b32_e32 v4, s88
	v_add_co_u32_e32 v14, vcc, s87, v2
	s_mov_b32 s24, 0
	v_cmp_gt_u32_e64 s[12:13], 64, v10
	v_lshl_add_u32 v12, v10, 2, v5
	v_lshl_or_b32 v13, v1, 2, v5
	s_add_i32 s25, s33, 1
	v_addc_co_u32_e32 v15, vcc, v4, v3, vcc
	v_mov_b32_e32 v17, -1
	v_mov_b32_e32 v16, 0
	s_branch .LBB21_1090
.LBB21_1088:                            ;   in Loop: Header=BB21_1090 Depth=1
	ds_read_b32 v2, v13 offset:192
	s_waitcnt vmcnt(0) lgkmcnt(0)
	v_fmac_f32_e32 v11, v4, v2
.LBB21_1089:                            ;   in Loop: Header=BB21_1090 Depth=1
	s_or_b64 exec, exec, s[20:21]
	s_add_i32 s24, s24, 1
	s_cmp_eq_u32 s24, s6
	s_cbranch_scc1 .LBB21_1112
.LBB21_1090:                            ; =>This Loop Header: Depth=1
                                        ;     Child Loop BB21_1092 Depth 2
	v_cmp_gt_i32_e32 vcc, s24, v17
	s_and_b64 s[20:21], s[4:5], vcc
	s_and_saveexec_b64 s[10:11], s[20:21]
	s_cbranch_execz .LBB21_1093
; %bb.1091:                             ;   in Loop: Header=BB21_1090 Depth=1
	global_load_dword v17, v16, s[18:19]
	s_waitcnt vmcnt(0)
	v_cmp_le_i32_e32 vcc, s24, v17
	s_cbranch_vccnz .LBB21_1093
.LBB21_1092:                            ;   Parent Loop BB21_1090 Depth=1
                                        ; =>  This Inner Loop Header: Depth=2
	buffer_wbinvl1_vol
	global_load_dword v17, v16, s[18:19]
	s_waitcnt vmcnt(0)
	v_cmp_gt_i32_e32 vcc, s24, v17
	s_cbranch_vccnz .LBB21_1092
.LBB21_1093:                            ;   in Loop: Header=BB21_1090 Depth=1
	s_or_b64 exec, exec, s[10:11]
	s_sub_i32 s34, s7, s24
	s_lshl_b32 s35, s34, 6
	buffer_wbinvl1_vol
	s_barrier
	s_and_saveexec_b64 s[10:11], s[12:13]
	s_cbranch_execz .LBB21_1097
; %bb.1094:                             ;   in Loop: Header=BB21_1090 Depth=1
	s_ashr_i32 s20, s35, 31
	v_mov_b32_e32 v3, s20
	v_or_b32_e32 v2, s35, v10
	v_cmp_gt_i64_e32 vcc, s[30:31], v[2:3]
	v_mov_b32_e32 v4, 0
	s_and_saveexec_b64 s[20:21], vcc
	s_cbranch_execz .LBB21_1096
; %bb.1095:                             ;   in Loop: Header=BB21_1090 Depth=1
	v_mul_lo_u32 v4, v3, s16
	v_mul_lo_u32 v5, v2, s17
	v_mad_u64_u32 v[2:3], s[36:37], v2, s16, 0
	v_add3_u32 v3, v3, v5, v4
	v_lshlrev_b64 v[2:3], 2, v[2:3]
	v_mov_b32_e32 v4, s27
	v_add_co_u32_e32 v2, vcc, s26, v2
	v_addc_co_u32_e32 v3, vcc, v4, v3, vcc
	global_load_dword v4, v[2:3], off
.LBB21_1096:                            ;   in Loop: Header=BB21_1090 Depth=1
	s_or_b64 exec, exec, s[20:21]
	s_waitcnt vmcnt(0)
	ds_write_b32 v12, v4
.LBB21_1097:                            ;   in Loop: Header=BB21_1090 Depth=1
	s_or_b64 exec, exec, s[10:11]
	v_add_u32_e32 v4, s35, v1
	v_ashrrev_i32_e32 v5, 31, v4
	v_lshlrev_b64 v[2:3], 2, v[4:5]
	s_cmp_lg_u32 s34, s25
	v_add_co_u32_e32 v2, vcc, v14, v2
	s_cselect_b64 s[10:11], -1, 0
	v_addc_co_u32_e32 v3, vcc, v15, v3, vcc
	v_cmp_gt_i32_e32 vcc, s30, v4
	v_cndmask_b32_e64 v5, 0, 1, s[10:11]
	s_and_b64 s[34:35], vcc, s[8:9]
	v_cmp_ne_u32_e64 s[10:11], 1, v5
	s_waitcnt lgkmcnt(0)
	s_barrier
	s_and_saveexec_b64 s[20:21], s[34:35]
	s_cbranch_execz .LBB21_1101
; %bb.1098:                             ;   in Loop: Header=BB21_1090 Depth=1
	s_and_b64 vcc, exec, s[10:11]
	v_mov_b32_e32 v5, v7
	s_cbranch_vccnz .LBB21_1100
; %bb.1099:                             ;   in Loop: Header=BB21_1090 Depth=1
	global_load_dword v5, v[2:3], off
.LBB21_1100:                            ;   in Loop: Header=BB21_1090 Depth=1
	ds_read_b32 v18, v13
	s_waitcnt vmcnt(0) lgkmcnt(0)
	v_fmac_f32_e32 v11, v5, v18
.LBB21_1101:                            ;   in Loop: Header=BB21_1090 Depth=1
	s_or_b64 exec, exec, s[20:21]
	v_add_u32_e32 v5, 16, v4
	v_cmp_gt_i32_e32 vcc, s30, v5
	s_and_b64 s[34:35], vcc, s[8:9]
	s_and_saveexec_b64 s[20:21], s[34:35]
	s_cbranch_execz .LBB21_1105
; %bb.1102:                             ;   in Loop: Header=BB21_1090 Depth=1
	s_and_b64 vcc, exec, s[10:11]
	v_mov_b32_e32 v5, v6
	s_cbranch_vccnz .LBB21_1104
; %bb.1103:                             ;   in Loop: Header=BB21_1090 Depth=1
	global_load_dword v5, v[2:3], off offset:64
.LBB21_1104:                            ;   in Loop: Header=BB21_1090 Depth=1
	ds_read_b32 v18, v13 offset:64
	s_waitcnt vmcnt(0) lgkmcnt(0)
	v_fmac_f32_e32 v11, v5, v18
.LBB21_1105:                            ;   in Loop: Header=BB21_1090 Depth=1
	s_or_b64 exec, exec, s[20:21]
	v_add_u32_e32 v5, 32, v4
	v_cmp_gt_i32_e32 vcc, s30, v5
	s_and_b64 s[34:35], vcc, s[8:9]
	s_and_saveexec_b64 s[20:21], s[34:35]
	s_cbranch_execz .LBB21_1109
; %bb.1106:                             ;   in Loop: Header=BB21_1090 Depth=1
	s_and_b64 vcc, exec, s[10:11]
	v_mov_b32_e32 v5, v9
	s_cbranch_vccnz .LBB21_1108
; %bb.1107:                             ;   in Loop: Header=BB21_1090 Depth=1
	global_load_dword v5, v[2:3], off offset:128
.LBB21_1108:                            ;   in Loop: Header=BB21_1090 Depth=1
	ds_read_b32 v18, v13 offset:128
	s_waitcnt vmcnt(0) lgkmcnt(0)
	v_fmac_f32_e32 v11, v5, v18
.LBB21_1109:                            ;   in Loop: Header=BB21_1090 Depth=1
	s_or_b64 exec, exec, s[20:21]
	v_add_u32_e32 v4, 48, v4
	v_cmp_gt_i32_e32 vcc, s30, v4
	s_and_b64 s[34:35], vcc, s[8:9]
	s_and_saveexec_b64 s[20:21], s[34:35]
	s_cbranch_execz .LBB21_1089
; %bb.1110:                             ;   in Loop: Header=BB21_1090 Depth=1
	s_and_b64 vcc, exec, s[10:11]
	v_mov_b32_e32 v4, v8
	s_cbranch_vccnz .LBB21_1088
; %bb.1111:                             ;   in Loop: Header=BB21_1090 Depth=1
	global_load_dword v4, v[2:3], off offset:192
	s_branch .LBB21_1088
.LBB21_1112:
	v_lshl_add_u32 v2, v1, 6, v0
	s_xor_b64 s[4:5], s[22:23], -1
	v_lshlrev_b32_e32 v2, 2, v2
	ds_write_b32 v2, v11 offset:16384
	s_waitcnt lgkmcnt(0)
	s_barrier
	s_and_saveexec_b64 s[6:7], s[2:3]
	s_cbranch_execz .LBB21_1114
; %bb.1113:
	v_lshlrev_b32_e32 v9, 2, v0
	ds_read2st64_b32 v[3:4], v9 offset0:65 offset1:66
	ds_read2st64_b32 v[5:6], v9 offset0:67 offset1:68
	;; [unrolled: 1-line block ×5, first 2 shown]
	s_waitcnt lgkmcnt(4)
	v_add_f32_e32 v3, v11, v3
	v_add_f32_e32 v3, v3, v4
	s_waitcnt lgkmcnt(3)
	v_add_f32_e32 v3, v3, v5
	v_add_f32_e32 v3, v3, v6
	;; [unrolled: 3-line block ×4, first 2 shown]
	ds_read2st64_b32 v[3:4], v9 offset0:75 offset1:76
	ds_read2st64_b32 v[5:6], v9 offset0:77 offset1:78
	ds_read_b32 v8, v9 offset:20224
	s_waitcnt lgkmcnt(3)
	v_add_f32_e32 v7, v7, v14
	v_add_f32_e32 v7, v7, v15
	s_waitcnt lgkmcnt(2)
	v_add_f32_e32 v3, v7, v3
	v_add_f32_e32 v3, v3, v4
	;; [unrolled: 3-line block ×3, first 2 shown]
	s_waitcnt lgkmcnt(0)
	v_add_f32_e32 v3, v3, v8
	v_cndmask_b32_e64 v11, -v3, 0, s[14:15]
.LBB21_1114:
	s_or_b64 exec, exec, s[6:7]
	s_and_b64 vcc, exec, s[40:41]
	s_cbranch_vccnz .LBB21_1128
; %bb.1115:
	v_mov_b32_e32 v3, 0x5000
	v_lshl_or_b32 v4, v1, 2, v3
	s_and_saveexec_b64 s[6:7], s[2:3]
; %bb.1116:
	v_lshl_add_u32 v3, v0, 2, v4
	ds_write_b32 v3, v11
; %bb.1117:
	s_or_b64 exec, exec, s[6:7]
	v_cmp_le_u32_e32 vcc, v0, v1
	v_mov_b32_e32 v3, 0
	s_waitcnt lgkmcnt(0)
	s_barrier
	s_and_saveexec_b64 s[6:7], vcc
	s_cbranch_execz .LBB21_1119
; %bb.1118:
	ds_read_b32 v3, v2
	ds_read_b32 v5, v4
	s_waitcnt lgkmcnt(0)
	v_fma_f32 v3, v3, v5, 0
.LBB21_1119:
	s_or_b64 exec, exec, s[6:7]
	v_add_u32_e32 v5, 16, v1
	v_cmp_le_u32_e32 vcc, v0, v5
	s_and_saveexec_b64 s[6:7], vcc
	s_cbranch_execz .LBB21_1121
; %bb.1120:
	ds_read_b32 v5, v2 offset:4096
	ds_read_b32 v6, v4 offset:64
	s_waitcnt lgkmcnt(0)
	v_fmac_f32_e32 v3, v5, v6
.LBB21_1121:
	s_or_b64 exec, exec, s[6:7]
	v_add_u32_e32 v5, 32, v1
	v_cmp_le_u32_e32 vcc, v0, v5
	s_and_saveexec_b64 s[6:7], vcc
	s_cbranch_execz .LBB21_1123
; %bb.1122:
	ds_read_b32 v5, v2 offset:8192
	ds_read_b32 v6, v4 offset:128
	s_waitcnt lgkmcnt(0)
	v_fmac_f32_e32 v3, v5, v6
.LBB21_1123:
	s_or_b64 exec, exec, s[6:7]
	v_add_u32_e32 v1, 48, v1
	v_add_u32_e32 v5, 0x4000, v2
	v_cmp_le_u32_e32 vcc, v0, v1
	s_and_saveexec_b64 s[6:7], vcc
	s_cbranch_execz .LBB21_1125
; %bb.1124:
	ds_read_b32 v1, v2 offset:12288
	ds_read_b32 v2, v4 offset:192
	s_waitcnt lgkmcnt(0)
	v_fmac_f32_e32 v3, v1, v2
.LBB21_1125:
	s_or_b64 exec, exec, s[6:7]
	s_mov_b64 s[8:9], 0
	s_mov_b64 s[6:7], 0
	ds_write_b32 v5, v3
	s_waitcnt lgkmcnt(0)
	s_barrier
                                        ; implicit-def: $vgpr1
	s_and_saveexec_b64 s[10:11], s[2:3]
	s_cbranch_execz .LBB21_1166
; %bb.1126:
	v_lshlrev_b32_e32 v12, 2, v0
	ds_read2st64_b32 v[1:2], v12 offset0:65 offset1:66
	ds_read2st64_b32 v[4:5], v12 offset0:67 offset1:68
	;; [unrolled: 1-line block ×4, first 2 shown]
	s_mov_b64 s[6:7], exec
	s_waitcnt lgkmcnt(3)
	v_add_f32_e32 v1, v3, v1
	v_add_f32_e32 v1, v2, v1
	s_waitcnt lgkmcnt(2)
	v_add_f32_e32 v1, v4, v1
	v_add_f32_e32 v1, v5, v1
	;; [unrolled: 3-line block ×3, first 2 shown]
	s_waitcnt lgkmcnt(0)
	v_add_f32_e32 v3, v8, v1
	ds_read2st64_b32 v[1:2], v12 offset0:73 offset1:74
	v_add_f32_e32 v7, v9, v3
	ds_read2st64_b32 v[3:4], v12 offset0:75 offset1:76
	ds_read2st64_b32 v[5:6], v12 offset0:77 offset1:78
	ds_read_b32 v8, v12 offset:20224
	s_waitcnt lgkmcnt(3)
	v_add_f32_e32 v1, v1, v7
	v_add_f32_e32 v1, v2, v1
	s_waitcnt lgkmcnt(2)
	v_add_f32_e32 v1, v3, v1
	v_add_f32_e32 v1, v4, v1
	;; [unrolled: 3-line block ×3, first 2 shown]
	s_waitcnt lgkmcnt(0)
	v_add_f32_e32 v1, v8, v1
	s_or_b64 exec, exec, s[10:11]
	s_and_b64 vcc, exec, s[8:9]
	s_cbranch_vccnz .LBB21_1129
	s_branch .LBB21_1167
.LBB21_1127:
	v_mad_u64_u32 v[11:12], s[2:3], s24, v5, 0
	s_or_b64 s[10:11], s[10:11], exec
	v_mov_b32_e32 v4, v12
	v_mad_u64_u32 v[4:5], s[2:3], s25, v5, v[4:5]
	v_mov_b32_e32 v12, v4
	v_lshlrev_b64 v[4:5], 2, v[11:12]
	v_add_co_u32_e32 v2, vcc, v2, v4
	v_addc_co_u32_e32 v3, vcc, v3, v5, vcc
	global_load_dword v2, v[2:3], off
	s_waitcnt vmcnt(0)
	v_xor_b32_e32 v4, 0x80000000, v2
	s_or_b64 exec, exec, s[8:9]
	s_xor_b64 s[0:1], s[0:1], -1
	s_and_saveexec_b64 s[2:3], s[10:11]
	s_cbranch_execnz .LBB21_45
	s_branch .LBB21_46
.LBB21_1128:
	s_mov_b64 s[6:7], 0
                                        ; implicit-def: $vgpr1
	s_cbranch_execz .LBB21_1167
.LBB21_1129:
	v_mov_b32_e32 v1, 0x3c00
	v_lshl_add_u32 v1, v0, 2, v1
	v_mov_b32_e32 v3, 63
	v_mov_b32_e32 v2, 0
	s_branch .LBB21_1131
.LBB21_1130:                            ;   in Loop: Header=BB21_1131 Depth=1
	s_or_b64 exec, exec, s[8:9]
	v_subrev_co_u32_e32 v3, vcc, 1, v3
	s_andn2_b64 vcc, exec, vcc
	v_add_u32_e32 v1, 0xfffffc00, v1
	s_barrier
	s_cbranch_vccz .LBB21_1147
.LBB21_1131:                            ; =>This Inner Loop Header: Depth=1
	v_cmp_eq_u32_e32 vcc, v0, v3
	s_and_b64 s[10:11], s[2:3], vcc
	s_and_saveexec_b64 s[8:9], s[10:11]
; %bb.1132:                             ;   in Loop: Header=BB21_1131 Depth=1
	ds_write_b32 v2, v11 offset:20736
; %bb.1133:                             ;   in Loop: Header=BB21_1131 Depth=1
	s_or_b64 exec, exec, s[8:9]
	v_cmp_lt_u32_e32 vcc, v0, v3
	s_and_b64 s[10:11], s[2:3], vcc
	s_waitcnt lgkmcnt(0)
	s_barrier
	s_and_saveexec_b64 s[8:9], s[10:11]
	s_cbranch_execz .LBB21_1135
; %bb.1134:                             ;   in Loop: Header=BB21_1131 Depth=1
	ds_read_b32 v4, v1 offset:768
	ds_read_b32 v5, v2 offset:20736
	s_waitcnt lgkmcnt(0)
	v_fmac_f32_e32 v11, v4, v5
.LBB21_1135:                            ;   in Loop: Header=BB21_1131 Depth=1
	s_or_b64 exec, exec, s[8:9]
	v_add_u32_e32 v3, -1, v3
	v_cmp_eq_u32_e32 vcc, v0, v3
	s_and_b64 s[10:11], s[2:3], vcc
	s_barrier
	s_and_saveexec_b64 s[8:9], s[10:11]
; %bb.1136:                             ;   in Loop: Header=BB21_1131 Depth=1
	ds_write_b32 v2, v11 offset:20736
; %bb.1137:                             ;   in Loop: Header=BB21_1131 Depth=1
	s_or_b64 exec, exec, s[8:9]
	v_cmp_lt_u32_e32 vcc, v0, v3
	s_and_b64 s[10:11], s[2:3], vcc
	s_waitcnt lgkmcnt(0)
	s_barrier
	s_and_saveexec_b64 s[8:9], s[10:11]
	s_cbranch_execz .LBB21_1139
; %bb.1138:                             ;   in Loop: Header=BB21_1131 Depth=1
	ds_read_b32 v4, v1 offset:512
	ds_read_b32 v5, v2 offset:20736
	s_waitcnt lgkmcnt(0)
	v_fmac_f32_e32 v11, v4, v5
.LBB21_1139:                            ;   in Loop: Header=BB21_1131 Depth=1
	s_or_b64 exec, exec, s[8:9]
	v_add_u32_e32 v3, -1, v3
	v_cmp_eq_u32_e32 vcc, v0, v3
	s_and_b64 s[10:11], s[2:3], vcc
	s_barrier
	;; [unrolled: 22-line block ×3, first 2 shown]
	s_and_saveexec_b64 s[8:9], s[10:11]
; %bb.1144:                             ;   in Loop: Header=BB21_1131 Depth=1
	ds_write_b32 v2, v11 offset:20736
; %bb.1145:                             ;   in Loop: Header=BB21_1131 Depth=1
	s_or_b64 exec, exec, s[8:9]
	v_cmp_lt_u32_e32 vcc, v0, v3
	s_and_b64 s[10:11], s[2:3], vcc
	s_waitcnt lgkmcnt(0)
	s_barrier
	s_and_saveexec_b64 s[8:9], s[10:11]
	s_cbranch_execz .LBB21_1130
; %bb.1146:                             ;   in Loop: Header=BB21_1131 Depth=1
	ds_read_b32 v4, v1
	ds_read_b32 v5, v2 offset:20736
	s_waitcnt lgkmcnt(0)
	v_fmac_f32_e32 v11, v4, v5
	s_branch .LBB21_1130
.LBB21_1147:
	s_mov_b64 s[8:9], -1
	s_and_b64 vcc, exec, s[4:5]
	s_cbranch_vccnz .LBB21_1168
; %bb.1148:
	s_andn2_b64 vcc, exec, s[8:9]
	s_cbranch_vccz .LBB21_1169
.LBB21_1149:
	s_and_saveexec_b64 s[2:3], s[6:7]
	s_cbranch_execz .LBB21_1151
.LBB21_1150:
	s_lshl_b32 s4, s33, 6
	s_ashr_i32 s5, s4, 31
	v_mov_b32_e32 v0, s5
	v_add_co_u32_e32 v1, vcc, s4, v10
	v_addc_co_u32_e32 v0, vcc, 0, v0, vcc
	v_mul_lo_u32 v2, v0, s16
	v_mul_lo_u32 v3, v1, s17
	v_mad_u64_u32 v[0:1], s[4:5], v1, s16, 0
	v_add3_u32 v1, v1, v3, v2
	v_lshlrev_b64 v[0:1], 2, v[0:1]
	v_mov_b32_e32 v2, s27
	v_add_co_u32_e32 v0, vcc, s26, v0
	v_addc_co_u32_e32 v1, vcc, v2, v1, vcc
	global_store_dword v[0:1], v11, off
.LBB21_1151:
	s_or_b64 exec, exec, s[2:3]
	v_cmp_eq_u32_e32 vcc, 0, v10
	s_waitcnt vmcnt(0)
	buffer_wbinvl1_vol
	s_barrier
	s_and_saveexec_b64 s[2:3], vcc
	s_cbranch_execz .LBB21_1153
; %bb.1152:
	s_lshl_b64 s[4:5], s[28:29], 2
	s_add_u32 s0, s0, s4
	s_addc_u32 s1, s1, s5
	v_mov_b32_e32 v0, 0
	global_load_dword v1, v0, s[0:1]
	s_waitcnt vmcnt(0)
	v_add_u32_e32 v1, 1, v1
	global_store_dword v0, v1, s[0:1]
.LBB21_1153:
	s_or_b64 exec, exec, s[2:3]
	s_waitcnt vmcnt(0)
	buffer_wbinvl1_vol
	s_endpgm
.LBB21_1154:
	v_or_b32_e32 v10, v1, v0
	v_cmp_gt_u32_e32 vcc, 64, v10
	s_and_b64 s[10:11], vcc, exec
	s_andn2_saveexec_b64 s[8:9], s[8:9]
	s_cbranch_execz .LBB21_14
.LBB21_1155:
	v_mad_u64_u32 v[10:11], s[12:13], s24, v1, 0
	s_or_b64 s[10:11], s[10:11], exec
	v_mov_b32_e32 v5, v11
	v_mad_u64_u32 v[11:12], s[12:13], s25, v1, v[5:6]
	v_lshlrev_b64 v[10:11], 2, v[10:11]
	v_add_co_u32_e32 v10, vcc, v2, v10
	v_addc_co_u32_e32 v11, vcc, v3, v11, vcc
	global_load_dword v5, v[10:11], off
	s_waitcnt vmcnt(0)
	v_xor_b32_e32 v5, 0x80000000, v5
	s_or_b64 exec, exec, s[8:9]
	s_and_saveexec_b64 s[8:9], s[10:11]
	s_cbranch_execnz .LBB21_15
	s_branch .LBB21_16
.LBB21_1156:
	v_or_b32_e32 v10, v5, v0
	v_cmp_gt_u32_e32 vcc, 64, v10
	s_and_b64 s[2:3], vcc, exec
	s_or_saveexec_b64 s[8:9], s[8:9]
	v_mov_b32_e32 v10, 0
	s_xor_b64 exec, exec, s[8:9]
	s_cbranch_execz .LBB21_18
.LBB21_1157:
	v_mad_u64_u32 v[10:11], s[10:11], s24, v5, 0
	s_or_b64 s[2:3], s[2:3], exec
	v_mad_u64_u32 v[11:12], s[10:11], s25, v5, v[11:12]
	v_lshlrev_b64 v[10:11], 2, v[10:11]
	v_add_co_u32_e32 v10, vcc, v2, v10
	v_addc_co_u32_e32 v11, vcc, v3, v11, vcc
	global_load_dword v10, v[10:11], off
	s_waitcnt vmcnt(0)
	v_xor_b32_e32 v10, 0x80000000, v10
	s_or_b64 exec, exec, s[8:9]
	s_and_saveexec_b64 s[8:9], s[2:3]
	s_cbranch_execnz .LBB21_19
	s_branch .LBB21_20
.LBB21_1158:
	v_or_b32_e32 v10, v5, v0
	v_cmp_gt_u32_e32 vcc, 64, v10
	s_and_b64 s[2:3], vcc, exec
	s_or_saveexec_b64 s[8:9], s[8:9]
	v_mov_b32_e32 v10, 0
	s_xor_b64 exec, exec, s[8:9]
	s_cbranch_execz .LBB21_22
.LBB21_1159:
	v_mad_u64_u32 v[10:11], s[10:11], s24, v5, 0
	s_or_b64 s[2:3], s[2:3], exec
	v_mad_u64_u32 v[11:12], s[10:11], s25, v5, v[11:12]
	v_lshlrev_b64 v[10:11], 2, v[10:11]
	v_add_co_u32_e32 v10, vcc, v2, v10
	v_addc_co_u32_e32 v11, vcc, v3, v11, vcc
	global_load_dword v10, v[10:11], off
	s_waitcnt vmcnt(0)
	v_xor_b32_e32 v10, 0x80000000, v10
	s_or_b64 exec, exec, s[8:9]
	s_and_saveexec_b64 s[8:9], s[2:3]
	s_cbranch_execnz .LBB21_23
	s_branch .LBB21_24
.LBB21_1160:
	v_or_b32_e32 v10, v1, v0
	v_cmp_gt_u32_e64 s[2:3], 64, v10
	s_and_b64 s[8:9], s[2:3], exec
	s_andn2_saveexec_b64 s[12:13], s[12:13]
	s_cbranch_execz .LBB21_30
.LBB21_1161:
	v_mad_u64_u32 v[10:11], s[2:3], s24, v1, 0
	s_or_b64 s[8:9], s[8:9], exec
	v_mov_b32_e32 v5, v11
	v_mad_u64_u32 v[11:12], s[2:3], s25, v1, v[5:6]
	v_lshlrev_b64 v[10:11], 2, v[10:11]
	v_add_co_u32_e64 v10, s[2:3], v2, v10
	v_addc_co_u32_e64 v11, s[2:3], v3, v11, s[2:3]
	global_load_dword v5, v[10:11], off
	s_waitcnt vmcnt(0)
	v_xor_b32_e32 v5, 0x80000000, v5
	s_or_b64 exec, exec, s[12:13]
	s_and_saveexec_b64 s[2:3], s[8:9]
	s_cbranch_execnz .LBB21_31
	s_branch .LBB21_32
.LBB21_1162:
	v_or_b32_e32 v10, v5, v0
	v_cmp_gt_u32_e64 s[2:3], 64, v10
	s_and_b64 s[8:9], s[2:3], exec
	s_or_saveexec_b64 s[12:13], s[12:13]
	v_mov_b32_e32 v10, 0
	s_xor_b64 exec, exec, s[12:13]
	s_cbranch_execz .LBB21_34
.LBB21_1163:
	v_mad_u64_u32 v[10:11], s[2:3], s24, v5, 0
	s_or_b64 s[8:9], s[8:9], exec
	v_mad_u64_u32 v[11:12], s[2:3], s25, v5, v[11:12]
	v_lshlrev_b64 v[10:11], 2, v[10:11]
	v_add_co_u32_e64 v10, s[2:3], v2, v10
	v_addc_co_u32_e64 v11, s[2:3], v3, v11, s[2:3]
	global_load_dword v10, v[10:11], off
	s_waitcnt vmcnt(0)
	v_xor_b32_e32 v10, 0x80000000, v10
	s_or_b64 exec, exec, s[12:13]
	s_and_saveexec_b64 s[2:3], s[8:9]
	s_cbranch_execnz .LBB21_35
	s_branch .LBB21_36
.LBB21_1164:
	v_or_b32_e32 v10, v5, v0
	v_cmp_gt_u32_e64 s[2:3], 64, v10
	s_and_b64 s[8:9], s[2:3], exec
	s_or_saveexec_b64 s[12:13], s[12:13]
	v_mov_b32_e32 v10, 0
	s_xor_b64 exec, exec, s[12:13]
	s_cbranch_execz .LBB21_38
.LBB21_1165:
	v_mad_u64_u32 v[10:11], s[2:3], s24, v5, 0
	s_or_b64 s[8:9], s[8:9], exec
	v_mad_u64_u32 v[11:12], s[2:3], s25, v5, v[11:12]
	v_lshlrev_b64 v[10:11], 2, v[10:11]
	v_add_co_u32_e64 v10, s[2:3], v2, v10
	v_addc_co_u32_e64 v11, s[2:3], v3, v11, s[2:3]
	global_load_dword v10, v[10:11], off
	s_waitcnt vmcnt(0)
	v_xor_b32_e32 v10, 0x80000000, v10
	s_or_b64 exec, exec, s[12:13]
	s_and_saveexec_b64 s[2:3], s[8:9]
	s_cbranch_execnz .LBB21_39
	s_branch .LBB21_40
.LBB21_1166:
	s_or_b64 exec, exec, s[10:11]
	s_and_b64 vcc, exec, s[8:9]
	s_cbranch_vccnz .LBB21_1129
.LBB21_1167:
	v_mov_b32_e32 v11, v1
	s_and_saveexec_b64 s[2:3], s[6:7]
	s_cbranch_execnz .LBB21_1150
	s_branch .LBB21_1151
.LBB21_1168:
	s_andn2_b64 s[4:5], s[6:7], exec
	s_and_b64 s[6:7], s[2:3], exec
	s_or_b64 s[6:7], s[4:5], s[6:7]
	s_cbranch_execnz .LBB21_1149
.LBB21_1169:
	v_cmp_gt_i32_e32 vcc, s86, v0
	s_and_b64 s[2:3], s[2:3], vcc
	s_andn2_b64 s[4:5], s[6:7], exec
	s_and_b64 s[2:3], s[2:3], exec
	s_or_b64 s[6:7], s[4:5], s[2:3]
	s_and_saveexec_b64 s[2:3], s[6:7]
	s_cbranch_execnz .LBB21_1150
	s_branch .LBB21_1151
.LBB21_1170:
	v_lshlrev_b32_e32 v16, 2, v14
	v_sub_u32_e32 v16, v15, v16
	v_lshl_add_u32 v16, v13, 2, v16
	ds_read_b32 v16, v16 offset:272
	ds_read_b32 v17, v15 offset:4
	s_waitcnt lgkmcnt(0)
	v_fmac_f32_e32 v12, v16, v17
	s_or_b64 exec, exec, s[14:15]
	v_cmp_gt_u32_e64 s[10:11], 8, v4
	s_and_saveexec_b64 s[14:15], s[10:11]
	s_cbranch_execz .LBB21_68
.LBB21_1171:
	ds_read_b32 v16, v10 offset:528
	ds_read_b32 v15, v15 offset:8
	s_waitcnt lgkmcnt(0)
	v_fmac_f32_e32 v12, v16, v15
	s_or_b64 exec, exec, s[14:15]
	v_cmp_gt_u32_e64 s[10:11], 4, v4
	s_and_saveexec_b64 s[14:15], s[10:11]
	s_cbranch_execnz .LBB21_69
	s_branch .LBB21_70
.LBB21_1172:
	v_lshlrev_b32_e32 v21, 2, v19
	v_sub_u32_e32 v21, v20, v21
	v_lshl_add_u32 v21, v18, 2, v21
	ds_read_b32 v21, v21 offset:288
	ds_read_b32 v22, v20 offset:4
	s_waitcnt lgkmcnt(0)
	v_fmac_f32_e32 v17, v21, v22
	s_or_b64 exec, exec, s[16:17]
	v_cmp_gt_u32_e64 s[14:15], 48, v4
	s_and_saveexec_b64 s[16:17], s[14:15]
	s_cbranch_execz .LBB21_110
.LBB21_1173:
	v_lshlrev_b32_e32 v21, 2, v19
	v_sub_u32_e32 v21, v20, v21
	v_lshl_add_u32 v21, v18, 2, v21
	ds_read_b32 v21, v21 offset:544
	ds_read_b32 v22, v20 offset:8
	s_waitcnt lgkmcnt(0)
	v_fmac_f32_e32 v17, v21, v22
	s_or_b64 exec, exec, s[16:17]
	v_cmp_gt_u32_e64 s[14:15], 40, v4
	s_and_saveexec_b64 s[16:17], s[14:15]
	s_cbranch_execz .LBB21_111
.LBB21_1174:
	v_lshlrev_b32_e32 v21, 2, v19
	v_sub_u32_e32 v21, v20, v21
	v_lshl_add_u32 v21, v18, 2, v21
	ds_read_b32 v21, v21 offset:800
	ds_read_b32 v22, v20 offset:12
	s_waitcnt lgkmcnt(0)
	v_fmac_f32_e32 v17, v21, v22
	s_or_b64 exec, exec, s[16:17]
	v_cmp_gt_u32_e64 s[14:15], 32, v4
	s_and_saveexec_b64 s[16:17], s[14:15]
	s_cbranch_execz .LBB21_112
.LBB21_1175:
	ds_read_b32 v21, v15 offset:1056
	ds_read_b32 v22, v20 offset:16
	s_waitcnt lgkmcnt(0)
	v_fmac_f32_e32 v17, v21, v22
	s_or_b64 exec, exec, s[16:17]
	v_cmp_gt_u32_e64 s[14:15], 24, v4
	s_and_saveexec_b64 s[16:17], s[14:15]
	s_cbranch_execz .LBB21_113
.LBB21_1176:
	v_lshlrev_b32_e32 v21, 2, v19
	v_sub_u32_e32 v21, v20, v21
	v_lshl_add_u32 v21, v18, 2, v21
	ds_read_b32 v21, v21 offset:1312
	ds_read_b32 v22, v20 offset:20
	s_waitcnt lgkmcnt(0)
	v_fmac_f32_e32 v17, v21, v22
	s_or_b64 exec, exec, s[16:17]
	v_cmp_gt_u32_e64 s[14:15], 16, v4
	s_and_saveexec_b64 s[16:17], s[14:15]
	s_cbranch_execz .LBB21_114
.LBB21_1177:
	ds_read_b32 v21, v15 offset:1568
	ds_read_b32 v20, v20 offset:24
	s_waitcnt lgkmcnt(0)
	v_fmac_f32_e32 v17, v21, v20
	s_or_b64 exec, exec, s[16:17]
	v_cmp_gt_u32_e64 s[14:15], 8, v4
	s_and_saveexec_b64 s[16:17], s[14:15]
	s_cbranch_execnz .LBB21_115
	s_branch .LBB21_116
.LBB21_1178:
	v_lshlrev_b32_e32 v22, 2, v14
	v_sub_u32_e32 v22, v21, v22
	v_lshl_add_u32 v22, v13, 2, v22
	ds_read_b32 v22, v22 offset:2352
	ds_read_b32 v23, v21 offset:2084
	s_waitcnt lgkmcnt(0)
	v_fmac_f32_e32 v20, v22, v23
	s_or_b64 exec, exec, s[14:15]
	v_cmp_gt_u32_e64 s[10:11], 8, v4
	s_and_saveexec_b64 s[14:15], s[10:11]
	s_cbranch_execz .LBB21_172
.LBB21_1179:
	ds_read_b32 v22, v10 offset:2608
	ds_read_b32 v21, v21 offset:2088
	s_waitcnt lgkmcnt(0)
	v_fmac_f32_e32 v20, v22, v21
	s_or_b64 exec, exec, s[14:15]
	v_cmp_gt_u32_e64 s[10:11], 4, v4
	s_and_saveexec_b64 s[14:15], s[10:11]
	s_cbranch_execnz .LBB21_173
	s_branch .LBB21_174
.LBB21_1180:
	v_lshlrev_b32_e32 v26, 2, v21
	v_lshl_add_u32 v26, v23, 2, v26
	ds_read_b32 v26, v26 offset:2880
	ds_read_b32 v27, v25 offset:44
	s_waitcnt lgkmcnt(0)
	v_fmac_f32_e32 v22, v26, v27
	s_or_b64 exec, exec, s[20:21]
	v_cmp_gt_u32_e64 s[16:17], 64, v4
	s_and_saveexec_b64 s[20:21], s[16:17]
	s_cbranch_execz .LBB21_234
.LBB21_1181:
	ds_read_b32 v26, v20 offset:3136
	ds_read_b32 v27, v25 offset:48
	s_waitcnt lgkmcnt(0)
	v_fmac_f32_e32 v22, v26, v27
	s_or_b64 exec, exec, s[20:21]
	v_cmp_gt_u32_e64 s[16:17], 48, v4
	s_and_saveexec_b64 s[20:21], s[16:17]
	s_cbranch_execz .LBB21_235
.LBB21_1182:
	v_lshlrev_b32_e32 v26, 2, v21
	v_lshl_add_u32 v26, v23, 2, v26
	ds_read_b32 v26, v26 offset:3392
	ds_read_b32 v27, v25 offset:52
	s_waitcnt lgkmcnt(0)
	v_fmac_f32_e32 v22, v26, v27
	s_or_b64 exec, exec, s[20:21]
	v_cmp_gt_u32_e64 s[16:17], 32, v4
	s_and_saveexec_b64 s[20:21], s[16:17]
	s_cbranch_execz .LBB21_236
.LBB21_1183:
	ds_read_b32 v26, v20 offset:3648
	ds_read_b32 v25, v25 offset:56
	s_waitcnt lgkmcnt(0)
	v_fmac_f32_e32 v22, v26, v25
	s_or_b64 exec, exec, s[20:21]
	v_cmp_gt_u32_e64 s[16:17], 16, v4
	s_and_saveexec_b64 s[20:21], s[16:17]
	s_cbranch_execnz .LBB21_237
	s_branch .LBB21_238
.LBB21_1184:
	v_lshlrev_b32_e32 v27, 2, v14
	v_sub_u32_e32 v27, v26, v27
	v_lshl_add_u32 v27, v13, 2, v27
	ds_read_b32 v27, v27 offset:4432
	ds_read_b32 v28, v26 offset:4164
	s_waitcnt lgkmcnt(0)
	v_fmac_f32_e32 v25, v27, v28
	s_or_b64 exec, exec, s[20:21]
	v_cmp_gt_u32_e64 s[14:15], 8, v4
	s_and_saveexec_b64 s[20:21], s[14:15]
	s_cbranch_execz .LBB21_326
.LBB21_1185:
	ds_read_b32 v27, v10 offset:4688
	ds_read_b32 v26, v26 offset:4168
	s_waitcnt lgkmcnt(0)
	v_fmac_f32_e32 v25, v27, v26
	s_or_b64 exec, exec, s[20:21]
	v_cmp_gt_u32_e64 s[14:15], 4, v4
	s_and_saveexec_b64 s[20:21], s[14:15]
	s_cbranch_execnz .LBB21_327
	s_branch .LBB21_328
.LBB21_1186:
	v_lshlrev_b32_e32 v27, 2, v19
	v_sub_u32_e32 v27, v26, v27
	v_lshl_add_u32 v27, v18, 2, v27
	ds_read_b32 v27, v27 offset:4448
	ds_read_b32 v28, v26 offset:4164
	s_waitcnt lgkmcnt(0)
	v_fmac_f32_e32 v25, v27, v28
	s_or_b64 exec, exec, s[20:21]
	v_cmp_gt_u32_e64 s[14:15], 48, v4
	s_and_saveexec_b64 s[20:21], s[14:15]
	s_cbranch_execz .LBB21_368
.LBB21_1187:
	v_lshlrev_b32_e32 v27, 2, v19
	v_sub_u32_e32 v27, v26, v27
	v_lshl_add_u32 v27, v18, 2, v27
	ds_read_b32 v27, v27 offset:4704
	ds_read_b32 v28, v26 offset:4168
	s_waitcnt lgkmcnt(0)
	v_fmac_f32_e32 v25, v27, v28
	s_or_b64 exec, exec, s[20:21]
	v_cmp_gt_u32_e64 s[14:15], 40, v4
	s_and_saveexec_b64 s[20:21], s[14:15]
	s_cbranch_execz .LBB21_369
.LBB21_1188:
	v_lshlrev_b32_e32 v27, 2, v19
	v_sub_u32_e32 v27, v26, v27
	v_lshl_add_u32 v27, v18, 2, v27
	ds_read_b32 v27, v27 offset:4960
	ds_read_b32 v28, v26 offset:4172
	s_waitcnt lgkmcnt(0)
	v_fmac_f32_e32 v25, v27, v28
	s_or_b64 exec, exec, s[20:21]
	v_cmp_gt_u32_e64 s[14:15], 32, v4
	s_and_saveexec_b64 s[20:21], s[14:15]
	s_cbranch_execz .LBB21_370
.LBB21_1189:
	ds_read_b32 v27, v15 offset:5216
	ds_read_b32 v28, v26 offset:4176
	s_waitcnt lgkmcnt(0)
	v_fmac_f32_e32 v25, v27, v28
	s_or_b64 exec, exec, s[20:21]
	v_cmp_gt_u32_e64 s[14:15], 24, v4
	s_and_saveexec_b64 s[20:21], s[14:15]
	s_cbranch_execz .LBB21_371
.LBB21_1190:
	v_lshlrev_b32_e32 v27, 2, v19
	v_sub_u32_e32 v27, v26, v27
	v_lshl_add_u32 v27, v18, 2, v27
	ds_read_b32 v27, v27 offset:5472
	ds_read_b32 v28, v26 offset:4180
	s_waitcnt lgkmcnt(0)
	v_fmac_f32_e32 v25, v27, v28
	s_or_b64 exec, exec, s[20:21]
	v_cmp_gt_u32_e64 s[14:15], 16, v4
	s_and_saveexec_b64 s[20:21], s[14:15]
	s_cbranch_execz .LBB21_372
.LBB21_1191:
	ds_read_b32 v27, v15 offset:5728
	ds_read_b32 v26, v26 offset:4184
	s_waitcnt lgkmcnt(0)
	v_fmac_f32_e32 v25, v27, v26
	s_or_b64 exec, exec, s[20:21]
	v_cmp_gt_u32_e64 s[14:15], 8, v4
	s_and_saveexec_b64 s[20:21], s[14:15]
	s_cbranch_execnz .LBB21_373
	s_branch .LBB21_374
.LBB21_1192:
	v_lshlrev_b32_e32 v27, 2, v14
	v_sub_u32_e32 v27, v26, v27
	v_lshl_add_u32 v27, v13, 2, v27
	ds_read_b32 v27, v27 offset:6512
	ds_read_b32 v28, v26 offset:6244
	s_waitcnt lgkmcnt(0)
	v_fmac_f32_e32 v25, v27, v28
	s_or_b64 exec, exec, s[20:21]
	v_cmp_gt_u32_e64 s[14:15], 8, v4
	s_and_saveexec_b64 s[20:21], s[14:15]
	s_cbranch_execz .LBB21_430
.LBB21_1193:
	ds_read_b32 v27, v10 offset:6768
	ds_read_b32 v26, v26 offset:6248
	s_waitcnt lgkmcnt(0)
	v_fmac_f32_e32 v25, v27, v26
	s_or_b64 exec, exec, s[20:21]
	v_cmp_gt_u32_e64 s[14:15], 4, v4
	s_and_saveexec_b64 s[20:21], s[14:15]
	s_cbranch_execnz .LBB21_431
	s_branch .LBB21_432
.LBB21_1194:
	ds_read_b32 v31, v25 offset:7552
	ds_read_b32 v32, v30 offset:116
	s_waitcnt lgkmcnt(0)
	v_fmac_f32_e32 v28, v31, v32
	s_or_b64 exec, exec, s[84:85]
	v_cmp_gt_u32_e64 s[20:21], 64, v4
	s_and_saveexec_b64 s[84:85], s[20:21]
	s_cbranch_execz .LBB21_528
.LBB21_1195:
	ds_read_b32 v31, v25 offset:7808
	ds_read_b32 v30, v30 offset:120
	s_waitcnt lgkmcnt(0)
	v_fmac_f32_e32 v28, v31, v30
	s_or_b64 exec, exec, s[84:85]
	v_cmp_gt_u32_e64 s[20:21], 32, v4
	s_and_saveexec_b64 s[84:85], s[20:21]
	s_cbranch_execnz .LBB21_529
	s_branch .LBB21_530
.LBB21_1196:
	v_lshlrev_b32_e32 v27, 2, v14
	v_sub_u32_e32 v27, v26, v27
	v_lshl_add_u32 v27, v13, 2, v27
	ds_read_b32 v27, v27 offset:8592
	ds_read_b32 v28, v26 offset:8324
	s_waitcnt lgkmcnt(0)
	v_fmac_f32_e32 v25, v27, v28
	s_or_b64 exec, exec, s[16:17]
	v_cmp_gt_u32_e64 s[12:13], 8, v4
	s_and_saveexec_b64 s[16:17], s[12:13]
	s_cbranch_execz .LBB21_682
.LBB21_1197:
	ds_read_b32 v27, v10 offset:8848
	ds_read_b32 v26, v26 offset:8328
	s_waitcnt lgkmcnt(0)
	v_fmac_f32_e32 v25, v27, v26
	s_or_b64 exec, exec, s[16:17]
	v_cmp_gt_u32_e64 s[12:13], 4, v4
	s_and_saveexec_b64 s[16:17], s[12:13]
	s_cbranch_execnz .LBB21_683
	s_branch .LBB21_684
.LBB21_1198:
	v_lshlrev_b32_e32 v27, 2, v19
	v_sub_u32_e32 v27, v26, v27
	v_lshl_add_u32 v27, v18, 2, v27
	ds_read_b32 v27, v27 offset:8608
	ds_read_b32 v28, v26 offset:8324
	s_waitcnt lgkmcnt(0)
	v_fmac_f32_e32 v25, v27, v28
	s_or_b64 exec, exec, s[16:17]
	v_cmp_gt_u32_e64 s[12:13], 48, v4
	s_and_saveexec_b64 s[16:17], s[12:13]
	s_cbranch_execz .LBB21_724
.LBB21_1199:
	v_lshlrev_b32_e32 v27, 2, v19
	v_sub_u32_e32 v27, v26, v27
	v_lshl_add_u32 v27, v18, 2, v27
	ds_read_b32 v27, v27 offset:8864
	ds_read_b32 v28, v26 offset:8328
	s_waitcnt lgkmcnt(0)
	v_fmac_f32_e32 v25, v27, v28
	s_or_b64 exec, exec, s[16:17]
	v_cmp_gt_u32_e64 s[12:13], 40, v4
	s_and_saveexec_b64 s[16:17], s[12:13]
	s_cbranch_execz .LBB21_725
.LBB21_1200:
	v_lshlrev_b32_e32 v27, 2, v19
	v_sub_u32_e32 v27, v26, v27
	v_lshl_add_u32 v27, v18, 2, v27
	ds_read_b32 v27, v27 offset:9120
	ds_read_b32 v28, v26 offset:8332
	s_waitcnt lgkmcnt(0)
	v_fmac_f32_e32 v25, v27, v28
	s_or_b64 exec, exec, s[16:17]
	v_cmp_gt_u32_e64 s[12:13], 32, v4
	s_and_saveexec_b64 s[16:17], s[12:13]
	s_cbranch_execz .LBB21_726
.LBB21_1201:
	ds_read_b32 v27, v15 offset:9376
	ds_read_b32 v28, v26 offset:8336
	s_waitcnt lgkmcnt(0)
	v_fmac_f32_e32 v25, v27, v28
	s_or_b64 exec, exec, s[16:17]
	v_cmp_gt_u32_e64 s[12:13], 24, v4
	s_and_saveexec_b64 s[16:17], s[12:13]
	s_cbranch_execz .LBB21_727
.LBB21_1202:
	v_lshlrev_b32_e32 v27, 2, v19
	v_sub_u32_e32 v27, v26, v27
	v_lshl_add_u32 v27, v18, 2, v27
	ds_read_b32 v27, v27 offset:9632
	ds_read_b32 v28, v26 offset:8340
	s_waitcnt lgkmcnt(0)
	v_fmac_f32_e32 v25, v27, v28
	s_or_b64 exec, exec, s[16:17]
	v_cmp_gt_u32_e64 s[12:13], 16, v4
	s_and_saveexec_b64 s[16:17], s[12:13]
	s_cbranch_execz .LBB21_728
.LBB21_1203:
	ds_read_b32 v27, v15 offset:9888
	ds_read_b32 v26, v26 offset:8344
	s_waitcnt lgkmcnt(0)
	v_fmac_f32_e32 v25, v27, v26
	s_or_b64 exec, exec, s[16:17]
	v_cmp_gt_u32_e64 s[12:13], 8, v4
	s_and_saveexec_b64 s[16:17], s[12:13]
	s_cbranch_execnz .LBB21_729
	s_branch .LBB21_730
.LBB21_1204:
	v_lshlrev_b32_e32 v27, 2, v14
	v_sub_u32_e32 v27, v26, v27
	v_lshl_add_u32 v27, v13, 2, v27
	ds_read_b32 v27, v27 offset:10672
	ds_read_b32 v28, v26 offset:10404
	s_waitcnt lgkmcnt(0)
	v_fmac_f32_e32 v25, v27, v28
	s_or_b64 exec, exec, s[16:17]
	v_cmp_gt_u32_e64 s[12:13], 8, v4
	s_and_saveexec_b64 s[16:17], s[12:13]
	s_cbranch_execz .LBB21_786
.LBB21_1205:
	ds_read_b32 v27, v10 offset:10928
	ds_read_b32 v26, v26 offset:10408
	s_waitcnt lgkmcnt(0)
	v_fmac_f32_e32 v25, v27, v26
	s_or_b64 exec, exec, s[16:17]
	v_cmp_gt_u32_e64 s[12:13], 4, v4
	s_and_saveexec_b64 s[16:17], s[12:13]
	s_cbranch_execnz .LBB21_787
	s_branch .LBB21_788
.LBB21_1206:
	v_lshlrev_b32_e32 v24, 2, v21
	v_lshl_add_u32 v24, v23, 2, v24
	ds_read_b32 v24, v24 offset:11200
	ds_read_b32 v27, v26 offset:8364
	s_waitcnt lgkmcnt(0)
	v_fmac_f32_e32 v25, v24, v27
	s_or_b64 exec, exec, s[16:17]
	v_cmp_gt_u32_e64 s[12:13], 64, v4
	s_and_saveexec_b64 s[16:17], s[12:13]
	s_cbranch_execz .LBB21_848
.LBB21_1207:
	ds_read_b32 v24, v20 offset:11456
	ds_read_b32 v27, v26 offset:8368
	s_waitcnt lgkmcnt(0)
	v_fmac_f32_e32 v25, v24, v27
	s_or_b64 exec, exec, s[16:17]
	v_cmp_gt_u32_e64 s[12:13], 48, v4
	s_and_saveexec_b64 s[16:17], s[12:13]
	s_cbranch_execz .LBB21_849
.LBB21_1208:
	v_lshlrev_b32_e32 v24, 2, v21
	v_lshl_add_u32 v23, v23, 2, v24
	ds_read_b32 v23, v23 offset:11712
	ds_read_b32 v24, v26 offset:8372
	s_waitcnt lgkmcnt(0)
	v_fmac_f32_e32 v25, v23, v24
	s_or_b64 exec, exec, s[16:17]
	v_cmp_gt_u32_e64 s[12:13], 32, v4
	s_and_saveexec_b64 s[16:17], s[12:13]
	s_cbranch_execz .LBB21_850
.LBB21_1209:
	ds_read_b32 v23, v20 offset:11968
	ds_read_b32 v24, v26 offset:8376
	s_waitcnt lgkmcnt(0)
	v_fmac_f32_e32 v25, v23, v24
	s_or_b64 exec, exec, s[16:17]
	v_cmp_gt_u32_e64 s[12:13], 16, v4
	s_and_saveexec_b64 s[16:17], s[12:13]
	s_cbranch_execnz .LBB21_851
	s_branch .LBB21_852
.LBB21_1210:
	v_lshlrev_b32_e32 v22, 2, v14
	v_sub_u32_e32 v22, v21, v22
	v_lshl_add_u32 v22, v13, 2, v22
	ds_read_b32 v22, v22 offset:12752
	ds_read_b32 v23, v21 offset:12484
	s_waitcnt lgkmcnt(0)
	v_fmac_f32_e32 v20, v22, v23
	s_or_b64 exec, exec, s[12:13]
	v_cmp_gt_u32_e64 s[10:11], 8, v4
	s_and_saveexec_b64 s[12:13], s[10:11]
	s_cbranch_execz .LBB21_940
.LBB21_1211:
	ds_read_b32 v22, v10 offset:13008
	ds_read_b32 v21, v21 offset:12488
	s_waitcnt lgkmcnt(0)
	v_fmac_f32_e32 v20, v22, v21
	s_or_b64 exec, exec, s[12:13]
	v_cmp_gt_u32_e64 s[10:11], 4, v4
	s_and_saveexec_b64 s[12:13], s[10:11]
	s_cbranch_execnz .LBB21_941
	s_branch .LBB21_942
.LBB21_1212:
	v_lshlrev_b32_e32 v22, 2, v19
	v_sub_u32_e32 v22, v21, v22
	v_lshl_add_u32 v22, v18, 2, v22
	ds_read_b32 v22, v22 offset:12768
	ds_read_b32 v23, v21 offset:12484
	s_waitcnt lgkmcnt(0)
	v_fmac_f32_e32 v20, v22, v23
	s_or_b64 exec, exec, s[12:13]
	v_cmp_gt_u32_e64 s[10:11], 48, v4
	s_and_saveexec_b64 s[12:13], s[10:11]
	s_cbranch_execz .LBB21_982
.LBB21_1213:
	v_lshlrev_b32_e32 v22, 2, v19
	v_sub_u32_e32 v22, v21, v22
	v_lshl_add_u32 v22, v18, 2, v22
	ds_read_b32 v22, v22 offset:13024
	ds_read_b32 v23, v21 offset:12488
	s_waitcnt lgkmcnt(0)
	v_fmac_f32_e32 v20, v22, v23
	s_or_b64 exec, exec, s[12:13]
	v_cmp_gt_u32_e64 s[10:11], 40, v4
	s_and_saveexec_b64 s[12:13], s[10:11]
	s_cbranch_execz .LBB21_983
.LBB21_1214:
	v_lshlrev_b32_e32 v22, 2, v19
	v_sub_u32_e32 v22, v21, v22
	v_lshl_add_u32 v22, v18, 2, v22
	ds_read_b32 v22, v22 offset:13280
	ds_read_b32 v23, v21 offset:12492
	s_waitcnt lgkmcnt(0)
	v_fmac_f32_e32 v20, v22, v23
	s_or_b64 exec, exec, s[12:13]
	v_cmp_gt_u32_e64 s[10:11], 32, v4
	s_and_saveexec_b64 s[12:13], s[10:11]
	s_cbranch_execz .LBB21_984
.LBB21_1215:
	ds_read_b32 v22, v15 offset:13536
	ds_read_b32 v23, v21 offset:12496
	s_waitcnt lgkmcnt(0)
	v_fmac_f32_e32 v20, v22, v23
	s_or_b64 exec, exec, s[12:13]
	v_cmp_gt_u32_e64 s[10:11], 24, v4
	s_and_saveexec_b64 s[12:13], s[10:11]
	s_cbranch_execz .LBB21_985
.LBB21_1216:
	v_lshlrev_b32_e32 v19, 2, v19
	v_sub_u32_e32 v19, v21, v19
	v_lshl_add_u32 v18, v18, 2, v19
	ds_read_b32 v18, v18 offset:13792
	ds_read_b32 v19, v21 offset:12500
	s_waitcnt lgkmcnt(0)
	v_fmac_f32_e32 v20, v18, v19
	s_or_b64 exec, exec, s[12:13]
	v_cmp_gt_u32_e64 s[10:11], 16, v4
	s_and_saveexec_b64 s[12:13], s[10:11]
	s_cbranch_execz .LBB21_986
.LBB21_1217:
	ds_read_b32 v18, v15 offset:14048
	ds_read_b32 v19, v21 offset:12504
	s_waitcnt lgkmcnt(0)
	v_fmac_f32_e32 v20, v18, v19
	s_or_b64 exec, exec, s[12:13]
	v_cmp_gt_u32_e64 s[10:11], 8, v4
	s_and_saveexec_b64 s[12:13], s[10:11]
	s_cbranch_execnz .LBB21_987
	s_branch .LBB21_988
.LBB21_1218:
	v_lshlrev_b32_e32 v14, 2, v14
	v_sub_u32_e32 v14, v16, v14
	v_lshl_add_u32 v13, v13, 2, v14
	ds_read_b32 v13, v13 offset:14832
	ds_read_b32 v14, v16 offset:14564
	s_waitcnt lgkmcnt(0)
	v_fmac_f32_e32 v15, v13, v14
	s_or_b64 exec, exec, s[10:11]
	v_cmp_gt_u32_e64 s[8:9], 8, v4
	s_and_saveexec_b64 s[10:11], s[8:9]
	s_cbranch_execz .LBB21_1044
.LBB21_1219:
	ds_read_b32 v13, v10 offset:15088
	ds_read_b32 v14, v16 offset:14568
	s_waitcnt lgkmcnt(0)
	v_fmac_f32_e32 v15, v13, v14
	s_or_b64 exec, exec, s[10:11]
	v_cmp_gt_u32_e64 s[8:9], 4, v4
	s_and_saveexec_b64 s[10:11], s[8:9]
	s_cbranch_execnz .LBB21_1045
	s_branch .LBB21_1046
	.section	.rodata,"a",@progbits
	.p2align	6, 0x0
	.amdhsa_kernel _ZL19rocblas_trsv_deviceILi64ELi16ELb1ELb1ELb1ELb1EffPKfPfEviT7_lllT6_T8_lllPii
		.amdhsa_group_segment_fixed_size 20740
		.amdhsa_private_segment_fixed_size 0
		.amdhsa_kernarg_size 352
		.amdhsa_user_sgpr_count 6
		.amdhsa_user_sgpr_private_segment_buffer 1
		.amdhsa_user_sgpr_dispatch_ptr 0
		.amdhsa_user_sgpr_queue_ptr 0
		.amdhsa_user_sgpr_kernarg_segment_ptr 1
		.amdhsa_user_sgpr_dispatch_id 0
		.amdhsa_user_sgpr_flat_scratch_init 0
		.amdhsa_user_sgpr_private_segment_size 0
		.amdhsa_uses_dynamic_stack 0
		.amdhsa_system_sgpr_private_segment_wavefront_offset 0
		.amdhsa_system_sgpr_workgroup_id_x 1
		.amdhsa_system_sgpr_workgroup_id_y 0
		.amdhsa_system_sgpr_workgroup_id_z 1
		.amdhsa_system_sgpr_workgroup_info 0
		.amdhsa_system_vgpr_workitem_id 1
		.amdhsa_next_free_vgpr 34
		.amdhsa_next_free_sgpr 96
		.amdhsa_reserve_vcc 1
		.amdhsa_reserve_flat_scratch 0
		.amdhsa_float_round_mode_32 0
		.amdhsa_float_round_mode_16_64 0
		.amdhsa_float_denorm_mode_32 3
		.amdhsa_float_denorm_mode_16_64 3
		.amdhsa_dx10_clamp 1
		.amdhsa_ieee_mode 1
		.amdhsa_fp16_overflow 0
		.amdhsa_exception_fp_ieee_invalid_op 0
		.amdhsa_exception_fp_denorm_src 0
		.amdhsa_exception_fp_ieee_div_zero 0
		.amdhsa_exception_fp_ieee_overflow 0
		.amdhsa_exception_fp_ieee_underflow 0
		.amdhsa_exception_fp_ieee_inexact 0
		.amdhsa_exception_int_div_zero 0
	.end_amdhsa_kernel
	.section	.text._ZL19rocblas_trsv_deviceILi64ELi16ELb1ELb1ELb1ELb1EffPKfPfEviT7_lllT6_T8_lllPii,"axG",@progbits,_ZL19rocblas_trsv_deviceILi64ELi16ELb1ELb1ELb1ELb1EffPKfPfEviT7_lllT6_T8_lllPii,comdat
.Lfunc_end21:
	.size	_ZL19rocblas_trsv_deviceILi64ELi16ELb1ELb1ELb1ELb1EffPKfPfEviT7_lllT6_T8_lllPii, .Lfunc_end21-_ZL19rocblas_trsv_deviceILi64ELi16ELb1ELb1ELb1ELb1EffPKfPfEviT7_lllT6_T8_lllPii
                                        ; -- End function
	.set _ZL19rocblas_trsv_deviceILi64ELi16ELb1ELb1ELb1ELb1EffPKfPfEviT7_lllT6_T8_lllPii.num_vgpr, 34
	.set _ZL19rocblas_trsv_deviceILi64ELi16ELb1ELb1ELb1ELb1EffPKfPfEviT7_lllT6_T8_lllPii.num_agpr, 0
	.set _ZL19rocblas_trsv_deviceILi64ELi16ELb1ELb1ELb1ELb1EffPKfPfEviT7_lllT6_T8_lllPii.numbered_sgpr, 96
	.set _ZL19rocblas_trsv_deviceILi64ELi16ELb1ELb1ELb1ELb1EffPKfPfEviT7_lllT6_T8_lllPii.num_named_barrier, 0
	.set _ZL19rocblas_trsv_deviceILi64ELi16ELb1ELb1ELb1ELb1EffPKfPfEviT7_lllT6_T8_lllPii.private_seg_size, 0
	.set _ZL19rocblas_trsv_deviceILi64ELi16ELb1ELb1ELb1ELb1EffPKfPfEviT7_lllT6_T8_lllPii.uses_vcc, 1
	.set _ZL19rocblas_trsv_deviceILi64ELi16ELb1ELb1ELb1ELb1EffPKfPfEviT7_lllT6_T8_lllPii.uses_flat_scratch, 0
	.set _ZL19rocblas_trsv_deviceILi64ELi16ELb1ELb1ELb1ELb1EffPKfPfEviT7_lllT6_T8_lllPii.has_dyn_sized_stack, 0
	.set _ZL19rocblas_trsv_deviceILi64ELi16ELb1ELb1ELb1ELb1EffPKfPfEviT7_lllT6_T8_lllPii.has_recursion, 0
	.set _ZL19rocblas_trsv_deviceILi64ELi16ELb1ELb1ELb1ELb1EffPKfPfEviT7_lllT6_T8_lllPii.has_indirect_call, 0
	.section	.AMDGPU.csdata,"",@progbits
; Kernel info:
; codeLenInByte = 33768
; TotalNumSgprs: 100
; NumVgprs: 34
; ScratchSize: 0
; MemoryBound: 0
; FloatMode: 240
; IeeeMode: 1
; LDSByteSize: 20740 bytes/workgroup (compile time only)
; SGPRBlocks: 12
; VGPRBlocks: 8
; NumSGPRsForWavesPerEU: 100
; NumVGPRsForWavesPerEU: 34
; Occupancy: 7
; WaveLimiterHint : 0
; COMPUTE_PGM_RSRC2:SCRATCH_EN: 0
; COMPUTE_PGM_RSRC2:USER_SGPR: 6
; COMPUTE_PGM_RSRC2:TRAP_HANDLER: 0
; COMPUTE_PGM_RSRC2:TGID_X_EN: 1
; COMPUTE_PGM_RSRC2:TGID_Y_EN: 0
; COMPUTE_PGM_RSRC2:TGID_Z_EN: 1
; COMPUTE_PGM_RSRC2:TIDIG_COMP_CNT: 1
	.section	.text._ZL19rocblas_trsv_deviceILi64ELi16ELb1ELb0ELb0ELb0EffPKfPfEviT7_lllT6_T8_lllPii,"axG",@progbits,_ZL19rocblas_trsv_deviceILi64ELi16ELb1ELb0ELb0ELb0EffPKfPfEviT7_lllT6_T8_lllPii,comdat
	.globl	_ZL19rocblas_trsv_deviceILi64ELi16ELb1ELb0ELb0ELb0EffPKfPfEviT7_lllT6_T8_lllPii ; -- Begin function _ZL19rocblas_trsv_deviceILi64ELi16ELb1ELb0ELb0ELb0EffPKfPfEviT7_lllT6_T8_lllPii
	.p2align	8
	.type	_ZL19rocblas_trsv_deviceILi64ELi16ELb1ELb0ELb0ELb0EffPKfPfEviT7_lllT6_T8_lllPii,@function
_ZL19rocblas_trsv_deviceILi64ELi16ELb1ELb0ELb0ELb0EffPKfPfEviT7_lllT6_T8_lllPii: ; @_ZL19rocblas_trsv_deviceILi64ELi16ELb1ELb0ELb0ELb0EffPKfPfEviT7_lllT6_T8_lllPii
; %bb.0:
	s_mov_b32 s24, s7
	s_load_dwordx8 s[16:23], s[4:5], 0x8
	s_load_dword s7, s[4:5], 0x0
	s_load_dword s93, s[4:5], 0x6c
	v_mov_b32_e32 v2, v1
	s_mov_b32 s25, 0
	s_waitcnt lgkmcnt(0)
	s_mul_i32 s0, s23, s24
	s_mul_hi_u32 s1, s22, s24
	s_add_i32 s1, s1, s0
	s_mul_i32 s0, s22, s24
	s_lshl_b64 s[0:1], s[0:1], 2
	s_add_u32 s2, s16, s0
	s_addc_u32 s3, s17, s1
	s_lshl_b64 s[0:1], s[18:19], 2
	s_add_u32 s91, s2, s0
	s_addc_u32 s92, s3, s1
	s_cmp_eq_u32 s6, 0
	s_cbranch_scc1 .LBB22_10
; %bb.1:
	s_lshl_b32 s33, s6, 6
	v_add_u32_e32 v1, s33, v2
	v_subrev_u32_e32 v1, 64, v1
	v_ashrrev_i32_e32 v3, 31, v1
	v_mul_lo_u32 v7, s20, v3
	v_mul_lo_u32 v8, s21, v1
	v_mad_u64_u32 v[3:4], s[0:1], s20, v1, 0
	v_add_u32_e32 v5, s33, v0
	v_ashrrev_i32_e32 v6, 31, v5
	v_add3_u32 v4, v4, v7, v8
	v_lshlrev_b64 v[3:4], 2, v[3:4]
	v_mov_b32_e32 v7, s92
	v_add_co_u32_e64 v8, s[0:1], s91, v3
	v_addc_co_u32_e64 v7, s[0:1], v7, v4, s[0:1]
	v_lshlrev_b64 v[3:4], 2, v[5:6]
	v_cmp_gt_i32_e32 vcc, s7, v5
	v_add_co_u32_e64 v3, s[0:1], v8, v3
	v_addc_co_u32_e64 v4, s[0:1], v7, v4, s[0:1]
	v_cmp_gt_i32_e64 s[0:1], s7, v1
	s_and_b64 s[2:3], vcc, s[0:1]
	v_mov_b32_e32 v8, 0
	v_mov_b32_e32 v7, 0
	s_barrier
	s_and_saveexec_b64 s[0:1], s[2:3]
	s_cbranch_execz .LBB22_3
; %bb.2:
	global_load_dword v7, v[3:4], off
.LBB22_3:
	s_or_b64 exec, exec, s[0:1]
	v_add_u32_e32 v5, 16, v1
	v_cmp_gt_i32_e64 s[0:1], s7, v5
	s_and_b64 s[0:1], vcc, s[0:1]
	s_waitcnt vmcnt(0)
	s_barrier
	s_and_saveexec_b64 s[2:3], s[0:1]
	s_cbranch_execz .LBB22_5
; %bb.4:
	s_lshl_b64 s[0:1], s[20:21], 6
	v_mov_b32_e32 v6, s1
	v_add_co_u32_e64 v5, s[0:1], s0, v3
	v_addc_co_u32_e64 v6, s[0:1], v4, v6, s[0:1]
	global_load_dword v8, v[5:6], off
.LBB22_5:
	s_or_b64 exec, exec, s[2:3]
	v_add_u32_e32 v5, 32, v1
	v_cmp_gt_i32_e64 s[0:1], s7, v5
	s_and_b64 s[0:1], vcc, s[0:1]
	v_mov_b32_e32 v9, 0
	v_mov_b32_e32 v10, 0
	s_waitcnt vmcnt(0)
	s_barrier
	s_and_saveexec_b64 s[2:3], s[0:1]
	s_cbranch_execz .LBB22_7
; %bb.6:
	s_lshl_b64 s[0:1], s[20:21], 7
	v_mov_b32_e32 v6, s1
	v_add_co_u32_e64 v5, s[0:1], s0, v3
	v_addc_co_u32_e64 v6, s[0:1], v4, v6, s[0:1]
	global_load_dword v10, v[5:6], off
.LBB22_7:
	s_or_b64 exec, exec, s[2:3]
	v_add_u32_e32 v1, 48, v1
	v_cmp_gt_i32_e64 s[0:1], s7, v1
	s_and_b64 s[2:3], vcc, s[0:1]
	s_waitcnt vmcnt(0)
	s_barrier
	s_and_saveexec_b64 s[0:1], s[2:3]
	s_cbranch_execz .LBB22_9
; %bb.8:
	v_mov_b32_e32 v1, 0xc0
	v_mad_u64_u32 v[3:4], s[2:3], s20, v1, v[3:4]
	s_mul_i32 s2, s21, 0xc0
	v_add_u32_e32 v4, s2, v4
	global_load_dword v9, v[3:4], off
.LBB22_9:
	s_or_b64 exec, exec, s[0:1]
	s_branch .LBB22_11
.LBB22_10:
                                        ; implicit-def: $vgpr9
                                        ; implicit-def: $vgpr10
                                        ; implicit-def: $vgpr8
                                        ; implicit-def: $vgpr7
	s_mov_b32 s33, s25
.LBB22_11:
	s_ashr_i32 s0, s7, 31
	s_lshr_b32 s0, s0, 26
	s_add_i32 s0, s7, s0
	s_andn2_b32 s0, s0, 63
	s_sub_i32 s90, s7, s0
	s_add_i32 s0, s7, -1
	s_ashr_i32 s1, s0, 31
	s_lshr_b32 s1, s1, 26
	s_add_i32 s0, s0, s1
	s_ashr_i32 s0, s0, 6
	s_cmp_eq_u32 s0, s6
	s_cselect_b64 s[0:1], -1, 0
	s_cmp_lg_u32 s90, 0
	s_cselect_b64 s[2:3], -1, 0
	s_and_b64 s[18:19], s[2:3], s[0:1]
	s_ashr_i32 s10, s33, 31
	s_add_u32 s8, s20, 1
	v_mov_b32_e32 v1, 0
	v_mov_b32_e32 v3, s33
	v_mad_u64_u32 v[3:4], s[0:1], s8, v3, v[0:1]
	s_addc_u32 s9, s21, 0
	s_mul_i32 s0, s8, s10
	s_mul_i32 s9, s9, s33
	s_add_i32 s0, s0, s9
	s_mov_b64 s[2:3], -1
                                        ; implicit-def: $vgpr33 : SGPR spill to VGPR lane
	v_add_u32_e32 v4, s0, v4
	s_and_b64 vcc, exec, s[18:19]
	v_cmp_le_u32_e64 s[0:1], v0, v2
	v_writelane_b32 v33, s10, 0
	s_cbranch_vccnz .LBB22_33
; %bb.12:
	v_mad_u64_u32 v[5:6], s[2:3], s20, v2, v[3:4]
	v_mov_b32_e32 v1, v6
	v_mad_u64_u32 v[11:12], s[2:3], s21, v2, v[1:2]
	s_mov_b64 s[2:3], 0
                                        ; implicit-def: $vgpr1
	v_mov_b32_e32 v6, v11
	s_and_saveexec_b64 s[8:9], s[0:1]
	s_xor_b64 s[0:1], exec, s[8:9]
	s_cbranch_execnz .LBB22_1097
; %bb.13:
	s_andn2_saveexec_b64 s[0:1], s[0:1]
	s_cbranch_execnz .LBB22_1102
.LBB22_14:
	s_or_b64 exec, exec, s[0:1]
	s_and_saveexec_b64 s[0:1], s[2:3]
.LBB22_15:
	v_lshlrev_b32_e32 v5, 2, v0
	v_lshl_add_u32 v5, v2, 8, v5
	ds_write_b32 v5, v1
.LBB22_16:
	s_or_b64 exec, exec, s[0:1]
	v_add_u32_e32 v1, 16, v2
	v_mad_u64_u32 v[5:6], s[0:1], s20, v1, v[3:4]
	v_cmp_le_u32_e32 vcc, v0, v1
	s_mov_b64 s[2:3], 0
	v_mad_u64_u32 v[11:12], s[0:1], s21, v1, v[6:7]
	v_mov_b32_e32 v6, v11
                                        ; implicit-def: $vgpr11
	s_and_saveexec_b64 s[0:1], vcc
	s_xor_b64 s[0:1], exec, s[0:1]
	s_cbranch_execnz .LBB22_1103
; %bb.17:
	s_andn2_saveexec_b64 s[0:1], s[0:1]
	s_cbranch_execnz .LBB22_1108
.LBB22_18:
	s_or_b64 exec, exec, s[0:1]
	s_and_saveexec_b64 s[0:1], s[2:3]
.LBB22_19:
	v_lshlrev_b32_e32 v5, 2, v0
	v_lshl_add_u32 v1, v1, 8, v5
	ds_write_b32 v1, v11
.LBB22_20:
	s_or_b64 exec, exec, s[0:1]
	v_add_u32_e32 v1, 32, v2
	v_mad_u64_u32 v[5:6], s[0:1], s20, v1, v[3:4]
	v_cmp_le_u32_e32 vcc, v0, v1
	s_mov_b64 s[2:3], 0
	v_mad_u64_u32 v[11:12], s[0:1], s21, v1, v[6:7]
	v_mov_b32_e32 v6, v11
                                        ; implicit-def: $vgpr11
	s_and_saveexec_b64 s[0:1], vcc
	s_xor_b64 s[0:1], exec, s[0:1]
	s_cbranch_execnz .LBB22_1109
; %bb.21:
	s_andn2_saveexec_b64 s[0:1], s[0:1]
	s_cbranch_execnz .LBB22_1114
.LBB22_22:
	s_or_b64 exec, exec, s[0:1]
	s_and_saveexec_b64 s[0:1], s[2:3]
.LBB22_23:
	v_lshlrev_b32_e32 v5, 2, v0
	v_lshl_add_u32 v1, v1, 8, v5
	ds_write_b32 v1, v11
.LBB22_24:
	s_or_b64 exec, exec, s[0:1]
	v_add_u32_e32 v1, 48, v2
	v_mad_u64_u32 v[5:6], s[0:1], s20, v1, v[3:4]
	v_cmp_le_u32_e32 vcc, v0, v1
	s_mov_b64 s[8:9], 0
	v_mad_u64_u32 v[11:12], s[0:1], s21, v1, v[6:7]
	v_mov_b32_e32 v6, v11
                                        ; implicit-def: $vgpr11
	s_and_saveexec_b64 s[0:1], vcc
	s_xor_b64 s[0:1], exec, s[0:1]
	s_cbranch_execz .LBB22_30
; %bb.25:
	v_cmp_ne_u32_e32 vcc, v0, v1
	s_mov_b64 s[2:3], 0
	s_and_saveexec_b64 s[8:9], vcc
	s_xor_b64 s[8:9], exec, s[8:9]
; %bb.26:
	v_or_b32_e32 v5, v1, v0
	v_cmp_gt_u32_e32 vcc, 64, v5
	s_and_b64 s[2:3], vcc, exec
                                        ; implicit-def: $vgpr5_vgpr6
; %bb.27:
	s_or_saveexec_b64 s[8:9], s[8:9]
	v_mov_b32_e32 v11, 0
	s_xor_b64 exec, exec, s[8:9]
	s_cbranch_execz .LBB22_29
; %bb.28:
	v_lshlrev_b64 v[5:6], 2, v[5:6]
	v_mov_b32_e32 v1, s92
	v_add_co_u32_e32 v5, vcc, s91, v5
	v_addc_co_u32_e32 v6, vcc, v1, v6, vcc
	global_load_dword v1, v[5:6], off
	s_or_b64 s[2:3], s[2:3], exec
	s_waitcnt vmcnt(0)
	v_div_scale_f32 v5, s[10:11], v1, v1, 1.0
	v_div_scale_f32 v6, vcc, 1.0, v1, 1.0
	v_rcp_f32_e32 v11, v5
	v_fma_f32 v12, -v5, v11, 1.0
	v_fmac_f32_e32 v11, v12, v11
	v_mul_f32_e32 v12, v6, v11
	v_fma_f32 v13, -v5, v12, v6
	v_fmac_f32_e32 v12, v13, v11
	v_fma_f32 v5, -v5, v12, v6
	v_div_fmas_f32 v5, v5, v11, v12
	v_div_fixup_f32 v11, v5, v1, 1.0
	v_mov_b32_e32 v1, v0
.LBB22_29:
	s_or_b64 exec, exec, s[8:9]
	s_and_b64 s[8:9], s[2:3], exec
                                        ; implicit-def: $vgpr5_vgpr6
.LBB22_30:
	s_andn2_saveexec_b64 s[0:1], s[0:1]
	s_cbranch_execz .LBB22_32
; %bb.31:
	v_lshlrev_b64 v[5:6], 2, v[5:6]
	v_mov_b32_e32 v11, s92
	v_add_co_u32_e32 v5, vcc, s91, v5
	v_addc_co_u32_e32 v6, vcc, v11, v6, vcc
	global_load_dword v5, v[5:6], off
	s_or_b64 s[8:9], s[8:9], exec
	s_waitcnt vmcnt(0)
	v_xor_b32_e32 v11, 0x80000000, v5
.LBB22_32:
	s_or_b64 exec, exec, s[0:1]
	s_branch .LBB22_55
.LBB22_33:
	s_mov_b64 s[8:9], 0
                                        ; implicit-def: $vgpr11
                                        ; implicit-def: $vgpr1
	s_and_b64 vcc, exec, s[2:3]
	s_cbranch_vccz .LBB22_55
; %bb.34:
	v_mad_u64_u32 v[5:6], s[0:1], s20, v2, v[3:4]
	v_cmp_le_u32_e32 vcc, v0, v2
	v_cmp_gt_i32_e64 s[0:1], s90, v0
	v_mov_b32_e32 v1, v6
	v_mad_u64_u32 v[11:12], s[2:3], s21, v2, v[1:2]
	v_max_i32_e32 v1, v2, v0
	v_cmp_le_i32_e64 s[2:3], s90, v1
	v_mov_b32_e32 v6, v11
	s_or_b64 s[2:3], s[2:3], vcc
	s_mov_b64 s[10:11], 0
                                        ; implicit-def: $vgpr1
	s_and_saveexec_b64 s[12:13], s[2:3]
	s_xor_b64 s[2:3], exec, s[12:13]
	s_cbranch_execnz .LBB22_1115
; %bb.35:
	s_andn2_saveexec_b64 s[2:3], s[2:3]
	s_cbranch_execnz .LBB22_1120
.LBB22_36:
	s_or_b64 exec, exec, s[2:3]
	s_and_saveexec_b64 s[2:3], s[10:11]
.LBB22_37:
	v_lshlrev_b32_e32 v5, 2, v0
	v_lshl_add_u32 v5, v2, 8, v5
	ds_write_b32 v5, v1
.LBB22_38:
	s_or_b64 exec, exec, s[2:3]
	v_add_u32_e32 v1, 16, v2
	v_mad_u64_u32 v[5:6], s[2:3], s20, v1, v[3:4]
	v_cmp_gt_u32_e32 vcc, v0, v1
	s_mov_b64 s[10:11], 0
	v_mad_u64_u32 v[11:12], s[2:3], s21, v1, v[6:7]
	v_cmp_gt_i32_e64 s[2:3], s90, v1
	s_and_b64 s[2:3], vcc, s[2:3]
	s_and_b64 s[2:3], s[0:1], s[2:3]
	v_mov_b32_e32 v6, v11
	s_xor_b64 s[2:3], s[2:3], -1
                                        ; implicit-def: $vgpr11
	s_and_saveexec_b64 s[12:13], s[2:3]
	s_xor_b64 s[2:3], exec, s[12:13]
	s_cbranch_execnz .LBB22_1121
; %bb.39:
	s_andn2_saveexec_b64 s[2:3], s[2:3]
	s_cbranch_execnz .LBB22_1126
.LBB22_40:
	s_or_b64 exec, exec, s[2:3]
	s_and_saveexec_b64 s[2:3], s[10:11]
.LBB22_41:
	v_lshlrev_b32_e32 v5, 2, v0
	v_lshl_add_u32 v1, v1, 8, v5
	ds_write_b32 v1, v11
.LBB22_42:
	s_or_b64 exec, exec, s[2:3]
	v_add_u32_e32 v1, 32, v2
	v_mad_u64_u32 v[5:6], s[2:3], s20, v1, v[3:4]
	v_cmp_gt_u32_e32 vcc, v0, v1
	s_mov_b64 s[10:11], 0
	v_mad_u64_u32 v[11:12], s[2:3], s21, v1, v[6:7]
	v_cmp_gt_i32_e64 s[2:3], s90, v1
	s_and_b64 s[2:3], vcc, s[2:3]
	s_and_b64 s[2:3], s[0:1], s[2:3]
	v_mov_b32_e32 v6, v11
	s_xor_b64 s[2:3], s[2:3], -1
                                        ; implicit-def: $vgpr11
	s_and_saveexec_b64 s[12:13], s[2:3]
	s_xor_b64 s[2:3], exec, s[12:13]
	s_cbranch_execnz .LBB22_1127
; %bb.43:
	s_andn2_saveexec_b64 s[2:3], s[2:3]
	s_cbranch_execnz .LBB22_1132
.LBB22_44:
	s_or_b64 exec, exec, s[2:3]
	s_and_saveexec_b64 s[2:3], s[10:11]
.LBB22_45:
	v_lshlrev_b32_e32 v5, 2, v0
	v_lshl_add_u32 v1, v1, 8, v5
	ds_write_b32 v1, v11
.LBB22_46:
	s_or_b64 exec, exec, s[2:3]
	v_add_u32_e32 v1, 48, v2
	v_mad_u64_u32 v[3:4], s[2:3], s20, v1, v[3:4]
	v_cmp_gt_u32_e32 vcc, v0, v1
                                        ; implicit-def: $vgpr11
	v_mad_u64_u32 v[4:5], s[2:3], s21, v1, v[4:5]
	v_cmp_gt_i32_e64 s[2:3], s90, v1
	s_and_b64 s[2:3], vcc, s[2:3]
	s_and_b64 s[2:3], s[0:1], s[2:3]
	s_xor_b64 s[2:3], s[2:3], -1
	s_and_saveexec_b64 s[10:11], s[2:3]
	s_xor_b64 s[2:3], exec, s[10:11]
	s_cbranch_execz .LBB22_52
; %bb.47:
	v_cmp_ne_u32_e32 vcc, v0, v1
	s_xor_b64 s[0:1], s[0:1], -1
	s_or_b64 s[10:11], s[0:1], vcc
	s_mov_b64 s[0:1], s[8:9]
	s_and_saveexec_b64 s[12:13], s[10:11]
	s_xor_b64 s[10:11], exec, s[12:13]
; %bb.48:
	v_or_b32_e32 v3, v1, v0
	v_cmp_gt_u32_e32 vcc, 64, v3
	s_andn2_b64 s[0:1], s[8:9], exec
	s_and_b64 s[12:13], vcc, exec
	s_or_b64 s[0:1], s[0:1], s[12:13]
                                        ; implicit-def: $vgpr3_vgpr4
; %bb.49:
	s_or_saveexec_b64 s[10:11], s[10:11]
	v_mov_b32_e32 v11, 0
	s_xor_b64 exec, exec, s[10:11]
	s_cbranch_execz .LBB22_51
; %bb.50:
	v_lshlrev_b64 v[3:4], 2, v[3:4]
	v_mov_b32_e32 v1, s92
	v_add_co_u32_e32 v3, vcc, s91, v3
	v_addc_co_u32_e32 v4, vcc, v1, v4, vcc
	global_load_dword v1, v[3:4], off
	s_or_b64 s[0:1], s[0:1], exec
	s_waitcnt vmcnt(0)
	v_div_scale_f32 v3, s[12:13], v1, v1, 1.0
	v_div_scale_f32 v4, vcc, 1.0, v1, 1.0
	v_rcp_f32_e32 v5, v3
	v_fma_f32 v6, -v3, v5, 1.0
	v_fmac_f32_e32 v5, v6, v5
	v_mul_f32_e32 v6, v4, v5
	v_fma_f32 v11, -v3, v6, v4
	v_fmac_f32_e32 v6, v11, v5
	v_fma_f32 v3, -v3, v6, v4
	v_div_fmas_f32 v3, v3, v5, v6
	v_div_fixup_f32 v11, v3, v1, 1.0
	v_mov_b32_e32 v1, v0
.LBB22_51:
	s_or_b64 exec, exec, s[10:11]
	s_andn2_b64 s[8:9], s[8:9], exec
	s_and_b64 s[0:1], s[0:1], exec
	s_or_b64 s[8:9], s[8:9], s[0:1]
                                        ; implicit-def: $vgpr3_vgpr4
.LBB22_52:
	s_andn2_saveexec_b64 s[0:1], s[2:3]
	s_cbranch_execz .LBB22_54
; %bb.53:
	v_lshlrev_b64 v[3:4], 2, v[3:4]
	v_mov_b32_e32 v5, s92
	v_add_co_u32_e32 v3, vcc, s91, v3
	v_addc_co_u32_e32 v4, vcc, v5, v4, vcc
	global_load_dword v3, v[3:4], off
	s_or_b64 s[8:9], s[8:9], exec
	s_waitcnt vmcnt(0)
	v_xor_b32_e32 v11, 0x80000000, v3
.LBB22_54:
	s_or_b64 exec, exec, s[0:1]
.LBB22_55:
	s_and_saveexec_b64 s[0:1], s[8:9]
; %bb.56:
	v_lshlrev_b32_e32 v3, 2, v0
	v_lshl_add_u32 v1, v1, 8, v3
	ds_write_b32 v1, v11
; %bb.57:
	s_or_b64 exec, exec, s[0:1]
	s_cmp_lt_i32 s6, 5
	s_cselect_b64 s[0:1], -1, 0
	s_or_b64 s[22:23], s[0:1], s[18:19]
	s_and_b64 vcc, exec, s[22:23]
	s_waitcnt vmcnt(0) lgkmcnt(0)
	s_barrier
	s_cbranch_vccnz .LBB22_1033
; %bb.58:
	v_or_b32_e32 v1, v0, v2
	v_cmp_eq_u32_e32 vcc, 0, v1
	s_and_saveexec_b64 s[0:1], vcc
	s_cbranch_execz .LBB22_60
; %bb.59:
	v_mov_b32_e32 v1, 0
	ds_read_b64 v[3:4], v1
	ds_read_b32 v5, v1 offset:260
	s_waitcnt lgkmcnt(0)
	v_mul_f32_e32 v3, v3, v5
	v_mul_f32_e32 v3, v4, v3
	ds_write_b32 v1, v3 offset:4
.LBB22_60:
	s_or_b64 exec, exec, s[0:1]
	v_lshl_add_u32 v4, v2, 6, v0
	v_and_b32_e32 v11, 1, v0
	v_lshrrev_b32_e32 v5, 1, v4
	v_lshlrev_b32_e32 v1, 2, v11
	v_cmp_lt_u32_e64 s[2:3], 3, v4
	v_cmp_gt_u32_e64 s[0:1], 4, v4
	v_lshl_or_b32 v1, v5, 8, v1
	v_mov_b32_e32 v6, 0
	s_waitcnt lgkmcnt(0)
	s_barrier
	s_and_saveexec_b64 s[10:11], s[0:1]
	s_cbranch_execz .LBB22_64
; %bb.61:
	v_mul_u32_u24_e32 v3, 0x104, v5
	ds_read_b32 v12, v1 offset:8
	ds_read_b32 v3, v3
	v_mov_b32_e32 v6, 0
	v_cmp_gt_u32_e64 s[8:9], 2, v4
	s_waitcnt lgkmcnt(0)
	v_fma_f32 v3, v12, v3, 0
	s_and_saveexec_b64 s[12:13], s[8:9]
	s_cbranch_execz .LBB22_63
; %bb.62:
	v_lshlrev_b32_e32 v12, 2, v0
	ds_read_b32 v12, v12 offset:264
	ds_read_b32 v6, v6 offset:4
	s_waitcnt lgkmcnt(0)
	v_fmac_f32_e32 v3, v12, v6
.LBB22_63:
	s_or_b64 exec, exec, s[12:13]
	v_xor_b32_e32 v6, 0x80000000, v3
.LBB22_64:
	s_or_b64 exec, exec, s[10:11]
	v_mov_b32_e32 v3, 0x4000
	v_cmp_eq_u32_e64 s[8:9], 0, v11
	s_xor_b64 s[10:11], s[2:3], -1
	v_lshl_add_u32 v3, v5, 2, v3
	s_and_b64 s[28:29], s[8:9], s[10:11]
	s_and_saveexec_b64 s[2:3], s[28:29]
	s_cbranch_execz .LBB22_66
; %bb.65:
	v_mov_b32_e32 v12, 0
	ds_read_b32 v12, v12 offset:520
	s_waitcnt lgkmcnt(0)
	v_mul_f32_e32 v6, v6, v12
	ds_write_b32 v3, v6
.LBB22_66:
	s_or_b64 exec, exec, s[2:3]
	v_cmp_ne_u32_e64 s[2:3], 0, v11
	s_and_b64 s[26:27], s[2:3], s[10:11]
	s_waitcnt lgkmcnt(0)
	s_barrier
	s_and_saveexec_b64 s[2:3], s[26:27]
	s_cbranch_execz .LBB22_68
; %bb.67:
	v_mov_b32_e32 v11, 0
	ds_read_b32 v11, v11 offset:524
	ds_read_b32 v12, v3
	s_waitcnt lgkmcnt(0)
	v_fmac_f32_e32 v6, v11, v12
.LBB22_68:
	s_or_b64 exec, exec, s[2:3]
	s_barrier
	s_and_saveexec_b64 s[2:3], s[26:27]
	s_cbranch_execz .LBB22_70
; %bb.69:
	v_mov_b32_e32 v11, 0
	ds_read_b32 v11, v11 offset:780
	s_waitcnt lgkmcnt(0)
	v_mul_f32_e32 v6, v6, v11
	ds_write_b32 v3, v6
.LBB22_70:
	s_or_b64 exec, exec, s[2:3]
	s_waitcnt lgkmcnt(0)
	s_barrier
	s_barrier
	s_and_saveexec_b64 s[2:3], s[0:1]
; %bb.71:
	v_xor_b32_e32 v6, 0x80000000, v6
	ds_write_b32 v1, v6 offset:8
; %bb.72:
	s_or_b64 exec, exec, s[2:3]
	s_waitcnt lgkmcnt(0)
	s_barrier
	s_barrier
	s_and_saveexec_b64 s[2:3], vcc
	s_cbranch_execz .LBB22_74
; %bb.73:
	v_mov_b32_e32 v6, 0
	ds_read_b64 v[11:12], v6 offset:520
	ds_read_b32 v13, v6 offset:780
	s_waitcnt lgkmcnt(0)
	v_mul_f32_e32 v11, v11, v13
	v_mul_f32_e32 v11, v12, v11
	ds_write_b32 v6, v11 offset:524
.LBB22_74:
	s_or_b64 exec, exec, s[2:3]
	v_and_b32_e32 v13, 3, v0
	v_lshrrev_b32_e32 v14, 2, v4
	v_lshlrev_b32_e32 v11, 2, v13
	v_cmp_lt_u32_e64 s[8:9], 15, v4
	v_cmp_gt_u32_e64 s[2:3], 16, v4
	v_lshl_or_b32 v6, v14, 8, v11
	v_mov_b32_e32 v15, 0
	s_waitcnt lgkmcnt(0)
	s_barrier
	s_and_saveexec_b64 s[12:13], s[2:3]
	s_cbranch_execz .LBB22_80
; %bb.75:
	v_mul_u32_u24_e32 v15, 0x104, v14
	ds_read_b32 v12, v6 offset:16
	ds_read_b32 v16, v15
	v_cmp_gt_u32_e64 s[10:11], 12, v4
	s_waitcnt lgkmcnt(0)
	v_fma_f32 v12, v12, v16, 0
	s_and_saveexec_b64 s[14:15], s[10:11]
	s_cbranch_execnz .LBB22_1144
; %bb.76:
	s_or_b64 exec, exec, s[14:15]
	v_cmp_gt_u32_e64 s[10:11], 8, v4
	s_and_saveexec_b64 s[14:15], s[10:11]
	s_cbranch_execnz .LBB22_1145
.LBB22_77:
	s_or_b64 exec, exec, s[14:15]
	v_cmp_gt_u32_e64 s[10:11], 4, v4
	s_and_saveexec_b64 s[14:15], s[10:11]
	s_cbranch_execz .LBB22_79
.LBB22_78:
	v_lshlrev_b32_e32 v15, 2, v0
	v_mov_b32_e32 v16, 0
	ds_read_b32 v15, v15 offset:784
	ds_read_b32 v16, v16 offset:12
	s_waitcnt lgkmcnt(0)
	v_fmac_f32_e32 v12, v15, v16
.LBB22_79:
	s_or_b64 exec, exec, s[14:15]
	v_xor_b32_e32 v15, 0x80000000, v12
.LBB22_80:
	s_or_b64 exec, exec, s[12:13]
	v_mov_b32_e32 v12, 0x4000
	v_cmp_eq_u32_e64 s[10:11], 0, v13
	s_xor_b64 s[12:13], s[8:9], -1
	v_lshl_add_u32 v12, v14, 2, v12
	s_and_b64 s[34:35], s[10:11], s[12:13]
	s_and_saveexec_b64 s[8:9], s[34:35]
	s_cbranch_execz .LBB22_82
; %bb.81:
	v_mov_b32_e32 v16, 0
	ds_read_b32 v16, v16 offset:1040
	s_waitcnt lgkmcnt(0)
	v_mul_f32_e32 v15, v15, v16
	ds_write_b32 v12, v15
.LBB22_82:
	s_or_b64 exec, exec, s[8:9]
	v_cmp_ne_u32_e64 s[8:9], 0, v13
	s_and_b64 s[36:37], s[8:9], s[12:13]
	s_waitcnt lgkmcnt(0)
	s_barrier
	s_and_saveexec_b64 s[8:9], s[36:37]
	s_cbranch_execz .LBB22_84
; %bb.83:
	ds_read_b32 v16, v11 offset:1040
	ds_read_b32 v17, v12
	s_waitcnt lgkmcnt(0)
	v_fmac_f32_e32 v15, v16, v17
.LBB22_84:
	s_or_b64 exec, exec, s[8:9]
	v_cmp_eq_u32_e64 s[8:9], 1, v13
	s_and_b64 s[38:39], s[8:9], s[12:13]
	s_barrier
	s_and_saveexec_b64 s[8:9], s[38:39]
	s_cbranch_execz .LBB22_86
; %bb.85:
	v_mov_b32_e32 v16, 0
	ds_read_b32 v16, v16 offset:1300
	s_waitcnt lgkmcnt(0)
	v_mul_f32_e32 v15, v15, v16
	ds_write_b32 v12, v15
.LBB22_86:
	s_or_b64 exec, exec, s[8:9]
	v_cmp_lt_u32_e64 s[8:9], 1, v13
	s_and_b64 s[40:41], s[8:9], s[12:13]
	s_waitcnt lgkmcnt(0)
	s_barrier
	s_and_saveexec_b64 s[8:9], s[40:41]
	s_cbranch_execz .LBB22_88
; %bb.87:
	ds_read_b32 v16, v11 offset:1296
	ds_read_b32 v17, v12
	s_waitcnt lgkmcnt(0)
	v_fmac_f32_e32 v15, v16, v17
.LBB22_88:
	s_or_b64 exec, exec, s[8:9]
	v_cmp_eq_u32_e64 s[8:9], 2, v13
	s_and_b64 s[42:43], s[8:9], s[12:13]
	s_barrier
	s_and_saveexec_b64 s[8:9], s[42:43]
	s_cbranch_execz .LBB22_90
; %bb.89:
	v_mov_b32_e32 v16, 0
	ds_read_b32 v16, v16 offset:1560
	s_waitcnt lgkmcnt(0)
	v_mul_f32_e32 v15, v15, v16
	ds_write_b32 v12, v15
.LBB22_90:
	s_or_b64 exec, exec, s[8:9]
	v_cmp_eq_u32_e64 s[8:9], 3, v13
	s_and_b64 s[30:31], s[8:9], s[12:13]
	s_waitcnt lgkmcnt(0)
	s_barrier
	s_and_saveexec_b64 s[8:9], s[30:31]
	s_cbranch_execz .LBB22_92
; %bb.91:
	v_mov_b32_e32 v16, 0
	ds_read_b32 v16, v16 offset:1564
	ds_read_b32 v17, v12
	s_waitcnt lgkmcnt(0)
	v_fmac_f32_e32 v15, v16, v17
.LBB22_92:
	s_or_b64 exec, exec, s[8:9]
	s_barrier
	s_and_saveexec_b64 s[8:9], s[30:31]
	s_cbranch_execz .LBB22_94
; %bb.93:
	v_mov_b32_e32 v16, 0
	ds_read_b32 v16, v16 offset:1820
	s_waitcnt lgkmcnt(0)
	v_mul_f32_e32 v15, v15, v16
	ds_write_b32 v12, v15
.LBB22_94:
	s_or_b64 exec, exec, s[8:9]
	s_waitcnt lgkmcnt(0)
	s_barrier
	s_barrier
	s_and_saveexec_b64 s[8:9], s[2:3]
; %bb.95:
	v_xor_b32_e32 v15, 0x80000000, v15
	ds_write_b32 v6, v15 offset:16
; %bb.96:
	s_or_b64 exec, exec, s[8:9]
	s_waitcnt lgkmcnt(0)
	s_barrier
	s_barrier
	s_and_saveexec_b64 s[8:9], vcc
	s_cbranch_execz .LBB22_98
; %bb.97:
	v_mov_b32_e32 v17, 0
	ds_read_b64 v[15:16], v17 offset:1040
	ds_read_b32 v18, v17 offset:1300
	s_waitcnt lgkmcnt(0)
	v_mul_f32_e32 v15, v15, v18
	v_mul_f32_e32 v15, v16, v15
	ds_write_b32 v17, v15 offset:1044
.LBB22_98:
	s_or_b64 exec, exec, s[8:9]
	v_mov_b32_e32 v15, 0
	s_waitcnt lgkmcnt(0)
	s_barrier
	s_and_saveexec_b64 s[10:11], s[0:1]
	s_cbranch_execz .LBB22_102
; %bb.99:
	v_mul_u32_u24_e32 v15, 0x104, v5
	ds_read_b32 v17, v1 offset:1048
	ds_read_b32 v15, v15 offset:1040
	v_mov_b32_e32 v16, 0
	v_cmp_gt_u32_e64 s[8:9], 2, v4
	s_waitcnt lgkmcnt(0)
	v_fma_f32 v15, v17, v15, 0
	s_and_saveexec_b64 s[12:13], s[8:9]
	s_cbranch_execz .LBB22_101
; %bb.100:
	v_lshlrev_b32_e32 v17, 2, v0
	ds_read_b32 v17, v17 offset:1304
	ds_read_b32 v16, v16 offset:1044
	s_waitcnt lgkmcnt(0)
	v_fmac_f32_e32 v15, v17, v16
.LBB22_101:
	s_or_b64 exec, exec, s[12:13]
	v_xor_b32_e32 v15, 0x80000000, v15
.LBB22_102:
	s_or_b64 exec, exec, s[10:11]
	s_and_saveexec_b64 s[8:9], s[28:29]
	s_cbranch_execz .LBB22_104
; %bb.103:
	v_mov_b32_e32 v16, 0
	ds_read_b32 v16, v16 offset:1560
	s_waitcnt lgkmcnt(0)
	v_mul_f32_e32 v15, v15, v16
	ds_write_b32 v3, v15
.LBB22_104:
	s_or_b64 exec, exec, s[8:9]
	s_waitcnt lgkmcnt(0)
	s_barrier
	s_and_saveexec_b64 s[8:9], s[26:27]
	s_cbranch_execz .LBB22_106
; %bb.105:
	v_mov_b32_e32 v16, 0
	ds_read_b32 v16, v16 offset:1564
	ds_read_b32 v17, v3
	s_waitcnt lgkmcnt(0)
	v_fmac_f32_e32 v15, v16, v17
.LBB22_106:
	s_or_b64 exec, exec, s[8:9]
	s_barrier
	s_and_saveexec_b64 s[8:9], s[26:27]
	s_cbranch_execz .LBB22_108
; %bb.107:
	v_mov_b32_e32 v16, 0
	ds_read_b32 v16, v16 offset:1820
	s_waitcnt lgkmcnt(0)
	v_mul_f32_e32 v15, v15, v16
	ds_write_b32 v3, v15
.LBB22_108:
	s_or_b64 exec, exec, s[8:9]
	s_waitcnt lgkmcnt(0)
	s_barrier
	s_barrier
	s_and_saveexec_b64 s[8:9], s[0:1]
; %bb.109:
	v_xor_b32_e32 v15, 0x80000000, v15
	ds_write_b32 v1, v15 offset:1048
; %bb.110:
	s_or_b64 exec, exec, s[8:9]
	s_waitcnt lgkmcnt(0)
	s_barrier
	s_barrier
	s_and_saveexec_b64 s[8:9], vcc
	s_cbranch_execz .LBB22_112
; %bb.111:
	v_mov_b32_e32 v17, 0
	ds_read_b64 v[15:16], v17 offset:1560
	ds_read_b32 v18, v17 offset:1820
	s_waitcnt lgkmcnt(0)
	v_mul_f32_e32 v15, v15, v18
	v_mul_f32_e32 v15, v16, v15
	ds_write_b32 v17, v15 offset:1564
.LBB22_112:
	s_or_b64 exec, exec, s[8:9]
	v_and_b32_e32 v18, 7, v0
	v_lshrrev_b32_e32 v19, 3, v4
	v_lshlrev_b32_e32 v16, 2, v18
	v_cmp_lt_u32_e64 s[8:9], 63, v4
	v_cmp_gt_u32_e64 s[14:15], 64, v4
	v_lshl_or_b32 v15, v19, 8, v16
	v_mov_b32_e32 v20, 0
	s_waitcnt lgkmcnt(0)
	s_barrier
	s_and_saveexec_b64 s[12:13], s[14:15]
	s_cbranch_execz .LBB22_122
; %bb.113:
	v_mul_u32_u24_e32 v20, 0x104, v19
	ds_read_b32 v17, v15 offset:32
	ds_read_b32 v21, v20
	v_cmp_gt_u32_e64 s[10:11], 56, v4
	s_waitcnt lgkmcnt(0)
	v_fma_f32 v17, v17, v21, 0
	s_and_saveexec_b64 s[16:17], s[10:11]
	s_cbranch_execnz .LBB22_1146
; %bb.114:
	s_or_b64 exec, exec, s[16:17]
	v_cmp_gt_u32_e64 s[10:11], 48, v4
	s_and_saveexec_b64 s[16:17], s[10:11]
	s_cbranch_execnz .LBB22_1147
.LBB22_115:
	s_or_b64 exec, exec, s[16:17]
	v_cmp_gt_u32_e64 s[10:11], 40, v4
	s_and_saveexec_b64 s[16:17], s[10:11]
	s_cbranch_execnz .LBB22_1148
.LBB22_116:
	s_or_b64 exec, exec, s[16:17]
	v_cmp_gt_u32_e64 s[10:11], 32, v4
	s_and_saveexec_b64 s[16:17], s[10:11]
	s_cbranch_execnz .LBB22_1149
.LBB22_117:
	s_or_b64 exec, exec, s[16:17]
	v_cmp_gt_u32_e64 s[10:11], 24, v4
	s_and_saveexec_b64 s[16:17], s[10:11]
	s_cbranch_execnz .LBB22_1150
.LBB22_118:
	s_or_b64 exec, exec, s[16:17]
	v_cmp_gt_u32_e64 s[10:11], 16, v4
	s_and_saveexec_b64 s[16:17], s[10:11]
	s_cbranch_execnz .LBB22_1151
.LBB22_119:
	s_or_b64 exec, exec, s[16:17]
	v_cmp_gt_u32_e64 s[10:11], 8, v4
	s_and_saveexec_b64 s[16:17], s[10:11]
	s_cbranch_execz .LBB22_121
.LBB22_120:
	v_lshlrev_b32_e32 v20, 2, v0
	v_mov_b32_e32 v21, 0
	ds_read_b32 v20, v20 offset:1824
	ds_read_b32 v21, v21 offset:28
	s_waitcnt lgkmcnt(0)
	v_fmac_f32_e32 v17, v20, v21
.LBB22_121:
	s_or_b64 exec, exec, s[16:17]
	v_xor_b32_e32 v20, 0x80000000, v17
.LBB22_122:
	s_or_b64 exec, exec, s[12:13]
	v_mov_b32_e32 v17, 0x4000
	v_cmp_eq_u32_e64 s[10:11], 0, v18
	s_xor_b64 s[12:13], s[8:9], -1
	v_lshl_add_u32 v17, v19, 2, v17
	s_and_b64 s[44:45], s[10:11], s[12:13]
	s_and_saveexec_b64 s[8:9], s[44:45]
	s_cbranch_execz .LBB22_124
; %bb.123:
	v_mov_b32_e32 v21, 0
	ds_read_b32 v21, v21 offset:2080
	s_waitcnt lgkmcnt(0)
	v_mul_f32_e32 v20, v20, v21
	ds_write_b32 v17, v20
.LBB22_124:
	s_or_b64 exec, exec, s[8:9]
	v_cmp_ne_u32_e64 s[8:9], 0, v18
	s_and_b64 s[46:47], s[8:9], s[12:13]
	s_waitcnt lgkmcnt(0)
	s_barrier
	s_and_saveexec_b64 s[8:9], s[46:47]
	s_cbranch_execz .LBB22_126
; %bb.125:
	ds_read_b32 v21, v16 offset:2080
	ds_read_b32 v22, v17
	s_waitcnt lgkmcnt(0)
	v_fmac_f32_e32 v20, v21, v22
.LBB22_126:
	s_or_b64 exec, exec, s[8:9]
	v_cmp_eq_u32_e64 s[8:9], 1, v18
	s_and_b64 s[48:49], s[8:9], s[12:13]
	s_barrier
	s_and_saveexec_b64 s[8:9], s[48:49]
	s_cbranch_execz .LBB22_128
; %bb.127:
	v_mov_b32_e32 v21, 0
	ds_read_b32 v21, v21 offset:2340
	s_waitcnt lgkmcnt(0)
	v_mul_f32_e32 v20, v20, v21
	ds_write_b32 v17, v20
.LBB22_128:
	s_or_b64 exec, exec, s[8:9]
	v_cmp_lt_u32_e64 s[8:9], 1, v18
	s_and_b64 s[50:51], s[8:9], s[12:13]
	s_waitcnt lgkmcnt(0)
	s_barrier
	s_and_saveexec_b64 s[8:9], s[50:51]
	s_cbranch_execz .LBB22_130
; %bb.129:
	ds_read_b32 v21, v16 offset:2336
	ds_read_b32 v22, v17
	s_waitcnt lgkmcnt(0)
	v_fmac_f32_e32 v20, v21, v22
.LBB22_130:
	s_or_b64 exec, exec, s[8:9]
	v_cmp_eq_u32_e64 s[8:9], 2, v18
	s_and_b64 s[54:55], s[8:9], s[12:13]
	s_barrier
	s_and_saveexec_b64 s[8:9], s[54:55]
	s_cbranch_execz .LBB22_132
; %bb.131:
	v_mov_b32_e32 v21, 0
	ds_read_b32 v21, v21 offset:2600
	s_waitcnt lgkmcnt(0)
	v_mul_f32_e32 v20, v20, v21
	ds_write_b32 v17, v20
.LBB22_132:
	s_or_b64 exec, exec, s[8:9]
	v_cmp_lt_u32_e64 s[8:9], 2, v18
	s_and_b64 s[56:57], s[8:9], s[12:13]
	s_waitcnt lgkmcnt(0)
	s_barrier
	s_and_saveexec_b64 s[8:9], s[56:57]
	s_cbranch_execz .LBB22_134
; %bb.133:
	ds_read_b32 v21, v16 offset:2592
	ds_read_b32 v22, v17
	s_waitcnt lgkmcnt(0)
	v_fmac_f32_e32 v20, v21, v22
.LBB22_134:
	s_or_b64 exec, exec, s[8:9]
	v_cmp_eq_u32_e64 s[8:9], 3, v18
	s_and_b64 s[58:59], s[8:9], s[12:13]
	s_barrier
	s_and_saveexec_b64 s[8:9], s[58:59]
	s_cbranch_execz .LBB22_136
; %bb.135:
	v_mov_b32_e32 v21, 0
	ds_read_b32 v21, v21 offset:2860
	s_waitcnt lgkmcnt(0)
	v_mul_f32_e32 v20, v20, v21
	ds_write_b32 v17, v20
.LBB22_136:
	s_or_b64 exec, exec, s[8:9]
	v_cmp_lt_u32_e64 s[8:9], 3, v18
	s_and_b64 s[60:61], s[8:9], s[12:13]
	s_waitcnt lgkmcnt(0)
	s_barrier
	s_and_saveexec_b64 s[8:9], s[60:61]
	s_cbranch_execz .LBB22_138
; %bb.137:
	ds_read_b32 v21, v16 offset:2848
	ds_read_b32 v22, v17
	s_waitcnt lgkmcnt(0)
	v_fmac_f32_e32 v20, v21, v22
.LBB22_138:
	s_or_b64 exec, exec, s[8:9]
	v_cmp_eq_u32_e64 s[8:9], 4, v18
	s_and_b64 s[62:63], s[8:9], s[12:13]
	s_barrier
	s_and_saveexec_b64 s[8:9], s[62:63]
	s_cbranch_execz .LBB22_140
; %bb.139:
	v_mov_b32_e32 v21, 0
	ds_read_b32 v21, v21 offset:3120
	s_waitcnt lgkmcnt(0)
	v_mul_f32_e32 v20, v20, v21
	ds_write_b32 v17, v20
.LBB22_140:
	s_or_b64 exec, exec, s[8:9]
	v_cmp_lt_u32_e64 s[8:9], 4, v18
	s_and_b64 s[64:65], s[8:9], s[12:13]
	s_waitcnt lgkmcnt(0)
	s_barrier
	s_and_saveexec_b64 s[8:9], s[64:65]
	s_cbranch_execz .LBB22_142
; %bb.141:
	ds_read_b32 v21, v16 offset:3104
	ds_read_b32 v22, v17
	s_waitcnt lgkmcnt(0)
	v_fmac_f32_e32 v20, v21, v22
.LBB22_142:
	s_or_b64 exec, exec, s[8:9]
	v_cmp_eq_u32_e64 s[8:9], 5, v18
	s_and_b64 s[66:67], s[8:9], s[12:13]
	s_barrier
	s_and_saveexec_b64 s[8:9], s[66:67]
	s_cbranch_execz .LBB22_144
; %bb.143:
	v_mov_b32_e32 v21, 0
	ds_read_b32 v21, v21 offset:3380
	s_waitcnt lgkmcnt(0)
	v_mul_f32_e32 v20, v20, v21
	ds_write_b32 v17, v20
.LBB22_144:
	s_or_b64 exec, exec, s[8:9]
	v_cmp_lt_u32_e64 s[8:9], 5, v18
	s_and_b64 s[68:69], s[8:9], s[12:13]
	s_waitcnt lgkmcnt(0)
	s_barrier
	s_and_saveexec_b64 s[8:9], s[68:69]
	s_cbranch_execz .LBB22_146
; %bb.145:
	ds_read_b32 v21, v16 offset:3360
	ds_read_b32 v22, v17
	s_waitcnt lgkmcnt(0)
	v_fmac_f32_e32 v20, v21, v22
.LBB22_146:
	s_or_b64 exec, exec, s[8:9]
	v_cmp_eq_u32_e64 s[8:9], 6, v18
	s_and_b64 s[70:71], s[8:9], s[12:13]
	s_barrier
	s_and_saveexec_b64 s[8:9], s[70:71]
	s_cbranch_execz .LBB22_148
; %bb.147:
	v_mov_b32_e32 v21, 0
	ds_read_b32 v21, v21 offset:3640
	s_waitcnt lgkmcnt(0)
	v_mul_f32_e32 v20, v20, v21
	ds_write_b32 v17, v20
.LBB22_148:
	s_or_b64 exec, exec, s[8:9]
	v_cmp_eq_u32_e64 s[8:9], 7, v18
	s_and_b64 s[52:53], s[8:9], s[12:13]
	s_waitcnt lgkmcnt(0)
	s_barrier
	s_and_saveexec_b64 s[8:9], s[52:53]
	s_cbranch_execz .LBB22_150
; %bb.149:
	v_mov_b32_e32 v21, 0
	ds_read_b32 v21, v21 offset:3644
	ds_read_b32 v22, v17
	s_waitcnt lgkmcnt(0)
	v_fmac_f32_e32 v20, v21, v22
.LBB22_150:
	s_or_b64 exec, exec, s[8:9]
	s_barrier
	s_and_saveexec_b64 s[8:9], s[52:53]
	s_cbranch_execz .LBB22_152
; %bb.151:
	v_mov_b32_e32 v21, 0
	ds_read_b32 v21, v21 offset:3900
	s_waitcnt lgkmcnt(0)
	v_mul_f32_e32 v20, v20, v21
	ds_write_b32 v17, v20
.LBB22_152:
	s_or_b64 exec, exec, s[8:9]
	s_waitcnt lgkmcnt(0)
	s_barrier
	s_barrier
	s_and_saveexec_b64 s[8:9], s[14:15]
; %bb.153:
	v_xor_b32_e32 v20, 0x80000000, v20
	ds_write_b32 v15, v20 offset:32
; %bb.154:
	s_or_b64 exec, exec, s[8:9]
	s_waitcnt lgkmcnt(0)
	s_barrier
	s_barrier
	s_and_saveexec_b64 s[8:9], vcc
	s_cbranch_execz .LBB22_156
; %bb.155:
	v_mov_b32_e32 v22, 0
	ds_read_b64 v[20:21], v22 offset:2080
	ds_read_b32 v23, v22 offset:2340
	s_waitcnt lgkmcnt(0)
	v_mul_f32_e32 v20, v20, v23
	v_mul_f32_e32 v20, v21, v20
	ds_write_b32 v22, v20 offset:2084
.LBB22_156:
	s_or_b64 exec, exec, s[8:9]
	v_mov_b32_e32 v20, 0
	s_waitcnt lgkmcnt(0)
	s_barrier
	s_and_saveexec_b64 s[10:11], s[0:1]
	s_cbranch_execz .LBB22_160
; %bb.157:
	v_mul_u32_u24_e32 v20, 0x104, v5
	ds_read_b32 v22, v1 offset:2088
	ds_read_b32 v20, v20 offset:2080
	v_mov_b32_e32 v21, 0
	v_cmp_gt_u32_e64 s[8:9], 2, v4
	s_waitcnt lgkmcnt(0)
	v_fma_f32 v20, v22, v20, 0
	s_and_saveexec_b64 s[12:13], s[8:9]
	s_cbranch_execz .LBB22_159
; %bb.158:
	v_lshlrev_b32_e32 v22, 2, v0
	ds_read_b32 v22, v22 offset:2344
	ds_read_b32 v21, v21 offset:2084
	s_waitcnt lgkmcnt(0)
	v_fmac_f32_e32 v20, v22, v21
.LBB22_159:
	s_or_b64 exec, exec, s[12:13]
	v_xor_b32_e32 v20, 0x80000000, v20
.LBB22_160:
	s_or_b64 exec, exec, s[10:11]
	s_and_saveexec_b64 s[8:9], s[28:29]
	s_cbranch_execz .LBB22_162
; %bb.161:
	v_mov_b32_e32 v21, 0
	ds_read_b32 v21, v21 offset:2600
	s_waitcnt lgkmcnt(0)
	v_mul_f32_e32 v20, v20, v21
	ds_write_b32 v3, v20
.LBB22_162:
	s_or_b64 exec, exec, s[8:9]
	s_waitcnt lgkmcnt(0)
	s_barrier
	s_and_saveexec_b64 s[8:9], s[26:27]
	s_cbranch_execz .LBB22_164
; %bb.163:
	v_mov_b32_e32 v21, 0
	ds_read_b32 v21, v21 offset:2604
	ds_read_b32 v22, v3
	s_waitcnt lgkmcnt(0)
	v_fmac_f32_e32 v20, v21, v22
.LBB22_164:
	s_or_b64 exec, exec, s[8:9]
	s_barrier
	s_and_saveexec_b64 s[8:9], s[26:27]
	s_cbranch_execz .LBB22_166
; %bb.165:
	v_mov_b32_e32 v21, 0
	ds_read_b32 v21, v21 offset:2860
	s_waitcnt lgkmcnt(0)
	v_mul_f32_e32 v20, v20, v21
	ds_write_b32 v3, v20
.LBB22_166:
	s_or_b64 exec, exec, s[8:9]
	s_waitcnt lgkmcnt(0)
	s_barrier
	s_barrier
	s_and_saveexec_b64 s[8:9], s[0:1]
; %bb.167:
	v_xor_b32_e32 v20, 0x80000000, v20
	ds_write_b32 v1, v20 offset:2088
; %bb.168:
	s_or_b64 exec, exec, s[8:9]
	s_waitcnt lgkmcnt(0)
	s_barrier
	s_barrier
	s_and_saveexec_b64 s[8:9], vcc
	s_cbranch_execz .LBB22_170
; %bb.169:
	v_mov_b32_e32 v22, 0
	ds_read_b64 v[20:21], v22 offset:2600
	ds_read_b32 v23, v22 offset:2860
	s_waitcnt lgkmcnt(0)
	v_mul_f32_e32 v20, v20, v23
	v_mul_f32_e32 v20, v21, v20
	ds_write_b32 v22, v20 offset:2604
.LBB22_170:
	s_or_b64 exec, exec, s[8:9]
	v_mov_b32_e32 v20, 0
	s_waitcnt lgkmcnt(0)
	s_barrier
	s_and_saveexec_b64 s[10:11], s[2:3]
	s_cbranch_execz .LBB22_176
; %bb.171:
	v_mul_u32_u24_e32 v21, 0x104, v14
	ds_read_b32 v20, v6 offset:2096
	ds_read_b32 v22, v21 offset:2080
	v_cmp_gt_u32_e64 s[8:9], 12, v4
	s_waitcnt lgkmcnt(0)
	v_fma_f32 v20, v20, v22, 0
	s_and_saveexec_b64 s[12:13], s[8:9]
	s_cbranch_execnz .LBB22_1152
; %bb.172:
	s_or_b64 exec, exec, s[12:13]
	v_cmp_gt_u32_e64 s[8:9], 8, v4
	s_and_saveexec_b64 s[12:13], s[8:9]
	s_cbranch_execnz .LBB22_1153
.LBB22_173:
	s_or_b64 exec, exec, s[12:13]
	v_cmp_gt_u32_e64 s[8:9], 4, v4
	s_and_saveexec_b64 s[12:13], s[8:9]
	s_cbranch_execz .LBB22_175
.LBB22_174:
	v_lshlrev_b32_e32 v21, 2, v0
	v_mov_b32_e32 v22, 0
	ds_read_b32 v21, v21 offset:2864
	ds_read_b32 v22, v22 offset:2092
	s_waitcnt lgkmcnt(0)
	v_fmac_f32_e32 v20, v21, v22
.LBB22_175:
	s_or_b64 exec, exec, s[12:13]
	v_xor_b32_e32 v20, 0x80000000, v20
.LBB22_176:
	s_or_b64 exec, exec, s[10:11]
	s_and_saveexec_b64 s[8:9], s[34:35]
	s_cbranch_execz .LBB22_178
; %bb.177:
	v_mov_b32_e32 v21, 0
	ds_read_b32 v21, v21 offset:3120
	s_waitcnt lgkmcnt(0)
	v_mul_f32_e32 v20, v20, v21
	ds_write_b32 v12, v20
.LBB22_178:
	s_or_b64 exec, exec, s[8:9]
	s_waitcnt lgkmcnt(0)
	s_barrier
	s_and_saveexec_b64 s[8:9], s[36:37]
	s_cbranch_execz .LBB22_180
; %bb.179:
	ds_read_b32 v21, v11 offset:3120
	ds_read_b32 v22, v12
	s_waitcnt lgkmcnt(0)
	v_fmac_f32_e32 v20, v21, v22
.LBB22_180:
	s_or_b64 exec, exec, s[8:9]
	s_barrier
	s_and_saveexec_b64 s[8:9], s[38:39]
	s_cbranch_execz .LBB22_182
; %bb.181:
	v_mov_b32_e32 v21, 0
	ds_read_b32 v21, v21 offset:3380
	s_waitcnt lgkmcnt(0)
	v_mul_f32_e32 v20, v20, v21
	ds_write_b32 v12, v20
.LBB22_182:
	s_or_b64 exec, exec, s[8:9]
	s_waitcnt lgkmcnt(0)
	s_barrier
	s_and_saveexec_b64 s[8:9], s[40:41]
	s_cbranch_execz .LBB22_184
; %bb.183:
	ds_read_b32 v21, v11 offset:3376
	ds_read_b32 v22, v12
	s_waitcnt lgkmcnt(0)
	v_fmac_f32_e32 v20, v21, v22
.LBB22_184:
	s_or_b64 exec, exec, s[8:9]
	s_barrier
	s_and_saveexec_b64 s[8:9], s[42:43]
	s_cbranch_execz .LBB22_186
; %bb.185:
	v_mov_b32_e32 v21, 0
	ds_read_b32 v21, v21 offset:3640
	s_waitcnt lgkmcnt(0)
	v_mul_f32_e32 v20, v20, v21
	ds_write_b32 v12, v20
.LBB22_186:
	s_or_b64 exec, exec, s[8:9]
	s_waitcnt lgkmcnt(0)
	s_barrier
	s_and_saveexec_b64 s[8:9], s[30:31]
	s_cbranch_execz .LBB22_188
; %bb.187:
	v_mov_b32_e32 v21, 0
	ds_read_b32 v21, v21 offset:3644
	ds_read_b32 v22, v12
	s_waitcnt lgkmcnt(0)
	v_fmac_f32_e32 v20, v21, v22
.LBB22_188:
	s_or_b64 exec, exec, s[8:9]
	s_barrier
	s_and_saveexec_b64 s[8:9], s[30:31]
	s_cbranch_execz .LBB22_190
; %bb.189:
	v_mov_b32_e32 v21, 0
	ds_read_b32 v21, v21 offset:3900
	s_waitcnt lgkmcnt(0)
	v_mul_f32_e32 v20, v20, v21
	ds_write_b32 v12, v20
.LBB22_190:
	s_or_b64 exec, exec, s[8:9]
	s_waitcnt lgkmcnt(0)
	s_barrier
	s_barrier
	s_and_saveexec_b64 s[8:9], s[2:3]
; %bb.191:
	v_xor_b32_e32 v20, 0x80000000, v20
	ds_write_b32 v6, v20 offset:2096
; %bb.192:
	s_or_b64 exec, exec, s[8:9]
	s_waitcnt lgkmcnt(0)
	s_barrier
	s_barrier
	s_and_saveexec_b64 s[8:9], vcc
	s_cbranch_execz .LBB22_194
; %bb.193:
	v_mov_b32_e32 v22, 0
	ds_read_b64 v[20:21], v22 offset:3120
	ds_read_b32 v23, v22 offset:3380
	s_waitcnt lgkmcnt(0)
	v_mul_f32_e32 v20, v20, v23
	v_mul_f32_e32 v20, v21, v20
	ds_write_b32 v22, v20 offset:3124
.LBB22_194:
	s_or_b64 exec, exec, s[8:9]
	v_mov_b32_e32 v20, 0
	s_waitcnt lgkmcnt(0)
	s_barrier
	s_and_saveexec_b64 s[10:11], s[0:1]
	s_cbranch_execz .LBB22_198
; %bb.195:
	v_mul_u32_u24_e32 v20, 0x104, v5
	ds_read_b32 v22, v1 offset:3128
	ds_read_b32 v20, v20 offset:3120
	v_mov_b32_e32 v21, 0
	v_cmp_gt_u32_e64 s[8:9], 2, v4
	s_waitcnt lgkmcnt(0)
	v_fma_f32 v20, v22, v20, 0
	s_and_saveexec_b64 s[12:13], s[8:9]
	s_cbranch_execz .LBB22_197
; %bb.196:
	v_lshlrev_b32_e32 v22, 2, v0
	ds_read_b32 v22, v22 offset:3384
	ds_read_b32 v21, v21 offset:3124
	s_waitcnt lgkmcnt(0)
	v_fmac_f32_e32 v20, v22, v21
.LBB22_197:
	s_or_b64 exec, exec, s[12:13]
	v_xor_b32_e32 v20, 0x80000000, v20
.LBB22_198:
	s_or_b64 exec, exec, s[10:11]
	s_and_saveexec_b64 s[8:9], s[28:29]
	s_cbranch_execz .LBB22_200
; %bb.199:
	v_mov_b32_e32 v21, 0
	ds_read_b32 v21, v21 offset:3640
	s_waitcnt lgkmcnt(0)
	v_mul_f32_e32 v20, v20, v21
	ds_write_b32 v3, v20
.LBB22_200:
	s_or_b64 exec, exec, s[8:9]
	s_waitcnt lgkmcnt(0)
	s_barrier
	s_and_saveexec_b64 s[8:9], s[26:27]
	s_cbranch_execz .LBB22_202
; %bb.201:
	v_mov_b32_e32 v21, 0
	ds_read_b32 v21, v21 offset:3644
	ds_read_b32 v22, v3
	s_waitcnt lgkmcnt(0)
	v_fmac_f32_e32 v20, v21, v22
.LBB22_202:
	s_or_b64 exec, exec, s[8:9]
	s_barrier
	s_and_saveexec_b64 s[8:9], s[26:27]
	s_cbranch_execz .LBB22_204
; %bb.203:
	v_mov_b32_e32 v21, 0
	ds_read_b32 v21, v21 offset:3900
	s_waitcnt lgkmcnt(0)
	v_mul_f32_e32 v20, v20, v21
	ds_write_b32 v3, v20
.LBB22_204:
	s_or_b64 exec, exec, s[8:9]
	s_waitcnt lgkmcnt(0)
	s_barrier
	s_barrier
	s_and_saveexec_b64 s[8:9], s[0:1]
; %bb.205:
	v_xor_b32_e32 v20, 0x80000000, v20
	ds_write_b32 v1, v20 offset:3128
; %bb.206:
	s_or_b64 exec, exec, s[8:9]
	s_waitcnt lgkmcnt(0)
	s_barrier
	s_barrier
	s_and_saveexec_b64 s[8:9], vcc
	s_cbranch_execz .LBB22_208
; %bb.207:
	v_mov_b32_e32 v22, 0
	ds_read_b64 v[20:21], v22 offset:3640
	ds_read_b32 v23, v22 offset:3900
	s_waitcnt lgkmcnt(0)
	v_mul_f32_e32 v20, v20, v23
	v_mul_f32_e32 v20, v21, v20
	ds_write_b32 v22, v20 offset:3644
.LBB22_208:
	s_or_b64 exec, exec, s[8:9]
	v_lshrrev_b32_e32 v24, 4, v4
	v_and_b32_e32 v21, 15, v0
	s_movk_i32 s8, 0xff
	v_lshlrev_b32_e32 v23, 6, v24
	v_cmp_lt_u32_e64 s[10:11], s8, v4
	s_movk_i32 s8, 0x100
	v_or_b32_e32 v20, v23, v21
	v_cmp_gt_u32_e64 s[8:9], s8, v4
	v_lshlrev_b32_e32 v20, 2, v20
	v_mov_b32_e32 v25, 0
	s_waitcnt lgkmcnt(0)
	s_barrier
	s_and_saveexec_b64 s[16:17], s[8:9]
	s_cbranch_execz .LBB22_236
; %bb.209:
	v_mul_u32_u24_e32 v25, 0x104, v24
	ds_read_b32 v22, v20 offset:64
	ds_read_b32 v26, v25
	s_movk_i32 s12, 0xf0
	v_cmp_gt_u32_e64 s[12:13], s12, v4
	s_waitcnt lgkmcnt(0)
	v_fma_f32 v22, v22, v26, 0
	s_and_saveexec_b64 s[72:73], s[12:13]
	s_cbranch_execz .LBB22_211
; %bb.210:
	v_lshlrev_b32_e32 v26, 2, v24
	v_sub_u32_e32 v26, v25, v26
	v_lshl_add_u32 v26, v21, 2, v26
	ds_read_b32 v26, v26 offset:320
	ds_read_b32 v27, v25 offset:4
	s_waitcnt lgkmcnt(0)
	v_fmac_f32_e32 v22, v26, v27
.LBB22_211:
	s_or_b64 exec, exec, s[72:73]
	s_movk_i32 s12, 0xe0
	v_cmp_gt_u32_e64 s[12:13], s12, v4
	s_and_saveexec_b64 s[72:73], s[12:13]
	s_cbranch_execz .LBB22_213
; %bb.212:
	v_lshlrev_b32_e32 v26, 2, v24
	v_sub_u32_e32 v26, v25, v26
	v_lshl_add_u32 v26, v21, 2, v26
	ds_read_b32 v26, v26 offset:576
	ds_read_b32 v27, v25 offset:8
	s_waitcnt lgkmcnt(0)
	v_fmac_f32_e32 v22, v26, v27
.LBB22_213:
	s_or_b64 exec, exec, s[72:73]
	s_movk_i32 s12, 0xd0
	v_cmp_gt_u32_e64 s[12:13], s12, v4
	;; [unrolled: 14-line block ×7, first 2 shown]
	s_and_saveexec_b64 s[72:73], s[12:13]
	s_cbranch_execz .LBB22_225
; %bb.224:
	ds_read_b32 v26, v20 offset:2112
	ds_read_b32 v27, v25 offset:32
	s_waitcnt lgkmcnt(0)
	v_fmac_f32_e32 v22, v26, v27
.LBB22_225:
	s_or_b64 exec, exec, s[72:73]
	s_movk_i32 s12, 0x70
	v_cmp_gt_u32_e64 s[12:13], s12, v4
	s_and_saveexec_b64 s[72:73], s[12:13]
	s_cbranch_execz .LBB22_227
; %bb.226:
	v_lshlrev_b32_e32 v26, 2, v24
	v_sub_u32_e32 v26, v25, v26
	v_lshl_add_u32 v26, v21, 2, v26
	ds_read_b32 v26, v26 offset:2368
	ds_read_b32 v27, v25 offset:36
	s_waitcnt lgkmcnt(0)
	v_fmac_f32_e32 v22, v26, v27
.LBB22_227:
	s_or_b64 exec, exec, s[72:73]
	s_movk_i32 s12, 0x60
	v_cmp_gt_u32_e64 s[12:13], s12, v4
	s_and_saveexec_b64 s[72:73], s[12:13]
	s_cbranch_execz .LBB22_229
; %bb.228:
	v_lshlrev_b32_e32 v26, 2, v21
	v_lshl_add_u32 v26, v23, 2, v26
	ds_read_b32 v26, v26 offset:2624
	ds_read_b32 v27, v25 offset:40
	s_waitcnt lgkmcnt(0)
	v_fmac_f32_e32 v22, v26, v27
.LBB22_229:
	s_or_b64 exec, exec, s[72:73]
	s_movk_i32 s12, 0x50
	v_cmp_gt_u32_e64 s[12:13], s12, v4
	s_and_saveexec_b64 s[72:73], s[12:13]
	s_cbranch_execnz .LBB22_1154
; %bb.230:
	s_or_b64 exec, exec, s[72:73]
	v_cmp_gt_u32_e64 s[12:13], 64, v4
	s_and_saveexec_b64 s[72:73], s[12:13]
	s_cbranch_execnz .LBB22_1155
.LBB22_231:
	s_or_b64 exec, exec, s[72:73]
	v_cmp_gt_u32_e64 s[12:13], 48, v4
	s_and_saveexec_b64 s[72:73], s[12:13]
	s_cbranch_execnz .LBB22_1156
.LBB22_232:
	s_or_b64 exec, exec, s[72:73]
	v_cmp_gt_u32_e64 s[12:13], 32, v4
	s_and_saveexec_b64 s[72:73], s[12:13]
	s_cbranch_execnz .LBB22_1157
.LBB22_233:
	s_or_b64 exec, exec, s[72:73]
	v_cmp_gt_u32_e64 s[12:13], 16, v4
	s_and_saveexec_b64 s[72:73], s[12:13]
	s_cbranch_execz .LBB22_235
.LBB22_234:
	v_lshlrev_b32_e32 v25, 2, v0
	v_mov_b32_e32 v26, 0
	ds_read_b32 v25, v25 offset:3904
	ds_read_b32 v26, v26 offset:60
	s_waitcnt lgkmcnt(0)
	v_fmac_f32_e32 v22, v25, v26
.LBB22_235:
	s_or_b64 exec, exec, s[72:73]
	v_xor_b32_e32 v25, 0x80000000, v22
.LBB22_236:
	s_or_b64 exec, exec, s[16:17]
	v_mov_b32_e32 v22, 0x4000
	v_lshl_add_u32 v22, v24, 2, v22
	v_cmp_eq_u32_e64 s[12:13], 0, v21
	s_xor_b64 s[16:17], s[10:11], -1
	s_and_b64 s[12:13], s[12:13], s[16:17]
	s_mov_b64 s[10:11], exec
	v_writelane_b32 v33, s12, 1
	v_writelane_b32 v33, s13, 2
	s_and_b64 s[12:13], s[10:11], s[12:13]
	s_mov_b64 exec, s[12:13]
	s_cbranch_execz .LBB22_238
; %bb.237:
	v_mov_b32_e32 v26, 0
	ds_read_b32 v26, v26 offset:4160
	s_waitcnt lgkmcnt(0)
	v_mul_f32_e32 v25, v25, v26
	ds_write_b32 v22, v25
.LBB22_238:
	s_or_b64 exec, exec, s[10:11]
	v_cmp_ne_u32_e64 s[10:11], 0, v21
	s_waitcnt lgkmcnt(0)
	s_barrier
	s_and_b64 s[12:13], s[10:11], s[16:17]
	s_mov_b64 s[10:11], exec
	v_writelane_b32 v33, s12, 3
	v_writelane_b32 v33, s13, 4
	s_and_b64 s[12:13], s[10:11], s[12:13]
	s_mov_b64 exec, s[12:13]
	s_cbranch_execz .LBB22_240
; %bb.239:
	v_lshlrev_b32_e32 v26, 2, v21
	ds_read_b32 v26, v26 offset:4160
	ds_read_b32 v27, v22
	s_waitcnt lgkmcnt(0)
	v_fmac_f32_e32 v25, v26, v27
.LBB22_240:
	s_or_b64 exec, exec, s[10:11]
	v_cmp_eq_u32_e64 s[10:11], 1, v21
	s_barrier
	s_and_b64 s[12:13], s[10:11], s[16:17]
	s_mov_b64 s[10:11], exec
	v_writelane_b32 v33, s12, 5
	v_writelane_b32 v33, s13, 6
	s_and_b64 s[12:13], s[10:11], s[12:13]
	s_mov_b64 exec, s[12:13]
	s_cbranch_execz .LBB22_242
; %bb.241:
	v_mov_b32_e32 v26, 0
	ds_read_b32 v26, v26 offset:4420
	s_waitcnt lgkmcnt(0)
	v_mul_f32_e32 v25, v25, v26
	ds_write_b32 v22, v25
.LBB22_242:
	s_or_b64 exec, exec, s[10:11]
	v_cmp_lt_u32_e64 s[10:11], 1, v21
	s_waitcnt lgkmcnt(0)
	s_barrier
	s_and_b64 s[12:13], s[10:11], s[16:17]
	s_mov_b64 s[10:11], exec
	v_writelane_b32 v33, s12, 7
	v_writelane_b32 v33, s13, 8
	s_and_b64 s[12:13], s[10:11], s[12:13]
	s_mov_b64 exec, s[12:13]
	s_cbranch_execz .LBB22_244
; %bb.243:
	v_lshlrev_b32_e32 v26, 2, v21
	ds_read_b32 v26, v26 offset:4416
	ds_read_b32 v27, v22
	s_waitcnt lgkmcnt(0)
	v_fmac_f32_e32 v25, v26, v27
.LBB22_244:
	s_or_b64 exec, exec, s[10:11]
	v_cmp_eq_u32_e64 s[10:11], 2, v21
	s_barrier
	s_and_b64 s[12:13], s[10:11], s[16:17]
	s_mov_b64 s[10:11], exec
	v_writelane_b32 v33, s12, 9
	v_writelane_b32 v33, s13, 10
	s_and_b64 s[12:13], s[10:11], s[12:13]
	s_mov_b64 exec, s[12:13]
	s_cbranch_execz .LBB22_246
; %bb.245:
	v_mov_b32_e32 v26, 0
	ds_read_b32 v26, v26 offset:4680
	s_waitcnt lgkmcnt(0)
	v_mul_f32_e32 v25, v25, v26
	ds_write_b32 v22, v25
.LBB22_246:
	s_or_b64 exec, exec, s[10:11]
	v_cmp_lt_u32_e64 s[10:11], 2, v21
	;; [unrolled: 35-line block ×10, first 2 shown]
	s_waitcnt lgkmcnt(0)
	s_barrier
	s_and_b64 s[12:13], s[10:11], s[16:17]
	s_mov_b64 s[10:11], exec
	v_writelane_b32 v33, s12, 43
	v_writelane_b32 v33, s13, 44
	s_and_b64 s[12:13], s[10:11], s[12:13]
	s_mov_b64 exec, s[12:13]
	s_cbranch_execz .LBB22_280
; %bb.279:
	v_lshlrev_b32_e32 v26, 2, v21
	ds_read_b32 v26, v26 offset:6720
	ds_read_b32 v27, v22
	s_waitcnt lgkmcnt(0)
	v_fmac_f32_e32 v25, v26, v27
.LBB22_280:
	s_or_b64 exec, exec, s[10:11]
	v_cmp_eq_u32_e64 s[10:11], 11, v21
	s_and_b64 s[94:95], s[10:11], s[16:17]
	s_barrier
	s_and_saveexec_b64 s[10:11], s[94:95]
	s_cbranch_execz .LBB22_282
; %bb.281:
	v_mov_b32_e32 v26, 0
	ds_read_b32 v26, v26 offset:7020
	s_waitcnt lgkmcnt(0)
	v_mul_f32_e32 v25, v25, v26
	ds_write_b32 v22, v25
.LBB22_282:
	s_or_b64 exec, exec, s[10:11]
	v_cmp_lt_u32_e64 s[10:11], 11, v21
	s_and_b64 s[72:73], s[10:11], s[16:17]
	s_waitcnt lgkmcnt(0)
	s_barrier
	s_and_saveexec_b64 s[10:11], s[72:73]
	s_cbranch_execz .LBB22_284
; %bb.283:
	v_lshlrev_b32_e32 v26, 2, v21
	ds_read_b32 v26, v26 offset:6976
	ds_read_b32 v27, v22
	s_waitcnt lgkmcnt(0)
	v_fmac_f32_e32 v25, v26, v27
.LBB22_284:
	s_or_b64 exec, exec, s[10:11]
	v_cmp_eq_u32_e64 s[10:11], 12, v21
	s_and_b64 s[74:75], s[10:11], s[16:17]
	s_barrier
	s_and_saveexec_b64 s[10:11], s[74:75]
	s_cbranch_execz .LBB22_286
; %bb.285:
	v_mov_b32_e32 v26, 0
	ds_read_b32 v26, v26 offset:7280
	s_waitcnt lgkmcnt(0)
	v_mul_f32_e32 v25, v25, v26
	ds_write_b32 v22, v25
.LBB22_286:
	s_or_b64 exec, exec, s[10:11]
	v_cmp_lt_u32_e64 s[10:11], 12, v21
	s_and_b64 s[76:77], s[10:11], s[16:17]
	s_waitcnt lgkmcnt(0)
	s_barrier
	s_and_saveexec_b64 s[10:11], s[76:77]
	s_cbranch_execz .LBB22_288
; %bb.287:
	v_lshlrev_b32_e32 v26, 2, v21
	ds_read_b32 v26, v26 offset:7232
	ds_read_b32 v27, v22
	s_waitcnt lgkmcnt(0)
	v_fmac_f32_e32 v25, v26, v27
.LBB22_288:
	s_or_b64 exec, exec, s[10:11]
	v_cmp_eq_u32_e64 s[10:11], 13, v21
	s_and_b64 s[78:79], s[10:11], s[16:17]
	s_barrier
	s_and_saveexec_b64 s[10:11], s[78:79]
	s_cbranch_execz .LBB22_290
; %bb.289:
	v_mov_b32_e32 v26, 0
	ds_read_b32 v26, v26 offset:7540
	s_waitcnt lgkmcnt(0)
	v_mul_f32_e32 v25, v25, v26
	ds_write_b32 v22, v25
.LBB22_290:
	s_or_b64 exec, exec, s[10:11]
	v_cmp_lt_u32_e64 s[10:11], 13, v21
	s_and_b64 s[80:81], s[10:11], s[16:17]
	s_waitcnt lgkmcnt(0)
	s_barrier
	s_and_saveexec_b64 s[10:11], s[80:81]
	s_cbranch_execz .LBB22_292
; %bb.291:
	v_lshlrev_b32_e32 v26, 2, v21
	ds_read_b32 v26, v26 offset:7488
	ds_read_b32 v27, v22
	s_waitcnt lgkmcnt(0)
	v_fmac_f32_e32 v25, v26, v27
.LBB22_292:
	s_or_b64 exec, exec, s[10:11]
	v_cmp_eq_u32_e64 s[10:11], 14, v21
	s_and_b64 s[82:83], s[10:11], s[16:17]
	s_barrier
	s_and_saveexec_b64 s[10:11], s[82:83]
	s_cbranch_execz .LBB22_294
; %bb.293:
	v_mov_b32_e32 v26, 0
	ds_read_b32 v26, v26 offset:7800
	s_waitcnt lgkmcnt(0)
	v_mul_f32_e32 v25, v25, v26
	ds_write_b32 v22, v25
.LBB22_294:
	s_or_b64 exec, exec, s[10:11]
	v_cmp_eq_u32_e64 s[10:11], 15, v21
	s_and_b64 s[88:89], s[10:11], s[16:17]
	s_waitcnt lgkmcnt(0)
	s_barrier
	s_and_saveexec_b64 s[10:11], s[88:89]
	s_cbranch_execz .LBB22_296
; %bb.295:
	v_mov_b32_e32 v26, 0
	ds_read_b32 v26, v26 offset:7804
	ds_read_b32 v27, v22
	s_waitcnt lgkmcnt(0)
	v_fmac_f32_e32 v25, v26, v27
.LBB22_296:
	s_or_b64 exec, exec, s[10:11]
	s_barrier
	s_and_saveexec_b64 s[10:11], s[88:89]
	s_cbranch_execz .LBB22_298
; %bb.297:
	v_mov_b32_e32 v26, 0
	ds_read_b32 v26, v26 offset:8060
	s_waitcnt lgkmcnt(0)
	v_mul_f32_e32 v25, v25, v26
	ds_write_b32 v22, v25
.LBB22_298:
	s_or_b64 exec, exec, s[10:11]
	s_waitcnt lgkmcnt(0)
	s_barrier
	s_barrier
	s_and_saveexec_b64 s[10:11], s[8:9]
; %bb.299:
	v_xor_b32_e32 v25, 0x80000000, v25
	ds_write_b32 v20, v25 offset:64
; %bb.300:
	s_or_b64 exec, exec, s[10:11]
	s_waitcnt lgkmcnt(0)
	s_barrier
	s_barrier
	s_and_saveexec_b64 s[10:11], vcc
	s_cbranch_execz .LBB22_302
; %bb.301:
	v_mov_b32_e32 v27, 0
	ds_read_b64 v[25:26], v27 offset:4160
	ds_read_b32 v28, v27 offset:4420
	s_waitcnt lgkmcnt(0)
	v_mul_f32_e32 v25, v25, v28
	v_mul_f32_e32 v25, v26, v25
	ds_write_b32 v27, v25 offset:4164
.LBB22_302:
	s_or_b64 exec, exec, s[10:11]
	v_mov_b32_e32 v25, 0
	s_waitcnt lgkmcnt(0)
	s_barrier
	s_and_saveexec_b64 s[12:13], s[0:1]
	s_cbranch_execz .LBB22_306
; %bb.303:
	v_mul_u32_u24_e32 v25, 0x104, v5
	ds_read_b32 v27, v1 offset:4168
	ds_read_b32 v25, v25 offset:4160
	v_mov_b32_e32 v26, 0
	v_cmp_gt_u32_e64 s[10:11], 2, v4
	s_waitcnt lgkmcnt(0)
	v_fma_f32 v25, v27, v25, 0
	s_and_saveexec_b64 s[16:17], s[10:11]
	s_cbranch_execz .LBB22_305
; %bb.304:
	v_lshlrev_b32_e32 v27, 2, v0
	ds_read_b32 v27, v27 offset:4424
	ds_read_b32 v26, v26 offset:4164
	s_waitcnt lgkmcnt(0)
	v_fmac_f32_e32 v25, v27, v26
.LBB22_305:
	s_or_b64 exec, exec, s[16:17]
	v_xor_b32_e32 v25, 0x80000000, v25
.LBB22_306:
	s_or_b64 exec, exec, s[12:13]
	s_and_saveexec_b64 s[10:11], s[28:29]
	s_cbranch_execz .LBB22_308
; %bb.307:
	v_mov_b32_e32 v26, 0
	ds_read_b32 v26, v26 offset:4680
	s_waitcnt lgkmcnt(0)
	v_mul_f32_e32 v25, v25, v26
	ds_write_b32 v3, v25
.LBB22_308:
	s_or_b64 exec, exec, s[10:11]
	s_waitcnt lgkmcnt(0)
	s_barrier
	s_and_saveexec_b64 s[10:11], s[26:27]
	s_cbranch_execz .LBB22_310
; %bb.309:
	v_mov_b32_e32 v26, 0
	ds_read_b32 v26, v26 offset:4684
	ds_read_b32 v27, v3
	s_waitcnt lgkmcnt(0)
	v_fmac_f32_e32 v25, v26, v27
.LBB22_310:
	s_or_b64 exec, exec, s[10:11]
	s_barrier
	s_and_saveexec_b64 s[10:11], s[26:27]
	s_cbranch_execz .LBB22_312
; %bb.311:
	v_mov_b32_e32 v26, 0
	ds_read_b32 v26, v26 offset:4940
	s_waitcnt lgkmcnt(0)
	v_mul_f32_e32 v25, v25, v26
	ds_write_b32 v3, v25
.LBB22_312:
	s_or_b64 exec, exec, s[10:11]
	s_waitcnt lgkmcnt(0)
	s_barrier
	s_barrier
	s_and_saveexec_b64 s[10:11], s[0:1]
; %bb.313:
	v_xor_b32_e32 v25, 0x80000000, v25
	ds_write_b32 v1, v25 offset:4168
; %bb.314:
	s_or_b64 exec, exec, s[10:11]
	s_waitcnt lgkmcnt(0)
	s_barrier
	s_barrier
	s_and_saveexec_b64 s[10:11], vcc
	s_cbranch_execz .LBB22_316
; %bb.315:
	v_mov_b32_e32 v27, 0
	ds_read_b64 v[25:26], v27 offset:4680
	ds_read_b32 v28, v27 offset:4940
	s_waitcnt lgkmcnt(0)
	v_mul_f32_e32 v25, v25, v28
	v_mul_f32_e32 v25, v26, v25
	ds_write_b32 v27, v25 offset:4684
.LBB22_316:
	s_or_b64 exec, exec, s[10:11]
	v_mov_b32_e32 v25, 0
	s_waitcnt lgkmcnt(0)
	s_barrier
	s_and_saveexec_b64 s[12:13], s[2:3]
	s_cbranch_execz .LBB22_322
; %bb.317:
	v_mul_u32_u24_e32 v26, 0x104, v14
	ds_read_b32 v25, v6 offset:4176
	ds_read_b32 v27, v26 offset:4160
	v_cmp_gt_u32_e64 s[10:11], 12, v4
	s_waitcnt lgkmcnt(0)
	v_fma_f32 v25, v25, v27, 0
	s_and_saveexec_b64 s[16:17], s[10:11]
	s_cbranch_execnz .LBB22_1158
; %bb.318:
	s_or_b64 exec, exec, s[16:17]
	v_cmp_gt_u32_e64 s[10:11], 8, v4
	s_and_saveexec_b64 s[16:17], s[10:11]
	s_cbranch_execnz .LBB22_1159
.LBB22_319:
	s_or_b64 exec, exec, s[16:17]
	v_cmp_gt_u32_e64 s[10:11], 4, v4
	s_and_saveexec_b64 s[16:17], s[10:11]
	s_cbranch_execz .LBB22_321
.LBB22_320:
	v_lshlrev_b32_e32 v26, 2, v0
	v_mov_b32_e32 v27, 0
	ds_read_b32 v26, v26 offset:4944
	ds_read_b32 v27, v27 offset:4172
	s_waitcnt lgkmcnt(0)
	v_fmac_f32_e32 v25, v26, v27
.LBB22_321:
	s_or_b64 exec, exec, s[16:17]
	v_xor_b32_e32 v25, 0x80000000, v25
.LBB22_322:
	s_or_b64 exec, exec, s[12:13]
	s_and_saveexec_b64 s[10:11], s[34:35]
	s_cbranch_execz .LBB22_324
; %bb.323:
	v_mov_b32_e32 v26, 0
	ds_read_b32 v26, v26 offset:5200
	s_waitcnt lgkmcnt(0)
	v_mul_f32_e32 v25, v25, v26
	ds_write_b32 v12, v25
.LBB22_324:
	s_or_b64 exec, exec, s[10:11]
	s_waitcnt lgkmcnt(0)
	s_barrier
	s_and_saveexec_b64 s[10:11], s[36:37]
	s_cbranch_execz .LBB22_326
; %bb.325:
	ds_read_b32 v26, v11 offset:5200
	ds_read_b32 v27, v12
	s_waitcnt lgkmcnt(0)
	v_fmac_f32_e32 v25, v26, v27
.LBB22_326:
	s_or_b64 exec, exec, s[10:11]
	s_barrier
	s_and_saveexec_b64 s[10:11], s[38:39]
	s_cbranch_execz .LBB22_328
; %bb.327:
	v_mov_b32_e32 v26, 0
	ds_read_b32 v26, v26 offset:5460
	s_waitcnt lgkmcnt(0)
	v_mul_f32_e32 v25, v25, v26
	ds_write_b32 v12, v25
.LBB22_328:
	s_or_b64 exec, exec, s[10:11]
	s_waitcnt lgkmcnt(0)
	s_barrier
	s_and_saveexec_b64 s[10:11], s[40:41]
	s_cbranch_execz .LBB22_330
; %bb.329:
	ds_read_b32 v26, v11 offset:5456
	ds_read_b32 v27, v12
	s_waitcnt lgkmcnt(0)
	v_fmac_f32_e32 v25, v26, v27
.LBB22_330:
	s_or_b64 exec, exec, s[10:11]
	s_barrier
	s_and_saveexec_b64 s[10:11], s[42:43]
	s_cbranch_execz .LBB22_332
; %bb.331:
	v_mov_b32_e32 v26, 0
	ds_read_b32 v26, v26 offset:5720
	s_waitcnt lgkmcnt(0)
	v_mul_f32_e32 v25, v25, v26
	ds_write_b32 v12, v25
.LBB22_332:
	s_or_b64 exec, exec, s[10:11]
	s_waitcnt lgkmcnt(0)
	s_barrier
	s_and_saveexec_b64 s[10:11], s[30:31]
	s_cbranch_execz .LBB22_334
; %bb.333:
	v_mov_b32_e32 v26, 0
	ds_read_b32 v26, v26 offset:5724
	ds_read_b32 v27, v12
	s_waitcnt lgkmcnt(0)
	v_fmac_f32_e32 v25, v26, v27
.LBB22_334:
	s_or_b64 exec, exec, s[10:11]
	s_barrier
	s_and_saveexec_b64 s[10:11], s[30:31]
	s_cbranch_execz .LBB22_336
; %bb.335:
	v_mov_b32_e32 v26, 0
	ds_read_b32 v26, v26 offset:5980
	s_waitcnt lgkmcnt(0)
	v_mul_f32_e32 v25, v25, v26
	ds_write_b32 v12, v25
.LBB22_336:
	s_or_b64 exec, exec, s[10:11]
	s_waitcnt lgkmcnt(0)
	s_barrier
	s_barrier
	s_and_saveexec_b64 s[10:11], s[2:3]
; %bb.337:
	v_xor_b32_e32 v25, 0x80000000, v25
	ds_write_b32 v6, v25 offset:4176
; %bb.338:
	s_or_b64 exec, exec, s[10:11]
	s_waitcnt lgkmcnt(0)
	s_barrier
	s_barrier
	s_and_saveexec_b64 s[10:11], vcc
	s_cbranch_execz .LBB22_340
; %bb.339:
	v_mov_b32_e32 v27, 0
	ds_read_b64 v[25:26], v27 offset:5200
	ds_read_b32 v28, v27 offset:5460
	s_waitcnt lgkmcnt(0)
	v_mul_f32_e32 v25, v25, v28
	v_mul_f32_e32 v25, v26, v25
	ds_write_b32 v27, v25 offset:5204
.LBB22_340:
	s_or_b64 exec, exec, s[10:11]
	v_mov_b32_e32 v25, 0
	s_waitcnt lgkmcnt(0)
	s_barrier
	s_and_saveexec_b64 s[12:13], s[0:1]
	s_cbranch_execz .LBB22_344
; %bb.341:
	v_mul_u32_u24_e32 v25, 0x104, v5
	ds_read_b32 v27, v1 offset:5208
	ds_read_b32 v25, v25 offset:5200
	v_mov_b32_e32 v26, 0
	v_cmp_gt_u32_e64 s[10:11], 2, v4
	s_waitcnt lgkmcnt(0)
	v_fma_f32 v25, v27, v25, 0
	s_and_saveexec_b64 s[16:17], s[10:11]
	s_cbranch_execz .LBB22_343
; %bb.342:
	v_lshlrev_b32_e32 v27, 2, v0
	ds_read_b32 v27, v27 offset:5464
	ds_read_b32 v26, v26 offset:5204
	s_waitcnt lgkmcnt(0)
	v_fmac_f32_e32 v25, v27, v26
.LBB22_343:
	s_or_b64 exec, exec, s[16:17]
	v_xor_b32_e32 v25, 0x80000000, v25
.LBB22_344:
	s_or_b64 exec, exec, s[12:13]
	s_and_saveexec_b64 s[10:11], s[28:29]
	s_cbranch_execz .LBB22_346
; %bb.345:
	v_mov_b32_e32 v26, 0
	ds_read_b32 v26, v26 offset:5720
	s_waitcnt lgkmcnt(0)
	v_mul_f32_e32 v25, v25, v26
	ds_write_b32 v3, v25
.LBB22_346:
	s_or_b64 exec, exec, s[10:11]
	s_waitcnt lgkmcnt(0)
	s_barrier
	s_and_saveexec_b64 s[10:11], s[26:27]
	s_cbranch_execz .LBB22_348
; %bb.347:
	v_mov_b32_e32 v26, 0
	ds_read_b32 v26, v26 offset:5724
	ds_read_b32 v27, v3
	s_waitcnt lgkmcnt(0)
	v_fmac_f32_e32 v25, v26, v27
.LBB22_348:
	s_or_b64 exec, exec, s[10:11]
	s_barrier
	s_and_saveexec_b64 s[10:11], s[26:27]
	s_cbranch_execz .LBB22_350
; %bb.349:
	v_mov_b32_e32 v26, 0
	ds_read_b32 v26, v26 offset:5980
	s_waitcnt lgkmcnt(0)
	v_mul_f32_e32 v25, v25, v26
	ds_write_b32 v3, v25
.LBB22_350:
	s_or_b64 exec, exec, s[10:11]
	s_waitcnt lgkmcnt(0)
	s_barrier
	s_barrier
	s_and_saveexec_b64 s[10:11], s[0:1]
; %bb.351:
	v_xor_b32_e32 v25, 0x80000000, v25
	ds_write_b32 v1, v25 offset:5208
; %bb.352:
	s_or_b64 exec, exec, s[10:11]
	s_waitcnt lgkmcnt(0)
	s_barrier
	s_barrier
	s_and_saveexec_b64 s[10:11], vcc
	s_cbranch_execz .LBB22_354
; %bb.353:
	v_mov_b32_e32 v27, 0
	ds_read_b64 v[25:26], v27 offset:5720
	ds_read_b32 v28, v27 offset:5980
	s_waitcnt lgkmcnt(0)
	v_mul_f32_e32 v25, v25, v28
	v_mul_f32_e32 v25, v26, v25
	ds_write_b32 v27, v25 offset:5724
.LBB22_354:
	s_or_b64 exec, exec, s[10:11]
	v_mov_b32_e32 v25, 0
	s_waitcnt lgkmcnt(0)
	s_barrier
	s_and_saveexec_b64 s[12:13], s[14:15]
	s_cbranch_execz .LBB22_364
; %bb.355:
	v_mul_u32_u24_e32 v26, 0x104, v19
	ds_read_b32 v25, v15 offset:4192
	ds_read_b32 v27, v26 offset:4160
	v_cmp_gt_u32_e64 s[10:11], 56, v4
	s_waitcnt lgkmcnt(0)
	v_fma_f32 v25, v25, v27, 0
	s_and_saveexec_b64 s[16:17], s[10:11]
	s_cbranch_execnz .LBB22_1160
; %bb.356:
	s_or_b64 exec, exec, s[16:17]
	v_cmp_gt_u32_e64 s[10:11], 48, v4
	s_and_saveexec_b64 s[16:17], s[10:11]
	s_cbranch_execnz .LBB22_1161
.LBB22_357:
	s_or_b64 exec, exec, s[16:17]
	v_cmp_gt_u32_e64 s[10:11], 40, v4
	s_and_saveexec_b64 s[16:17], s[10:11]
	s_cbranch_execnz .LBB22_1162
.LBB22_358:
	s_or_b64 exec, exec, s[16:17]
	v_cmp_gt_u32_e64 s[10:11], 32, v4
	s_and_saveexec_b64 s[16:17], s[10:11]
	s_cbranch_execnz .LBB22_1163
.LBB22_359:
	s_or_b64 exec, exec, s[16:17]
	v_cmp_gt_u32_e64 s[10:11], 24, v4
	s_and_saveexec_b64 s[16:17], s[10:11]
	s_cbranch_execnz .LBB22_1164
.LBB22_360:
	s_or_b64 exec, exec, s[16:17]
	v_cmp_gt_u32_e64 s[10:11], 16, v4
	s_and_saveexec_b64 s[16:17], s[10:11]
	s_cbranch_execnz .LBB22_1165
.LBB22_361:
	s_or_b64 exec, exec, s[16:17]
	v_cmp_gt_u32_e64 s[10:11], 8, v4
	s_and_saveexec_b64 s[16:17], s[10:11]
	s_cbranch_execz .LBB22_363
.LBB22_362:
	v_lshlrev_b32_e32 v26, 2, v0
	v_mov_b32_e32 v27, 0
	ds_read_b32 v26, v26 offset:5984
	ds_read_b32 v27, v27 offset:4188
	s_waitcnt lgkmcnt(0)
	v_fmac_f32_e32 v25, v26, v27
.LBB22_363:
	s_or_b64 exec, exec, s[16:17]
	v_xor_b32_e32 v25, 0x80000000, v25
.LBB22_364:
	s_or_b64 exec, exec, s[12:13]
	s_and_saveexec_b64 s[10:11], s[44:45]
	s_cbranch_execz .LBB22_366
; %bb.365:
	v_mov_b32_e32 v26, 0
	ds_read_b32 v26, v26 offset:6240
	s_waitcnt lgkmcnt(0)
	v_mul_f32_e32 v25, v25, v26
	ds_write_b32 v17, v25
.LBB22_366:
	s_or_b64 exec, exec, s[10:11]
	s_waitcnt lgkmcnt(0)
	s_barrier
	s_and_saveexec_b64 s[10:11], s[46:47]
	s_cbranch_execz .LBB22_368
; %bb.367:
	ds_read_b32 v26, v16 offset:6240
	ds_read_b32 v27, v17
	s_waitcnt lgkmcnt(0)
	v_fmac_f32_e32 v25, v26, v27
.LBB22_368:
	s_or_b64 exec, exec, s[10:11]
	s_barrier
	s_and_saveexec_b64 s[10:11], s[48:49]
	s_cbranch_execz .LBB22_370
; %bb.369:
	v_mov_b32_e32 v26, 0
	ds_read_b32 v26, v26 offset:6500
	s_waitcnt lgkmcnt(0)
	v_mul_f32_e32 v25, v25, v26
	ds_write_b32 v17, v25
.LBB22_370:
	s_or_b64 exec, exec, s[10:11]
	s_waitcnt lgkmcnt(0)
	s_barrier
	s_and_saveexec_b64 s[10:11], s[50:51]
	s_cbranch_execz .LBB22_372
; %bb.371:
	ds_read_b32 v26, v16 offset:6496
	ds_read_b32 v27, v17
	s_waitcnt lgkmcnt(0)
	v_fmac_f32_e32 v25, v26, v27
.LBB22_372:
	s_or_b64 exec, exec, s[10:11]
	s_barrier
	;; [unrolled: 22-line block ×6, first 2 shown]
	s_and_saveexec_b64 s[10:11], s[70:71]
	s_cbranch_execz .LBB22_390
; %bb.389:
	v_mov_b32_e32 v26, 0
	ds_read_b32 v26, v26 offset:7800
	s_waitcnt lgkmcnt(0)
	v_mul_f32_e32 v25, v25, v26
	ds_write_b32 v17, v25
.LBB22_390:
	s_or_b64 exec, exec, s[10:11]
	s_waitcnt lgkmcnt(0)
	s_barrier
	s_and_saveexec_b64 s[10:11], s[52:53]
	s_cbranch_execz .LBB22_392
; %bb.391:
	v_mov_b32_e32 v26, 0
	ds_read_b32 v26, v26 offset:7804
	ds_read_b32 v27, v17
	s_waitcnt lgkmcnt(0)
	v_fmac_f32_e32 v25, v26, v27
.LBB22_392:
	s_or_b64 exec, exec, s[10:11]
	s_barrier
	s_and_saveexec_b64 s[10:11], s[52:53]
	s_cbranch_execz .LBB22_394
; %bb.393:
	v_mov_b32_e32 v26, 0
	ds_read_b32 v26, v26 offset:8060
	s_waitcnt lgkmcnt(0)
	v_mul_f32_e32 v25, v25, v26
	ds_write_b32 v17, v25
.LBB22_394:
	s_or_b64 exec, exec, s[10:11]
	s_waitcnt lgkmcnt(0)
	s_barrier
	s_barrier
	s_and_saveexec_b64 s[10:11], s[14:15]
; %bb.395:
	v_xor_b32_e32 v25, 0x80000000, v25
	ds_write_b32 v15, v25 offset:4192
; %bb.396:
	s_or_b64 exec, exec, s[10:11]
	s_waitcnt lgkmcnt(0)
	s_barrier
	s_barrier
	s_and_saveexec_b64 s[10:11], vcc
	s_cbranch_execz .LBB22_398
; %bb.397:
	v_mov_b32_e32 v27, 0
	ds_read_b64 v[25:26], v27 offset:6240
	ds_read_b32 v28, v27 offset:6500
	s_waitcnt lgkmcnt(0)
	v_mul_f32_e32 v25, v25, v28
	v_mul_f32_e32 v25, v26, v25
	ds_write_b32 v27, v25 offset:6244
.LBB22_398:
	s_or_b64 exec, exec, s[10:11]
	v_mov_b32_e32 v25, 0
	s_waitcnt lgkmcnt(0)
	s_barrier
	s_and_saveexec_b64 s[12:13], s[0:1]
	s_cbranch_execz .LBB22_402
; %bb.399:
	v_mul_u32_u24_e32 v25, 0x104, v5
	ds_read_b32 v27, v1 offset:6248
	ds_read_b32 v25, v25 offset:6240
	v_mov_b32_e32 v26, 0
	v_cmp_gt_u32_e64 s[10:11], 2, v4
	s_waitcnt lgkmcnt(0)
	v_fma_f32 v25, v27, v25, 0
	s_and_saveexec_b64 s[16:17], s[10:11]
	s_cbranch_execz .LBB22_401
; %bb.400:
	v_lshlrev_b32_e32 v27, 2, v0
	ds_read_b32 v27, v27 offset:6504
	ds_read_b32 v26, v26 offset:6244
	s_waitcnt lgkmcnt(0)
	v_fmac_f32_e32 v25, v27, v26
.LBB22_401:
	s_or_b64 exec, exec, s[16:17]
	v_xor_b32_e32 v25, 0x80000000, v25
.LBB22_402:
	s_or_b64 exec, exec, s[12:13]
	s_and_saveexec_b64 s[10:11], s[28:29]
	s_cbranch_execz .LBB22_404
; %bb.403:
	v_mov_b32_e32 v26, 0
	ds_read_b32 v26, v26 offset:6760
	s_waitcnt lgkmcnt(0)
	v_mul_f32_e32 v25, v25, v26
	ds_write_b32 v3, v25
.LBB22_404:
	s_or_b64 exec, exec, s[10:11]
	s_waitcnt lgkmcnt(0)
	s_barrier
	s_and_saveexec_b64 s[10:11], s[26:27]
	s_cbranch_execz .LBB22_406
; %bb.405:
	v_mov_b32_e32 v26, 0
	ds_read_b32 v26, v26 offset:6764
	ds_read_b32 v27, v3
	s_waitcnt lgkmcnt(0)
	v_fmac_f32_e32 v25, v26, v27
.LBB22_406:
	s_or_b64 exec, exec, s[10:11]
	s_barrier
	s_and_saveexec_b64 s[10:11], s[26:27]
	s_cbranch_execz .LBB22_408
; %bb.407:
	v_mov_b32_e32 v26, 0
	ds_read_b32 v26, v26 offset:7020
	s_waitcnt lgkmcnt(0)
	v_mul_f32_e32 v25, v25, v26
	ds_write_b32 v3, v25
.LBB22_408:
	s_or_b64 exec, exec, s[10:11]
	s_waitcnt lgkmcnt(0)
	s_barrier
	s_barrier
	s_and_saveexec_b64 s[10:11], s[0:1]
; %bb.409:
	v_xor_b32_e32 v25, 0x80000000, v25
	ds_write_b32 v1, v25 offset:6248
; %bb.410:
	s_or_b64 exec, exec, s[10:11]
	s_waitcnt lgkmcnt(0)
	s_barrier
	s_barrier
	s_and_saveexec_b64 s[10:11], vcc
	s_cbranch_execz .LBB22_412
; %bb.411:
	v_mov_b32_e32 v27, 0
	ds_read_b64 v[25:26], v27 offset:6760
	ds_read_b32 v28, v27 offset:7020
	s_waitcnt lgkmcnt(0)
	v_mul_f32_e32 v25, v25, v28
	v_mul_f32_e32 v25, v26, v25
	ds_write_b32 v27, v25 offset:6764
.LBB22_412:
	s_or_b64 exec, exec, s[10:11]
	v_mov_b32_e32 v25, 0
	s_waitcnt lgkmcnt(0)
	s_barrier
	s_and_saveexec_b64 s[12:13], s[2:3]
	s_cbranch_execz .LBB22_418
; %bb.413:
	v_mul_u32_u24_e32 v26, 0x104, v14
	ds_read_b32 v25, v6 offset:6256
	ds_read_b32 v27, v26 offset:6240
	v_cmp_gt_u32_e64 s[10:11], 12, v4
	s_waitcnt lgkmcnt(0)
	v_fma_f32 v25, v25, v27, 0
	s_and_saveexec_b64 s[16:17], s[10:11]
	s_cbranch_execnz .LBB22_1166
; %bb.414:
	s_or_b64 exec, exec, s[16:17]
	v_cmp_gt_u32_e64 s[10:11], 8, v4
	s_and_saveexec_b64 s[16:17], s[10:11]
	s_cbranch_execnz .LBB22_1167
.LBB22_415:
	s_or_b64 exec, exec, s[16:17]
	v_cmp_gt_u32_e64 s[10:11], 4, v4
	s_and_saveexec_b64 s[16:17], s[10:11]
	s_cbranch_execz .LBB22_417
.LBB22_416:
	v_lshlrev_b32_e32 v26, 2, v0
	v_mov_b32_e32 v27, 0
	ds_read_b32 v26, v26 offset:7024
	ds_read_b32 v27, v27 offset:6252
	s_waitcnt lgkmcnt(0)
	v_fmac_f32_e32 v25, v26, v27
.LBB22_417:
	s_or_b64 exec, exec, s[16:17]
	v_xor_b32_e32 v25, 0x80000000, v25
.LBB22_418:
	s_or_b64 exec, exec, s[12:13]
	s_and_saveexec_b64 s[10:11], s[34:35]
	s_cbranch_execz .LBB22_420
; %bb.419:
	v_mov_b32_e32 v26, 0
	ds_read_b32 v26, v26 offset:7280
	s_waitcnt lgkmcnt(0)
	v_mul_f32_e32 v25, v25, v26
	ds_write_b32 v12, v25
.LBB22_420:
	s_or_b64 exec, exec, s[10:11]
	s_waitcnt lgkmcnt(0)
	s_barrier
	s_and_saveexec_b64 s[10:11], s[36:37]
	s_cbranch_execz .LBB22_422
; %bb.421:
	ds_read_b32 v26, v11 offset:7280
	ds_read_b32 v27, v12
	s_waitcnt lgkmcnt(0)
	v_fmac_f32_e32 v25, v26, v27
.LBB22_422:
	s_or_b64 exec, exec, s[10:11]
	s_barrier
	s_and_saveexec_b64 s[10:11], s[38:39]
	s_cbranch_execz .LBB22_424
; %bb.423:
	v_mov_b32_e32 v26, 0
	ds_read_b32 v26, v26 offset:7540
	s_waitcnt lgkmcnt(0)
	v_mul_f32_e32 v25, v25, v26
	ds_write_b32 v12, v25
.LBB22_424:
	s_or_b64 exec, exec, s[10:11]
	s_waitcnt lgkmcnt(0)
	s_barrier
	s_and_saveexec_b64 s[10:11], s[40:41]
	s_cbranch_execz .LBB22_426
; %bb.425:
	ds_read_b32 v26, v11 offset:7536
	ds_read_b32 v27, v12
	s_waitcnt lgkmcnt(0)
	v_fmac_f32_e32 v25, v26, v27
.LBB22_426:
	s_or_b64 exec, exec, s[10:11]
	s_barrier
	s_and_saveexec_b64 s[10:11], s[42:43]
	s_cbranch_execz .LBB22_428
; %bb.427:
	v_mov_b32_e32 v26, 0
	ds_read_b32 v26, v26 offset:7800
	s_waitcnt lgkmcnt(0)
	v_mul_f32_e32 v25, v25, v26
	ds_write_b32 v12, v25
.LBB22_428:
	s_or_b64 exec, exec, s[10:11]
	s_waitcnt lgkmcnt(0)
	s_barrier
	s_and_saveexec_b64 s[10:11], s[30:31]
	s_cbranch_execz .LBB22_430
; %bb.429:
	v_mov_b32_e32 v26, 0
	ds_read_b32 v26, v26 offset:7804
	ds_read_b32 v27, v12
	s_waitcnt lgkmcnt(0)
	v_fmac_f32_e32 v25, v26, v27
.LBB22_430:
	s_or_b64 exec, exec, s[10:11]
	s_barrier
	s_and_saveexec_b64 s[10:11], s[30:31]
	s_cbranch_execz .LBB22_432
; %bb.431:
	v_mov_b32_e32 v26, 0
	ds_read_b32 v26, v26 offset:8060
	s_waitcnt lgkmcnt(0)
	v_mul_f32_e32 v25, v25, v26
	ds_write_b32 v12, v25
.LBB22_432:
	s_or_b64 exec, exec, s[10:11]
	s_waitcnt lgkmcnt(0)
	s_barrier
	s_barrier
	s_and_saveexec_b64 s[10:11], s[2:3]
; %bb.433:
	v_xor_b32_e32 v25, 0x80000000, v25
	ds_write_b32 v6, v25 offset:6256
; %bb.434:
	s_or_b64 exec, exec, s[10:11]
	s_waitcnt lgkmcnt(0)
	s_barrier
	s_barrier
	s_and_saveexec_b64 s[10:11], vcc
	s_cbranch_execz .LBB22_436
; %bb.435:
	v_mov_b32_e32 v27, 0
	ds_read_b64 v[25:26], v27 offset:7280
	ds_read_b32 v28, v27 offset:7540
	s_waitcnt lgkmcnt(0)
	v_mul_f32_e32 v25, v25, v28
	v_mul_f32_e32 v25, v26, v25
	ds_write_b32 v27, v25 offset:7284
.LBB22_436:
	s_or_b64 exec, exec, s[10:11]
	v_mov_b32_e32 v25, 0
	s_waitcnt lgkmcnt(0)
	s_barrier
	s_and_saveexec_b64 s[12:13], s[0:1]
	s_cbranch_execz .LBB22_440
; %bb.437:
	v_mul_u32_u24_e32 v25, 0x104, v5
	ds_read_b32 v27, v1 offset:7288
	ds_read_b32 v25, v25 offset:7280
	v_mov_b32_e32 v26, 0
	v_cmp_gt_u32_e64 s[10:11], 2, v4
	s_waitcnt lgkmcnt(0)
	v_fma_f32 v25, v27, v25, 0
	s_and_saveexec_b64 s[16:17], s[10:11]
	s_cbranch_execz .LBB22_439
; %bb.438:
	v_lshlrev_b32_e32 v27, 2, v0
	ds_read_b32 v27, v27 offset:7544
	ds_read_b32 v26, v26 offset:7284
	s_waitcnt lgkmcnt(0)
	v_fmac_f32_e32 v25, v27, v26
.LBB22_439:
	s_or_b64 exec, exec, s[16:17]
	v_xor_b32_e32 v25, 0x80000000, v25
.LBB22_440:
	s_or_b64 exec, exec, s[12:13]
	s_and_saveexec_b64 s[10:11], s[28:29]
	s_cbranch_execz .LBB22_442
; %bb.441:
	v_mov_b32_e32 v26, 0
	ds_read_b32 v26, v26 offset:7800
	s_waitcnt lgkmcnt(0)
	v_mul_f32_e32 v25, v25, v26
	ds_write_b32 v3, v25
.LBB22_442:
	s_or_b64 exec, exec, s[10:11]
	s_waitcnt lgkmcnt(0)
	s_barrier
	s_and_saveexec_b64 s[10:11], s[26:27]
	s_cbranch_execz .LBB22_444
; %bb.443:
	v_mov_b32_e32 v26, 0
	ds_read_b32 v26, v26 offset:7804
	ds_read_b32 v27, v3
	s_waitcnt lgkmcnt(0)
	v_fmac_f32_e32 v25, v26, v27
.LBB22_444:
	s_or_b64 exec, exec, s[10:11]
	s_barrier
	s_and_saveexec_b64 s[10:11], s[26:27]
	s_cbranch_execz .LBB22_446
; %bb.445:
	v_mov_b32_e32 v26, 0
	ds_read_b32 v26, v26 offset:8060
	s_waitcnt lgkmcnt(0)
	v_mul_f32_e32 v25, v25, v26
	ds_write_b32 v3, v25
.LBB22_446:
	s_or_b64 exec, exec, s[10:11]
	s_waitcnt lgkmcnt(0)
	s_barrier
	s_barrier
	s_and_saveexec_b64 s[10:11], s[0:1]
; %bb.447:
	v_xor_b32_e32 v25, 0x80000000, v25
	ds_write_b32 v1, v25 offset:7288
; %bb.448:
	s_or_b64 exec, exec, s[10:11]
	s_waitcnt lgkmcnt(0)
	s_barrier
	s_barrier
	s_and_saveexec_b64 s[10:11], vcc
	s_cbranch_execz .LBB22_450
; %bb.449:
	v_mov_b32_e32 v27, 0
	ds_read_b64 v[25:26], v27 offset:7800
	ds_read_b32 v28, v27 offset:8060
	s_waitcnt lgkmcnt(0)
	v_mul_f32_e32 v25, v25, v28
	v_mul_f32_e32 v25, v26, v25
	ds_write_b32 v27, v25 offset:7804
.LBB22_450:
	s_or_b64 exec, exec, s[10:11]
	v_and_b32_e32 v26, 31, v0
	s_movk_i32 s10, 0x3ff
	v_lshrrev_b32_e32 v29, 5, v4
	v_cmp_lt_u32_e64 s[12:13], s10, v4
	s_movk_i32 s10, 0x400
	v_lshlrev_b32_e32 v27, 2, v26
	v_cmp_gt_u32_e64 s[10:11], s10, v4
	v_lshl_or_b32 v25, v29, 8, v27
	v_mov_b32_e32 v28, 0
	s_waitcnt lgkmcnt(0)
	s_barrier
	s_and_saveexec_b64 s[84:85], s[10:11]
	s_cbranch_execz .LBB22_512
; %bb.451:
	v_mul_u32_u24_e32 v30, 0x104, v29
	ds_read_b32 v28, v25 offset:128
	ds_read_b32 v31, v30
	s_movk_i32 s16, 0x3e0
	v_cmp_gt_u32_e64 s[16:17], s16, v4
	s_waitcnt lgkmcnt(0)
	v_fma_f32 v28, v28, v31, 0
	s_and_saveexec_b64 s[86:87], s[16:17]
	s_cbranch_execz .LBB22_453
; %bb.452:
	ds_read_b32 v31, v25 offset:384
	ds_read_b32 v32, v30 offset:4
	s_waitcnt lgkmcnt(0)
	v_fmac_f32_e32 v28, v31, v32
.LBB22_453:
	s_or_b64 exec, exec, s[86:87]
	s_movk_i32 s16, 0x3c0
	v_cmp_gt_u32_e64 s[16:17], s16, v4
	s_and_saveexec_b64 s[86:87], s[16:17]
	s_cbranch_execz .LBB22_455
; %bb.454:
	ds_read_b32 v31, v25 offset:640
	ds_read_b32 v32, v30 offset:8
	s_waitcnt lgkmcnt(0)
	v_fmac_f32_e32 v28, v31, v32
.LBB22_455:
	s_or_b64 exec, exec, s[86:87]
	s_movk_i32 s16, 0x3a0
	v_cmp_gt_u32_e64 s[16:17], s16, v4
	;; [unrolled: 11-line block ×28, first 2 shown]
	s_and_saveexec_b64 s[86:87], s[16:17]
	s_cbranch_execnz .LBB22_1168
; %bb.508:
	s_or_b64 exec, exec, s[86:87]
	v_cmp_gt_u32_e64 s[16:17], 64, v4
	s_and_saveexec_b64 s[86:87], s[16:17]
	s_cbranch_execnz .LBB22_1169
.LBB22_509:
	s_or_b64 exec, exec, s[86:87]
	v_cmp_gt_u32_e64 s[16:17], 32, v4
	s_and_saveexec_b64 s[86:87], s[16:17]
	s_cbranch_execz .LBB22_511
.LBB22_510:
	v_lshlrev_b32_e32 v30, 2, v0
	v_mov_b32_e32 v31, 0
	ds_read_b32 v30, v30 offset:8064
	ds_read_b32 v31, v31 offset:124
	s_waitcnt lgkmcnt(0)
	v_fmac_f32_e32 v28, v30, v31
.LBB22_511:
	s_or_b64 exec, exec, s[86:87]
	v_xor_b32_e32 v28, 0x80000000, v28
.LBB22_512:
	s_or_b64 exec, exec, s[84:85]
	v_mov_b32_e32 v30, 0x4000
	v_cmp_eq_u32_e64 s[16:17], 0, v26
	s_xor_b64 s[84:85], s[12:13], -1
	v_lshl_or_b32 v29, v29, 2, v30
	s_and_b64 s[16:17], s[16:17], s[84:85]
	s_and_saveexec_b64 s[12:13], s[16:17]
	s_cbranch_execz .LBB22_514
; %bb.513:
	v_mov_b32_e32 v30, 0
	ds_read_b32 v30, v30 offset:8320
	s_waitcnt lgkmcnt(0)
	v_mul_f32_e32 v28, v28, v30
	ds_write_b32 v29, v28
.LBB22_514:
	s_or_b64 exec, exec, s[12:13]
	v_cmp_ne_u32_e64 s[12:13], 0, v26
	s_and_b64 s[16:17], s[12:13], s[84:85]
	s_waitcnt lgkmcnt(0)
	s_barrier
	s_and_saveexec_b64 s[12:13], s[16:17]
	s_cbranch_execz .LBB22_516
; %bb.515:
	ds_read_b32 v30, v27 offset:8320
	ds_read_b32 v31, v29
	s_waitcnt lgkmcnt(0)
	v_fmac_f32_e32 v28, v30, v31
.LBB22_516:
	s_or_b64 exec, exec, s[12:13]
	v_cmp_eq_u32_e64 s[12:13], 1, v26
	s_and_b64 s[16:17], s[12:13], s[84:85]
	s_barrier
	s_and_saveexec_b64 s[12:13], s[16:17]
	s_cbranch_execz .LBB22_518
; %bb.517:
	v_mov_b32_e32 v30, 0
	ds_read_b32 v30, v30 offset:8580
	s_waitcnt lgkmcnt(0)
	v_mul_f32_e32 v28, v28, v30
	ds_write_b32 v29, v28
.LBB22_518:
	s_or_b64 exec, exec, s[12:13]
	v_cmp_lt_u32_e64 s[12:13], 1, v26
	s_and_b64 s[16:17], s[12:13], s[84:85]
	s_waitcnt lgkmcnt(0)
	s_barrier
	s_and_saveexec_b64 s[12:13], s[16:17]
	s_cbranch_execz .LBB22_520
; %bb.519:
	ds_read_b32 v30, v27 offset:8576
	ds_read_b32 v31, v29
	s_waitcnt lgkmcnt(0)
	v_fmac_f32_e32 v28, v30, v31
.LBB22_520:
	s_or_b64 exec, exec, s[12:13]
	v_cmp_eq_u32_e64 s[12:13], 2, v26
	s_and_b64 s[16:17], s[12:13], s[84:85]
	s_barrier
	s_and_saveexec_b64 s[12:13], s[16:17]
	s_cbranch_execz .LBB22_522
; %bb.521:
	v_mov_b32_e32 v30, 0
	ds_read_b32 v30, v30 offset:8840
	s_waitcnt lgkmcnt(0)
	v_mul_f32_e32 v28, v28, v30
	ds_write_b32 v29, v28
.LBB22_522:
	s_or_b64 exec, exec, s[12:13]
	v_cmp_lt_u32_e64 s[12:13], 2, v26
	;; [unrolled: 26-line block ×29, first 2 shown]
	s_and_b64 s[16:17], s[12:13], s[84:85]
	s_waitcnt lgkmcnt(0)
	s_barrier
	s_and_saveexec_b64 s[12:13], s[16:17]
	s_cbranch_execz .LBB22_632
; %bb.631:
	ds_read_b32 v27, v27 offset:15744
	ds_read_b32 v30, v29
	s_waitcnt lgkmcnt(0)
	v_fmac_f32_e32 v28, v27, v30
.LBB22_632:
	s_or_b64 exec, exec, s[12:13]
	v_cmp_eq_u32_e64 s[12:13], 30, v26
	s_and_b64 s[16:17], s[12:13], s[84:85]
	s_barrier
	s_and_saveexec_b64 s[12:13], s[16:17]
	s_cbranch_execz .LBB22_634
; %bb.633:
	v_mov_b32_e32 v27, 0
	ds_read_b32 v27, v27 offset:16120
	s_waitcnt lgkmcnt(0)
	v_mul_f32_e32 v28, v28, v27
	ds_write_b32 v29, v28
.LBB22_634:
	s_or_b64 exec, exec, s[12:13]
	v_cmp_eq_u32_e64 s[12:13], 31, v26
	s_and_b64 s[12:13], s[12:13], s[84:85]
	s_waitcnt lgkmcnt(0)
	s_barrier
	s_and_saveexec_b64 s[16:17], s[12:13]
	s_cbranch_execz .LBB22_636
; %bb.635:
	v_mov_b32_e32 v26, 0
	ds_read_b32 v26, v26 offset:16124
	ds_read_b32 v27, v29
	s_waitcnt lgkmcnt(0)
	v_fmac_f32_e32 v28, v26, v27
.LBB22_636:
	s_or_b64 exec, exec, s[16:17]
	s_barrier
	s_and_saveexec_b64 s[16:17], s[12:13]
	s_cbranch_execz .LBB22_638
; %bb.637:
	v_mov_b32_e32 v26, 0
	ds_read_b32 v26, v26 offset:16380
	s_waitcnt lgkmcnt(0)
	v_mul_f32_e32 v28, v28, v26
	ds_write_b32 v29, v28
.LBB22_638:
	s_or_b64 exec, exec, s[16:17]
	s_waitcnt lgkmcnt(0)
	s_barrier
	s_barrier
	s_and_saveexec_b64 s[12:13], s[10:11]
; %bb.639:
	v_xor_b32_e32 v26, 0x80000000, v28
	ds_write_b32 v25, v26 offset:128
; %bb.640:
	s_or_b64 exec, exec, s[12:13]
	s_waitcnt lgkmcnt(0)
	s_barrier
	s_barrier
	s_and_saveexec_b64 s[10:11], vcc
	s_cbranch_execz .LBB22_642
; %bb.641:
	v_mov_b32_e32 v27, 0
	ds_read_b64 v[25:26], v27 offset:8320
	ds_read_b32 v28, v27 offset:8580
	s_waitcnt lgkmcnt(0)
	v_mul_f32_e32 v25, v25, v28
	v_mul_f32_e32 v25, v26, v25
	ds_write_b32 v27, v25 offset:8324
.LBB22_642:
	s_or_b64 exec, exec, s[10:11]
	v_mov_b32_e32 v25, 0
	s_waitcnt lgkmcnt(0)
	s_barrier
	s_and_saveexec_b64 s[12:13], s[0:1]
	s_cbranch_execz .LBB22_646
; %bb.643:
	v_mul_u32_u24_e32 v25, 0x104, v5
	ds_read_b32 v27, v1 offset:8328
	ds_read_b32 v25, v25 offset:8320
	v_mov_b32_e32 v26, 0
	v_cmp_gt_u32_e64 s[10:11], 2, v4
	s_waitcnt lgkmcnt(0)
	v_fma_f32 v25, v27, v25, 0
	s_and_saveexec_b64 s[16:17], s[10:11]
	s_cbranch_execz .LBB22_645
; %bb.644:
	v_lshlrev_b32_e32 v27, 2, v0
	ds_read_b32 v27, v27 offset:8584
	ds_read_b32 v26, v26 offset:8324
	s_waitcnt lgkmcnt(0)
	v_fmac_f32_e32 v25, v27, v26
.LBB22_645:
	s_or_b64 exec, exec, s[16:17]
	v_xor_b32_e32 v25, 0x80000000, v25
.LBB22_646:
	s_or_b64 exec, exec, s[12:13]
	s_and_saveexec_b64 s[10:11], s[28:29]
	s_cbranch_execz .LBB22_648
; %bb.647:
	v_mov_b32_e32 v26, 0
	ds_read_b32 v26, v26 offset:8840
	s_waitcnt lgkmcnt(0)
	v_mul_f32_e32 v25, v25, v26
	ds_write_b32 v3, v25
.LBB22_648:
	s_or_b64 exec, exec, s[10:11]
	s_waitcnt lgkmcnt(0)
	s_barrier
	s_and_saveexec_b64 s[10:11], s[26:27]
	s_cbranch_execz .LBB22_650
; %bb.649:
	v_mov_b32_e32 v26, 0
	ds_read_b32 v26, v26 offset:8844
	ds_read_b32 v27, v3
	s_waitcnt lgkmcnt(0)
	v_fmac_f32_e32 v25, v26, v27
.LBB22_650:
	s_or_b64 exec, exec, s[10:11]
	s_barrier
	s_and_saveexec_b64 s[10:11], s[26:27]
	s_cbranch_execz .LBB22_652
; %bb.651:
	v_mov_b32_e32 v26, 0
	ds_read_b32 v26, v26 offset:9100
	s_waitcnt lgkmcnt(0)
	v_mul_f32_e32 v25, v25, v26
	ds_write_b32 v3, v25
.LBB22_652:
	s_or_b64 exec, exec, s[10:11]
	s_waitcnt lgkmcnt(0)
	s_barrier
	s_barrier
	s_and_saveexec_b64 s[10:11], s[0:1]
; %bb.653:
	v_xor_b32_e32 v25, 0x80000000, v25
	ds_write_b32 v1, v25 offset:8328
; %bb.654:
	s_or_b64 exec, exec, s[10:11]
	s_waitcnt lgkmcnt(0)
	s_barrier
	s_barrier
	s_and_saveexec_b64 s[10:11], vcc
	s_cbranch_execz .LBB22_656
; %bb.655:
	v_mov_b32_e32 v27, 0
	ds_read_b64 v[25:26], v27 offset:8840
	ds_read_b32 v28, v27 offset:9100
	s_waitcnt lgkmcnt(0)
	v_mul_f32_e32 v25, v25, v28
	v_mul_f32_e32 v25, v26, v25
	ds_write_b32 v27, v25 offset:8844
.LBB22_656:
	s_or_b64 exec, exec, s[10:11]
	v_mov_b32_e32 v25, 0
	s_waitcnt lgkmcnt(0)
	s_barrier
	s_and_saveexec_b64 s[12:13], s[2:3]
	s_cbranch_execz .LBB22_662
; %bb.657:
	v_mul_u32_u24_e32 v26, 0x104, v14
	ds_read_b32 v25, v6 offset:8336
	ds_read_b32 v27, v26 offset:8320
	v_cmp_gt_u32_e64 s[10:11], 12, v4
	s_waitcnt lgkmcnt(0)
	v_fma_f32 v25, v25, v27, 0
	s_and_saveexec_b64 s[16:17], s[10:11]
	s_cbranch_execnz .LBB22_1170
; %bb.658:
	s_or_b64 exec, exec, s[16:17]
	v_cmp_gt_u32_e64 s[10:11], 8, v4
	s_and_saveexec_b64 s[16:17], s[10:11]
	s_cbranch_execnz .LBB22_1171
.LBB22_659:
	s_or_b64 exec, exec, s[16:17]
	v_cmp_gt_u32_e64 s[10:11], 4, v4
	s_and_saveexec_b64 s[16:17], s[10:11]
	s_cbranch_execz .LBB22_661
.LBB22_660:
	v_lshlrev_b32_e32 v26, 2, v0
	v_mov_b32_e32 v27, 0
	ds_read_b32 v26, v26 offset:9104
	ds_read_b32 v27, v27 offset:8332
	s_waitcnt lgkmcnt(0)
	v_fmac_f32_e32 v25, v26, v27
.LBB22_661:
	s_or_b64 exec, exec, s[16:17]
	v_xor_b32_e32 v25, 0x80000000, v25
.LBB22_662:
	s_or_b64 exec, exec, s[12:13]
	s_and_saveexec_b64 s[10:11], s[34:35]
	s_cbranch_execz .LBB22_664
; %bb.663:
	v_mov_b32_e32 v26, 0
	ds_read_b32 v26, v26 offset:9360
	s_waitcnt lgkmcnt(0)
	v_mul_f32_e32 v25, v25, v26
	ds_write_b32 v12, v25
.LBB22_664:
	s_or_b64 exec, exec, s[10:11]
	s_waitcnt lgkmcnt(0)
	s_barrier
	s_and_saveexec_b64 s[10:11], s[36:37]
	s_cbranch_execz .LBB22_666
; %bb.665:
	ds_read_b32 v26, v11 offset:9360
	ds_read_b32 v27, v12
	s_waitcnt lgkmcnt(0)
	v_fmac_f32_e32 v25, v26, v27
.LBB22_666:
	s_or_b64 exec, exec, s[10:11]
	s_barrier
	s_and_saveexec_b64 s[10:11], s[38:39]
	s_cbranch_execz .LBB22_668
; %bb.667:
	v_mov_b32_e32 v26, 0
	ds_read_b32 v26, v26 offset:9620
	s_waitcnt lgkmcnt(0)
	v_mul_f32_e32 v25, v25, v26
	ds_write_b32 v12, v25
.LBB22_668:
	s_or_b64 exec, exec, s[10:11]
	s_waitcnt lgkmcnt(0)
	s_barrier
	s_and_saveexec_b64 s[10:11], s[40:41]
	s_cbranch_execz .LBB22_670
; %bb.669:
	ds_read_b32 v26, v11 offset:9616
	ds_read_b32 v27, v12
	s_waitcnt lgkmcnt(0)
	v_fmac_f32_e32 v25, v26, v27
.LBB22_670:
	s_or_b64 exec, exec, s[10:11]
	s_barrier
	s_and_saveexec_b64 s[10:11], s[42:43]
	s_cbranch_execz .LBB22_672
; %bb.671:
	v_mov_b32_e32 v26, 0
	ds_read_b32 v26, v26 offset:9880
	s_waitcnt lgkmcnt(0)
	v_mul_f32_e32 v25, v25, v26
	ds_write_b32 v12, v25
.LBB22_672:
	s_or_b64 exec, exec, s[10:11]
	s_waitcnt lgkmcnt(0)
	s_barrier
	s_and_saveexec_b64 s[10:11], s[30:31]
	s_cbranch_execz .LBB22_674
; %bb.673:
	v_mov_b32_e32 v26, 0
	ds_read_b32 v26, v26 offset:9884
	ds_read_b32 v27, v12
	s_waitcnt lgkmcnt(0)
	v_fmac_f32_e32 v25, v26, v27
.LBB22_674:
	s_or_b64 exec, exec, s[10:11]
	s_barrier
	s_and_saveexec_b64 s[10:11], s[30:31]
	s_cbranch_execz .LBB22_676
; %bb.675:
	v_mov_b32_e32 v26, 0
	ds_read_b32 v26, v26 offset:10140
	s_waitcnt lgkmcnt(0)
	v_mul_f32_e32 v25, v25, v26
	ds_write_b32 v12, v25
.LBB22_676:
	s_or_b64 exec, exec, s[10:11]
	s_waitcnt lgkmcnt(0)
	s_barrier
	s_barrier
	s_and_saveexec_b64 s[10:11], s[2:3]
; %bb.677:
	v_xor_b32_e32 v25, 0x80000000, v25
	ds_write_b32 v6, v25 offset:8336
; %bb.678:
	s_or_b64 exec, exec, s[10:11]
	s_waitcnt lgkmcnt(0)
	s_barrier
	s_barrier
	s_and_saveexec_b64 s[10:11], vcc
	s_cbranch_execz .LBB22_680
; %bb.679:
	v_mov_b32_e32 v27, 0
	ds_read_b64 v[25:26], v27 offset:9360
	ds_read_b32 v28, v27 offset:9620
	s_waitcnt lgkmcnt(0)
	v_mul_f32_e32 v25, v25, v28
	v_mul_f32_e32 v25, v26, v25
	ds_write_b32 v27, v25 offset:9364
.LBB22_680:
	s_or_b64 exec, exec, s[10:11]
	v_mov_b32_e32 v25, 0
	s_waitcnt lgkmcnt(0)
	s_barrier
	s_and_saveexec_b64 s[12:13], s[0:1]
	s_cbranch_execz .LBB22_684
; %bb.681:
	v_mul_u32_u24_e32 v25, 0x104, v5
	ds_read_b32 v27, v1 offset:9368
	ds_read_b32 v25, v25 offset:9360
	v_mov_b32_e32 v26, 0
	v_cmp_gt_u32_e64 s[10:11], 2, v4
	s_waitcnt lgkmcnt(0)
	v_fma_f32 v25, v27, v25, 0
	s_and_saveexec_b64 s[16:17], s[10:11]
	s_cbranch_execz .LBB22_683
; %bb.682:
	v_lshlrev_b32_e32 v27, 2, v0
	ds_read_b32 v27, v27 offset:9624
	ds_read_b32 v26, v26 offset:9364
	s_waitcnt lgkmcnt(0)
	v_fmac_f32_e32 v25, v27, v26
.LBB22_683:
	s_or_b64 exec, exec, s[16:17]
	v_xor_b32_e32 v25, 0x80000000, v25
.LBB22_684:
	s_or_b64 exec, exec, s[12:13]
	s_and_saveexec_b64 s[10:11], s[28:29]
	s_cbranch_execz .LBB22_686
; %bb.685:
	v_mov_b32_e32 v26, 0
	ds_read_b32 v26, v26 offset:9880
	s_waitcnt lgkmcnt(0)
	v_mul_f32_e32 v25, v25, v26
	ds_write_b32 v3, v25
.LBB22_686:
	s_or_b64 exec, exec, s[10:11]
	s_waitcnt lgkmcnt(0)
	s_barrier
	s_and_saveexec_b64 s[10:11], s[26:27]
	s_cbranch_execz .LBB22_688
; %bb.687:
	v_mov_b32_e32 v26, 0
	ds_read_b32 v26, v26 offset:9884
	ds_read_b32 v27, v3
	s_waitcnt lgkmcnt(0)
	v_fmac_f32_e32 v25, v26, v27
.LBB22_688:
	s_or_b64 exec, exec, s[10:11]
	s_barrier
	s_and_saveexec_b64 s[10:11], s[26:27]
	s_cbranch_execz .LBB22_690
; %bb.689:
	v_mov_b32_e32 v26, 0
	ds_read_b32 v26, v26 offset:10140
	s_waitcnt lgkmcnt(0)
	v_mul_f32_e32 v25, v25, v26
	ds_write_b32 v3, v25
.LBB22_690:
	s_or_b64 exec, exec, s[10:11]
	s_waitcnt lgkmcnt(0)
	s_barrier
	s_barrier
	s_and_saveexec_b64 s[10:11], s[0:1]
; %bb.691:
	v_xor_b32_e32 v25, 0x80000000, v25
	ds_write_b32 v1, v25 offset:9368
; %bb.692:
	s_or_b64 exec, exec, s[10:11]
	s_waitcnt lgkmcnt(0)
	s_barrier
	s_barrier
	s_and_saveexec_b64 s[10:11], vcc
	s_cbranch_execz .LBB22_694
; %bb.693:
	v_mov_b32_e32 v27, 0
	ds_read_b64 v[25:26], v27 offset:9880
	ds_read_b32 v28, v27 offset:10140
	s_waitcnt lgkmcnt(0)
	v_mul_f32_e32 v25, v25, v28
	v_mul_f32_e32 v25, v26, v25
	ds_write_b32 v27, v25 offset:9884
.LBB22_694:
	s_or_b64 exec, exec, s[10:11]
	v_mov_b32_e32 v25, 0
	s_waitcnt lgkmcnt(0)
	s_barrier
	s_and_saveexec_b64 s[12:13], s[14:15]
	s_cbranch_execz .LBB22_704
; %bb.695:
	v_mul_u32_u24_e32 v26, 0x104, v19
	ds_read_b32 v25, v15 offset:8352
	ds_read_b32 v27, v26 offset:8320
	v_cmp_gt_u32_e64 s[10:11], 56, v4
	s_waitcnt lgkmcnt(0)
	v_fma_f32 v25, v25, v27, 0
	s_and_saveexec_b64 s[16:17], s[10:11]
	s_cbranch_execnz .LBB22_1172
; %bb.696:
	s_or_b64 exec, exec, s[16:17]
	v_cmp_gt_u32_e64 s[10:11], 48, v4
	s_and_saveexec_b64 s[16:17], s[10:11]
	s_cbranch_execnz .LBB22_1173
.LBB22_697:
	s_or_b64 exec, exec, s[16:17]
	v_cmp_gt_u32_e64 s[10:11], 40, v4
	s_and_saveexec_b64 s[16:17], s[10:11]
	s_cbranch_execnz .LBB22_1174
.LBB22_698:
	s_or_b64 exec, exec, s[16:17]
	v_cmp_gt_u32_e64 s[10:11], 32, v4
	s_and_saveexec_b64 s[16:17], s[10:11]
	s_cbranch_execnz .LBB22_1175
.LBB22_699:
	s_or_b64 exec, exec, s[16:17]
	v_cmp_gt_u32_e64 s[10:11], 24, v4
	s_and_saveexec_b64 s[16:17], s[10:11]
	s_cbranch_execnz .LBB22_1176
.LBB22_700:
	s_or_b64 exec, exec, s[16:17]
	v_cmp_gt_u32_e64 s[10:11], 16, v4
	s_and_saveexec_b64 s[16:17], s[10:11]
	s_cbranch_execnz .LBB22_1177
.LBB22_701:
	s_or_b64 exec, exec, s[16:17]
	v_cmp_gt_u32_e64 s[10:11], 8, v4
	s_and_saveexec_b64 s[16:17], s[10:11]
	s_cbranch_execz .LBB22_703
.LBB22_702:
	v_lshlrev_b32_e32 v26, 2, v0
	v_mov_b32_e32 v27, 0
	ds_read_b32 v26, v26 offset:10144
	ds_read_b32 v27, v27 offset:8348
	s_waitcnt lgkmcnt(0)
	v_fmac_f32_e32 v25, v26, v27
.LBB22_703:
	s_or_b64 exec, exec, s[16:17]
	v_xor_b32_e32 v25, 0x80000000, v25
.LBB22_704:
	s_or_b64 exec, exec, s[12:13]
	s_and_saveexec_b64 s[10:11], s[44:45]
	s_cbranch_execz .LBB22_706
; %bb.705:
	v_mov_b32_e32 v26, 0
	ds_read_b32 v26, v26 offset:10400
	s_waitcnt lgkmcnt(0)
	v_mul_f32_e32 v25, v25, v26
	ds_write_b32 v17, v25
.LBB22_706:
	s_or_b64 exec, exec, s[10:11]
	s_waitcnt lgkmcnt(0)
	s_barrier
	s_and_saveexec_b64 s[10:11], s[46:47]
	s_cbranch_execz .LBB22_708
; %bb.707:
	ds_read_b32 v26, v16 offset:10400
	ds_read_b32 v27, v17
	s_waitcnt lgkmcnt(0)
	v_fmac_f32_e32 v25, v26, v27
.LBB22_708:
	s_or_b64 exec, exec, s[10:11]
	s_barrier
	s_and_saveexec_b64 s[10:11], s[48:49]
	s_cbranch_execz .LBB22_710
; %bb.709:
	v_mov_b32_e32 v26, 0
	ds_read_b32 v26, v26 offset:10660
	s_waitcnt lgkmcnt(0)
	v_mul_f32_e32 v25, v25, v26
	ds_write_b32 v17, v25
.LBB22_710:
	s_or_b64 exec, exec, s[10:11]
	s_waitcnt lgkmcnt(0)
	s_barrier
	s_and_saveexec_b64 s[10:11], s[50:51]
	s_cbranch_execz .LBB22_712
; %bb.711:
	ds_read_b32 v26, v16 offset:10656
	ds_read_b32 v27, v17
	s_waitcnt lgkmcnt(0)
	v_fmac_f32_e32 v25, v26, v27
.LBB22_712:
	s_or_b64 exec, exec, s[10:11]
	s_barrier
	;; [unrolled: 22-line block ×6, first 2 shown]
	s_and_saveexec_b64 s[10:11], s[70:71]
	s_cbranch_execz .LBB22_730
; %bb.729:
	v_mov_b32_e32 v26, 0
	ds_read_b32 v26, v26 offset:11960
	s_waitcnt lgkmcnt(0)
	v_mul_f32_e32 v25, v25, v26
	ds_write_b32 v17, v25
.LBB22_730:
	s_or_b64 exec, exec, s[10:11]
	s_waitcnt lgkmcnt(0)
	s_barrier
	s_and_saveexec_b64 s[10:11], s[52:53]
	s_cbranch_execz .LBB22_732
; %bb.731:
	v_mov_b32_e32 v26, 0
	ds_read_b32 v26, v26 offset:11964
	ds_read_b32 v27, v17
	s_waitcnt lgkmcnt(0)
	v_fmac_f32_e32 v25, v26, v27
.LBB22_732:
	s_or_b64 exec, exec, s[10:11]
	s_barrier
	s_and_saveexec_b64 s[10:11], s[52:53]
	s_cbranch_execz .LBB22_734
; %bb.733:
	v_mov_b32_e32 v26, 0
	ds_read_b32 v26, v26 offset:12220
	s_waitcnt lgkmcnt(0)
	v_mul_f32_e32 v25, v25, v26
	ds_write_b32 v17, v25
.LBB22_734:
	s_or_b64 exec, exec, s[10:11]
	s_waitcnt lgkmcnt(0)
	s_barrier
	s_barrier
	s_and_saveexec_b64 s[10:11], s[14:15]
; %bb.735:
	v_xor_b32_e32 v25, 0x80000000, v25
	ds_write_b32 v15, v25 offset:8352
; %bb.736:
	s_or_b64 exec, exec, s[10:11]
	s_waitcnt lgkmcnt(0)
	s_barrier
	s_barrier
	s_and_saveexec_b64 s[10:11], vcc
	s_cbranch_execz .LBB22_738
; %bb.737:
	v_mov_b32_e32 v27, 0
	ds_read_b64 v[25:26], v27 offset:10400
	ds_read_b32 v28, v27 offset:10660
	s_waitcnt lgkmcnt(0)
	v_mul_f32_e32 v25, v25, v28
	v_mul_f32_e32 v25, v26, v25
	ds_write_b32 v27, v25 offset:10404
.LBB22_738:
	s_or_b64 exec, exec, s[10:11]
	v_mov_b32_e32 v25, 0
	s_waitcnt lgkmcnt(0)
	s_barrier
	s_and_saveexec_b64 s[12:13], s[0:1]
	s_cbranch_execz .LBB22_742
; %bb.739:
	v_mul_u32_u24_e32 v25, 0x104, v5
	ds_read_b32 v27, v1 offset:10408
	ds_read_b32 v25, v25 offset:10400
	v_mov_b32_e32 v26, 0
	v_cmp_gt_u32_e64 s[10:11], 2, v4
	s_waitcnt lgkmcnt(0)
	v_fma_f32 v25, v27, v25, 0
	s_and_saveexec_b64 s[16:17], s[10:11]
	s_cbranch_execz .LBB22_741
; %bb.740:
	v_lshlrev_b32_e32 v27, 2, v0
	ds_read_b32 v27, v27 offset:10664
	ds_read_b32 v26, v26 offset:10404
	s_waitcnt lgkmcnt(0)
	v_fmac_f32_e32 v25, v27, v26
.LBB22_741:
	s_or_b64 exec, exec, s[16:17]
	v_xor_b32_e32 v25, 0x80000000, v25
.LBB22_742:
	s_or_b64 exec, exec, s[12:13]
	s_and_saveexec_b64 s[10:11], s[28:29]
	s_cbranch_execz .LBB22_744
; %bb.743:
	v_mov_b32_e32 v26, 0
	ds_read_b32 v26, v26 offset:10920
	s_waitcnt lgkmcnt(0)
	v_mul_f32_e32 v25, v25, v26
	ds_write_b32 v3, v25
.LBB22_744:
	s_or_b64 exec, exec, s[10:11]
	s_waitcnt lgkmcnt(0)
	s_barrier
	s_and_saveexec_b64 s[10:11], s[26:27]
	s_cbranch_execz .LBB22_746
; %bb.745:
	v_mov_b32_e32 v26, 0
	ds_read_b32 v26, v26 offset:10924
	ds_read_b32 v27, v3
	s_waitcnt lgkmcnt(0)
	v_fmac_f32_e32 v25, v26, v27
.LBB22_746:
	s_or_b64 exec, exec, s[10:11]
	s_barrier
	s_and_saveexec_b64 s[10:11], s[26:27]
	s_cbranch_execz .LBB22_748
; %bb.747:
	v_mov_b32_e32 v26, 0
	ds_read_b32 v26, v26 offset:11180
	s_waitcnt lgkmcnt(0)
	v_mul_f32_e32 v25, v25, v26
	ds_write_b32 v3, v25
.LBB22_748:
	s_or_b64 exec, exec, s[10:11]
	s_waitcnt lgkmcnt(0)
	s_barrier
	s_barrier
	s_and_saveexec_b64 s[10:11], s[0:1]
; %bb.749:
	v_xor_b32_e32 v25, 0x80000000, v25
	ds_write_b32 v1, v25 offset:10408
; %bb.750:
	s_or_b64 exec, exec, s[10:11]
	s_waitcnt lgkmcnt(0)
	s_barrier
	s_barrier
	s_and_saveexec_b64 s[10:11], vcc
	s_cbranch_execz .LBB22_752
; %bb.751:
	v_mov_b32_e32 v27, 0
	ds_read_b64 v[25:26], v27 offset:10920
	ds_read_b32 v28, v27 offset:11180
	s_waitcnt lgkmcnt(0)
	v_mul_f32_e32 v25, v25, v28
	v_mul_f32_e32 v25, v26, v25
	ds_write_b32 v27, v25 offset:10924
.LBB22_752:
	s_or_b64 exec, exec, s[10:11]
	v_mov_b32_e32 v25, 0
	s_waitcnt lgkmcnt(0)
	s_barrier
	s_and_saveexec_b64 s[12:13], s[2:3]
	s_cbranch_execz .LBB22_758
; %bb.753:
	v_mul_u32_u24_e32 v26, 0x104, v14
	ds_read_b32 v25, v6 offset:10416
	ds_read_b32 v27, v26 offset:10400
	v_cmp_gt_u32_e64 s[10:11], 12, v4
	s_waitcnt lgkmcnt(0)
	v_fma_f32 v25, v25, v27, 0
	s_and_saveexec_b64 s[16:17], s[10:11]
	s_cbranch_execnz .LBB22_1178
; %bb.754:
	s_or_b64 exec, exec, s[16:17]
	v_cmp_gt_u32_e64 s[10:11], 8, v4
	s_and_saveexec_b64 s[16:17], s[10:11]
	s_cbranch_execnz .LBB22_1179
.LBB22_755:
	s_or_b64 exec, exec, s[16:17]
	v_cmp_gt_u32_e64 s[10:11], 4, v4
	s_and_saveexec_b64 s[16:17], s[10:11]
	s_cbranch_execz .LBB22_757
.LBB22_756:
	v_lshlrev_b32_e32 v26, 2, v0
	v_mov_b32_e32 v27, 0
	ds_read_b32 v26, v26 offset:11184
	ds_read_b32 v27, v27 offset:10412
	s_waitcnt lgkmcnt(0)
	v_fmac_f32_e32 v25, v26, v27
.LBB22_757:
	s_or_b64 exec, exec, s[16:17]
	v_xor_b32_e32 v25, 0x80000000, v25
.LBB22_758:
	s_or_b64 exec, exec, s[12:13]
	s_and_saveexec_b64 s[10:11], s[34:35]
	s_cbranch_execz .LBB22_760
; %bb.759:
	v_mov_b32_e32 v26, 0
	ds_read_b32 v26, v26 offset:11440
	s_waitcnt lgkmcnt(0)
	v_mul_f32_e32 v25, v25, v26
	ds_write_b32 v12, v25
.LBB22_760:
	s_or_b64 exec, exec, s[10:11]
	s_waitcnt lgkmcnt(0)
	s_barrier
	s_and_saveexec_b64 s[10:11], s[36:37]
	s_cbranch_execz .LBB22_762
; %bb.761:
	ds_read_b32 v26, v11 offset:11440
	ds_read_b32 v27, v12
	s_waitcnt lgkmcnt(0)
	v_fmac_f32_e32 v25, v26, v27
.LBB22_762:
	s_or_b64 exec, exec, s[10:11]
	s_barrier
	s_and_saveexec_b64 s[10:11], s[38:39]
	s_cbranch_execz .LBB22_764
; %bb.763:
	v_mov_b32_e32 v26, 0
	ds_read_b32 v26, v26 offset:11700
	s_waitcnt lgkmcnt(0)
	v_mul_f32_e32 v25, v25, v26
	ds_write_b32 v12, v25
.LBB22_764:
	s_or_b64 exec, exec, s[10:11]
	s_waitcnt lgkmcnt(0)
	s_barrier
	s_and_saveexec_b64 s[10:11], s[40:41]
	s_cbranch_execz .LBB22_766
; %bb.765:
	ds_read_b32 v26, v11 offset:11696
	ds_read_b32 v27, v12
	s_waitcnt lgkmcnt(0)
	v_fmac_f32_e32 v25, v26, v27
.LBB22_766:
	s_or_b64 exec, exec, s[10:11]
	s_barrier
	s_and_saveexec_b64 s[10:11], s[42:43]
	s_cbranch_execz .LBB22_768
; %bb.767:
	v_mov_b32_e32 v26, 0
	ds_read_b32 v26, v26 offset:11960
	s_waitcnt lgkmcnt(0)
	v_mul_f32_e32 v25, v25, v26
	ds_write_b32 v12, v25
.LBB22_768:
	s_or_b64 exec, exec, s[10:11]
	s_waitcnt lgkmcnt(0)
	s_barrier
	s_and_saveexec_b64 s[10:11], s[30:31]
	s_cbranch_execz .LBB22_770
; %bb.769:
	v_mov_b32_e32 v26, 0
	ds_read_b32 v26, v26 offset:11964
	ds_read_b32 v27, v12
	s_waitcnt lgkmcnt(0)
	v_fmac_f32_e32 v25, v26, v27
.LBB22_770:
	s_or_b64 exec, exec, s[10:11]
	s_barrier
	s_and_saveexec_b64 s[10:11], s[30:31]
	s_cbranch_execz .LBB22_772
; %bb.771:
	v_mov_b32_e32 v26, 0
	ds_read_b32 v26, v26 offset:12220
	s_waitcnt lgkmcnt(0)
	v_mul_f32_e32 v25, v25, v26
	ds_write_b32 v12, v25
.LBB22_772:
	s_or_b64 exec, exec, s[10:11]
	s_waitcnt lgkmcnt(0)
	s_barrier
	s_barrier
	s_and_saveexec_b64 s[10:11], s[2:3]
; %bb.773:
	v_xor_b32_e32 v25, 0x80000000, v25
	ds_write_b32 v6, v25 offset:10416
; %bb.774:
	s_or_b64 exec, exec, s[10:11]
	s_waitcnt lgkmcnt(0)
	s_barrier
	s_barrier
	s_and_saveexec_b64 s[10:11], vcc
	s_cbranch_execz .LBB22_776
; %bb.775:
	v_mov_b32_e32 v27, 0
	ds_read_b64 v[25:26], v27 offset:11440
	ds_read_b32 v28, v27 offset:11700
	s_waitcnt lgkmcnt(0)
	v_mul_f32_e32 v25, v25, v28
	v_mul_f32_e32 v25, v26, v25
	ds_write_b32 v27, v25 offset:11444
.LBB22_776:
	s_or_b64 exec, exec, s[10:11]
	v_mov_b32_e32 v25, 0
	s_waitcnt lgkmcnt(0)
	s_barrier
	s_and_saveexec_b64 s[12:13], s[0:1]
	s_cbranch_execz .LBB22_780
; %bb.777:
	v_mul_u32_u24_e32 v25, 0x104, v5
	ds_read_b32 v27, v1 offset:11448
	ds_read_b32 v25, v25 offset:11440
	v_mov_b32_e32 v26, 0
	v_cmp_gt_u32_e64 s[10:11], 2, v4
	s_waitcnt lgkmcnt(0)
	v_fma_f32 v25, v27, v25, 0
	s_and_saveexec_b64 s[16:17], s[10:11]
	s_cbranch_execz .LBB22_779
; %bb.778:
	v_lshlrev_b32_e32 v27, 2, v0
	ds_read_b32 v27, v27 offset:11704
	ds_read_b32 v26, v26 offset:11444
	s_waitcnt lgkmcnt(0)
	v_fmac_f32_e32 v25, v27, v26
.LBB22_779:
	s_or_b64 exec, exec, s[16:17]
	v_xor_b32_e32 v25, 0x80000000, v25
.LBB22_780:
	s_or_b64 exec, exec, s[12:13]
	s_and_saveexec_b64 s[10:11], s[28:29]
	s_cbranch_execz .LBB22_782
; %bb.781:
	v_mov_b32_e32 v26, 0
	ds_read_b32 v26, v26 offset:11960
	s_waitcnt lgkmcnt(0)
	v_mul_f32_e32 v25, v25, v26
	ds_write_b32 v3, v25
.LBB22_782:
	s_or_b64 exec, exec, s[10:11]
	s_waitcnt lgkmcnt(0)
	s_barrier
	s_and_saveexec_b64 s[10:11], s[26:27]
	s_cbranch_execz .LBB22_784
; %bb.783:
	v_mov_b32_e32 v26, 0
	ds_read_b32 v26, v26 offset:11964
	ds_read_b32 v27, v3
	s_waitcnt lgkmcnt(0)
	v_fmac_f32_e32 v25, v26, v27
.LBB22_784:
	s_or_b64 exec, exec, s[10:11]
	s_barrier
	s_and_saveexec_b64 s[10:11], s[26:27]
	s_cbranch_execz .LBB22_786
; %bb.785:
	v_mov_b32_e32 v26, 0
	ds_read_b32 v26, v26 offset:12220
	s_waitcnt lgkmcnt(0)
	v_mul_f32_e32 v25, v25, v26
	ds_write_b32 v3, v25
.LBB22_786:
	s_or_b64 exec, exec, s[10:11]
	s_waitcnt lgkmcnt(0)
	s_barrier
	s_barrier
	s_and_saveexec_b64 s[10:11], s[0:1]
; %bb.787:
	v_xor_b32_e32 v25, 0x80000000, v25
	ds_write_b32 v1, v25 offset:11448
; %bb.788:
	s_or_b64 exec, exec, s[10:11]
	s_waitcnt lgkmcnt(0)
	s_barrier
	s_barrier
	s_and_saveexec_b64 s[10:11], vcc
	s_cbranch_execz .LBB22_790
; %bb.789:
	v_mov_b32_e32 v27, 0
	ds_read_b64 v[25:26], v27 offset:11960
	ds_read_b32 v28, v27 offset:12220
	s_waitcnt lgkmcnt(0)
	v_mul_f32_e32 v25, v25, v28
	v_mul_f32_e32 v25, v26, v25
	ds_write_b32 v27, v25 offset:11964
.LBB22_790:
	s_or_b64 exec, exec, s[10:11]
	v_mov_b32_e32 v25, 0
	s_waitcnt lgkmcnt(0)
	s_barrier
	s_and_saveexec_b64 s[12:13], s[8:9]
	s_cbranch_execz .LBB22_818
; %bb.791:
	v_mul_u32_u24_e32 v26, 0x104, v24
	ds_read_b32 v25, v20 offset:8384
	ds_read_b32 v27, v26 offset:8320
	s_movk_i32 s10, 0xf0
	v_cmp_gt_u32_e64 s[10:11], s10, v4
	s_waitcnt lgkmcnt(0)
	v_fma_f32 v25, v25, v27, 0
	s_and_saveexec_b64 s[16:17], s[10:11]
	s_cbranch_execz .LBB22_793
; %bb.792:
	v_lshlrev_b32_e32 v27, 2, v24
	v_sub_u32_e32 v27, v26, v27
	v_lshl_add_u32 v27, v21, 2, v27
	ds_read_b32 v27, v27 offset:8640
	ds_read_b32 v28, v26 offset:8324
	s_waitcnt lgkmcnt(0)
	v_fmac_f32_e32 v25, v27, v28
.LBB22_793:
	s_or_b64 exec, exec, s[16:17]
	s_movk_i32 s10, 0xe0
	v_cmp_gt_u32_e64 s[10:11], s10, v4
	s_and_saveexec_b64 s[16:17], s[10:11]
	s_cbranch_execz .LBB22_795
; %bb.794:
	v_lshlrev_b32_e32 v27, 2, v24
	v_sub_u32_e32 v27, v26, v27
	v_lshl_add_u32 v27, v21, 2, v27
	ds_read_b32 v27, v27 offset:8896
	ds_read_b32 v28, v26 offset:8328
	s_waitcnt lgkmcnt(0)
	v_fmac_f32_e32 v25, v27, v28
.LBB22_795:
	s_or_b64 exec, exec, s[16:17]
	s_movk_i32 s10, 0xd0
	v_cmp_gt_u32_e64 s[10:11], s10, v4
	s_and_saveexec_b64 s[16:17], s[10:11]
	s_cbranch_execz .LBB22_797
; %bb.796:
	v_lshlrev_b32_e32 v27, 2, v24
	v_sub_u32_e32 v27, v26, v27
	v_lshl_add_u32 v27, v21, 2, v27
	ds_read_b32 v27, v27 offset:9152
	ds_read_b32 v28, v26 offset:8332
	s_waitcnt lgkmcnt(0)
	v_fmac_f32_e32 v25, v27, v28
.LBB22_797:
	s_or_b64 exec, exec, s[16:17]
	s_movk_i32 s10, 0xc0
	v_cmp_gt_u32_e64 s[10:11], s10, v4
	s_and_saveexec_b64 s[16:17], s[10:11]
	s_cbranch_execz .LBB22_799
; %bb.798:
	v_lshlrev_b32_e32 v27, 2, v24
	v_sub_u32_e32 v27, v26, v27
	v_lshl_add_u32 v27, v21, 2, v27
	ds_read_b32 v27, v27 offset:9408
	ds_read_b32 v28, v26 offset:8336
	s_waitcnt lgkmcnt(0)
	v_fmac_f32_e32 v25, v27, v28
.LBB22_799:
	s_or_b64 exec, exec, s[16:17]
	s_movk_i32 s10, 0xb0
	v_cmp_gt_u32_e64 s[10:11], s10, v4
	s_and_saveexec_b64 s[16:17], s[10:11]
	s_cbranch_execz .LBB22_801
; %bb.800:
	v_lshlrev_b32_e32 v27, 2, v24
	v_sub_u32_e32 v27, v26, v27
	v_lshl_add_u32 v27, v21, 2, v27
	ds_read_b32 v27, v27 offset:9664
	ds_read_b32 v28, v26 offset:8340
	s_waitcnt lgkmcnt(0)
	v_fmac_f32_e32 v25, v27, v28
.LBB22_801:
	s_or_b64 exec, exec, s[16:17]
	s_movk_i32 s10, 0xa0
	v_cmp_gt_u32_e64 s[10:11], s10, v4
	s_and_saveexec_b64 s[16:17], s[10:11]
	s_cbranch_execz .LBB22_803
; %bb.802:
	v_lshlrev_b32_e32 v27, 2, v24
	v_sub_u32_e32 v27, v26, v27
	v_lshl_add_u32 v27, v21, 2, v27
	ds_read_b32 v27, v27 offset:9920
	ds_read_b32 v28, v26 offset:8344
	s_waitcnt lgkmcnt(0)
	v_fmac_f32_e32 v25, v27, v28
.LBB22_803:
	s_or_b64 exec, exec, s[16:17]
	s_movk_i32 s10, 0x90
	v_cmp_gt_u32_e64 s[10:11], s10, v4
	s_and_saveexec_b64 s[16:17], s[10:11]
	s_cbranch_execz .LBB22_805
; %bb.804:
	v_lshlrev_b32_e32 v24, 2, v24
	v_sub_u32_e32 v24, v26, v24
	v_lshl_add_u32 v24, v21, 2, v24
	ds_read_b32 v24, v24 offset:10176
	ds_read_b32 v27, v26 offset:8348
	s_waitcnt lgkmcnt(0)
	v_fmac_f32_e32 v25, v24, v27
.LBB22_805:
	s_or_b64 exec, exec, s[16:17]
	s_movk_i32 s10, 0x80
	v_cmp_gt_u32_e64 s[10:11], s10, v4
	s_and_saveexec_b64 s[16:17], s[10:11]
	s_cbranch_execz .LBB22_807
; %bb.806:
	ds_read_b32 v24, v20 offset:10432
	ds_read_b32 v27, v26 offset:8352
	s_waitcnt lgkmcnt(0)
	v_fmac_f32_e32 v25, v24, v27
.LBB22_807:
	s_or_b64 exec, exec, s[16:17]
	s_movk_i32 s10, 0x70
	v_cmp_gt_u32_e64 s[10:11], s10, v4
	s_and_saveexec_b64 s[16:17], s[10:11]
	s_cbranch_execz .LBB22_809
; %bb.808:
	v_lshlrev_b32_e32 v24, 2, v21
	v_lshl_add_u32 v24, v23, 2, v24
	ds_read_b32 v24, v24 offset:10688
	ds_read_b32 v27, v26 offset:8356
	s_waitcnt lgkmcnt(0)
	v_fmac_f32_e32 v25, v24, v27
.LBB22_809:
	s_or_b64 exec, exec, s[16:17]
	s_movk_i32 s10, 0x60
	v_cmp_gt_u32_e64 s[10:11], s10, v4
	s_and_saveexec_b64 s[16:17], s[10:11]
	s_cbranch_execz .LBB22_811
; %bb.810:
	v_lshlrev_b32_e32 v24, 2, v21
	v_lshl_add_u32 v24, v23, 2, v24
	ds_read_b32 v24, v24 offset:10944
	ds_read_b32 v27, v26 offset:8360
	s_waitcnt lgkmcnt(0)
	v_fmac_f32_e32 v25, v24, v27
.LBB22_811:
	s_or_b64 exec, exec, s[16:17]
	s_movk_i32 s10, 0x50
	v_cmp_gt_u32_e64 s[10:11], s10, v4
	s_and_saveexec_b64 s[16:17], s[10:11]
	s_cbranch_execnz .LBB22_1180
; %bb.812:
	s_or_b64 exec, exec, s[16:17]
	v_cmp_gt_u32_e64 s[10:11], 64, v4
	s_and_saveexec_b64 s[16:17], s[10:11]
	s_cbranch_execnz .LBB22_1181
.LBB22_813:
	s_or_b64 exec, exec, s[16:17]
	v_cmp_gt_u32_e64 s[10:11], 48, v4
	s_and_saveexec_b64 s[16:17], s[10:11]
	s_cbranch_execnz .LBB22_1182
.LBB22_814:
	s_or_b64 exec, exec, s[16:17]
	v_cmp_gt_u32_e64 s[10:11], 32, v4
	s_and_saveexec_b64 s[16:17], s[10:11]
	s_cbranch_execnz .LBB22_1183
.LBB22_815:
	s_or_b64 exec, exec, s[16:17]
	v_cmp_gt_u32_e64 s[10:11], 16, v4
	s_and_saveexec_b64 s[16:17], s[10:11]
	s_cbranch_execz .LBB22_817
.LBB22_816:
	v_lshlrev_b32_e32 v23, 2, v0
	v_mov_b32_e32 v24, 0
	ds_read_b32 v23, v23 offset:12224
	ds_read_b32 v24, v24 offset:8380
	s_waitcnt lgkmcnt(0)
	v_fmac_f32_e32 v25, v23, v24
.LBB22_817:
	s_or_b64 exec, exec, s[16:17]
	v_xor_b32_e32 v25, 0x80000000, v25
.LBB22_818:
	s_or_b64 exec, exec, s[12:13]
	s_mov_b64 s[10:11], exec
	v_readlane_b32 s12, v33, 1
	v_readlane_b32 s13, v33, 2
	s_and_b64 s[12:13], s[10:11], s[12:13]
	s_mov_b64 exec, s[12:13]
	s_cbranch_execz .LBB22_820
; %bb.819:
	v_mov_b32_e32 v23, 0
	ds_read_b32 v23, v23 offset:12480
	s_waitcnt lgkmcnt(0)
	v_mul_f32_e32 v25, v25, v23
	ds_write_b32 v22, v25
.LBB22_820:
	s_or_b64 exec, exec, s[10:11]
	s_waitcnt lgkmcnt(0)
	s_barrier
	s_mov_b64 s[10:11], exec
	v_readlane_b32 s12, v33, 3
	v_readlane_b32 s13, v33, 4
	s_and_b64 s[12:13], s[10:11], s[12:13]
	s_mov_b64 exec, s[12:13]
	s_cbranch_execz .LBB22_822
; %bb.821:
	v_lshlrev_b32_e32 v23, 2, v21
	ds_read_b32 v23, v23 offset:12480
	ds_read_b32 v24, v22
	s_waitcnt lgkmcnt(0)
	v_fmac_f32_e32 v25, v23, v24
.LBB22_822:
	s_or_b64 exec, exec, s[10:11]
	s_barrier
	s_mov_b64 s[10:11], exec
	v_readlane_b32 s12, v33, 5
	v_readlane_b32 s13, v33, 6
	s_and_b64 s[12:13], s[10:11], s[12:13]
	s_mov_b64 exec, s[12:13]
	s_cbranch_execz .LBB22_824
; %bb.823:
	v_mov_b32_e32 v23, 0
	ds_read_b32 v23, v23 offset:12740
	s_waitcnt lgkmcnt(0)
	v_mul_f32_e32 v25, v25, v23
	ds_write_b32 v22, v25
.LBB22_824:
	s_or_b64 exec, exec, s[10:11]
	s_waitcnt lgkmcnt(0)
	s_barrier
	s_mov_b64 s[10:11], exec
	v_readlane_b32 s12, v33, 7
	v_readlane_b32 s13, v33, 8
	s_and_b64 s[12:13], s[10:11], s[12:13]
	s_mov_b64 exec, s[12:13]
	s_cbranch_execz .LBB22_826
; %bb.825:
	v_lshlrev_b32_e32 v23, 2, v21
	ds_read_b32 v23, v23 offset:12736
	ds_read_b32 v24, v22
	s_waitcnt lgkmcnt(0)
	v_fmac_f32_e32 v25, v23, v24
.LBB22_826:
	s_or_b64 exec, exec, s[10:11]
	s_barrier
	;; [unrolled: 31-line block ×11, first 2 shown]
	s_and_saveexec_b64 s[10:11], s[94:95]
	s_cbranch_execz .LBB22_864
; %bb.863:
	v_mov_b32_e32 v23, 0
	ds_read_b32 v23, v23 offset:15340
	s_waitcnt lgkmcnt(0)
	v_mul_f32_e32 v25, v25, v23
	ds_write_b32 v22, v25
.LBB22_864:
	s_or_b64 exec, exec, s[10:11]
	s_waitcnt lgkmcnt(0)
	s_barrier
	s_and_saveexec_b64 s[10:11], s[72:73]
	s_cbranch_execz .LBB22_866
; %bb.865:
	v_lshlrev_b32_e32 v23, 2, v21
	ds_read_b32 v23, v23 offset:15296
	ds_read_b32 v24, v22
	s_waitcnt lgkmcnt(0)
	v_fmac_f32_e32 v25, v23, v24
.LBB22_866:
	s_or_b64 exec, exec, s[10:11]
	s_barrier
	s_and_saveexec_b64 s[10:11], s[74:75]
	s_cbranch_execz .LBB22_868
; %bb.867:
	v_mov_b32_e32 v23, 0
	ds_read_b32 v23, v23 offset:15600
	s_waitcnt lgkmcnt(0)
	v_mul_f32_e32 v25, v25, v23
	ds_write_b32 v22, v25
.LBB22_868:
	s_or_b64 exec, exec, s[10:11]
	s_waitcnt lgkmcnt(0)
	s_barrier
	s_and_saveexec_b64 s[10:11], s[76:77]
	s_cbranch_execz .LBB22_870
; %bb.869:
	v_lshlrev_b32_e32 v23, 2, v21
	ds_read_b32 v23, v23 offset:15552
	ds_read_b32 v24, v22
	s_waitcnt lgkmcnt(0)
	v_fmac_f32_e32 v25, v23, v24
.LBB22_870:
	s_or_b64 exec, exec, s[10:11]
	s_barrier
	s_and_saveexec_b64 s[10:11], s[78:79]
	s_cbranch_execz .LBB22_872
; %bb.871:
	v_mov_b32_e32 v23, 0
	ds_read_b32 v23, v23 offset:15860
	s_waitcnt lgkmcnt(0)
	v_mul_f32_e32 v25, v25, v23
	ds_write_b32 v22, v25
.LBB22_872:
	s_or_b64 exec, exec, s[10:11]
	s_waitcnt lgkmcnt(0)
	s_barrier
	s_and_saveexec_b64 s[10:11], s[80:81]
	s_cbranch_execz .LBB22_874
; %bb.873:
	v_lshlrev_b32_e32 v21, 2, v21
	ds_read_b32 v21, v21 offset:15808
	ds_read_b32 v23, v22
	s_waitcnt lgkmcnt(0)
	v_fmac_f32_e32 v25, v21, v23
.LBB22_874:
	s_or_b64 exec, exec, s[10:11]
	s_barrier
	s_and_saveexec_b64 s[10:11], s[82:83]
	s_cbranch_execz .LBB22_876
; %bb.875:
	v_mov_b32_e32 v21, 0
	ds_read_b32 v21, v21 offset:16120
	s_waitcnt lgkmcnt(0)
	v_mul_f32_e32 v25, v25, v21
	ds_write_b32 v22, v25
.LBB22_876:
	s_or_b64 exec, exec, s[10:11]
	s_waitcnt lgkmcnt(0)
	s_barrier
	s_and_saveexec_b64 s[10:11], s[88:89]
	s_cbranch_execz .LBB22_878
; %bb.877:
	v_mov_b32_e32 v21, 0
	ds_read_b32 v21, v21 offset:16124
	ds_read_b32 v23, v22
	s_waitcnt lgkmcnt(0)
	v_fmac_f32_e32 v25, v21, v23
.LBB22_878:
	s_or_b64 exec, exec, s[10:11]
	s_barrier
	s_and_saveexec_b64 s[10:11], s[88:89]
	s_cbranch_execz .LBB22_880
; %bb.879:
	v_mov_b32_e32 v21, 0
	ds_read_b32 v21, v21 offset:16380
	s_waitcnt lgkmcnt(0)
	v_mul_f32_e32 v25, v25, v21
	ds_write_b32 v22, v25
.LBB22_880:
	s_or_b64 exec, exec, s[10:11]
	s_waitcnt lgkmcnt(0)
	s_barrier
	s_barrier
	s_and_saveexec_b64 s[10:11], s[8:9]
; %bb.881:
	v_xor_b32_e32 v21, 0x80000000, v25
	ds_write_b32 v20, v21 offset:8384
; %bb.882:
	s_or_b64 exec, exec, s[10:11]
	s_waitcnt lgkmcnt(0)
	s_barrier
	s_barrier
	s_and_saveexec_b64 s[8:9], vcc
	s_cbranch_execz .LBB22_884
; %bb.883:
	v_mov_b32_e32 v22, 0
	ds_read_b64 v[20:21], v22 offset:12480
	ds_read_b32 v23, v22 offset:12740
	s_waitcnt lgkmcnt(0)
	v_mul_f32_e32 v20, v20, v23
	v_mul_f32_e32 v20, v21, v20
	ds_write_b32 v22, v20 offset:12484
.LBB22_884:
	s_or_b64 exec, exec, s[8:9]
	v_mov_b32_e32 v20, 0
	s_waitcnt lgkmcnt(0)
	s_barrier
	s_and_saveexec_b64 s[10:11], s[0:1]
	s_cbranch_execz .LBB22_888
; %bb.885:
	v_mul_u32_u24_e32 v20, 0x104, v5
	ds_read_b32 v22, v1 offset:12488
	ds_read_b32 v20, v20 offset:12480
	v_mov_b32_e32 v21, 0
	v_cmp_gt_u32_e64 s[8:9], 2, v4
	s_waitcnt lgkmcnt(0)
	v_fma_f32 v20, v22, v20, 0
	s_and_saveexec_b64 s[12:13], s[8:9]
	s_cbranch_execz .LBB22_887
; %bb.886:
	v_lshlrev_b32_e32 v22, 2, v0
	ds_read_b32 v22, v22 offset:12744
	ds_read_b32 v21, v21 offset:12484
	s_waitcnt lgkmcnt(0)
	v_fmac_f32_e32 v20, v22, v21
.LBB22_887:
	s_or_b64 exec, exec, s[12:13]
	v_xor_b32_e32 v20, 0x80000000, v20
.LBB22_888:
	s_or_b64 exec, exec, s[10:11]
	s_and_saveexec_b64 s[8:9], s[28:29]
	s_cbranch_execz .LBB22_890
; %bb.889:
	v_mov_b32_e32 v21, 0
	ds_read_b32 v21, v21 offset:13000
	s_waitcnt lgkmcnt(0)
	v_mul_f32_e32 v20, v20, v21
	ds_write_b32 v3, v20
.LBB22_890:
	s_or_b64 exec, exec, s[8:9]
	s_waitcnt lgkmcnt(0)
	s_barrier
	s_and_saveexec_b64 s[8:9], s[26:27]
	s_cbranch_execz .LBB22_892
; %bb.891:
	v_mov_b32_e32 v21, 0
	ds_read_b32 v21, v21 offset:13004
	ds_read_b32 v22, v3
	s_waitcnt lgkmcnt(0)
	v_fmac_f32_e32 v20, v21, v22
.LBB22_892:
	s_or_b64 exec, exec, s[8:9]
	s_barrier
	s_and_saveexec_b64 s[8:9], s[26:27]
	s_cbranch_execz .LBB22_894
; %bb.893:
	v_mov_b32_e32 v21, 0
	ds_read_b32 v21, v21 offset:13260
	s_waitcnt lgkmcnt(0)
	v_mul_f32_e32 v20, v20, v21
	ds_write_b32 v3, v20
.LBB22_894:
	s_or_b64 exec, exec, s[8:9]
	s_waitcnt lgkmcnt(0)
	s_barrier
	s_barrier
	s_and_saveexec_b64 s[8:9], s[0:1]
; %bb.895:
	v_xor_b32_e32 v20, 0x80000000, v20
	ds_write_b32 v1, v20 offset:12488
; %bb.896:
	s_or_b64 exec, exec, s[8:9]
	s_waitcnt lgkmcnt(0)
	s_barrier
	s_barrier
	s_and_saveexec_b64 s[8:9], vcc
	s_cbranch_execz .LBB22_898
; %bb.897:
	v_mov_b32_e32 v22, 0
	ds_read_b64 v[20:21], v22 offset:13000
	ds_read_b32 v23, v22 offset:13260
	s_waitcnt lgkmcnt(0)
	v_mul_f32_e32 v20, v20, v23
	v_mul_f32_e32 v20, v21, v20
	ds_write_b32 v22, v20 offset:13004
.LBB22_898:
	s_or_b64 exec, exec, s[8:9]
	v_mov_b32_e32 v20, 0
	s_waitcnt lgkmcnt(0)
	s_barrier
	s_and_saveexec_b64 s[10:11], s[2:3]
	s_cbranch_execz .LBB22_904
; %bb.899:
	v_mul_u32_u24_e32 v21, 0x104, v14
	ds_read_b32 v20, v6 offset:12496
	ds_read_b32 v22, v21 offset:12480
	v_cmp_gt_u32_e64 s[8:9], 12, v4
	s_waitcnt lgkmcnt(0)
	v_fma_f32 v20, v20, v22, 0
	s_and_saveexec_b64 s[12:13], s[8:9]
	s_cbranch_execnz .LBB22_1184
; %bb.900:
	s_or_b64 exec, exec, s[12:13]
	v_cmp_gt_u32_e64 s[8:9], 8, v4
	s_and_saveexec_b64 s[12:13], s[8:9]
	s_cbranch_execnz .LBB22_1185
.LBB22_901:
	s_or_b64 exec, exec, s[12:13]
	v_cmp_gt_u32_e64 s[8:9], 4, v4
	s_and_saveexec_b64 s[12:13], s[8:9]
	s_cbranch_execz .LBB22_903
.LBB22_902:
	v_lshlrev_b32_e32 v21, 2, v0
	v_mov_b32_e32 v22, 0
	ds_read_b32 v21, v21 offset:13264
	ds_read_b32 v22, v22 offset:12492
	s_waitcnt lgkmcnt(0)
	v_fmac_f32_e32 v20, v21, v22
.LBB22_903:
	s_or_b64 exec, exec, s[12:13]
	v_xor_b32_e32 v20, 0x80000000, v20
.LBB22_904:
	s_or_b64 exec, exec, s[10:11]
	s_and_saveexec_b64 s[8:9], s[34:35]
	s_cbranch_execz .LBB22_906
; %bb.905:
	v_mov_b32_e32 v21, 0
	ds_read_b32 v21, v21 offset:13520
	s_waitcnt lgkmcnt(0)
	v_mul_f32_e32 v20, v20, v21
	ds_write_b32 v12, v20
.LBB22_906:
	s_or_b64 exec, exec, s[8:9]
	s_waitcnt lgkmcnt(0)
	s_barrier
	s_and_saveexec_b64 s[8:9], s[36:37]
	s_cbranch_execz .LBB22_908
; %bb.907:
	ds_read_b32 v21, v11 offset:13520
	ds_read_b32 v22, v12
	s_waitcnt lgkmcnt(0)
	v_fmac_f32_e32 v20, v21, v22
.LBB22_908:
	s_or_b64 exec, exec, s[8:9]
	s_barrier
	s_and_saveexec_b64 s[8:9], s[38:39]
	s_cbranch_execz .LBB22_910
; %bb.909:
	v_mov_b32_e32 v21, 0
	ds_read_b32 v21, v21 offset:13780
	s_waitcnt lgkmcnt(0)
	v_mul_f32_e32 v20, v20, v21
	ds_write_b32 v12, v20
.LBB22_910:
	s_or_b64 exec, exec, s[8:9]
	s_waitcnt lgkmcnt(0)
	s_barrier
	s_and_saveexec_b64 s[8:9], s[40:41]
	s_cbranch_execz .LBB22_912
; %bb.911:
	ds_read_b32 v21, v11 offset:13776
	ds_read_b32 v22, v12
	s_waitcnt lgkmcnt(0)
	v_fmac_f32_e32 v20, v21, v22
.LBB22_912:
	s_or_b64 exec, exec, s[8:9]
	s_barrier
	s_and_saveexec_b64 s[8:9], s[42:43]
	s_cbranch_execz .LBB22_914
; %bb.913:
	v_mov_b32_e32 v21, 0
	ds_read_b32 v21, v21 offset:14040
	s_waitcnt lgkmcnt(0)
	v_mul_f32_e32 v20, v20, v21
	ds_write_b32 v12, v20
.LBB22_914:
	s_or_b64 exec, exec, s[8:9]
	s_waitcnt lgkmcnt(0)
	s_barrier
	s_and_saveexec_b64 s[8:9], s[30:31]
	s_cbranch_execz .LBB22_916
; %bb.915:
	v_mov_b32_e32 v21, 0
	ds_read_b32 v21, v21 offset:14044
	ds_read_b32 v22, v12
	s_waitcnt lgkmcnt(0)
	v_fmac_f32_e32 v20, v21, v22
.LBB22_916:
	s_or_b64 exec, exec, s[8:9]
	s_barrier
	s_and_saveexec_b64 s[8:9], s[30:31]
	s_cbranch_execz .LBB22_918
; %bb.917:
	v_mov_b32_e32 v21, 0
	ds_read_b32 v21, v21 offset:14300
	s_waitcnt lgkmcnt(0)
	v_mul_f32_e32 v20, v20, v21
	ds_write_b32 v12, v20
.LBB22_918:
	s_or_b64 exec, exec, s[8:9]
	s_waitcnt lgkmcnt(0)
	s_barrier
	s_barrier
	s_and_saveexec_b64 s[8:9], s[2:3]
; %bb.919:
	v_xor_b32_e32 v20, 0x80000000, v20
	ds_write_b32 v6, v20 offset:12496
; %bb.920:
	s_or_b64 exec, exec, s[8:9]
	s_waitcnt lgkmcnt(0)
	s_barrier
	s_barrier
	s_and_saveexec_b64 s[8:9], vcc
	s_cbranch_execz .LBB22_922
; %bb.921:
	v_mov_b32_e32 v22, 0
	ds_read_b64 v[20:21], v22 offset:13520
	ds_read_b32 v23, v22 offset:13780
	s_waitcnt lgkmcnt(0)
	v_mul_f32_e32 v20, v20, v23
	v_mul_f32_e32 v20, v21, v20
	ds_write_b32 v22, v20 offset:13524
.LBB22_922:
	s_or_b64 exec, exec, s[8:9]
	v_mov_b32_e32 v20, 0
	s_waitcnt lgkmcnt(0)
	s_barrier
	s_and_saveexec_b64 s[10:11], s[0:1]
	s_cbranch_execz .LBB22_926
; %bb.923:
	v_mul_u32_u24_e32 v20, 0x104, v5
	ds_read_b32 v22, v1 offset:13528
	ds_read_b32 v20, v20 offset:13520
	v_mov_b32_e32 v21, 0
	v_cmp_gt_u32_e64 s[8:9], 2, v4
	s_waitcnt lgkmcnt(0)
	v_fma_f32 v20, v22, v20, 0
	s_and_saveexec_b64 s[12:13], s[8:9]
	s_cbranch_execz .LBB22_925
; %bb.924:
	v_lshlrev_b32_e32 v22, 2, v0
	ds_read_b32 v22, v22 offset:13784
	ds_read_b32 v21, v21 offset:13524
	s_waitcnt lgkmcnt(0)
	v_fmac_f32_e32 v20, v22, v21
.LBB22_925:
	s_or_b64 exec, exec, s[12:13]
	v_xor_b32_e32 v20, 0x80000000, v20
.LBB22_926:
	s_or_b64 exec, exec, s[10:11]
	s_and_saveexec_b64 s[8:9], s[28:29]
	s_cbranch_execz .LBB22_928
; %bb.927:
	v_mov_b32_e32 v21, 0
	ds_read_b32 v21, v21 offset:14040
	s_waitcnt lgkmcnt(0)
	v_mul_f32_e32 v20, v20, v21
	ds_write_b32 v3, v20
.LBB22_928:
	s_or_b64 exec, exec, s[8:9]
	s_waitcnt lgkmcnt(0)
	s_barrier
	s_and_saveexec_b64 s[8:9], s[26:27]
	s_cbranch_execz .LBB22_930
; %bb.929:
	v_mov_b32_e32 v21, 0
	ds_read_b32 v21, v21 offset:14044
	ds_read_b32 v22, v3
	s_waitcnt lgkmcnt(0)
	v_fmac_f32_e32 v20, v21, v22
.LBB22_930:
	s_or_b64 exec, exec, s[8:9]
	s_barrier
	s_and_saveexec_b64 s[8:9], s[26:27]
	s_cbranch_execz .LBB22_932
; %bb.931:
	v_mov_b32_e32 v21, 0
	ds_read_b32 v21, v21 offset:14300
	s_waitcnt lgkmcnt(0)
	v_mul_f32_e32 v20, v20, v21
	ds_write_b32 v3, v20
.LBB22_932:
	s_or_b64 exec, exec, s[8:9]
	s_waitcnt lgkmcnt(0)
	s_barrier
	s_barrier
	s_and_saveexec_b64 s[8:9], s[0:1]
; %bb.933:
	v_xor_b32_e32 v20, 0x80000000, v20
	ds_write_b32 v1, v20 offset:13528
; %bb.934:
	s_or_b64 exec, exec, s[8:9]
	s_waitcnt lgkmcnt(0)
	s_barrier
	s_barrier
	s_and_saveexec_b64 s[8:9], vcc
	s_cbranch_execz .LBB22_936
; %bb.935:
	v_mov_b32_e32 v22, 0
	ds_read_b64 v[20:21], v22 offset:14040
	ds_read_b32 v23, v22 offset:14300
	s_waitcnt lgkmcnt(0)
	v_mul_f32_e32 v20, v20, v23
	v_mul_f32_e32 v20, v21, v20
	ds_write_b32 v22, v20 offset:14044
.LBB22_936:
	s_or_b64 exec, exec, s[8:9]
	v_mov_b32_e32 v20, 0
	s_waitcnt lgkmcnt(0)
	s_barrier
	s_and_saveexec_b64 s[10:11], s[14:15]
	s_cbranch_execz .LBB22_946
; %bb.937:
	v_mul_u32_u24_e32 v21, 0x104, v19
	ds_read_b32 v20, v15 offset:12512
	ds_read_b32 v22, v21 offset:12480
	v_cmp_gt_u32_e64 s[8:9], 56, v4
	s_waitcnt lgkmcnt(0)
	v_fma_f32 v20, v20, v22, 0
	s_and_saveexec_b64 s[12:13], s[8:9]
	s_cbranch_execnz .LBB22_1186
; %bb.938:
	s_or_b64 exec, exec, s[12:13]
	v_cmp_gt_u32_e64 s[8:9], 48, v4
	s_and_saveexec_b64 s[12:13], s[8:9]
	s_cbranch_execnz .LBB22_1187
.LBB22_939:
	s_or_b64 exec, exec, s[12:13]
	v_cmp_gt_u32_e64 s[8:9], 40, v4
	s_and_saveexec_b64 s[12:13], s[8:9]
	s_cbranch_execnz .LBB22_1188
.LBB22_940:
	s_or_b64 exec, exec, s[12:13]
	v_cmp_gt_u32_e64 s[8:9], 32, v4
	s_and_saveexec_b64 s[12:13], s[8:9]
	s_cbranch_execnz .LBB22_1189
.LBB22_941:
	s_or_b64 exec, exec, s[12:13]
	v_cmp_gt_u32_e64 s[8:9], 24, v4
	s_and_saveexec_b64 s[12:13], s[8:9]
	s_cbranch_execnz .LBB22_1190
.LBB22_942:
	s_or_b64 exec, exec, s[12:13]
	v_cmp_gt_u32_e64 s[8:9], 16, v4
	s_and_saveexec_b64 s[12:13], s[8:9]
	s_cbranch_execnz .LBB22_1191
.LBB22_943:
	s_or_b64 exec, exec, s[12:13]
	v_cmp_gt_u32_e64 s[8:9], 8, v4
	s_and_saveexec_b64 s[12:13], s[8:9]
	s_cbranch_execz .LBB22_945
.LBB22_944:
	v_lshlrev_b32_e32 v18, 2, v0
	v_mov_b32_e32 v19, 0
	ds_read_b32 v18, v18 offset:14304
	ds_read_b32 v19, v19 offset:12508
	s_waitcnt lgkmcnt(0)
	v_fmac_f32_e32 v20, v18, v19
.LBB22_945:
	s_or_b64 exec, exec, s[12:13]
	v_xor_b32_e32 v20, 0x80000000, v20
.LBB22_946:
	s_or_b64 exec, exec, s[10:11]
	s_and_saveexec_b64 s[8:9], s[44:45]
	s_cbranch_execz .LBB22_948
; %bb.947:
	v_mov_b32_e32 v18, 0
	ds_read_b32 v18, v18 offset:14560
	s_waitcnt lgkmcnt(0)
	v_mul_f32_e32 v20, v20, v18
	ds_write_b32 v17, v20
.LBB22_948:
	s_or_b64 exec, exec, s[8:9]
	s_waitcnt lgkmcnt(0)
	s_barrier
	s_and_saveexec_b64 s[8:9], s[46:47]
	s_cbranch_execz .LBB22_950
; %bb.949:
	ds_read_b32 v18, v16 offset:14560
	ds_read_b32 v19, v17
	s_waitcnt lgkmcnt(0)
	v_fmac_f32_e32 v20, v18, v19
.LBB22_950:
	s_or_b64 exec, exec, s[8:9]
	s_barrier
	s_and_saveexec_b64 s[8:9], s[48:49]
	s_cbranch_execz .LBB22_952
; %bb.951:
	v_mov_b32_e32 v18, 0
	ds_read_b32 v18, v18 offset:14820
	s_waitcnt lgkmcnt(0)
	v_mul_f32_e32 v20, v20, v18
	ds_write_b32 v17, v20
.LBB22_952:
	s_or_b64 exec, exec, s[8:9]
	s_waitcnt lgkmcnt(0)
	s_barrier
	s_and_saveexec_b64 s[8:9], s[50:51]
	s_cbranch_execz .LBB22_954
; %bb.953:
	ds_read_b32 v18, v16 offset:14816
	ds_read_b32 v19, v17
	s_waitcnt lgkmcnt(0)
	v_fmac_f32_e32 v20, v18, v19
.LBB22_954:
	s_or_b64 exec, exec, s[8:9]
	s_barrier
	;; [unrolled: 22-line block ×6, first 2 shown]
	s_and_saveexec_b64 s[8:9], s[70:71]
	s_cbranch_execz .LBB22_972
; %bb.971:
	v_mov_b32_e32 v16, 0
	ds_read_b32 v16, v16 offset:16120
	s_waitcnt lgkmcnt(0)
	v_mul_f32_e32 v20, v20, v16
	ds_write_b32 v17, v20
.LBB22_972:
	s_or_b64 exec, exec, s[8:9]
	s_waitcnt lgkmcnt(0)
	s_barrier
	s_and_saveexec_b64 s[8:9], s[52:53]
	s_cbranch_execz .LBB22_974
; %bb.973:
	v_mov_b32_e32 v16, 0
	ds_read_b32 v16, v16 offset:16124
	ds_read_b32 v18, v17
	s_waitcnt lgkmcnt(0)
	v_fmac_f32_e32 v20, v16, v18
.LBB22_974:
	s_or_b64 exec, exec, s[8:9]
	s_barrier
	s_and_saveexec_b64 s[8:9], s[52:53]
	s_cbranch_execz .LBB22_976
; %bb.975:
	v_mov_b32_e32 v16, 0
	ds_read_b32 v16, v16 offset:16380
	s_waitcnt lgkmcnt(0)
	v_mul_f32_e32 v20, v20, v16
	ds_write_b32 v17, v20
.LBB22_976:
	s_or_b64 exec, exec, s[8:9]
	s_waitcnt lgkmcnt(0)
	s_barrier
	s_barrier
	s_and_saveexec_b64 s[8:9], s[14:15]
; %bb.977:
	v_xor_b32_e32 v16, 0x80000000, v20
	ds_write_b32 v15, v16 offset:12512
; %bb.978:
	s_or_b64 exec, exec, s[8:9]
	s_waitcnt lgkmcnt(0)
	s_barrier
	s_barrier
	s_and_saveexec_b64 s[8:9], vcc
	s_cbranch_execz .LBB22_980
; %bb.979:
	v_mov_b32_e32 v17, 0
	ds_read_b64 v[15:16], v17 offset:14560
	ds_read_b32 v18, v17 offset:14820
	s_waitcnt lgkmcnt(0)
	v_mul_f32_e32 v15, v15, v18
	v_mul_f32_e32 v15, v16, v15
	ds_write_b32 v17, v15 offset:14564
.LBB22_980:
	s_or_b64 exec, exec, s[8:9]
	v_mov_b32_e32 v15, 0
	s_waitcnt lgkmcnt(0)
	s_barrier
	s_and_saveexec_b64 s[10:11], s[0:1]
	s_cbranch_execz .LBB22_984
; %bb.981:
	v_mul_u32_u24_e32 v15, 0x104, v5
	ds_read_b32 v17, v1 offset:14568
	ds_read_b32 v15, v15 offset:14560
	v_mov_b32_e32 v16, 0
	v_cmp_gt_u32_e64 s[8:9], 2, v4
	s_waitcnt lgkmcnt(0)
	v_fma_f32 v15, v17, v15, 0
	s_and_saveexec_b64 s[12:13], s[8:9]
	s_cbranch_execz .LBB22_983
; %bb.982:
	v_lshlrev_b32_e32 v17, 2, v0
	ds_read_b32 v17, v17 offset:14824
	ds_read_b32 v16, v16 offset:14564
	s_waitcnt lgkmcnt(0)
	v_fmac_f32_e32 v15, v17, v16
.LBB22_983:
	s_or_b64 exec, exec, s[12:13]
	v_xor_b32_e32 v15, 0x80000000, v15
.LBB22_984:
	s_or_b64 exec, exec, s[10:11]
	s_and_saveexec_b64 s[8:9], s[28:29]
	s_cbranch_execz .LBB22_986
; %bb.985:
	v_mov_b32_e32 v16, 0
	ds_read_b32 v16, v16 offset:15080
	s_waitcnt lgkmcnt(0)
	v_mul_f32_e32 v15, v15, v16
	ds_write_b32 v3, v15
.LBB22_986:
	s_or_b64 exec, exec, s[8:9]
	s_waitcnt lgkmcnt(0)
	s_barrier
	s_and_saveexec_b64 s[8:9], s[26:27]
	s_cbranch_execz .LBB22_988
; %bb.987:
	v_mov_b32_e32 v16, 0
	ds_read_b32 v16, v16 offset:15084
	ds_read_b32 v17, v3
	s_waitcnt lgkmcnt(0)
	v_fmac_f32_e32 v15, v16, v17
.LBB22_988:
	s_or_b64 exec, exec, s[8:9]
	s_barrier
	s_and_saveexec_b64 s[8:9], s[26:27]
	s_cbranch_execz .LBB22_990
; %bb.989:
	v_mov_b32_e32 v16, 0
	ds_read_b32 v16, v16 offset:15340
	s_waitcnt lgkmcnt(0)
	v_mul_f32_e32 v15, v15, v16
	ds_write_b32 v3, v15
.LBB22_990:
	s_or_b64 exec, exec, s[8:9]
	s_waitcnt lgkmcnt(0)
	s_barrier
	s_barrier
	s_and_saveexec_b64 s[8:9], s[0:1]
; %bb.991:
	v_xor_b32_e32 v15, 0x80000000, v15
	ds_write_b32 v1, v15 offset:14568
; %bb.992:
	s_or_b64 exec, exec, s[8:9]
	s_waitcnt lgkmcnt(0)
	s_barrier
	s_barrier
	s_and_saveexec_b64 s[8:9], vcc
	s_cbranch_execz .LBB22_994
; %bb.993:
	v_mov_b32_e32 v17, 0
	ds_read_b64 v[15:16], v17 offset:15080
	ds_read_b32 v18, v17 offset:15340
	s_waitcnt lgkmcnt(0)
	v_mul_f32_e32 v15, v15, v18
	v_mul_f32_e32 v15, v16, v15
	ds_write_b32 v17, v15 offset:15084
.LBB22_994:
	s_or_b64 exec, exec, s[8:9]
	v_mov_b32_e32 v15, 0
	s_waitcnt lgkmcnt(0)
	s_barrier
	s_and_saveexec_b64 s[10:11], s[2:3]
	s_cbranch_execz .LBB22_1000
; %bb.995:
	v_mul_u32_u24_e32 v16, 0x104, v14
	ds_read_b32 v15, v6 offset:14576
	ds_read_b32 v17, v16 offset:14560
	v_cmp_gt_u32_e64 s[8:9], 12, v4
	s_waitcnt lgkmcnt(0)
	v_fma_f32 v15, v15, v17, 0
	s_and_saveexec_b64 s[12:13], s[8:9]
	s_cbranch_execnz .LBB22_1192
; %bb.996:
	s_or_b64 exec, exec, s[12:13]
	v_cmp_gt_u32_e64 s[8:9], 8, v4
	s_and_saveexec_b64 s[12:13], s[8:9]
	s_cbranch_execnz .LBB22_1193
.LBB22_997:
	s_or_b64 exec, exec, s[12:13]
	v_cmp_gt_u32_e64 s[8:9], 4, v4
	s_and_saveexec_b64 s[12:13], s[8:9]
	s_cbranch_execz .LBB22_999
.LBB22_998:
	v_lshlrev_b32_e32 v13, 2, v0
	v_mov_b32_e32 v14, 0
	ds_read_b32 v13, v13 offset:15344
	ds_read_b32 v14, v14 offset:14572
	s_waitcnt lgkmcnt(0)
	v_fmac_f32_e32 v15, v13, v14
.LBB22_999:
	s_or_b64 exec, exec, s[12:13]
	v_xor_b32_e32 v15, 0x80000000, v15
.LBB22_1000:
	s_or_b64 exec, exec, s[10:11]
	s_and_saveexec_b64 s[8:9], s[34:35]
	s_cbranch_execz .LBB22_1002
; %bb.1001:
	v_mov_b32_e32 v13, 0
	ds_read_b32 v13, v13 offset:15600
	s_waitcnt lgkmcnt(0)
	v_mul_f32_e32 v15, v15, v13
	ds_write_b32 v12, v15
.LBB22_1002:
	s_or_b64 exec, exec, s[8:9]
	s_waitcnt lgkmcnt(0)
	s_barrier
	s_and_saveexec_b64 s[8:9], s[36:37]
	s_cbranch_execz .LBB22_1004
; %bb.1003:
	ds_read_b32 v13, v11 offset:15600
	ds_read_b32 v14, v12
	s_waitcnt lgkmcnt(0)
	v_fmac_f32_e32 v15, v13, v14
.LBB22_1004:
	s_or_b64 exec, exec, s[8:9]
	s_barrier
	s_and_saveexec_b64 s[8:9], s[38:39]
	s_cbranch_execz .LBB22_1006
; %bb.1005:
	v_mov_b32_e32 v13, 0
	ds_read_b32 v13, v13 offset:15860
	s_waitcnt lgkmcnt(0)
	v_mul_f32_e32 v15, v15, v13
	ds_write_b32 v12, v15
.LBB22_1006:
	s_or_b64 exec, exec, s[8:9]
	s_waitcnt lgkmcnt(0)
	s_barrier
	s_and_saveexec_b64 s[8:9], s[40:41]
	s_cbranch_execz .LBB22_1008
; %bb.1007:
	ds_read_b32 v11, v11 offset:15856
	ds_read_b32 v13, v12
	s_waitcnt lgkmcnt(0)
	v_fmac_f32_e32 v15, v11, v13
.LBB22_1008:
	s_or_b64 exec, exec, s[8:9]
	s_barrier
	s_and_saveexec_b64 s[8:9], s[42:43]
	s_cbranch_execz .LBB22_1010
; %bb.1009:
	v_mov_b32_e32 v11, 0
	ds_read_b32 v11, v11 offset:16120
	s_waitcnt lgkmcnt(0)
	v_mul_f32_e32 v15, v15, v11
	ds_write_b32 v12, v15
.LBB22_1010:
	s_or_b64 exec, exec, s[8:9]
	s_waitcnt lgkmcnt(0)
	s_barrier
	s_and_saveexec_b64 s[8:9], s[30:31]
	s_cbranch_execz .LBB22_1012
; %bb.1011:
	v_mov_b32_e32 v11, 0
	ds_read_b32 v11, v11 offset:16124
	ds_read_b32 v13, v12
	s_waitcnt lgkmcnt(0)
	v_fmac_f32_e32 v15, v11, v13
.LBB22_1012:
	s_or_b64 exec, exec, s[8:9]
	s_barrier
	s_and_saveexec_b64 s[8:9], s[30:31]
	s_cbranch_execz .LBB22_1014
; %bb.1013:
	v_mov_b32_e32 v11, 0
	ds_read_b32 v11, v11 offset:16380
	s_waitcnt lgkmcnt(0)
	v_mul_f32_e32 v15, v15, v11
	ds_write_b32 v12, v15
.LBB22_1014:
	s_or_b64 exec, exec, s[8:9]
	s_waitcnt lgkmcnt(0)
	s_barrier
	s_barrier
	s_and_saveexec_b64 s[8:9], s[2:3]
; %bb.1015:
	v_xor_b32_e32 v11, 0x80000000, v15
	ds_write_b32 v6, v11 offset:14576
; %bb.1016:
	s_or_b64 exec, exec, s[8:9]
	s_waitcnt lgkmcnt(0)
	s_barrier
	s_barrier
	s_and_saveexec_b64 s[2:3], vcc
	s_cbranch_execz .LBB22_1018
; %bb.1017:
	v_mov_b32_e32 v6, 0
	ds_read_b64 v[11:12], v6 offset:15600
	ds_read_b32 v13, v6 offset:15860
	s_waitcnt lgkmcnt(0)
	v_mul_f32_e32 v11, v11, v13
	v_mul_f32_e32 v11, v12, v11
	ds_write_b32 v6, v11 offset:15604
.LBB22_1018:
	s_or_b64 exec, exec, s[2:3]
	v_mov_b32_e32 v6, 0
	s_waitcnt lgkmcnt(0)
	s_barrier
	s_and_saveexec_b64 s[8:9], s[0:1]
	s_cbranch_execz .LBB22_1022
; %bb.1019:
	v_mul_u32_u24_e32 v5, 0x104, v5
	ds_read_b32 v11, v1 offset:15608
	ds_read_b32 v5, v5 offset:15600
	v_mov_b32_e32 v6, 0
	v_cmp_gt_u32_e64 s[2:3], 2, v4
	s_waitcnt lgkmcnt(0)
	v_fma_f32 v5, v11, v5, 0
	s_and_saveexec_b64 s[10:11], s[2:3]
	s_cbranch_execz .LBB22_1021
; %bb.1020:
	v_lshlrev_b32_e32 v4, 2, v0
	ds_read_b32 v4, v4 offset:15864
	ds_read_b32 v6, v6 offset:15604
	s_waitcnt lgkmcnt(0)
	v_fmac_f32_e32 v5, v4, v6
.LBB22_1021:
	s_or_b64 exec, exec, s[10:11]
	v_xor_b32_e32 v6, 0x80000000, v5
.LBB22_1022:
	s_or_b64 exec, exec, s[8:9]
	s_and_saveexec_b64 s[2:3], s[28:29]
	s_cbranch_execz .LBB22_1024
; %bb.1023:
	v_mov_b32_e32 v4, 0
	ds_read_b32 v4, v4 offset:16120
	s_waitcnt lgkmcnt(0)
	v_mul_f32_e32 v6, v6, v4
	ds_write_b32 v3, v6
.LBB22_1024:
	s_or_b64 exec, exec, s[2:3]
	s_waitcnt lgkmcnt(0)
	s_barrier
	s_and_saveexec_b64 s[2:3], s[26:27]
	s_cbranch_execz .LBB22_1026
; %bb.1025:
	v_mov_b32_e32 v4, 0
	ds_read_b32 v4, v4 offset:16124
	ds_read_b32 v5, v3
	s_waitcnt lgkmcnt(0)
	v_fmac_f32_e32 v6, v4, v5
.LBB22_1026:
	s_or_b64 exec, exec, s[2:3]
	s_barrier
	s_and_saveexec_b64 s[2:3], s[26:27]
	s_cbranch_execz .LBB22_1028
; %bb.1027:
	v_mov_b32_e32 v4, 0
	ds_read_b32 v4, v4 offset:16380
	s_waitcnt lgkmcnt(0)
	v_mul_f32_e32 v6, v6, v4
	ds_write_b32 v3, v6
.LBB22_1028:
	s_or_b64 exec, exec, s[2:3]
	s_waitcnt lgkmcnt(0)
	s_barrier
	s_barrier
	s_and_saveexec_b64 s[2:3], s[0:1]
; %bb.1029:
	v_xor_b32_e32 v3, 0x80000000, v6
	ds_write_b32 v1, v3 offset:15608
; %bb.1030:
	s_or_b64 exec, exec, s[2:3]
	s_waitcnt lgkmcnt(0)
	s_barrier
	s_barrier
	s_and_saveexec_b64 s[0:1], vcc
	s_cbranch_execz .LBB22_1032
; %bb.1031:
	v_mov_b32_e32 v1, 0
	ds_read_b64 v[3:4], v1 offset:16120
	ds_read_b32 v5, v1 offset:16380
	s_waitcnt lgkmcnt(0)
	v_mul_f32_e32 v3, v3, v5
	v_mul_f32_e32 v3, v4, v3
	ds_write_b32 v1, v3 offset:16124
.LBB22_1032:
	s_or_b64 exec, exec, s[0:1]
.LBB22_1033:
	s_load_dwordx8 s[8:15], s[4:5], 0x30
	s_load_dwordx2 s[16:17], s[4:5], 0x50
	v_cmp_le_i32_e32 vcc, s90, v0
	v_mov_b32_e32 v12, 0
	v_add_u32_e32 v3, s33, v0
	s_waitcnt lgkmcnt(0)
	s_mul_i32 s1, s15, s24
	s_mul_hi_u32 s2, s14, s24
	s_mul_i32 s0, s14, s24
	s_add_i32 s1, s2, s1
	s_lshl_b64 s[0:1], s[0:1], 2
	s_add_u32 s2, s8, s0
	s_addc_u32 s3, s9, s1
	s_lshl_b64 s[0:1], s[10:11], 2
	s_add_u32 s36, s2, s0
	s_addc_u32 s37, s3, s1
	s_and_b64 s[14:15], vcc, s[18:19]
	v_cmp_eq_u32_e64 s[0:1], 0, v2
	s_xor_b64 s[2:3], s[14:15], -1
	s_and_b64 s[8:9], s[0:1], s[2:3]
	s_barrier
	s_and_saveexec_b64 s[2:3], s[8:9]
	s_cbranch_execz .LBB22_1035
; %bb.1034:
	v_ashrrev_i32_e32 v1, 31, v3
	v_mul_lo_u32 v6, s13, v3
	v_mad_u64_u32 v[4:5], s[8:9], s12, v3, 0
	v_mul_lo_u32 v1, s12, v1
	s_load_dword s4, s[4:5], 0x28
	v_add3_u32 v5, v5, v1, v6
	v_lshlrev_b64 v[4:5], 2, v[4:5]
	v_mov_b32_e32 v1, s37
	v_add_co_u32_e32 v4, vcc, s36, v4
	v_addc_co_u32_e32 v5, vcc, v1, v5, vcc
	global_load_dword v1, v[4:5], off
	s_waitcnt vmcnt(0) lgkmcnt(0)
	v_mul_f32_e64 v12, v1, -s4
.LBB22_1035:
	s_or_b64 exec, exec, s[2:3]
	s_and_b32 s2, 0xffff, s93
	v_mad_u32_u24 v11, v2, s2, v0
	s_cmp_lt_i32 s6, 1
	v_cmp_eq_u32_e64 s[2:3], 0, v11
	s_cbranch_scc1 .LBB22_1061
; %bb.1036:
	v_mov_b32_e32 v4, 0
	v_mov_b32_e32 v5, 0x5000
	v_lshl_add_u32 v1, v11, 2, v5
	v_lshl_or_b32 v13, v2, 2, v5
	v_lshlrev_b64 v[5:6], 2, v[3:4]
	s_lshl_b64 s[4:5], s[24:25], 2
	s_add_u32 s26, s16, s4
	v_cmp_gt_i32_e64 s[10:11], s7, v3
	v_mov_b32_e32 v14, s92
	v_add_co_u32_e32 v3, vcc, s91, v5
	s_mul_i32 s8, s21, 0xc0
	s_mul_hi_u32 s9, s20, 0xc0
	s_mov_b32 s38, 0
	s_addc_u32 s27, s17, s5
	v_cmp_gt_u32_e64 s[4:5], 64, v11
	s_add_i32 s39, s6, -1
	v_addc_co_u32_e32 v14, vcc, v14, v6, vcc
	s_lshl_b64 s[28:29], s[20:21], 6
	s_lshl_b64 s[30:31], s[20:21], 7
	s_add_i32 s40, s9, s8
	s_mul_i32 s41, s20, 0xc0
	v_mov_b32_e32 v15, -1
	s_branch .LBB22_1039
.LBB22_1037:                            ;   in Loop: Header=BB22_1039 Depth=1
	ds_read_b32 v5, v13 offset:192
	s_waitcnt vmcnt(0) lgkmcnt(0)
	v_fmac_f32_e32 v12, v16, v5
.LBB22_1038:                            ;   in Loop: Header=BB22_1039 Depth=1
	s_or_b64 exec, exec, s[34:35]
	s_add_i32 s38, s38, 1
	s_cmp_eq_u32 s38, s6
	s_cbranch_scc1 .LBB22_1061
.LBB22_1039:                            ; =>This Loop Header: Depth=1
                                        ;     Child Loop BB22_1041 Depth 2
	v_cmp_gt_i32_e32 vcc, s38, v15
	s_and_b64 s[34:35], s[2:3], vcc
	s_and_saveexec_b64 s[8:9], s[34:35]
	s_cbranch_execz .LBB22_1042
; %bb.1040:                             ;   in Loop: Header=BB22_1039 Depth=1
	global_load_dword v15, v4, s[26:27]
	s_waitcnt vmcnt(0)
	v_cmp_le_i32_e32 vcc, s38, v15
	s_cbranch_vccnz .LBB22_1042
.LBB22_1041:                            ;   Parent Loop BB22_1039 Depth=1
                                        ; =>  This Inner Loop Header: Depth=2
	buffer_wbinvl1_vol
	global_load_dword v15, v4, s[26:27]
	s_waitcnt vmcnt(0)
	v_cmp_gt_i32_e32 vcc, s38, v15
	s_cbranch_vccnz .LBB22_1041
.LBB22_1042:                            ;   in Loop: Header=BB22_1039 Depth=1
	s_or_b64 exec, exec, s[8:9]
	s_lshl_b32 s42, s38, 6
	buffer_wbinvl1_vol
	s_barrier
	s_and_saveexec_b64 s[8:9], s[4:5]
	s_cbranch_execz .LBB22_1046
; %bb.1043:                             ;   in Loop: Header=BB22_1039 Depth=1
	v_or_b32_e32 v6, s42, v11
	v_cmp_gt_i32_e32 vcc, s7, v6
	v_mov_b32_e32 v5, 0
	s_and_saveexec_b64 s[34:35], vcc
	s_cbranch_execz .LBB22_1045
; %bb.1044:                             ;   in Loop: Header=BB22_1039 Depth=1
	v_mad_u64_u32 v[16:17], s[44:45], s12, v6, 0
	v_mov_b32_e32 v18, s37
	v_mov_b32_e32 v5, v17
	v_mad_u64_u32 v[5:6], s[44:45], s13, v6, v[5:6]
	v_mov_b32_e32 v17, v5
	v_lshlrev_b64 v[5:6], 2, v[16:17]
	v_add_co_u32_e32 v5, vcc, s36, v5
	v_addc_co_u32_e32 v6, vcc, v18, v6, vcc
	global_load_dword v5, v[5:6], off
.LBB22_1045:                            ;   in Loop: Header=BB22_1039 Depth=1
	s_or_b64 exec, exec, s[34:35]
	s_waitcnt vmcnt(0)
	ds_write_b32 v1, v5
.LBB22_1046:                            ;   in Loop: Header=BB22_1039 Depth=1
	s_or_b64 exec, exec, s[8:9]
	v_add_u32_e32 v16, s42, v2
	v_mad_u64_u32 v[5:6], s[8:9], s20, v16, 0
	s_cmp_lg_u32 s38, s39
	s_waitcnt lgkmcnt(0)
	v_mad_u64_u32 v[17:18], s[8:9], s21, v16, v[6:7]
	s_cselect_b64 s[8:9], -1, 0
	s_barrier
	v_mov_b32_e32 v6, v17
	v_lshlrev_b64 v[5:6], 2, v[5:6]
	v_cndmask_b32_e64 v17, 0, 1, s[8:9]
	v_add_co_u32_e32 v5, vcc, v3, v5
	v_addc_co_u32_e32 v6, vcc, v14, v6, vcc
	v_cmp_gt_i32_e32 vcc, s7, v16
	s_and_b64 s[42:43], s[10:11], vcc
	v_cmp_ne_u32_e64 s[8:9], 1, v17
	s_and_saveexec_b64 s[34:35], s[42:43]
	s_cbranch_execz .LBB22_1050
; %bb.1047:                             ;   in Loop: Header=BB22_1039 Depth=1
	s_and_b64 vcc, exec, s[8:9]
	v_mov_b32_e32 v17, v7
	s_cbranch_vccnz .LBB22_1049
; %bb.1048:                             ;   in Loop: Header=BB22_1039 Depth=1
	global_load_dword v17, v[5:6], off
.LBB22_1049:                            ;   in Loop: Header=BB22_1039 Depth=1
	ds_read_b32 v18, v13
	s_waitcnt vmcnt(0) lgkmcnt(0)
	v_fmac_f32_e32 v12, v17, v18
.LBB22_1050:                            ;   in Loop: Header=BB22_1039 Depth=1
	s_or_b64 exec, exec, s[34:35]
	v_add_u32_e32 v17, 16, v16
	v_cmp_gt_i32_e32 vcc, s7, v17
	s_and_b64 s[42:43], s[10:11], vcc
	s_and_saveexec_b64 s[34:35], s[42:43]
	s_cbranch_execz .LBB22_1054
; %bb.1051:                             ;   in Loop: Header=BB22_1039 Depth=1
	s_and_b64 vcc, exec, s[8:9]
	v_mov_b32_e32 v17, v8
	s_cbranch_vccnz .LBB22_1053
; %bb.1052:                             ;   in Loop: Header=BB22_1039 Depth=1
	v_mov_b32_e32 v18, s29
	v_add_co_u32_e32 v17, vcc, s28, v5
	v_addc_co_u32_e32 v18, vcc, v6, v18, vcc
	global_load_dword v17, v[17:18], off
.LBB22_1053:                            ;   in Loop: Header=BB22_1039 Depth=1
	ds_read_b32 v18, v13 offset:64
	s_waitcnt vmcnt(0) lgkmcnt(0)
	v_fmac_f32_e32 v12, v17, v18
.LBB22_1054:                            ;   in Loop: Header=BB22_1039 Depth=1
	s_or_b64 exec, exec, s[34:35]
	v_add_u32_e32 v17, 32, v16
	v_cmp_gt_i32_e32 vcc, s7, v17
	s_and_b64 s[42:43], s[10:11], vcc
	s_and_saveexec_b64 s[34:35], s[42:43]
	s_cbranch_execz .LBB22_1058
; %bb.1055:                             ;   in Loop: Header=BB22_1039 Depth=1
	s_and_b64 vcc, exec, s[8:9]
	v_mov_b32_e32 v17, v10
	s_cbranch_vccnz .LBB22_1057
; %bb.1056:                             ;   in Loop: Header=BB22_1039 Depth=1
	v_mov_b32_e32 v18, s31
	v_add_co_u32_e32 v17, vcc, s30, v5
	v_addc_co_u32_e32 v18, vcc, v6, v18, vcc
	global_load_dword v17, v[17:18], off
.LBB22_1057:                            ;   in Loop: Header=BB22_1039 Depth=1
	ds_read_b32 v18, v13 offset:128
	s_waitcnt vmcnt(0) lgkmcnt(0)
	v_fmac_f32_e32 v12, v17, v18
.LBB22_1058:                            ;   in Loop: Header=BB22_1039 Depth=1
	s_or_b64 exec, exec, s[34:35]
	v_add_u32_e32 v16, 48, v16
	v_cmp_gt_i32_e32 vcc, s7, v16
	s_and_b64 s[42:43], s[10:11], vcc
	s_and_saveexec_b64 s[34:35], s[42:43]
	s_cbranch_execz .LBB22_1038
; %bb.1059:                             ;   in Loop: Header=BB22_1039 Depth=1
	s_and_b64 vcc, exec, s[8:9]
	v_mov_b32_e32 v16, v9
	s_cbranch_vccnz .LBB22_1037
; %bb.1060:                             ;   in Loop: Header=BB22_1039 Depth=1
	v_mov_b32_e32 v16, s40
	v_add_co_u32_e32 v5, vcc, s41, v5
	v_addc_co_u32_e32 v6, vcc, v6, v16, vcc
	global_load_dword v16, v[5:6], off
	s_branch .LBB22_1037
.LBB22_1061:
	v_lshl_add_u32 v1, v2, 6, v0
	s_xor_b64 s[2:3], s[18:19], -1
	s_xor_b64 s[4:5], s[22:23], -1
	v_lshlrev_b32_e32 v1, 2, v1
	ds_write_b32 v1, v12 offset:16384
	s_waitcnt lgkmcnt(0)
	s_barrier
	s_and_saveexec_b64 s[6:7], s[0:1]
	s_cbranch_execz .LBB22_1063
; %bb.1062:
	v_lshlrev_b32_e32 v15, 2, v0
	ds_read2st64_b32 v[3:4], v15 offset0:65 offset1:66
	ds_read2st64_b32 v[5:6], v15 offset0:67 offset1:68
	ds_read2st64_b32 v[7:8], v15 offset0:69 offset1:70
	ds_read2st64_b32 v[9:10], v15 offset0:71 offset1:72
	ds_read2st64_b32 v[13:14], v15 offset0:73 offset1:74
	s_waitcnt lgkmcnt(4)
	v_add_f32_e32 v3, v12, v3
	v_add_f32_e32 v3, v3, v4
	s_waitcnt lgkmcnt(3)
	v_add_f32_e32 v3, v3, v5
	v_add_f32_e32 v3, v3, v6
	s_waitcnt lgkmcnt(2)
	v_add_f32_e32 v3, v3, v7
	v_add_f32_e32 v3, v3, v8
	s_waitcnt lgkmcnt(1)
	v_add_f32_e32 v3, v3, v9
	v_add_f32_e32 v7, v3, v10
	ds_read2st64_b32 v[3:4], v15 offset0:75 offset1:76
	ds_read2st64_b32 v[5:6], v15 offset0:77 offset1:78
	ds_read_b32 v8, v15 offset:20224
	s_waitcnt lgkmcnt(3)
	v_add_f32_e32 v7, v7, v13
	v_add_f32_e32 v7, v7, v14
	s_waitcnt lgkmcnt(2)
	v_add_f32_e32 v3, v7, v3
	v_add_f32_e32 v3, v3, v4
	;; [unrolled: 3-line block ×3, first 2 shown]
	s_waitcnt lgkmcnt(0)
	v_add_f32_e32 v3, v3, v8
	v_cndmask_b32_e64 v12, -v3, 0, s[14:15]
.LBB22_1063:
	s_or_b64 exec, exec, s[6:7]
	s_andn2_b64 vcc, exec, s[4:5]
	s_cbranch_vccnz .LBB22_1076
; %bb.1064:
	v_mov_b32_e32 v3, 0x5000
	v_lshl_or_b32 v4, v2, 2, v3
	s_and_saveexec_b64 s[4:5], s[0:1]
; %bb.1065:
	v_lshl_add_u32 v3, v0, 2, v4
	ds_write_b32 v3, v12
; %bb.1066:
	s_or_b64 exec, exec, s[4:5]
	v_cmp_ge_u32_e32 vcc, v0, v2
	v_mov_b32_e32 v3, 0
	s_waitcnt lgkmcnt(0)
	s_barrier
	s_and_saveexec_b64 s[4:5], vcc
	s_cbranch_execz .LBB22_1068
; %bb.1067:
	ds_read_b32 v3, v1
	ds_read_b32 v5, v4
	s_waitcnt lgkmcnt(0)
	v_fma_f32 v3, v3, v5, 0
.LBB22_1068:
	s_or_b64 exec, exec, s[4:5]
	v_add_u32_e32 v5, 16, v2
	v_cmp_ge_u32_e32 vcc, v0, v5
	s_and_saveexec_b64 s[4:5], vcc
	s_cbranch_execz .LBB22_1070
; %bb.1069:
	ds_read_b32 v5, v1 offset:4096
	ds_read_b32 v6, v4 offset:64
	s_waitcnt lgkmcnt(0)
	v_fmac_f32_e32 v3, v5, v6
.LBB22_1070:
	s_or_b64 exec, exec, s[4:5]
	v_add_u32_e32 v5, 32, v2
	v_cmp_ge_u32_e32 vcc, v0, v5
	s_and_saveexec_b64 s[4:5], vcc
	s_cbranch_execz .LBB22_1072
; %bb.1071:
	ds_read_b32 v5, v1 offset:8192
	ds_read_b32 v6, v4 offset:128
	s_waitcnt lgkmcnt(0)
	v_fmac_f32_e32 v3, v5, v6
.LBB22_1072:
	s_or_b64 exec, exec, s[4:5]
	v_add_u32_e32 v2, 48, v2
	v_add_u32_e32 v5, 0x4000, v1
	v_cmp_ge_u32_e32 vcc, v0, v2
	s_and_saveexec_b64 s[4:5], vcc
	s_cbranch_execz .LBB22_1074
; %bb.1073:
	ds_read_b32 v1, v1 offset:12288
	ds_read_b32 v2, v4 offset:192
	s_waitcnt lgkmcnt(0)
	v_fmac_f32_e32 v3, v1, v2
.LBB22_1074:
	s_or_b64 exec, exec, s[4:5]
	s_mov_b64 s[6:7], 0
	s_mov_b64 s[4:5], 0
	ds_write_b32 v5, v3
	s_waitcnt lgkmcnt(0)
	s_barrier
                                        ; implicit-def: $vgpr4
                                        ; implicit-def: $vgpr1_vgpr2
	s_and_saveexec_b64 s[8:9], s[0:1]
	s_cbranch_execz .LBB22_1133
; %bb.1075:
	v_lshlrev_b32_e32 v10, 2, v0
	ds_read2st64_b32 v[1:2], v10 offset0:65 offset1:66
	ds_read2st64_b32 v[4:5], v10 offset0:67 offset1:68
	;; [unrolled: 1-line block ×4, first 2 shown]
	s_mov_b64 s[4:5], exec
	s_waitcnt lgkmcnt(3)
	v_add_f32_e32 v1, v3, v1
	v_add_f32_e32 v1, v2, v1
	s_waitcnt lgkmcnt(2)
	v_add_f32_e32 v1, v4, v1
	v_add_f32_e32 v1, v5, v1
	ds_read2st64_b32 v[2:3], v10 offset0:73 offset1:74
	s_waitcnt lgkmcnt(2)
	v_add_f32_e32 v1, v6, v1
	v_add_f32_e32 v1, v7, v1
	s_waitcnt lgkmcnt(1)
	v_add_f32_e32 v1, v8, v1
	v_add_f32_e32 v1, v9, v1
	ds_read2st64_b32 v[4:5], v10 offset0:75 offset1:76
	ds_read2st64_b32 v[6:7], v10 offset0:77 offset1:78
	ds_read_b32 v8, v10 offset:20224
	v_add_u32_e32 v10, s33, v11
	s_waitcnt lgkmcnt(3)
	v_add_f32_e32 v9, v2, v1
	v_mad_u64_u32 v[1:2], s[10:11], s12, v10, 0
	v_add_f32_e32 v3, v3, v9
	s_waitcnt lgkmcnt(2)
	v_add_f32_e32 v3, v4, v3
	v_add_f32_e32 v4, v5, v3
	v_mad_u64_u32 v[2:3], s[10:11], s13, v10, v[2:3]
	s_waitcnt lgkmcnt(1)
	v_add_f32_e32 v3, v6, v4
	v_add_f32_e32 v3, v7, v3
	s_waitcnt lgkmcnt(0)
	v_add_f32_e32 v4, v8, v3
	s_or_b64 exec, exec, s[8:9]
	s_and_b64 vcc, exec, s[6:7]
	s_cbranch_vccnz .LBB22_1077
	s_branch .LBB22_1134
.LBB22_1076:
	s_mov_b64 s[4:5], 0
                                        ; implicit-def: $vgpr4
                                        ; implicit-def: $vgpr1_vgpr2
	s_cbranch_execz .LBB22_1134
.LBB22_1077:
	v_mul_u32_u24_e32 v1, 0x104, v0
	v_lshlrev_b32_e32 v2, 8, v0
	v_sub_u32_e32 v2, v1, v2
	s_mov_b32 s8, 0
	v_mov_b32_e32 v3, 0
	v_mov_b32_e32 v4, v0
	s_branch .LBB22_1079
.LBB22_1078:                            ;   in Loop: Header=BB22_1079 Depth=1
	s_or_b64 exec, exec, s[6:7]
	s_add_i32 s8, s8, 4
	v_add_u32_e32 v2, 0x400, v2
	s_cmp_lg_u32 s8, 64
	v_add_u32_e32 v4, -4, v4
	s_barrier
	s_cbranch_scc0 .LBB22_1095
.LBB22_1079:                            ; =>This Inner Loop Header: Depth=1
	v_cmp_eq_u32_e32 vcc, 0, v4
	s_and_b64 s[10:11], s[0:1], vcc
	s_and_saveexec_b64 s[6:7], s[10:11]
	s_cbranch_execz .LBB22_1081
; %bb.1080:                             ;   in Loop: Header=BB22_1079 Depth=1
	ds_read_b32 v5, v1
	s_waitcnt lgkmcnt(0)
	v_mul_f32_e32 v12, v12, v5
	ds_write_b32 v3, v12 offset:20736
.LBB22_1081:                            ;   in Loop: Header=BB22_1079 Depth=1
	s_or_b64 exec, exec, s[6:7]
	v_cmp_lt_u32_e32 vcc, s8, v0
	s_and_b64 s[10:11], s[0:1], vcc
	s_waitcnt lgkmcnt(0)
	s_barrier
	s_and_saveexec_b64 s[6:7], s[10:11]
	s_cbranch_execz .LBB22_1083
; %bb.1082:                             ;   in Loop: Header=BB22_1079 Depth=1
	ds_read_b32 v5, v2
	ds_read_b32 v6, v3 offset:20736
	s_waitcnt lgkmcnt(0)
	v_fmac_f32_e32 v12, v5, v6
.LBB22_1083:                            ;   in Loop: Header=BB22_1079 Depth=1
	s_or_b64 exec, exec, s[6:7]
	s_or_b32 s9, s8, 1
	v_cmp_eq_u32_e32 vcc, s9, v0
	s_and_b64 s[10:11], s[0:1], vcc
	s_barrier
	s_and_saveexec_b64 s[6:7], s[10:11]
	s_cbranch_execz .LBB22_1085
; %bb.1084:                             ;   in Loop: Header=BB22_1079 Depth=1
	ds_read_b32 v5, v1
	s_waitcnt lgkmcnt(0)
	v_mul_f32_e32 v12, v12, v5
	ds_write_b32 v3, v12 offset:20736
.LBB22_1085:                            ;   in Loop: Header=BB22_1079 Depth=1
	s_or_b64 exec, exec, s[6:7]
	v_cmp_lt_u32_e32 vcc, s9, v0
	s_and_b64 s[10:11], s[0:1], vcc
	s_waitcnt lgkmcnt(0)
	s_barrier
	s_and_saveexec_b64 s[6:7], s[10:11]
	s_cbranch_execz .LBB22_1087
; %bb.1086:                             ;   in Loop: Header=BB22_1079 Depth=1
	ds_read_b32 v5, v2 offset:256
	ds_read_b32 v6, v3 offset:20736
	s_waitcnt lgkmcnt(0)
	v_fmac_f32_e32 v12, v5, v6
.LBB22_1087:                            ;   in Loop: Header=BB22_1079 Depth=1
	s_or_b64 exec, exec, s[6:7]
	s_or_b32 s9, s8, 2
	v_cmp_eq_u32_e32 vcc, s9, v0
	s_and_b64 s[10:11], s[0:1], vcc
	s_barrier
	s_and_saveexec_b64 s[6:7], s[10:11]
	s_cbranch_execz .LBB22_1089
; %bb.1088:                             ;   in Loop: Header=BB22_1079 Depth=1
	ds_read_b32 v5, v1
	s_waitcnt lgkmcnt(0)
	v_mul_f32_e32 v12, v12, v5
	ds_write_b32 v3, v12 offset:20736
.LBB22_1089:                            ;   in Loop: Header=BB22_1079 Depth=1
	s_or_b64 exec, exec, s[6:7]
	v_cmp_lt_u32_e32 vcc, s9, v0
	s_and_b64 s[10:11], s[0:1], vcc
	s_waitcnt lgkmcnt(0)
	s_barrier
	s_and_saveexec_b64 s[6:7], s[10:11]
	s_cbranch_execz .LBB22_1091
; %bb.1090:                             ;   in Loop: Header=BB22_1079 Depth=1
	ds_read_b32 v5, v2 offset:512
	ds_read_b32 v6, v3 offset:20736
	s_waitcnt lgkmcnt(0)
	v_fmac_f32_e32 v12, v5, v6
.LBB22_1091:                            ;   in Loop: Header=BB22_1079 Depth=1
	s_or_b64 exec, exec, s[6:7]
	s_or_b32 s9, s8, 3
	v_cmp_eq_u32_e32 vcc, s9, v0
	s_and_b64 s[10:11], s[0:1], vcc
	s_barrier
	s_and_saveexec_b64 s[6:7], s[10:11]
	s_cbranch_execz .LBB22_1093
; %bb.1092:                             ;   in Loop: Header=BB22_1079 Depth=1
	ds_read_b32 v5, v1
	s_waitcnt lgkmcnt(0)
	v_mul_f32_e32 v12, v12, v5
	ds_write_b32 v3, v12 offset:20736
.LBB22_1093:                            ;   in Loop: Header=BB22_1079 Depth=1
	s_or_b64 exec, exec, s[6:7]
	v_cmp_lt_u32_e32 vcc, s9, v0
	s_and_b64 s[10:11], s[0:1], vcc
	s_waitcnt lgkmcnt(0)
	s_barrier
	s_and_saveexec_b64 s[6:7], s[10:11]
	s_cbranch_execz .LBB22_1078
; %bb.1094:                             ;   in Loop: Header=BB22_1079 Depth=1
	ds_read_b32 v5, v2 offset:768
	ds_read_b32 v6, v3 offset:20736
	s_waitcnt lgkmcnt(0)
	v_fmac_f32_e32 v12, v5, v6
	s_branch .LBB22_1078
.LBB22_1095:
	s_and_b64 vcc, exec, s[2:3]
	s_cbranch_vccz .LBB22_1135
; %bb.1096:
	s_and_b64 s[2:3], s[0:1], exec
	s_cbranch_execz .LBB22_1136
	s_branch .LBB22_1137
.LBB22_1097:
	v_cmp_ne_u32_e32 vcc, v0, v2
	s_and_saveexec_b64 s[8:9], vcc
	s_xor_b64 s[8:9], exec, s[8:9]
; %bb.1098:
	v_or_b32_e32 v1, v2, v0
	v_cmp_gt_u32_e32 vcc, 64, v1
	s_and_b64 s[2:3], vcc, exec
                                        ; implicit-def: $vgpr5_vgpr6
; %bb.1099:
	s_or_saveexec_b64 s[8:9], s[8:9]
	v_mov_b32_e32 v1, 0
	s_xor_b64 exec, exec, s[8:9]
	s_cbranch_execz .LBB22_1101
; %bb.1100:
	v_lshlrev_b64 v[5:6], 2, v[5:6]
	v_mov_b32_e32 v1, s92
	v_add_co_u32_e32 v5, vcc, s91, v5
	v_addc_co_u32_e32 v6, vcc, v1, v6, vcc
	global_load_dword v1, v[5:6], off
	s_or_b64 s[2:3], s[2:3], exec
	s_waitcnt vmcnt(0)
	v_div_scale_f32 v5, s[10:11], v1, v1, 1.0
	v_div_scale_f32 v6, vcc, 1.0, v1, 1.0
	v_rcp_f32_e32 v11, v5
	v_fma_f32 v12, -v5, v11, 1.0
	v_fmac_f32_e32 v11, v12, v11
	v_mul_f32_e32 v12, v6, v11
	v_fma_f32 v13, -v5, v12, v6
	v_fmac_f32_e32 v12, v13, v11
	v_fma_f32 v5, -v5, v12, v6
	v_div_fmas_f32 v5, v5, v11, v12
	v_div_fixup_f32 v1, v5, v1, 1.0
.LBB22_1101:
	s_or_b64 exec, exec, s[8:9]
	s_and_b64 s[2:3], s[2:3], exec
                                        ; implicit-def: $vgpr5_vgpr6
	s_andn2_saveexec_b64 s[0:1], s[0:1]
	s_cbranch_execz .LBB22_14
.LBB22_1102:
	v_lshlrev_b64 v[5:6], 2, v[5:6]
	v_mov_b32_e32 v1, s92
	v_add_co_u32_e32 v5, vcc, s91, v5
	v_addc_co_u32_e32 v6, vcc, v1, v6, vcc
	global_load_dword v1, v[5:6], off
	s_or_b64 s[2:3], s[2:3], exec
	s_waitcnt vmcnt(0)
	v_xor_b32_e32 v1, 0x80000000, v1
	s_or_b64 exec, exec, s[0:1]
	s_and_saveexec_b64 s[0:1], s[2:3]
	s_cbranch_execnz .LBB22_15
	s_branch .LBB22_16
.LBB22_1103:
	v_cmp_ne_u32_e32 vcc, v0, v1
	s_and_saveexec_b64 s[8:9], vcc
	s_xor_b64 s[8:9], exec, s[8:9]
; %bb.1104:
	v_or_b32_e32 v5, v1, v0
	v_cmp_gt_u32_e32 vcc, 64, v5
	s_and_b64 s[2:3], vcc, exec
                                        ; implicit-def: $vgpr5_vgpr6
; %bb.1105:
	s_or_saveexec_b64 s[8:9], s[8:9]
	v_mov_b32_e32 v11, 0
	s_xor_b64 exec, exec, s[8:9]
	s_cbranch_execz .LBB22_1107
; %bb.1106:
	v_lshlrev_b64 v[5:6], 2, v[5:6]
	v_mov_b32_e32 v11, s92
	v_add_co_u32_e32 v5, vcc, s91, v5
	v_addc_co_u32_e32 v6, vcc, v11, v6, vcc
	global_load_dword v5, v[5:6], off
	s_or_b64 s[2:3], s[2:3], exec
	s_waitcnt vmcnt(0)
	v_div_scale_f32 v6, s[10:11], v5, v5, 1.0
	v_div_scale_f32 v11, vcc, 1.0, v5, 1.0
	v_rcp_f32_e32 v12, v6
	v_fma_f32 v13, -v6, v12, 1.0
	v_fmac_f32_e32 v12, v13, v12
	v_mul_f32_e32 v13, v11, v12
	v_fma_f32 v14, -v6, v13, v11
	v_fmac_f32_e32 v13, v14, v12
	v_fma_f32 v6, -v6, v13, v11
	v_div_fmas_f32 v6, v6, v12, v13
	v_div_fixup_f32 v11, v6, v5, 1.0
.LBB22_1107:
	s_or_b64 exec, exec, s[8:9]
	s_and_b64 s[2:3], s[2:3], exec
                                        ; implicit-def: $vgpr5_vgpr6
	s_andn2_saveexec_b64 s[0:1], s[0:1]
	s_cbranch_execz .LBB22_18
.LBB22_1108:
	v_lshlrev_b64 v[5:6], 2, v[5:6]
	v_mov_b32_e32 v11, s92
	v_add_co_u32_e32 v5, vcc, s91, v5
	v_addc_co_u32_e32 v6, vcc, v11, v6, vcc
	global_load_dword v5, v[5:6], off
	s_or_b64 s[2:3], s[2:3], exec
	s_waitcnt vmcnt(0)
	v_xor_b32_e32 v11, 0x80000000, v5
	s_or_b64 exec, exec, s[0:1]
	s_and_saveexec_b64 s[0:1], s[2:3]
	s_cbranch_execnz .LBB22_19
	s_branch .LBB22_20
.LBB22_1109:
	v_cmp_ne_u32_e32 vcc, v0, v1
	s_and_saveexec_b64 s[8:9], vcc
	s_xor_b64 s[8:9], exec, s[8:9]
; %bb.1110:
	v_or_b32_e32 v5, v1, v0
	v_cmp_gt_u32_e32 vcc, 64, v5
	s_and_b64 s[2:3], vcc, exec
                                        ; implicit-def: $vgpr5_vgpr6
; %bb.1111:
	s_or_saveexec_b64 s[8:9], s[8:9]
	v_mov_b32_e32 v11, 0
	s_xor_b64 exec, exec, s[8:9]
	s_cbranch_execz .LBB22_1113
; %bb.1112:
	v_lshlrev_b64 v[5:6], 2, v[5:6]
	v_mov_b32_e32 v11, s92
	v_add_co_u32_e32 v5, vcc, s91, v5
	v_addc_co_u32_e32 v6, vcc, v11, v6, vcc
	global_load_dword v5, v[5:6], off
	s_or_b64 s[2:3], s[2:3], exec
	s_waitcnt vmcnt(0)
	v_div_scale_f32 v6, s[10:11], v5, v5, 1.0
	v_div_scale_f32 v11, vcc, 1.0, v5, 1.0
	v_rcp_f32_e32 v12, v6
	v_fma_f32 v13, -v6, v12, 1.0
	v_fmac_f32_e32 v12, v13, v12
	v_mul_f32_e32 v13, v11, v12
	v_fma_f32 v14, -v6, v13, v11
	v_fmac_f32_e32 v13, v14, v12
	v_fma_f32 v6, -v6, v13, v11
	v_div_fmas_f32 v6, v6, v12, v13
	v_div_fixup_f32 v11, v6, v5, 1.0
.LBB22_1113:
	s_or_b64 exec, exec, s[8:9]
	s_and_b64 s[2:3], s[2:3], exec
                                        ; implicit-def: $vgpr5_vgpr6
	s_andn2_saveexec_b64 s[0:1], s[0:1]
	s_cbranch_execz .LBB22_22
.LBB22_1114:
	v_lshlrev_b64 v[5:6], 2, v[5:6]
	v_mov_b32_e32 v11, s92
	v_add_co_u32_e32 v5, vcc, s91, v5
	v_addc_co_u32_e32 v6, vcc, v11, v6, vcc
	global_load_dword v5, v[5:6], off
	s_or_b64 s[2:3], s[2:3], exec
	s_waitcnt vmcnt(0)
	v_xor_b32_e32 v11, 0x80000000, v5
	s_or_b64 exec, exec, s[0:1]
	s_and_saveexec_b64 s[0:1], s[2:3]
	s_cbranch_execnz .LBB22_23
	s_branch .LBB22_24
.LBB22_1115:
	v_cmp_ne_u32_e32 vcc, v0, v2
	s_xor_b64 s[10:11], s[0:1], -1
	s_or_b64 s[12:13], s[10:11], vcc
	s_mov_b64 s[10:11], 0
	s_and_saveexec_b64 s[14:15], s[12:13]
	s_xor_b64 s[12:13], exec, s[14:15]
; %bb.1116:
	v_or_b32_e32 v1, v2, v0
	v_cmp_gt_u32_e32 vcc, 64, v1
	s_and_b64 s[10:11], vcc, exec
                                        ; implicit-def: $vgpr5_vgpr6
; %bb.1117:
	s_or_saveexec_b64 s[12:13], s[12:13]
	v_mov_b32_e32 v1, 0
	s_xor_b64 exec, exec, s[12:13]
	s_cbranch_execz .LBB22_1119
; %bb.1118:
	v_lshlrev_b64 v[5:6], 2, v[5:6]
	v_mov_b32_e32 v1, s92
	v_add_co_u32_e32 v5, vcc, s91, v5
	v_addc_co_u32_e32 v6, vcc, v1, v6, vcc
	global_load_dword v1, v[5:6], off
	s_or_b64 s[10:11], s[10:11], exec
	s_waitcnt vmcnt(0)
	v_div_scale_f32 v5, s[14:15], v1, v1, 1.0
	v_div_scale_f32 v6, vcc, 1.0, v1, 1.0
	v_rcp_f32_e32 v11, v5
	v_fma_f32 v12, -v5, v11, 1.0
	v_fmac_f32_e32 v11, v12, v11
	v_mul_f32_e32 v12, v6, v11
	v_fma_f32 v13, -v5, v12, v6
	v_fmac_f32_e32 v12, v13, v11
	v_fma_f32 v5, -v5, v12, v6
	v_div_fmas_f32 v5, v5, v11, v12
	v_div_fixup_f32 v1, v5, v1, 1.0
.LBB22_1119:
	s_or_b64 exec, exec, s[12:13]
	s_and_b64 s[10:11], s[10:11], exec
                                        ; implicit-def: $vgpr5_vgpr6
	s_andn2_saveexec_b64 s[2:3], s[2:3]
	s_cbranch_execz .LBB22_36
.LBB22_1120:
	v_lshlrev_b64 v[5:6], 2, v[5:6]
	v_mov_b32_e32 v1, s92
	v_add_co_u32_e32 v5, vcc, s91, v5
	v_addc_co_u32_e32 v6, vcc, v1, v6, vcc
	global_load_dword v1, v[5:6], off
	s_or_b64 s[10:11], s[10:11], exec
	s_waitcnt vmcnt(0)
	v_xor_b32_e32 v1, 0x80000000, v1
	s_or_b64 exec, exec, s[2:3]
	s_and_saveexec_b64 s[2:3], s[10:11]
	s_cbranch_execnz .LBB22_37
	s_branch .LBB22_38
.LBB22_1121:
	v_cmp_ne_u32_e32 vcc, v0, v1
	s_xor_b64 s[10:11], s[0:1], -1
	s_or_b64 s[12:13], s[10:11], vcc
	s_mov_b64 s[10:11], 0
	s_and_saveexec_b64 s[14:15], s[12:13]
	s_xor_b64 s[12:13], exec, s[14:15]
; %bb.1122:
	v_or_b32_e32 v5, v1, v0
	v_cmp_gt_u32_e32 vcc, 64, v5
	s_and_b64 s[10:11], vcc, exec
                                        ; implicit-def: $vgpr5_vgpr6
; %bb.1123:
	s_or_saveexec_b64 s[12:13], s[12:13]
	v_mov_b32_e32 v11, 0
	s_xor_b64 exec, exec, s[12:13]
	s_cbranch_execz .LBB22_1125
; %bb.1124:
	v_lshlrev_b64 v[5:6], 2, v[5:6]
	v_mov_b32_e32 v11, s92
	v_add_co_u32_e32 v5, vcc, s91, v5
	v_addc_co_u32_e32 v6, vcc, v11, v6, vcc
	global_load_dword v5, v[5:6], off
	s_or_b64 s[10:11], s[10:11], exec
	s_waitcnt vmcnt(0)
	v_div_scale_f32 v6, s[14:15], v5, v5, 1.0
	v_div_scale_f32 v11, vcc, 1.0, v5, 1.0
	v_rcp_f32_e32 v12, v6
	v_fma_f32 v13, -v6, v12, 1.0
	v_fmac_f32_e32 v12, v13, v12
	v_mul_f32_e32 v13, v11, v12
	v_fma_f32 v14, -v6, v13, v11
	v_fmac_f32_e32 v13, v14, v12
	v_fma_f32 v6, -v6, v13, v11
	v_div_fmas_f32 v6, v6, v12, v13
	v_div_fixup_f32 v11, v6, v5, 1.0
.LBB22_1125:
	s_or_b64 exec, exec, s[12:13]
	s_and_b64 s[10:11], s[10:11], exec
                                        ; implicit-def: $vgpr5_vgpr6
	s_andn2_saveexec_b64 s[2:3], s[2:3]
	s_cbranch_execz .LBB22_40
.LBB22_1126:
	v_lshlrev_b64 v[5:6], 2, v[5:6]
	v_mov_b32_e32 v11, s92
	v_add_co_u32_e32 v5, vcc, s91, v5
	v_addc_co_u32_e32 v6, vcc, v11, v6, vcc
	global_load_dword v5, v[5:6], off
	s_or_b64 s[10:11], s[10:11], exec
	s_waitcnt vmcnt(0)
	v_xor_b32_e32 v11, 0x80000000, v5
	s_or_b64 exec, exec, s[2:3]
	s_and_saveexec_b64 s[2:3], s[10:11]
	s_cbranch_execnz .LBB22_41
	s_branch .LBB22_42
.LBB22_1127:
	v_cmp_ne_u32_e32 vcc, v0, v1
	s_xor_b64 s[10:11], s[0:1], -1
	s_or_b64 s[12:13], s[10:11], vcc
	s_mov_b64 s[10:11], 0
	s_and_saveexec_b64 s[14:15], s[12:13]
	s_xor_b64 s[12:13], exec, s[14:15]
; %bb.1128:
	v_or_b32_e32 v5, v1, v0
	v_cmp_gt_u32_e32 vcc, 64, v5
	s_and_b64 s[10:11], vcc, exec
                                        ; implicit-def: $vgpr5_vgpr6
; %bb.1129:
	s_or_saveexec_b64 s[12:13], s[12:13]
	v_mov_b32_e32 v11, 0
	s_xor_b64 exec, exec, s[12:13]
	s_cbranch_execz .LBB22_1131
; %bb.1130:
	v_lshlrev_b64 v[5:6], 2, v[5:6]
	v_mov_b32_e32 v11, s92
	v_add_co_u32_e32 v5, vcc, s91, v5
	v_addc_co_u32_e32 v6, vcc, v11, v6, vcc
	global_load_dword v5, v[5:6], off
	s_or_b64 s[10:11], s[10:11], exec
	s_waitcnt vmcnt(0)
	v_div_scale_f32 v6, s[14:15], v5, v5, 1.0
	v_div_scale_f32 v11, vcc, 1.0, v5, 1.0
	v_rcp_f32_e32 v12, v6
	v_fma_f32 v13, -v6, v12, 1.0
	v_fmac_f32_e32 v12, v13, v12
	v_mul_f32_e32 v13, v11, v12
	v_fma_f32 v14, -v6, v13, v11
	v_fmac_f32_e32 v13, v14, v12
	v_fma_f32 v6, -v6, v13, v11
	v_div_fmas_f32 v6, v6, v12, v13
	v_div_fixup_f32 v11, v6, v5, 1.0
.LBB22_1131:
	s_or_b64 exec, exec, s[12:13]
	s_and_b64 s[10:11], s[10:11], exec
                                        ; implicit-def: $vgpr5_vgpr6
	s_andn2_saveexec_b64 s[2:3], s[2:3]
	s_cbranch_execz .LBB22_44
.LBB22_1132:
	v_lshlrev_b64 v[5:6], 2, v[5:6]
	v_mov_b32_e32 v11, s92
	v_add_co_u32_e32 v5, vcc, s91, v5
	v_addc_co_u32_e32 v6, vcc, v11, v6, vcc
	global_load_dword v5, v[5:6], off
	s_or_b64 s[10:11], s[10:11], exec
	s_waitcnt vmcnt(0)
	v_xor_b32_e32 v11, 0x80000000, v5
	s_or_b64 exec, exec, s[2:3]
	s_and_saveexec_b64 s[2:3], s[10:11]
	s_cbranch_execnz .LBB22_45
	s_branch .LBB22_46
.LBB22_1133:
	s_or_b64 exec, exec, s[8:9]
	s_and_b64 vcc, exec, s[6:7]
	s_cbranch_vccnz .LBB22_1077
.LBB22_1134:
	v_mov_b32_e32 v12, v4
	s_and_saveexec_b64 s[0:1], s[4:5]
	s_cbranch_execnz .LBB22_1140
	s_branch .LBB22_1141
.LBB22_1135:
	s_mov_b64 s[2:3], 0
.LBB22_1136:
	v_cmp_gt_i32_e32 vcc, s90, v0
	s_and_b64 s[0:1], s[0:1], vcc
	s_andn2_b64 s[2:3], s[2:3], exec
	s_and_b64 s[0:1], s[0:1], exec
	s_or_b64 s[2:3], s[2:3], s[0:1]
.LBB22_1137:
                                        ; implicit-def: $vgpr1_vgpr2
	s_and_saveexec_b64 s[0:1], s[2:3]
	s_cbranch_execz .LBB22_1139
; %bb.1138:
	v_readlane_b32 s2, v33, 0
	v_mov_b32_e32 v0, s2
	v_add_co_u32_e32 v1, vcc, s33, v11
	v_addc_co_u32_e32 v0, vcc, 0, v0, vcc
	v_mul_lo_u32 v0, v0, s12
	v_mul_lo_u32 v3, v1, s13
	v_mad_u64_u32 v[1:2], s[2:3], v1, s12, 0
	s_or_b64 s[4:5], s[4:5], exec
	v_add3_u32 v2, v2, v3, v0
.LBB22_1139:
	s_or_b64 exec, exec, s[0:1]
	s_and_saveexec_b64 s[0:1], s[4:5]
	s_cbranch_execz .LBB22_1141
.LBB22_1140:
	v_lshlrev_b64 v[0:1], 2, v[1:2]
	v_mov_b32_e32 v2, s37
	v_add_co_u32_e32 v0, vcc, s36, v0
	v_addc_co_u32_e32 v1, vcc, v2, v1, vcc
	global_store_dword v[0:1], v12, off
.LBB22_1141:
	s_or_b64 exec, exec, s[0:1]
	v_cmp_eq_u32_e32 vcc, 0, v11
	s_waitcnt vmcnt(0)
	buffer_wbinvl1_vol
	s_barrier
	s_and_saveexec_b64 s[0:1], vcc
	s_cbranch_execz .LBB22_1143
; %bb.1142:
	s_lshl_b64 s[2:3], s[24:25], 2
	s_add_u32 s2, s16, s2
	s_addc_u32 s3, s17, s3
	v_mov_b32_e32 v0, 0
	global_load_dword v1, v0, s[2:3]
	s_waitcnt vmcnt(0)
	v_add_u32_e32 v1, 1, v1
	global_store_dword v0, v1, s[2:3]
.LBB22_1143:
	s_or_b64 exec, exec, s[0:1]
	s_waitcnt vmcnt(0)
	buffer_wbinvl1_vol
	s_endpgm
.LBB22_1144:
	v_lshlrev_b32_e32 v16, 2, v14
	v_sub_u32_e32 v16, v15, v16
	v_lshl_add_u32 v16, v13, 2, v16
	ds_read_b32 v16, v16 offset:272
	ds_read_b32 v17, v15 offset:4
	s_waitcnt lgkmcnt(0)
	v_fmac_f32_e32 v12, v16, v17
	s_or_b64 exec, exec, s[14:15]
	v_cmp_gt_u32_e64 s[10:11], 8, v4
	s_and_saveexec_b64 s[14:15], s[10:11]
	s_cbranch_execz .LBB22_77
.LBB22_1145:
	ds_read_b32 v16, v6 offset:528
	ds_read_b32 v15, v15 offset:8
	s_waitcnt lgkmcnt(0)
	v_fmac_f32_e32 v12, v16, v15
	s_or_b64 exec, exec, s[14:15]
	v_cmp_gt_u32_e64 s[10:11], 4, v4
	s_and_saveexec_b64 s[14:15], s[10:11]
	s_cbranch_execnz .LBB22_78
	s_branch .LBB22_79
.LBB22_1146:
	v_lshlrev_b32_e32 v21, 2, v19
	v_sub_u32_e32 v21, v20, v21
	v_lshl_add_u32 v21, v18, 2, v21
	ds_read_b32 v21, v21 offset:288
	ds_read_b32 v22, v20 offset:4
	s_waitcnt lgkmcnt(0)
	v_fmac_f32_e32 v17, v21, v22
	s_or_b64 exec, exec, s[16:17]
	v_cmp_gt_u32_e64 s[10:11], 48, v4
	s_and_saveexec_b64 s[16:17], s[10:11]
	s_cbranch_execz .LBB22_115
.LBB22_1147:
	v_lshlrev_b32_e32 v21, 2, v19
	v_sub_u32_e32 v21, v20, v21
	v_lshl_add_u32 v21, v18, 2, v21
	ds_read_b32 v21, v21 offset:544
	ds_read_b32 v22, v20 offset:8
	s_waitcnt lgkmcnt(0)
	v_fmac_f32_e32 v17, v21, v22
	s_or_b64 exec, exec, s[16:17]
	v_cmp_gt_u32_e64 s[10:11], 40, v4
	s_and_saveexec_b64 s[16:17], s[10:11]
	s_cbranch_execz .LBB22_116
.LBB22_1148:
	v_lshlrev_b32_e32 v21, 2, v19
	v_sub_u32_e32 v21, v20, v21
	v_lshl_add_u32 v21, v18, 2, v21
	ds_read_b32 v21, v21 offset:800
	ds_read_b32 v22, v20 offset:12
	s_waitcnt lgkmcnt(0)
	v_fmac_f32_e32 v17, v21, v22
	s_or_b64 exec, exec, s[16:17]
	v_cmp_gt_u32_e64 s[10:11], 32, v4
	s_and_saveexec_b64 s[16:17], s[10:11]
	s_cbranch_execz .LBB22_117
.LBB22_1149:
	ds_read_b32 v21, v15 offset:1056
	ds_read_b32 v22, v20 offset:16
	s_waitcnt lgkmcnt(0)
	v_fmac_f32_e32 v17, v21, v22
	s_or_b64 exec, exec, s[16:17]
	v_cmp_gt_u32_e64 s[10:11], 24, v4
	s_and_saveexec_b64 s[16:17], s[10:11]
	s_cbranch_execz .LBB22_118
.LBB22_1150:
	v_lshlrev_b32_e32 v21, 2, v19
	v_sub_u32_e32 v21, v20, v21
	v_lshl_add_u32 v21, v18, 2, v21
	ds_read_b32 v21, v21 offset:1312
	ds_read_b32 v22, v20 offset:20
	s_waitcnt lgkmcnt(0)
	v_fmac_f32_e32 v17, v21, v22
	s_or_b64 exec, exec, s[16:17]
	v_cmp_gt_u32_e64 s[10:11], 16, v4
	s_and_saveexec_b64 s[16:17], s[10:11]
	s_cbranch_execz .LBB22_119
.LBB22_1151:
	ds_read_b32 v21, v15 offset:1568
	ds_read_b32 v20, v20 offset:24
	s_waitcnt lgkmcnt(0)
	v_fmac_f32_e32 v17, v21, v20
	s_or_b64 exec, exec, s[16:17]
	v_cmp_gt_u32_e64 s[10:11], 8, v4
	s_and_saveexec_b64 s[16:17], s[10:11]
	s_cbranch_execnz .LBB22_120
	s_branch .LBB22_121
.LBB22_1152:
	v_lshlrev_b32_e32 v22, 2, v14
	v_sub_u32_e32 v22, v21, v22
	v_lshl_add_u32 v22, v13, 2, v22
	ds_read_b32 v22, v22 offset:2352
	ds_read_b32 v23, v21 offset:2084
	s_waitcnt lgkmcnt(0)
	v_fmac_f32_e32 v20, v22, v23
	s_or_b64 exec, exec, s[12:13]
	v_cmp_gt_u32_e64 s[8:9], 8, v4
	s_and_saveexec_b64 s[12:13], s[8:9]
	s_cbranch_execz .LBB22_173
.LBB22_1153:
	ds_read_b32 v22, v6 offset:2608
	ds_read_b32 v21, v21 offset:2088
	s_waitcnt lgkmcnt(0)
	v_fmac_f32_e32 v20, v22, v21
	s_or_b64 exec, exec, s[12:13]
	v_cmp_gt_u32_e64 s[8:9], 4, v4
	s_and_saveexec_b64 s[12:13], s[8:9]
	s_cbranch_execnz .LBB22_174
	s_branch .LBB22_175
.LBB22_1154:
	v_lshlrev_b32_e32 v26, 2, v21
	v_lshl_add_u32 v26, v23, 2, v26
	ds_read_b32 v26, v26 offset:2880
	ds_read_b32 v27, v25 offset:44
	s_waitcnt lgkmcnt(0)
	v_fmac_f32_e32 v22, v26, v27
	s_or_b64 exec, exec, s[72:73]
	v_cmp_gt_u32_e64 s[12:13], 64, v4
	s_and_saveexec_b64 s[72:73], s[12:13]
	s_cbranch_execz .LBB22_231
.LBB22_1155:
	ds_read_b32 v26, v20 offset:3136
	ds_read_b32 v27, v25 offset:48
	s_waitcnt lgkmcnt(0)
	v_fmac_f32_e32 v22, v26, v27
	s_or_b64 exec, exec, s[72:73]
	v_cmp_gt_u32_e64 s[12:13], 48, v4
	s_and_saveexec_b64 s[72:73], s[12:13]
	s_cbranch_execz .LBB22_232
.LBB22_1156:
	v_lshlrev_b32_e32 v26, 2, v21
	v_lshl_add_u32 v26, v23, 2, v26
	ds_read_b32 v26, v26 offset:3392
	ds_read_b32 v27, v25 offset:52
	s_waitcnt lgkmcnt(0)
	v_fmac_f32_e32 v22, v26, v27
	s_or_b64 exec, exec, s[72:73]
	v_cmp_gt_u32_e64 s[12:13], 32, v4
	s_and_saveexec_b64 s[72:73], s[12:13]
	s_cbranch_execz .LBB22_233
.LBB22_1157:
	ds_read_b32 v26, v20 offset:3648
	ds_read_b32 v25, v25 offset:56
	s_waitcnt lgkmcnt(0)
	v_fmac_f32_e32 v22, v26, v25
	s_or_b64 exec, exec, s[72:73]
	v_cmp_gt_u32_e64 s[12:13], 16, v4
	s_and_saveexec_b64 s[72:73], s[12:13]
	s_cbranch_execnz .LBB22_234
	s_branch .LBB22_235
.LBB22_1158:
	v_lshlrev_b32_e32 v27, 2, v14
	v_sub_u32_e32 v27, v26, v27
	v_lshl_add_u32 v27, v13, 2, v27
	ds_read_b32 v27, v27 offset:4432
	ds_read_b32 v28, v26 offset:4164
	s_waitcnt lgkmcnt(0)
	v_fmac_f32_e32 v25, v27, v28
	s_or_b64 exec, exec, s[16:17]
	v_cmp_gt_u32_e64 s[10:11], 8, v4
	s_and_saveexec_b64 s[16:17], s[10:11]
	s_cbranch_execz .LBB22_319
.LBB22_1159:
	ds_read_b32 v27, v6 offset:4688
	ds_read_b32 v26, v26 offset:4168
	s_waitcnt lgkmcnt(0)
	v_fmac_f32_e32 v25, v27, v26
	s_or_b64 exec, exec, s[16:17]
	v_cmp_gt_u32_e64 s[10:11], 4, v4
	s_and_saveexec_b64 s[16:17], s[10:11]
	s_cbranch_execnz .LBB22_320
	s_branch .LBB22_321
.LBB22_1160:
	v_lshlrev_b32_e32 v27, 2, v19
	v_sub_u32_e32 v27, v26, v27
	v_lshl_add_u32 v27, v18, 2, v27
	ds_read_b32 v27, v27 offset:4448
	ds_read_b32 v28, v26 offset:4164
	s_waitcnt lgkmcnt(0)
	v_fmac_f32_e32 v25, v27, v28
	s_or_b64 exec, exec, s[16:17]
	v_cmp_gt_u32_e64 s[10:11], 48, v4
	s_and_saveexec_b64 s[16:17], s[10:11]
	s_cbranch_execz .LBB22_357
.LBB22_1161:
	v_lshlrev_b32_e32 v27, 2, v19
	v_sub_u32_e32 v27, v26, v27
	v_lshl_add_u32 v27, v18, 2, v27
	ds_read_b32 v27, v27 offset:4704
	ds_read_b32 v28, v26 offset:4168
	s_waitcnt lgkmcnt(0)
	v_fmac_f32_e32 v25, v27, v28
	s_or_b64 exec, exec, s[16:17]
	v_cmp_gt_u32_e64 s[10:11], 40, v4
	s_and_saveexec_b64 s[16:17], s[10:11]
	s_cbranch_execz .LBB22_358
.LBB22_1162:
	v_lshlrev_b32_e32 v27, 2, v19
	v_sub_u32_e32 v27, v26, v27
	v_lshl_add_u32 v27, v18, 2, v27
	ds_read_b32 v27, v27 offset:4960
	ds_read_b32 v28, v26 offset:4172
	s_waitcnt lgkmcnt(0)
	v_fmac_f32_e32 v25, v27, v28
	s_or_b64 exec, exec, s[16:17]
	v_cmp_gt_u32_e64 s[10:11], 32, v4
	s_and_saveexec_b64 s[16:17], s[10:11]
	s_cbranch_execz .LBB22_359
.LBB22_1163:
	ds_read_b32 v27, v15 offset:5216
	ds_read_b32 v28, v26 offset:4176
	s_waitcnt lgkmcnt(0)
	v_fmac_f32_e32 v25, v27, v28
	s_or_b64 exec, exec, s[16:17]
	v_cmp_gt_u32_e64 s[10:11], 24, v4
	s_and_saveexec_b64 s[16:17], s[10:11]
	s_cbranch_execz .LBB22_360
.LBB22_1164:
	v_lshlrev_b32_e32 v27, 2, v19
	v_sub_u32_e32 v27, v26, v27
	v_lshl_add_u32 v27, v18, 2, v27
	ds_read_b32 v27, v27 offset:5472
	ds_read_b32 v28, v26 offset:4180
	s_waitcnt lgkmcnt(0)
	v_fmac_f32_e32 v25, v27, v28
	s_or_b64 exec, exec, s[16:17]
	v_cmp_gt_u32_e64 s[10:11], 16, v4
	s_and_saveexec_b64 s[16:17], s[10:11]
	s_cbranch_execz .LBB22_361
.LBB22_1165:
	ds_read_b32 v27, v15 offset:5728
	ds_read_b32 v26, v26 offset:4184
	s_waitcnt lgkmcnt(0)
	v_fmac_f32_e32 v25, v27, v26
	s_or_b64 exec, exec, s[16:17]
	v_cmp_gt_u32_e64 s[10:11], 8, v4
	s_and_saveexec_b64 s[16:17], s[10:11]
	s_cbranch_execnz .LBB22_362
	s_branch .LBB22_363
.LBB22_1166:
	v_lshlrev_b32_e32 v27, 2, v14
	v_sub_u32_e32 v27, v26, v27
	v_lshl_add_u32 v27, v13, 2, v27
	ds_read_b32 v27, v27 offset:6512
	ds_read_b32 v28, v26 offset:6244
	s_waitcnt lgkmcnt(0)
	v_fmac_f32_e32 v25, v27, v28
	s_or_b64 exec, exec, s[16:17]
	v_cmp_gt_u32_e64 s[10:11], 8, v4
	s_and_saveexec_b64 s[16:17], s[10:11]
	s_cbranch_execz .LBB22_415
.LBB22_1167:
	ds_read_b32 v27, v6 offset:6768
	ds_read_b32 v26, v26 offset:6248
	s_waitcnt lgkmcnt(0)
	v_fmac_f32_e32 v25, v27, v26
	s_or_b64 exec, exec, s[16:17]
	v_cmp_gt_u32_e64 s[10:11], 4, v4
	s_and_saveexec_b64 s[16:17], s[10:11]
	s_cbranch_execnz .LBB22_416
	s_branch .LBB22_417
.LBB22_1168:
	ds_read_b32 v31, v25 offset:7552
	ds_read_b32 v32, v30 offset:116
	s_waitcnt lgkmcnt(0)
	v_fmac_f32_e32 v28, v31, v32
	s_or_b64 exec, exec, s[86:87]
	v_cmp_gt_u32_e64 s[16:17], 64, v4
	s_and_saveexec_b64 s[86:87], s[16:17]
	s_cbranch_execz .LBB22_509
.LBB22_1169:
	ds_read_b32 v31, v25 offset:7808
	ds_read_b32 v30, v30 offset:120
	s_waitcnt lgkmcnt(0)
	v_fmac_f32_e32 v28, v31, v30
	s_or_b64 exec, exec, s[86:87]
	v_cmp_gt_u32_e64 s[16:17], 32, v4
	s_and_saveexec_b64 s[86:87], s[16:17]
	s_cbranch_execnz .LBB22_510
	s_branch .LBB22_511
.LBB22_1170:
	v_lshlrev_b32_e32 v27, 2, v14
	v_sub_u32_e32 v27, v26, v27
	v_lshl_add_u32 v27, v13, 2, v27
	ds_read_b32 v27, v27 offset:8592
	ds_read_b32 v28, v26 offset:8324
	s_waitcnt lgkmcnt(0)
	v_fmac_f32_e32 v25, v27, v28
	s_or_b64 exec, exec, s[16:17]
	v_cmp_gt_u32_e64 s[10:11], 8, v4
	s_and_saveexec_b64 s[16:17], s[10:11]
	s_cbranch_execz .LBB22_659
.LBB22_1171:
	ds_read_b32 v27, v6 offset:8848
	ds_read_b32 v26, v26 offset:8328
	s_waitcnt lgkmcnt(0)
	v_fmac_f32_e32 v25, v27, v26
	s_or_b64 exec, exec, s[16:17]
	v_cmp_gt_u32_e64 s[10:11], 4, v4
	s_and_saveexec_b64 s[16:17], s[10:11]
	s_cbranch_execnz .LBB22_660
	s_branch .LBB22_661
.LBB22_1172:
	v_lshlrev_b32_e32 v27, 2, v19
	v_sub_u32_e32 v27, v26, v27
	v_lshl_add_u32 v27, v18, 2, v27
	ds_read_b32 v27, v27 offset:8608
	ds_read_b32 v28, v26 offset:8324
	s_waitcnt lgkmcnt(0)
	v_fmac_f32_e32 v25, v27, v28
	s_or_b64 exec, exec, s[16:17]
	v_cmp_gt_u32_e64 s[10:11], 48, v4
	s_and_saveexec_b64 s[16:17], s[10:11]
	s_cbranch_execz .LBB22_697
.LBB22_1173:
	v_lshlrev_b32_e32 v27, 2, v19
	v_sub_u32_e32 v27, v26, v27
	v_lshl_add_u32 v27, v18, 2, v27
	ds_read_b32 v27, v27 offset:8864
	ds_read_b32 v28, v26 offset:8328
	s_waitcnt lgkmcnt(0)
	v_fmac_f32_e32 v25, v27, v28
	s_or_b64 exec, exec, s[16:17]
	v_cmp_gt_u32_e64 s[10:11], 40, v4
	s_and_saveexec_b64 s[16:17], s[10:11]
	s_cbranch_execz .LBB22_698
.LBB22_1174:
	v_lshlrev_b32_e32 v27, 2, v19
	v_sub_u32_e32 v27, v26, v27
	v_lshl_add_u32 v27, v18, 2, v27
	ds_read_b32 v27, v27 offset:9120
	ds_read_b32 v28, v26 offset:8332
	s_waitcnt lgkmcnt(0)
	v_fmac_f32_e32 v25, v27, v28
	s_or_b64 exec, exec, s[16:17]
	v_cmp_gt_u32_e64 s[10:11], 32, v4
	s_and_saveexec_b64 s[16:17], s[10:11]
	s_cbranch_execz .LBB22_699
.LBB22_1175:
	ds_read_b32 v27, v15 offset:9376
	ds_read_b32 v28, v26 offset:8336
	s_waitcnt lgkmcnt(0)
	v_fmac_f32_e32 v25, v27, v28
	s_or_b64 exec, exec, s[16:17]
	v_cmp_gt_u32_e64 s[10:11], 24, v4
	s_and_saveexec_b64 s[16:17], s[10:11]
	s_cbranch_execz .LBB22_700
.LBB22_1176:
	v_lshlrev_b32_e32 v27, 2, v19
	v_sub_u32_e32 v27, v26, v27
	v_lshl_add_u32 v27, v18, 2, v27
	ds_read_b32 v27, v27 offset:9632
	ds_read_b32 v28, v26 offset:8340
	s_waitcnt lgkmcnt(0)
	v_fmac_f32_e32 v25, v27, v28
	s_or_b64 exec, exec, s[16:17]
	v_cmp_gt_u32_e64 s[10:11], 16, v4
	s_and_saveexec_b64 s[16:17], s[10:11]
	s_cbranch_execz .LBB22_701
.LBB22_1177:
	ds_read_b32 v27, v15 offset:9888
	ds_read_b32 v26, v26 offset:8344
	s_waitcnt lgkmcnt(0)
	v_fmac_f32_e32 v25, v27, v26
	s_or_b64 exec, exec, s[16:17]
	v_cmp_gt_u32_e64 s[10:11], 8, v4
	s_and_saveexec_b64 s[16:17], s[10:11]
	s_cbranch_execnz .LBB22_702
	s_branch .LBB22_703
.LBB22_1178:
	v_lshlrev_b32_e32 v27, 2, v14
	v_sub_u32_e32 v27, v26, v27
	v_lshl_add_u32 v27, v13, 2, v27
	ds_read_b32 v27, v27 offset:10672
	ds_read_b32 v28, v26 offset:10404
	s_waitcnt lgkmcnt(0)
	v_fmac_f32_e32 v25, v27, v28
	s_or_b64 exec, exec, s[16:17]
	v_cmp_gt_u32_e64 s[10:11], 8, v4
	s_and_saveexec_b64 s[16:17], s[10:11]
	s_cbranch_execz .LBB22_755
.LBB22_1179:
	ds_read_b32 v27, v6 offset:10928
	ds_read_b32 v26, v26 offset:10408
	s_waitcnt lgkmcnt(0)
	v_fmac_f32_e32 v25, v27, v26
	s_or_b64 exec, exec, s[16:17]
	v_cmp_gt_u32_e64 s[10:11], 4, v4
	s_and_saveexec_b64 s[16:17], s[10:11]
	s_cbranch_execnz .LBB22_756
	s_branch .LBB22_757
.LBB22_1180:
	v_lshlrev_b32_e32 v24, 2, v21
	v_lshl_add_u32 v24, v23, 2, v24
	ds_read_b32 v24, v24 offset:11200
	ds_read_b32 v27, v26 offset:8364
	s_waitcnt lgkmcnt(0)
	v_fmac_f32_e32 v25, v24, v27
	s_or_b64 exec, exec, s[16:17]
	v_cmp_gt_u32_e64 s[10:11], 64, v4
	s_and_saveexec_b64 s[16:17], s[10:11]
	s_cbranch_execz .LBB22_813
.LBB22_1181:
	ds_read_b32 v24, v20 offset:11456
	ds_read_b32 v27, v26 offset:8368
	s_waitcnt lgkmcnt(0)
	v_fmac_f32_e32 v25, v24, v27
	s_or_b64 exec, exec, s[16:17]
	v_cmp_gt_u32_e64 s[10:11], 48, v4
	s_and_saveexec_b64 s[16:17], s[10:11]
	s_cbranch_execz .LBB22_814
.LBB22_1182:
	v_lshlrev_b32_e32 v24, 2, v21
	v_lshl_add_u32 v23, v23, 2, v24
	ds_read_b32 v23, v23 offset:11712
	ds_read_b32 v24, v26 offset:8372
	s_waitcnt lgkmcnt(0)
	v_fmac_f32_e32 v25, v23, v24
	s_or_b64 exec, exec, s[16:17]
	v_cmp_gt_u32_e64 s[10:11], 32, v4
	s_and_saveexec_b64 s[16:17], s[10:11]
	s_cbranch_execz .LBB22_815
.LBB22_1183:
	ds_read_b32 v23, v20 offset:11968
	ds_read_b32 v24, v26 offset:8376
	s_waitcnt lgkmcnt(0)
	v_fmac_f32_e32 v25, v23, v24
	s_or_b64 exec, exec, s[16:17]
	v_cmp_gt_u32_e64 s[10:11], 16, v4
	s_and_saveexec_b64 s[16:17], s[10:11]
	s_cbranch_execnz .LBB22_816
	s_branch .LBB22_817
.LBB22_1184:
	v_lshlrev_b32_e32 v22, 2, v14
	v_sub_u32_e32 v22, v21, v22
	v_lshl_add_u32 v22, v13, 2, v22
	ds_read_b32 v22, v22 offset:12752
	ds_read_b32 v23, v21 offset:12484
	s_waitcnt lgkmcnt(0)
	v_fmac_f32_e32 v20, v22, v23
	s_or_b64 exec, exec, s[12:13]
	v_cmp_gt_u32_e64 s[8:9], 8, v4
	s_and_saveexec_b64 s[12:13], s[8:9]
	s_cbranch_execz .LBB22_901
.LBB22_1185:
	ds_read_b32 v22, v6 offset:13008
	ds_read_b32 v21, v21 offset:12488
	s_waitcnt lgkmcnt(0)
	v_fmac_f32_e32 v20, v22, v21
	s_or_b64 exec, exec, s[12:13]
	v_cmp_gt_u32_e64 s[8:9], 4, v4
	s_and_saveexec_b64 s[12:13], s[8:9]
	s_cbranch_execnz .LBB22_902
	s_branch .LBB22_903
.LBB22_1186:
	v_lshlrev_b32_e32 v22, 2, v19
	v_sub_u32_e32 v22, v21, v22
	v_lshl_add_u32 v22, v18, 2, v22
	ds_read_b32 v22, v22 offset:12768
	ds_read_b32 v23, v21 offset:12484
	s_waitcnt lgkmcnt(0)
	v_fmac_f32_e32 v20, v22, v23
	s_or_b64 exec, exec, s[12:13]
	v_cmp_gt_u32_e64 s[8:9], 48, v4
	s_and_saveexec_b64 s[12:13], s[8:9]
	s_cbranch_execz .LBB22_939
.LBB22_1187:
	v_lshlrev_b32_e32 v22, 2, v19
	v_sub_u32_e32 v22, v21, v22
	v_lshl_add_u32 v22, v18, 2, v22
	ds_read_b32 v22, v22 offset:13024
	ds_read_b32 v23, v21 offset:12488
	s_waitcnt lgkmcnt(0)
	v_fmac_f32_e32 v20, v22, v23
	s_or_b64 exec, exec, s[12:13]
	v_cmp_gt_u32_e64 s[8:9], 40, v4
	s_and_saveexec_b64 s[12:13], s[8:9]
	s_cbranch_execz .LBB22_940
.LBB22_1188:
	v_lshlrev_b32_e32 v22, 2, v19
	v_sub_u32_e32 v22, v21, v22
	v_lshl_add_u32 v22, v18, 2, v22
	ds_read_b32 v22, v22 offset:13280
	ds_read_b32 v23, v21 offset:12492
	s_waitcnt lgkmcnt(0)
	v_fmac_f32_e32 v20, v22, v23
	s_or_b64 exec, exec, s[12:13]
	v_cmp_gt_u32_e64 s[8:9], 32, v4
	s_and_saveexec_b64 s[12:13], s[8:9]
	s_cbranch_execz .LBB22_941
.LBB22_1189:
	ds_read_b32 v22, v15 offset:13536
	ds_read_b32 v23, v21 offset:12496
	s_waitcnt lgkmcnt(0)
	v_fmac_f32_e32 v20, v22, v23
	s_or_b64 exec, exec, s[12:13]
	v_cmp_gt_u32_e64 s[8:9], 24, v4
	s_and_saveexec_b64 s[12:13], s[8:9]
	s_cbranch_execz .LBB22_942
.LBB22_1190:
	v_lshlrev_b32_e32 v19, 2, v19
	v_sub_u32_e32 v19, v21, v19
	v_lshl_add_u32 v18, v18, 2, v19
	ds_read_b32 v18, v18 offset:13792
	ds_read_b32 v19, v21 offset:12500
	s_waitcnt lgkmcnt(0)
	v_fmac_f32_e32 v20, v18, v19
	s_or_b64 exec, exec, s[12:13]
	v_cmp_gt_u32_e64 s[8:9], 16, v4
	s_and_saveexec_b64 s[12:13], s[8:9]
	s_cbranch_execz .LBB22_943
.LBB22_1191:
	ds_read_b32 v18, v15 offset:14048
	ds_read_b32 v19, v21 offset:12504
	s_waitcnt lgkmcnt(0)
	v_fmac_f32_e32 v20, v18, v19
	s_or_b64 exec, exec, s[12:13]
	v_cmp_gt_u32_e64 s[8:9], 8, v4
	s_and_saveexec_b64 s[12:13], s[8:9]
	s_cbranch_execnz .LBB22_944
	s_branch .LBB22_945
.LBB22_1192:
	v_lshlrev_b32_e32 v14, 2, v14
	v_sub_u32_e32 v14, v16, v14
	v_lshl_add_u32 v13, v13, 2, v14
	ds_read_b32 v13, v13 offset:14832
	ds_read_b32 v14, v16 offset:14564
	s_waitcnt lgkmcnt(0)
	v_fmac_f32_e32 v15, v13, v14
	s_or_b64 exec, exec, s[12:13]
	v_cmp_gt_u32_e64 s[8:9], 8, v4
	s_and_saveexec_b64 s[12:13], s[8:9]
	s_cbranch_execz .LBB22_997
.LBB22_1193:
	ds_read_b32 v13, v6 offset:15088
	ds_read_b32 v14, v16 offset:14568
	s_waitcnt lgkmcnt(0)
	v_fmac_f32_e32 v15, v13, v14
	s_or_b64 exec, exec, s[12:13]
	v_cmp_gt_u32_e64 s[8:9], 4, v4
	s_and_saveexec_b64 s[12:13], s[8:9]
	s_cbranch_execnz .LBB22_998
	s_branch .LBB22_999
	.section	.rodata,"a",@progbits
	.p2align	6, 0x0
	.amdhsa_kernel _ZL19rocblas_trsv_deviceILi64ELi16ELb1ELb0ELb0ELb0EffPKfPfEviT7_lllT6_T8_lllPii
		.amdhsa_group_segment_fixed_size 20740
		.amdhsa_private_segment_fixed_size 0
		.amdhsa_kernarg_size 352
		.amdhsa_user_sgpr_count 6
		.amdhsa_user_sgpr_private_segment_buffer 1
		.amdhsa_user_sgpr_dispatch_ptr 0
		.amdhsa_user_sgpr_queue_ptr 0
		.amdhsa_user_sgpr_kernarg_segment_ptr 1
		.amdhsa_user_sgpr_dispatch_id 0
		.amdhsa_user_sgpr_flat_scratch_init 0
		.amdhsa_user_sgpr_private_segment_size 0
		.amdhsa_uses_dynamic_stack 0
		.amdhsa_system_sgpr_private_segment_wavefront_offset 0
		.amdhsa_system_sgpr_workgroup_id_x 1
		.amdhsa_system_sgpr_workgroup_id_y 0
		.amdhsa_system_sgpr_workgroup_id_z 1
		.amdhsa_system_sgpr_workgroup_info 0
		.amdhsa_system_vgpr_workitem_id 1
		.amdhsa_next_free_vgpr 34
		.amdhsa_next_free_sgpr 96
		.amdhsa_reserve_vcc 1
		.amdhsa_reserve_flat_scratch 0
		.amdhsa_float_round_mode_32 0
		.amdhsa_float_round_mode_16_64 0
		.amdhsa_float_denorm_mode_32 3
		.amdhsa_float_denorm_mode_16_64 3
		.amdhsa_dx10_clamp 1
		.amdhsa_ieee_mode 1
		.amdhsa_fp16_overflow 0
		.amdhsa_exception_fp_ieee_invalid_op 0
		.amdhsa_exception_fp_denorm_src 0
		.amdhsa_exception_fp_ieee_div_zero 0
		.amdhsa_exception_fp_ieee_overflow 0
		.amdhsa_exception_fp_ieee_underflow 0
		.amdhsa_exception_fp_ieee_inexact 0
		.amdhsa_exception_int_div_zero 0
	.end_amdhsa_kernel
	.section	.text._ZL19rocblas_trsv_deviceILi64ELi16ELb1ELb0ELb0ELb0EffPKfPfEviT7_lllT6_T8_lllPii,"axG",@progbits,_ZL19rocblas_trsv_deviceILi64ELi16ELb1ELb0ELb0ELb0EffPKfPfEviT7_lllT6_T8_lllPii,comdat
.Lfunc_end22:
	.size	_ZL19rocblas_trsv_deviceILi64ELi16ELb1ELb0ELb0ELb0EffPKfPfEviT7_lllT6_T8_lllPii, .Lfunc_end22-_ZL19rocblas_trsv_deviceILi64ELi16ELb1ELb0ELb0ELb0EffPKfPfEviT7_lllT6_T8_lllPii
                                        ; -- End function
	.set _ZL19rocblas_trsv_deviceILi64ELi16ELb1ELb0ELb0ELb0EffPKfPfEviT7_lllT6_T8_lllPii.num_vgpr, 34
	.set _ZL19rocblas_trsv_deviceILi64ELi16ELb1ELb0ELb0ELb0EffPKfPfEviT7_lllT6_T8_lllPii.num_agpr, 0
	.set _ZL19rocblas_trsv_deviceILi64ELi16ELb1ELb0ELb0ELb0EffPKfPfEviT7_lllT6_T8_lllPii.numbered_sgpr, 96
	.set _ZL19rocblas_trsv_deviceILi64ELi16ELb1ELb0ELb0ELb0EffPKfPfEviT7_lllT6_T8_lllPii.num_named_barrier, 0
	.set _ZL19rocblas_trsv_deviceILi64ELi16ELb1ELb0ELb0ELb0EffPKfPfEviT7_lllT6_T8_lllPii.private_seg_size, 0
	.set _ZL19rocblas_trsv_deviceILi64ELi16ELb1ELb0ELb0ELb0EffPKfPfEviT7_lllT6_T8_lllPii.uses_vcc, 1
	.set _ZL19rocblas_trsv_deviceILi64ELi16ELb1ELb0ELb0ELb0EffPKfPfEviT7_lllT6_T8_lllPii.uses_flat_scratch, 0
	.set _ZL19rocblas_trsv_deviceILi64ELi16ELb1ELb0ELb0ELb0EffPKfPfEviT7_lllT6_T8_lllPii.has_dyn_sized_stack, 0
	.set _ZL19rocblas_trsv_deviceILi64ELi16ELb1ELb0ELb0ELb0EffPKfPfEviT7_lllT6_T8_lllPii.has_recursion, 0
	.set _ZL19rocblas_trsv_deviceILi64ELi16ELb1ELb0ELb0ELb0EffPKfPfEviT7_lllT6_T8_lllPii.has_indirect_call, 0
	.section	.AMDGPU.csdata,"",@progbits
; Kernel info:
; codeLenInByte = 34236
; TotalNumSgprs: 100
; NumVgprs: 34
; ScratchSize: 0
; MemoryBound: 0
; FloatMode: 240
; IeeeMode: 1
; LDSByteSize: 20740 bytes/workgroup (compile time only)
; SGPRBlocks: 12
; VGPRBlocks: 8
; NumSGPRsForWavesPerEU: 100
; NumVGPRsForWavesPerEU: 34
; Occupancy: 7
; WaveLimiterHint : 0
; COMPUTE_PGM_RSRC2:SCRATCH_EN: 0
; COMPUTE_PGM_RSRC2:USER_SGPR: 6
; COMPUTE_PGM_RSRC2:TRAP_HANDLER: 0
; COMPUTE_PGM_RSRC2:TGID_X_EN: 1
; COMPUTE_PGM_RSRC2:TGID_Y_EN: 0
; COMPUTE_PGM_RSRC2:TGID_Z_EN: 1
; COMPUTE_PGM_RSRC2:TIDIG_COMP_CNT: 1
	.section	.text._ZL19rocblas_trsv_deviceILi64ELi16ELb1ELb1ELb0ELb0EffPKfPfEviT7_lllT6_T8_lllPii,"axG",@progbits,_ZL19rocblas_trsv_deviceILi64ELi16ELb1ELb1ELb0ELb0EffPKfPfEviT7_lllT6_T8_lllPii,comdat
	.globl	_ZL19rocblas_trsv_deviceILi64ELi16ELb1ELb1ELb0ELb0EffPKfPfEviT7_lllT6_T8_lllPii ; -- Begin function _ZL19rocblas_trsv_deviceILi64ELi16ELb1ELb1ELb0ELb0EffPKfPfEviT7_lllT6_T8_lllPii
	.p2align	8
	.type	_ZL19rocblas_trsv_deviceILi64ELi16ELb1ELb1ELb0ELb0EffPKfPfEviT7_lllT6_T8_lllPii,@function
_ZL19rocblas_trsv_deviceILi64ELi16ELb1ELb1ELb0ELb0EffPKfPfEviT7_lllT6_T8_lllPii: ; @_ZL19rocblas_trsv_deviceILi64ELi16ELb1ELb1ELb0ELb0EffPKfPfEviT7_lllT6_T8_lllPii
; %bb.0:
	s_load_dwordx8 s[20:27], s[4:5], 0x8
	s_load_dword s30, s[4:5], 0x0
	s_mov_b32 s28, s7
	v_mov_b32_e32 v2, v1
	s_mov_b32 s29, 0
	s_waitcnt lgkmcnt(0)
	s_mul_i32 s0, s27, s7
	s_mul_hi_u32 s1, s26, s7
	s_add_i32 s1, s1, s0
	s_mul_i32 s0, s26, s7
	s_load_dword s7, s[4:5], 0x60
	s_lshl_b64 s[0:1], s[0:1], 2
	s_add_u32 s2, s20, s0
	s_addc_u32 s3, s21, s1
	s_lshl_b64 s[0:1], s[22:23], 2
	s_load_dword s20, s[4:5], 0x6c
	s_add_u32 s87, s2, s0
	s_addc_u32 s88, s3, s1
	s_waitcnt lgkmcnt(0)
	s_add_i32 s7, s7, -1
	s_sub_i32 s89, s7, s6
	s_cmp_lg_u32 s6, 0
	s_cbranch_scc0 .LBB23_1164
; %bb.1:
	s_lshl_b32 s33, s89, 6
	v_add_u32_e32 v1, s33, v0
	v_ashrrev_i32_e32 v3, 31, v1
	v_mul_lo_u32 v7, s24, v3
	v_mul_lo_u32 v8, s25, v1
	v_mad_u64_u32 v[5:6], s[0:1], s24, v1, 0
	v_add3_u32 v3, v2, s33, 64
	v_ashrrev_i32_e32 v4, 31, v3
	v_add3_u32 v6, v6, v7, v8
	v_lshlrev_b64 v[5:6], 2, v[5:6]
	v_cmp_gt_i32_e32 vcc, s30, v1
	v_mov_b32_e32 v1, s88
	v_add_co_u32_e64 v7, s[0:1], s87, v5
	v_lshlrev_b64 v[4:5], 2, v[3:4]
	v_addc_co_u32_e64 v1, s[0:1], v1, v6, s[0:1]
	v_add_co_u32_e64 v4, s[0:1], v7, v4
	v_addc_co_u32_e64 v5, s[0:1], v1, v5, s[0:1]
	v_cmp_gt_i32_e64 s[0:1], s30, v3
	s_and_b64 s[2:3], s[0:1], vcc
	v_mov_b32_e32 v7, 0
	v_mov_b32_e32 v8, 0
	s_barrier
	s_and_saveexec_b64 s[0:1], s[2:3]
	s_cbranch_execz .LBB23_3
; %bb.2:
	global_load_dword v8, v[4:5], off
.LBB23_3:
	s_or_b64 exec, exec, s[0:1]
	v_add_u32_e32 v1, 16, v3
	v_cmp_gt_i32_e64 s[0:1], s30, v1
	s_and_b64 s[2:3], s[0:1], vcc
	s_waitcnt vmcnt(0)
	s_barrier
	s_and_saveexec_b64 s[0:1], s[2:3]
	s_cbranch_execz .LBB23_5
; %bb.4:
	global_load_dword v7, v[4:5], off offset:64
.LBB23_5:
	s_or_b64 exec, exec, s[0:1]
	v_add_u32_e32 v1, 32, v3
	v_cmp_gt_i32_e64 s[0:1], s30, v1
	s_and_b64 s[2:3], s[0:1], vcc
	v_mov_b32_e32 v9, 0
	v_mov_b32_e32 v10, 0
	s_waitcnt vmcnt(0)
	s_barrier
	s_and_saveexec_b64 s[0:1], s[2:3]
	s_cbranch_execz .LBB23_7
; %bb.6:
	global_load_dword v10, v[4:5], off offset:128
.LBB23_7:
	s_or_b64 exec, exec, s[0:1]
	v_add_u32_e32 v1, 48, v3
	v_cmp_gt_i32_e64 s[0:1], s30, v1
	s_and_b64 s[2:3], s[0:1], vcc
	s_waitcnt vmcnt(0)
	s_barrier
	s_and_saveexec_b64 s[0:1], s[2:3]
	s_cbranch_execz .LBB23_9
; %bb.8:
	global_load_dword v9, v[4:5], off offset:192
.LBB23_9:
	s_or_b64 exec, exec, s[0:1]
	s_branch .LBB23_11
.LBB23_10:
	s_lshl_b32 s33, s89, 6
                                        ; implicit-def: $vgpr8
                                        ; implicit-def: $vgpr7
                                        ; implicit-def: $vgpr10
                                        ; implicit-def: $vgpr9
.LBB23_11:
	s_ashr_i32 s31, s30, 31
	s_lshr_b32 s0, s31, 26
	s_add_i32 s0, s30, s0
	s_andn2_b32 s0, s0, 63
	s_sub_i32 s86, s30, s0
	s_add_i32 s0, s30, -1
	s_ashr_i32 s1, s0, 31
	s_lshr_b32 s1, s1, 26
	s_add_i32 s0, s0, s1
	s_ashr_i32 s0, s0, 6
	s_cmp_eq_u32 s0, s89
	s_cselect_b64 s[0:1], -1, 0
	s_cmp_lg_u32 s86, 0
	s_cselect_b64 s[2:3], -1, 0
	s_and_b64 s[22:23], s[2:3], s[0:1]
	s_cmp_lt_i32 s6, 5
	s_cselect_b64 s[2:3], -1, 0
	s_or_b64 s[0:1], s[2:3], s[22:23]
	s_ashr_i32 s40, s33, 31
	s_add_u32 s10, s24, 1
	v_mov_b32_e32 v1, 0
	v_mov_b32_e32 v3, s33
	v_mad_u64_u32 v[3:4], s[8:9], s10, v3, v[0:1]
	s_addc_u32 s11, s25, 0
	s_mul_i32 s8, s10, s40
	s_mul_i32 s11, s11, s33
	s_add_i32 s8, s8, s11
	s_mov_b64 s[12:13], -1
	v_lshlrev_b32_e32 v11, 6, v0
	v_add_u32_e32 v4, s8, v4
	s_and_b64 vcc, exec, s[22:23]
	v_cmp_le_u32_e64 s[8:9], v0, v2
	s_cbranch_vccnz .LBB23_33
; %bb.12:
	v_mad_u64_u32 v[5:6], s[10:11], s24, v2, v[3:4]
	v_mov_b32_e32 v1, v6
	v_mad_u64_u32 v[12:13], s[10:11], s25, v2, v[1:2]
	s_mov_b64 s[10:11], 0
                                        ; implicit-def: $vgpr1
	v_mov_b32_e32 v6, v12
	s_and_saveexec_b64 s[12:13], s[8:9]
	s_xor_b64 s[8:9], exec, s[12:13]
	s_cbranch_execnz .LBB23_1165
; %bb.13:
	s_andn2_saveexec_b64 s[8:9], s[8:9]
	s_cbranch_execnz .LBB23_1170
.LBB23_14:
	s_or_b64 exec, exec, s[8:9]
	s_and_saveexec_b64 s[8:9], s[10:11]
.LBB23_15:
	v_add_u32_e32 v5, v2, v11
	v_lshl_add_u32 v6, v2, 6, v0
	v_cndmask_b32_e64 v5, v6, v5, s[2:3]
	v_lshlrev_b32_e32 v5, 2, v5
	ds_write_b32 v5, v1
.LBB23_16:
	s_or_b64 exec, exec, s[8:9]
	v_add_u32_e32 v1, 16, v2
	v_mad_u64_u32 v[5:6], s[2:3], s24, v1, v[3:4]
	v_cmp_le_u32_e32 vcc, v0, v1
	s_mov_b64 s[8:9], 0
	v_mad_u64_u32 v[12:13], s[2:3], s25, v1, v[6:7]
	v_mov_b32_e32 v6, v12
                                        ; implicit-def: $vgpr12
	s_and_saveexec_b64 s[2:3], vcc
	s_xor_b64 s[2:3], exec, s[2:3]
	s_cbranch_execnz .LBB23_1171
; %bb.17:
	s_andn2_saveexec_b64 s[2:3], s[2:3]
	s_cbranch_execnz .LBB23_1176
.LBB23_18:
	s_or_b64 exec, exec, s[2:3]
	s_and_saveexec_b64 s[2:3], s[8:9]
.LBB23_19:
	v_add_u32_e32 v5, v1, v11
	v_lshl_add_u32 v1, v1, 6, v0
	v_cndmask_b32_e64 v1, v1, v5, s[0:1]
	v_lshlrev_b32_e32 v1, 2, v1
	ds_write_b32 v1, v12
.LBB23_20:
	s_or_b64 exec, exec, s[2:3]
	v_add_u32_e32 v1, 32, v2
	v_mad_u64_u32 v[5:6], s[2:3], s24, v1, v[3:4]
	v_cmp_le_u32_e32 vcc, v0, v1
	s_mov_b64 s[8:9], 0
	v_mad_u64_u32 v[12:13], s[2:3], s25, v1, v[6:7]
	v_mov_b32_e32 v6, v12
                                        ; implicit-def: $vgpr12
	s_and_saveexec_b64 s[2:3], vcc
	s_xor_b64 s[2:3], exec, s[2:3]
	s_cbranch_execnz .LBB23_1177
; %bb.21:
	s_andn2_saveexec_b64 s[2:3], s[2:3]
	s_cbranch_execnz .LBB23_1182
.LBB23_22:
	s_or_b64 exec, exec, s[2:3]
	s_and_saveexec_b64 s[2:3], s[8:9]
.LBB23_23:
	v_add_u32_e32 v5, v1, v11
	v_lshl_add_u32 v1, v1, 6, v0
	v_cndmask_b32_e64 v1, v1, v5, s[0:1]
	v_lshlrev_b32_e32 v1, 2, v1
	ds_write_b32 v1, v12
.LBB23_24:
	s_or_b64 exec, exec, s[2:3]
	v_add_u32_e32 v12, 48, v2
	v_mad_u64_u32 v[5:6], s[2:3], s24, v12, v[3:4]
	v_cmp_le_u32_e32 vcc, v0, v12
	s_mov_b64 s[10:11], 0
	v_mov_b32_e32 v1, v6
	v_mad_u64_u32 v[13:14], s[2:3], s25, v12, v[1:2]
                                        ; implicit-def: $vgpr1
	v_mov_b32_e32 v6, v13
	s_and_saveexec_b64 s[2:3], vcc
	s_xor_b64 s[2:3], exec, s[2:3]
	s_cbranch_execz .LBB23_30
; %bb.25:
	v_cmp_ne_u32_e32 vcc, v0, v12
	s_mov_b64 s[8:9], 0
	s_and_saveexec_b64 s[10:11], vcc
	s_xor_b64 s[10:11], exec, s[10:11]
; %bb.26:
	v_or_b32_e32 v1, v12, v0
	v_cmp_gt_u32_e32 vcc, 64, v1
	s_and_b64 s[8:9], vcc, exec
                                        ; implicit-def: $vgpr5_vgpr6
; %bb.27:
	s_or_saveexec_b64 s[10:11], s[10:11]
	v_mov_b32_e32 v1, 0
	s_xor_b64 exec, exec, s[10:11]
	s_cbranch_execz .LBB23_29
; %bb.28:
	v_lshlrev_b64 v[5:6], 2, v[5:6]
	v_mov_b32_e32 v1, s88
	v_add_co_u32_e32 v5, vcc, s87, v5
	v_addc_co_u32_e32 v6, vcc, v1, v6, vcc
	global_load_dword v1, v[5:6], off
	s_or_b64 s[8:9], s[8:9], exec
	s_waitcnt vmcnt(0)
	v_div_scale_f32 v5, s[12:13], v1, v1, 1.0
	v_div_scale_f32 v6, vcc, 1.0, v1, 1.0
	v_rcp_f32_e32 v13, v5
	v_fma_f32 v14, -v5, v13, 1.0
	v_fmac_f32_e32 v13, v14, v13
	v_mul_f32_e32 v14, v6, v13
	v_fma_f32 v15, -v5, v14, v6
	v_fmac_f32_e32 v14, v15, v13
	v_fma_f32 v5, -v5, v14, v6
	v_div_fmas_f32 v5, v5, v13, v14
	v_div_fixup_f32 v1, v5, v1, 1.0
.LBB23_29:
	s_or_b64 exec, exec, s[10:11]
	s_and_b64 s[10:11], s[8:9], exec
                                        ; implicit-def: $vgpr5_vgpr6
.LBB23_30:
	s_or_saveexec_b64 s[2:3], s[2:3]
	v_add_u32_e32 v13, v12, v11
	v_lshl_add_u32 v12, v12, 6, v0
	s_xor_b64 exec, exec, s[2:3]
	s_cbranch_execz .LBB23_32
; %bb.31:
	v_lshlrev_b64 v[5:6], 2, v[5:6]
	v_mov_b32_e32 v1, s88
	v_add_co_u32_e32 v5, vcc, s87, v5
	v_addc_co_u32_e32 v6, vcc, v1, v6, vcc
	global_load_dword v1, v[5:6], off
	s_or_b64 s[10:11], s[10:11], exec
	s_waitcnt vmcnt(0)
	v_xor_b32_e32 v1, 0x80000000, v1
.LBB23_32:
	s_or_b64 exec, exec, s[2:3]
	v_cndmask_b32_e64 v5, v12, v13, s[0:1]
	s_branch .LBB23_55
.LBB23_33:
	s_mov_b64 s[10:11], 0
                                        ; implicit-def: $vgpr1
                                        ; implicit-def: $vgpr5
	s_and_b64 vcc, exec, s[12:13]
	s_cbranch_vccz .LBB23_55
; %bb.34:
	v_mad_u64_u32 v[5:6], s[2:3], s24, v2, v[3:4]
	v_cmp_le_u32_e32 vcc, v0, v2
	v_cmp_gt_i32_e64 s[2:3], s86, v0
	v_mov_b32_e32 v1, v6
	v_mad_u64_u32 v[12:13], s[8:9], s25, v2, v[1:2]
	v_max_i32_e32 v1, v2, v0
	v_cmp_le_i32_e64 s[8:9], s86, v1
	v_mov_b32_e32 v6, v12
	s_or_b64 s[8:9], s[8:9], vcc
	s_mov_b64 s[12:13], 0
                                        ; implicit-def: $vgpr1
	s_and_saveexec_b64 s[14:15], s[8:9]
	s_xor_b64 s[8:9], exec, s[14:15]
	s_cbranch_execnz .LBB23_1183
; %bb.35:
	s_andn2_saveexec_b64 s[8:9], s[8:9]
	s_cbranch_execnz .LBB23_1188
.LBB23_36:
	s_or_b64 exec, exec, s[8:9]
	s_and_saveexec_b64 s[8:9], s[12:13]
.LBB23_37:
	v_lshlrev_b32_e32 v5, 2, v11
	v_lshl_add_u32 v5, v2, 2, v5
	ds_write_b32 v5, v1
.LBB23_38:
	s_or_b64 exec, exec, s[8:9]
	v_add_u32_e32 v1, 16, v2
	v_mad_u64_u32 v[5:6], s[8:9], s24, v1, v[3:4]
	v_cmp_gt_u32_e32 vcc, v0, v1
	s_mov_b64 s[12:13], 0
	v_mad_u64_u32 v[12:13], s[8:9], s25, v1, v[6:7]
	v_cmp_gt_i32_e64 s[8:9], s86, v1
	s_and_b64 s[8:9], vcc, s[8:9]
	s_and_b64 s[8:9], s[2:3], s[8:9]
	v_mov_b32_e32 v6, v12
	s_xor_b64 s[8:9], s[8:9], -1
                                        ; implicit-def: $vgpr12
	s_and_saveexec_b64 s[14:15], s[8:9]
	s_xor_b64 s[8:9], exec, s[14:15]
	s_cbranch_execnz .LBB23_1189
; %bb.39:
	s_andn2_saveexec_b64 s[8:9], s[8:9]
	s_cbranch_execnz .LBB23_1194
.LBB23_40:
	s_or_b64 exec, exec, s[8:9]
	s_and_saveexec_b64 s[8:9], s[12:13]
.LBB23_41:
	v_add_u32_e32 v5, v1, v11
	v_lshl_add_u32 v1, v1, 6, v0
	v_cndmask_b32_e64 v1, v1, v5, s[0:1]
	v_lshlrev_b32_e32 v1, 2, v1
	ds_write_b32 v1, v12
.LBB23_42:
	s_or_b64 exec, exec, s[8:9]
	v_add_u32_e32 v1, 32, v2
	v_mad_u64_u32 v[5:6], s[8:9], s24, v1, v[3:4]
	v_cmp_gt_u32_e32 vcc, v0, v1
	s_mov_b64 s[12:13], 0
	v_mad_u64_u32 v[12:13], s[8:9], s25, v1, v[6:7]
	v_cmp_gt_i32_e64 s[8:9], s86, v1
	s_and_b64 s[8:9], vcc, s[8:9]
	s_and_b64 s[8:9], s[2:3], s[8:9]
	v_mov_b32_e32 v6, v12
	s_xor_b64 s[8:9], s[8:9], -1
                                        ; implicit-def: $vgpr12
	s_and_saveexec_b64 s[14:15], s[8:9]
	s_xor_b64 s[8:9], exec, s[14:15]
	s_cbranch_execnz .LBB23_1195
; %bb.43:
	s_andn2_saveexec_b64 s[8:9], s[8:9]
	s_cbranch_execnz .LBB23_1200
.LBB23_44:
	s_or_b64 exec, exec, s[8:9]
	s_and_saveexec_b64 s[8:9], s[12:13]
.LBB23_45:
	v_add_u32_e32 v5, v1, v11
	v_lshl_add_u32 v1, v1, 6, v0
	v_cndmask_b32_e64 v1, v1, v5, s[0:1]
	v_lshlrev_b32_e32 v1, 2, v1
	ds_write_b32 v1, v12
.LBB23_46:
	s_or_b64 exec, exec, s[8:9]
	v_add_u32_e32 v5, 48, v2
	v_mad_u64_u32 v[3:4], s[8:9], s24, v5, v[3:4]
	v_cmp_gt_u32_e32 vcc, v0, v5
	v_mov_b32_e32 v1, v4
	v_mad_u64_u32 v[12:13], s[8:9], s25, v5, v[1:2]
	v_cmp_gt_i32_e64 s[8:9], s86, v5
	s_and_b64 s[8:9], vcc, s[8:9]
	s_and_b64 s[8:9], s[2:3], s[8:9]
	v_mov_b32_e32 v4, v12
	s_xor_b64 s[8:9], s[8:9], -1
                                        ; implicit-def: $vgpr1
	s_and_saveexec_b64 s[12:13], s[8:9]
	s_xor_b64 s[8:9], exec, s[12:13]
	s_cbranch_execz .LBB23_52
; %bb.47:
	v_cmp_ne_u32_e32 vcc, v0, v5
	s_xor_b64 s[2:3], s[2:3], -1
	s_or_b64 s[12:13], s[2:3], vcc
	s_mov_b64 s[2:3], s[10:11]
	s_and_saveexec_b64 s[14:15], s[12:13]
	s_xor_b64 s[12:13], exec, s[14:15]
; %bb.48:
	v_or_b32_e32 v1, v5, v0
	v_cmp_gt_u32_e32 vcc, 64, v1
	s_andn2_b64 s[2:3], s[10:11], exec
	s_and_b64 s[14:15], vcc, exec
	s_or_b64 s[2:3], s[2:3], s[14:15]
                                        ; implicit-def: $vgpr3_vgpr4
; %bb.49:
	s_or_saveexec_b64 s[12:13], s[12:13]
	v_mov_b32_e32 v1, 0
	s_xor_b64 exec, exec, s[12:13]
	s_cbranch_execz .LBB23_51
; %bb.50:
	v_lshlrev_b64 v[3:4], 2, v[3:4]
	v_mov_b32_e32 v1, s88
	v_add_co_u32_e32 v3, vcc, s87, v3
	v_addc_co_u32_e32 v4, vcc, v1, v4, vcc
	global_load_dword v1, v[3:4], off
	s_or_b64 s[2:3], s[2:3], exec
	s_waitcnt vmcnt(0)
	v_div_scale_f32 v3, s[14:15], v1, v1, 1.0
	v_div_scale_f32 v4, vcc, 1.0, v1, 1.0
	v_rcp_f32_e32 v6, v3
	v_fma_f32 v12, -v3, v6, 1.0
	v_fmac_f32_e32 v6, v12, v6
	v_mul_f32_e32 v12, v4, v6
	v_fma_f32 v13, -v3, v12, v4
	v_fmac_f32_e32 v12, v13, v6
	v_fma_f32 v3, -v3, v12, v4
	v_div_fmas_f32 v3, v3, v6, v12
	v_div_fixup_f32 v1, v3, v1, 1.0
.LBB23_51:
	s_or_b64 exec, exec, s[12:13]
	s_andn2_b64 s[10:11], s[10:11], exec
	s_and_b64 s[2:3], s[2:3], exec
	s_or_b64 s[10:11], s[10:11], s[2:3]
                                        ; implicit-def: $vgpr3_vgpr4
.LBB23_52:
	s_or_saveexec_b64 s[2:3], s[8:9]
	v_add_u32_e32 v6, v5, v11
	v_lshl_add_u32 v5, v5, 6, v0
	s_xor_b64 exec, exec, s[2:3]
	s_cbranch_execz .LBB23_54
; %bb.53:
	v_lshlrev_b64 v[3:4], 2, v[3:4]
	v_mov_b32_e32 v1, s88
	v_add_co_u32_e32 v3, vcc, s87, v3
	v_addc_co_u32_e32 v4, vcc, v1, v4, vcc
	global_load_dword v1, v[3:4], off
	s_or_b64 s[10:11], s[10:11], exec
	s_waitcnt vmcnt(0)
	v_xor_b32_e32 v1, 0x80000000, v1
.LBB23_54:
	s_or_b64 exec, exec, s[2:3]
	v_cndmask_b32_e64 v5, v5, v6, s[0:1]
.LBB23_55:
	s_xor_b64 s[0:1], s[0:1], -1
	s_and_saveexec_b64 s[2:3], s[10:11]
; %bb.56:
	v_lshlrev_b32_e32 v3, 2, v5
	ds_write_b32 v3, v1
; %bb.57:
	s_or_b64 exec, exec, s[2:3]
	v_cndmask_b32_e64 v1, 0, 1, s[0:1]
	v_cmp_ne_u32_e64 s[52:53], 1, v1
	s_andn2_b64 vcc, exec, s[0:1]
	s_waitcnt vmcnt(0) lgkmcnt(0)
	s_barrier
	s_cbranch_vccnz .LBB23_1095
; %bb.58:
	v_or_b32_e32 v1, v0, v2
	v_cmp_eq_u32_e32 vcc, 0, v1
	s_and_saveexec_b64 s[0:1], vcc
	s_cbranch_execz .LBB23_60
; %bb.59:
	v_mov_b32_e32 v1, 0
	ds_read_b64 v[3:4], v1
	ds_read_b32 v5, v1 offset:260
	s_waitcnt lgkmcnt(0)
	v_mul_f32_e32 v3, v3, v5
	v_mul_f32_e32 v3, v4, v3
	ds_write2_b32 v1, v3, v3 offset0:1 offset1:64
.LBB23_60:
	s_or_b64 exec, exec, s[0:1]
	v_lshl_add_u32 v4, v2, 6, v0
	v_and_b32_e32 v11, 1, v0
	v_lshrrev_b32_e32 v5, 1, v4
	v_lshlrev_b32_e32 v1, 2, v11
	v_cmp_lt_u32_e64 s[8:9], 3, v4
	v_cmp_gt_u32_e64 s[2:3], 4, v4
	v_lshl_or_b32 v1, v5, 8, v1
	v_mov_b32_e32 v6, 0
	s_waitcnt lgkmcnt(0)
	s_barrier
	s_and_saveexec_b64 s[0:1], s[2:3]
	s_cbranch_execz .LBB23_64
; %bb.61:
	v_mul_u32_u24_e32 v3, 0x104, v5
	ds_read_b32 v12, v1 offset:8
	ds_read_b32 v3, v3
	v_mov_b32_e32 v6, 0
	v_cmp_gt_u32_e64 s[10:11], 2, v4
	s_waitcnt lgkmcnt(0)
	v_fma_f32 v3, v12, v3, 0
	s_and_saveexec_b64 s[12:13], s[10:11]
	s_cbranch_execz .LBB23_63
; %bb.62:
	v_lshlrev_b32_e32 v12, 2, v0
	ds_read_b32 v12, v12 offset:264
	ds_read_b32 v6, v6 offset:4
	s_waitcnt lgkmcnt(0)
	v_fmac_f32_e32 v3, v12, v6
.LBB23_63:
	s_or_b64 exec, exec, s[12:13]
	v_xor_b32_e32 v6, 0x80000000, v3
.LBB23_64:
	s_or_b64 exec, exec, s[0:1]
	v_mov_b32_e32 v3, 0x4000
	v_cmp_eq_u32_e64 s[10:11], 0, v11
	s_xor_b64 s[0:1], s[8:9], -1
	v_lshl_add_u32 v3, v5, 2, v3
	s_and_b64 s[34:35], s[10:11], s[0:1]
	s_and_saveexec_b64 s[8:9], s[34:35]
	s_cbranch_execz .LBB23_66
; %bb.65:
	v_mov_b32_e32 v12, 0
	ds_read_b32 v12, v12 offset:520
	s_waitcnt lgkmcnt(0)
	v_mul_f32_e32 v6, v6, v12
	ds_write_b32 v3, v6
.LBB23_66:
	s_or_b64 exec, exec, s[8:9]
	v_cmp_ne_u32_e64 s[8:9], 0, v11
	s_and_b64 s[26:27], s[8:9], s[0:1]
	s_waitcnt lgkmcnt(0)
	s_barrier
	s_and_saveexec_b64 s[0:1], s[26:27]
	s_cbranch_execz .LBB23_68
; %bb.67:
	v_mov_b32_e32 v11, 0
	ds_read_b32 v11, v11 offset:524
	ds_read_b32 v12, v3
	s_waitcnt lgkmcnt(0)
	v_fmac_f32_e32 v6, v11, v12
.LBB23_68:
	s_or_b64 exec, exec, s[0:1]
	s_barrier
	s_and_saveexec_b64 s[0:1], s[26:27]
	s_cbranch_execz .LBB23_70
; %bb.69:
	v_mov_b32_e32 v11, 0
	ds_read_b32 v11, v11 offset:780
	s_waitcnt lgkmcnt(0)
	v_mul_f32_e32 v6, v6, v11
	ds_write_b32 v3, v6
.LBB23_70:
	s_or_b64 exec, exec, s[0:1]
	s_waitcnt lgkmcnt(0)
	s_barrier
	s_barrier
	s_and_saveexec_b64 s[0:1], s[2:3]
; %bb.71:
	v_xor_b32_e32 v6, 0x80000000, v6
	ds_write_b32 v1, v6 offset:8
; %bb.72:
	s_or_b64 exec, exec, s[0:1]
	v_cmp_eq_u32_e64 s[12:13], 0, v2
	v_cmp_gt_u32_e64 s[8:9], 2, v0
	s_and_b64 s[36:37], s[12:13], s[8:9]
	s_waitcnt lgkmcnt(0)
	s_barrier
	s_barrier
	s_and_saveexec_b64 s[0:1], s[36:37]
	s_cbranch_execz .LBB23_74
; %bb.73:
	v_lshlrev_b32_e32 v6, 2, v0
	s_movk_i32 s8, 0xfc
	v_mad_u32_u24 v11, v0, s8, v6
	ds_read_b32 v12, v11 offset:8
	s_waitcnt lgkmcnt(0)
	ds_write_b32 v6, v12 offset:512
	ds_read_b32 v11, v11 offset:12
	s_waitcnt lgkmcnt(0)
	ds_write_b32 v6, v11 offset:768
.LBB23_74:
	s_or_b64 exec, exec, s[0:1]
	s_waitcnt lgkmcnt(0)
	s_barrier
	s_and_saveexec_b64 s[0:1], vcc
	s_cbranch_execz .LBB23_76
; %bb.75:
	v_mov_b32_e32 v6, 0
	ds_read_b64 v[11:12], v6 offset:520
	ds_read_b32 v13, v6 offset:780
	s_waitcnt lgkmcnt(0)
	v_mul_f32_e32 v11, v11, v13
	v_mul_f32_e32 v11, v12, v11
	ds_write2_b32 v6, v11, v11 offset0:131 offset1:194
.LBB23_76:
	s_or_b64 exec, exec, s[0:1]
	v_and_b32_e32 v13, 3, v0
	v_lshrrev_b32_e32 v14, 2, v4
	v_lshlrev_b32_e32 v11, 2, v13
	v_cmp_lt_u32_e64 s[8:9], 15, v4
	v_cmp_gt_u32_e64 s[18:19], 16, v4
	v_lshl_or_b32 v6, v14, 8, v11
	v_mov_b32_e32 v15, 0
	s_waitcnt lgkmcnt(0)
	s_barrier
	s_and_saveexec_b64 s[0:1], s[18:19]
	s_cbranch_execz .LBB23_82
; %bb.77:
	v_mul_u32_u24_e32 v15, 0x104, v14
	ds_read_b32 v12, v6 offset:16
	ds_read_b32 v16, v15
	v_cmp_gt_u32_e64 s[10:11], 12, v4
	s_waitcnt lgkmcnt(0)
	v_fma_f32 v12, v12, v16, 0
	s_and_saveexec_b64 s[14:15], s[10:11]
	s_cbranch_execnz .LBB23_1205
; %bb.78:
	s_or_b64 exec, exec, s[14:15]
	v_cmp_gt_u32_e64 s[10:11], 8, v4
	s_and_saveexec_b64 s[14:15], s[10:11]
	s_cbranch_execnz .LBB23_1206
.LBB23_79:
	s_or_b64 exec, exec, s[14:15]
	v_cmp_gt_u32_e64 s[10:11], 4, v4
	s_and_saveexec_b64 s[14:15], s[10:11]
	s_cbranch_execz .LBB23_81
.LBB23_80:
	v_lshlrev_b32_e32 v15, 2, v0
	v_mov_b32_e32 v16, 0
	ds_read_b32 v15, v15 offset:784
	ds_read_b32 v16, v16 offset:12
	s_waitcnt lgkmcnt(0)
	v_fmac_f32_e32 v12, v15, v16
.LBB23_81:
	s_or_b64 exec, exec, s[14:15]
	v_xor_b32_e32 v15, 0x80000000, v12
.LBB23_82:
                                        ; implicit-def: $vgpr33 : SGPR spill to VGPR lane
	v_writelane_b32 v33, s40, 0
	s_or_b64 exec, exec, s[0:1]
	v_mov_b32_e32 v12, 0x4000
	v_cmp_eq_u32_e64 s[10:11], 0, v13
	s_xor_b64 s[0:1], s[8:9], -1
	v_lshl_add_u32 v12, v14, 2, v12
	s_and_b64 s[40:41], s[10:11], s[0:1]
	s_and_saveexec_b64 s[8:9], s[40:41]
	s_cbranch_execz .LBB23_84
; %bb.83:
	v_mov_b32_e32 v16, 0
	ds_read_b32 v16, v16 offset:1040
	s_waitcnt lgkmcnt(0)
	v_mul_f32_e32 v15, v15, v16
	ds_write_b32 v12, v15
.LBB23_84:
	s_or_b64 exec, exec, s[8:9]
	v_cmp_ne_u32_e64 s[8:9], 0, v13
	s_and_b64 s[42:43], s[8:9], s[0:1]
	s_waitcnt lgkmcnt(0)
	s_barrier
	s_and_saveexec_b64 s[8:9], s[42:43]
	s_cbranch_execz .LBB23_86
; %bb.85:
	ds_read_b32 v16, v11 offset:1040
	ds_read_b32 v17, v12
	s_waitcnt lgkmcnt(0)
	v_fmac_f32_e32 v15, v16, v17
.LBB23_86:
	s_or_b64 exec, exec, s[8:9]
	v_cmp_eq_u32_e64 s[8:9], 1, v13
	s_and_b64 s[44:45], s[8:9], s[0:1]
	s_barrier
	s_and_saveexec_b64 s[8:9], s[44:45]
	s_cbranch_execz .LBB23_88
; %bb.87:
	v_mov_b32_e32 v16, 0
	ds_read_b32 v16, v16 offset:1300
	s_waitcnt lgkmcnt(0)
	v_mul_f32_e32 v15, v15, v16
	ds_write_b32 v12, v15
.LBB23_88:
	s_or_b64 exec, exec, s[8:9]
	v_cmp_lt_u32_e64 s[8:9], 1, v13
	s_and_b64 s[46:47], s[8:9], s[0:1]
	s_waitcnt lgkmcnt(0)
	s_barrier
	s_and_saveexec_b64 s[8:9], s[46:47]
	s_cbranch_execz .LBB23_90
; %bb.89:
	ds_read_b32 v16, v11 offset:1296
	ds_read_b32 v17, v12
	s_waitcnt lgkmcnt(0)
	v_fmac_f32_e32 v15, v16, v17
.LBB23_90:
	s_or_b64 exec, exec, s[8:9]
	v_cmp_eq_u32_e64 s[8:9], 2, v13
	s_and_b64 s[48:49], s[8:9], s[0:1]
	s_barrier
	s_and_saveexec_b64 s[8:9], s[48:49]
	s_cbranch_execz .LBB23_92
; %bb.91:
	v_mov_b32_e32 v16, 0
	ds_read_b32 v16, v16 offset:1560
	s_waitcnt lgkmcnt(0)
	v_mul_f32_e32 v15, v15, v16
	ds_write_b32 v12, v15
.LBB23_92:
	s_or_b64 exec, exec, s[8:9]
	v_cmp_eq_u32_e64 s[8:9], 3, v13
	s_and_b64 s[38:39], s[8:9], s[0:1]
	s_waitcnt lgkmcnt(0)
	s_barrier
	s_and_saveexec_b64 s[0:1], s[38:39]
	s_cbranch_execz .LBB23_94
; %bb.93:
	v_mov_b32_e32 v16, 0
	ds_read_b32 v16, v16 offset:1564
	ds_read_b32 v17, v12
	s_waitcnt lgkmcnt(0)
	v_fmac_f32_e32 v15, v16, v17
.LBB23_94:
	s_or_b64 exec, exec, s[0:1]
	s_barrier
	s_and_saveexec_b64 s[0:1], s[38:39]
	s_cbranch_execz .LBB23_96
; %bb.95:
	v_mov_b32_e32 v16, 0
	ds_read_b32 v16, v16 offset:1820
	s_waitcnt lgkmcnt(0)
	v_mul_f32_e32 v15, v15, v16
	ds_write_b32 v12, v15
.LBB23_96:
	s_or_b64 exec, exec, s[0:1]
	s_waitcnt lgkmcnt(0)
	s_barrier
	s_barrier
	s_and_saveexec_b64 s[0:1], s[18:19]
; %bb.97:
	v_xor_b32_e32 v15, 0x80000000, v15
	ds_write_b32 v6, v15 offset:16
; %bb.98:
	s_or_b64 exec, exec, s[0:1]
	v_cmp_gt_u32_e64 s[8:9], 4, v0
	s_and_b64 s[50:51], s[12:13], s[8:9]
	s_waitcnt lgkmcnt(0)
	s_barrier
	s_barrier
	s_and_saveexec_b64 s[0:1], s[50:51]
	s_cbranch_execz .LBB23_100
; %bb.99:
	v_lshlrev_b32_e32 v15, 8, v0
	ds_read_b32 v16, v15 offset:16
	s_movk_i32 s8, 0xff04
	v_mad_i32_i24 v17, v0, s8, v15
	s_waitcnt lgkmcnt(0)
	ds_write_b32 v17, v16 offset:1024
	ds_read_b32 v16, v15 offset:20
	s_waitcnt lgkmcnt(0)
	ds_write_b32 v17, v16 offset:1280
	ds_read_b32 v16, v15 offset:24
	s_waitcnt lgkmcnt(0)
	ds_write_b32 v17, v16 offset:1536
	ds_read_b32 v15, v15 offset:28
	s_waitcnt lgkmcnt(0)
	ds_write_b32 v17, v15 offset:1792
.LBB23_100:
	s_or_b64 exec, exec, s[0:1]
	s_waitcnt lgkmcnt(0)
	s_barrier
	s_and_saveexec_b64 s[0:1], vcc
	s_cbranch_execz .LBB23_102
; %bb.101:
	v_mov_b32_e32 v17, 0
	ds_read_b64 v[15:16], v17 offset:1040
	ds_read_b32 v17, v17 offset:1300
	s_movk_i32 s8, 0x400
	s_waitcnt lgkmcnt(0)
	v_mul_f32_e32 v15, v15, v17
	v_mul_f32_e32 v15, v16, v15
	v_add_u32_e64 v16, s8, 0
	ds_write2_b32 v16, v15, v15 offset0:5 offset1:68
.LBB23_102:
	s_or_b64 exec, exec, s[0:1]
	v_mov_b32_e32 v15, 0
	s_waitcnt lgkmcnt(0)
	s_barrier
	s_and_saveexec_b64 s[0:1], s[2:3]
	s_cbranch_execz .LBB23_106
; %bb.103:
	v_mul_u32_u24_e32 v15, 0x104, v5
	ds_read_b32 v17, v1 offset:1048
	ds_read_b32 v15, v15 offset:1040
	v_mov_b32_e32 v16, 0
	v_cmp_gt_u32_e64 s[8:9], 2, v4
	s_waitcnt lgkmcnt(0)
	v_fma_f32 v15, v17, v15, 0
	s_and_saveexec_b64 s[10:11], s[8:9]
	s_cbranch_execz .LBB23_105
; %bb.104:
	v_lshlrev_b32_e32 v17, 2, v0
	ds_read_b32 v17, v17 offset:1304
	ds_read_b32 v16, v16 offset:1044
	s_waitcnt lgkmcnt(0)
	v_fmac_f32_e32 v15, v17, v16
.LBB23_105:
	s_or_b64 exec, exec, s[10:11]
	v_xor_b32_e32 v15, 0x80000000, v15
.LBB23_106:
	s_or_b64 exec, exec, s[0:1]
	s_and_saveexec_b64 s[0:1], s[34:35]
	s_cbranch_execz .LBB23_108
; %bb.107:
	v_mov_b32_e32 v16, 0
	ds_read_b32 v16, v16 offset:1560
	s_waitcnt lgkmcnt(0)
	v_mul_f32_e32 v15, v15, v16
	ds_write_b32 v3, v15
.LBB23_108:
	s_or_b64 exec, exec, s[0:1]
	s_waitcnt lgkmcnt(0)
	s_barrier
	s_and_saveexec_b64 s[0:1], s[26:27]
	s_cbranch_execz .LBB23_110
; %bb.109:
	v_mov_b32_e32 v16, 0
	ds_read_b32 v16, v16 offset:1564
	ds_read_b32 v17, v3
	s_waitcnt lgkmcnt(0)
	v_fmac_f32_e32 v15, v16, v17
.LBB23_110:
	s_or_b64 exec, exec, s[0:1]
	s_barrier
	s_and_saveexec_b64 s[0:1], s[26:27]
	s_cbranch_execz .LBB23_112
; %bb.111:
	v_mov_b32_e32 v16, 0
	ds_read_b32 v16, v16 offset:1820
	s_waitcnt lgkmcnt(0)
	v_mul_f32_e32 v15, v15, v16
	ds_write_b32 v3, v15
.LBB23_112:
	s_or_b64 exec, exec, s[0:1]
	s_waitcnt lgkmcnt(0)
	s_barrier
	s_barrier
	s_and_saveexec_b64 s[0:1], s[2:3]
; %bb.113:
	v_xor_b32_e32 v15, 0x80000000, v15
	ds_write_b32 v1, v15 offset:1048
; %bb.114:
	s_or_b64 exec, exec, s[0:1]
	s_waitcnt lgkmcnt(0)
	s_barrier
	s_barrier
	s_and_saveexec_b64 s[0:1], s[36:37]
	s_cbranch_execz .LBB23_116
; %bb.115:
	v_lshlrev_b32_e32 v15, 2, v0
	s_movk_i32 s8, 0xfc
	v_mad_u32_u24 v16, v0, s8, v15
	ds_read_b32 v17, v16 offset:1048
	s_waitcnt lgkmcnt(0)
	ds_write_b32 v15, v17 offset:1552
	ds_read_b32 v16, v16 offset:1052
	s_waitcnt lgkmcnt(0)
	ds_write_b32 v15, v16 offset:1808
.LBB23_116:
	s_or_b64 exec, exec, s[0:1]
	s_waitcnt lgkmcnt(0)
	s_barrier
	s_and_saveexec_b64 s[0:1], vcc
	s_cbranch_execz .LBB23_118
; %bb.117:
	v_mov_b32_e32 v17, 0
	ds_read_b64 v[15:16], v17 offset:1560
	ds_read_b32 v17, v17 offset:1820
	s_movk_i32 s8, 0x400
	s_waitcnt lgkmcnt(0)
	v_mul_f32_e32 v15, v15, v17
	v_mul_f32_e32 v15, v16, v15
	v_add_u32_e64 v16, s8, 0
	ds_write2_b32 v16, v15, v15 offset0:135 offset1:198
.LBB23_118:
	s_or_b64 exec, exec, s[0:1]
	v_and_b32_e32 v18, 7, v0
	v_lshrrev_b32_e32 v19, 3, v4
	v_lshlrev_b32_e32 v16, 2, v18
	v_cmp_lt_u32_e64 s[10:11], 63, v4
	v_cmp_gt_u32_e64 s[8:9], 64, v4
	v_lshl_or_b32 v15, v19, 8, v16
	v_mov_b32_e32 v20, 0
	s_waitcnt lgkmcnt(0)
	s_barrier
	s_and_saveexec_b64 s[0:1], s[8:9]
	s_cbranch_execz .LBB23_128
; %bb.119:
	v_mul_u32_u24_e32 v20, 0x104, v19
	ds_read_b32 v17, v15 offset:32
	ds_read_b32 v21, v20
	v_cmp_gt_u32_e64 s[14:15], 56, v4
	s_waitcnt lgkmcnt(0)
	v_fma_f32 v17, v17, v21, 0
	s_and_saveexec_b64 s[16:17], s[14:15]
	s_cbranch_execnz .LBB23_1207
; %bb.120:
	s_or_b64 exec, exec, s[16:17]
	v_cmp_gt_u32_e64 s[14:15], 48, v4
	s_and_saveexec_b64 s[16:17], s[14:15]
	s_cbranch_execnz .LBB23_1208
.LBB23_121:
	s_or_b64 exec, exec, s[16:17]
	v_cmp_gt_u32_e64 s[14:15], 40, v4
	s_and_saveexec_b64 s[16:17], s[14:15]
	s_cbranch_execnz .LBB23_1209
.LBB23_122:
	s_or_b64 exec, exec, s[16:17]
	v_cmp_gt_u32_e64 s[14:15], 32, v4
	s_and_saveexec_b64 s[16:17], s[14:15]
	s_cbranch_execnz .LBB23_1210
.LBB23_123:
	s_or_b64 exec, exec, s[16:17]
	v_cmp_gt_u32_e64 s[14:15], 24, v4
	s_and_saveexec_b64 s[16:17], s[14:15]
	s_cbranch_execnz .LBB23_1211
.LBB23_124:
	s_or_b64 exec, exec, s[16:17]
	v_cmp_gt_u32_e64 s[14:15], 16, v4
	s_and_saveexec_b64 s[16:17], s[14:15]
	s_cbranch_execnz .LBB23_1212
.LBB23_125:
	s_or_b64 exec, exec, s[16:17]
	v_cmp_gt_u32_e64 s[14:15], 8, v4
	s_and_saveexec_b64 s[16:17], s[14:15]
	s_cbranch_execz .LBB23_127
.LBB23_126:
	v_lshlrev_b32_e32 v20, 2, v0
	v_mov_b32_e32 v21, 0
	ds_read_b32 v20, v20 offset:1824
	ds_read_b32 v21, v21 offset:28
	s_waitcnt lgkmcnt(0)
	v_fmac_f32_e32 v17, v20, v21
.LBB23_127:
	s_or_b64 exec, exec, s[16:17]
	v_xor_b32_e32 v20, 0x80000000, v17
.LBB23_128:
	v_writelane_b32 v33, s52, 1
	v_writelane_b32 v33, s53, 2
	s_or_b64 exec, exec, s[0:1]
	v_mov_b32_e32 v17, 0x4000
	v_cmp_eq_u32_e64 s[14:15], 0, v18
	s_xor_b64 s[0:1], s[10:11], -1
	v_lshl_add_u32 v17, v19, 2, v17
	s_and_b64 s[52:53], s[14:15], s[0:1]
	s_and_saveexec_b64 s[10:11], s[52:53]
	s_cbranch_execz .LBB23_130
; %bb.129:
	v_mov_b32_e32 v21, 0
	ds_read_b32 v21, v21 offset:2080
	s_waitcnt lgkmcnt(0)
	v_mul_f32_e32 v20, v20, v21
	ds_write_b32 v17, v20
.LBB23_130:
	s_or_b64 exec, exec, s[10:11]
	v_cmp_ne_u32_e64 s[10:11], 0, v18
	s_and_b64 s[54:55], s[10:11], s[0:1]
	s_waitcnt lgkmcnt(0)
	s_barrier
	s_and_saveexec_b64 s[10:11], s[54:55]
	s_cbranch_execz .LBB23_132
; %bb.131:
	ds_read_b32 v21, v16 offset:2080
	ds_read_b32 v22, v17
	s_waitcnt lgkmcnt(0)
	v_fmac_f32_e32 v20, v21, v22
.LBB23_132:
	s_or_b64 exec, exec, s[10:11]
	v_cmp_eq_u32_e64 s[10:11], 1, v18
	s_and_b64 s[56:57], s[10:11], s[0:1]
	s_barrier
	s_and_saveexec_b64 s[10:11], s[56:57]
	s_cbranch_execz .LBB23_134
; %bb.133:
	v_mov_b32_e32 v21, 0
	ds_read_b32 v21, v21 offset:2340
	s_waitcnt lgkmcnt(0)
	v_mul_f32_e32 v20, v20, v21
	ds_write_b32 v17, v20
.LBB23_134:
	s_or_b64 exec, exec, s[10:11]
	v_cmp_lt_u32_e64 s[10:11], 1, v18
	s_and_b64 s[58:59], s[10:11], s[0:1]
	s_waitcnt lgkmcnt(0)
	s_barrier
	s_and_saveexec_b64 s[10:11], s[58:59]
	s_cbranch_execz .LBB23_136
; %bb.135:
	ds_read_b32 v21, v16 offset:2336
	ds_read_b32 v22, v17
	s_waitcnt lgkmcnt(0)
	v_fmac_f32_e32 v20, v21, v22
.LBB23_136:
	s_or_b64 exec, exec, s[10:11]
	v_cmp_eq_u32_e64 s[10:11], 2, v18
	s_and_b64 s[62:63], s[10:11], s[0:1]
	s_barrier
	s_and_saveexec_b64 s[10:11], s[62:63]
	s_cbranch_execz .LBB23_138
; %bb.137:
	v_mov_b32_e32 v21, 0
	ds_read_b32 v21, v21 offset:2600
	s_waitcnt lgkmcnt(0)
	v_mul_f32_e32 v20, v20, v21
	ds_write_b32 v17, v20
.LBB23_138:
	s_or_b64 exec, exec, s[10:11]
	v_cmp_lt_u32_e64 s[10:11], 2, v18
	;; [unrolled: 26-line block ×5, first 2 shown]
	s_and_b64 s[76:77], s[10:11], s[0:1]
	s_waitcnt lgkmcnt(0)
	s_barrier
	s_and_saveexec_b64 s[10:11], s[76:77]
	s_cbranch_execz .LBB23_152
; %bb.151:
	ds_read_b32 v21, v16 offset:3360
	ds_read_b32 v22, v17
	s_waitcnt lgkmcnt(0)
	v_fmac_f32_e32 v20, v21, v22
.LBB23_152:
	s_or_b64 exec, exec, s[10:11]
	v_cmp_eq_u32_e64 s[10:11], 6, v18
	s_and_b64 s[78:79], s[10:11], s[0:1]
	s_barrier
	s_and_saveexec_b64 s[10:11], s[78:79]
	s_cbranch_execz .LBB23_154
; %bb.153:
	v_mov_b32_e32 v21, 0
	ds_read_b32 v21, v21 offset:3640
	s_waitcnt lgkmcnt(0)
	v_mul_f32_e32 v20, v20, v21
	ds_write_b32 v17, v20
.LBB23_154:
	s_or_b64 exec, exec, s[10:11]
	v_cmp_eq_u32_e64 s[10:11], 7, v18
	s_and_b64 s[60:61], s[10:11], s[0:1]
	s_waitcnt lgkmcnt(0)
	s_barrier
	s_and_saveexec_b64 s[0:1], s[60:61]
	s_cbranch_execz .LBB23_156
; %bb.155:
	v_mov_b32_e32 v21, 0
	ds_read_b32 v21, v21 offset:3644
	ds_read_b32 v22, v17
	s_waitcnt lgkmcnt(0)
	v_fmac_f32_e32 v20, v21, v22
.LBB23_156:
	s_or_b64 exec, exec, s[0:1]
	s_barrier
	s_and_saveexec_b64 s[0:1], s[60:61]
	s_cbranch_execz .LBB23_158
; %bb.157:
	v_mov_b32_e32 v21, 0
	ds_read_b32 v21, v21 offset:3900
	s_waitcnt lgkmcnt(0)
	v_mul_f32_e32 v20, v20, v21
	ds_write_b32 v17, v20
.LBB23_158:
	s_or_b64 exec, exec, s[0:1]
	s_waitcnt lgkmcnt(0)
	s_barrier
	s_barrier
	s_and_saveexec_b64 s[0:1], s[8:9]
; %bb.159:
	v_xor_b32_e32 v20, 0x80000000, v20
	ds_write_b32 v15, v20 offset:32
; %bb.160:
	s_or_b64 exec, exec, s[0:1]
	v_cmp_gt_u32_e64 s[10:11], 8, v0
	s_and_b64 s[80:81], s[12:13], s[10:11]
	s_waitcnt lgkmcnt(0)
	s_barrier
	s_barrier
	s_and_saveexec_b64 s[0:1], s[80:81]
	s_cbranch_execz .LBB23_162
; %bb.161:
	v_lshlrev_b32_e32 v20, 8, v0
	ds_read_b32 v21, v20 offset:32
	s_movk_i32 s10, 0xff04
	v_mad_i32_i24 v22, v0, s10, v20
	s_waitcnt lgkmcnt(0)
	ds_write_b32 v22, v21 offset:2048
	ds_read_b32 v21, v20 offset:36
	s_waitcnt lgkmcnt(0)
	ds_write_b32 v22, v21 offset:2304
	ds_read_b32 v21, v20 offset:40
	;; [unrolled: 3-line block ×7, first 2 shown]
	s_waitcnt lgkmcnt(0)
	ds_write_b32 v22, v20 offset:3840
.LBB23_162:
	s_or_b64 exec, exec, s[0:1]
	s_waitcnt lgkmcnt(0)
	s_barrier
	s_and_saveexec_b64 s[0:1], vcc
	s_cbranch_execz .LBB23_164
; %bb.163:
	v_mov_b32_e32 v22, 0
	ds_read_b64 v[20:21], v22 offset:2080
	ds_read_b32 v22, v22 offset:2340
	s_movk_i32 s10, 0x800
	s_waitcnt lgkmcnt(0)
	v_mul_f32_e32 v20, v20, v22
	v_mul_f32_e32 v20, v21, v20
	v_add_u32_e64 v21, s10, 0
	ds_write2_b32 v21, v20, v20 offset0:9 offset1:72
.LBB23_164:
	s_or_b64 exec, exec, s[0:1]
	v_mov_b32_e32 v20, 0
	s_waitcnt lgkmcnt(0)
	s_barrier
	s_and_saveexec_b64 s[0:1], s[2:3]
	s_cbranch_execz .LBB23_168
; %bb.165:
	v_mul_u32_u24_e32 v20, 0x104, v5
	ds_read_b32 v22, v1 offset:2088
	ds_read_b32 v20, v20 offset:2080
	v_mov_b32_e32 v21, 0
	v_cmp_gt_u32_e64 s[10:11], 2, v4
	s_waitcnt lgkmcnt(0)
	v_fma_f32 v20, v22, v20, 0
	s_and_saveexec_b64 s[14:15], s[10:11]
	s_cbranch_execz .LBB23_167
; %bb.166:
	v_lshlrev_b32_e32 v22, 2, v0
	ds_read_b32 v22, v22 offset:2344
	ds_read_b32 v21, v21 offset:2084
	s_waitcnt lgkmcnt(0)
	v_fmac_f32_e32 v20, v22, v21
.LBB23_167:
	s_or_b64 exec, exec, s[14:15]
	v_xor_b32_e32 v20, 0x80000000, v20
.LBB23_168:
	s_or_b64 exec, exec, s[0:1]
	s_and_saveexec_b64 s[0:1], s[34:35]
	s_cbranch_execz .LBB23_170
; %bb.169:
	v_mov_b32_e32 v21, 0
	ds_read_b32 v21, v21 offset:2600
	s_waitcnt lgkmcnt(0)
	v_mul_f32_e32 v20, v20, v21
	ds_write_b32 v3, v20
.LBB23_170:
	s_or_b64 exec, exec, s[0:1]
	s_waitcnt lgkmcnt(0)
	s_barrier
	s_and_saveexec_b64 s[0:1], s[26:27]
	s_cbranch_execz .LBB23_172
; %bb.171:
	v_mov_b32_e32 v21, 0
	ds_read_b32 v21, v21 offset:2604
	ds_read_b32 v22, v3
	s_waitcnt lgkmcnt(0)
	v_fmac_f32_e32 v20, v21, v22
.LBB23_172:
	s_or_b64 exec, exec, s[0:1]
	s_barrier
	s_and_saveexec_b64 s[0:1], s[26:27]
	s_cbranch_execz .LBB23_174
; %bb.173:
	v_mov_b32_e32 v21, 0
	ds_read_b32 v21, v21 offset:2860
	s_waitcnt lgkmcnt(0)
	v_mul_f32_e32 v20, v20, v21
	ds_write_b32 v3, v20
.LBB23_174:
	s_or_b64 exec, exec, s[0:1]
	s_waitcnt lgkmcnt(0)
	s_barrier
	s_barrier
	s_and_saveexec_b64 s[0:1], s[2:3]
; %bb.175:
	v_xor_b32_e32 v20, 0x80000000, v20
	ds_write_b32 v1, v20 offset:2088
; %bb.176:
	s_or_b64 exec, exec, s[0:1]
	s_waitcnt lgkmcnt(0)
	s_barrier
	s_barrier
	s_and_saveexec_b64 s[0:1], s[36:37]
	s_cbranch_execz .LBB23_178
; %bb.177:
	v_lshlrev_b32_e32 v20, 2, v0
	s_movk_i32 s10, 0xfc
	v_mad_u32_u24 v21, v0, s10, v20
	ds_read_b32 v22, v21 offset:2088
	s_waitcnt lgkmcnt(0)
	ds_write_b32 v20, v22 offset:2592
	ds_read_b32 v21, v21 offset:2092
	s_waitcnt lgkmcnt(0)
	ds_write_b32 v20, v21 offset:2848
.LBB23_178:
	s_or_b64 exec, exec, s[0:1]
	s_waitcnt lgkmcnt(0)
	s_barrier
	s_and_saveexec_b64 s[0:1], vcc
	s_cbranch_execz .LBB23_180
; %bb.179:
	v_mov_b32_e32 v22, 0
	ds_read_b64 v[20:21], v22 offset:2600
	ds_read_b32 v22, v22 offset:2860
	s_movk_i32 s10, 0x800
	s_waitcnt lgkmcnt(0)
	v_mul_f32_e32 v20, v20, v22
	v_mul_f32_e32 v20, v21, v20
	v_add_u32_e64 v21, s10, 0
	ds_write2_b32 v21, v20, v20 offset0:139 offset1:202
.LBB23_180:
	s_or_b64 exec, exec, s[0:1]
	v_mov_b32_e32 v20, 0
	s_waitcnt lgkmcnt(0)
	s_barrier
	s_and_saveexec_b64 s[0:1], s[18:19]
	s_cbranch_execz .LBB23_186
; %bb.181:
	v_mul_u32_u24_e32 v21, 0x104, v14
	ds_read_b32 v20, v6 offset:2096
	ds_read_b32 v22, v21 offset:2080
	v_cmp_gt_u32_e64 s[10:11], 12, v4
	s_waitcnt lgkmcnt(0)
	v_fma_f32 v20, v20, v22, 0
	s_and_saveexec_b64 s[14:15], s[10:11]
	s_cbranch_execnz .LBB23_1213
; %bb.182:
	s_or_b64 exec, exec, s[14:15]
	v_cmp_gt_u32_e64 s[10:11], 8, v4
	s_and_saveexec_b64 s[14:15], s[10:11]
	s_cbranch_execnz .LBB23_1214
.LBB23_183:
	s_or_b64 exec, exec, s[14:15]
	v_cmp_gt_u32_e64 s[10:11], 4, v4
	s_and_saveexec_b64 s[14:15], s[10:11]
	s_cbranch_execz .LBB23_185
.LBB23_184:
	v_lshlrev_b32_e32 v21, 2, v0
	v_mov_b32_e32 v22, 0
	ds_read_b32 v21, v21 offset:2864
	ds_read_b32 v22, v22 offset:2092
	s_waitcnt lgkmcnt(0)
	v_fmac_f32_e32 v20, v21, v22
.LBB23_185:
	s_or_b64 exec, exec, s[14:15]
	v_xor_b32_e32 v20, 0x80000000, v20
.LBB23_186:
	s_or_b64 exec, exec, s[0:1]
	s_and_saveexec_b64 s[0:1], s[40:41]
	s_cbranch_execz .LBB23_188
; %bb.187:
	v_mov_b32_e32 v21, 0
	ds_read_b32 v21, v21 offset:3120
	s_waitcnt lgkmcnt(0)
	v_mul_f32_e32 v20, v20, v21
	ds_write_b32 v12, v20
.LBB23_188:
	s_or_b64 exec, exec, s[0:1]
	s_waitcnt lgkmcnt(0)
	s_barrier
	s_and_saveexec_b64 s[0:1], s[42:43]
	s_cbranch_execz .LBB23_190
; %bb.189:
	ds_read_b32 v21, v11 offset:3120
	ds_read_b32 v22, v12
	s_waitcnt lgkmcnt(0)
	v_fmac_f32_e32 v20, v21, v22
.LBB23_190:
	s_or_b64 exec, exec, s[0:1]
	s_barrier
	s_and_saveexec_b64 s[0:1], s[44:45]
	s_cbranch_execz .LBB23_192
; %bb.191:
	v_mov_b32_e32 v21, 0
	ds_read_b32 v21, v21 offset:3380
	s_waitcnt lgkmcnt(0)
	v_mul_f32_e32 v20, v20, v21
	ds_write_b32 v12, v20
.LBB23_192:
	s_or_b64 exec, exec, s[0:1]
	s_waitcnt lgkmcnt(0)
	s_barrier
	s_and_saveexec_b64 s[0:1], s[46:47]
	s_cbranch_execz .LBB23_194
; %bb.193:
	ds_read_b32 v21, v11 offset:3376
	ds_read_b32 v22, v12
	s_waitcnt lgkmcnt(0)
	v_fmac_f32_e32 v20, v21, v22
.LBB23_194:
	s_or_b64 exec, exec, s[0:1]
	s_barrier
	s_and_saveexec_b64 s[0:1], s[48:49]
	s_cbranch_execz .LBB23_196
; %bb.195:
	v_mov_b32_e32 v21, 0
	ds_read_b32 v21, v21 offset:3640
	s_waitcnt lgkmcnt(0)
	v_mul_f32_e32 v20, v20, v21
	ds_write_b32 v12, v20
.LBB23_196:
	s_or_b64 exec, exec, s[0:1]
	s_waitcnt lgkmcnt(0)
	s_barrier
	s_and_saveexec_b64 s[0:1], s[38:39]
	s_cbranch_execz .LBB23_198
; %bb.197:
	v_mov_b32_e32 v21, 0
	ds_read_b32 v21, v21 offset:3644
	ds_read_b32 v22, v12
	s_waitcnt lgkmcnt(0)
	v_fmac_f32_e32 v20, v21, v22
.LBB23_198:
	s_or_b64 exec, exec, s[0:1]
	s_barrier
	s_and_saveexec_b64 s[0:1], s[38:39]
	s_cbranch_execz .LBB23_200
; %bb.199:
	v_mov_b32_e32 v21, 0
	ds_read_b32 v21, v21 offset:3900
	s_waitcnt lgkmcnt(0)
	v_mul_f32_e32 v20, v20, v21
	ds_write_b32 v12, v20
.LBB23_200:
	s_or_b64 exec, exec, s[0:1]
	s_waitcnt lgkmcnt(0)
	s_barrier
	s_barrier
	s_and_saveexec_b64 s[0:1], s[18:19]
; %bb.201:
	v_xor_b32_e32 v20, 0x80000000, v20
	ds_write_b32 v6, v20 offset:2096
; %bb.202:
	s_or_b64 exec, exec, s[0:1]
	s_waitcnt lgkmcnt(0)
	s_barrier
	s_barrier
	s_and_saveexec_b64 s[0:1], s[50:51]
	s_cbranch_execz .LBB23_204
; %bb.203:
	v_lshlrev_b32_e32 v20, 8, v0
	ds_read_b32 v21, v20 offset:2096
	s_movk_i32 s10, 0xff04
	v_mad_i32_i24 v22, v0, s10, v20
	s_waitcnt lgkmcnt(0)
	ds_write_b32 v22, v21 offset:3104
	ds_read_b32 v21, v20 offset:2100
	s_waitcnt lgkmcnt(0)
	ds_write_b32 v22, v21 offset:3360
	ds_read_b32 v21, v20 offset:2104
	;; [unrolled: 3-line block ×3, first 2 shown]
	s_waitcnt lgkmcnt(0)
	ds_write_b32 v22, v20 offset:3872
.LBB23_204:
	s_or_b64 exec, exec, s[0:1]
	s_waitcnt lgkmcnt(0)
	s_barrier
	s_and_saveexec_b64 s[0:1], vcc
	s_cbranch_execz .LBB23_206
; %bb.205:
	v_mov_b32_e32 v22, 0
	ds_read_b64 v[20:21], v22 offset:3120
	ds_read_b32 v22, v22 offset:3380
	s_movk_i32 s10, 0xc00
	s_waitcnt lgkmcnt(0)
	v_mul_f32_e32 v20, v20, v22
	v_mul_f32_e32 v20, v21, v20
	v_add_u32_e64 v21, s10, 0
	ds_write2_b32 v21, v20, v20 offset0:13 offset1:76
.LBB23_206:
	s_or_b64 exec, exec, s[0:1]
	v_mov_b32_e32 v20, 0
	s_waitcnt lgkmcnt(0)
	s_barrier
	s_and_saveexec_b64 s[0:1], s[2:3]
	s_cbranch_execz .LBB23_210
; %bb.207:
	v_mul_u32_u24_e32 v20, 0x104, v5
	ds_read_b32 v22, v1 offset:3128
	ds_read_b32 v20, v20 offset:3120
	v_mov_b32_e32 v21, 0
	v_cmp_gt_u32_e64 s[10:11], 2, v4
	s_waitcnt lgkmcnt(0)
	v_fma_f32 v20, v22, v20, 0
	s_and_saveexec_b64 s[14:15], s[10:11]
	s_cbranch_execz .LBB23_209
; %bb.208:
	v_lshlrev_b32_e32 v22, 2, v0
	ds_read_b32 v22, v22 offset:3384
	ds_read_b32 v21, v21 offset:3124
	s_waitcnt lgkmcnt(0)
	v_fmac_f32_e32 v20, v22, v21
.LBB23_209:
	s_or_b64 exec, exec, s[14:15]
	v_xor_b32_e32 v20, 0x80000000, v20
.LBB23_210:
	s_or_b64 exec, exec, s[0:1]
	s_and_saveexec_b64 s[0:1], s[34:35]
	s_cbranch_execz .LBB23_212
; %bb.211:
	v_mov_b32_e32 v21, 0
	ds_read_b32 v21, v21 offset:3640
	s_waitcnt lgkmcnt(0)
	v_mul_f32_e32 v20, v20, v21
	ds_write_b32 v3, v20
.LBB23_212:
	s_or_b64 exec, exec, s[0:1]
	s_waitcnt lgkmcnt(0)
	s_barrier
	s_and_saveexec_b64 s[0:1], s[26:27]
	s_cbranch_execz .LBB23_214
; %bb.213:
	v_mov_b32_e32 v21, 0
	ds_read_b32 v21, v21 offset:3644
	ds_read_b32 v22, v3
	s_waitcnt lgkmcnt(0)
	v_fmac_f32_e32 v20, v21, v22
.LBB23_214:
	s_or_b64 exec, exec, s[0:1]
	s_barrier
	s_and_saveexec_b64 s[0:1], s[26:27]
	s_cbranch_execz .LBB23_216
; %bb.215:
	v_mov_b32_e32 v21, 0
	ds_read_b32 v21, v21 offset:3900
	s_waitcnt lgkmcnt(0)
	v_mul_f32_e32 v20, v20, v21
	ds_write_b32 v3, v20
.LBB23_216:
	s_or_b64 exec, exec, s[0:1]
	s_waitcnt lgkmcnt(0)
	s_barrier
	s_barrier
	s_and_saveexec_b64 s[0:1], s[2:3]
; %bb.217:
	v_xor_b32_e32 v20, 0x80000000, v20
	ds_write_b32 v1, v20 offset:3128
; %bb.218:
	s_or_b64 exec, exec, s[0:1]
	s_waitcnt lgkmcnt(0)
	s_barrier
	s_barrier
	s_and_saveexec_b64 s[0:1], s[36:37]
	s_cbranch_execz .LBB23_220
; %bb.219:
	v_lshlrev_b32_e32 v20, 2, v0
	s_movk_i32 s10, 0xfc
	v_mad_u32_u24 v21, v0, s10, v20
	ds_read_b32 v22, v21 offset:3128
	s_waitcnt lgkmcnt(0)
	ds_write_b32 v20, v22 offset:3632
	ds_read_b32 v21, v21 offset:3132
	s_waitcnt lgkmcnt(0)
	ds_write_b32 v20, v21 offset:3888
.LBB23_220:
	s_or_b64 exec, exec, s[0:1]
	s_waitcnt lgkmcnt(0)
	s_barrier
	s_and_saveexec_b64 s[0:1], vcc
	s_cbranch_execz .LBB23_222
; %bb.221:
	v_mov_b32_e32 v22, 0
	ds_read_b64 v[20:21], v22 offset:3640
	ds_read_b32 v22, v22 offset:3900
	s_movk_i32 s10, 0xc00
	s_waitcnt lgkmcnt(0)
	v_mul_f32_e32 v20, v20, v22
	v_mul_f32_e32 v20, v21, v20
	v_add_u32_e64 v21, s10, 0
	ds_write2_b32 v21, v20, v20 offset0:143 offset1:206
.LBB23_222:
	s_or_b64 exec, exec, s[0:1]
	v_lshrrev_b32_e32 v24, 4, v4
	v_and_b32_e32 v21, 15, v0
	s_movk_i32 s0, 0xff
	v_lshlrev_b32_e32 v23, 6, v24
	v_cmp_lt_u32_e64 s[14:15], s0, v4
	s_movk_i32 s0, 0x100
	v_or_b32_e32 v20, v23, v21
	v_cmp_gt_u32_e64 s[10:11], s0, v4
	v_lshlrev_b32_e32 v20, 2, v20
	v_mov_b32_e32 v25, 0
	s_waitcnt lgkmcnt(0)
	s_barrier
	s_and_saveexec_b64 s[0:1], s[10:11]
	s_cbranch_execz .LBB23_250
; %bb.223:
	v_mul_u32_u24_e32 v25, 0x104, v24
	ds_read_b32 v22, v20 offset:64
	ds_read_b32 v26, v25
	s_movk_i32 s16, 0xf0
	v_cmp_gt_u32_e64 s[16:17], s16, v4
	s_waitcnt lgkmcnt(0)
	v_fma_f32 v22, v22, v26, 0
	s_and_saveexec_b64 s[20:21], s[16:17]
	s_cbranch_execz .LBB23_225
; %bb.224:
	v_lshlrev_b32_e32 v26, 2, v24
	v_sub_u32_e32 v26, v25, v26
	v_lshl_add_u32 v26, v21, 2, v26
	ds_read_b32 v26, v26 offset:320
	ds_read_b32 v27, v25 offset:4
	s_waitcnt lgkmcnt(0)
	v_fmac_f32_e32 v22, v26, v27
.LBB23_225:
	s_or_b64 exec, exec, s[20:21]
	s_movk_i32 s16, 0xe0
	v_cmp_gt_u32_e64 s[16:17], s16, v4
	s_and_saveexec_b64 s[20:21], s[16:17]
	s_cbranch_execz .LBB23_227
; %bb.226:
	v_lshlrev_b32_e32 v26, 2, v24
	v_sub_u32_e32 v26, v25, v26
	v_lshl_add_u32 v26, v21, 2, v26
	ds_read_b32 v26, v26 offset:576
	ds_read_b32 v27, v25 offset:8
	s_waitcnt lgkmcnt(0)
	v_fmac_f32_e32 v22, v26, v27
.LBB23_227:
	s_or_b64 exec, exec, s[20:21]
	s_movk_i32 s16, 0xd0
	v_cmp_gt_u32_e64 s[16:17], s16, v4
	;; [unrolled: 14-line block ×7, first 2 shown]
	s_and_saveexec_b64 s[20:21], s[16:17]
	s_cbranch_execz .LBB23_239
; %bb.238:
	ds_read_b32 v26, v20 offset:2112
	ds_read_b32 v27, v25 offset:32
	s_waitcnt lgkmcnt(0)
	v_fmac_f32_e32 v22, v26, v27
.LBB23_239:
	s_or_b64 exec, exec, s[20:21]
	s_movk_i32 s16, 0x70
	v_cmp_gt_u32_e64 s[16:17], s16, v4
	s_and_saveexec_b64 s[20:21], s[16:17]
	s_cbranch_execz .LBB23_241
; %bb.240:
	v_lshlrev_b32_e32 v26, 2, v24
	v_sub_u32_e32 v26, v25, v26
	v_lshl_add_u32 v26, v21, 2, v26
	ds_read_b32 v26, v26 offset:2368
	ds_read_b32 v27, v25 offset:36
	s_waitcnt lgkmcnt(0)
	v_fmac_f32_e32 v22, v26, v27
.LBB23_241:
	s_or_b64 exec, exec, s[20:21]
	s_movk_i32 s16, 0x60
	v_cmp_gt_u32_e64 s[16:17], s16, v4
	s_and_saveexec_b64 s[20:21], s[16:17]
	s_cbranch_execz .LBB23_243
; %bb.242:
	v_lshlrev_b32_e32 v26, 2, v21
	v_lshl_add_u32 v26, v23, 2, v26
	ds_read_b32 v26, v26 offset:2624
	ds_read_b32 v27, v25 offset:40
	s_waitcnt lgkmcnt(0)
	v_fmac_f32_e32 v22, v26, v27
.LBB23_243:
	s_or_b64 exec, exec, s[20:21]
	s_movk_i32 s16, 0x50
	v_cmp_gt_u32_e64 s[16:17], s16, v4
	s_and_saveexec_b64 s[20:21], s[16:17]
	s_cbranch_execnz .LBB23_1215
; %bb.244:
	s_or_b64 exec, exec, s[20:21]
	v_cmp_gt_u32_e64 s[16:17], 64, v4
	s_and_saveexec_b64 s[20:21], s[16:17]
	s_cbranch_execnz .LBB23_1216
.LBB23_245:
	s_or_b64 exec, exec, s[20:21]
	v_cmp_gt_u32_e64 s[16:17], 48, v4
	s_and_saveexec_b64 s[20:21], s[16:17]
	s_cbranch_execnz .LBB23_1217
.LBB23_246:
	s_or_b64 exec, exec, s[20:21]
	v_cmp_gt_u32_e64 s[16:17], 32, v4
	s_and_saveexec_b64 s[20:21], s[16:17]
	s_cbranch_execnz .LBB23_1218
.LBB23_247:
	s_or_b64 exec, exec, s[20:21]
	v_cmp_gt_u32_e64 s[16:17], 16, v4
	s_and_saveexec_b64 s[20:21], s[16:17]
	s_cbranch_execz .LBB23_249
.LBB23_248:
	v_lshlrev_b32_e32 v25, 2, v0
	v_mov_b32_e32 v26, 0
	ds_read_b32 v25, v25 offset:3904
	ds_read_b32 v26, v26 offset:60
	s_waitcnt lgkmcnt(0)
	v_fmac_f32_e32 v22, v25, v26
.LBB23_249:
	s_or_b64 exec, exec, s[20:21]
	v_xor_b32_e32 v25, 0x80000000, v22
.LBB23_250:
	s_or_b64 exec, exec, s[0:1]
	v_mov_b32_e32 v22, 0x4000
	v_lshl_add_u32 v22, v24, 2, v22
	v_cmp_eq_u32_e64 s[16:17], 0, v21
	s_xor_b64 s[0:1], s[14:15], -1
	s_and_b64 s[16:17], s[16:17], s[0:1]
	s_mov_b64 s[14:15], exec
	v_writelane_b32 v33, s16, 3
	v_writelane_b32 v33, s17, 4
	s_and_b64 s[16:17], s[14:15], s[16:17]
	s_mov_b64 exec, s[16:17]
	s_cbranch_execz .LBB23_252
; %bb.251:
	v_mov_b32_e32 v26, 0
	ds_read_b32 v26, v26 offset:4160
	s_waitcnt lgkmcnt(0)
	v_mul_f32_e32 v25, v25, v26
	ds_write_b32 v22, v25
.LBB23_252:
	s_or_b64 exec, exec, s[14:15]
	v_cmp_ne_u32_e64 s[14:15], 0, v21
	s_waitcnt lgkmcnt(0)
	s_barrier
	s_and_b64 s[16:17], s[14:15], s[0:1]
	s_mov_b64 s[14:15], exec
	v_writelane_b32 v33, s16, 5
	v_writelane_b32 v33, s17, 6
	s_and_b64 s[16:17], s[14:15], s[16:17]
	s_mov_b64 exec, s[16:17]
	s_cbranch_execz .LBB23_254
; %bb.253:
	v_lshlrev_b32_e32 v26, 2, v21
	ds_read_b32 v26, v26 offset:4160
	ds_read_b32 v27, v22
	s_waitcnt lgkmcnt(0)
	v_fmac_f32_e32 v25, v26, v27
.LBB23_254:
	s_or_b64 exec, exec, s[14:15]
	v_cmp_eq_u32_e64 s[14:15], 1, v21
	s_barrier
	s_and_b64 s[16:17], s[14:15], s[0:1]
	s_mov_b64 s[14:15], exec
	v_writelane_b32 v33, s16, 7
	v_writelane_b32 v33, s17, 8
	s_and_b64 s[16:17], s[14:15], s[16:17]
	s_mov_b64 exec, s[16:17]
	s_cbranch_execz .LBB23_256
; %bb.255:
	v_mov_b32_e32 v26, 0
	ds_read_b32 v26, v26 offset:4420
	s_waitcnt lgkmcnt(0)
	v_mul_f32_e32 v25, v25, v26
	ds_write_b32 v22, v25
.LBB23_256:
	s_or_b64 exec, exec, s[14:15]
	v_cmp_lt_u32_e64 s[14:15], 1, v21
	s_waitcnt lgkmcnt(0)
	s_barrier
	s_and_b64 s[16:17], s[14:15], s[0:1]
	s_mov_b64 s[14:15], exec
	v_writelane_b32 v33, s16, 9
	v_writelane_b32 v33, s17, 10
	s_and_b64 s[16:17], s[14:15], s[16:17]
	s_mov_b64 exec, s[16:17]
	s_cbranch_execz .LBB23_258
; %bb.257:
	v_lshlrev_b32_e32 v26, 2, v21
	ds_read_b32 v26, v26 offset:4416
	ds_read_b32 v27, v22
	s_waitcnt lgkmcnt(0)
	v_fmac_f32_e32 v25, v26, v27
.LBB23_258:
	s_or_b64 exec, exec, s[14:15]
	v_cmp_eq_u32_e64 s[14:15], 2, v21
	s_barrier
	s_and_b64 s[16:17], s[14:15], s[0:1]
	s_mov_b64 s[14:15], exec
	v_writelane_b32 v33, s16, 11
	v_writelane_b32 v33, s17, 12
	s_and_b64 s[16:17], s[14:15], s[16:17]
	s_mov_b64 exec, s[16:17]
	s_cbranch_execz .LBB23_260
; %bb.259:
	v_mov_b32_e32 v26, 0
	ds_read_b32 v26, v26 offset:4680
	s_waitcnt lgkmcnt(0)
	v_mul_f32_e32 v25, v25, v26
	ds_write_b32 v22, v25
.LBB23_260:
	s_or_b64 exec, exec, s[14:15]
	v_cmp_lt_u32_e64 s[14:15], 2, v21
	;; [unrolled: 35-line block ×13, first 2 shown]
	s_and_b64 s[92:93], s[14:15], s[0:1]
	s_waitcnt lgkmcnt(0)
	s_barrier
	s_and_saveexec_b64 s[14:15], s[92:93]
	s_cbranch_execz .LBB23_306
; %bb.305:
	v_lshlrev_b32_e32 v26, 2, v21
	ds_read_b32 v26, v26 offset:7488
	ds_read_b32 v27, v22
	s_waitcnt lgkmcnt(0)
	v_fmac_f32_e32 v25, v26, v27
.LBB23_306:
	s_or_b64 exec, exec, s[14:15]
	v_cmp_eq_u32_e64 s[14:15], 14, v21
	s_and_b64 s[94:95], s[14:15], s[0:1]
	s_barrier
	s_and_saveexec_b64 s[14:15], s[94:95]
	s_cbranch_execz .LBB23_308
; %bb.307:
	v_mov_b32_e32 v26, 0
	ds_read_b32 v26, v26 offset:7800
	s_waitcnt lgkmcnt(0)
	v_mul_f32_e32 v25, v25, v26
	ds_write_b32 v22, v25
.LBB23_308:
	s_or_b64 exec, exec, s[14:15]
	v_cmp_eq_u32_e64 s[14:15], 15, v21
	s_and_b64 s[90:91], s[14:15], s[0:1]
	s_waitcnt lgkmcnt(0)
	s_barrier
	s_and_saveexec_b64 s[0:1], s[90:91]
	s_cbranch_execz .LBB23_310
; %bb.309:
	v_mov_b32_e32 v26, 0
	ds_read_b32 v26, v26 offset:7804
	ds_read_b32 v27, v22
	s_waitcnt lgkmcnt(0)
	v_fmac_f32_e32 v25, v26, v27
.LBB23_310:
	s_or_b64 exec, exec, s[0:1]
	s_barrier
	s_and_saveexec_b64 s[0:1], s[90:91]
	s_cbranch_execz .LBB23_312
; %bb.311:
	v_mov_b32_e32 v26, 0
	ds_read_b32 v26, v26 offset:8060
	s_waitcnt lgkmcnt(0)
	v_mul_f32_e32 v25, v25, v26
	ds_write_b32 v22, v25
.LBB23_312:
	s_or_b64 exec, exec, s[0:1]
	s_waitcnt lgkmcnt(0)
	s_barrier
	s_barrier
	s_and_saveexec_b64 s[0:1], s[10:11]
; %bb.313:
	v_xor_b32_e32 v25, 0x80000000, v25
	ds_write_b32 v20, v25 offset:64
; %bb.314:
	s_or_b64 exec, exec, s[0:1]
	v_cmp_gt_u32_e64 s[14:15], 16, v0
	s_and_b64 s[0:1], s[12:13], s[14:15]
	s_waitcnt lgkmcnt(0)
	s_barrier
	s_barrier
	s_and_saveexec_b64 s[14:15], s[0:1]
	s_cbranch_execz .LBB23_316
; %bb.315:
	v_lshlrev_b32_e32 v25, 8, v0
	ds_read_b32 v26, v25 offset:64
	s_movk_i32 s16, 0xff04
	v_mad_i32_i24 v27, v0, s16, v25
	s_waitcnt lgkmcnt(0)
	ds_write_b32 v27, v26 offset:4096
	ds_read_b32 v26, v25 offset:68
	s_waitcnt lgkmcnt(0)
	ds_write_b32 v27, v26 offset:4352
	ds_read_b32 v26, v25 offset:72
	;; [unrolled: 3-line block ×15, first 2 shown]
	s_waitcnt lgkmcnt(0)
	ds_write_b32 v27, v25 offset:7936
.LBB23_316:
	s_or_b64 exec, exec, s[14:15]
	s_waitcnt lgkmcnt(0)
	s_barrier
	s_and_saveexec_b64 s[14:15], vcc
	s_cbranch_execz .LBB23_318
; %bb.317:
	v_mov_b32_e32 v27, 0
	ds_read_b64 v[25:26], v27 offset:4160
	ds_read_b32 v27, v27 offset:4420
	s_movk_i32 s16, 0x1000
	s_waitcnt lgkmcnt(0)
	v_mul_f32_e32 v25, v25, v27
	v_mul_f32_e32 v25, v26, v25
	v_add_u32_e64 v26, s16, 0
	ds_write2_b32 v26, v25, v25 offset0:17 offset1:80
.LBB23_318:
	s_or_b64 exec, exec, s[14:15]
	v_mov_b32_e32 v25, 0
	s_waitcnt lgkmcnt(0)
	s_barrier
	s_and_saveexec_b64 s[16:17], s[2:3]
	s_cbranch_execz .LBB23_322
; %bb.319:
	v_mul_u32_u24_e32 v25, 0x104, v5
	ds_read_b32 v27, v1 offset:4168
	ds_read_b32 v25, v25 offset:4160
	v_mov_b32_e32 v26, 0
	v_cmp_gt_u32_e64 s[14:15], 2, v4
	s_waitcnt lgkmcnt(0)
	v_fma_f32 v25, v27, v25, 0
	s_and_saveexec_b64 s[20:21], s[14:15]
	s_cbranch_execz .LBB23_321
; %bb.320:
	v_lshlrev_b32_e32 v27, 2, v0
	ds_read_b32 v27, v27 offset:4424
	ds_read_b32 v26, v26 offset:4164
	s_waitcnt lgkmcnt(0)
	v_fmac_f32_e32 v25, v27, v26
.LBB23_321:
	s_or_b64 exec, exec, s[20:21]
	v_xor_b32_e32 v25, 0x80000000, v25
.LBB23_322:
	s_or_b64 exec, exec, s[16:17]
	s_and_saveexec_b64 s[14:15], s[34:35]
	s_cbranch_execz .LBB23_324
; %bb.323:
	v_mov_b32_e32 v26, 0
	ds_read_b32 v26, v26 offset:4680
	s_waitcnt lgkmcnt(0)
	v_mul_f32_e32 v25, v25, v26
	ds_write_b32 v3, v25
.LBB23_324:
	s_or_b64 exec, exec, s[14:15]
	s_waitcnt lgkmcnt(0)
	s_barrier
	s_and_saveexec_b64 s[14:15], s[26:27]
	s_cbranch_execz .LBB23_326
; %bb.325:
	v_mov_b32_e32 v26, 0
	ds_read_b32 v26, v26 offset:4684
	ds_read_b32 v27, v3
	s_waitcnt lgkmcnt(0)
	v_fmac_f32_e32 v25, v26, v27
.LBB23_326:
	s_or_b64 exec, exec, s[14:15]
	s_barrier
	s_and_saveexec_b64 s[14:15], s[26:27]
	s_cbranch_execz .LBB23_328
; %bb.327:
	v_mov_b32_e32 v26, 0
	ds_read_b32 v26, v26 offset:4940
	s_waitcnt lgkmcnt(0)
	v_mul_f32_e32 v25, v25, v26
	ds_write_b32 v3, v25
.LBB23_328:
	s_or_b64 exec, exec, s[14:15]
	s_waitcnt lgkmcnt(0)
	s_barrier
	s_barrier
	s_and_saveexec_b64 s[14:15], s[2:3]
; %bb.329:
	v_xor_b32_e32 v25, 0x80000000, v25
	ds_write_b32 v1, v25 offset:4168
; %bb.330:
	s_or_b64 exec, exec, s[14:15]
	s_waitcnt lgkmcnt(0)
	s_barrier
	s_barrier
	s_and_saveexec_b64 s[14:15], s[36:37]
	s_cbranch_execz .LBB23_332
; %bb.331:
	v_lshlrev_b32_e32 v25, 2, v0
	s_movk_i32 s16, 0xfc
	v_mad_u32_u24 v26, v0, s16, v25
	ds_read_b32 v27, v26 offset:4168
	s_waitcnt lgkmcnt(0)
	ds_write_b32 v25, v27 offset:4672
	ds_read_b32 v26, v26 offset:4172
	s_waitcnt lgkmcnt(0)
	ds_write_b32 v25, v26 offset:4928
.LBB23_332:
	s_or_b64 exec, exec, s[14:15]
	s_waitcnt lgkmcnt(0)
	s_barrier
	s_and_saveexec_b64 s[14:15], vcc
	s_cbranch_execz .LBB23_334
; %bb.333:
	v_mov_b32_e32 v27, 0
	ds_read_b64 v[25:26], v27 offset:4680
	ds_read_b32 v27, v27 offset:4940
	s_movk_i32 s16, 0x1000
	s_waitcnt lgkmcnt(0)
	v_mul_f32_e32 v25, v25, v27
	v_mul_f32_e32 v25, v26, v25
	v_add_u32_e64 v26, s16, 0
	ds_write2_b32 v26, v25, v25 offset0:147 offset1:210
.LBB23_334:
	s_or_b64 exec, exec, s[14:15]
	v_mov_b32_e32 v25, 0
	s_waitcnt lgkmcnt(0)
	s_barrier
	s_and_saveexec_b64 s[16:17], s[18:19]
	s_cbranch_execz .LBB23_340
; %bb.335:
	v_mul_u32_u24_e32 v26, 0x104, v14
	ds_read_b32 v25, v6 offset:4176
	ds_read_b32 v27, v26 offset:4160
	v_cmp_gt_u32_e64 s[14:15], 12, v4
	s_waitcnt lgkmcnt(0)
	v_fma_f32 v25, v25, v27, 0
	s_and_saveexec_b64 s[20:21], s[14:15]
	s_cbranch_execnz .LBB23_1219
; %bb.336:
	s_or_b64 exec, exec, s[20:21]
	v_cmp_gt_u32_e64 s[14:15], 8, v4
	s_and_saveexec_b64 s[20:21], s[14:15]
	s_cbranch_execnz .LBB23_1220
.LBB23_337:
	s_or_b64 exec, exec, s[20:21]
	v_cmp_gt_u32_e64 s[14:15], 4, v4
	s_and_saveexec_b64 s[20:21], s[14:15]
	s_cbranch_execz .LBB23_339
.LBB23_338:
	v_lshlrev_b32_e32 v26, 2, v0
	v_mov_b32_e32 v27, 0
	ds_read_b32 v26, v26 offset:4944
	ds_read_b32 v27, v27 offset:4172
	s_waitcnt lgkmcnt(0)
	v_fmac_f32_e32 v25, v26, v27
.LBB23_339:
	s_or_b64 exec, exec, s[20:21]
	v_xor_b32_e32 v25, 0x80000000, v25
.LBB23_340:
	s_or_b64 exec, exec, s[16:17]
	s_and_saveexec_b64 s[14:15], s[40:41]
	s_cbranch_execz .LBB23_342
; %bb.341:
	v_mov_b32_e32 v26, 0
	ds_read_b32 v26, v26 offset:5200
	s_waitcnt lgkmcnt(0)
	v_mul_f32_e32 v25, v25, v26
	ds_write_b32 v12, v25
.LBB23_342:
	s_or_b64 exec, exec, s[14:15]
	s_waitcnt lgkmcnt(0)
	s_barrier
	s_and_saveexec_b64 s[14:15], s[42:43]
	s_cbranch_execz .LBB23_344
; %bb.343:
	ds_read_b32 v26, v11 offset:5200
	ds_read_b32 v27, v12
	s_waitcnt lgkmcnt(0)
	v_fmac_f32_e32 v25, v26, v27
.LBB23_344:
	s_or_b64 exec, exec, s[14:15]
	s_barrier
	s_and_saveexec_b64 s[14:15], s[44:45]
	s_cbranch_execz .LBB23_346
; %bb.345:
	v_mov_b32_e32 v26, 0
	ds_read_b32 v26, v26 offset:5460
	s_waitcnt lgkmcnt(0)
	v_mul_f32_e32 v25, v25, v26
	ds_write_b32 v12, v25
.LBB23_346:
	s_or_b64 exec, exec, s[14:15]
	s_waitcnt lgkmcnt(0)
	s_barrier
	s_and_saveexec_b64 s[14:15], s[46:47]
	s_cbranch_execz .LBB23_348
; %bb.347:
	ds_read_b32 v26, v11 offset:5456
	ds_read_b32 v27, v12
	s_waitcnt lgkmcnt(0)
	v_fmac_f32_e32 v25, v26, v27
.LBB23_348:
	s_or_b64 exec, exec, s[14:15]
	s_barrier
	s_and_saveexec_b64 s[14:15], s[48:49]
	s_cbranch_execz .LBB23_350
; %bb.349:
	v_mov_b32_e32 v26, 0
	ds_read_b32 v26, v26 offset:5720
	s_waitcnt lgkmcnt(0)
	v_mul_f32_e32 v25, v25, v26
	ds_write_b32 v12, v25
.LBB23_350:
	s_or_b64 exec, exec, s[14:15]
	s_waitcnt lgkmcnt(0)
	s_barrier
	s_and_saveexec_b64 s[14:15], s[38:39]
	s_cbranch_execz .LBB23_352
; %bb.351:
	v_mov_b32_e32 v26, 0
	ds_read_b32 v26, v26 offset:5724
	ds_read_b32 v27, v12
	s_waitcnt lgkmcnt(0)
	v_fmac_f32_e32 v25, v26, v27
.LBB23_352:
	s_or_b64 exec, exec, s[14:15]
	s_barrier
	s_and_saveexec_b64 s[14:15], s[38:39]
	s_cbranch_execz .LBB23_354
; %bb.353:
	v_mov_b32_e32 v26, 0
	ds_read_b32 v26, v26 offset:5980
	s_waitcnt lgkmcnt(0)
	v_mul_f32_e32 v25, v25, v26
	ds_write_b32 v12, v25
.LBB23_354:
	s_or_b64 exec, exec, s[14:15]
	s_waitcnt lgkmcnt(0)
	s_barrier
	s_barrier
	s_and_saveexec_b64 s[14:15], s[18:19]
; %bb.355:
	v_xor_b32_e32 v25, 0x80000000, v25
	ds_write_b32 v6, v25 offset:4176
; %bb.356:
	s_or_b64 exec, exec, s[14:15]
	s_waitcnt lgkmcnt(0)
	s_barrier
	s_barrier
	s_and_saveexec_b64 s[14:15], s[50:51]
	s_cbranch_execz .LBB23_358
; %bb.357:
	v_lshlrev_b32_e32 v25, 8, v0
	ds_read_b32 v26, v25 offset:4176
	s_movk_i32 s16, 0xff04
	v_mad_i32_i24 v27, v0, s16, v25
	s_waitcnt lgkmcnt(0)
	ds_write_b32 v27, v26 offset:5184
	ds_read_b32 v26, v25 offset:4180
	s_waitcnt lgkmcnt(0)
	ds_write_b32 v27, v26 offset:5440
	ds_read_b32 v26, v25 offset:4184
	;; [unrolled: 3-line block ×3, first 2 shown]
	s_waitcnt lgkmcnt(0)
	ds_write_b32 v27, v25 offset:5952
.LBB23_358:
	s_or_b64 exec, exec, s[14:15]
	s_waitcnt lgkmcnt(0)
	s_barrier
	s_and_saveexec_b64 s[14:15], vcc
	s_cbranch_execz .LBB23_360
; %bb.359:
	v_mov_b32_e32 v27, 0
	ds_read_b64 v[25:26], v27 offset:5200
	ds_read_b32 v27, v27 offset:5460
	s_movk_i32 s16, 0x1400
	s_waitcnt lgkmcnt(0)
	v_mul_f32_e32 v25, v25, v27
	v_mul_f32_e32 v25, v26, v25
	v_add_u32_e64 v26, s16, 0
	ds_write2_b32 v26, v25, v25 offset0:21 offset1:84
.LBB23_360:
	s_or_b64 exec, exec, s[14:15]
	v_mov_b32_e32 v25, 0
	s_waitcnt lgkmcnt(0)
	s_barrier
	s_and_saveexec_b64 s[16:17], s[2:3]
	s_cbranch_execz .LBB23_364
; %bb.361:
	v_mul_u32_u24_e32 v25, 0x104, v5
	ds_read_b32 v27, v1 offset:5208
	ds_read_b32 v25, v25 offset:5200
	v_mov_b32_e32 v26, 0
	v_cmp_gt_u32_e64 s[14:15], 2, v4
	s_waitcnt lgkmcnt(0)
	v_fma_f32 v25, v27, v25, 0
	s_and_saveexec_b64 s[20:21], s[14:15]
	s_cbranch_execz .LBB23_363
; %bb.362:
	v_lshlrev_b32_e32 v27, 2, v0
	ds_read_b32 v27, v27 offset:5464
	ds_read_b32 v26, v26 offset:5204
	s_waitcnt lgkmcnt(0)
	v_fmac_f32_e32 v25, v27, v26
.LBB23_363:
	s_or_b64 exec, exec, s[20:21]
	v_xor_b32_e32 v25, 0x80000000, v25
.LBB23_364:
	s_or_b64 exec, exec, s[16:17]
	s_and_saveexec_b64 s[14:15], s[34:35]
	s_cbranch_execz .LBB23_366
; %bb.365:
	v_mov_b32_e32 v26, 0
	ds_read_b32 v26, v26 offset:5720
	s_waitcnt lgkmcnt(0)
	v_mul_f32_e32 v25, v25, v26
	ds_write_b32 v3, v25
.LBB23_366:
	s_or_b64 exec, exec, s[14:15]
	s_waitcnt lgkmcnt(0)
	s_barrier
	s_and_saveexec_b64 s[14:15], s[26:27]
	s_cbranch_execz .LBB23_368
; %bb.367:
	v_mov_b32_e32 v26, 0
	ds_read_b32 v26, v26 offset:5724
	ds_read_b32 v27, v3
	s_waitcnt lgkmcnt(0)
	v_fmac_f32_e32 v25, v26, v27
.LBB23_368:
	s_or_b64 exec, exec, s[14:15]
	s_barrier
	s_and_saveexec_b64 s[14:15], s[26:27]
	s_cbranch_execz .LBB23_370
; %bb.369:
	v_mov_b32_e32 v26, 0
	ds_read_b32 v26, v26 offset:5980
	s_waitcnt lgkmcnt(0)
	v_mul_f32_e32 v25, v25, v26
	ds_write_b32 v3, v25
.LBB23_370:
	s_or_b64 exec, exec, s[14:15]
	s_waitcnt lgkmcnt(0)
	s_barrier
	s_barrier
	s_and_saveexec_b64 s[14:15], s[2:3]
; %bb.371:
	v_xor_b32_e32 v25, 0x80000000, v25
	ds_write_b32 v1, v25 offset:5208
; %bb.372:
	s_or_b64 exec, exec, s[14:15]
	s_waitcnt lgkmcnt(0)
	s_barrier
	s_barrier
	s_and_saveexec_b64 s[14:15], s[36:37]
	s_cbranch_execz .LBB23_374
; %bb.373:
	v_lshlrev_b32_e32 v25, 2, v0
	s_movk_i32 s16, 0xfc
	v_mad_u32_u24 v26, v0, s16, v25
	ds_read_b32 v27, v26 offset:5208
	s_waitcnt lgkmcnt(0)
	ds_write_b32 v25, v27 offset:5712
	ds_read_b32 v26, v26 offset:5212
	s_waitcnt lgkmcnt(0)
	ds_write_b32 v25, v26 offset:5968
.LBB23_374:
	s_or_b64 exec, exec, s[14:15]
	s_waitcnt lgkmcnt(0)
	s_barrier
	s_and_saveexec_b64 s[14:15], vcc
	s_cbranch_execz .LBB23_376
; %bb.375:
	v_mov_b32_e32 v27, 0
	ds_read_b64 v[25:26], v27 offset:5720
	ds_read_b32 v27, v27 offset:5980
	s_movk_i32 s16, 0x1400
	s_waitcnt lgkmcnt(0)
	v_mul_f32_e32 v25, v25, v27
	v_mul_f32_e32 v25, v26, v25
	v_add_u32_e64 v26, s16, 0
	ds_write2_b32 v26, v25, v25 offset0:151 offset1:214
.LBB23_376:
	s_or_b64 exec, exec, s[14:15]
	v_mov_b32_e32 v25, 0
	s_waitcnt lgkmcnt(0)
	s_barrier
	s_and_saveexec_b64 s[16:17], s[8:9]
	s_cbranch_execz .LBB23_386
; %bb.377:
	v_mul_u32_u24_e32 v26, 0x104, v19
	ds_read_b32 v25, v15 offset:4192
	ds_read_b32 v27, v26 offset:4160
	v_cmp_gt_u32_e64 s[14:15], 56, v4
	s_waitcnt lgkmcnt(0)
	v_fma_f32 v25, v25, v27, 0
	s_and_saveexec_b64 s[20:21], s[14:15]
	s_cbranch_execnz .LBB23_1221
; %bb.378:
	s_or_b64 exec, exec, s[20:21]
	v_cmp_gt_u32_e64 s[14:15], 48, v4
	s_and_saveexec_b64 s[20:21], s[14:15]
	s_cbranch_execnz .LBB23_1222
.LBB23_379:
	s_or_b64 exec, exec, s[20:21]
	v_cmp_gt_u32_e64 s[14:15], 40, v4
	s_and_saveexec_b64 s[20:21], s[14:15]
	s_cbranch_execnz .LBB23_1223
.LBB23_380:
	s_or_b64 exec, exec, s[20:21]
	v_cmp_gt_u32_e64 s[14:15], 32, v4
	s_and_saveexec_b64 s[20:21], s[14:15]
	s_cbranch_execnz .LBB23_1224
.LBB23_381:
	s_or_b64 exec, exec, s[20:21]
	v_cmp_gt_u32_e64 s[14:15], 24, v4
	s_and_saveexec_b64 s[20:21], s[14:15]
	s_cbranch_execnz .LBB23_1225
.LBB23_382:
	s_or_b64 exec, exec, s[20:21]
	v_cmp_gt_u32_e64 s[14:15], 16, v4
	s_and_saveexec_b64 s[20:21], s[14:15]
	s_cbranch_execnz .LBB23_1226
.LBB23_383:
	s_or_b64 exec, exec, s[20:21]
	v_cmp_gt_u32_e64 s[14:15], 8, v4
	s_and_saveexec_b64 s[20:21], s[14:15]
	s_cbranch_execz .LBB23_385
.LBB23_384:
	v_lshlrev_b32_e32 v26, 2, v0
	v_mov_b32_e32 v27, 0
	ds_read_b32 v26, v26 offset:5984
	ds_read_b32 v27, v27 offset:4188
	s_waitcnt lgkmcnt(0)
	v_fmac_f32_e32 v25, v26, v27
.LBB23_385:
	s_or_b64 exec, exec, s[20:21]
	v_xor_b32_e32 v25, 0x80000000, v25
.LBB23_386:
	s_or_b64 exec, exec, s[16:17]
	s_and_saveexec_b64 s[14:15], s[52:53]
	s_cbranch_execz .LBB23_388
; %bb.387:
	v_mov_b32_e32 v26, 0
	ds_read_b32 v26, v26 offset:6240
	s_waitcnt lgkmcnt(0)
	v_mul_f32_e32 v25, v25, v26
	ds_write_b32 v17, v25
.LBB23_388:
	s_or_b64 exec, exec, s[14:15]
	s_waitcnt lgkmcnt(0)
	s_barrier
	s_and_saveexec_b64 s[14:15], s[54:55]
	s_cbranch_execz .LBB23_390
; %bb.389:
	ds_read_b32 v26, v16 offset:6240
	ds_read_b32 v27, v17
	s_waitcnt lgkmcnt(0)
	v_fmac_f32_e32 v25, v26, v27
.LBB23_390:
	s_or_b64 exec, exec, s[14:15]
	s_barrier
	s_and_saveexec_b64 s[14:15], s[56:57]
	s_cbranch_execz .LBB23_392
; %bb.391:
	v_mov_b32_e32 v26, 0
	ds_read_b32 v26, v26 offset:6500
	s_waitcnt lgkmcnt(0)
	v_mul_f32_e32 v25, v25, v26
	ds_write_b32 v17, v25
.LBB23_392:
	s_or_b64 exec, exec, s[14:15]
	s_waitcnt lgkmcnt(0)
	s_barrier
	s_and_saveexec_b64 s[14:15], s[58:59]
	s_cbranch_execz .LBB23_394
; %bb.393:
	ds_read_b32 v26, v16 offset:6496
	ds_read_b32 v27, v17
	s_waitcnt lgkmcnt(0)
	v_fmac_f32_e32 v25, v26, v27
.LBB23_394:
	s_or_b64 exec, exec, s[14:15]
	s_barrier
	;; [unrolled: 22-line block ×6, first 2 shown]
	s_and_saveexec_b64 s[14:15], s[78:79]
	s_cbranch_execz .LBB23_412
; %bb.411:
	v_mov_b32_e32 v26, 0
	ds_read_b32 v26, v26 offset:7800
	s_waitcnt lgkmcnt(0)
	v_mul_f32_e32 v25, v25, v26
	ds_write_b32 v17, v25
.LBB23_412:
	s_or_b64 exec, exec, s[14:15]
	s_waitcnt lgkmcnt(0)
	s_barrier
	s_and_saveexec_b64 s[14:15], s[60:61]
	s_cbranch_execz .LBB23_414
; %bb.413:
	v_mov_b32_e32 v26, 0
	ds_read_b32 v26, v26 offset:7804
	ds_read_b32 v27, v17
	s_waitcnt lgkmcnt(0)
	v_fmac_f32_e32 v25, v26, v27
.LBB23_414:
	s_or_b64 exec, exec, s[14:15]
	s_barrier
	s_and_saveexec_b64 s[14:15], s[60:61]
	s_cbranch_execz .LBB23_416
; %bb.415:
	v_mov_b32_e32 v26, 0
	ds_read_b32 v26, v26 offset:8060
	s_waitcnt lgkmcnt(0)
	v_mul_f32_e32 v25, v25, v26
	ds_write_b32 v17, v25
.LBB23_416:
	s_or_b64 exec, exec, s[14:15]
	s_waitcnt lgkmcnt(0)
	s_barrier
	s_barrier
	s_and_saveexec_b64 s[14:15], s[8:9]
; %bb.417:
	v_xor_b32_e32 v25, 0x80000000, v25
	ds_write_b32 v15, v25 offset:4192
; %bb.418:
	s_or_b64 exec, exec, s[14:15]
	s_waitcnt lgkmcnt(0)
	s_barrier
	s_barrier
	s_and_saveexec_b64 s[14:15], s[80:81]
	s_cbranch_execz .LBB23_420
; %bb.419:
	v_lshlrev_b32_e32 v25, 8, v0
	ds_read_b32 v26, v25 offset:4192
	s_movk_i32 s16, 0xff04
	v_mad_i32_i24 v27, v0, s16, v25
	s_waitcnt lgkmcnt(0)
	ds_write_b32 v27, v26 offset:6208
	ds_read_b32 v26, v25 offset:4196
	s_waitcnt lgkmcnt(0)
	ds_write_b32 v27, v26 offset:6464
	ds_read_b32 v26, v25 offset:4200
	;; [unrolled: 3-line block ×7, first 2 shown]
	s_waitcnt lgkmcnt(0)
	ds_write_b32 v27, v25 offset:8000
.LBB23_420:
	s_or_b64 exec, exec, s[14:15]
	s_waitcnt lgkmcnt(0)
	s_barrier
	s_and_saveexec_b64 s[14:15], vcc
	s_cbranch_execz .LBB23_422
; %bb.421:
	v_mov_b32_e32 v27, 0
	ds_read_b64 v[25:26], v27 offset:6240
	ds_read_b32 v27, v27 offset:6500
	s_movk_i32 s16, 0x1800
	s_waitcnt lgkmcnt(0)
	v_mul_f32_e32 v25, v25, v27
	v_mul_f32_e32 v25, v26, v25
	v_add_u32_e64 v26, s16, 0
	ds_write2_b32 v26, v25, v25 offset0:25 offset1:88
.LBB23_422:
	s_or_b64 exec, exec, s[14:15]
	v_mov_b32_e32 v25, 0
	s_waitcnt lgkmcnt(0)
	s_barrier
	s_and_saveexec_b64 s[16:17], s[2:3]
	s_cbranch_execz .LBB23_426
; %bb.423:
	v_mul_u32_u24_e32 v25, 0x104, v5
	ds_read_b32 v27, v1 offset:6248
	ds_read_b32 v25, v25 offset:6240
	v_mov_b32_e32 v26, 0
	v_cmp_gt_u32_e64 s[14:15], 2, v4
	s_waitcnt lgkmcnt(0)
	v_fma_f32 v25, v27, v25, 0
	s_and_saveexec_b64 s[20:21], s[14:15]
	s_cbranch_execz .LBB23_425
; %bb.424:
	v_lshlrev_b32_e32 v27, 2, v0
	ds_read_b32 v27, v27 offset:6504
	ds_read_b32 v26, v26 offset:6244
	s_waitcnt lgkmcnt(0)
	v_fmac_f32_e32 v25, v27, v26
.LBB23_425:
	s_or_b64 exec, exec, s[20:21]
	v_xor_b32_e32 v25, 0x80000000, v25
.LBB23_426:
	s_or_b64 exec, exec, s[16:17]
	s_and_saveexec_b64 s[14:15], s[34:35]
	s_cbranch_execz .LBB23_428
; %bb.427:
	v_mov_b32_e32 v26, 0
	ds_read_b32 v26, v26 offset:6760
	s_waitcnt lgkmcnt(0)
	v_mul_f32_e32 v25, v25, v26
	ds_write_b32 v3, v25
.LBB23_428:
	s_or_b64 exec, exec, s[14:15]
	s_waitcnt lgkmcnt(0)
	s_barrier
	s_and_saveexec_b64 s[14:15], s[26:27]
	s_cbranch_execz .LBB23_430
; %bb.429:
	v_mov_b32_e32 v26, 0
	ds_read_b32 v26, v26 offset:6764
	ds_read_b32 v27, v3
	s_waitcnt lgkmcnt(0)
	v_fmac_f32_e32 v25, v26, v27
.LBB23_430:
	s_or_b64 exec, exec, s[14:15]
	s_barrier
	s_and_saveexec_b64 s[14:15], s[26:27]
	s_cbranch_execz .LBB23_432
; %bb.431:
	v_mov_b32_e32 v26, 0
	ds_read_b32 v26, v26 offset:7020
	s_waitcnt lgkmcnt(0)
	v_mul_f32_e32 v25, v25, v26
	ds_write_b32 v3, v25
.LBB23_432:
	s_or_b64 exec, exec, s[14:15]
	s_waitcnt lgkmcnt(0)
	s_barrier
	s_barrier
	s_and_saveexec_b64 s[14:15], s[2:3]
; %bb.433:
	v_xor_b32_e32 v25, 0x80000000, v25
	ds_write_b32 v1, v25 offset:6248
; %bb.434:
	s_or_b64 exec, exec, s[14:15]
	s_waitcnt lgkmcnt(0)
	s_barrier
	s_barrier
	s_and_saveexec_b64 s[14:15], s[36:37]
	s_cbranch_execz .LBB23_436
; %bb.435:
	v_lshlrev_b32_e32 v25, 2, v0
	s_movk_i32 s16, 0xfc
	v_mad_u32_u24 v26, v0, s16, v25
	ds_read_b32 v27, v26 offset:6248
	s_waitcnt lgkmcnt(0)
	ds_write_b32 v25, v27 offset:6752
	ds_read_b32 v26, v26 offset:6252
	s_waitcnt lgkmcnt(0)
	ds_write_b32 v25, v26 offset:7008
.LBB23_436:
	s_or_b64 exec, exec, s[14:15]
	s_waitcnt lgkmcnt(0)
	s_barrier
	s_and_saveexec_b64 s[14:15], vcc
	s_cbranch_execz .LBB23_438
; %bb.437:
	v_mov_b32_e32 v27, 0
	ds_read_b64 v[25:26], v27 offset:6760
	ds_read_b32 v27, v27 offset:7020
	s_movk_i32 s16, 0x1800
	s_waitcnt lgkmcnt(0)
	v_mul_f32_e32 v25, v25, v27
	v_mul_f32_e32 v25, v26, v25
	v_add_u32_e64 v26, s16, 0
	ds_write2_b32 v26, v25, v25 offset0:155 offset1:218
.LBB23_438:
	s_or_b64 exec, exec, s[14:15]
	v_mov_b32_e32 v25, 0
	s_waitcnt lgkmcnt(0)
	s_barrier
	s_and_saveexec_b64 s[16:17], s[18:19]
	s_cbranch_execz .LBB23_444
; %bb.439:
	v_mul_u32_u24_e32 v26, 0x104, v14
	ds_read_b32 v25, v6 offset:6256
	ds_read_b32 v27, v26 offset:6240
	v_cmp_gt_u32_e64 s[14:15], 12, v4
	s_waitcnt lgkmcnt(0)
	v_fma_f32 v25, v25, v27, 0
	s_and_saveexec_b64 s[20:21], s[14:15]
	s_cbranch_execnz .LBB23_1227
; %bb.440:
	s_or_b64 exec, exec, s[20:21]
	v_cmp_gt_u32_e64 s[14:15], 8, v4
	s_and_saveexec_b64 s[20:21], s[14:15]
	s_cbranch_execnz .LBB23_1228
.LBB23_441:
	s_or_b64 exec, exec, s[20:21]
	v_cmp_gt_u32_e64 s[14:15], 4, v4
	s_and_saveexec_b64 s[20:21], s[14:15]
	s_cbranch_execz .LBB23_443
.LBB23_442:
	v_lshlrev_b32_e32 v26, 2, v0
	v_mov_b32_e32 v27, 0
	ds_read_b32 v26, v26 offset:7024
	ds_read_b32 v27, v27 offset:6252
	s_waitcnt lgkmcnt(0)
	v_fmac_f32_e32 v25, v26, v27
.LBB23_443:
	s_or_b64 exec, exec, s[20:21]
	v_xor_b32_e32 v25, 0x80000000, v25
.LBB23_444:
	s_or_b64 exec, exec, s[16:17]
	s_and_saveexec_b64 s[14:15], s[40:41]
	s_cbranch_execz .LBB23_446
; %bb.445:
	v_mov_b32_e32 v26, 0
	ds_read_b32 v26, v26 offset:7280
	s_waitcnt lgkmcnt(0)
	v_mul_f32_e32 v25, v25, v26
	ds_write_b32 v12, v25
.LBB23_446:
	s_or_b64 exec, exec, s[14:15]
	s_waitcnt lgkmcnt(0)
	s_barrier
	s_and_saveexec_b64 s[14:15], s[42:43]
	s_cbranch_execz .LBB23_448
; %bb.447:
	ds_read_b32 v26, v11 offset:7280
	ds_read_b32 v27, v12
	s_waitcnt lgkmcnt(0)
	v_fmac_f32_e32 v25, v26, v27
.LBB23_448:
	s_or_b64 exec, exec, s[14:15]
	s_barrier
	s_and_saveexec_b64 s[14:15], s[44:45]
	s_cbranch_execz .LBB23_450
; %bb.449:
	v_mov_b32_e32 v26, 0
	ds_read_b32 v26, v26 offset:7540
	s_waitcnt lgkmcnt(0)
	v_mul_f32_e32 v25, v25, v26
	ds_write_b32 v12, v25
.LBB23_450:
	s_or_b64 exec, exec, s[14:15]
	s_waitcnt lgkmcnt(0)
	s_barrier
	s_and_saveexec_b64 s[14:15], s[46:47]
	s_cbranch_execz .LBB23_452
; %bb.451:
	ds_read_b32 v26, v11 offset:7536
	ds_read_b32 v27, v12
	s_waitcnt lgkmcnt(0)
	v_fmac_f32_e32 v25, v26, v27
.LBB23_452:
	s_or_b64 exec, exec, s[14:15]
	s_barrier
	s_and_saveexec_b64 s[14:15], s[48:49]
	s_cbranch_execz .LBB23_454
; %bb.453:
	v_mov_b32_e32 v26, 0
	ds_read_b32 v26, v26 offset:7800
	s_waitcnt lgkmcnt(0)
	v_mul_f32_e32 v25, v25, v26
	ds_write_b32 v12, v25
.LBB23_454:
	s_or_b64 exec, exec, s[14:15]
	s_waitcnt lgkmcnt(0)
	s_barrier
	s_and_saveexec_b64 s[14:15], s[38:39]
	s_cbranch_execz .LBB23_456
; %bb.455:
	v_mov_b32_e32 v26, 0
	ds_read_b32 v26, v26 offset:7804
	ds_read_b32 v27, v12
	s_waitcnt lgkmcnt(0)
	v_fmac_f32_e32 v25, v26, v27
.LBB23_456:
	s_or_b64 exec, exec, s[14:15]
	s_barrier
	s_and_saveexec_b64 s[14:15], s[38:39]
	s_cbranch_execz .LBB23_458
; %bb.457:
	v_mov_b32_e32 v26, 0
	ds_read_b32 v26, v26 offset:8060
	s_waitcnt lgkmcnt(0)
	v_mul_f32_e32 v25, v25, v26
	ds_write_b32 v12, v25
.LBB23_458:
	s_or_b64 exec, exec, s[14:15]
	s_waitcnt lgkmcnt(0)
	s_barrier
	s_barrier
	s_and_saveexec_b64 s[14:15], s[18:19]
; %bb.459:
	v_xor_b32_e32 v25, 0x80000000, v25
	ds_write_b32 v6, v25 offset:6256
; %bb.460:
	s_or_b64 exec, exec, s[14:15]
	s_waitcnt lgkmcnt(0)
	s_barrier
	s_barrier
	s_and_saveexec_b64 s[14:15], s[50:51]
	s_cbranch_execz .LBB23_462
; %bb.461:
	v_lshlrev_b32_e32 v25, 8, v0
	ds_read_b32 v26, v25 offset:6256
	s_movk_i32 s16, 0xff04
	v_mad_i32_i24 v27, v0, s16, v25
	s_waitcnt lgkmcnt(0)
	ds_write_b32 v27, v26 offset:7264
	ds_read_b32 v26, v25 offset:6260
	s_waitcnt lgkmcnt(0)
	ds_write_b32 v27, v26 offset:7520
	ds_read_b32 v26, v25 offset:6264
	;; [unrolled: 3-line block ×3, first 2 shown]
	s_waitcnt lgkmcnt(0)
	ds_write_b32 v27, v25 offset:8032
.LBB23_462:
	s_or_b64 exec, exec, s[14:15]
	s_waitcnt lgkmcnt(0)
	s_barrier
	s_and_saveexec_b64 s[14:15], vcc
	s_cbranch_execz .LBB23_464
; %bb.463:
	v_mov_b32_e32 v27, 0
	ds_read_b64 v[25:26], v27 offset:7280
	ds_read_b32 v27, v27 offset:7540
	s_movk_i32 s16, 0x1c00
	s_waitcnt lgkmcnt(0)
	v_mul_f32_e32 v25, v25, v27
	v_mul_f32_e32 v25, v26, v25
	v_add_u32_e64 v26, s16, 0
	ds_write2_b32 v26, v25, v25 offset0:29 offset1:92
.LBB23_464:
	s_or_b64 exec, exec, s[14:15]
	v_mov_b32_e32 v25, 0
	s_waitcnt lgkmcnt(0)
	s_barrier
	s_and_saveexec_b64 s[16:17], s[2:3]
	s_cbranch_execz .LBB23_468
; %bb.465:
	v_mul_u32_u24_e32 v25, 0x104, v5
	ds_read_b32 v27, v1 offset:7288
	ds_read_b32 v25, v25 offset:7280
	v_mov_b32_e32 v26, 0
	v_cmp_gt_u32_e64 s[14:15], 2, v4
	s_waitcnt lgkmcnt(0)
	v_fma_f32 v25, v27, v25, 0
	s_and_saveexec_b64 s[20:21], s[14:15]
	s_cbranch_execz .LBB23_467
; %bb.466:
	v_lshlrev_b32_e32 v27, 2, v0
	ds_read_b32 v27, v27 offset:7544
	ds_read_b32 v26, v26 offset:7284
	s_waitcnt lgkmcnt(0)
	v_fmac_f32_e32 v25, v27, v26
.LBB23_467:
	s_or_b64 exec, exec, s[20:21]
	v_xor_b32_e32 v25, 0x80000000, v25
.LBB23_468:
	s_or_b64 exec, exec, s[16:17]
	s_and_saveexec_b64 s[14:15], s[34:35]
	s_cbranch_execz .LBB23_470
; %bb.469:
	v_mov_b32_e32 v26, 0
	ds_read_b32 v26, v26 offset:7800
	s_waitcnt lgkmcnt(0)
	v_mul_f32_e32 v25, v25, v26
	ds_write_b32 v3, v25
.LBB23_470:
	s_or_b64 exec, exec, s[14:15]
	s_waitcnt lgkmcnt(0)
	s_barrier
	s_and_saveexec_b64 s[14:15], s[26:27]
	s_cbranch_execz .LBB23_472
; %bb.471:
	v_mov_b32_e32 v26, 0
	ds_read_b32 v26, v26 offset:7804
	ds_read_b32 v27, v3
	s_waitcnt lgkmcnt(0)
	v_fmac_f32_e32 v25, v26, v27
.LBB23_472:
	s_or_b64 exec, exec, s[14:15]
	s_barrier
	s_and_saveexec_b64 s[14:15], s[26:27]
	s_cbranch_execz .LBB23_474
; %bb.473:
	v_mov_b32_e32 v26, 0
	ds_read_b32 v26, v26 offset:8060
	s_waitcnt lgkmcnt(0)
	v_mul_f32_e32 v25, v25, v26
	ds_write_b32 v3, v25
.LBB23_474:
	s_or_b64 exec, exec, s[14:15]
	s_waitcnt lgkmcnt(0)
	s_barrier
	s_barrier
	s_and_saveexec_b64 s[14:15], s[2:3]
; %bb.475:
	v_xor_b32_e32 v25, 0x80000000, v25
	ds_write_b32 v1, v25 offset:7288
; %bb.476:
	s_or_b64 exec, exec, s[14:15]
	s_waitcnt lgkmcnt(0)
	s_barrier
	s_barrier
	s_and_saveexec_b64 s[14:15], s[36:37]
	s_cbranch_execz .LBB23_478
; %bb.477:
	v_lshlrev_b32_e32 v25, 2, v0
	s_movk_i32 s16, 0xfc
	v_mad_u32_u24 v26, v0, s16, v25
	ds_read_b32 v27, v26 offset:7288
	s_waitcnt lgkmcnt(0)
	ds_write_b32 v25, v27 offset:7792
	ds_read_b32 v26, v26 offset:7292
	s_waitcnt lgkmcnt(0)
	ds_write_b32 v25, v26 offset:8048
.LBB23_478:
	s_or_b64 exec, exec, s[14:15]
	s_waitcnt lgkmcnt(0)
	s_barrier
	s_and_saveexec_b64 s[14:15], vcc
	s_cbranch_execz .LBB23_480
; %bb.479:
	v_mov_b32_e32 v27, 0
	ds_read_b64 v[25:26], v27 offset:7800
	ds_read_b32 v27, v27 offset:8060
	s_movk_i32 s16, 0x1c00
	s_waitcnt lgkmcnt(0)
	v_mul_f32_e32 v25, v25, v27
	v_mul_f32_e32 v25, v26, v25
	v_add_u32_e64 v26, s16, 0
	ds_write2_b32 v26, v25, v25 offset0:159 offset1:222
.LBB23_480:
	s_or_b64 exec, exec, s[14:15]
	v_and_b32_e32 v26, 31, v0
	s_movk_i32 s14, 0x3ff
	v_lshrrev_b32_e32 v29, 5, v4
	v_cmp_lt_u32_e64 s[16:17], s14, v4
	s_movk_i32 s14, 0x400
	v_lshlrev_b32_e32 v27, 2, v26
	v_cmp_gt_u32_e64 s[14:15], s14, v4
	v_lshl_or_b32 v25, v29, 8, v27
	v_mov_b32_e32 v28, 0
	s_waitcnt lgkmcnt(0)
	s_barrier
	s_and_saveexec_b64 s[82:83], s[14:15]
	s_cbranch_execz .LBB23_542
; %bb.481:
	v_mul_u32_u24_e32 v30, 0x104, v29
	ds_read_b32 v28, v25 offset:128
	ds_read_b32 v31, v30
	s_movk_i32 s20, 0x3e0
	v_cmp_gt_u32_e64 s[20:21], s20, v4
	s_waitcnt lgkmcnt(0)
	v_fma_f32 v28, v28, v31, 0
	s_and_saveexec_b64 s[84:85], s[20:21]
	s_cbranch_execz .LBB23_483
; %bb.482:
	ds_read_b32 v31, v25 offset:384
	ds_read_b32 v32, v30 offset:4
	s_waitcnt lgkmcnt(0)
	v_fmac_f32_e32 v28, v31, v32
.LBB23_483:
	s_or_b64 exec, exec, s[84:85]
	s_movk_i32 s20, 0x3c0
	v_cmp_gt_u32_e64 s[20:21], s20, v4
	s_and_saveexec_b64 s[84:85], s[20:21]
	s_cbranch_execz .LBB23_485
; %bb.484:
	ds_read_b32 v31, v25 offset:640
	ds_read_b32 v32, v30 offset:8
	s_waitcnt lgkmcnt(0)
	v_fmac_f32_e32 v28, v31, v32
.LBB23_485:
	s_or_b64 exec, exec, s[84:85]
	s_movk_i32 s20, 0x3a0
	v_cmp_gt_u32_e64 s[20:21], s20, v4
	;; [unrolled: 11-line block ×28, first 2 shown]
	s_and_saveexec_b64 s[84:85], s[20:21]
	s_cbranch_execnz .LBB23_1229
; %bb.538:
	s_or_b64 exec, exec, s[84:85]
	v_cmp_gt_u32_e64 s[20:21], 64, v4
	s_and_saveexec_b64 s[84:85], s[20:21]
	s_cbranch_execnz .LBB23_1230
.LBB23_539:
	s_or_b64 exec, exec, s[84:85]
	v_cmp_gt_u32_e64 s[20:21], 32, v4
	s_and_saveexec_b64 s[84:85], s[20:21]
	s_cbranch_execz .LBB23_541
.LBB23_540:
	v_lshlrev_b32_e32 v30, 2, v0
	v_mov_b32_e32 v31, 0
	ds_read_b32 v30, v30 offset:8064
	ds_read_b32 v31, v31 offset:124
	s_waitcnt lgkmcnt(0)
	v_fmac_f32_e32 v28, v30, v31
.LBB23_541:
	s_or_b64 exec, exec, s[84:85]
	v_xor_b32_e32 v28, 0x80000000, v28
.LBB23_542:
	s_or_b64 exec, exec, s[82:83]
	v_mov_b32_e32 v30, 0x4000
	v_cmp_eq_u32_e64 s[20:21], 0, v26
	s_xor_b64 s[82:83], s[16:17], -1
	v_lshl_or_b32 v29, v29, 2, v30
	s_and_b64 s[20:21], s[20:21], s[82:83]
	s_and_saveexec_b64 s[16:17], s[20:21]
	s_cbranch_execz .LBB23_544
; %bb.543:
	v_mov_b32_e32 v30, 0
	ds_read_b32 v30, v30 offset:8320
	s_waitcnt lgkmcnt(0)
	v_mul_f32_e32 v28, v28, v30
	ds_write_b32 v29, v28
.LBB23_544:
	s_or_b64 exec, exec, s[16:17]
	v_cmp_ne_u32_e64 s[16:17], 0, v26
	s_and_b64 s[20:21], s[16:17], s[82:83]
	s_waitcnt lgkmcnt(0)
	s_barrier
	s_and_saveexec_b64 s[16:17], s[20:21]
	s_cbranch_execz .LBB23_546
; %bb.545:
	ds_read_b32 v30, v27 offset:8320
	ds_read_b32 v31, v29
	s_waitcnt lgkmcnt(0)
	v_fmac_f32_e32 v28, v30, v31
.LBB23_546:
	s_or_b64 exec, exec, s[16:17]
	v_cmp_eq_u32_e64 s[16:17], 1, v26
	s_and_b64 s[20:21], s[16:17], s[82:83]
	s_barrier
	s_and_saveexec_b64 s[16:17], s[20:21]
	s_cbranch_execz .LBB23_548
; %bb.547:
	v_mov_b32_e32 v30, 0
	ds_read_b32 v30, v30 offset:8580
	s_waitcnt lgkmcnt(0)
	v_mul_f32_e32 v28, v28, v30
	ds_write_b32 v29, v28
.LBB23_548:
	s_or_b64 exec, exec, s[16:17]
	v_cmp_lt_u32_e64 s[16:17], 1, v26
	s_and_b64 s[20:21], s[16:17], s[82:83]
	s_waitcnt lgkmcnt(0)
	s_barrier
	s_and_saveexec_b64 s[16:17], s[20:21]
	s_cbranch_execz .LBB23_550
; %bb.549:
	ds_read_b32 v30, v27 offset:8576
	ds_read_b32 v31, v29
	s_waitcnt lgkmcnt(0)
	v_fmac_f32_e32 v28, v30, v31
.LBB23_550:
	s_or_b64 exec, exec, s[16:17]
	v_cmp_eq_u32_e64 s[16:17], 2, v26
	s_and_b64 s[20:21], s[16:17], s[82:83]
	s_barrier
	s_and_saveexec_b64 s[16:17], s[20:21]
	s_cbranch_execz .LBB23_552
; %bb.551:
	v_mov_b32_e32 v30, 0
	ds_read_b32 v30, v30 offset:8840
	s_waitcnt lgkmcnt(0)
	v_mul_f32_e32 v28, v28, v30
	ds_write_b32 v29, v28
.LBB23_552:
	s_or_b64 exec, exec, s[16:17]
	v_cmp_lt_u32_e64 s[16:17], 2, v26
	;; [unrolled: 26-line block ×29, first 2 shown]
	s_and_b64 s[20:21], s[16:17], s[82:83]
	s_waitcnt lgkmcnt(0)
	s_barrier
	s_and_saveexec_b64 s[16:17], s[20:21]
	s_cbranch_execz .LBB23_662
; %bb.661:
	ds_read_b32 v27, v27 offset:15744
	ds_read_b32 v30, v29
	s_waitcnt lgkmcnt(0)
	v_fmac_f32_e32 v28, v27, v30
.LBB23_662:
	s_or_b64 exec, exec, s[16:17]
	v_cmp_eq_u32_e64 s[16:17], 30, v26
	s_and_b64 s[20:21], s[16:17], s[82:83]
	s_barrier
	s_and_saveexec_b64 s[16:17], s[20:21]
	s_cbranch_execz .LBB23_664
; %bb.663:
	v_mov_b32_e32 v27, 0
	ds_read_b32 v27, v27 offset:16120
	s_waitcnt lgkmcnt(0)
	v_mul_f32_e32 v28, v28, v27
	ds_write_b32 v29, v28
.LBB23_664:
	s_or_b64 exec, exec, s[16:17]
	v_cmp_eq_u32_e64 s[16:17], 31, v26
	s_and_b64 s[16:17], s[16:17], s[82:83]
	s_waitcnt lgkmcnt(0)
	s_barrier
	s_and_saveexec_b64 s[20:21], s[16:17]
	s_cbranch_execz .LBB23_666
; %bb.665:
	v_mov_b32_e32 v26, 0
	ds_read_b32 v26, v26 offset:16124
	ds_read_b32 v27, v29
	s_waitcnt lgkmcnt(0)
	v_fmac_f32_e32 v28, v26, v27
.LBB23_666:
	s_or_b64 exec, exec, s[20:21]
	s_barrier
	s_and_saveexec_b64 s[20:21], s[16:17]
	s_cbranch_execz .LBB23_668
; %bb.667:
	v_mov_b32_e32 v26, 0
	ds_read_b32 v26, v26 offset:16380
	s_waitcnt lgkmcnt(0)
	v_mul_f32_e32 v28, v28, v26
	ds_write_b32 v29, v28
.LBB23_668:
	s_or_b64 exec, exec, s[20:21]
	s_waitcnt lgkmcnt(0)
	s_barrier
	s_barrier
	s_and_saveexec_b64 s[16:17], s[14:15]
; %bb.669:
	v_xor_b32_e32 v26, 0x80000000, v28
	ds_write_b32 v25, v26 offset:128
; %bb.670:
	s_or_b64 exec, exec, s[16:17]
	v_cmp_gt_u32_e64 s[14:15], 32, v0
	s_and_b64 s[14:15], s[12:13], s[14:15]
	s_waitcnt lgkmcnt(0)
	s_barrier
	s_barrier
	s_and_saveexec_b64 s[12:13], s[14:15]
	s_cbranch_execz .LBB23_672
; %bb.671:
	v_lshlrev_b32_e32 v25, 8, v0
	ds_read_b32 v26, v25 offset:128
	s_movk_i32 s14, 0xff04
	v_mad_i32_i24 v27, v0, s14, v25
	s_waitcnt lgkmcnt(0)
	ds_write_b32 v27, v26 offset:8192
	ds_read_b32 v26, v25 offset:132
	s_waitcnt lgkmcnt(0)
	ds_write_b32 v27, v26 offset:8448
	ds_read_b32 v26, v25 offset:136
	s_waitcnt lgkmcnt(0)
	ds_write_b32 v27, v26 offset:8704
	ds_read_b32 v26, v25 offset:140
	s_waitcnt lgkmcnt(0)
	ds_write_b32 v27, v26 offset:8960
	ds_read_b32 v26, v25 offset:144
	s_waitcnt lgkmcnt(0)
	ds_write_b32 v27, v26 offset:9216
	ds_read_b32 v26, v25 offset:148
	s_waitcnt lgkmcnt(0)
	ds_write_b32 v27, v26 offset:9472
	ds_read_b32 v26, v25 offset:152
	s_waitcnt lgkmcnt(0)
	ds_write_b32 v27, v26 offset:9728
	ds_read_b32 v26, v25 offset:156
	s_waitcnt lgkmcnt(0)
	ds_write_b32 v27, v26 offset:9984
	ds_read_b32 v26, v25 offset:160
	s_waitcnt lgkmcnt(0)
	ds_write_b32 v27, v26 offset:10240
	ds_read_b32 v26, v25 offset:164
	s_waitcnt lgkmcnt(0)
	ds_write_b32 v27, v26 offset:10496
	ds_read_b32 v26, v25 offset:168
	s_waitcnt lgkmcnt(0)
	ds_write_b32 v27, v26 offset:10752
	ds_read_b32 v26, v25 offset:172
	s_waitcnt lgkmcnt(0)
	ds_write_b32 v27, v26 offset:11008
	ds_read_b32 v26, v25 offset:176
	s_waitcnt lgkmcnt(0)
	ds_write_b32 v27, v26 offset:11264
	ds_read_b32 v26, v25 offset:180
	s_waitcnt lgkmcnt(0)
	ds_write_b32 v27, v26 offset:11520
	ds_read_b32 v26, v25 offset:184
	s_waitcnt lgkmcnt(0)
	ds_write_b32 v27, v26 offset:11776
	ds_read_b32 v26, v25 offset:188
	s_waitcnt lgkmcnt(0)
	ds_write_b32 v27, v26 offset:12032
	ds_read_b32 v26, v25 offset:192
	s_waitcnt lgkmcnt(0)
	ds_write_b32 v27, v26 offset:12288
	ds_read_b32 v26, v25 offset:196
	s_waitcnt lgkmcnt(0)
	ds_write_b32 v27, v26 offset:12544
	ds_read_b32 v26, v25 offset:200
	s_waitcnt lgkmcnt(0)
	ds_write_b32 v27, v26 offset:12800
	ds_read_b32 v26, v25 offset:204
	s_waitcnt lgkmcnt(0)
	ds_write_b32 v27, v26 offset:13056
	ds_read_b32 v26, v25 offset:208
	s_waitcnt lgkmcnt(0)
	ds_write_b32 v27, v26 offset:13312
	ds_read_b32 v26, v25 offset:212
	s_waitcnt lgkmcnt(0)
	ds_write_b32 v27, v26 offset:13568
	ds_read_b32 v26, v25 offset:216
	s_waitcnt lgkmcnt(0)
	ds_write_b32 v27, v26 offset:13824
	ds_read_b32 v26, v25 offset:220
	s_waitcnt lgkmcnt(0)
	ds_write_b32 v27, v26 offset:14080
	ds_read_b32 v26, v25 offset:224
	s_waitcnt lgkmcnt(0)
	ds_write_b32 v27, v26 offset:14336
	ds_read_b32 v26, v25 offset:228
	s_waitcnt lgkmcnt(0)
	ds_write_b32 v27, v26 offset:14592
	ds_read_b32 v26, v25 offset:232
	s_waitcnt lgkmcnt(0)
	ds_write_b32 v27, v26 offset:14848
	ds_read_b32 v26, v25 offset:236
	s_waitcnt lgkmcnt(0)
	ds_write_b32 v27, v26 offset:15104
	ds_read_b32 v26, v25 offset:240
	s_waitcnt lgkmcnt(0)
	ds_write_b32 v27, v26 offset:15360
	ds_read_b32 v26, v25 offset:244
	s_waitcnt lgkmcnt(0)
	ds_write_b32 v27, v26 offset:15616
	ds_read_b32 v26, v25 offset:248
	s_waitcnt lgkmcnt(0)
	ds_write_b32 v27, v26 offset:15872
	ds_read_b32 v25, v25 offset:252
	s_waitcnt lgkmcnt(0)
	ds_write_b32 v27, v25 offset:16128
.LBB23_672:
	s_or_b64 exec, exec, s[12:13]
	s_waitcnt lgkmcnt(0)
	s_barrier
	s_and_saveexec_b64 s[12:13], vcc
	s_cbranch_execz .LBB23_674
; %bb.673:
	v_mov_b32_e32 v27, 0
	ds_read_b64 v[25:26], v27 offset:8320
	ds_read_b32 v27, v27 offset:8580
	s_movk_i32 s14, 0x2000
	s_waitcnt lgkmcnt(0)
	v_mul_f32_e32 v25, v25, v27
	v_mul_f32_e32 v25, v26, v25
	v_add_u32_e64 v26, s14, 0
	ds_write2_b32 v26, v25, v25 offset0:33 offset1:96
.LBB23_674:
	s_or_b64 exec, exec, s[12:13]
	v_mov_b32_e32 v25, 0
	s_waitcnt lgkmcnt(0)
	s_barrier
	s_and_saveexec_b64 s[14:15], s[2:3]
	s_cbranch_execz .LBB23_678
; %bb.675:
	v_mul_u32_u24_e32 v25, 0x104, v5
	ds_read_b32 v27, v1 offset:8328
	ds_read_b32 v25, v25 offset:8320
	v_mov_b32_e32 v26, 0
	v_cmp_gt_u32_e64 s[12:13], 2, v4
	s_waitcnt lgkmcnt(0)
	v_fma_f32 v25, v27, v25, 0
	s_and_saveexec_b64 s[16:17], s[12:13]
	s_cbranch_execz .LBB23_677
; %bb.676:
	v_lshlrev_b32_e32 v27, 2, v0
	ds_read_b32 v27, v27 offset:8584
	ds_read_b32 v26, v26 offset:8324
	s_waitcnt lgkmcnt(0)
	v_fmac_f32_e32 v25, v27, v26
.LBB23_677:
	s_or_b64 exec, exec, s[16:17]
	v_xor_b32_e32 v25, 0x80000000, v25
.LBB23_678:
	s_or_b64 exec, exec, s[14:15]
	s_and_saveexec_b64 s[12:13], s[34:35]
	s_cbranch_execz .LBB23_680
; %bb.679:
	v_mov_b32_e32 v26, 0
	ds_read_b32 v26, v26 offset:8840
	s_waitcnt lgkmcnt(0)
	v_mul_f32_e32 v25, v25, v26
	ds_write_b32 v3, v25
.LBB23_680:
	s_or_b64 exec, exec, s[12:13]
	s_waitcnt lgkmcnt(0)
	s_barrier
	s_and_saveexec_b64 s[12:13], s[26:27]
	s_cbranch_execz .LBB23_682
; %bb.681:
	v_mov_b32_e32 v26, 0
	ds_read_b32 v26, v26 offset:8844
	ds_read_b32 v27, v3
	s_waitcnt lgkmcnt(0)
	v_fmac_f32_e32 v25, v26, v27
.LBB23_682:
	s_or_b64 exec, exec, s[12:13]
	s_barrier
	s_and_saveexec_b64 s[12:13], s[26:27]
	s_cbranch_execz .LBB23_684
; %bb.683:
	v_mov_b32_e32 v26, 0
	ds_read_b32 v26, v26 offset:9100
	s_waitcnt lgkmcnt(0)
	v_mul_f32_e32 v25, v25, v26
	ds_write_b32 v3, v25
.LBB23_684:
	s_or_b64 exec, exec, s[12:13]
	s_waitcnt lgkmcnt(0)
	s_barrier
	s_barrier
	s_and_saveexec_b64 s[12:13], s[2:3]
; %bb.685:
	v_xor_b32_e32 v25, 0x80000000, v25
	ds_write_b32 v1, v25 offset:8328
; %bb.686:
	s_or_b64 exec, exec, s[12:13]
	s_waitcnt lgkmcnt(0)
	s_barrier
	s_barrier
	s_and_saveexec_b64 s[12:13], s[36:37]
	s_cbranch_execz .LBB23_688
; %bb.687:
	v_lshlrev_b32_e32 v25, 2, v0
	s_movk_i32 s14, 0xfc
	v_mad_u32_u24 v26, v0, s14, v25
	ds_read_b32 v27, v26 offset:8328
	s_waitcnt lgkmcnt(0)
	ds_write_b32 v25, v27 offset:8832
	ds_read_b32 v26, v26 offset:8332
	s_waitcnt lgkmcnt(0)
	ds_write_b32 v25, v26 offset:9088
.LBB23_688:
	s_or_b64 exec, exec, s[12:13]
	s_waitcnt lgkmcnt(0)
	s_barrier
	s_and_saveexec_b64 s[12:13], vcc
	s_cbranch_execz .LBB23_690
; %bb.689:
	v_mov_b32_e32 v27, 0
	ds_read_b64 v[25:26], v27 offset:8840
	ds_read_b32 v27, v27 offset:9100
	s_movk_i32 s14, 0x2000
	s_waitcnt lgkmcnt(0)
	v_mul_f32_e32 v25, v25, v27
	v_mul_f32_e32 v25, v26, v25
	v_add_u32_e64 v26, s14, 0
	ds_write2_b32 v26, v25, v25 offset0:163 offset1:226
.LBB23_690:
	s_or_b64 exec, exec, s[12:13]
	v_mov_b32_e32 v25, 0
	s_waitcnt lgkmcnt(0)
	s_barrier
	s_and_saveexec_b64 s[14:15], s[18:19]
	s_cbranch_execz .LBB23_696
; %bb.691:
	v_mul_u32_u24_e32 v26, 0x104, v14
	ds_read_b32 v25, v6 offset:8336
	ds_read_b32 v27, v26 offset:8320
	v_cmp_gt_u32_e64 s[12:13], 12, v4
	s_waitcnt lgkmcnt(0)
	v_fma_f32 v25, v25, v27, 0
	s_and_saveexec_b64 s[16:17], s[12:13]
	s_cbranch_execnz .LBB23_1231
; %bb.692:
	s_or_b64 exec, exec, s[16:17]
	v_cmp_gt_u32_e64 s[12:13], 8, v4
	s_and_saveexec_b64 s[16:17], s[12:13]
	s_cbranch_execnz .LBB23_1232
.LBB23_693:
	s_or_b64 exec, exec, s[16:17]
	v_cmp_gt_u32_e64 s[12:13], 4, v4
	s_and_saveexec_b64 s[16:17], s[12:13]
	s_cbranch_execz .LBB23_695
.LBB23_694:
	v_lshlrev_b32_e32 v26, 2, v0
	v_mov_b32_e32 v27, 0
	ds_read_b32 v26, v26 offset:9104
	ds_read_b32 v27, v27 offset:8332
	s_waitcnt lgkmcnt(0)
	v_fmac_f32_e32 v25, v26, v27
.LBB23_695:
	s_or_b64 exec, exec, s[16:17]
	v_xor_b32_e32 v25, 0x80000000, v25
.LBB23_696:
	s_or_b64 exec, exec, s[14:15]
	s_and_saveexec_b64 s[12:13], s[40:41]
	s_cbranch_execz .LBB23_698
; %bb.697:
	v_mov_b32_e32 v26, 0
	ds_read_b32 v26, v26 offset:9360
	s_waitcnt lgkmcnt(0)
	v_mul_f32_e32 v25, v25, v26
	ds_write_b32 v12, v25
.LBB23_698:
	s_or_b64 exec, exec, s[12:13]
	s_waitcnt lgkmcnt(0)
	s_barrier
	s_and_saveexec_b64 s[12:13], s[42:43]
	s_cbranch_execz .LBB23_700
; %bb.699:
	ds_read_b32 v26, v11 offset:9360
	ds_read_b32 v27, v12
	s_waitcnt lgkmcnt(0)
	v_fmac_f32_e32 v25, v26, v27
.LBB23_700:
	s_or_b64 exec, exec, s[12:13]
	s_barrier
	s_and_saveexec_b64 s[12:13], s[44:45]
	s_cbranch_execz .LBB23_702
; %bb.701:
	v_mov_b32_e32 v26, 0
	ds_read_b32 v26, v26 offset:9620
	s_waitcnt lgkmcnt(0)
	v_mul_f32_e32 v25, v25, v26
	ds_write_b32 v12, v25
.LBB23_702:
	s_or_b64 exec, exec, s[12:13]
	s_waitcnt lgkmcnt(0)
	s_barrier
	s_and_saveexec_b64 s[12:13], s[46:47]
	s_cbranch_execz .LBB23_704
; %bb.703:
	ds_read_b32 v26, v11 offset:9616
	ds_read_b32 v27, v12
	s_waitcnt lgkmcnt(0)
	v_fmac_f32_e32 v25, v26, v27
.LBB23_704:
	s_or_b64 exec, exec, s[12:13]
	s_barrier
	s_and_saveexec_b64 s[12:13], s[48:49]
	s_cbranch_execz .LBB23_706
; %bb.705:
	v_mov_b32_e32 v26, 0
	ds_read_b32 v26, v26 offset:9880
	s_waitcnt lgkmcnt(0)
	v_mul_f32_e32 v25, v25, v26
	ds_write_b32 v12, v25
.LBB23_706:
	s_or_b64 exec, exec, s[12:13]
	s_waitcnt lgkmcnt(0)
	s_barrier
	s_and_saveexec_b64 s[12:13], s[38:39]
	s_cbranch_execz .LBB23_708
; %bb.707:
	v_mov_b32_e32 v26, 0
	ds_read_b32 v26, v26 offset:9884
	ds_read_b32 v27, v12
	s_waitcnt lgkmcnt(0)
	v_fmac_f32_e32 v25, v26, v27
.LBB23_708:
	s_or_b64 exec, exec, s[12:13]
	s_barrier
	s_and_saveexec_b64 s[12:13], s[38:39]
	s_cbranch_execz .LBB23_710
; %bb.709:
	v_mov_b32_e32 v26, 0
	ds_read_b32 v26, v26 offset:10140
	s_waitcnt lgkmcnt(0)
	v_mul_f32_e32 v25, v25, v26
	ds_write_b32 v12, v25
.LBB23_710:
	s_or_b64 exec, exec, s[12:13]
	s_waitcnt lgkmcnt(0)
	s_barrier
	s_barrier
	s_and_saveexec_b64 s[12:13], s[18:19]
; %bb.711:
	v_xor_b32_e32 v25, 0x80000000, v25
	ds_write_b32 v6, v25 offset:8336
; %bb.712:
	s_or_b64 exec, exec, s[12:13]
	s_waitcnt lgkmcnt(0)
	s_barrier
	s_barrier
	s_and_saveexec_b64 s[12:13], s[50:51]
	s_cbranch_execz .LBB23_714
; %bb.713:
	v_lshlrev_b32_e32 v25, 8, v0
	ds_read_b32 v26, v25 offset:8336
	s_movk_i32 s14, 0xff04
	v_mad_i32_i24 v27, v0, s14, v25
	s_waitcnt lgkmcnt(0)
	ds_write_b32 v27, v26 offset:9344
	ds_read_b32 v26, v25 offset:8340
	s_waitcnt lgkmcnt(0)
	ds_write_b32 v27, v26 offset:9600
	ds_read_b32 v26, v25 offset:8344
	;; [unrolled: 3-line block ×3, first 2 shown]
	s_waitcnt lgkmcnt(0)
	ds_write_b32 v27, v25 offset:10112
.LBB23_714:
	s_or_b64 exec, exec, s[12:13]
	s_waitcnt lgkmcnt(0)
	s_barrier
	s_and_saveexec_b64 s[12:13], vcc
	s_cbranch_execz .LBB23_716
; %bb.715:
	v_mov_b32_e32 v27, 0
	ds_read_b64 v[25:26], v27 offset:9360
	ds_read_b32 v27, v27 offset:9620
	s_movk_i32 s14, 0x2400
	s_waitcnt lgkmcnt(0)
	v_mul_f32_e32 v25, v25, v27
	v_mul_f32_e32 v25, v26, v25
	v_add_u32_e64 v26, s14, 0
	ds_write2_b32 v26, v25, v25 offset0:37 offset1:100
.LBB23_716:
	s_or_b64 exec, exec, s[12:13]
	v_mov_b32_e32 v25, 0
	s_waitcnt lgkmcnt(0)
	s_barrier
	s_and_saveexec_b64 s[14:15], s[2:3]
	s_cbranch_execz .LBB23_720
; %bb.717:
	v_mul_u32_u24_e32 v25, 0x104, v5
	ds_read_b32 v27, v1 offset:9368
	ds_read_b32 v25, v25 offset:9360
	v_mov_b32_e32 v26, 0
	v_cmp_gt_u32_e64 s[12:13], 2, v4
	s_waitcnt lgkmcnt(0)
	v_fma_f32 v25, v27, v25, 0
	s_and_saveexec_b64 s[16:17], s[12:13]
	s_cbranch_execz .LBB23_719
; %bb.718:
	v_lshlrev_b32_e32 v27, 2, v0
	ds_read_b32 v27, v27 offset:9624
	ds_read_b32 v26, v26 offset:9364
	s_waitcnt lgkmcnt(0)
	v_fmac_f32_e32 v25, v27, v26
.LBB23_719:
	s_or_b64 exec, exec, s[16:17]
	v_xor_b32_e32 v25, 0x80000000, v25
.LBB23_720:
	s_or_b64 exec, exec, s[14:15]
	s_and_saveexec_b64 s[12:13], s[34:35]
	s_cbranch_execz .LBB23_722
; %bb.721:
	v_mov_b32_e32 v26, 0
	ds_read_b32 v26, v26 offset:9880
	s_waitcnt lgkmcnt(0)
	v_mul_f32_e32 v25, v25, v26
	ds_write_b32 v3, v25
.LBB23_722:
	s_or_b64 exec, exec, s[12:13]
	s_waitcnt lgkmcnt(0)
	s_barrier
	s_and_saveexec_b64 s[12:13], s[26:27]
	s_cbranch_execz .LBB23_724
; %bb.723:
	v_mov_b32_e32 v26, 0
	ds_read_b32 v26, v26 offset:9884
	ds_read_b32 v27, v3
	s_waitcnt lgkmcnt(0)
	v_fmac_f32_e32 v25, v26, v27
.LBB23_724:
	s_or_b64 exec, exec, s[12:13]
	s_barrier
	s_and_saveexec_b64 s[12:13], s[26:27]
	s_cbranch_execz .LBB23_726
; %bb.725:
	v_mov_b32_e32 v26, 0
	ds_read_b32 v26, v26 offset:10140
	s_waitcnt lgkmcnt(0)
	v_mul_f32_e32 v25, v25, v26
	ds_write_b32 v3, v25
.LBB23_726:
	s_or_b64 exec, exec, s[12:13]
	s_waitcnt lgkmcnt(0)
	s_barrier
	s_barrier
	s_and_saveexec_b64 s[12:13], s[2:3]
; %bb.727:
	v_xor_b32_e32 v25, 0x80000000, v25
	ds_write_b32 v1, v25 offset:9368
; %bb.728:
	s_or_b64 exec, exec, s[12:13]
	s_waitcnt lgkmcnt(0)
	s_barrier
	s_barrier
	s_and_saveexec_b64 s[12:13], s[36:37]
	s_cbranch_execz .LBB23_730
; %bb.729:
	v_lshlrev_b32_e32 v25, 2, v0
	s_movk_i32 s14, 0xfc
	v_mad_u32_u24 v26, v0, s14, v25
	ds_read_b32 v27, v26 offset:9368
	s_waitcnt lgkmcnt(0)
	ds_write_b32 v25, v27 offset:9872
	ds_read_b32 v26, v26 offset:9372
	s_waitcnt lgkmcnt(0)
	ds_write_b32 v25, v26 offset:10128
.LBB23_730:
	s_or_b64 exec, exec, s[12:13]
	s_waitcnt lgkmcnt(0)
	s_barrier
	s_and_saveexec_b64 s[12:13], vcc
	s_cbranch_execz .LBB23_732
; %bb.731:
	v_mov_b32_e32 v27, 0
	ds_read_b64 v[25:26], v27 offset:9880
	ds_read_b32 v27, v27 offset:10140
	s_movk_i32 s14, 0x2400
	s_waitcnt lgkmcnt(0)
	v_mul_f32_e32 v25, v25, v27
	v_mul_f32_e32 v25, v26, v25
	v_add_u32_e64 v26, s14, 0
	ds_write2_b32 v26, v25, v25 offset0:167 offset1:230
.LBB23_732:
	s_or_b64 exec, exec, s[12:13]
	v_mov_b32_e32 v25, 0
	s_waitcnt lgkmcnt(0)
	s_barrier
	s_and_saveexec_b64 s[14:15], s[8:9]
	s_cbranch_execz .LBB23_742
; %bb.733:
	v_mul_u32_u24_e32 v26, 0x104, v19
	ds_read_b32 v25, v15 offset:8352
	ds_read_b32 v27, v26 offset:8320
	v_cmp_gt_u32_e64 s[12:13], 56, v4
	s_waitcnt lgkmcnt(0)
	v_fma_f32 v25, v25, v27, 0
	s_and_saveexec_b64 s[16:17], s[12:13]
	s_cbranch_execnz .LBB23_1233
; %bb.734:
	s_or_b64 exec, exec, s[16:17]
	v_cmp_gt_u32_e64 s[12:13], 48, v4
	s_and_saveexec_b64 s[16:17], s[12:13]
	s_cbranch_execnz .LBB23_1234
.LBB23_735:
	s_or_b64 exec, exec, s[16:17]
	v_cmp_gt_u32_e64 s[12:13], 40, v4
	s_and_saveexec_b64 s[16:17], s[12:13]
	s_cbranch_execnz .LBB23_1235
.LBB23_736:
	s_or_b64 exec, exec, s[16:17]
	v_cmp_gt_u32_e64 s[12:13], 32, v4
	s_and_saveexec_b64 s[16:17], s[12:13]
	s_cbranch_execnz .LBB23_1236
.LBB23_737:
	s_or_b64 exec, exec, s[16:17]
	v_cmp_gt_u32_e64 s[12:13], 24, v4
	s_and_saveexec_b64 s[16:17], s[12:13]
	s_cbranch_execnz .LBB23_1237
.LBB23_738:
	s_or_b64 exec, exec, s[16:17]
	v_cmp_gt_u32_e64 s[12:13], 16, v4
	s_and_saveexec_b64 s[16:17], s[12:13]
	s_cbranch_execnz .LBB23_1238
.LBB23_739:
	s_or_b64 exec, exec, s[16:17]
	v_cmp_gt_u32_e64 s[12:13], 8, v4
	s_and_saveexec_b64 s[16:17], s[12:13]
	s_cbranch_execz .LBB23_741
.LBB23_740:
	v_lshlrev_b32_e32 v26, 2, v0
	v_mov_b32_e32 v27, 0
	ds_read_b32 v26, v26 offset:10144
	ds_read_b32 v27, v27 offset:8348
	s_waitcnt lgkmcnt(0)
	v_fmac_f32_e32 v25, v26, v27
.LBB23_741:
	s_or_b64 exec, exec, s[16:17]
	v_xor_b32_e32 v25, 0x80000000, v25
.LBB23_742:
	s_or_b64 exec, exec, s[14:15]
	s_and_saveexec_b64 s[12:13], s[52:53]
	s_cbranch_execz .LBB23_744
; %bb.743:
	v_mov_b32_e32 v26, 0
	ds_read_b32 v26, v26 offset:10400
	s_waitcnt lgkmcnt(0)
	v_mul_f32_e32 v25, v25, v26
	ds_write_b32 v17, v25
.LBB23_744:
	s_or_b64 exec, exec, s[12:13]
	s_waitcnt lgkmcnt(0)
	s_barrier
	s_and_saveexec_b64 s[12:13], s[54:55]
	s_cbranch_execz .LBB23_746
; %bb.745:
	ds_read_b32 v26, v16 offset:10400
	ds_read_b32 v27, v17
	s_waitcnt lgkmcnt(0)
	v_fmac_f32_e32 v25, v26, v27
.LBB23_746:
	s_or_b64 exec, exec, s[12:13]
	s_barrier
	s_and_saveexec_b64 s[12:13], s[56:57]
	s_cbranch_execz .LBB23_748
; %bb.747:
	v_mov_b32_e32 v26, 0
	ds_read_b32 v26, v26 offset:10660
	s_waitcnt lgkmcnt(0)
	v_mul_f32_e32 v25, v25, v26
	ds_write_b32 v17, v25
.LBB23_748:
	s_or_b64 exec, exec, s[12:13]
	s_waitcnt lgkmcnt(0)
	s_barrier
	s_and_saveexec_b64 s[12:13], s[58:59]
	s_cbranch_execz .LBB23_750
; %bb.749:
	ds_read_b32 v26, v16 offset:10656
	ds_read_b32 v27, v17
	s_waitcnt lgkmcnt(0)
	v_fmac_f32_e32 v25, v26, v27
.LBB23_750:
	s_or_b64 exec, exec, s[12:13]
	s_barrier
	;; [unrolled: 22-line block ×6, first 2 shown]
	s_and_saveexec_b64 s[12:13], s[78:79]
	s_cbranch_execz .LBB23_768
; %bb.767:
	v_mov_b32_e32 v26, 0
	ds_read_b32 v26, v26 offset:11960
	s_waitcnt lgkmcnt(0)
	v_mul_f32_e32 v25, v25, v26
	ds_write_b32 v17, v25
.LBB23_768:
	s_or_b64 exec, exec, s[12:13]
	s_waitcnt lgkmcnt(0)
	s_barrier
	s_and_saveexec_b64 s[12:13], s[60:61]
	s_cbranch_execz .LBB23_770
; %bb.769:
	v_mov_b32_e32 v26, 0
	ds_read_b32 v26, v26 offset:11964
	ds_read_b32 v27, v17
	s_waitcnt lgkmcnt(0)
	v_fmac_f32_e32 v25, v26, v27
.LBB23_770:
	s_or_b64 exec, exec, s[12:13]
	s_barrier
	s_and_saveexec_b64 s[12:13], s[60:61]
	s_cbranch_execz .LBB23_772
; %bb.771:
	v_mov_b32_e32 v26, 0
	ds_read_b32 v26, v26 offset:12220
	s_waitcnt lgkmcnt(0)
	v_mul_f32_e32 v25, v25, v26
	ds_write_b32 v17, v25
.LBB23_772:
	s_or_b64 exec, exec, s[12:13]
	s_waitcnt lgkmcnt(0)
	s_barrier
	s_barrier
	s_and_saveexec_b64 s[12:13], s[8:9]
; %bb.773:
	v_xor_b32_e32 v25, 0x80000000, v25
	ds_write_b32 v15, v25 offset:8352
; %bb.774:
	s_or_b64 exec, exec, s[12:13]
	s_waitcnt lgkmcnt(0)
	s_barrier
	s_barrier
	s_and_saveexec_b64 s[12:13], s[80:81]
	s_cbranch_execz .LBB23_776
; %bb.775:
	v_lshlrev_b32_e32 v25, 8, v0
	ds_read_b32 v26, v25 offset:8352
	s_movk_i32 s14, 0xff04
	v_mad_i32_i24 v27, v0, s14, v25
	s_waitcnt lgkmcnt(0)
	ds_write_b32 v27, v26 offset:10368
	ds_read_b32 v26, v25 offset:8356
	s_waitcnt lgkmcnt(0)
	ds_write_b32 v27, v26 offset:10624
	ds_read_b32 v26, v25 offset:8360
	;; [unrolled: 3-line block ×7, first 2 shown]
	s_waitcnt lgkmcnt(0)
	ds_write_b32 v27, v25 offset:12160
.LBB23_776:
	s_or_b64 exec, exec, s[12:13]
	s_waitcnt lgkmcnt(0)
	s_barrier
	s_and_saveexec_b64 s[12:13], vcc
	s_cbranch_execz .LBB23_778
; %bb.777:
	v_mov_b32_e32 v27, 0
	ds_read_b64 v[25:26], v27 offset:10400
	ds_read_b32 v27, v27 offset:10660
	s_movk_i32 s14, 0x2800
	s_waitcnt lgkmcnt(0)
	v_mul_f32_e32 v25, v25, v27
	v_mul_f32_e32 v25, v26, v25
	v_add_u32_e64 v26, s14, 0
	ds_write2_b32 v26, v25, v25 offset0:41 offset1:104
.LBB23_778:
	s_or_b64 exec, exec, s[12:13]
	v_mov_b32_e32 v25, 0
	s_waitcnt lgkmcnt(0)
	s_barrier
	s_and_saveexec_b64 s[14:15], s[2:3]
	s_cbranch_execz .LBB23_782
; %bb.779:
	v_mul_u32_u24_e32 v25, 0x104, v5
	ds_read_b32 v27, v1 offset:10408
	ds_read_b32 v25, v25 offset:10400
	v_mov_b32_e32 v26, 0
	v_cmp_gt_u32_e64 s[12:13], 2, v4
	s_waitcnt lgkmcnt(0)
	v_fma_f32 v25, v27, v25, 0
	s_and_saveexec_b64 s[16:17], s[12:13]
	s_cbranch_execz .LBB23_781
; %bb.780:
	v_lshlrev_b32_e32 v27, 2, v0
	ds_read_b32 v27, v27 offset:10664
	ds_read_b32 v26, v26 offset:10404
	s_waitcnt lgkmcnt(0)
	v_fmac_f32_e32 v25, v27, v26
.LBB23_781:
	s_or_b64 exec, exec, s[16:17]
	v_xor_b32_e32 v25, 0x80000000, v25
.LBB23_782:
	s_or_b64 exec, exec, s[14:15]
	s_and_saveexec_b64 s[12:13], s[34:35]
	s_cbranch_execz .LBB23_784
; %bb.783:
	v_mov_b32_e32 v26, 0
	ds_read_b32 v26, v26 offset:10920
	s_waitcnt lgkmcnt(0)
	v_mul_f32_e32 v25, v25, v26
	ds_write_b32 v3, v25
.LBB23_784:
	s_or_b64 exec, exec, s[12:13]
	s_waitcnt lgkmcnt(0)
	s_barrier
	s_and_saveexec_b64 s[12:13], s[26:27]
	s_cbranch_execz .LBB23_786
; %bb.785:
	v_mov_b32_e32 v26, 0
	ds_read_b32 v26, v26 offset:10924
	ds_read_b32 v27, v3
	s_waitcnt lgkmcnt(0)
	v_fmac_f32_e32 v25, v26, v27
.LBB23_786:
	s_or_b64 exec, exec, s[12:13]
	s_barrier
	s_and_saveexec_b64 s[12:13], s[26:27]
	s_cbranch_execz .LBB23_788
; %bb.787:
	v_mov_b32_e32 v26, 0
	ds_read_b32 v26, v26 offset:11180
	s_waitcnt lgkmcnt(0)
	v_mul_f32_e32 v25, v25, v26
	ds_write_b32 v3, v25
.LBB23_788:
	s_or_b64 exec, exec, s[12:13]
	s_waitcnt lgkmcnt(0)
	s_barrier
	s_barrier
	s_and_saveexec_b64 s[12:13], s[2:3]
; %bb.789:
	v_xor_b32_e32 v25, 0x80000000, v25
	ds_write_b32 v1, v25 offset:10408
; %bb.790:
	s_or_b64 exec, exec, s[12:13]
	s_waitcnt lgkmcnt(0)
	s_barrier
	s_barrier
	s_and_saveexec_b64 s[12:13], s[36:37]
	s_cbranch_execz .LBB23_792
; %bb.791:
	v_lshlrev_b32_e32 v25, 2, v0
	s_movk_i32 s14, 0xfc
	v_mad_u32_u24 v26, v0, s14, v25
	ds_read_b32 v27, v26 offset:10408
	s_waitcnt lgkmcnt(0)
	ds_write_b32 v25, v27 offset:10912
	ds_read_b32 v26, v26 offset:10412
	s_waitcnt lgkmcnt(0)
	ds_write_b32 v25, v26 offset:11168
.LBB23_792:
	s_or_b64 exec, exec, s[12:13]
	s_waitcnt lgkmcnt(0)
	s_barrier
	s_and_saveexec_b64 s[12:13], vcc
	s_cbranch_execz .LBB23_794
; %bb.793:
	v_mov_b32_e32 v27, 0
	ds_read_b64 v[25:26], v27 offset:10920
	ds_read_b32 v27, v27 offset:11180
	s_movk_i32 s14, 0x2800
	s_waitcnt lgkmcnt(0)
	v_mul_f32_e32 v25, v25, v27
	v_mul_f32_e32 v25, v26, v25
	v_add_u32_e64 v26, s14, 0
	ds_write2_b32 v26, v25, v25 offset0:171 offset1:234
.LBB23_794:
	s_or_b64 exec, exec, s[12:13]
	v_mov_b32_e32 v25, 0
	s_waitcnt lgkmcnt(0)
	s_barrier
	s_and_saveexec_b64 s[14:15], s[18:19]
	s_cbranch_execz .LBB23_800
; %bb.795:
	v_mul_u32_u24_e32 v26, 0x104, v14
	ds_read_b32 v25, v6 offset:10416
	ds_read_b32 v27, v26 offset:10400
	v_cmp_gt_u32_e64 s[12:13], 12, v4
	s_waitcnt lgkmcnt(0)
	v_fma_f32 v25, v25, v27, 0
	s_and_saveexec_b64 s[16:17], s[12:13]
	s_cbranch_execnz .LBB23_1239
; %bb.796:
	s_or_b64 exec, exec, s[16:17]
	v_cmp_gt_u32_e64 s[12:13], 8, v4
	s_and_saveexec_b64 s[16:17], s[12:13]
	s_cbranch_execnz .LBB23_1240
.LBB23_797:
	s_or_b64 exec, exec, s[16:17]
	v_cmp_gt_u32_e64 s[12:13], 4, v4
	s_and_saveexec_b64 s[16:17], s[12:13]
	s_cbranch_execz .LBB23_799
.LBB23_798:
	v_lshlrev_b32_e32 v26, 2, v0
	v_mov_b32_e32 v27, 0
	ds_read_b32 v26, v26 offset:11184
	ds_read_b32 v27, v27 offset:10412
	s_waitcnt lgkmcnt(0)
	v_fmac_f32_e32 v25, v26, v27
.LBB23_799:
	s_or_b64 exec, exec, s[16:17]
	v_xor_b32_e32 v25, 0x80000000, v25
.LBB23_800:
	s_or_b64 exec, exec, s[14:15]
	s_and_saveexec_b64 s[12:13], s[40:41]
	s_cbranch_execz .LBB23_802
; %bb.801:
	v_mov_b32_e32 v26, 0
	ds_read_b32 v26, v26 offset:11440
	s_waitcnt lgkmcnt(0)
	v_mul_f32_e32 v25, v25, v26
	ds_write_b32 v12, v25
.LBB23_802:
	s_or_b64 exec, exec, s[12:13]
	s_waitcnt lgkmcnt(0)
	s_barrier
	s_and_saveexec_b64 s[12:13], s[42:43]
	s_cbranch_execz .LBB23_804
; %bb.803:
	ds_read_b32 v26, v11 offset:11440
	ds_read_b32 v27, v12
	s_waitcnt lgkmcnt(0)
	v_fmac_f32_e32 v25, v26, v27
.LBB23_804:
	s_or_b64 exec, exec, s[12:13]
	s_barrier
	s_and_saveexec_b64 s[12:13], s[44:45]
	s_cbranch_execz .LBB23_806
; %bb.805:
	v_mov_b32_e32 v26, 0
	ds_read_b32 v26, v26 offset:11700
	s_waitcnt lgkmcnt(0)
	v_mul_f32_e32 v25, v25, v26
	ds_write_b32 v12, v25
.LBB23_806:
	s_or_b64 exec, exec, s[12:13]
	s_waitcnt lgkmcnt(0)
	s_barrier
	s_and_saveexec_b64 s[12:13], s[46:47]
	s_cbranch_execz .LBB23_808
; %bb.807:
	ds_read_b32 v26, v11 offset:11696
	ds_read_b32 v27, v12
	s_waitcnt lgkmcnt(0)
	v_fmac_f32_e32 v25, v26, v27
.LBB23_808:
	s_or_b64 exec, exec, s[12:13]
	s_barrier
	s_and_saveexec_b64 s[12:13], s[48:49]
	s_cbranch_execz .LBB23_810
; %bb.809:
	v_mov_b32_e32 v26, 0
	ds_read_b32 v26, v26 offset:11960
	s_waitcnt lgkmcnt(0)
	v_mul_f32_e32 v25, v25, v26
	ds_write_b32 v12, v25
.LBB23_810:
	s_or_b64 exec, exec, s[12:13]
	s_waitcnt lgkmcnt(0)
	s_barrier
	s_and_saveexec_b64 s[12:13], s[38:39]
	s_cbranch_execz .LBB23_812
; %bb.811:
	v_mov_b32_e32 v26, 0
	ds_read_b32 v26, v26 offset:11964
	ds_read_b32 v27, v12
	s_waitcnt lgkmcnt(0)
	v_fmac_f32_e32 v25, v26, v27
.LBB23_812:
	s_or_b64 exec, exec, s[12:13]
	s_barrier
	s_and_saveexec_b64 s[12:13], s[38:39]
	s_cbranch_execz .LBB23_814
; %bb.813:
	v_mov_b32_e32 v26, 0
	ds_read_b32 v26, v26 offset:12220
	s_waitcnt lgkmcnt(0)
	v_mul_f32_e32 v25, v25, v26
	ds_write_b32 v12, v25
.LBB23_814:
	s_or_b64 exec, exec, s[12:13]
	s_waitcnt lgkmcnt(0)
	s_barrier
	s_barrier
	s_and_saveexec_b64 s[12:13], s[18:19]
; %bb.815:
	v_xor_b32_e32 v25, 0x80000000, v25
	ds_write_b32 v6, v25 offset:10416
; %bb.816:
	s_or_b64 exec, exec, s[12:13]
	s_waitcnt lgkmcnt(0)
	s_barrier
	s_barrier
	s_and_saveexec_b64 s[12:13], s[50:51]
	s_cbranch_execz .LBB23_818
; %bb.817:
	v_lshlrev_b32_e32 v25, 8, v0
	ds_read_b32 v26, v25 offset:10416
	s_movk_i32 s14, 0xff04
	v_mad_i32_i24 v27, v0, s14, v25
	s_waitcnt lgkmcnt(0)
	ds_write_b32 v27, v26 offset:11424
	ds_read_b32 v26, v25 offset:10420
	s_waitcnt lgkmcnt(0)
	ds_write_b32 v27, v26 offset:11680
	ds_read_b32 v26, v25 offset:10424
	;; [unrolled: 3-line block ×3, first 2 shown]
	s_waitcnt lgkmcnt(0)
	ds_write_b32 v27, v25 offset:12192
.LBB23_818:
	s_or_b64 exec, exec, s[12:13]
	s_waitcnt lgkmcnt(0)
	s_barrier
	s_and_saveexec_b64 s[12:13], vcc
	s_cbranch_execz .LBB23_820
; %bb.819:
	v_mov_b32_e32 v27, 0
	ds_read_b64 v[25:26], v27 offset:11440
	ds_read_b32 v27, v27 offset:11700
	s_movk_i32 s14, 0x2c00
	s_waitcnt lgkmcnt(0)
	v_mul_f32_e32 v25, v25, v27
	v_mul_f32_e32 v25, v26, v25
	v_add_u32_e64 v26, s14, 0
	ds_write2_b32 v26, v25, v25 offset0:45 offset1:108
.LBB23_820:
	s_or_b64 exec, exec, s[12:13]
	v_mov_b32_e32 v25, 0
	s_waitcnt lgkmcnt(0)
	s_barrier
	s_and_saveexec_b64 s[14:15], s[2:3]
	s_cbranch_execz .LBB23_824
; %bb.821:
	v_mul_u32_u24_e32 v25, 0x104, v5
	ds_read_b32 v27, v1 offset:11448
	ds_read_b32 v25, v25 offset:11440
	v_mov_b32_e32 v26, 0
	v_cmp_gt_u32_e64 s[12:13], 2, v4
	s_waitcnt lgkmcnt(0)
	v_fma_f32 v25, v27, v25, 0
	s_and_saveexec_b64 s[16:17], s[12:13]
	s_cbranch_execz .LBB23_823
; %bb.822:
	v_lshlrev_b32_e32 v27, 2, v0
	ds_read_b32 v27, v27 offset:11704
	ds_read_b32 v26, v26 offset:11444
	s_waitcnt lgkmcnt(0)
	v_fmac_f32_e32 v25, v27, v26
.LBB23_823:
	s_or_b64 exec, exec, s[16:17]
	v_xor_b32_e32 v25, 0x80000000, v25
.LBB23_824:
	s_or_b64 exec, exec, s[14:15]
	s_and_saveexec_b64 s[12:13], s[34:35]
	s_cbranch_execz .LBB23_826
; %bb.825:
	v_mov_b32_e32 v26, 0
	ds_read_b32 v26, v26 offset:11960
	s_waitcnt lgkmcnt(0)
	v_mul_f32_e32 v25, v25, v26
	ds_write_b32 v3, v25
.LBB23_826:
	s_or_b64 exec, exec, s[12:13]
	s_waitcnt lgkmcnt(0)
	s_barrier
	s_and_saveexec_b64 s[12:13], s[26:27]
	s_cbranch_execz .LBB23_828
; %bb.827:
	v_mov_b32_e32 v26, 0
	ds_read_b32 v26, v26 offset:11964
	ds_read_b32 v27, v3
	s_waitcnt lgkmcnt(0)
	v_fmac_f32_e32 v25, v26, v27
.LBB23_828:
	s_or_b64 exec, exec, s[12:13]
	s_barrier
	s_and_saveexec_b64 s[12:13], s[26:27]
	s_cbranch_execz .LBB23_830
; %bb.829:
	v_mov_b32_e32 v26, 0
	ds_read_b32 v26, v26 offset:12220
	s_waitcnt lgkmcnt(0)
	v_mul_f32_e32 v25, v25, v26
	ds_write_b32 v3, v25
.LBB23_830:
	s_or_b64 exec, exec, s[12:13]
	s_waitcnt lgkmcnt(0)
	s_barrier
	s_barrier
	s_and_saveexec_b64 s[12:13], s[2:3]
; %bb.831:
	v_xor_b32_e32 v25, 0x80000000, v25
	ds_write_b32 v1, v25 offset:11448
; %bb.832:
	s_or_b64 exec, exec, s[12:13]
	s_waitcnt lgkmcnt(0)
	s_barrier
	s_barrier
	s_and_saveexec_b64 s[12:13], s[36:37]
	s_cbranch_execz .LBB23_834
; %bb.833:
	v_lshlrev_b32_e32 v25, 2, v0
	s_movk_i32 s14, 0xfc
	v_mad_u32_u24 v26, v0, s14, v25
	ds_read_b32 v27, v26 offset:11448
	s_waitcnt lgkmcnt(0)
	ds_write_b32 v25, v27 offset:11952
	ds_read_b32 v26, v26 offset:11452
	s_waitcnt lgkmcnt(0)
	ds_write_b32 v25, v26 offset:12208
.LBB23_834:
	s_or_b64 exec, exec, s[12:13]
	s_waitcnt lgkmcnt(0)
	s_barrier
	s_and_saveexec_b64 s[12:13], vcc
	s_cbranch_execz .LBB23_836
; %bb.835:
	v_mov_b32_e32 v27, 0
	ds_read_b64 v[25:26], v27 offset:11960
	ds_read_b32 v27, v27 offset:12220
	s_movk_i32 s14, 0x2c00
	s_waitcnt lgkmcnt(0)
	v_mul_f32_e32 v25, v25, v27
	v_mul_f32_e32 v25, v26, v25
	v_add_u32_e64 v26, s14, 0
	ds_write2_b32 v26, v25, v25 offset0:175 offset1:238
.LBB23_836:
	s_or_b64 exec, exec, s[12:13]
	v_mov_b32_e32 v25, 0
	s_waitcnt lgkmcnt(0)
	s_barrier
	s_and_saveexec_b64 s[14:15], s[10:11]
	s_cbranch_execz .LBB23_864
; %bb.837:
	v_mul_u32_u24_e32 v26, 0x104, v24
	ds_read_b32 v25, v20 offset:8384
	ds_read_b32 v27, v26 offset:8320
	s_movk_i32 s12, 0xf0
	v_cmp_gt_u32_e64 s[12:13], s12, v4
	s_waitcnt lgkmcnt(0)
	v_fma_f32 v25, v25, v27, 0
	s_and_saveexec_b64 s[16:17], s[12:13]
	s_cbranch_execz .LBB23_839
; %bb.838:
	v_lshlrev_b32_e32 v27, 2, v24
	v_sub_u32_e32 v27, v26, v27
	v_lshl_add_u32 v27, v21, 2, v27
	ds_read_b32 v27, v27 offset:8640
	ds_read_b32 v28, v26 offset:8324
	s_waitcnt lgkmcnt(0)
	v_fmac_f32_e32 v25, v27, v28
.LBB23_839:
	s_or_b64 exec, exec, s[16:17]
	s_movk_i32 s12, 0xe0
	v_cmp_gt_u32_e64 s[12:13], s12, v4
	s_and_saveexec_b64 s[16:17], s[12:13]
	s_cbranch_execz .LBB23_841
; %bb.840:
	v_lshlrev_b32_e32 v27, 2, v24
	v_sub_u32_e32 v27, v26, v27
	v_lshl_add_u32 v27, v21, 2, v27
	ds_read_b32 v27, v27 offset:8896
	ds_read_b32 v28, v26 offset:8328
	s_waitcnt lgkmcnt(0)
	v_fmac_f32_e32 v25, v27, v28
.LBB23_841:
	s_or_b64 exec, exec, s[16:17]
	s_movk_i32 s12, 0xd0
	v_cmp_gt_u32_e64 s[12:13], s12, v4
	s_and_saveexec_b64 s[16:17], s[12:13]
	s_cbranch_execz .LBB23_843
; %bb.842:
	v_lshlrev_b32_e32 v27, 2, v24
	v_sub_u32_e32 v27, v26, v27
	v_lshl_add_u32 v27, v21, 2, v27
	ds_read_b32 v27, v27 offset:9152
	ds_read_b32 v28, v26 offset:8332
	s_waitcnt lgkmcnt(0)
	v_fmac_f32_e32 v25, v27, v28
.LBB23_843:
	s_or_b64 exec, exec, s[16:17]
	s_movk_i32 s12, 0xc0
	v_cmp_gt_u32_e64 s[12:13], s12, v4
	s_and_saveexec_b64 s[16:17], s[12:13]
	s_cbranch_execz .LBB23_845
; %bb.844:
	v_lshlrev_b32_e32 v27, 2, v24
	v_sub_u32_e32 v27, v26, v27
	v_lshl_add_u32 v27, v21, 2, v27
	ds_read_b32 v27, v27 offset:9408
	ds_read_b32 v28, v26 offset:8336
	s_waitcnt lgkmcnt(0)
	v_fmac_f32_e32 v25, v27, v28
.LBB23_845:
	s_or_b64 exec, exec, s[16:17]
	s_movk_i32 s12, 0xb0
	v_cmp_gt_u32_e64 s[12:13], s12, v4
	s_and_saveexec_b64 s[16:17], s[12:13]
	s_cbranch_execz .LBB23_847
; %bb.846:
	v_lshlrev_b32_e32 v27, 2, v24
	v_sub_u32_e32 v27, v26, v27
	v_lshl_add_u32 v27, v21, 2, v27
	ds_read_b32 v27, v27 offset:9664
	ds_read_b32 v28, v26 offset:8340
	s_waitcnt lgkmcnt(0)
	v_fmac_f32_e32 v25, v27, v28
.LBB23_847:
	s_or_b64 exec, exec, s[16:17]
	s_movk_i32 s12, 0xa0
	v_cmp_gt_u32_e64 s[12:13], s12, v4
	s_and_saveexec_b64 s[16:17], s[12:13]
	s_cbranch_execz .LBB23_849
; %bb.848:
	v_lshlrev_b32_e32 v27, 2, v24
	v_sub_u32_e32 v27, v26, v27
	v_lshl_add_u32 v27, v21, 2, v27
	ds_read_b32 v27, v27 offset:9920
	ds_read_b32 v28, v26 offset:8344
	s_waitcnt lgkmcnt(0)
	v_fmac_f32_e32 v25, v27, v28
.LBB23_849:
	s_or_b64 exec, exec, s[16:17]
	s_movk_i32 s12, 0x90
	v_cmp_gt_u32_e64 s[12:13], s12, v4
	s_and_saveexec_b64 s[16:17], s[12:13]
	s_cbranch_execz .LBB23_851
; %bb.850:
	v_lshlrev_b32_e32 v24, 2, v24
	v_sub_u32_e32 v24, v26, v24
	v_lshl_add_u32 v24, v21, 2, v24
	ds_read_b32 v24, v24 offset:10176
	ds_read_b32 v27, v26 offset:8348
	s_waitcnt lgkmcnt(0)
	v_fmac_f32_e32 v25, v24, v27
.LBB23_851:
	s_or_b64 exec, exec, s[16:17]
	s_movk_i32 s12, 0x80
	v_cmp_gt_u32_e64 s[12:13], s12, v4
	s_and_saveexec_b64 s[16:17], s[12:13]
	s_cbranch_execz .LBB23_853
; %bb.852:
	ds_read_b32 v24, v20 offset:10432
	ds_read_b32 v27, v26 offset:8352
	s_waitcnt lgkmcnt(0)
	v_fmac_f32_e32 v25, v24, v27
.LBB23_853:
	s_or_b64 exec, exec, s[16:17]
	s_movk_i32 s12, 0x70
	v_cmp_gt_u32_e64 s[12:13], s12, v4
	s_and_saveexec_b64 s[16:17], s[12:13]
	s_cbranch_execz .LBB23_855
; %bb.854:
	v_lshlrev_b32_e32 v24, 2, v21
	v_lshl_add_u32 v24, v23, 2, v24
	ds_read_b32 v24, v24 offset:10688
	ds_read_b32 v27, v26 offset:8356
	s_waitcnt lgkmcnt(0)
	v_fmac_f32_e32 v25, v24, v27
.LBB23_855:
	s_or_b64 exec, exec, s[16:17]
	s_movk_i32 s12, 0x60
	v_cmp_gt_u32_e64 s[12:13], s12, v4
	s_and_saveexec_b64 s[16:17], s[12:13]
	s_cbranch_execz .LBB23_857
; %bb.856:
	v_lshlrev_b32_e32 v24, 2, v21
	v_lshl_add_u32 v24, v23, 2, v24
	ds_read_b32 v24, v24 offset:10944
	ds_read_b32 v27, v26 offset:8360
	s_waitcnt lgkmcnt(0)
	v_fmac_f32_e32 v25, v24, v27
.LBB23_857:
	s_or_b64 exec, exec, s[16:17]
	s_movk_i32 s12, 0x50
	v_cmp_gt_u32_e64 s[12:13], s12, v4
	s_and_saveexec_b64 s[16:17], s[12:13]
	s_cbranch_execnz .LBB23_1241
; %bb.858:
	s_or_b64 exec, exec, s[16:17]
	v_cmp_gt_u32_e64 s[12:13], 64, v4
	s_and_saveexec_b64 s[16:17], s[12:13]
	s_cbranch_execnz .LBB23_1242
.LBB23_859:
	s_or_b64 exec, exec, s[16:17]
	v_cmp_gt_u32_e64 s[12:13], 48, v4
	s_and_saveexec_b64 s[16:17], s[12:13]
	s_cbranch_execnz .LBB23_1243
.LBB23_860:
	s_or_b64 exec, exec, s[16:17]
	v_cmp_gt_u32_e64 s[12:13], 32, v4
	s_and_saveexec_b64 s[16:17], s[12:13]
	s_cbranch_execnz .LBB23_1244
.LBB23_861:
	s_or_b64 exec, exec, s[16:17]
	v_cmp_gt_u32_e64 s[12:13], 16, v4
	s_and_saveexec_b64 s[16:17], s[12:13]
	s_cbranch_execz .LBB23_863
.LBB23_862:
	v_lshlrev_b32_e32 v23, 2, v0
	v_mov_b32_e32 v24, 0
	ds_read_b32 v23, v23 offset:12224
	ds_read_b32 v24, v24 offset:8380
	s_waitcnt lgkmcnt(0)
	v_fmac_f32_e32 v25, v23, v24
.LBB23_863:
	s_or_b64 exec, exec, s[16:17]
	v_xor_b32_e32 v25, 0x80000000, v25
.LBB23_864:
	s_or_b64 exec, exec, s[14:15]
	s_mov_b64 s[12:13], exec
	v_readlane_b32 s14, v33, 3
	v_readlane_b32 s15, v33, 4
	s_and_b64 s[14:15], s[12:13], s[14:15]
	s_mov_b64 exec, s[14:15]
	s_cbranch_execz .LBB23_866
; %bb.865:
	v_mov_b32_e32 v23, 0
	ds_read_b32 v23, v23 offset:12480
	s_waitcnt lgkmcnt(0)
	v_mul_f32_e32 v25, v25, v23
	ds_write_b32 v22, v25
.LBB23_866:
	s_or_b64 exec, exec, s[12:13]
	s_waitcnt lgkmcnt(0)
	s_barrier
	s_mov_b64 s[12:13], exec
	v_readlane_b32 s14, v33, 5
	v_readlane_b32 s15, v33, 6
	s_and_b64 s[14:15], s[12:13], s[14:15]
	s_mov_b64 exec, s[14:15]
	s_cbranch_execz .LBB23_868
; %bb.867:
	v_lshlrev_b32_e32 v23, 2, v21
	ds_read_b32 v23, v23 offset:12480
	ds_read_b32 v24, v22
	s_waitcnt lgkmcnt(0)
	v_fmac_f32_e32 v25, v23, v24
.LBB23_868:
	s_or_b64 exec, exec, s[12:13]
	s_barrier
	s_mov_b64 s[12:13], exec
	v_readlane_b32 s14, v33, 7
	v_readlane_b32 s15, v33, 8
	s_and_b64 s[14:15], s[12:13], s[14:15]
	s_mov_b64 exec, s[14:15]
	s_cbranch_execz .LBB23_870
; %bb.869:
	v_mov_b32_e32 v23, 0
	ds_read_b32 v23, v23 offset:12740
	s_waitcnt lgkmcnt(0)
	v_mul_f32_e32 v25, v25, v23
	ds_write_b32 v22, v25
.LBB23_870:
	s_or_b64 exec, exec, s[12:13]
	s_waitcnt lgkmcnt(0)
	s_barrier
	s_mov_b64 s[12:13], exec
	v_readlane_b32 s14, v33, 9
	v_readlane_b32 s15, v33, 10
	s_and_b64 s[14:15], s[12:13], s[14:15]
	s_mov_b64 exec, s[14:15]
	s_cbranch_execz .LBB23_872
; %bb.871:
	v_lshlrev_b32_e32 v23, 2, v21
	ds_read_b32 v23, v23 offset:12736
	ds_read_b32 v24, v22
	s_waitcnt lgkmcnt(0)
	v_fmac_f32_e32 v25, v23, v24
.LBB23_872:
	s_or_b64 exec, exec, s[12:13]
	s_barrier
	;; [unrolled: 31-line block ×13, first 2 shown]
	s_mov_b64 s[12:13], exec
	v_readlane_b32 s14, v33, 55
	v_readlane_b32 s15, v33, 56
	s_and_b64 s[14:15], s[12:13], s[14:15]
	s_mov_b64 exec, s[14:15]
	s_cbranch_execz .LBB23_918
; %bb.917:
	v_mov_b32_e32 v23, 0
	ds_read_b32 v23, v23 offset:15860
	s_waitcnt lgkmcnt(0)
	v_mul_f32_e32 v25, v25, v23
	ds_write_b32 v22, v25
.LBB23_918:
	s_or_b64 exec, exec, s[12:13]
	s_waitcnt lgkmcnt(0)
	s_barrier
	s_and_saveexec_b64 s[12:13], s[92:93]
	s_cbranch_execz .LBB23_920
; %bb.919:
	v_lshlrev_b32_e32 v21, 2, v21
	ds_read_b32 v21, v21 offset:15808
	ds_read_b32 v23, v22
	s_waitcnt lgkmcnt(0)
	v_fmac_f32_e32 v25, v21, v23
.LBB23_920:
	s_or_b64 exec, exec, s[12:13]
	s_barrier
	s_and_saveexec_b64 s[12:13], s[94:95]
	s_cbranch_execz .LBB23_922
; %bb.921:
	v_mov_b32_e32 v21, 0
	ds_read_b32 v21, v21 offset:16120
	s_waitcnt lgkmcnt(0)
	v_mul_f32_e32 v25, v25, v21
	ds_write_b32 v22, v25
.LBB23_922:
	s_or_b64 exec, exec, s[12:13]
	s_waitcnt lgkmcnt(0)
	s_barrier
	s_and_saveexec_b64 s[12:13], s[90:91]
	s_cbranch_execz .LBB23_924
; %bb.923:
	v_mov_b32_e32 v21, 0
	ds_read_b32 v21, v21 offset:16124
	ds_read_b32 v23, v22
	s_waitcnt lgkmcnt(0)
	v_fmac_f32_e32 v25, v21, v23
.LBB23_924:
	s_or_b64 exec, exec, s[12:13]
	s_barrier
	s_and_saveexec_b64 s[12:13], s[90:91]
	s_cbranch_execz .LBB23_926
; %bb.925:
	v_mov_b32_e32 v21, 0
	ds_read_b32 v21, v21 offset:16380
	s_waitcnt lgkmcnt(0)
	v_mul_f32_e32 v25, v25, v21
	ds_write_b32 v22, v25
.LBB23_926:
	s_or_b64 exec, exec, s[12:13]
	s_waitcnt lgkmcnt(0)
	s_barrier
	s_barrier
	s_and_saveexec_b64 s[12:13], s[10:11]
; %bb.927:
	v_xor_b32_e32 v21, 0x80000000, v25
	ds_write_b32 v20, v21 offset:8384
; %bb.928:
	s_or_b64 exec, exec, s[12:13]
	s_waitcnt lgkmcnt(0)
	s_barrier
	s_barrier
	s_and_saveexec_b64 s[10:11], s[0:1]
	s_cbranch_execz .LBB23_930
; %bb.929:
	v_lshlrev_b32_e32 v20, 8, v0
	ds_read_b32 v21, v20 offset:8384
	s_movk_i32 s0, 0xff04
	v_mad_i32_i24 v22, v0, s0, v20
	s_waitcnt lgkmcnt(0)
	ds_write_b32 v22, v21 offset:12416
	ds_read_b32 v21, v20 offset:8388
	s_waitcnt lgkmcnt(0)
	ds_write_b32 v22, v21 offset:12672
	ds_read_b32 v21, v20 offset:8392
	;; [unrolled: 3-line block ×15, first 2 shown]
	s_waitcnt lgkmcnt(0)
	ds_write_b32 v22, v20 offset:16256
.LBB23_930:
	s_or_b64 exec, exec, s[10:11]
	s_waitcnt lgkmcnt(0)
	s_barrier
	s_and_saveexec_b64 s[0:1], vcc
	s_cbranch_execz .LBB23_932
; %bb.931:
	v_mov_b32_e32 v22, 0
	ds_read_b64 v[20:21], v22 offset:12480
	ds_read_b32 v22, v22 offset:12740
	s_movk_i32 s10, 0x3000
	s_waitcnt lgkmcnt(0)
	v_mul_f32_e32 v20, v20, v22
	v_mul_f32_e32 v20, v21, v20
	v_add_u32_e64 v21, s10, 0
	ds_write2_b32 v21, v20, v20 offset0:49 offset1:112
.LBB23_932:
	s_or_b64 exec, exec, s[0:1]
	v_mov_b32_e32 v20, 0
	s_waitcnt lgkmcnt(0)
	s_barrier
	s_and_saveexec_b64 s[0:1], s[2:3]
	s_cbranch_execz .LBB23_936
; %bb.933:
	v_mul_u32_u24_e32 v20, 0x104, v5
	ds_read_b32 v22, v1 offset:12488
	ds_read_b32 v20, v20 offset:12480
	v_mov_b32_e32 v21, 0
	v_cmp_gt_u32_e64 s[10:11], 2, v4
	s_waitcnt lgkmcnt(0)
	v_fma_f32 v20, v22, v20, 0
	s_and_saveexec_b64 s[12:13], s[10:11]
	s_cbranch_execz .LBB23_935
; %bb.934:
	v_lshlrev_b32_e32 v22, 2, v0
	ds_read_b32 v22, v22 offset:12744
	ds_read_b32 v21, v21 offset:12484
	s_waitcnt lgkmcnt(0)
	v_fmac_f32_e32 v20, v22, v21
.LBB23_935:
	s_or_b64 exec, exec, s[12:13]
	v_xor_b32_e32 v20, 0x80000000, v20
.LBB23_936:
	s_or_b64 exec, exec, s[0:1]
	s_and_saveexec_b64 s[0:1], s[34:35]
	s_cbranch_execz .LBB23_938
; %bb.937:
	v_mov_b32_e32 v21, 0
	ds_read_b32 v21, v21 offset:13000
	s_waitcnt lgkmcnt(0)
	v_mul_f32_e32 v20, v20, v21
	ds_write_b32 v3, v20
.LBB23_938:
	s_or_b64 exec, exec, s[0:1]
	s_waitcnt lgkmcnt(0)
	s_barrier
	s_and_saveexec_b64 s[0:1], s[26:27]
	s_cbranch_execz .LBB23_940
; %bb.939:
	v_mov_b32_e32 v21, 0
	ds_read_b32 v21, v21 offset:13004
	ds_read_b32 v22, v3
	s_waitcnt lgkmcnt(0)
	v_fmac_f32_e32 v20, v21, v22
.LBB23_940:
	s_or_b64 exec, exec, s[0:1]
	s_barrier
	s_and_saveexec_b64 s[0:1], s[26:27]
	s_cbranch_execz .LBB23_942
; %bb.941:
	v_mov_b32_e32 v21, 0
	ds_read_b32 v21, v21 offset:13260
	s_waitcnt lgkmcnt(0)
	v_mul_f32_e32 v20, v20, v21
	ds_write_b32 v3, v20
.LBB23_942:
	s_or_b64 exec, exec, s[0:1]
	s_waitcnt lgkmcnt(0)
	s_barrier
	s_barrier
	s_and_saveexec_b64 s[0:1], s[2:3]
; %bb.943:
	v_xor_b32_e32 v20, 0x80000000, v20
	ds_write_b32 v1, v20 offset:12488
; %bb.944:
	s_or_b64 exec, exec, s[0:1]
	s_waitcnt lgkmcnt(0)
	s_barrier
	s_barrier
	s_and_saveexec_b64 s[0:1], s[36:37]
	s_cbranch_execz .LBB23_946
; %bb.945:
	v_lshlrev_b32_e32 v20, 2, v0
	s_movk_i32 s10, 0xfc
	v_mad_u32_u24 v21, v0, s10, v20
	ds_read_b32 v22, v21 offset:12488
	s_waitcnt lgkmcnt(0)
	ds_write_b32 v20, v22 offset:12992
	ds_read_b32 v21, v21 offset:12492
	s_waitcnt lgkmcnt(0)
	ds_write_b32 v20, v21 offset:13248
.LBB23_946:
	s_or_b64 exec, exec, s[0:1]
	s_waitcnt lgkmcnt(0)
	s_barrier
	s_and_saveexec_b64 s[0:1], vcc
	s_cbranch_execz .LBB23_948
; %bb.947:
	v_mov_b32_e32 v22, 0
	ds_read_b64 v[20:21], v22 offset:13000
	ds_read_b32 v22, v22 offset:13260
	s_movk_i32 s10, 0x3000
	s_waitcnt lgkmcnt(0)
	v_mul_f32_e32 v20, v20, v22
	v_mul_f32_e32 v20, v21, v20
	v_add_u32_e64 v21, s10, 0
	ds_write2_b32 v21, v20, v20 offset0:179 offset1:242
.LBB23_948:
	s_or_b64 exec, exec, s[0:1]
	v_mov_b32_e32 v20, 0
	s_waitcnt lgkmcnt(0)
	s_barrier
	s_and_saveexec_b64 s[0:1], s[18:19]
	s_cbranch_execz .LBB23_954
; %bb.949:
	v_mul_u32_u24_e32 v21, 0x104, v14
	ds_read_b32 v20, v6 offset:12496
	ds_read_b32 v22, v21 offset:12480
	v_cmp_gt_u32_e64 s[10:11], 12, v4
	s_waitcnt lgkmcnt(0)
	v_fma_f32 v20, v20, v22, 0
	s_and_saveexec_b64 s[12:13], s[10:11]
	s_cbranch_execnz .LBB23_1245
; %bb.950:
	s_or_b64 exec, exec, s[12:13]
	v_cmp_gt_u32_e64 s[10:11], 8, v4
	s_and_saveexec_b64 s[12:13], s[10:11]
	s_cbranch_execnz .LBB23_1246
.LBB23_951:
	s_or_b64 exec, exec, s[12:13]
	v_cmp_gt_u32_e64 s[10:11], 4, v4
	s_and_saveexec_b64 s[12:13], s[10:11]
	s_cbranch_execz .LBB23_953
.LBB23_952:
	v_lshlrev_b32_e32 v21, 2, v0
	v_mov_b32_e32 v22, 0
	ds_read_b32 v21, v21 offset:13264
	ds_read_b32 v22, v22 offset:12492
	s_waitcnt lgkmcnt(0)
	v_fmac_f32_e32 v20, v21, v22
.LBB23_953:
	s_or_b64 exec, exec, s[12:13]
	v_xor_b32_e32 v20, 0x80000000, v20
.LBB23_954:
	s_or_b64 exec, exec, s[0:1]
	s_and_saveexec_b64 s[0:1], s[40:41]
	s_cbranch_execz .LBB23_956
; %bb.955:
	v_mov_b32_e32 v21, 0
	ds_read_b32 v21, v21 offset:13520
	s_waitcnt lgkmcnt(0)
	v_mul_f32_e32 v20, v20, v21
	ds_write_b32 v12, v20
.LBB23_956:
	s_or_b64 exec, exec, s[0:1]
	s_waitcnt lgkmcnt(0)
	s_barrier
	s_and_saveexec_b64 s[0:1], s[42:43]
	s_cbranch_execz .LBB23_958
; %bb.957:
	ds_read_b32 v21, v11 offset:13520
	ds_read_b32 v22, v12
	s_waitcnt lgkmcnt(0)
	v_fmac_f32_e32 v20, v21, v22
.LBB23_958:
	s_or_b64 exec, exec, s[0:1]
	s_barrier
	s_and_saveexec_b64 s[0:1], s[44:45]
	s_cbranch_execz .LBB23_960
; %bb.959:
	v_mov_b32_e32 v21, 0
	ds_read_b32 v21, v21 offset:13780
	s_waitcnt lgkmcnt(0)
	v_mul_f32_e32 v20, v20, v21
	ds_write_b32 v12, v20
.LBB23_960:
	s_or_b64 exec, exec, s[0:1]
	s_waitcnt lgkmcnt(0)
	s_barrier
	s_and_saveexec_b64 s[0:1], s[46:47]
	s_cbranch_execz .LBB23_962
; %bb.961:
	ds_read_b32 v21, v11 offset:13776
	ds_read_b32 v22, v12
	s_waitcnt lgkmcnt(0)
	v_fmac_f32_e32 v20, v21, v22
.LBB23_962:
	s_or_b64 exec, exec, s[0:1]
	s_barrier
	s_and_saveexec_b64 s[0:1], s[48:49]
	s_cbranch_execz .LBB23_964
; %bb.963:
	v_mov_b32_e32 v21, 0
	ds_read_b32 v21, v21 offset:14040
	s_waitcnt lgkmcnt(0)
	v_mul_f32_e32 v20, v20, v21
	ds_write_b32 v12, v20
.LBB23_964:
	s_or_b64 exec, exec, s[0:1]
	s_waitcnt lgkmcnt(0)
	s_barrier
	s_and_saveexec_b64 s[0:1], s[38:39]
	s_cbranch_execz .LBB23_966
; %bb.965:
	v_mov_b32_e32 v21, 0
	ds_read_b32 v21, v21 offset:14044
	ds_read_b32 v22, v12
	s_waitcnt lgkmcnt(0)
	v_fmac_f32_e32 v20, v21, v22
.LBB23_966:
	s_or_b64 exec, exec, s[0:1]
	s_barrier
	s_and_saveexec_b64 s[0:1], s[38:39]
	s_cbranch_execz .LBB23_968
; %bb.967:
	v_mov_b32_e32 v21, 0
	ds_read_b32 v21, v21 offset:14300
	s_waitcnt lgkmcnt(0)
	v_mul_f32_e32 v20, v20, v21
	ds_write_b32 v12, v20
.LBB23_968:
	s_or_b64 exec, exec, s[0:1]
	s_waitcnt lgkmcnt(0)
	s_barrier
	s_barrier
	s_and_saveexec_b64 s[0:1], s[18:19]
; %bb.969:
	v_xor_b32_e32 v20, 0x80000000, v20
	ds_write_b32 v6, v20 offset:12496
; %bb.970:
	s_or_b64 exec, exec, s[0:1]
	s_waitcnt lgkmcnt(0)
	s_barrier
	s_barrier
	s_and_saveexec_b64 s[0:1], s[50:51]
	s_cbranch_execz .LBB23_972
; %bb.971:
	v_lshlrev_b32_e32 v20, 8, v0
	ds_read_b32 v21, v20 offset:12496
	s_movk_i32 s10, 0xff04
	v_mad_i32_i24 v22, v0, s10, v20
	s_waitcnt lgkmcnt(0)
	ds_write_b32 v22, v21 offset:13504
	ds_read_b32 v21, v20 offset:12500
	s_waitcnt lgkmcnt(0)
	ds_write_b32 v22, v21 offset:13760
	ds_read_b32 v21, v20 offset:12504
	;; [unrolled: 3-line block ×3, first 2 shown]
	s_waitcnt lgkmcnt(0)
	ds_write_b32 v22, v20 offset:14272
.LBB23_972:
	s_or_b64 exec, exec, s[0:1]
	s_waitcnt lgkmcnt(0)
	s_barrier
	s_and_saveexec_b64 s[0:1], vcc
	s_cbranch_execz .LBB23_974
; %bb.973:
	v_mov_b32_e32 v22, 0
	ds_read_b64 v[20:21], v22 offset:13520
	ds_read_b32 v22, v22 offset:13780
	s_movk_i32 s10, 0x3400
	s_waitcnt lgkmcnt(0)
	v_mul_f32_e32 v20, v20, v22
	v_mul_f32_e32 v20, v21, v20
	v_add_u32_e64 v21, s10, 0
	ds_write2_b32 v21, v20, v20 offset0:53 offset1:116
.LBB23_974:
	s_or_b64 exec, exec, s[0:1]
	v_mov_b32_e32 v20, 0
	s_waitcnt lgkmcnt(0)
	s_barrier
	s_and_saveexec_b64 s[0:1], s[2:3]
	s_cbranch_execz .LBB23_978
; %bb.975:
	v_mul_u32_u24_e32 v20, 0x104, v5
	ds_read_b32 v22, v1 offset:13528
	ds_read_b32 v20, v20 offset:13520
	v_mov_b32_e32 v21, 0
	v_cmp_gt_u32_e64 s[10:11], 2, v4
	s_waitcnt lgkmcnt(0)
	v_fma_f32 v20, v22, v20, 0
	s_and_saveexec_b64 s[12:13], s[10:11]
	s_cbranch_execz .LBB23_977
; %bb.976:
	v_lshlrev_b32_e32 v22, 2, v0
	ds_read_b32 v22, v22 offset:13784
	ds_read_b32 v21, v21 offset:13524
	s_waitcnt lgkmcnt(0)
	v_fmac_f32_e32 v20, v22, v21
.LBB23_977:
	s_or_b64 exec, exec, s[12:13]
	v_xor_b32_e32 v20, 0x80000000, v20
.LBB23_978:
	s_or_b64 exec, exec, s[0:1]
	s_and_saveexec_b64 s[0:1], s[34:35]
	s_cbranch_execz .LBB23_980
; %bb.979:
	v_mov_b32_e32 v21, 0
	ds_read_b32 v21, v21 offset:14040
	s_waitcnt lgkmcnt(0)
	v_mul_f32_e32 v20, v20, v21
	ds_write_b32 v3, v20
.LBB23_980:
	s_or_b64 exec, exec, s[0:1]
	s_waitcnt lgkmcnt(0)
	s_barrier
	s_and_saveexec_b64 s[0:1], s[26:27]
	s_cbranch_execz .LBB23_982
; %bb.981:
	v_mov_b32_e32 v21, 0
	ds_read_b32 v21, v21 offset:14044
	ds_read_b32 v22, v3
	s_waitcnt lgkmcnt(0)
	v_fmac_f32_e32 v20, v21, v22
.LBB23_982:
	s_or_b64 exec, exec, s[0:1]
	s_barrier
	s_and_saveexec_b64 s[0:1], s[26:27]
	s_cbranch_execz .LBB23_984
; %bb.983:
	v_mov_b32_e32 v21, 0
	ds_read_b32 v21, v21 offset:14300
	s_waitcnt lgkmcnt(0)
	v_mul_f32_e32 v20, v20, v21
	ds_write_b32 v3, v20
.LBB23_984:
	s_or_b64 exec, exec, s[0:1]
	s_waitcnt lgkmcnt(0)
	s_barrier
	s_barrier
	s_and_saveexec_b64 s[0:1], s[2:3]
; %bb.985:
	v_xor_b32_e32 v20, 0x80000000, v20
	ds_write_b32 v1, v20 offset:13528
; %bb.986:
	s_or_b64 exec, exec, s[0:1]
	s_waitcnt lgkmcnt(0)
	s_barrier
	s_barrier
	s_and_saveexec_b64 s[0:1], s[36:37]
	s_cbranch_execz .LBB23_988
; %bb.987:
	v_lshlrev_b32_e32 v20, 2, v0
	s_movk_i32 s10, 0xfc
	v_mad_u32_u24 v21, v0, s10, v20
	ds_read_b32 v22, v21 offset:13528
	s_waitcnt lgkmcnt(0)
	ds_write_b32 v20, v22 offset:14032
	ds_read_b32 v21, v21 offset:13532
	s_waitcnt lgkmcnt(0)
	ds_write_b32 v20, v21 offset:14288
.LBB23_988:
	s_or_b64 exec, exec, s[0:1]
	s_waitcnt lgkmcnt(0)
	s_barrier
	s_and_saveexec_b64 s[0:1], vcc
	s_cbranch_execz .LBB23_990
; %bb.989:
	v_mov_b32_e32 v22, 0
	ds_read_b64 v[20:21], v22 offset:14040
	ds_read_b32 v22, v22 offset:14300
	s_movk_i32 s10, 0x3400
	s_waitcnt lgkmcnt(0)
	v_mul_f32_e32 v20, v20, v22
	v_mul_f32_e32 v20, v21, v20
	v_add_u32_e64 v21, s10, 0
	ds_write2_b32 v21, v20, v20 offset0:183 offset1:246
.LBB23_990:
	s_or_b64 exec, exec, s[0:1]
	v_mov_b32_e32 v20, 0
	s_waitcnt lgkmcnt(0)
	s_barrier
	s_and_saveexec_b64 s[0:1], s[8:9]
	s_cbranch_execz .LBB23_1000
; %bb.991:
	v_mul_u32_u24_e32 v21, 0x104, v19
	ds_read_b32 v20, v15 offset:12512
	ds_read_b32 v22, v21 offset:12480
	v_cmp_gt_u32_e64 s[10:11], 56, v4
	s_waitcnt lgkmcnt(0)
	v_fma_f32 v20, v20, v22, 0
	s_and_saveexec_b64 s[12:13], s[10:11]
	s_cbranch_execnz .LBB23_1247
; %bb.992:
	s_or_b64 exec, exec, s[12:13]
	v_cmp_gt_u32_e64 s[10:11], 48, v4
	s_and_saveexec_b64 s[12:13], s[10:11]
	s_cbranch_execnz .LBB23_1248
.LBB23_993:
	s_or_b64 exec, exec, s[12:13]
	v_cmp_gt_u32_e64 s[10:11], 40, v4
	s_and_saveexec_b64 s[12:13], s[10:11]
	s_cbranch_execnz .LBB23_1249
.LBB23_994:
	s_or_b64 exec, exec, s[12:13]
	v_cmp_gt_u32_e64 s[10:11], 32, v4
	s_and_saveexec_b64 s[12:13], s[10:11]
	s_cbranch_execnz .LBB23_1250
.LBB23_995:
	s_or_b64 exec, exec, s[12:13]
	v_cmp_gt_u32_e64 s[10:11], 24, v4
	s_and_saveexec_b64 s[12:13], s[10:11]
	s_cbranch_execnz .LBB23_1251
.LBB23_996:
	s_or_b64 exec, exec, s[12:13]
	v_cmp_gt_u32_e64 s[10:11], 16, v4
	s_and_saveexec_b64 s[12:13], s[10:11]
	s_cbranch_execnz .LBB23_1252
.LBB23_997:
	s_or_b64 exec, exec, s[12:13]
	v_cmp_gt_u32_e64 s[10:11], 8, v4
	s_and_saveexec_b64 s[12:13], s[10:11]
	s_cbranch_execz .LBB23_999
.LBB23_998:
	v_lshlrev_b32_e32 v18, 2, v0
	v_mov_b32_e32 v19, 0
	ds_read_b32 v18, v18 offset:14304
	ds_read_b32 v19, v19 offset:12508
	s_waitcnt lgkmcnt(0)
	v_fmac_f32_e32 v20, v18, v19
.LBB23_999:
	s_or_b64 exec, exec, s[12:13]
	v_xor_b32_e32 v20, 0x80000000, v20
.LBB23_1000:
	s_or_b64 exec, exec, s[0:1]
	s_and_saveexec_b64 s[0:1], s[52:53]
	s_cbranch_execz .LBB23_1002
; %bb.1001:
	v_mov_b32_e32 v18, 0
	ds_read_b32 v18, v18 offset:14560
	s_waitcnt lgkmcnt(0)
	v_mul_f32_e32 v20, v20, v18
	ds_write_b32 v17, v20
.LBB23_1002:
	s_or_b64 exec, exec, s[0:1]
	s_waitcnt lgkmcnt(0)
	s_barrier
	s_and_saveexec_b64 s[0:1], s[54:55]
	v_readlane_b32 s52, v33, 1
	v_readlane_b32 s53, v33, 2
	s_cbranch_execz .LBB23_1004
; %bb.1003:
	ds_read_b32 v18, v16 offset:14560
	ds_read_b32 v19, v17
	s_waitcnt lgkmcnt(0)
	v_fmac_f32_e32 v20, v18, v19
.LBB23_1004:
	s_or_b64 exec, exec, s[0:1]
	s_barrier
	s_and_saveexec_b64 s[0:1], s[56:57]
	s_cbranch_execz .LBB23_1006
; %bb.1005:
	v_mov_b32_e32 v18, 0
	ds_read_b32 v18, v18 offset:14820
	s_waitcnt lgkmcnt(0)
	v_mul_f32_e32 v20, v20, v18
	ds_write_b32 v17, v20
.LBB23_1006:
	s_or_b64 exec, exec, s[0:1]
	s_waitcnt lgkmcnt(0)
	s_barrier
	s_and_saveexec_b64 s[0:1], s[58:59]
	s_cbranch_execz .LBB23_1008
; %bb.1007:
	ds_read_b32 v18, v16 offset:14816
	ds_read_b32 v19, v17
	s_waitcnt lgkmcnt(0)
	v_fmac_f32_e32 v20, v18, v19
.LBB23_1008:
	s_or_b64 exec, exec, s[0:1]
	s_barrier
	s_and_saveexec_b64 s[0:1], s[62:63]
	s_cbranch_execz .LBB23_1010
; %bb.1009:
	v_mov_b32_e32 v18, 0
	ds_read_b32 v18, v18 offset:15080
	s_waitcnt lgkmcnt(0)
	v_mul_f32_e32 v20, v20, v18
	ds_write_b32 v17, v20
.LBB23_1010:
	s_or_b64 exec, exec, s[0:1]
	s_waitcnt lgkmcnt(0)
	s_barrier
	s_and_saveexec_b64 s[0:1], s[64:65]
	;; [unrolled: 22-line block ×6, first 2 shown]
	s_cbranch_execz .LBB23_1028
; %bb.1027:
	v_mov_b32_e32 v16, 0
	ds_read_b32 v16, v16 offset:16124
	ds_read_b32 v18, v17
	s_waitcnt lgkmcnt(0)
	v_fmac_f32_e32 v20, v16, v18
.LBB23_1028:
	s_or_b64 exec, exec, s[0:1]
	s_barrier
	s_and_saveexec_b64 s[0:1], s[60:61]
	s_cbranch_execz .LBB23_1030
; %bb.1029:
	v_mov_b32_e32 v16, 0
	ds_read_b32 v16, v16 offset:16380
	s_waitcnt lgkmcnt(0)
	v_mul_f32_e32 v20, v20, v16
	ds_write_b32 v17, v20
.LBB23_1030:
	s_or_b64 exec, exec, s[0:1]
	s_waitcnt lgkmcnt(0)
	s_barrier
	s_barrier
	s_and_saveexec_b64 s[0:1], s[8:9]
; %bb.1031:
	v_xor_b32_e32 v16, 0x80000000, v20
	ds_write_b32 v15, v16 offset:12512
; %bb.1032:
	s_or_b64 exec, exec, s[0:1]
	s_waitcnt lgkmcnt(0)
	s_barrier
	s_barrier
	s_and_saveexec_b64 s[0:1], s[80:81]
	s_cbranch_execz .LBB23_1034
; %bb.1033:
	v_lshlrev_b32_e32 v15, 8, v0
	ds_read_b32 v16, v15 offset:12512
	s_movk_i32 s8, 0xff04
	v_mad_i32_i24 v17, v0, s8, v15
	s_waitcnt lgkmcnt(0)
	ds_write_b32 v17, v16 offset:14528
	ds_read_b32 v16, v15 offset:12516
	s_waitcnt lgkmcnt(0)
	ds_write_b32 v17, v16 offset:14784
	ds_read_b32 v16, v15 offset:12520
	;; [unrolled: 3-line block ×7, first 2 shown]
	s_waitcnt lgkmcnt(0)
	ds_write_b32 v17, v15 offset:16320
.LBB23_1034:
	s_or_b64 exec, exec, s[0:1]
	s_waitcnt lgkmcnt(0)
	s_barrier
	s_and_saveexec_b64 s[0:1], vcc
	s_cbranch_execz .LBB23_1036
; %bb.1035:
	v_mov_b32_e32 v17, 0
	ds_read_b64 v[15:16], v17 offset:14560
	ds_read_b32 v17, v17 offset:14820
	s_movk_i32 s8, 0x3800
	s_waitcnt lgkmcnt(0)
	v_mul_f32_e32 v15, v15, v17
	v_mul_f32_e32 v15, v16, v15
	v_add_u32_e64 v16, s8, 0
	ds_write2_b32 v16, v15, v15 offset0:57 offset1:120
.LBB23_1036:
	s_or_b64 exec, exec, s[0:1]
	v_mov_b32_e32 v15, 0
	s_waitcnt lgkmcnt(0)
	s_barrier
	s_and_saveexec_b64 s[0:1], s[2:3]
	s_cbranch_execz .LBB23_1040
; %bb.1037:
	v_mul_u32_u24_e32 v15, 0x104, v5
	ds_read_b32 v17, v1 offset:14568
	ds_read_b32 v15, v15 offset:14560
	v_mov_b32_e32 v16, 0
	v_cmp_gt_u32_e64 s[8:9], 2, v4
	s_waitcnt lgkmcnt(0)
	v_fma_f32 v15, v17, v15, 0
	s_and_saveexec_b64 s[10:11], s[8:9]
	s_cbranch_execz .LBB23_1039
; %bb.1038:
	v_lshlrev_b32_e32 v17, 2, v0
	ds_read_b32 v17, v17 offset:14824
	ds_read_b32 v16, v16 offset:14564
	s_waitcnt lgkmcnt(0)
	v_fmac_f32_e32 v15, v17, v16
.LBB23_1039:
	s_or_b64 exec, exec, s[10:11]
	v_xor_b32_e32 v15, 0x80000000, v15
.LBB23_1040:
	s_or_b64 exec, exec, s[0:1]
	s_and_saveexec_b64 s[0:1], s[34:35]
	s_cbranch_execz .LBB23_1042
; %bb.1041:
	v_mov_b32_e32 v16, 0
	ds_read_b32 v16, v16 offset:15080
	s_waitcnt lgkmcnt(0)
	v_mul_f32_e32 v15, v15, v16
	ds_write_b32 v3, v15
.LBB23_1042:
	s_or_b64 exec, exec, s[0:1]
	s_waitcnt lgkmcnt(0)
	s_barrier
	s_and_saveexec_b64 s[0:1], s[26:27]
	s_cbranch_execz .LBB23_1044
; %bb.1043:
	v_mov_b32_e32 v16, 0
	ds_read_b32 v16, v16 offset:15084
	ds_read_b32 v17, v3
	s_waitcnt lgkmcnt(0)
	v_fmac_f32_e32 v15, v16, v17
.LBB23_1044:
	s_or_b64 exec, exec, s[0:1]
	s_barrier
	s_and_saveexec_b64 s[0:1], s[26:27]
	s_cbranch_execz .LBB23_1046
; %bb.1045:
	v_mov_b32_e32 v16, 0
	ds_read_b32 v16, v16 offset:15340
	s_waitcnt lgkmcnt(0)
	v_mul_f32_e32 v15, v15, v16
	ds_write_b32 v3, v15
.LBB23_1046:
	s_or_b64 exec, exec, s[0:1]
	s_waitcnt lgkmcnt(0)
	s_barrier
	s_barrier
	s_and_saveexec_b64 s[0:1], s[2:3]
; %bb.1047:
	v_xor_b32_e32 v15, 0x80000000, v15
	ds_write_b32 v1, v15 offset:14568
; %bb.1048:
	s_or_b64 exec, exec, s[0:1]
	s_waitcnt lgkmcnt(0)
	s_barrier
	s_barrier
	s_and_saveexec_b64 s[0:1], s[36:37]
	s_cbranch_execz .LBB23_1050
; %bb.1049:
	v_lshlrev_b32_e32 v15, 2, v0
	s_movk_i32 s8, 0xfc
	v_mad_u32_u24 v16, v0, s8, v15
	ds_read_b32 v17, v16 offset:14568
	s_waitcnt lgkmcnt(0)
	ds_write_b32 v15, v17 offset:15072
	ds_read_b32 v16, v16 offset:14572
	s_waitcnt lgkmcnt(0)
	ds_write_b32 v15, v16 offset:15328
.LBB23_1050:
	s_or_b64 exec, exec, s[0:1]
	s_waitcnt lgkmcnt(0)
	s_barrier
	s_and_saveexec_b64 s[0:1], vcc
	s_cbranch_execz .LBB23_1052
; %bb.1051:
	v_mov_b32_e32 v17, 0
	ds_read_b64 v[15:16], v17 offset:15080
	ds_read_b32 v17, v17 offset:15340
	s_movk_i32 s8, 0x3800
	s_waitcnt lgkmcnt(0)
	v_mul_f32_e32 v15, v15, v17
	v_mul_f32_e32 v15, v16, v15
	v_add_u32_e64 v16, s8, 0
	ds_write2_b32 v16, v15, v15 offset0:187 offset1:250
.LBB23_1052:
	s_or_b64 exec, exec, s[0:1]
	v_mov_b32_e32 v15, 0
	s_waitcnt lgkmcnt(0)
	s_barrier
	s_and_saveexec_b64 s[0:1], s[18:19]
	s_cbranch_execz .LBB23_1058
; %bb.1053:
	v_mul_u32_u24_e32 v16, 0x104, v14
	ds_read_b32 v15, v6 offset:14576
	ds_read_b32 v17, v16 offset:14560
	v_cmp_gt_u32_e64 s[8:9], 12, v4
	s_waitcnt lgkmcnt(0)
	v_fma_f32 v15, v15, v17, 0
	s_and_saveexec_b64 s[10:11], s[8:9]
	s_cbranch_execnz .LBB23_1253
; %bb.1054:
	s_or_b64 exec, exec, s[10:11]
	v_cmp_gt_u32_e64 s[8:9], 8, v4
	s_and_saveexec_b64 s[10:11], s[8:9]
	s_cbranch_execnz .LBB23_1254
.LBB23_1055:
	s_or_b64 exec, exec, s[10:11]
	v_cmp_gt_u32_e64 s[8:9], 4, v4
	s_and_saveexec_b64 s[10:11], s[8:9]
	s_cbranch_execz .LBB23_1057
.LBB23_1056:
	v_lshlrev_b32_e32 v13, 2, v0
	v_mov_b32_e32 v14, 0
	ds_read_b32 v13, v13 offset:15344
	ds_read_b32 v14, v14 offset:14572
	s_waitcnt lgkmcnt(0)
	v_fmac_f32_e32 v15, v13, v14
.LBB23_1057:
	s_or_b64 exec, exec, s[10:11]
	v_xor_b32_e32 v15, 0x80000000, v15
.LBB23_1058:
	s_or_b64 exec, exec, s[0:1]
	s_and_saveexec_b64 s[0:1], s[40:41]
	s_cbranch_execz .LBB23_1060
; %bb.1059:
	v_mov_b32_e32 v13, 0
	ds_read_b32 v13, v13 offset:15600
	s_waitcnt lgkmcnt(0)
	v_mul_f32_e32 v15, v15, v13
	ds_write_b32 v12, v15
.LBB23_1060:
	s_or_b64 exec, exec, s[0:1]
	s_waitcnt lgkmcnt(0)
	s_barrier
	s_and_saveexec_b64 s[0:1], s[42:43]
	v_readlane_b32 s40, v33, 0
	s_cbranch_execz .LBB23_1062
; %bb.1061:
	ds_read_b32 v13, v11 offset:15600
	ds_read_b32 v14, v12
	s_waitcnt lgkmcnt(0)
	v_fmac_f32_e32 v15, v13, v14
.LBB23_1062:
	s_or_b64 exec, exec, s[0:1]
	s_barrier
	s_and_saveexec_b64 s[0:1], s[44:45]
	s_cbranch_execz .LBB23_1064
; %bb.1063:
	v_mov_b32_e32 v13, 0
	ds_read_b32 v13, v13 offset:15860
	s_waitcnt lgkmcnt(0)
	v_mul_f32_e32 v15, v15, v13
	ds_write_b32 v12, v15
.LBB23_1064:
	s_or_b64 exec, exec, s[0:1]
	s_waitcnt lgkmcnt(0)
	s_barrier
	s_and_saveexec_b64 s[0:1], s[46:47]
	s_cbranch_execz .LBB23_1066
; %bb.1065:
	ds_read_b32 v11, v11 offset:15856
	ds_read_b32 v13, v12
	s_waitcnt lgkmcnt(0)
	v_fmac_f32_e32 v15, v11, v13
.LBB23_1066:
	s_or_b64 exec, exec, s[0:1]
	s_barrier
	s_and_saveexec_b64 s[0:1], s[48:49]
	s_cbranch_execz .LBB23_1068
; %bb.1067:
	v_mov_b32_e32 v11, 0
	ds_read_b32 v11, v11 offset:16120
	s_waitcnt lgkmcnt(0)
	v_mul_f32_e32 v15, v15, v11
	ds_write_b32 v12, v15
.LBB23_1068:
	s_or_b64 exec, exec, s[0:1]
	s_waitcnt lgkmcnt(0)
	s_barrier
	s_and_saveexec_b64 s[0:1], s[38:39]
	s_cbranch_execz .LBB23_1070
; %bb.1069:
	v_mov_b32_e32 v11, 0
	ds_read_b32 v11, v11 offset:16124
	ds_read_b32 v13, v12
	s_waitcnt lgkmcnt(0)
	v_fmac_f32_e32 v15, v11, v13
.LBB23_1070:
	s_or_b64 exec, exec, s[0:1]
	s_barrier
	s_and_saveexec_b64 s[0:1], s[38:39]
	s_cbranch_execz .LBB23_1072
; %bb.1071:
	v_mov_b32_e32 v11, 0
	ds_read_b32 v11, v11 offset:16380
	s_waitcnt lgkmcnt(0)
	v_mul_f32_e32 v15, v15, v11
	ds_write_b32 v12, v15
.LBB23_1072:
	s_or_b64 exec, exec, s[0:1]
	s_waitcnt lgkmcnt(0)
	s_barrier
	s_barrier
	s_and_saveexec_b64 s[0:1], s[18:19]
; %bb.1073:
	v_xor_b32_e32 v11, 0x80000000, v15
	ds_write_b32 v6, v11 offset:14576
; %bb.1074:
	s_or_b64 exec, exec, s[0:1]
	s_waitcnt lgkmcnt(0)
	s_barrier
	s_barrier
	s_and_saveexec_b64 s[0:1], s[50:51]
	s_cbranch_execz .LBB23_1076
; %bb.1075:
	v_lshlrev_b32_e32 v6, 8, v0
	ds_read_b32 v11, v6 offset:14576
	s_movk_i32 s8, 0xff04
	v_mad_i32_i24 v12, v0, s8, v6
	s_waitcnt lgkmcnt(0)
	ds_write_b32 v12, v11 offset:15584
	ds_read_b32 v11, v6 offset:14580
	s_waitcnt lgkmcnt(0)
	ds_write_b32 v12, v11 offset:15840
	ds_read_b32 v11, v6 offset:14584
	;; [unrolled: 3-line block ×3, first 2 shown]
	s_waitcnt lgkmcnt(0)
	ds_write_b32 v12, v6 offset:16352
.LBB23_1076:
	s_or_b64 exec, exec, s[0:1]
	s_waitcnt lgkmcnt(0)
	s_barrier
	s_and_saveexec_b64 s[0:1], vcc
	s_cbranch_execz .LBB23_1078
; %bb.1077:
	v_mov_b32_e32 v6, 0
	ds_read_b64 v[11:12], v6 offset:15600
	ds_read_b32 v6, v6 offset:15860
	s_movk_i32 s8, 0x3c00
	s_waitcnt lgkmcnt(0)
	v_mul_f32_e32 v6, v11, v6
	v_mul_f32_e32 v6, v12, v6
	v_add_u32_e64 v11, s8, 0
	ds_write2_b32 v11, v6, v6 offset0:61 offset1:124
.LBB23_1078:
	s_or_b64 exec, exec, s[0:1]
	v_mov_b32_e32 v6, 0
	s_waitcnt lgkmcnt(0)
	s_barrier
	s_and_saveexec_b64 s[0:1], s[2:3]
	s_cbranch_execz .LBB23_1082
; %bb.1079:
	v_mul_u32_u24_e32 v5, 0x104, v5
	ds_read_b32 v11, v1 offset:15608
	ds_read_b32 v5, v5 offset:15600
	v_mov_b32_e32 v6, 0
	v_cmp_gt_u32_e64 s[8:9], 2, v4
	s_waitcnt lgkmcnt(0)
	v_fma_f32 v5, v11, v5, 0
	s_and_saveexec_b64 s[10:11], s[8:9]
	s_cbranch_execz .LBB23_1081
; %bb.1080:
	v_lshlrev_b32_e32 v4, 2, v0
	ds_read_b32 v4, v4 offset:15864
	ds_read_b32 v6, v6 offset:15604
	s_waitcnt lgkmcnt(0)
	v_fmac_f32_e32 v5, v4, v6
.LBB23_1081:
	s_or_b64 exec, exec, s[10:11]
	v_xor_b32_e32 v6, 0x80000000, v5
.LBB23_1082:
	s_or_b64 exec, exec, s[0:1]
	s_and_saveexec_b64 s[0:1], s[34:35]
	s_cbranch_execz .LBB23_1084
; %bb.1083:
	v_mov_b32_e32 v4, 0
	ds_read_b32 v4, v4 offset:16120
	s_waitcnt lgkmcnt(0)
	v_mul_f32_e32 v6, v6, v4
	ds_write_b32 v3, v6
.LBB23_1084:
	s_or_b64 exec, exec, s[0:1]
	s_waitcnt lgkmcnt(0)
	s_barrier
	s_and_saveexec_b64 s[0:1], s[26:27]
	s_load_dword s20, s[4:5], 0x6c
	s_cbranch_execz .LBB23_1086
; %bb.1085:
	v_mov_b32_e32 v4, 0
	ds_read_b32 v4, v4 offset:16124
	ds_read_b32 v5, v3
	s_waitcnt lgkmcnt(0)
	v_fmac_f32_e32 v6, v4, v5
.LBB23_1086:
	s_or_b64 exec, exec, s[0:1]
	s_waitcnt lgkmcnt(0)
	s_barrier
	s_and_saveexec_b64 s[0:1], s[26:27]
	s_cbranch_execz .LBB23_1088
; %bb.1087:
	v_mov_b32_e32 v4, 0
	ds_read_b32 v4, v4 offset:16380
	s_waitcnt lgkmcnt(0)
	v_mul_f32_e32 v6, v6, v4
	ds_write_b32 v3, v6
.LBB23_1088:
	s_or_b64 exec, exec, s[0:1]
	s_waitcnt lgkmcnt(0)
	s_barrier
	s_barrier
	s_and_saveexec_b64 s[0:1], s[2:3]
; %bb.1089:
	v_xor_b32_e32 v3, 0x80000000, v6
	ds_write_b32 v1, v3 offset:15608
; %bb.1090:
	s_or_b64 exec, exec, s[0:1]
	s_waitcnt lgkmcnt(0)
	s_barrier
	s_barrier
	s_and_saveexec_b64 s[0:1], s[36:37]
	s_cbranch_execz .LBB23_1092
; %bb.1091:
	v_lshlrev_b32_e32 v1, 2, v0
	s_movk_i32 s2, 0xfc
	v_mad_u32_u24 v3, v0, s2, v1
	ds_read_b32 v4, v3 offset:15608
	s_waitcnt lgkmcnt(0)
	ds_write_b32 v1, v4 offset:16112
	ds_read_b32 v3, v3 offset:15612
	s_waitcnt lgkmcnt(0)
	ds_write_b32 v1, v3 offset:16368
.LBB23_1092:
	s_or_b64 exec, exec, s[0:1]
	s_waitcnt lgkmcnt(0)
	s_barrier
	s_and_saveexec_b64 s[0:1], vcc
	s_cbranch_execz .LBB23_1094
; %bb.1093:
	v_mov_b32_e32 v1, 0
	ds_read_b64 v[3:4], v1 offset:16120
	ds_read_b32 v1, v1 offset:16380
	s_movk_i32 s2, 0x3c00
	s_waitcnt lgkmcnt(0)
	v_mul_f32_e32 v1, v3, v1
	v_mul_f32_e32 v1, v4, v1
	v_add_u32_e64 v3, s2, 0
	ds_write2_b32 v3, v1, v1 offset0:191 offset1:254
.LBB23_1094:
	s_or_b64 exec, exec, s[0:1]
.LBB23_1095:
	s_load_dwordx8 s[12:19], s[4:5], 0x30
	s_load_dwordx2 s[0:1], s[4:5], 0x50
	v_cmp_le_i32_e32 vcc, s86, v0
	v_mov_b32_e32 v11, 0
	v_add_u32_e32 v3, s33, v0
	s_waitcnt lgkmcnt(0)
	s_mul_i32 s3, s19, s28
	s_mul_hi_u32 s8, s18, s28
	s_mul_i32 s2, s18, s28
	s_add_i32 s3, s8, s3
	s_lshl_b64 s[2:3], s[2:3], 2
	s_add_u32 s8, s12, s2
	s_addc_u32 s9, s13, s3
	s_lshl_b64 s[2:3], s[14:15], 2
	s_add_u32 s26, s8, s2
	s_addc_u32 s27, s9, s3
	s_and_b64 s[14:15], vcc, s[22:23]
	v_cmp_eq_u32_e64 s[2:3], 0, v2
	s_xor_b64 s[8:9], s[14:15], -1
	s_and_b64 s[10:11], s[2:3], s[8:9]
	s_barrier
	s_and_saveexec_b64 s[8:9], s[10:11]
	s_cbranch_execz .LBB23_1097
; %bb.1096:
	v_ashrrev_i32_e32 v1, 31, v3
	v_mul_lo_u32 v6, s17, v3
	v_mad_u64_u32 v[4:5], s[10:11], s16, v3, 0
	v_mul_lo_u32 v1, s16, v1
	s_load_dword s4, s[4:5], 0x28
	v_add3_u32 v5, v5, v1, v6
	v_lshlrev_b64 v[4:5], 2, v[4:5]
	v_mov_b32_e32 v1, s27
	v_add_co_u32_e32 v4, vcc, s26, v4
	v_addc_co_u32_e32 v5, vcc, v1, v5, vcc
	global_load_dword v1, v[4:5], off
	s_waitcnt vmcnt(0) lgkmcnt(0)
	v_mul_f32_e64 v11, v1, -s4
.LBB23_1097:
	s_or_b64 exec, exec, s[8:9]
	s_and_b32 s4, 0xffff, s20
	v_mad_u32_u24 v1, v2, s4, v0
	s_cmp_lt_i32 s6, 1
	v_cmp_eq_u32_e64 s[4:5], 0, v1
	s_cbranch_scc1 .LBB23_1123
; %bb.1098:
	v_ashrrev_i32_e32 v6, 31, v3
	v_mul_lo_u32 v12, s25, v3
	v_mad_u64_u32 v[4:5], s[8:9], s24, v3, 0
	v_mul_lo_u32 v6, s24, v6
	s_lshl_b64 s[8:9], s[28:29], 2
	s_add_u32 s18, s0, s8
	s_addc_u32 s19, s1, s9
	v_add3_u32 v5, v5, v6, v12
	v_cmp_gt_i32_e64 s[8:9], s30, v3
	v_lshlrev_b64 v[3:4], 2, v[4:5]
	v_mov_b32_e32 v6, 0x5000
	v_mov_b32_e32 v5, s88
	v_add_co_u32_e32 v14, vcc, s87, v3
	s_mov_b32 s24, 0
	v_cmp_gt_u32_e64 s[12:13], 64, v1
	v_lshl_add_u32 v12, v1, 2, v6
	v_lshl_or_b32 v13, v2, 2, v6
	s_add_i32 s89, s89, 1
	v_addc_co_u32_e32 v15, vcc, v5, v4, vcc
	v_mov_b32_e32 v17, -1
	v_mov_b32_e32 v16, 0
	s_branch .LBB23_1101
.LBB23_1099:                            ;   in Loop: Header=BB23_1101 Depth=1
	ds_read_b32 v3, v13 offset:192
	s_waitcnt vmcnt(0) lgkmcnt(0)
	v_fmac_f32_e32 v11, v5, v3
.LBB23_1100:                            ;   in Loop: Header=BB23_1101 Depth=1
	s_or_b64 exec, exec, s[20:21]
	s_add_i32 s24, s24, 1
	s_cmp_eq_u32 s24, s6
	s_cbranch_scc1 .LBB23_1123
.LBB23_1101:                            ; =>This Loop Header: Depth=1
                                        ;     Child Loop BB23_1103 Depth 2
	v_cmp_gt_i32_e32 vcc, s24, v17
	s_and_b64 s[20:21], s[4:5], vcc
	s_and_saveexec_b64 s[10:11], s[20:21]
	s_cbranch_execz .LBB23_1104
; %bb.1102:                             ;   in Loop: Header=BB23_1101 Depth=1
	global_load_dword v17, v16, s[18:19]
	s_waitcnt vmcnt(0)
	v_cmp_le_i32_e32 vcc, s24, v17
	s_cbranch_vccnz .LBB23_1104
.LBB23_1103:                            ;   Parent Loop BB23_1101 Depth=1
                                        ; =>  This Inner Loop Header: Depth=2
	buffer_wbinvl1_vol
	global_load_dword v17, v16, s[18:19]
	s_waitcnt vmcnt(0)
	v_cmp_gt_i32_e32 vcc, s24, v17
	s_cbranch_vccnz .LBB23_1103
.LBB23_1104:                            ;   in Loop: Header=BB23_1101 Depth=1
	s_or_b64 exec, exec, s[10:11]
	s_sub_i32 s25, s7, s24
	s_lshl_b32 s34, s25, 6
	buffer_wbinvl1_vol
	s_barrier
	s_and_saveexec_b64 s[10:11], s[12:13]
	s_cbranch_execz .LBB23_1108
; %bb.1105:                             ;   in Loop: Header=BB23_1101 Depth=1
	s_ashr_i32 s20, s34, 31
	v_mov_b32_e32 v4, s20
	v_or_b32_e32 v3, s34, v1
	v_cmp_gt_i64_e32 vcc, s[30:31], v[3:4]
	v_mov_b32_e32 v5, 0
	s_and_saveexec_b64 s[20:21], vcc
	s_cbranch_execz .LBB23_1107
; %bb.1106:                             ;   in Loop: Header=BB23_1101 Depth=1
	v_mul_lo_u32 v5, v4, s16
	v_mul_lo_u32 v6, v3, s17
	v_mad_u64_u32 v[3:4], s[36:37], v3, s16, 0
	v_add3_u32 v4, v4, v6, v5
	v_lshlrev_b64 v[3:4], 2, v[3:4]
	v_mov_b32_e32 v5, s27
	v_add_co_u32_e32 v3, vcc, s26, v3
	v_addc_co_u32_e32 v4, vcc, v5, v4, vcc
	global_load_dword v5, v[3:4], off
.LBB23_1107:                            ;   in Loop: Header=BB23_1101 Depth=1
	s_or_b64 exec, exec, s[20:21]
	s_waitcnt vmcnt(0)
	ds_write_b32 v12, v5
.LBB23_1108:                            ;   in Loop: Header=BB23_1101 Depth=1
	s_or_b64 exec, exec, s[10:11]
	v_add_u32_e32 v5, s34, v2
	v_ashrrev_i32_e32 v6, 31, v5
	v_lshlrev_b64 v[3:4], 2, v[5:6]
	s_cmp_lg_u32 s25, s89
	v_add_co_u32_e32 v3, vcc, v14, v3
	s_cselect_b64 s[10:11], -1, 0
	v_addc_co_u32_e32 v4, vcc, v15, v4, vcc
	v_cmp_gt_i32_e32 vcc, s30, v5
	v_cndmask_b32_e64 v6, 0, 1, s[10:11]
	s_and_b64 s[34:35], vcc, s[8:9]
	v_cmp_ne_u32_e64 s[10:11], 1, v6
	s_waitcnt lgkmcnt(0)
	s_barrier
	s_and_saveexec_b64 s[20:21], s[34:35]
	s_cbranch_execz .LBB23_1112
; %bb.1109:                             ;   in Loop: Header=BB23_1101 Depth=1
	s_and_b64 vcc, exec, s[10:11]
	v_mov_b32_e32 v6, v8
	s_cbranch_vccnz .LBB23_1111
; %bb.1110:                             ;   in Loop: Header=BB23_1101 Depth=1
	global_load_dword v6, v[3:4], off
.LBB23_1111:                            ;   in Loop: Header=BB23_1101 Depth=1
	ds_read_b32 v18, v13
	s_waitcnt vmcnt(0) lgkmcnt(0)
	v_fmac_f32_e32 v11, v6, v18
.LBB23_1112:                            ;   in Loop: Header=BB23_1101 Depth=1
	s_or_b64 exec, exec, s[20:21]
	v_add_u32_e32 v6, 16, v5
	v_cmp_gt_i32_e32 vcc, s30, v6
	s_and_b64 s[34:35], vcc, s[8:9]
	s_and_saveexec_b64 s[20:21], s[34:35]
	s_cbranch_execz .LBB23_1116
; %bb.1113:                             ;   in Loop: Header=BB23_1101 Depth=1
	s_and_b64 vcc, exec, s[10:11]
	v_mov_b32_e32 v6, v7
	s_cbranch_vccnz .LBB23_1115
; %bb.1114:                             ;   in Loop: Header=BB23_1101 Depth=1
	global_load_dword v6, v[3:4], off offset:64
.LBB23_1115:                            ;   in Loop: Header=BB23_1101 Depth=1
	ds_read_b32 v18, v13 offset:64
	s_waitcnt vmcnt(0) lgkmcnt(0)
	v_fmac_f32_e32 v11, v6, v18
.LBB23_1116:                            ;   in Loop: Header=BB23_1101 Depth=1
	s_or_b64 exec, exec, s[20:21]
	v_add_u32_e32 v6, 32, v5
	v_cmp_gt_i32_e32 vcc, s30, v6
	s_and_b64 s[34:35], vcc, s[8:9]
	s_and_saveexec_b64 s[20:21], s[34:35]
	s_cbranch_execz .LBB23_1120
; %bb.1117:                             ;   in Loop: Header=BB23_1101 Depth=1
	s_and_b64 vcc, exec, s[10:11]
	v_mov_b32_e32 v6, v10
	s_cbranch_vccnz .LBB23_1119
; %bb.1118:                             ;   in Loop: Header=BB23_1101 Depth=1
	global_load_dword v6, v[3:4], off offset:128
.LBB23_1119:                            ;   in Loop: Header=BB23_1101 Depth=1
	ds_read_b32 v18, v13 offset:128
	s_waitcnt vmcnt(0) lgkmcnt(0)
	v_fmac_f32_e32 v11, v6, v18
.LBB23_1120:                            ;   in Loop: Header=BB23_1101 Depth=1
	s_or_b64 exec, exec, s[20:21]
	v_add_u32_e32 v5, 48, v5
	v_cmp_gt_i32_e32 vcc, s30, v5
	s_and_b64 s[34:35], vcc, s[8:9]
	s_and_saveexec_b64 s[20:21], s[34:35]
	s_cbranch_execz .LBB23_1100
; %bb.1121:                             ;   in Loop: Header=BB23_1101 Depth=1
	s_and_b64 vcc, exec, s[10:11]
	v_mov_b32_e32 v5, v9
	s_cbranch_vccnz .LBB23_1099
; %bb.1122:                             ;   in Loop: Header=BB23_1101 Depth=1
	global_load_dword v5, v[3:4], off offset:192
	s_branch .LBB23_1099
.LBB23_1123:
	v_lshl_add_u32 v3, v2, 6, v0
	s_xor_b64 s[4:5], s[22:23], -1
	v_lshlrev_b32_e32 v3, 2, v3
	ds_write_b32 v3, v11 offset:16384
	s_waitcnt lgkmcnt(0)
	s_barrier
	s_and_saveexec_b64 s[6:7], s[2:3]
	s_cbranch_execz .LBB23_1125
; %bb.1124:
	v_lshlrev_b32_e32 v10, 2, v0
	ds_read2st64_b32 v[4:5], v10 offset0:65 offset1:66
	ds_read2st64_b32 v[6:7], v10 offset0:67 offset1:68
	;; [unrolled: 1-line block ×5, first 2 shown]
	s_waitcnt lgkmcnt(4)
	v_add_f32_e32 v4, v11, v4
	v_add_f32_e32 v4, v4, v5
	s_waitcnt lgkmcnt(3)
	v_add_f32_e32 v4, v4, v6
	v_add_f32_e32 v4, v4, v7
	;; [unrolled: 3-line block ×4, first 2 shown]
	ds_read2st64_b32 v[4:5], v10 offset0:75 offset1:76
	ds_read2st64_b32 v[6:7], v10 offset0:77 offset1:78
	ds_read_b32 v9, v10 offset:20224
	s_waitcnt lgkmcnt(3)
	v_add_f32_e32 v8, v8, v14
	v_add_f32_e32 v8, v8, v15
	s_waitcnt lgkmcnt(2)
	v_add_f32_e32 v4, v8, v4
	v_add_f32_e32 v4, v4, v5
	s_waitcnt lgkmcnt(1)
	v_add_f32_e32 v4, v4, v6
	v_add_f32_e32 v4, v4, v7
	s_waitcnt lgkmcnt(0)
	v_add_f32_e32 v4, v4, v9
	v_cndmask_b32_e64 v11, -v4, 0, s[14:15]
.LBB23_1125:
	s_or_b64 exec, exec, s[6:7]
	s_and_b64 vcc, exec, s[52:53]
	s_cbranch_vccnz .LBB23_1138
; %bb.1126:
	v_mov_b32_e32 v4, 0x5000
	v_lshl_or_b32 v5, v2, 2, v4
	s_and_saveexec_b64 s[6:7], s[2:3]
; %bb.1127:
	v_lshl_add_u32 v4, v0, 2, v5
	ds_write_b32 v4, v11
; %bb.1128:
	s_or_b64 exec, exec, s[6:7]
	v_cmp_le_u32_e32 vcc, v0, v2
	v_mov_b32_e32 v4, 0
	s_waitcnt lgkmcnt(0)
	s_barrier
	s_and_saveexec_b64 s[6:7], vcc
	s_cbranch_execz .LBB23_1130
; %bb.1129:
	ds_read_b32 v4, v3
	ds_read_b32 v6, v5
	s_waitcnt lgkmcnt(0)
	v_fma_f32 v4, v4, v6, 0
.LBB23_1130:
	s_or_b64 exec, exec, s[6:7]
	v_add_u32_e32 v6, 16, v2
	v_cmp_le_u32_e32 vcc, v0, v6
	s_and_saveexec_b64 s[6:7], vcc
	s_cbranch_execz .LBB23_1132
; %bb.1131:
	ds_read_b32 v6, v3 offset:4096
	ds_read_b32 v7, v5 offset:64
	s_waitcnt lgkmcnt(0)
	v_fmac_f32_e32 v4, v6, v7
.LBB23_1132:
	s_or_b64 exec, exec, s[6:7]
	v_add_u32_e32 v6, 32, v2
	v_cmp_le_u32_e32 vcc, v0, v6
	s_and_saveexec_b64 s[6:7], vcc
	s_cbranch_execz .LBB23_1134
; %bb.1133:
	ds_read_b32 v6, v3 offset:8192
	ds_read_b32 v7, v5 offset:128
	s_waitcnt lgkmcnt(0)
	v_fmac_f32_e32 v4, v6, v7
.LBB23_1134:
	s_or_b64 exec, exec, s[6:7]
	v_add_u32_e32 v2, 48, v2
	v_add_u32_e32 v6, 0x4000, v3
	v_cmp_le_u32_e32 vcc, v0, v2
	s_and_saveexec_b64 s[6:7], vcc
	s_cbranch_execz .LBB23_1136
; %bb.1135:
	ds_read_b32 v2, v3 offset:12288
	ds_read_b32 v3, v5 offset:192
	s_waitcnt lgkmcnt(0)
	v_fmac_f32_e32 v4, v2, v3
.LBB23_1136:
	s_or_b64 exec, exec, s[6:7]
	s_mov_b64 s[8:9], 0
	s_mov_b64 s[6:7], 0
	ds_write_b32 v6, v4
	s_waitcnt lgkmcnt(0)
	s_barrier
                                        ; implicit-def: $vgpr2
	s_and_saveexec_b64 s[10:11], s[2:3]
	s_cbranch_execz .LBB23_1201
; %bb.1137:
	v_lshlrev_b32_e32 v12, 2, v0
	ds_read2st64_b32 v[2:3], v12 offset0:65 offset1:66
	ds_read2st64_b32 v[5:6], v12 offset0:67 offset1:68
	;; [unrolled: 1-line block ×4, first 2 shown]
	s_mov_b64 s[6:7], exec
	s_waitcnt lgkmcnt(3)
	v_add_f32_e32 v2, v4, v2
	v_add_f32_e32 v2, v3, v2
	s_waitcnt lgkmcnt(2)
	v_add_f32_e32 v2, v5, v2
	v_add_f32_e32 v2, v6, v2
	;; [unrolled: 3-line block ×3, first 2 shown]
	s_waitcnt lgkmcnt(0)
	v_add_f32_e32 v4, v9, v2
	ds_read2st64_b32 v[2:3], v12 offset0:73 offset1:74
	v_add_f32_e32 v8, v10, v4
	ds_read2st64_b32 v[4:5], v12 offset0:75 offset1:76
	ds_read2st64_b32 v[6:7], v12 offset0:77 offset1:78
	ds_read_b32 v9, v12 offset:20224
	s_waitcnt lgkmcnt(3)
	v_add_f32_e32 v2, v2, v8
	v_add_f32_e32 v2, v3, v2
	s_waitcnt lgkmcnt(2)
	v_add_f32_e32 v2, v4, v2
	v_add_f32_e32 v2, v5, v2
	;; [unrolled: 3-line block ×3, first 2 shown]
	s_waitcnt lgkmcnt(0)
	v_add_f32_e32 v2, v9, v2
	s_or_b64 exec, exec, s[10:11]
	s_and_b64 vcc, exec, s[8:9]
	s_cbranch_vccnz .LBB23_1139
	s_branch .LBB23_1202
.LBB23_1138:
	s_mov_b64 s[6:7], 0
                                        ; implicit-def: $vgpr2
	s_cbranch_execz .LBB23_1202
.LBB23_1139:
	s_movk_i32 s8, 0x104
	v_lshlrev_b32_e32 v3, 8, v0
	v_mov_b32_e32 v4, 0x3c00
	v_mul_u32_u24_e32 v2, 0x104, v0
	v_sub_u32_e32 v3, 0, v3
	v_mad_u32_u24 v4, v0, s8, v4
	s_mov_b32 s10, 63
	s_movk_i32 s11, 0xc100
	v_mov_b32_e32 v5, 0
	s_branch .LBB23_1141
.LBB23_1140:                            ;   in Loop: Header=BB23_1141 Depth=1
	s_or_b64 exec, exec, s[8:9]
	s_add_i32 s10, s10, -4
	s_cmp_lg_u32 s12, 0
	v_add_u32_e32 v3, 0xfffffc00, v3
	s_barrier
	s_cbranch_scc0 .LBB23_1157
.LBB23_1141:                            ; =>This Inner Loop Header: Depth=1
	v_cmp_eq_u32_e32 vcc, s11, v3
	s_and_b64 s[12:13], s[2:3], vcc
	s_and_saveexec_b64 s[8:9], s[12:13]
	s_cbranch_execz .LBB23_1143
; %bb.1142:                             ;   in Loop: Header=BB23_1141 Depth=1
	ds_read_b32 v6, v2
	s_waitcnt lgkmcnt(0)
	v_mul_f32_e32 v11, v11, v6
	ds_write_b32 v5, v11 offset:20736
.LBB23_1143:                            ;   in Loop: Header=BB23_1141 Depth=1
	s_or_b64 exec, exec, s[8:9]
	v_cmp_gt_u32_e32 vcc, s10, v0
	s_and_b64 s[12:13], s[2:3], vcc
	v_add_u32_e32 v6, v4, v3
	s_waitcnt lgkmcnt(0)
	s_barrier
	s_and_saveexec_b64 s[8:9], s[12:13]
	s_cbranch_execz .LBB23_1145
; %bb.1144:                             ;   in Loop: Header=BB23_1141 Depth=1
	ds_read_b32 v7, v6 offset:768
	ds_read_b32 v8, v5 offset:20736
	s_waitcnt lgkmcnt(0)
	v_fmac_f32_e32 v11, v7, v8
.LBB23_1145:                            ;   in Loop: Header=BB23_1141 Depth=1
	s_or_b64 exec, exec, s[8:9]
	s_add_i32 s12, s10, -1
	v_cmp_eq_u32_e32 vcc, s12, v0
	s_and_b64 s[14:15], s[2:3], vcc
	s_barrier
	s_and_saveexec_b64 s[8:9], s[14:15]
	s_cbranch_execz .LBB23_1147
; %bb.1146:                             ;   in Loop: Header=BB23_1141 Depth=1
	ds_read_b32 v7, v2
	s_waitcnt lgkmcnt(0)
	v_mul_f32_e32 v11, v11, v7
	ds_write_b32 v5, v11 offset:20736
.LBB23_1147:                            ;   in Loop: Header=BB23_1141 Depth=1
	s_or_b64 exec, exec, s[8:9]
	v_cmp_gt_u32_e32 vcc, s12, v0
	s_and_b64 s[12:13], s[2:3], vcc
	s_waitcnt lgkmcnt(0)
	s_barrier
	s_and_saveexec_b64 s[8:9], s[12:13]
	s_cbranch_execz .LBB23_1149
; %bb.1148:                             ;   in Loop: Header=BB23_1141 Depth=1
	ds_read_b32 v7, v6 offset:512
	ds_read_b32 v8, v5 offset:20736
	s_waitcnt lgkmcnt(0)
	v_fmac_f32_e32 v11, v7, v8
.LBB23_1149:                            ;   in Loop: Header=BB23_1141 Depth=1
	s_or_b64 exec, exec, s[8:9]
	s_add_i32 s12, s10, -2
	v_cmp_eq_u32_e32 vcc, s12, v0
	s_and_b64 s[14:15], s[2:3], vcc
	s_barrier
	s_and_saveexec_b64 s[8:9], s[14:15]
	s_cbranch_execz .LBB23_1151
; %bb.1150:                             ;   in Loop: Header=BB23_1141 Depth=1
	ds_read_b32 v7, v2
	s_waitcnt lgkmcnt(0)
	v_mul_f32_e32 v11, v11, v7
	ds_write_b32 v5, v11 offset:20736
.LBB23_1151:                            ;   in Loop: Header=BB23_1141 Depth=1
	s_or_b64 exec, exec, s[8:9]
	v_cmp_gt_u32_e32 vcc, s12, v0
	s_and_b64 s[12:13], s[2:3], vcc
	;; [unrolled: 26-line block ×3, first 2 shown]
	s_waitcnt lgkmcnt(0)
	s_barrier
	s_and_saveexec_b64 s[8:9], s[14:15]
	s_cbranch_execz .LBB23_1140
; %bb.1156:                             ;   in Loop: Header=BB23_1141 Depth=1
	ds_read_b32 v6, v6
	ds_read_b32 v7, v5 offset:20736
	s_waitcnt lgkmcnt(0)
	v_fmac_f32_e32 v11, v6, v7
	s_branch .LBB23_1140
.LBB23_1157:
	s_mov_b64 s[8:9], -1
	s_and_b64 vcc, exec, s[4:5]
	s_cbranch_vccnz .LBB23_1203
; %bb.1158:
	s_andn2_b64 vcc, exec, s[8:9]
	s_cbranch_vccz .LBB23_1204
.LBB23_1159:
	s_and_saveexec_b64 s[2:3], s[6:7]
	s_cbranch_execz .LBB23_1161
.LBB23_1160:
	v_mov_b32_e32 v0, s40
	v_add_co_u32_e32 v2, vcc, s33, v1
	v_addc_co_u32_e32 v0, vcc, 0, v0, vcc
	v_mul_lo_u32 v0, v0, s16
	v_mul_lo_u32 v4, v2, s17
	v_mad_u64_u32 v[2:3], s[4:5], v2, s16, 0
	v_add3_u32 v3, v3, v4, v0
	v_lshlrev_b64 v[2:3], 2, v[2:3]
	v_mov_b32_e32 v0, s27
	v_add_co_u32_e32 v2, vcc, s26, v2
	v_addc_co_u32_e32 v3, vcc, v0, v3, vcc
	global_store_dword v[2:3], v11, off
.LBB23_1161:
	s_or_b64 exec, exec, s[2:3]
	v_cmp_eq_u32_e32 vcc, 0, v1
	s_waitcnt vmcnt(0)
	buffer_wbinvl1_vol
	s_barrier
	s_and_saveexec_b64 s[2:3], vcc
	s_cbranch_execz .LBB23_1163
; %bb.1162:
	s_lshl_b64 s[4:5], s[28:29], 2
	s_add_u32 s0, s0, s4
	s_addc_u32 s1, s1, s5
	v_mov_b32_e32 v0, 0
	global_load_dword v1, v0, s[0:1]
	s_waitcnt vmcnt(0)
	v_add_u32_e32 v1, 1, v1
	global_store_dword v0, v1, s[0:1]
.LBB23_1163:
	s_or_b64 exec, exec, s[2:3]
	s_waitcnt vmcnt(0)
	buffer_wbinvl1_vol
	s_endpgm
.LBB23_1164:
                                        ; implicit-def: $vgpr9
                                        ; implicit-def: $vgpr10
                                        ; implicit-def: $vgpr7
                                        ; implicit-def: $vgpr8
                                        ; implicit-def: $sgpr33
	s_cbranch_execnz .LBB23_10
	s_branch .LBB23_11
.LBB23_1165:
	v_cmp_ne_u32_e32 vcc, v0, v2
	s_and_saveexec_b64 s[12:13], vcc
	s_xor_b64 s[12:13], exec, s[12:13]
; %bb.1166:
	v_or_b32_e32 v1, v2, v0
	v_cmp_gt_u32_e32 vcc, 64, v1
	s_and_b64 s[10:11], vcc, exec
                                        ; implicit-def: $vgpr5_vgpr6
; %bb.1167:
	s_or_saveexec_b64 s[12:13], s[12:13]
	v_mov_b32_e32 v1, 0
	s_xor_b64 exec, exec, s[12:13]
	s_cbranch_execz .LBB23_1169
; %bb.1168:
	v_lshlrev_b64 v[5:6], 2, v[5:6]
	v_mov_b32_e32 v1, s88
	v_add_co_u32_e32 v5, vcc, s87, v5
	v_addc_co_u32_e32 v6, vcc, v1, v6, vcc
	global_load_dword v1, v[5:6], off
	s_or_b64 s[10:11], s[10:11], exec
	s_waitcnt vmcnt(0)
	v_div_scale_f32 v5, s[14:15], v1, v1, 1.0
	v_div_scale_f32 v6, vcc, 1.0, v1, 1.0
	v_rcp_f32_e32 v12, v5
	v_fma_f32 v13, -v5, v12, 1.0
	v_fmac_f32_e32 v12, v13, v12
	v_mul_f32_e32 v13, v6, v12
	v_fma_f32 v14, -v5, v13, v6
	v_fmac_f32_e32 v13, v14, v12
	v_fma_f32 v5, -v5, v13, v6
	v_div_fmas_f32 v5, v5, v12, v13
	v_div_fixup_f32 v1, v5, v1, 1.0
.LBB23_1169:
	s_or_b64 exec, exec, s[12:13]
	s_and_b64 s[10:11], s[10:11], exec
                                        ; implicit-def: $vgpr5_vgpr6
	s_andn2_saveexec_b64 s[8:9], s[8:9]
	s_cbranch_execz .LBB23_14
.LBB23_1170:
	v_lshlrev_b64 v[5:6], 2, v[5:6]
	v_mov_b32_e32 v1, s88
	v_add_co_u32_e32 v5, vcc, s87, v5
	v_addc_co_u32_e32 v6, vcc, v1, v6, vcc
	global_load_dword v1, v[5:6], off
	s_or_b64 s[10:11], s[10:11], exec
	s_waitcnt vmcnt(0)
	v_xor_b32_e32 v1, 0x80000000, v1
	s_or_b64 exec, exec, s[8:9]
	s_and_saveexec_b64 s[8:9], s[10:11]
	s_cbranch_execnz .LBB23_15
	s_branch .LBB23_16
.LBB23_1171:
	v_cmp_ne_u32_e32 vcc, v0, v1
	s_and_saveexec_b64 s[10:11], vcc
	s_xor_b64 s[10:11], exec, s[10:11]
; %bb.1172:
	v_or_b32_e32 v5, v1, v0
	v_cmp_gt_u32_e32 vcc, 64, v5
	s_and_b64 s[8:9], vcc, exec
                                        ; implicit-def: $vgpr5_vgpr6
; %bb.1173:
	s_or_saveexec_b64 s[10:11], s[10:11]
	v_mov_b32_e32 v12, 0
	s_xor_b64 exec, exec, s[10:11]
	s_cbranch_execz .LBB23_1175
; %bb.1174:
	v_lshlrev_b64 v[5:6], 2, v[5:6]
	v_mov_b32_e32 v12, s88
	v_add_co_u32_e32 v5, vcc, s87, v5
	v_addc_co_u32_e32 v6, vcc, v12, v6, vcc
	global_load_dword v5, v[5:6], off
	s_or_b64 s[8:9], s[8:9], exec
	s_waitcnt vmcnt(0)
	v_div_scale_f32 v6, s[12:13], v5, v5, 1.0
	v_div_scale_f32 v12, vcc, 1.0, v5, 1.0
	v_rcp_f32_e32 v13, v6
	v_fma_f32 v14, -v6, v13, 1.0
	v_fmac_f32_e32 v13, v14, v13
	v_mul_f32_e32 v14, v12, v13
	v_fma_f32 v15, -v6, v14, v12
	v_fmac_f32_e32 v14, v15, v13
	v_fma_f32 v6, -v6, v14, v12
	v_div_fmas_f32 v6, v6, v13, v14
	v_div_fixup_f32 v12, v6, v5, 1.0
.LBB23_1175:
	s_or_b64 exec, exec, s[10:11]
	s_and_b64 s[8:9], s[8:9], exec
                                        ; implicit-def: $vgpr5_vgpr6
	s_andn2_saveexec_b64 s[2:3], s[2:3]
	s_cbranch_execz .LBB23_18
.LBB23_1176:
	v_lshlrev_b64 v[5:6], 2, v[5:6]
	v_mov_b32_e32 v12, s88
	v_add_co_u32_e32 v5, vcc, s87, v5
	v_addc_co_u32_e32 v6, vcc, v12, v6, vcc
	global_load_dword v5, v[5:6], off
	s_or_b64 s[8:9], s[8:9], exec
	s_waitcnt vmcnt(0)
	v_xor_b32_e32 v12, 0x80000000, v5
	s_or_b64 exec, exec, s[2:3]
	s_and_saveexec_b64 s[2:3], s[8:9]
	s_cbranch_execnz .LBB23_19
	s_branch .LBB23_20
.LBB23_1177:
	v_cmp_ne_u32_e32 vcc, v0, v1
	s_and_saveexec_b64 s[10:11], vcc
	s_xor_b64 s[10:11], exec, s[10:11]
; %bb.1178:
	v_or_b32_e32 v5, v1, v0
	v_cmp_gt_u32_e32 vcc, 64, v5
	s_and_b64 s[8:9], vcc, exec
                                        ; implicit-def: $vgpr5_vgpr6
; %bb.1179:
	s_or_saveexec_b64 s[10:11], s[10:11]
	v_mov_b32_e32 v12, 0
	s_xor_b64 exec, exec, s[10:11]
	s_cbranch_execz .LBB23_1181
; %bb.1180:
	v_lshlrev_b64 v[5:6], 2, v[5:6]
	v_mov_b32_e32 v12, s88
	v_add_co_u32_e32 v5, vcc, s87, v5
	v_addc_co_u32_e32 v6, vcc, v12, v6, vcc
	global_load_dword v5, v[5:6], off
	s_or_b64 s[8:9], s[8:9], exec
	s_waitcnt vmcnt(0)
	v_div_scale_f32 v6, s[12:13], v5, v5, 1.0
	v_div_scale_f32 v12, vcc, 1.0, v5, 1.0
	v_rcp_f32_e32 v13, v6
	v_fma_f32 v14, -v6, v13, 1.0
	v_fmac_f32_e32 v13, v14, v13
	v_mul_f32_e32 v14, v12, v13
	v_fma_f32 v15, -v6, v14, v12
	v_fmac_f32_e32 v14, v15, v13
	v_fma_f32 v6, -v6, v14, v12
	v_div_fmas_f32 v6, v6, v13, v14
	v_div_fixup_f32 v12, v6, v5, 1.0
.LBB23_1181:
	s_or_b64 exec, exec, s[10:11]
	s_and_b64 s[8:9], s[8:9], exec
                                        ; implicit-def: $vgpr5_vgpr6
	s_andn2_saveexec_b64 s[2:3], s[2:3]
	s_cbranch_execz .LBB23_22
.LBB23_1182:
	v_lshlrev_b64 v[5:6], 2, v[5:6]
	v_mov_b32_e32 v12, s88
	v_add_co_u32_e32 v5, vcc, s87, v5
	v_addc_co_u32_e32 v6, vcc, v12, v6, vcc
	global_load_dword v5, v[5:6], off
	s_or_b64 s[8:9], s[8:9], exec
	s_waitcnt vmcnt(0)
	v_xor_b32_e32 v12, 0x80000000, v5
	s_or_b64 exec, exec, s[2:3]
	s_and_saveexec_b64 s[2:3], s[8:9]
	s_cbranch_execnz .LBB23_23
	s_branch .LBB23_24
.LBB23_1183:
	v_cmp_ne_u32_e32 vcc, v0, v2
	s_xor_b64 s[12:13], s[2:3], -1
	s_or_b64 s[14:15], s[12:13], vcc
	s_mov_b64 s[12:13], 0
	s_and_saveexec_b64 s[16:17], s[14:15]
	s_xor_b64 s[14:15], exec, s[16:17]
; %bb.1184:
	v_or_b32_e32 v1, v2, v0
	v_cmp_gt_u32_e32 vcc, 64, v1
	s_and_b64 s[12:13], vcc, exec
                                        ; implicit-def: $vgpr5_vgpr6
; %bb.1185:
	s_or_saveexec_b64 s[14:15], s[14:15]
	v_mov_b32_e32 v1, 0
	s_xor_b64 exec, exec, s[14:15]
	s_cbranch_execz .LBB23_1187
; %bb.1186:
	v_lshlrev_b64 v[5:6], 2, v[5:6]
	v_mov_b32_e32 v1, s88
	v_add_co_u32_e32 v5, vcc, s87, v5
	v_addc_co_u32_e32 v6, vcc, v1, v6, vcc
	global_load_dword v1, v[5:6], off
	s_or_b64 s[12:13], s[12:13], exec
	s_waitcnt vmcnt(0)
	v_div_scale_f32 v5, s[16:17], v1, v1, 1.0
	v_div_scale_f32 v6, vcc, 1.0, v1, 1.0
	v_rcp_f32_e32 v12, v5
	v_fma_f32 v13, -v5, v12, 1.0
	v_fmac_f32_e32 v12, v13, v12
	v_mul_f32_e32 v13, v6, v12
	v_fma_f32 v14, -v5, v13, v6
	v_fmac_f32_e32 v13, v14, v12
	v_fma_f32 v5, -v5, v13, v6
	v_div_fmas_f32 v5, v5, v12, v13
	v_div_fixup_f32 v1, v5, v1, 1.0
.LBB23_1187:
	s_or_b64 exec, exec, s[14:15]
	s_and_b64 s[12:13], s[12:13], exec
                                        ; implicit-def: $vgpr5_vgpr6
	s_andn2_saveexec_b64 s[8:9], s[8:9]
	s_cbranch_execz .LBB23_36
.LBB23_1188:
	v_lshlrev_b64 v[5:6], 2, v[5:6]
	v_mov_b32_e32 v1, s88
	v_add_co_u32_e32 v5, vcc, s87, v5
	v_addc_co_u32_e32 v6, vcc, v1, v6, vcc
	global_load_dword v1, v[5:6], off
	s_or_b64 s[12:13], s[12:13], exec
	s_waitcnt vmcnt(0)
	v_xor_b32_e32 v1, 0x80000000, v1
	s_or_b64 exec, exec, s[8:9]
	s_and_saveexec_b64 s[8:9], s[12:13]
	s_cbranch_execnz .LBB23_37
	s_branch .LBB23_38
.LBB23_1189:
	v_cmp_ne_u32_e32 vcc, v0, v1
	s_xor_b64 s[12:13], s[2:3], -1
	s_or_b64 s[14:15], s[12:13], vcc
	s_mov_b64 s[12:13], 0
	s_and_saveexec_b64 s[16:17], s[14:15]
	s_xor_b64 s[14:15], exec, s[16:17]
; %bb.1190:
	v_or_b32_e32 v5, v1, v0
	v_cmp_gt_u32_e32 vcc, 64, v5
	s_and_b64 s[12:13], vcc, exec
                                        ; implicit-def: $vgpr5_vgpr6
; %bb.1191:
	s_or_saveexec_b64 s[14:15], s[14:15]
	v_mov_b32_e32 v12, 0
	s_xor_b64 exec, exec, s[14:15]
	s_cbranch_execz .LBB23_1193
; %bb.1192:
	v_lshlrev_b64 v[5:6], 2, v[5:6]
	v_mov_b32_e32 v12, s88
	v_add_co_u32_e32 v5, vcc, s87, v5
	v_addc_co_u32_e32 v6, vcc, v12, v6, vcc
	global_load_dword v5, v[5:6], off
	s_or_b64 s[12:13], s[12:13], exec
	s_waitcnt vmcnt(0)
	v_div_scale_f32 v6, s[16:17], v5, v5, 1.0
	v_div_scale_f32 v12, vcc, 1.0, v5, 1.0
	v_rcp_f32_e32 v13, v6
	v_fma_f32 v14, -v6, v13, 1.0
	v_fmac_f32_e32 v13, v14, v13
	v_mul_f32_e32 v14, v12, v13
	v_fma_f32 v15, -v6, v14, v12
	v_fmac_f32_e32 v14, v15, v13
	v_fma_f32 v6, -v6, v14, v12
	v_div_fmas_f32 v6, v6, v13, v14
	v_div_fixup_f32 v12, v6, v5, 1.0
.LBB23_1193:
	s_or_b64 exec, exec, s[14:15]
	s_and_b64 s[12:13], s[12:13], exec
                                        ; implicit-def: $vgpr5_vgpr6
	s_andn2_saveexec_b64 s[8:9], s[8:9]
	s_cbranch_execz .LBB23_40
.LBB23_1194:
	v_lshlrev_b64 v[5:6], 2, v[5:6]
	v_mov_b32_e32 v12, s88
	v_add_co_u32_e32 v5, vcc, s87, v5
	v_addc_co_u32_e32 v6, vcc, v12, v6, vcc
	global_load_dword v5, v[5:6], off
	s_or_b64 s[12:13], s[12:13], exec
	s_waitcnt vmcnt(0)
	v_xor_b32_e32 v12, 0x80000000, v5
	s_or_b64 exec, exec, s[8:9]
	s_and_saveexec_b64 s[8:9], s[12:13]
	s_cbranch_execnz .LBB23_41
	s_branch .LBB23_42
.LBB23_1195:
	v_cmp_ne_u32_e32 vcc, v0, v1
	s_xor_b64 s[12:13], s[2:3], -1
	s_or_b64 s[14:15], s[12:13], vcc
	s_mov_b64 s[12:13], 0
	s_and_saveexec_b64 s[16:17], s[14:15]
	s_xor_b64 s[14:15], exec, s[16:17]
; %bb.1196:
	v_or_b32_e32 v5, v1, v0
	v_cmp_gt_u32_e32 vcc, 64, v5
	s_and_b64 s[12:13], vcc, exec
                                        ; implicit-def: $vgpr5_vgpr6
; %bb.1197:
	s_or_saveexec_b64 s[14:15], s[14:15]
	v_mov_b32_e32 v12, 0
	s_xor_b64 exec, exec, s[14:15]
	s_cbranch_execz .LBB23_1199
; %bb.1198:
	v_lshlrev_b64 v[5:6], 2, v[5:6]
	v_mov_b32_e32 v12, s88
	v_add_co_u32_e32 v5, vcc, s87, v5
	v_addc_co_u32_e32 v6, vcc, v12, v6, vcc
	global_load_dword v5, v[5:6], off
	s_or_b64 s[12:13], s[12:13], exec
	s_waitcnt vmcnt(0)
	v_div_scale_f32 v6, s[16:17], v5, v5, 1.0
	v_div_scale_f32 v12, vcc, 1.0, v5, 1.0
	v_rcp_f32_e32 v13, v6
	v_fma_f32 v14, -v6, v13, 1.0
	v_fmac_f32_e32 v13, v14, v13
	v_mul_f32_e32 v14, v12, v13
	v_fma_f32 v15, -v6, v14, v12
	v_fmac_f32_e32 v14, v15, v13
	v_fma_f32 v6, -v6, v14, v12
	v_div_fmas_f32 v6, v6, v13, v14
	v_div_fixup_f32 v12, v6, v5, 1.0
.LBB23_1199:
	s_or_b64 exec, exec, s[14:15]
	s_and_b64 s[12:13], s[12:13], exec
                                        ; implicit-def: $vgpr5_vgpr6
	s_andn2_saveexec_b64 s[8:9], s[8:9]
	s_cbranch_execz .LBB23_44
.LBB23_1200:
	v_lshlrev_b64 v[5:6], 2, v[5:6]
	v_mov_b32_e32 v12, s88
	v_add_co_u32_e32 v5, vcc, s87, v5
	v_addc_co_u32_e32 v6, vcc, v12, v6, vcc
	global_load_dword v5, v[5:6], off
	s_or_b64 s[12:13], s[12:13], exec
	s_waitcnt vmcnt(0)
	v_xor_b32_e32 v12, 0x80000000, v5
	s_or_b64 exec, exec, s[8:9]
	s_and_saveexec_b64 s[8:9], s[12:13]
	s_cbranch_execnz .LBB23_45
	s_branch .LBB23_46
.LBB23_1201:
	s_or_b64 exec, exec, s[10:11]
	s_and_b64 vcc, exec, s[8:9]
	s_cbranch_vccnz .LBB23_1139
.LBB23_1202:
	v_mov_b32_e32 v11, v2
	s_and_saveexec_b64 s[2:3], s[6:7]
	s_cbranch_execnz .LBB23_1160
	s_branch .LBB23_1161
.LBB23_1203:
	s_andn2_b64 s[4:5], s[6:7], exec
	s_and_b64 s[6:7], s[2:3], exec
	s_or_b64 s[6:7], s[4:5], s[6:7]
	s_cbranch_execnz .LBB23_1159
.LBB23_1204:
	v_cmp_gt_i32_e32 vcc, s86, v0
	s_and_b64 s[2:3], s[2:3], vcc
	s_andn2_b64 s[4:5], s[6:7], exec
	s_and_b64 s[2:3], s[2:3], exec
	s_or_b64 s[6:7], s[4:5], s[2:3]
	s_and_saveexec_b64 s[2:3], s[6:7]
	s_cbranch_execnz .LBB23_1160
	s_branch .LBB23_1161
.LBB23_1205:
	v_lshlrev_b32_e32 v16, 2, v14
	v_sub_u32_e32 v16, v15, v16
	v_lshl_add_u32 v16, v13, 2, v16
	ds_read_b32 v16, v16 offset:272
	ds_read_b32 v17, v15 offset:4
	s_waitcnt lgkmcnt(0)
	v_fmac_f32_e32 v12, v16, v17
	s_or_b64 exec, exec, s[14:15]
	v_cmp_gt_u32_e64 s[10:11], 8, v4
	s_and_saveexec_b64 s[14:15], s[10:11]
	s_cbranch_execz .LBB23_79
.LBB23_1206:
	ds_read_b32 v16, v6 offset:528
	ds_read_b32 v15, v15 offset:8
	s_waitcnt lgkmcnt(0)
	v_fmac_f32_e32 v12, v16, v15
	s_or_b64 exec, exec, s[14:15]
	v_cmp_gt_u32_e64 s[10:11], 4, v4
	s_and_saveexec_b64 s[14:15], s[10:11]
	s_cbranch_execnz .LBB23_80
	s_branch .LBB23_81
.LBB23_1207:
	v_lshlrev_b32_e32 v21, 2, v19
	v_sub_u32_e32 v21, v20, v21
	v_lshl_add_u32 v21, v18, 2, v21
	ds_read_b32 v21, v21 offset:288
	ds_read_b32 v22, v20 offset:4
	s_waitcnt lgkmcnt(0)
	v_fmac_f32_e32 v17, v21, v22
	s_or_b64 exec, exec, s[16:17]
	v_cmp_gt_u32_e64 s[14:15], 48, v4
	s_and_saveexec_b64 s[16:17], s[14:15]
	s_cbranch_execz .LBB23_121
.LBB23_1208:
	v_lshlrev_b32_e32 v21, 2, v19
	v_sub_u32_e32 v21, v20, v21
	v_lshl_add_u32 v21, v18, 2, v21
	ds_read_b32 v21, v21 offset:544
	ds_read_b32 v22, v20 offset:8
	s_waitcnt lgkmcnt(0)
	v_fmac_f32_e32 v17, v21, v22
	s_or_b64 exec, exec, s[16:17]
	v_cmp_gt_u32_e64 s[14:15], 40, v4
	s_and_saveexec_b64 s[16:17], s[14:15]
	s_cbranch_execz .LBB23_122
.LBB23_1209:
	v_lshlrev_b32_e32 v21, 2, v19
	v_sub_u32_e32 v21, v20, v21
	v_lshl_add_u32 v21, v18, 2, v21
	ds_read_b32 v21, v21 offset:800
	ds_read_b32 v22, v20 offset:12
	s_waitcnt lgkmcnt(0)
	v_fmac_f32_e32 v17, v21, v22
	s_or_b64 exec, exec, s[16:17]
	v_cmp_gt_u32_e64 s[14:15], 32, v4
	s_and_saveexec_b64 s[16:17], s[14:15]
	s_cbranch_execz .LBB23_123
.LBB23_1210:
	ds_read_b32 v21, v15 offset:1056
	ds_read_b32 v22, v20 offset:16
	s_waitcnt lgkmcnt(0)
	v_fmac_f32_e32 v17, v21, v22
	s_or_b64 exec, exec, s[16:17]
	v_cmp_gt_u32_e64 s[14:15], 24, v4
	s_and_saveexec_b64 s[16:17], s[14:15]
	s_cbranch_execz .LBB23_124
.LBB23_1211:
	v_lshlrev_b32_e32 v21, 2, v19
	v_sub_u32_e32 v21, v20, v21
	v_lshl_add_u32 v21, v18, 2, v21
	ds_read_b32 v21, v21 offset:1312
	ds_read_b32 v22, v20 offset:20
	s_waitcnt lgkmcnt(0)
	v_fmac_f32_e32 v17, v21, v22
	s_or_b64 exec, exec, s[16:17]
	v_cmp_gt_u32_e64 s[14:15], 16, v4
	s_and_saveexec_b64 s[16:17], s[14:15]
	s_cbranch_execz .LBB23_125
.LBB23_1212:
	ds_read_b32 v21, v15 offset:1568
	ds_read_b32 v20, v20 offset:24
	s_waitcnt lgkmcnt(0)
	v_fmac_f32_e32 v17, v21, v20
	s_or_b64 exec, exec, s[16:17]
	v_cmp_gt_u32_e64 s[14:15], 8, v4
	s_and_saveexec_b64 s[16:17], s[14:15]
	s_cbranch_execnz .LBB23_126
	s_branch .LBB23_127
.LBB23_1213:
	v_lshlrev_b32_e32 v22, 2, v14
	v_sub_u32_e32 v22, v21, v22
	v_lshl_add_u32 v22, v13, 2, v22
	ds_read_b32 v22, v22 offset:2352
	ds_read_b32 v23, v21 offset:2084
	s_waitcnt lgkmcnt(0)
	v_fmac_f32_e32 v20, v22, v23
	s_or_b64 exec, exec, s[14:15]
	v_cmp_gt_u32_e64 s[10:11], 8, v4
	s_and_saveexec_b64 s[14:15], s[10:11]
	s_cbranch_execz .LBB23_183
.LBB23_1214:
	ds_read_b32 v22, v6 offset:2608
	ds_read_b32 v21, v21 offset:2088
	s_waitcnt lgkmcnt(0)
	v_fmac_f32_e32 v20, v22, v21
	s_or_b64 exec, exec, s[14:15]
	v_cmp_gt_u32_e64 s[10:11], 4, v4
	s_and_saveexec_b64 s[14:15], s[10:11]
	s_cbranch_execnz .LBB23_184
	s_branch .LBB23_185
.LBB23_1215:
	v_lshlrev_b32_e32 v26, 2, v21
	v_lshl_add_u32 v26, v23, 2, v26
	ds_read_b32 v26, v26 offset:2880
	ds_read_b32 v27, v25 offset:44
	s_waitcnt lgkmcnt(0)
	v_fmac_f32_e32 v22, v26, v27
	s_or_b64 exec, exec, s[20:21]
	v_cmp_gt_u32_e64 s[16:17], 64, v4
	s_and_saveexec_b64 s[20:21], s[16:17]
	s_cbranch_execz .LBB23_245
.LBB23_1216:
	ds_read_b32 v26, v20 offset:3136
	ds_read_b32 v27, v25 offset:48
	s_waitcnt lgkmcnt(0)
	v_fmac_f32_e32 v22, v26, v27
	s_or_b64 exec, exec, s[20:21]
	v_cmp_gt_u32_e64 s[16:17], 48, v4
	s_and_saveexec_b64 s[20:21], s[16:17]
	s_cbranch_execz .LBB23_246
.LBB23_1217:
	v_lshlrev_b32_e32 v26, 2, v21
	v_lshl_add_u32 v26, v23, 2, v26
	ds_read_b32 v26, v26 offset:3392
	ds_read_b32 v27, v25 offset:52
	s_waitcnt lgkmcnt(0)
	v_fmac_f32_e32 v22, v26, v27
	s_or_b64 exec, exec, s[20:21]
	v_cmp_gt_u32_e64 s[16:17], 32, v4
	s_and_saveexec_b64 s[20:21], s[16:17]
	s_cbranch_execz .LBB23_247
.LBB23_1218:
	ds_read_b32 v26, v20 offset:3648
	ds_read_b32 v25, v25 offset:56
	s_waitcnt lgkmcnt(0)
	v_fmac_f32_e32 v22, v26, v25
	s_or_b64 exec, exec, s[20:21]
	v_cmp_gt_u32_e64 s[16:17], 16, v4
	s_and_saveexec_b64 s[20:21], s[16:17]
	s_cbranch_execnz .LBB23_248
	s_branch .LBB23_249
.LBB23_1219:
	v_lshlrev_b32_e32 v27, 2, v14
	v_sub_u32_e32 v27, v26, v27
	v_lshl_add_u32 v27, v13, 2, v27
	ds_read_b32 v27, v27 offset:4432
	ds_read_b32 v28, v26 offset:4164
	s_waitcnt lgkmcnt(0)
	v_fmac_f32_e32 v25, v27, v28
	s_or_b64 exec, exec, s[20:21]
	v_cmp_gt_u32_e64 s[14:15], 8, v4
	s_and_saveexec_b64 s[20:21], s[14:15]
	s_cbranch_execz .LBB23_337
.LBB23_1220:
	ds_read_b32 v27, v6 offset:4688
	ds_read_b32 v26, v26 offset:4168
	s_waitcnt lgkmcnt(0)
	v_fmac_f32_e32 v25, v27, v26
	s_or_b64 exec, exec, s[20:21]
	v_cmp_gt_u32_e64 s[14:15], 4, v4
	s_and_saveexec_b64 s[20:21], s[14:15]
	s_cbranch_execnz .LBB23_338
	s_branch .LBB23_339
.LBB23_1221:
	v_lshlrev_b32_e32 v27, 2, v19
	v_sub_u32_e32 v27, v26, v27
	v_lshl_add_u32 v27, v18, 2, v27
	ds_read_b32 v27, v27 offset:4448
	ds_read_b32 v28, v26 offset:4164
	s_waitcnt lgkmcnt(0)
	v_fmac_f32_e32 v25, v27, v28
	s_or_b64 exec, exec, s[20:21]
	v_cmp_gt_u32_e64 s[14:15], 48, v4
	s_and_saveexec_b64 s[20:21], s[14:15]
	s_cbranch_execz .LBB23_379
.LBB23_1222:
	v_lshlrev_b32_e32 v27, 2, v19
	v_sub_u32_e32 v27, v26, v27
	v_lshl_add_u32 v27, v18, 2, v27
	ds_read_b32 v27, v27 offset:4704
	ds_read_b32 v28, v26 offset:4168
	s_waitcnt lgkmcnt(0)
	v_fmac_f32_e32 v25, v27, v28
	s_or_b64 exec, exec, s[20:21]
	v_cmp_gt_u32_e64 s[14:15], 40, v4
	s_and_saveexec_b64 s[20:21], s[14:15]
	s_cbranch_execz .LBB23_380
.LBB23_1223:
	v_lshlrev_b32_e32 v27, 2, v19
	v_sub_u32_e32 v27, v26, v27
	v_lshl_add_u32 v27, v18, 2, v27
	ds_read_b32 v27, v27 offset:4960
	ds_read_b32 v28, v26 offset:4172
	s_waitcnt lgkmcnt(0)
	v_fmac_f32_e32 v25, v27, v28
	s_or_b64 exec, exec, s[20:21]
	v_cmp_gt_u32_e64 s[14:15], 32, v4
	s_and_saveexec_b64 s[20:21], s[14:15]
	s_cbranch_execz .LBB23_381
.LBB23_1224:
	ds_read_b32 v27, v15 offset:5216
	ds_read_b32 v28, v26 offset:4176
	s_waitcnt lgkmcnt(0)
	v_fmac_f32_e32 v25, v27, v28
	s_or_b64 exec, exec, s[20:21]
	v_cmp_gt_u32_e64 s[14:15], 24, v4
	s_and_saveexec_b64 s[20:21], s[14:15]
	s_cbranch_execz .LBB23_382
.LBB23_1225:
	v_lshlrev_b32_e32 v27, 2, v19
	v_sub_u32_e32 v27, v26, v27
	v_lshl_add_u32 v27, v18, 2, v27
	ds_read_b32 v27, v27 offset:5472
	ds_read_b32 v28, v26 offset:4180
	s_waitcnt lgkmcnt(0)
	v_fmac_f32_e32 v25, v27, v28
	s_or_b64 exec, exec, s[20:21]
	v_cmp_gt_u32_e64 s[14:15], 16, v4
	s_and_saveexec_b64 s[20:21], s[14:15]
	s_cbranch_execz .LBB23_383
.LBB23_1226:
	ds_read_b32 v27, v15 offset:5728
	ds_read_b32 v26, v26 offset:4184
	s_waitcnt lgkmcnt(0)
	v_fmac_f32_e32 v25, v27, v26
	s_or_b64 exec, exec, s[20:21]
	v_cmp_gt_u32_e64 s[14:15], 8, v4
	s_and_saveexec_b64 s[20:21], s[14:15]
	s_cbranch_execnz .LBB23_384
	s_branch .LBB23_385
.LBB23_1227:
	v_lshlrev_b32_e32 v27, 2, v14
	v_sub_u32_e32 v27, v26, v27
	v_lshl_add_u32 v27, v13, 2, v27
	ds_read_b32 v27, v27 offset:6512
	ds_read_b32 v28, v26 offset:6244
	s_waitcnt lgkmcnt(0)
	v_fmac_f32_e32 v25, v27, v28
	s_or_b64 exec, exec, s[20:21]
	v_cmp_gt_u32_e64 s[14:15], 8, v4
	s_and_saveexec_b64 s[20:21], s[14:15]
	s_cbranch_execz .LBB23_441
.LBB23_1228:
	ds_read_b32 v27, v6 offset:6768
	ds_read_b32 v26, v26 offset:6248
	s_waitcnt lgkmcnt(0)
	v_fmac_f32_e32 v25, v27, v26
	s_or_b64 exec, exec, s[20:21]
	v_cmp_gt_u32_e64 s[14:15], 4, v4
	s_and_saveexec_b64 s[20:21], s[14:15]
	s_cbranch_execnz .LBB23_442
	s_branch .LBB23_443
.LBB23_1229:
	ds_read_b32 v31, v25 offset:7552
	ds_read_b32 v32, v30 offset:116
	s_waitcnt lgkmcnt(0)
	v_fmac_f32_e32 v28, v31, v32
	s_or_b64 exec, exec, s[84:85]
	v_cmp_gt_u32_e64 s[20:21], 64, v4
	s_and_saveexec_b64 s[84:85], s[20:21]
	s_cbranch_execz .LBB23_539
.LBB23_1230:
	ds_read_b32 v31, v25 offset:7808
	ds_read_b32 v30, v30 offset:120
	s_waitcnt lgkmcnt(0)
	v_fmac_f32_e32 v28, v31, v30
	s_or_b64 exec, exec, s[84:85]
	v_cmp_gt_u32_e64 s[20:21], 32, v4
	s_and_saveexec_b64 s[84:85], s[20:21]
	s_cbranch_execnz .LBB23_540
	s_branch .LBB23_541
.LBB23_1231:
	v_lshlrev_b32_e32 v27, 2, v14
	v_sub_u32_e32 v27, v26, v27
	v_lshl_add_u32 v27, v13, 2, v27
	ds_read_b32 v27, v27 offset:8592
	ds_read_b32 v28, v26 offset:8324
	s_waitcnt lgkmcnt(0)
	v_fmac_f32_e32 v25, v27, v28
	s_or_b64 exec, exec, s[16:17]
	v_cmp_gt_u32_e64 s[12:13], 8, v4
	s_and_saveexec_b64 s[16:17], s[12:13]
	s_cbranch_execz .LBB23_693
.LBB23_1232:
	ds_read_b32 v27, v6 offset:8848
	ds_read_b32 v26, v26 offset:8328
	s_waitcnt lgkmcnt(0)
	v_fmac_f32_e32 v25, v27, v26
	s_or_b64 exec, exec, s[16:17]
	v_cmp_gt_u32_e64 s[12:13], 4, v4
	s_and_saveexec_b64 s[16:17], s[12:13]
	s_cbranch_execnz .LBB23_694
	s_branch .LBB23_695
.LBB23_1233:
	v_lshlrev_b32_e32 v27, 2, v19
	v_sub_u32_e32 v27, v26, v27
	v_lshl_add_u32 v27, v18, 2, v27
	ds_read_b32 v27, v27 offset:8608
	ds_read_b32 v28, v26 offset:8324
	s_waitcnt lgkmcnt(0)
	v_fmac_f32_e32 v25, v27, v28
	s_or_b64 exec, exec, s[16:17]
	v_cmp_gt_u32_e64 s[12:13], 48, v4
	s_and_saveexec_b64 s[16:17], s[12:13]
	s_cbranch_execz .LBB23_735
.LBB23_1234:
	v_lshlrev_b32_e32 v27, 2, v19
	v_sub_u32_e32 v27, v26, v27
	v_lshl_add_u32 v27, v18, 2, v27
	ds_read_b32 v27, v27 offset:8864
	ds_read_b32 v28, v26 offset:8328
	s_waitcnt lgkmcnt(0)
	v_fmac_f32_e32 v25, v27, v28
	s_or_b64 exec, exec, s[16:17]
	v_cmp_gt_u32_e64 s[12:13], 40, v4
	s_and_saveexec_b64 s[16:17], s[12:13]
	s_cbranch_execz .LBB23_736
.LBB23_1235:
	v_lshlrev_b32_e32 v27, 2, v19
	v_sub_u32_e32 v27, v26, v27
	v_lshl_add_u32 v27, v18, 2, v27
	ds_read_b32 v27, v27 offset:9120
	ds_read_b32 v28, v26 offset:8332
	s_waitcnt lgkmcnt(0)
	v_fmac_f32_e32 v25, v27, v28
	s_or_b64 exec, exec, s[16:17]
	v_cmp_gt_u32_e64 s[12:13], 32, v4
	s_and_saveexec_b64 s[16:17], s[12:13]
	s_cbranch_execz .LBB23_737
.LBB23_1236:
	ds_read_b32 v27, v15 offset:9376
	ds_read_b32 v28, v26 offset:8336
	s_waitcnt lgkmcnt(0)
	v_fmac_f32_e32 v25, v27, v28
	s_or_b64 exec, exec, s[16:17]
	v_cmp_gt_u32_e64 s[12:13], 24, v4
	s_and_saveexec_b64 s[16:17], s[12:13]
	s_cbranch_execz .LBB23_738
.LBB23_1237:
	v_lshlrev_b32_e32 v27, 2, v19
	v_sub_u32_e32 v27, v26, v27
	v_lshl_add_u32 v27, v18, 2, v27
	ds_read_b32 v27, v27 offset:9632
	ds_read_b32 v28, v26 offset:8340
	s_waitcnt lgkmcnt(0)
	v_fmac_f32_e32 v25, v27, v28
	s_or_b64 exec, exec, s[16:17]
	v_cmp_gt_u32_e64 s[12:13], 16, v4
	s_and_saveexec_b64 s[16:17], s[12:13]
	s_cbranch_execz .LBB23_739
.LBB23_1238:
	ds_read_b32 v27, v15 offset:9888
	ds_read_b32 v26, v26 offset:8344
	s_waitcnt lgkmcnt(0)
	v_fmac_f32_e32 v25, v27, v26
	s_or_b64 exec, exec, s[16:17]
	v_cmp_gt_u32_e64 s[12:13], 8, v4
	s_and_saveexec_b64 s[16:17], s[12:13]
	s_cbranch_execnz .LBB23_740
	s_branch .LBB23_741
.LBB23_1239:
	v_lshlrev_b32_e32 v27, 2, v14
	v_sub_u32_e32 v27, v26, v27
	v_lshl_add_u32 v27, v13, 2, v27
	ds_read_b32 v27, v27 offset:10672
	ds_read_b32 v28, v26 offset:10404
	s_waitcnt lgkmcnt(0)
	v_fmac_f32_e32 v25, v27, v28
	s_or_b64 exec, exec, s[16:17]
	v_cmp_gt_u32_e64 s[12:13], 8, v4
	s_and_saveexec_b64 s[16:17], s[12:13]
	s_cbranch_execz .LBB23_797
.LBB23_1240:
	ds_read_b32 v27, v6 offset:10928
	ds_read_b32 v26, v26 offset:10408
	s_waitcnt lgkmcnt(0)
	v_fmac_f32_e32 v25, v27, v26
	s_or_b64 exec, exec, s[16:17]
	v_cmp_gt_u32_e64 s[12:13], 4, v4
	s_and_saveexec_b64 s[16:17], s[12:13]
	s_cbranch_execnz .LBB23_798
	s_branch .LBB23_799
.LBB23_1241:
	v_lshlrev_b32_e32 v24, 2, v21
	v_lshl_add_u32 v24, v23, 2, v24
	ds_read_b32 v24, v24 offset:11200
	ds_read_b32 v27, v26 offset:8364
	s_waitcnt lgkmcnt(0)
	v_fmac_f32_e32 v25, v24, v27
	s_or_b64 exec, exec, s[16:17]
	v_cmp_gt_u32_e64 s[12:13], 64, v4
	s_and_saveexec_b64 s[16:17], s[12:13]
	s_cbranch_execz .LBB23_859
.LBB23_1242:
	ds_read_b32 v24, v20 offset:11456
	ds_read_b32 v27, v26 offset:8368
	s_waitcnt lgkmcnt(0)
	v_fmac_f32_e32 v25, v24, v27
	s_or_b64 exec, exec, s[16:17]
	v_cmp_gt_u32_e64 s[12:13], 48, v4
	s_and_saveexec_b64 s[16:17], s[12:13]
	s_cbranch_execz .LBB23_860
.LBB23_1243:
	v_lshlrev_b32_e32 v24, 2, v21
	v_lshl_add_u32 v23, v23, 2, v24
	ds_read_b32 v23, v23 offset:11712
	ds_read_b32 v24, v26 offset:8372
	s_waitcnt lgkmcnt(0)
	v_fmac_f32_e32 v25, v23, v24
	s_or_b64 exec, exec, s[16:17]
	v_cmp_gt_u32_e64 s[12:13], 32, v4
	s_and_saveexec_b64 s[16:17], s[12:13]
	s_cbranch_execz .LBB23_861
.LBB23_1244:
	ds_read_b32 v23, v20 offset:11968
	ds_read_b32 v24, v26 offset:8376
	s_waitcnt lgkmcnt(0)
	v_fmac_f32_e32 v25, v23, v24
	s_or_b64 exec, exec, s[16:17]
	v_cmp_gt_u32_e64 s[12:13], 16, v4
	s_and_saveexec_b64 s[16:17], s[12:13]
	s_cbranch_execnz .LBB23_862
	s_branch .LBB23_863
.LBB23_1245:
	v_lshlrev_b32_e32 v22, 2, v14
	v_sub_u32_e32 v22, v21, v22
	v_lshl_add_u32 v22, v13, 2, v22
	ds_read_b32 v22, v22 offset:12752
	ds_read_b32 v23, v21 offset:12484
	s_waitcnt lgkmcnt(0)
	v_fmac_f32_e32 v20, v22, v23
	s_or_b64 exec, exec, s[12:13]
	v_cmp_gt_u32_e64 s[10:11], 8, v4
	s_and_saveexec_b64 s[12:13], s[10:11]
	s_cbranch_execz .LBB23_951
.LBB23_1246:
	ds_read_b32 v22, v6 offset:13008
	ds_read_b32 v21, v21 offset:12488
	s_waitcnt lgkmcnt(0)
	v_fmac_f32_e32 v20, v22, v21
	s_or_b64 exec, exec, s[12:13]
	v_cmp_gt_u32_e64 s[10:11], 4, v4
	s_and_saveexec_b64 s[12:13], s[10:11]
	s_cbranch_execnz .LBB23_952
	s_branch .LBB23_953
.LBB23_1247:
	v_lshlrev_b32_e32 v22, 2, v19
	v_sub_u32_e32 v22, v21, v22
	v_lshl_add_u32 v22, v18, 2, v22
	ds_read_b32 v22, v22 offset:12768
	ds_read_b32 v23, v21 offset:12484
	s_waitcnt lgkmcnt(0)
	v_fmac_f32_e32 v20, v22, v23
	s_or_b64 exec, exec, s[12:13]
	v_cmp_gt_u32_e64 s[10:11], 48, v4
	s_and_saveexec_b64 s[12:13], s[10:11]
	s_cbranch_execz .LBB23_993
.LBB23_1248:
	v_lshlrev_b32_e32 v22, 2, v19
	v_sub_u32_e32 v22, v21, v22
	v_lshl_add_u32 v22, v18, 2, v22
	ds_read_b32 v22, v22 offset:13024
	ds_read_b32 v23, v21 offset:12488
	s_waitcnt lgkmcnt(0)
	v_fmac_f32_e32 v20, v22, v23
	s_or_b64 exec, exec, s[12:13]
	v_cmp_gt_u32_e64 s[10:11], 40, v4
	s_and_saveexec_b64 s[12:13], s[10:11]
	s_cbranch_execz .LBB23_994
.LBB23_1249:
	v_lshlrev_b32_e32 v22, 2, v19
	v_sub_u32_e32 v22, v21, v22
	v_lshl_add_u32 v22, v18, 2, v22
	ds_read_b32 v22, v22 offset:13280
	ds_read_b32 v23, v21 offset:12492
	s_waitcnt lgkmcnt(0)
	v_fmac_f32_e32 v20, v22, v23
	s_or_b64 exec, exec, s[12:13]
	v_cmp_gt_u32_e64 s[10:11], 32, v4
	s_and_saveexec_b64 s[12:13], s[10:11]
	s_cbranch_execz .LBB23_995
.LBB23_1250:
	ds_read_b32 v22, v15 offset:13536
	ds_read_b32 v23, v21 offset:12496
	s_waitcnt lgkmcnt(0)
	v_fmac_f32_e32 v20, v22, v23
	s_or_b64 exec, exec, s[12:13]
	v_cmp_gt_u32_e64 s[10:11], 24, v4
	s_and_saveexec_b64 s[12:13], s[10:11]
	s_cbranch_execz .LBB23_996
.LBB23_1251:
	v_lshlrev_b32_e32 v19, 2, v19
	v_sub_u32_e32 v19, v21, v19
	v_lshl_add_u32 v18, v18, 2, v19
	ds_read_b32 v18, v18 offset:13792
	ds_read_b32 v19, v21 offset:12500
	s_waitcnt lgkmcnt(0)
	v_fmac_f32_e32 v20, v18, v19
	s_or_b64 exec, exec, s[12:13]
	v_cmp_gt_u32_e64 s[10:11], 16, v4
	s_and_saveexec_b64 s[12:13], s[10:11]
	s_cbranch_execz .LBB23_997
.LBB23_1252:
	ds_read_b32 v18, v15 offset:14048
	ds_read_b32 v19, v21 offset:12504
	s_waitcnt lgkmcnt(0)
	v_fmac_f32_e32 v20, v18, v19
	s_or_b64 exec, exec, s[12:13]
	v_cmp_gt_u32_e64 s[10:11], 8, v4
	s_and_saveexec_b64 s[12:13], s[10:11]
	s_cbranch_execnz .LBB23_998
	s_branch .LBB23_999
.LBB23_1253:
	v_lshlrev_b32_e32 v14, 2, v14
	v_sub_u32_e32 v14, v16, v14
	v_lshl_add_u32 v13, v13, 2, v14
	ds_read_b32 v13, v13 offset:14832
	ds_read_b32 v14, v16 offset:14564
	s_waitcnt lgkmcnt(0)
	v_fmac_f32_e32 v15, v13, v14
	s_or_b64 exec, exec, s[10:11]
	v_cmp_gt_u32_e64 s[8:9], 8, v4
	s_and_saveexec_b64 s[10:11], s[8:9]
	s_cbranch_execz .LBB23_1055
.LBB23_1254:
	ds_read_b32 v13, v6 offset:15088
	ds_read_b32 v14, v16 offset:14568
	s_waitcnt lgkmcnt(0)
	v_fmac_f32_e32 v15, v13, v14
	s_or_b64 exec, exec, s[10:11]
	v_cmp_gt_u32_e64 s[8:9], 4, v4
	s_and_saveexec_b64 s[10:11], s[8:9]
	s_cbranch_execnz .LBB23_1056
	s_branch .LBB23_1057
	.section	.rodata,"a",@progbits
	.p2align	6, 0x0
	.amdhsa_kernel _ZL19rocblas_trsv_deviceILi64ELi16ELb1ELb1ELb0ELb0EffPKfPfEviT7_lllT6_T8_lllPii
		.amdhsa_group_segment_fixed_size 20740
		.amdhsa_private_segment_fixed_size 0
		.amdhsa_kernarg_size 352
		.amdhsa_user_sgpr_count 6
		.amdhsa_user_sgpr_private_segment_buffer 1
		.amdhsa_user_sgpr_dispatch_ptr 0
		.amdhsa_user_sgpr_queue_ptr 0
		.amdhsa_user_sgpr_kernarg_segment_ptr 1
		.amdhsa_user_sgpr_dispatch_id 0
		.amdhsa_user_sgpr_flat_scratch_init 0
		.amdhsa_user_sgpr_private_segment_size 0
		.amdhsa_uses_dynamic_stack 0
		.amdhsa_system_sgpr_private_segment_wavefront_offset 0
		.amdhsa_system_sgpr_workgroup_id_x 1
		.amdhsa_system_sgpr_workgroup_id_y 0
		.amdhsa_system_sgpr_workgroup_id_z 1
		.amdhsa_system_sgpr_workgroup_info 0
		.amdhsa_system_vgpr_workitem_id 1
		.amdhsa_next_free_vgpr 34
		.amdhsa_next_free_sgpr 96
		.amdhsa_reserve_vcc 1
		.amdhsa_reserve_flat_scratch 0
		.amdhsa_float_round_mode_32 0
		.amdhsa_float_round_mode_16_64 0
		.amdhsa_float_denorm_mode_32 3
		.amdhsa_float_denorm_mode_16_64 3
		.amdhsa_dx10_clamp 1
		.amdhsa_ieee_mode 1
		.amdhsa_fp16_overflow 0
		.amdhsa_exception_fp_ieee_invalid_op 0
		.amdhsa_exception_fp_denorm_src 0
		.amdhsa_exception_fp_ieee_div_zero 0
		.amdhsa_exception_fp_ieee_overflow 0
		.amdhsa_exception_fp_ieee_underflow 0
		.amdhsa_exception_fp_ieee_inexact 0
		.amdhsa_exception_int_div_zero 0
	.end_amdhsa_kernel
	.section	.text._ZL19rocblas_trsv_deviceILi64ELi16ELb1ELb1ELb0ELb0EffPKfPfEviT7_lllT6_T8_lllPii,"axG",@progbits,_ZL19rocblas_trsv_deviceILi64ELi16ELb1ELb1ELb0ELb0EffPKfPfEviT7_lllT6_T8_lllPii,comdat
.Lfunc_end23:
	.size	_ZL19rocblas_trsv_deviceILi64ELi16ELb1ELb1ELb0ELb0EffPKfPfEviT7_lllT6_T8_lllPii, .Lfunc_end23-_ZL19rocblas_trsv_deviceILi64ELi16ELb1ELb1ELb0ELb0EffPKfPfEviT7_lllT6_T8_lllPii
                                        ; -- End function
	.set _ZL19rocblas_trsv_deviceILi64ELi16ELb1ELb1ELb0ELb0EffPKfPfEviT7_lllT6_T8_lllPii.num_vgpr, 34
	.set _ZL19rocblas_trsv_deviceILi64ELi16ELb1ELb1ELb0ELb0EffPKfPfEviT7_lllT6_T8_lllPii.num_agpr, 0
	.set _ZL19rocblas_trsv_deviceILi64ELi16ELb1ELb1ELb0ELb0EffPKfPfEviT7_lllT6_T8_lllPii.numbered_sgpr, 96
	.set _ZL19rocblas_trsv_deviceILi64ELi16ELb1ELb1ELb0ELb0EffPKfPfEviT7_lllT6_T8_lllPii.num_named_barrier, 0
	.set _ZL19rocblas_trsv_deviceILi64ELi16ELb1ELb1ELb0ELb0EffPKfPfEviT7_lllT6_T8_lllPii.private_seg_size, 0
	.set _ZL19rocblas_trsv_deviceILi64ELi16ELb1ELb1ELb0ELb0EffPKfPfEviT7_lllT6_T8_lllPii.uses_vcc, 1
	.set _ZL19rocblas_trsv_deviceILi64ELi16ELb1ELb1ELb0ELb0EffPKfPfEviT7_lllT6_T8_lllPii.uses_flat_scratch, 0
	.set _ZL19rocblas_trsv_deviceILi64ELi16ELb1ELb1ELb0ELb0EffPKfPfEviT7_lllT6_T8_lllPii.has_dyn_sized_stack, 0
	.set _ZL19rocblas_trsv_deviceILi64ELi16ELb1ELb1ELb0ELb0EffPKfPfEviT7_lllT6_T8_lllPii.has_recursion, 0
	.set _ZL19rocblas_trsv_deviceILi64ELi16ELb1ELb1ELb0ELb0EffPKfPfEviT7_lllT6_T8_lllPii.has_indirect_call, 0
	.section	.AMDGPU.csdata,"",@progbits
; Kernel info:
; codeLenInByte = 39316
; TotalNumSgprs: 100
; NumVgprs: 34
; ScratchSize: 0
; MemoryBound: 0
; FloatMode: 240
; IeeeMode: 1
; LDSByteSize: 20740 bytes/workgroup (compile time only)
; SGPRBlocks: 12
; VGPRBlocks: 8
; NumSGPRsForWavesPerEU: 100
; NumVGPRsForWavesPerEU: 34
; Occupancy: 7
; WaveLimiterHint : 0
; COMPUTE_PGM_RSRC2:SCRATCH_EN: 0
; COMPUTE_PGM_RSRC2:USER_SGPR: 6
; COMPUTE_PGM_RSRC2:TRAP_HANDLER: 0
; COMPUTE_PGM_RSRC2:TGID_X_EN: 1
; COMPUTE_PGM_RSRC2:TGID_Y_EN: 0
; COMPUTE_PGM_RSRC2:TGID_Z_EN: 1
; COMPUTE_PGM_RSRC2:TIDIG_COMP_CNT: 1
	.section	.text._ZL19rocblas_trsv_deviceILi64ELi16ELb1ELb1ELb1ELb0EffPKfPfEviT7_lllT6_T8_lllPii,"axG",@progbits,_ZL19rocblas_trsv_deviceILi64ELi16ELb1ELb1ELb1ELb0EffPKfPfEviT7_lllT6_T8_lllPii,comdat
	.globl	_ZL19rocblas_trsv_deviceILi64ELi16ELb1ELb1ELb1ELb0EffPKfPfEviT7_lllT6_T8_lllPii ; -- Begin function _ZL19rocblas_trsv_deviceILi64ELi16ELb1ELb1ELb1ELb0EffPKfPfEviT7_lllT6_T8_lllPii
	.p2align	8
	.type	_ZL19rocblas_trsv_deviceILi64ELi16ELb1ELb1ELb1ELb0EffPKfPfEviT7_lllT6_T8_lllPii,@function
_ZL19rocblas_trsv_deviceILi64ELi16ELb1ELb1ELb1ELb0EffPKfPfEviT7_lllT6_T8_lllPii: ; @_ZL19rocblas_trsv_deviceILi64ELi16ELb1ELb1ELb1ELb0EffPKfPfEviT7_lllT6_T8_lllPii
; %bb.0:
	s_load_dwordx8 s[20:27], s[4:5], 0x8
	s_load_dword s30, s[4:5], 0x0
	s_mov_b32 s28, s7
	v_mov_b32_e32 v2, v1
	s_mov_b32 s29, 0
	s_waitcnt lgkmcnt(0)
	s_mul_i32 s0, s27, s7
	s_mul_hi_u32 s1, s26, s7
	s_add_i32 s1, s1, s0
	s_mul_i32 s0, s26, s7
	s_load_dword s7, s[4:5], 0x60
	s_lshl_b64 s[0:1], s[0:1], 2
	s_add_u32 s2, s20, s0
	s_addc_u32 s3, s21, s1
	s_lshl_b64 s[0:1], s[22:23], 2
	s_load_dword s20, s[4:5], 0x6c
	s_add_u32 s87, s2, s0
	s_addc_u32 s88, s3, s1
	s_waitcnt lgkmcnt(0)
	s_add_i32 s7, s7, -1
	s_sub_i32 s89, s7, s6
	s_cmp_lg_u32 s6, 0
	s_cbranch_scc0 .LBB24_1164
; %bb.1:
	s_lshl_b32 s33, s89, 6
	v_add_u32_e32 v1, s33, v0
	v_ashrrev_i32_e32 v3, 31, v1
	v_mul_lo_u32 v7, s24, v3
	v_mul_lo_u32 v8, s25, v1
	v_mad_u64_u32 v[5:6], s[0:1], s24, v1, 0
	v_add3_u32 v3, v2, s33, 64
	v_ashrrev_i32_e32 v4, 31, v3
	v_add3_u32 v6, v6, v7, v8
	v_lshlrev_b64 v[5:6], 2, v[5:6]
	v_cmp_gt_i32_e32 vcc, s30, v1
	v_mov_b32_e32 v1, s88
	v_add_co_u32_e64 v7, s[0:1], s87, v5
	v_lshlrev_b64 v[4:5], 2, v[3:4]
	v_addc_co_u32_e64 v1, s[0:1], v1, v6, s[0:1]
	v_add_co_u32_e64 v4, s[0:1], v7, v4
	v_addc_co_u32_e64 v5, s[0:1], v1, v5, s[0:1]
	v_cmp_gt_i32_e64 s[0:1], s30, v3
	s_and_b64 s[2:3], s[0:1], vcc
	v_mov_b32_e32 v7, 0
	v_mov_b32_e32 v8, 0
	s_barrier
	s_and_saveexec_b64 s[0:1], s[2:3]
	s_cbranch_execz .LBB24_3
; %bb.2:
	global_load_dword v8, v[4:5], off
.LBB24_3:
	s_or_b64 exec, exec, s[0:1]
	v_add_u32_e32 v1, 16, v3
	v_cmp_gt_i32_e64 s[0:1], s30, v1
	s_and_b64 s[2:3], s[0:1], vcc
	s_waitcnt vmcnt(0)
	s_barrier
	s_and_saveexec_b64 s[0:1], s[2:3]
	s_cbranch_execz .LBB24_5
; %bb.4:
	global_load_dword v7, v[4:5], off offset:64
.LBB24_5:
	s_or_b64 exec, exec, s[0:1]
	v_add_u32_e32 v1, 32, v3
	v_cmp_gt_i32_e64 s[0:1], s30, v1
	s_and_b64 s[2:3], s[0:1], vcc
	v_mov_b32_e32 v9, 0
	v_mov_b32_e32 v10, 0
	s_waitcnt vmcnt(0)
	s_barrier
	s_and_saveexec_b64 s[0:1], s[2:3]
	s_cbranch_execz .LBB24_7
; %bb.6:
	global_load_dword v10, v[4:5], off offset:128
.LBB24_7:
	s_or_b64 exec, exec, s[0:1]
	v_add_u32_e32 v1, 48, v3
	v_cmp_gt_i32_e64 s[0:1], s30, v1
	s_and_b64 s[2:3], s[0:1], vcc
	s_waitcnt vmcnt(0)
	s_barrier
	s_and_saveexec_b64 s[0:1], s[2:3]
	s_cbranch_execz .LBB24_9
; %bb.8:
	global_load_dword v9, v[4:5], off offset:192
.LBB24_9:
	s_or_b64 exec, exec, s[0:1]
	s_branch .LBB24_11
.LBB24_10:
	s_lshl_b32 s33, s89, 6
                                        ; implicit-def: $vgpr8
                                        ; implicit-def: $vgpr7
                                        ; implicit-def: $vgpr10
                                        ; implicit-def: $vgpr9
.LBB24_11:
	s_ashr_i32 s31, s30, 31
	s_lshr_b32 s0, s31, 26
	s_add_i32 s0, s30, s0
	s_andn2_b32 s0, s0, 63
	s_sub_i32 s86, s30, s0
	s_add_i32 s0, s30, -1
	s_ashr_i32 s1, s0, 31
	s_lshr_b32 s1, s1, 26
	s_add_i32 s0, s0, s1
	s_ashr_i32 s0, s0, 6
	s_cmp_eq_u32 s0, s89
	s_cselect_b64 s[0:1], -1, 0
	s_cmp_lg_u32 s86, 0
	s_cselect_b64 s[2:3], -1, 0
	s_and_b64 s[22:23], s[2:3], s[0:1]
	s_cmp_lt_i32 s6, 5
	s_cselect_b64 s[2:3], -1, 0
	s_or_b64 s[0:1], s[2:3], s[22:23]
	s_ashr_i32 s40, s33, 31
	s_add_u32 s10, s24, 1
	v_mov_b32_e32 v1, 0
	v_mov_b32_e32 v3, s33
	v_mad_u64_u32 v[3:4], s[8:9], s10, v3, v[0:1]
	s_addc_u32 s11, s25, 0
	s_mul_i32 s8, s10, s40
	s_mul_i32 s11, s11, s33
	s_add_i32 s8, s8, s11
	s_mov_b64 s[12:13], -1
	v_lshlrev_b32_e32 v11, 6, v0
	v_add_u32_e32 v4, s8, v4
	s_and_b64 vcc, exec, s[22:23]
	v_cmp_le_u32_e64 s[8:9], v0, v2
	s_cbranch_vccnz .LBB24_33
; %bb.12:
	v_mad_u64_u32 v[5:6], s[10:11], s24, v2, v[3:4]
	v_mov_b32_e32 v1, v6
	v_mad_u64_u32 v[12:13], s[10:11], s25, v2, v[1:2]
	s_mov_b64 s[10:11], 0
                                        ; implicit-def: $vgpr1
	v_mov_b32_e32 v6, v12
	s_and_saveexec_b64 s[12:13], s[8:9]
	s_xor_b64 s[8:9], exec, s[12:13]
	s_cbranch_execnz .LBB24_1165
; %bb.13:
	s_andn2_saveexec_b64 s[8:9], s[8:9]
	s_cbranch_execnz .LBB24_1170
.LBB24_14:
	s_or_b64 exec, exec, s[8:9]
	s_and_saveexec_b64 s[8:9], s[10:11]
.LBB24_15:
	v_add_u32_e32 v5, v2, v11
	v_lshl_add_u32 v6, v2, 6, v0
	v_cndmask_b32_e64 v5, v6, v5, s[2:3]
	v_lshlrev_b32_e32 v5, 2, v5
	ds_write_b32 v5, v1
.LBB24_16:
	s_or_b64 exec, exec, s[8:9]
	v_add_u32_e32 v1, 16, v2
	v_mad_u64_u32 v[5:6], s[2:3], s24, v1, v[3:4]
	v_cmp_le_u32_e32 vcc, v0, v1
	s_mov_b64 s[8:9], 0
	v_mad_u64_u32 v[12:13], s[2:3], s25, v1, v[6:7]
	v_mov_b32_e32 v6, v12
                                        ; implicit-def: $vgpr12
	s_and_saveexec_b64 s[2:3], vcc
	s_xor_b64 s[2:3], exec, s[2:3]
	s_cbranch_execnz .LBB24_1171
; %bb.17:
	s_andn2_saveexec_b64 s[2:3], s[2:3]
	s_cbranch_execnz .LBB24_1176
.LBB24_18:
	s_or_b64 exec, exec, s[2:3]
	s_and_saveexec_b64 s[2:3], s[8:9]
.LBB24_19:
	v_add_u32_e32 v5, v1, v11
	v_lshl_add_u32 v1, v1, 6, v0
	v_cndmask_b32_e64 v1, v1, v5, s[0:1]
	v_lshlrev_b32_e32 v1, 2, v1
	ds_write_b32 v1, v12
.LBB24_20:
	s_or_b64 exec, exec, s[2:3]
	v_add_u32_e32 v1, 32, v2
	v_mad_u64_u32 v[5:6], s[2:3], s24, v1, v[3:4]
	v_cmp_le_u32_e32 vcc, v0, v1
	s_mov_b64 s[8:9], 0
	v_mad_u64_u32 v[12:13], s[2:3], s25, v1, v[6:7]
	v_mov_b32_e32 v6, v12
                                        ; implicit-def: $vgpr12
	s_and_saveexec_b64 s[2:3], vcc
	s_xor_b64 s[2:3], exec, s[2:3]
	s_cbranch_execnz .LBB24_1177
; %bb.21:
	s_andn2_saveexec_b64 s[2:3], s[2:3]
	s_cbranch_execnz .LBB24_1182
.LBB24_22:
	s_or_b64 exec, exec, s[2:3]
	s_and_saveexec_b64 s[2:3], s[8:9]
.LBB24_23:
	v_add_u32_e32 v5, v1, v11
	v_lshl_add_u32 v1, v1, 6, v0
	v_cndmask_b32_e64 v1, v1, v5, s[0:1]
	v_lshlrev_b32_e32 v1, 2, v1
	ds_write_b32 v1, v12
.LBB24_24:
	s_or_b64 exec, exec, s[2:3]
	v_add_u32_e32 v12, 48, v2
	v_mad_u64_u32 v[5:6], s[2:3], s24, v12, v[3:4]
	v_cmp_le_u32_e32 vcc, v0, v12
	s_mov_b64 s[10:11], 0
	v_mov_b32_e32 v1, v6
	v_mad_u64_u32 v[13:14], s[2:3], s25, v12, v[1:2]
                                        ; implicit-def: $vgpr1
	v_mov_b32_e32 v6, v13
	s_and_saveexec_b64 s[2:3], vcc
	s_xor_b64 s[2:3], exec, s[2:3]
	s_cbranch_execz .LBB24_30
; %bb.25:
	v_cmp_ne_u32_e32 vcc, v0, v12
	s_mov_b64 s[8:9], 0
	s_and_saveexec_b64 s[10:11], vcc
	s_xor_b64 s[10:11], exec, s[10:11]
; %bb.26:
	v_or_b32_e32 v1, v12, v0
	v_cmp_gt_u32_e32 vcc, 64, v1
	s_and_b64 s[8:9], vcc, exec
                                        ; implicit-def: $vgpr5_vgpr6
; %bb.27:
	s_or_saveexec_b64 s[10:11], s[10:11]
	v_mov_b32_e32 v1, 0
	s_xor_b64 exec, exec, s[10:11]
	s_cbranch_execz .LBB24_29
; %bb.28:
	v_lshlrev_b64 v[5:6], 2, v[5:6]
	v_mov_b32_e32 v1, s88
	v_add_co_u32_e32 v5, vcc, s87, v5
	v_addc_co_u32_e32 v6, vcc, v1, v6, vcc
	global_load_dword v1, v[5:6], off
	s_or_b64 s[8:9], s[8:9], exec
	s_waitcnt vmcnt(0)
	v_div_scale_f32 v5, s[12:13], v1, v1, 1.0
	v_div_scale_f32 v6, vcc, 1.0, v1, 1.0
	v_rcp_f32_e32 v13, v5
	v_fma_f32 v14, -v5, v13, 1.0
	v_fmac_f32_e32 v13, v14, v13
	v_mul_f32_e32 v14, v6, v13
	v_fma_f32 v15, -v5, v14, v6
	v_fmac_f32_e32 v14, v15, v13
	v_fma_f32 v5, -v5, v14, v6
	v_div_fmas_f32 v5, v5, v13, v14
	v_div_fixup_f32 v1, v5, v1, 1.0
.LBB24_29:
	s_or_b64 exec, exec, s[10:11]
	s_and_b64 s[10:11], s[8:9], exec
                                        ; implicit-def: $vgpr5_vgpr6
.LBB24_30:
	s_or_saveexec_b64 s[2:3], s[2:3]
	v_add_u32_e32 v13, v12, v11
	v_lshl_add_u32 v12, v12, 6, v0
	s_xor_b64 exec, exec, s[2:3]
	s_cbranch_execz .LBB24_32
; %bb.31:
	v_lshlrev_b64 v[5:6], 2, v[5:6]
	v_mov_b32_e32 v1, s88
	v_add_co_u32_e32 v5, vcc, s87, v5
	v_addc_co_u32_e32 v6, vcc, v1, v6, vcc
	global_load_dword v1, v[5:6], off
	s_or_b64 s[10:11], s[10:11], exec
	s_waitcnt vmcnt(0)
	v_xor_b32_e32 v1, 0x80000000, v1
.LBB24_32:
	s_or_b64 exec, exec, s[2:3]
	v_cndmask_b32_e64 v5, v12, v13, s[0:1]
	s_branch .LBB24_55
.LBB24_33:
	s_mov_b64 s[10:11], 0
                                        ; implicit-def: $vgpr1
                                        ; implicit-def: $vgpr5
	s_and_b64 vcc, exec, s[12:13]
	s_cbranch_vccz .LBB24_55
; %bb.34:
	v_mad_u64_u32 v[5:6], s[2:3], s24, v2, v[3:4]
	v_cmp_le_u32_e32 vcc, v0, v2
	v_cmp_gt_i32_e64 s[2:3], s86, v0
	v_mov_b32_e32 v1, v6
	v_mad_u64_u32 v[12:13], s[8:9], s25, v2, v[1:2]
	v_max_i32_e32 v1, v2, v0
	v_cmp_le_i32_e64 s[8:9], s86, v1
	v_mov_b32_e32 v6, v12
	s_or_b64 s[8:9], s[8:9], vcc
	s_mov_b64 s[12:13], 0
                                        ; implicit-def: $vgpr1
	s_and_saveexec_b64 s[14:15], s[8:9]
	s_xor_b64 s[8:9], exec, s[14:15]
	s_cbranch_execnz .LBB24_1183
; %bb.35:
	s_andn2_saveexec_b64 s[8:9], s[8:9]
	s_cbranch_execnz .LBB24_1188
.LBB24_36:
	s_or_b64 exec, exec, s[8:9]
	s_and_saveexec_b64 s[8:9], s[12:13]
.LBB24_37:
	v_lshlrev_b32_e32 v5, 2, v11
	v_lshl_add_u32 v5, v2, 2, v5
	ds_write_b32 v5, v1
.LBB24_38:
	s_or_b64 exec, exec, s[8:9]
	v_add_u32_e32 v1, 16, v2
	v_mad_u64_u32 v[5:6], s[8:9], s24, v1, v[3:4]
	v_cmp_gt_u32_e32 vcc, v0, v1
	s_mov_b64 s[12:13], 0
	v_mad_u64_u32 v[12:13], s[8:9], s25, v1, v[6:7]
	v_cmp_gt_i32_e64 s[8:9], s86, v1
	s_and_b64 s[8:9], vcc, s[8:9]
	s_and_b64 s[8:9], s[2:3], s[8:9]
	v_mov_b32_e32 v6, v12
	s_xor_b64 s[8:9], s[8:9], -1
                                        ; implicit-def: $vgpr12
	s_and_saveexec_b64 s[14:15], s[8:9]
	s_xor_b64 s[8:9], exec, s[14:15]
	s_cbranch_execnz .LBB24_1189
; %bb.39:
	s_andn2_saveexec_b64 s[8:9], s[8:9]
	s_cbranch_execnz .LBB24_1194
.LBB24_40:
	s_or_b64 exec, exec, s[8:9]
	s_and_saveexec_b64 s[8:9], s[12:13]
.LBB24_41:
	v_add_u32_e32 v5, v1, v11
	v_lshl_add_u32 v1, v1, 6, v0
	v_cndmask_b32_e64 v1, v1, v5, s[0:1]
	v_lshlrev_b32_e32 v1, 2, v1
	ds_write_b32 v1, v12
.LBB24_42:
	s_or_b64 exec, exec, s[8:9]
	v_add_u32_e32 v1, 32, v2
	v_mad_u64_u32 v[5:6], s[8:9], s24, v1, v[3:4]
	v_cmp_gt_u32_e32 vcc, v0, v1
	s_mov_b64 s[12:13], 0
	v_mad_u64_u32 v[12:13], s[8:9], s25, v1, v[6:7]
	v_cmp_gt_i32_e64 s[8:9], s86, v1
	s_and_b64 s[8:9], vcc, s[8:9]
	s_and_b64 s[8:9], s[2:3], s[8:9]
	v_mov_b32_e32 v6, v12
	s_xor_b64 s[8:9], s[8:9], -1
                                        ; implicit-def: $vgpr12
	s_and_saveexec_b64 s[14:15], s[8:9]
	s_xor_b64 s[8:9], exec, s[14:15]
	s_cbranch_execnz .LBB24_1195
; %bb.43:
	s_andn2_saveexec_b64 s[8:9], s[8:9]
	s_cbranch_execnz .LBB24_1200
.LBB24_44:
	s_or_b64 exec, exec, s[8:9]
	s_and_saveexec_b64 s[8:9], s[12:13]
.LBB24_45:
	v_add_u32_e32 v5, v1, v11
	v_lshl_add_u32 v1, v1, 6, v0
	v_cndmask_b32_e64 v1, v1, v5, s[0:1]
	v_lshlrev_b32_e32 v1, 2, v1
	ds_write_b32 v1, v12
.LBB24_46:
	s_or_b64 exec, exec, s[8:9]
	v_add_u32_e32 v5, 48, v2
	v_mad_u64_u32 v[3:4], s[8:9], s24, v5, v[3:4]
	v_cmp_gt_u32_e32 vcc, v0, v5
	v_mov_b32_e32 v1, v4
	v_mad_u64_u32 v[12:13], s[8:9], s25, v5, v[1:2]
	v_cmp_gt_i32_e64 s[8:9], s86, v5
	s_and_b64 s[8:9], vcc, s[8:9]
	s_and_b64 s[8:9], s[2:3], s[8:9]
	v_mov_b32_e32 v4, v12
	s_xor_b64 s[8:9], s[8:9], -1
                                        ; implicit-def: $vgpr1
	s_and_saveexec_b64 s[12:13], s[8:9]
	s_xor_b64 s[8:9], exec, s[12:13]
	s_cbranch_execz .LBB24_52
; %bb.47:
	v_cmp_ne_u32_e32 vcc, v0, v5
	s_xor_b64 s[2:3], s[2:3], -1
	s_or_b64 s[12:13], s[2:3], vcc
	s_mov_b64 s[2:3], s[10:11]
	s_and_saveexec_b64 s[14:15], s[12:13]
	s_xor_b64 s[12:13], exec, s[14:15]
; %bb.48:
	v_or_b32_e32 v1, v5, v0
	v_cmp_gt_u32_e32 vcc, 64, v1
	s_andn2_b64 s[2:3], s[10:11], exec
	s_and_b64 s[14:15], vcc, exec
	s_or_b64 s[2:3], s[2:3], s[14:15]
                                        ; implicit-def: $vgpr3_vgpr4
; %bb.49:
	s_or_saveexec_b64 s[12:13], s[12:13]
	v_mov_b32_e32 v1, 0
	s_xor_b64 exec, exec, s[12:13]
	s_cbranch_execz .LBB24_51
; %bb.50:
	v_lshlrev_b64 v[3:4], 2, v[3:4]
	v_mov_b32_e32 v1, s88
	v_add_co_u32_e32 v3, vcc, s87, v3
	v_addc_co_u32_e32 v4, vcc, v1, v4, vcc
	global_load_dword v1, v[3:4], off
	s_or_b64 s[2:3], s[2:3], exec
	s_waitcnt vmcnt(0)
	v_div_scale_f32 v3, s[14:15], v1, v1, 1.0
	v_div_scale_f32 v4, vcc, 1.0, v1, 1.0
	v_rcp_f32_e32 v6, v3
	v_fma_f32 v12, -v3, v6, 1.0
	v_fmac_f32_e32 v6, v12, v6
	v_mul_f32_e32 v12, v4, v6
	v_fma_f32 v13, -v3, v12, v4
	v_fmac_f32_e32 v12, v13, v6
	v_fma_f32 v3, -v3, v12, v4
	v_div_fmas_f32 v3, v3, v6, v12
	v_div_fixup_f32 v1, v3, v1, 1.0
.LBB24_51:
	s_or_b64 exec, exec, s[12:13]
	s_andn2_b64 s[10:11], s[10:11], exec
	s_and_b64 s[2:3], s[2:3], exec
	s_or_b64 s[10:11], s[10:11], s[2:3]
                                        ; implicit-def: $vgpr3_vgpr4
.LBB24_52:
	s_or_saveexec_b64 s[2:3], s[8:9]
	v_add_u32_e32 v6, v5, v11
	v_lshl_add_u32 v5, v5, 6, v0
	s_xor_b64 exec, exec, s[2:3]
	s_cbranch_execz .LBB24_54
; %bb.53:
	v_lshlrev_b64 v[3:4], 2, v[3:4]
	v_mov_b32_e32 v1, s88
	v_add_co_u32_e32 v3, vcc, s87, v3
	v_addc_co_u32_e32 v4, vcc, v1, v4, vcc
	global_load_dword v1, v[3:4], off
	s_or_b64 s[10:11], s[10:11], exec
	s_waitcnt vmcnt(0)
	v_xor_b32_e32 v1, 0x80000000, v1
.LBB24_54:
	s_or_b64 exec, exec, s[2:3]
	v_cndmask_b32_e64 v5, v5, v6, s[0:1]
.LBB24_55:
	s_xor_b64 s[0:1], s[0:1], -1
	s_and_saveexec_b64 s[2:3], s[10:11]
; %bb.56:
	v_lshlrev_b32_e32 v3, 2, v5
	ds_write_b32 v3, v1
; %bb.57:
	s_or_b64 exec, exec, s[2:3]
	v_cndmask_b32_e64 v1, 0, 1, s[0:1]
	v_cmp_ne_u32_e64 s[52:53], 1, v1
	s_andn2_b64 vcc, exec, s[0:1]
	s_waitcnt vmcnt(0) lgkmcnt(0)
	s_barrier
	s_cbranch_vccnz .LBB24_1095
; %bb.58:
	v_or_b32_e32 v1, v0, v2
	v_cmp_eq_u32_e32 vcc, 0, v1
	s_and_saveexec_b64 s[0:1], vcc
	s_cbranch_execz .LBB24_60
; %bb.59:
	v_mov_b32_e32 v1, 0
	ds_read_b64 v[3:4], v1
	ds_read_b32 v5, v1 offset:260
	s_waitcnt lgkmcnt(0)
	v_mul_f32_e32 v3, v3, v5
	v_mul_f32_e32 v3, v4, v3
	ds_write2_b32 v1, v3, v3 offset0:1 offset1:64
.LBB24_60:
	s_or_b64 exec, exec, s[0:1]
	v_lshl_add_u32 v4, v2, 6, v0
	v_and_b32_e32 v11, 1, v0
	v_lshrrev_b32_e32 v5, 1, v4
	v_lshlrev_b32_e32 v1, 2, v11
	v_cmp_lt_u32_e64 s[8:9], 3, v4
	v_cmp_gt_u32_e64 s[2:3], 4, v4
	v_lshl_or_b32 v1, v5, 8, v1
	v_mov_b32_e32 v6, 0
	s_waitcnt lgkmcnt(0)
	s_barrier
	s_and_saveexec_b64 s[0:1], s[2:3]
	s_cbranch_execz .LBB24_64
; %bb.61:
	v_mul_u32_u24_e32 v3, 0x104, v5
	ds_read_b32 v12, v1 offset:8
	ds_read_b32 v3, v3
	v_mov_b32_e32 v6, 0
	v_cmp_gt_u32_e64 s[10:11], 2, v4
	s_waitcnt lgkmcnt(0)
	v_fma_f32 v3, v12, v3, 0
	s_and_saveexec_b64 s[12:13], s[10:11]
	s_cbranch_execz .LBB24_63
; %bb.62:
	v_lshlrev_b32_e32 v12, 2, v0
	ds_read_b32 v12, v12 offset:264
	ds_read_b32 v6, v6 offset:4
	s_waitcnt lgkmcnt(0)
	v_fmac_f32_e32 v3, v12, v6
.LBB24_63:
	s_or_b64 exec, exec, s[12:13]
	v_xor_b32_e32 v6, 0x80000000, v3
.LBB24_64:
	s_or_b64 exec, exec, s[0:1]
	v_mov_b32_e32 v3, 0x4000
	v_cmp_eq_u32_e64 s[10:11], 0, v11
	s_xor_b64 s[0:1], s[8:9], -1
	v_lshl_add_u32 v3, v5, 2, v3
	s_and_b64 s[34:35], s[10:11], s[0:1]
	s_and_saveexec_b64 s[8:9], s[34:35]
	s_cbranch_execz .LBB24_66
; %bb.65:
	v_mov_b32_e32 v12, 0
	ds_read_b32 v12, v12 offset:520
	s_waitcnt lgkmcnt(0)
	v_mul_f32_e32 v6, v6, v12
	ds_write_b32 v3, v6
.LBB24_66:
	s_or_b64 exec, exec, s[8:9]
	v_cmp_ne_u32_e64 s[8:9], 0, v11
	s_and_b64 s[26:27], s[8:9], s[0:1]
	s_waitcnt lgkmcnt(0)
	s_barrier
	s_and_saveexec_b64 s[0:1], s[26:27]
	s_cbranch_execz .LBB24_68
; %bb.67:
	v_mov_b32_e32 v11, 0
	ds_read_b32 v11, v11 offset:524
	ds_read_b32 v12, v3
	s_waitcnt lgkmcnt(0)
	v_fmac_f32_e32 v6, v11, v12
.LBB24_68:
	s_or_b64 exec, exec, s[0:1]
	s_barrier
	s_and_saveexec_b64 s[0:1], s[26:27]
	s_cbranch_execz .LBB24_70
; %bb.69:
	v_mov_b32_e32 v11, 0
	ds_read_b32 v11, v11 offset:780
	s_waitcnt lgkmcnt(0)
	v_mul_f32_e32 v6, v6, v11
	ds_write_b32 v3, v6
.LBB24_70:
	s_or_b64 exec, exec, s[0:1]
	s_waitcnt lgkmcnt(0)
	s_barrier
	s_barrier
	s_and_saveexec_b64 s[0:1], s[2:3]
; %bb.71:
	v_xor_b32_e32 v6, 0x80000000, v6
	ds_write_b32 v1, v6 offset:8
; %bb.72:
	s_or_b64 exec, exec, s[0:1]
	v_cmp_eq_u32_e64 s[12:13], 0, v2
	v_cmp_gt_u32_e64 s[8:9], 2, v0
	s_and_b64 s[36:37], s[12:13], s[8:9]
	s_waitcnt lgkmcnt(0)
	s_barrier
	s_barrier
	s_and_saveexec_b64 s[0:1], s[36:37]
	s_cbranch_execz .LBB24_74
; %bb.73:
	v_lshlrev_b32_e32 v6, 2, v0
	s_movk_i32 s8, 0xfc
	v_mad_u32_u24 v11, v0, s8, v6
	ds_read_b32 v12, v11 offset:8
	s_waitcnt lgkmcnt(0)
	ds_write_b32 v6, v12 offset:512
	ds_read_b32 v11, v11 offset:12
	s_waitcnt lgkmcnt(0)
	ds_write_b32 v6, v11 offset:768
.LBB24_74:
	s_or_b64 exec, exec, s[0:1]
	s_waitcnt lgkmcnt(0)
	s_barrier
	s_and_saveexec_b64 s[0:1], vcc
	s_cbranch_execz .LBB24_76
; %bb.75:
	v_mov_b32_e32 v6, 0
	ds_read_b64 v[11:12], v6 offset:520
	ds_read_b32 v13, v6 offset:780
	s_waitcnt lgkmcnt(0)
	v_mul_f32_e32 v11, v11, v13
	v_mul_f32_e32 v11, v12, v11
	ds_write2_b32 v6, v11, v11 offset0:131 offset1:194
.LBB24_76:
	s_or_b64 exec, exec, s[0:1]
	v_and_b32_e32 v13, 3, v0
	v_lshrrev_b32_e32 v14, 2, v4
	v_lshlrev_b32_e32 v11, 2, v13
	v_cmp_lt_u32_e64 s[8:9], 15, v4
	v_cmp_gt_u32_e64 s[18:19], 16, v4
	v_lshl_or_b32 v6, v14, 8, v11
	v_mov_b32_e32 v15, 0
	s_waitcnt lgkmcnt(0)
	s_barrier
	s_and_saveexec_b64 s[0:1], s[18:19]
	s_cbranch_execz .LBB24_82
; %bb.77:
	v_mul_u32_u24_e32 v15, 0x104, v14
	ds_read_b32 v12, v6 offset:16
	ds_read_b32 v16, v15
	v_cmp_gt_u32_e64 s[10:11], 12, v4
	s_waitcnt lgkmcnt(0)
	v_fma_f32 v12, v12, v16, 0
	s_and_saveexec_b64 s[14:15], s[10:11]
	s_cbranch_execnz .LBB24_1205
; %bb.78:
	s_or_b64 exec, exec, s[14:15]
	v_cmp_gt_u32_e64 s[10:11], 8, v4
	s_and_saveexec_b64 s[14:15], s[10:11]
	s_cbranch_execnz .LBB24_1206
.LBB24_79:
	s_or_b64 exec, exec, s[14:15]
	v_cmp_gt_u32_e64 s[10:11], 4, v4
	s_and_saveexec_b64 s[14:15], s[10:11]
	s_cbranch_execz .LBB24_81
.LBB24_80:
	v_lshlrev_b32_e32 v15, 2, v0
	v_mov_b32_e32 v16, 0
	ds_read_b32 v15, v15 offset:784
	ds_read_b32 v16, v16 offset:12
	s_waitcnt lgkmcnt(0)
	v_fmac_f32_e32 v12, v15, v16
.LBB24_81:
	s_or_b64 exec, exec, s[14:15]
	v_xor_b32_e32 v15, 0x80000000, v12
.LBB24_82:
                                        ; implicit-def: $vgpr33 : SGPR spill to VGPR lane
	v_writelane_b32 v33, s40, 0
	s_or_b64 exec, exec, s[0:1]
	v_mov_b32_e32 v12, 0x4000
	v_cmp_eq_u32_e64 s[10:11], 0, v13
	s_xor_b64 s[0:1], s[8:9], -1
	v_lshl_add_u32 v12, v14, 2, v12
	s_and_b64 s[40:41], s[10:11], s[0:1]
	s_and_saveexec_b64 s[8:9], s[40:41]
	s_cbranch_execz .LBB24_84
; %bb.83:
	v_mov_b32_e32 v16, 0
	ds_read_b32 v16, v16 offset:1040
	s_waitcnt lgkmcnt(0)
	v_mul_f32_e32 v15, v15, v16
	ds_write_b32 v12, v15
.LBB24_84:
	s_or_b64 exec, exec, s[8:9]
	v_cmp_ne_u32_e64 s[8:9], 0, v13
	s_and_b64 s[42:43], s[8:9], s[0:1]
	s_waitcnt lgkmcnt(0)
	s_barrier
	s_and_saveexec_b64 s[8:9], s[42:43]
	s_cbranch_execz .LBB24_86
; %bb.85:
	ds_read_b32 v16, v11 offset:1040
	ds_read_b32 v17, v12
	s_waitcnt lgkmcnt(0)
	v_fmac_f32_e32 v15, v16, v17
.LBB24_86:
	s_or_b64 exec, exec, s[8:9]
	v_cmp_eq_u32_e64 s[8:9], 1, v13
	s_and_b64 s[44:45], s[8:9], s[0:1]
	s_barrier
	s_and_saveexec_b64 s[8:9], s[44:45]
	s_cbranch_execz .LBB24_88
; %bb.87:
	v_mov_b32_e32 v16, 0
	ds_read_b32 v16, v16 offset:1300
	s_waitcnt lgkmcnt(0)
	v_mul_f32_e32 v15, v15, v16
	ds_write_b32 v12, v15
.LBB24_88:
	s_or_b64 exec, exec, s[8:9]
	v_cmp_lt_u32_e64 s[8:9], 1, v13
	s_and_b64 s[46:47], s[8:9], s[0:1]
	s_waitcnt lgkmcnt(0)
	s_barrier
	s_and_saveexec_b64 s[8:9], s[46:47]
	s_cbranch_execz .LBB24_90
; %bb.89:
	ds_read_b32 v16, v11 offset:1296
	ds_read_b32 v17, v12
	s_waitcnt lgkmcnt(0)
	v_fmac_f32_e32 v15, v16, v17
.LBB24_90:
	s_or_b64 exec, exec, s[8:9]
	v_cmp_eq_u32_e64 s[8:9], 2, v13
	s_and_b64 s[48:49], s[8:9], s[0:1]
	s_barrier
	s_and_saveexec_b64 s[8:9], s[48:49]
	s_cbranch_execz .LBB24_92
; %bb.91:
	v_mov_b32_e32 v16, 0
	ds_read_b32 v16, v16 offset:1560
	s_waitcnt lgkmcnt(0)
	v_mul_f32_e32 v15, v15, v16
	ds_write_b32 v12, v15
.LBB24_92:
	s_or_b64 exec, exec, s[8:9]
	v_cmp_eq_u32_e64 s[8:9], 3, v13
	s_and_b64 s[38:39], s[8:9], s[0:1]
	s_waitcnt lgkmcnt(0)
	s_barrier
	s_and_saveexec_b64 s[0:1], s[38:39]
	s_cbranch_execz .LBB24_94
; %bb.93:
	v_mov_b32_e32 v16, 0
	ds_read_b32 v16, v16 offset:1564
	ds_read_b32 v17, v12
	s_waitcnt lgkmcnt(0)
	v_fmac_f32_e32 v15, v16, v17
.LBB24_94:
	s_or_b64 exec, exec, s[0:1]
	s_barrier
	s_and_saveexec_b64 s[0:1], s[38:39]
	s_cbranch_execz .LBB24_96
; %bb.95:
	v_mov_b32_e32 v16, 0
	ds_read_b32 v16, v16 offset:1820
	s_waitcnt lgkmcnt(0)
	v_mul_f32_e32 v15, v15, v16
	ds_write_b32 v12, v15
.LBB24_96:
	s_or_b64 exec, exec, s[0:1]
	s_waitcnt lgkmcnt(0)
	s_barrier
	s_barrier
	s_and_saveexec_b64 s[0:1], s[18:19]
; %bb.97:
	v_xor_b32_e32 v15, 0x80000000, v15
	ds_write_b32 v6, v15 offset:16
; %bb.98:
	s_or_b64 exec, exec, s[0:1]
	v_cmp_gt_u32_e64 s[8:9], 4, v0
	s_and_b64 s[50:51], s[12:13], s[8:9]
	s_waitcnt lgkmcnt(0)
	s_barrier
	s_barrier
	s_and_saveexec_b64 s[0:1], s[50:51]
	s_cbranch_execz .LBB24_100
; %bb.99:
	v_lshlrev_b32_e32 v15, 8, v0
	ds_read_b32 v16, v15 offset:16
	s_movk_i32 s8, 0xff04
	v_mad_i32_i24 v17, v0, s8, v15
	s_waitcnt lgkmcnt(0)
	ds_write_b32 v17, v16 offset:1024
	ds_read_b32 v16, v15 offset:20
	s_waitcnt lgkmcnt(0)
	ds_write_b32 v17, v16 offset:1280
	ds_read_b32 v16, v15 offset:24
	;; [unrolled: 3-line block ×3, first 2 shown]
	s_waitcnt lgkmcnt(0)
	ds_write_b32 v17, v15 offset:1792
.LBB24_100:
	s_or_b64 exec, exec, s[0:1]
	s_waitcnt lgkmcnt(0)
	s_barrier
	s_and_saveexec_b64 s[0:1], vcc
	s_cbranch_execz .LBB24_102
; %bb.101:
	v_mov_b32_e32 v17, 0
	ds_read_b64 v[15:16], v17 offset:1040
	ds_read_b32 v17, v17 offset:1300
	s_movk_i32 s8, 0x400
	s_waitcnt lgkmcnt(0)
	v_mul_f32_e32 v15, v15, v17
	v_mul_f32_e32 v15, v16, v15
	v_add_u32_e64 v16, s8, 0
	ds_write2_b32 v16, v15, v15 offset0:5 offset1:68
.LBB24_102:
	s_or_b64 exec, exec, s[0:1]
	v_mov_b32_e32 v15, 0
	s_waitcnt lgkmcnt(0)
	s_barrier
	s_and_saveexec_b64 s[0:1], s[2:3]
	s_cbranch_execz .LBB24_106
; %bb.103:
	v_mul_u32_u24_e32 v15, 0x104, v5
	ds_read_b32 v17, v1 offset:1048
	ds_read_b32 v15, v15 offset:1040
	v_mov_b32_e32 v16, 0
	v_cmp_gt_u32_e64 s[8:9], 2, v4
	s_waitcnt lgkmcnt(0)
	v_fma_f32 v15, v17, v15, 0
	s_and_saveexec_b64 s[10:11], s[8:9]
	s_cbranch_execz .LBB24_105
; %bb.104:
	v_lshlrev_b32_e32 v17, 2, v0
	ds_read_b32 v17, v17 offset:1304
	ds_read_b32 v16, v16 offset:1044
	s_waitcnt lgkmcnt(0)
	v_fmac_f32_e32 v15, v17, v16
.LBB24_105:
	s_or_b64 exec, exec, s[10:11]
	v_xor_b32_e32 v15, 0x80000000, v15
.LBB24_106:
	s_or_b64 exec, exec, s[0:1]
	s_and_saveexec_b64 s[0:1], s[34:35]
	s_cbranch_execz .LBB24_108
; %bb.107:
	v_mov_b32_e32 v16, 0
	ds_read_b32 v16, v16 offset:1560
	s_waitcnt lgkmcnt(0)
	v_mul_f32_e32 v15, v15, v16
	ds_write_b32 v3, v15
.LBB24_108:
	s_or_b64 exec, exec, s[0:1]
	s_waitcnt lgkmcnt(0)
	s_barrier
	s_and_saveexec_b64 s[0:1], s[26:27]
	s_cbranch_execz .LBB24_110
; %bb.109:
	v_mov_b32_e32 v16, 0
	ds_read_b32 v16, v16 offset:1564
	ds_read_b32 v17, v3
	s_waitcnt lgkmcnt(0)
	v_fmac_f32_e32 v15, v16, v17
.LBB24_110:
	s_or_b64 exec, exec, s[0:1]
	s_barrier
	s_and_saveexec_b64 s[0:1], s[26:27]
	s_cbranch_execz .LBB24_112
; %bb.111:
	v_mov_b32_e32 v16, 0
	ds_read_b32 v16, v16 offset:1820
	s_waitcnt lgkmcnt(0)
	v_mul_f32_e32 v15, v15, v16
	ds_write_b32 v3, v15
.LBB24_112:
	s_or_b64 exec, exec, s[0:1]
	s_waitcnt lgkmcnt(0)
	s_barrier
	s_barrier
	s_and_saveexec_b64 s[0:1], s[2:3]
; %bb.113:
	v_xor_b32_e32 v15, 0x80000000, v15
	ds_write_b32 v1, v15 offset:1048
; %bb.114:
	s_or_b64 exec, exec, s[0:1]
	s_waitcnt lgkmcnt(0)
	s_barrier
	s_barrier
	s_and_saveexec_b64 s[0:1], s[36:37]
	s_cbranch_execz .LBB24_116
; %bb.115:
	v_lshlrev_b32_e32 v15, 2, v0
	s_movk_i32 s8, 0xfc
	v_mad_u32_u24 v16, v0, s8, v15
	ds_read_b32 v17, v16 offset:1048
	s_waitcnt lgkmcnt(0)
	ds_write_b32 v15, v17 offset:1552
	ds_read_b32 v16, v16 offset:1052
	s_waitcnt lgkmcnt(0)
	ds_write_b32 v15, v16 offset:1808
.LBB24_116:
	s_or_b64 exec, exec, s[0:1]
	s_waitcnt lgkmcnt(0)
	s_barrier
	s_and_saveexec_b64 s[0:1], vcc
	s_cbranch_execz .LBB24_118
; %bb.117:
	v_mov_b32_e32 v17, 0
	ds_read_b64 v[15:16], v17 offset:1560
	ds_read_b32 v17, v17 offset:1820
	s_movk_i32 s8, 0x400
	s_waitcnt lgkmcnt(0)
	v_mul_f32_e32 v15, v15, v17
	v_mul_f32_e32 v15, v16, v15
	v_add_u32_e64 v16, s8, 0
	ds_write2_b32 v16, v15, v15 offset0:135 offset1:198
.LBB24_118:
	s_or_b64 exec, exec, s[0:1]
	v_and_b32_e32 v18, 7, v0
	v_lshrrev_b32_e32 v19, 3, v4
	v_lshlrev_b32_e32 v16, 2, v18
	v_cmp_lt_u32_e64 s[10:11], 63, v4
	v_cmp_gt_u32_e64 s[8:9], 64, v4
	v_lshl_or_b32 v15, v19, 8, v16
	v_mov_b32_e32 v20, 0
	s_waitcnt lgkmcnt(0)
	s_barrier
	s_and_saveexec_b64 s[0:1], s[8:9]
	s_cbranch_execz .LBB24_128
; %bb.119:
	v_mul_u32_u24_e32 v20, 0x104, v19
	ds_read_b32 v17, v15 offset:32
	ds_read_b32 v21, v20
	v_cmp_gt_u32_e64 s[14:15], 56, v4
	s_waitcnt lgkmcnt(0)
	v_fma_f32 v17, v17, v21, 0
	s_and_saveexec_b64 s[16:17], s[14:15]
	s_cbranch_execnz .LBB24_1207
; %bb.120:
	s_or_b64 exec, exec, s[16:17]
	v_cmp_gt_u32_e64 s[14:15], 48, v4
	s_and_saveexec_b64 s[16:17], s[14:15]
	s_cbranch_execnz .LBB24_1208
.LBB24_121:
	s_or_b64 exec, exec, s[16:17]
	v_cmp_gt_u32_e64 s[14:15], 40, v4
	s_and_saveexec_b64 s[16:17], s[14:15]
	s_cbranch_execnz .LBB24_1209
.LBB24_122:
	s_or_b64 exec, exec, s[16:17]
	v_cmp_gt_u32_e64 s[14:15], 32, v4
	s_and_saveexec_b64 s[16:17], s[14:15]
	s_cbranch_execnz .LBB24_1210
.LBB24_123:
	s_or_b64 exec, exec, s[16:17]
	v_cmp_gt_u32_e64 s[14:15], 24, v4
	s_and_saveexec_b64 s[16:17], s[14:15]
	s_cbranch_execnz .LBB24_1211
.LBB24_124:
	s_or_b64 exec, exec, s[16:17]
	v_cmp_gt_u32_e64 s[14:15], 16, v4
	s_and_saveexec_b64 s[16:17], s[14:15]
	s_cbranch_execnz .LBB24_1212
.LBB24_125:
	s_or_b64 exec, exec, s[16:17]
	v_cmp_gt_u32_e64 s[14:15], 8, v4
	s_and_saveexec_b64 s[16:17], s[14:15]
	s_cbranch_execz .LBB24_127
.LBB24_126:
	v_lshlrev_b32_e32 v20, 2, v0
	v_mov_b32_e32 v21, 0
	ds_read_b32 v20, v20 offset:1824
	ds_read_b32 v21, v21 offset:28
	s_waitcnt lgkmcnt(0)
	v_fmac_f32_e32 v17, v20, v21
.LBB24_127:
	s_or_b64 exec, exec, s[16:17]
	v_xor_b32_e32 v20, 0x80000000, v17
.LBB24_128:
	v_writelane_b32 v33, s52, 1
	v_writelane_b32 v33, s53, 2
	s_or_b64 exec, exec, s[0:1]
	v_mov_b32_e32 v17, 0x4000
	v_cmp_eq_u32_e64 s[14:15], 0, v18
	s_xor_b64 s[0:1], s[10:11], -1
	v_lshl_add_u32 v17, v19, 2, v17
	s_and_b64 s[52:53], s[14:15], s[0:1]
	s_and_saveexec_b64 s[10:11], s[52:53]
	s_cbranch_execz .LBB24_130
; %bb.129:
	v_mov_b32_e32 v21, 0
	ds_read_b32 v21, v21 offset:2080
	s_waitcnt lgkmcnt(0)
	v_mul_f32_e32 v20, v20, v21
	ds_write_b32 v17, v20
.LBB24_130:
	s_or_b64 exec, exec, s[10:11]
	v_cmp_ne_u32_e64 s[10:11], 0, v18
	s_and_b64 s[54:55], s[10:11], s[0:1]
	s_waitcnt lgkmcnt(0)
	s_barrier
	s_and_saveexec_b64 s[10:11], s[54:55]
	s_cbranch_execz .LBB24_132
; %bb.131:
	ds_read_b32 v21, v16 offset:2080
	ds_read_b32 v22, v17
	s_waitcnt lgkmcnt(0)
	v_fmac_f32_e32 v20, v21, v22
.LBB24_132:
	s_or_b64 exec, exec, s[10:11]
	v_cmp_eq_u32_e64 s[10:11], 1, v18
	s_and_b64 s[56:57], s[10:11], s[0:1]
	s_barrier
	s_and_saveexec_b64 s[10:11], s[56:57]
	s_cbranch_execz .LBB24_134
; %bb.133:
	v_mov_b32_e32 v21, 0
	ds_read_b32 v21, v21 offset:2340
	s_waitcnt lgkmcnt(0)
	v_mul_f32_e32 v20, v20, v21
	ds_write_b32 v17, v20
.LBB24_134:
	s_or_b64 exec, exec, s[10:11]
	v_cmp_lt_u32_e64 s[10:11], 1, v18
	s_and_b64 s[58:59], s[10:11], s[0:1]
	s_waitcnt lgkmcnt(0)
	s_barrier
	s_and_saveexec_b64 s[10:11], s[58:59]
	s_cbranch_execz .LBB24_136
; %bb.135:
	ds_read_b32 v21, v16 offset:2336
	ds_read_b32 v22, v17
	s_waitcnt lgkmcnt(0)
	v_fmac_f32_e32 v20, v21, v22
.LBB24_136:
	s_or_b64 exec, exec, s[10:11]
	v_cmp_eq_u32_e64 s[10:11], 2, v18
	s_and_b64 s[62:63], s[10:11], s[0:1]
	s_barrier
	s_and_saveexec_b64 s[10:11], s[62:63]
	s_cbranch_execz .LBB24_138
; %bb.137:
	v_mov_b32_e32 v21, 0
	ds_read_b32 v21, v21 offset:2600
	s_waitcnt lgkmcnt(0)
	v_mul_f32_e32 v20, v20, v21
	ds_write_b32 v17, v20
.LBB24_138:
	s_or_b64 exec, exec, s[10:11]
	v_cmp_lt_u32_e64 s[10:11], 2, v18
	;; [unrolled: 26-line block ×5, first 2 shown]
	s_and_b64 s[76:77], s[10:11], s[0:1]
	s_waitcnt lgkmcnt(0)
	s_barrier
	s_and_saveexec_b64 s[10:11], s[76:77]
	s_cbranch_execz .LBB24_152
; %bb.151:
	ds_read_b32 v21, v16 offset:3360
	ds_read_b32 v22, v17
	s_waitcnt lgkmcnt(0)
	v_fmac_f32_e32 v20, v21, v22
.LBB24_152:
	s_or_b64 exec, exec, s[10:11]
	v_cmp_eq_u32_e64 s[10:11], 6, v18
	s_and_b64 s[78:79], s[10:11], s[0:1]
	s_barrier
	s_and_saveexec_b64 s[10:11], s[78:79]
	s_cbranch_execz .LBB24_154
; %bb.153:
	v_mov_b32_e32 v21, 0
	ds_read_b32 v21, v21 offset:3640
	s_waitcnt lgkmcnt(0)
	v_mul_f32_e32 v20, v20, v21
	ds_write_b32 v17, v20
.LBB24_154:
	s_or_b64 exec, exec, s[10:11]
	v_cmp_eq_u32_e64 s[10:11], 7, v18
	s_and_b64 s[60:61], s[10:11], s[0:1]
	s_waitcnt lgkmcnt(0)
	s_barrier
	s_and_saveexec_b64 s[0:1], s[60:61]
	s_cbranch_execz .LBB24_156
; %bb.155:
	v_mov_b32_e32 v21, 0
	ds_read_b32 v21, v21 offset:3644
	ds_read_b32 v22, v17
	s_waitcnt lgkmcnt(0)
	v_fmac_f32_e32 v20, v21, v22
.LBB24_156:
	s_or_b64 exec, exec, s[0:1]
	s_barrier
	s_and_saveexec_b64 s[0:1], s[60:61]
	s_cbranch_execz .LBB24_158
; %bb.157:
	v_mov_b32_e32 v21, 0
	ds_read_b32 v21, v21 offset:3900
	s_waitcnt lgkmcnt(0)
	v_mul_f32_e32 v20, v20, v21
	ds_write_b32 v17, v20
.LBB24_158:
	s_or_b64 exec, exec, s[0:1]
	s_waitcnt lgkmcnt(0)
	s_barrier
	s_barrier
	s_and_saveexec_b64 s[0:1], s[8:9]
; %bb.159:
	v_xor_b32_e32 v20, 0x80000000, v20
	ds_write_b32 v15, v20 offset:32
; %bb.160:
	s_or_b64 exec, exec, s[0:1]
	v_cmp_gt_u32_e64 s[10:11], 8, v0
	s_and_b64 s[80:81], s[12:13], s[10:11]
	s_waitcnt lgkmcnt(0)
	s_barrier
	s_barrier
	s_and_saveexec_b64 s[0:1], s[80:81]
	s_cbranch_execz .LBB24_162
; %bb.161:
	v_lshlrev_b32_e32 v20, 8, v0
	ds_read_b32 v21, v20 offset:32
	s_movk_i32 s10, 0xff04
	v_mad_i32_i24 v22, v0, s10, v20
	s_waitcnt lgkmcnt(0)
	ds_write_b32 v22, v21 offset:2048
	ds_read_b32 v21, v20 offset:36
	s_waitcnt lgkmcnt(0)
	ds_write_b32 v22, v21 offset:2304
	ds_read_b32 v21, v20 offset:40
	;; [unrolled: 3-line block ×7, first 2 shown]
	s_waitcnt lgkmcnt(0)
	ds_write_b32 v22, v20 offset:3840
.LBB24_162:
	s_or_b64 exec, exec, s[0:1]
	s_waitcnt lgkmcnt(0)
	s_barrier
	s_and_saveexec_b64 s[0:1], vcc
	s_cbranch_execz .LBB24_164
; %bb.163:
	v_mov_b32_e32 v22, 0
	ds_read_b64 v[20:21], v22 offset:2080
	ds_read_b32 v22, v22 offset:2340
	s_movk_i32 s10, 0x800
	s_waitcnt lgkmcnt(0)
	v_mul_f32_e32 v20, v20, v22
	v_mul_f32_e32 v20, v21, v20
	v_add_u32_e64 v21, s10, 0
	ds_write2_b32 v21, v20, v20 offset0:9 offset1:72
.LBB24_164:
	s_or_b64 exec, exec, s[0:1]
	v_mov_b32_e32 v20, 0
	s_waitcnt lgkmcnt(0)
	s_barrier
	s_and_saveexec_b64 s[0:1], s[2:3]
	s_cbranch_execz .LBB24_168
; %bb.165:
	v_mul_u32_u24_e32 v20, 0x104, v5
	ds_read_b32 v22, v1 offset:2088
	ds_read_b32 v20, v20 offset:2080
	v_mov_b32_e32 v21, 0
	v_cmp_gt_u32_e64 s[10:11], 2, v4
	s_waitcnt lgkmcnt(0)
	v_fma_f32 v20, v22, v20, 0
	s_and_saveexec_b64 s[14:15], s[10:11]
	s_cbranch_execz .LBB24_167
; %bb.166:
	v_lshlrev_b32_e32 v22, 2, v0
	ds_read_b32 v22, v22 offset:2344
	ds_read_b32 v21, v21 offset:2084
	s_waitcnt lgkmcnt(0)
	v_fmac_f32_e32 v20, v22, v21
.LBB24_167:
	s_or_b64 exec, exec, s[14:15]
	v_xor_b32_e32 v20, 0x80000000, v20
.LBB24_168:
	s_or_b64 exec, exec, s[0:1]
	s_and_saveexec_b64 s[0:1], s[34:35]
	s_cbranch_execz .LBB24_170
; %bb.169:
	v_mov_b32_e32 v21, 0
	ds_read_b32 v21, v21 offset:2600
	s_waitcnt lgkmcnt(0)
	v_mul_f32_e32 v20, v20, v21
	ds_write_b32 v3, v20
.LBB24_170:
	s_or_b64 exec, exec, s[0:1]
	s_waitcnt lgkmcnt(0)
	s_barrier
	s_and_saveexec_b64 s[0:1], s[26:27]
	s_cbranch_execz .LBB24_172
; %bb.171:
	v_mov_b32_e32 v21, 0
	ds_read_b32 v21, v21 offset:2604
	ds_read_b32 v22, v3
	s_waitcnt lgkmcnt(0)
	v_fmac_f32_e32 v20, v21, v22
.LBB24_172:
	s_or_b64 exec, exec, s[0:1]
	s_barrier
	s_and_saveexec_b64 s[0:1], s[26:27]
	s_cbranch_execz .LBB24_174
; %bb.173:
	v_mov_b32_e32 v21, 0
	ds_read_b32 v21, v21 offset:2860
	s_waitcnt lgkmcnt(0)
	v_mul_f32_e32 v20, v20, v21
	ds_write_b32 v3, v20
.LBB24_174:
	s_or_b64 exec, exec, s[0:1]
	s_waitcnt lgkmcnt(0)
	s_barrier
	s_barrier
	s_and_saveexec_b64 s[0:1], s[2:3]
; %bb.175:
	v_xor_b32_e32 v20, 0x80000000, v20
	ds_write_b32 v1, v20 offset:2088
; %bb.176:
	s_or_b64 exec, exec, s[0:1]
	s_waitcnt lgkmcnt(0)
	s_barrier
	s_barrier
	s_and_saveexec_b64 s[0:1], s[36:37]
	s_cbranch_execz .LBB24_178
; %bb.177:
	v_lshlrev_b32_e32 v20, 2, v0
	s_movk_i32 s10, 0xfc
	v_mad_u32_u24 v21, v0, s10, v20
	ds_read_b32 v22, v21 offset:2088
	s_waitcnt lgkmcnt(0)
	ds_write_b32 v20, v22 offset:2592
	ds_read_b32 v21, v21 offset:2092
	s_waitcnt lgkmcnt(0)
	ds_write_b32 v20, v21 offset:2848
.LBB24_178:
	s_or_b64 exec, exec, s[0:1]
	s_waitcnt lgkmcnt(0)
	s_barrier
	s_and_saveexec_b64 s[0:1], vcc
	s_cbranch_execz .LBB24_180
; %bb.179:
	v_mov_b32_e32 v22, 0
	ds_read_b64 v[20:21], v22 offset:2600
	ds_read_b32 v22, v22 offset:2860
	s_movk_i32 s10, 0x800
	s_waitcnt lgkmcnt(0)
	v_mul_f32_e32 v20, v20, v22
	v_mul_f32_e32 v20, v21, v20
	v_add_u32_e64 v21, s10, 0
	ds_write2_b32 v21, v20, v20 offset0:139 offset1:202
.LBB24_180:
	s_or_b64 exec, exec, s[0:1]
	v_mov_b32_e32 v20, 0
	s_waitcnt lgkmcnt(0)
	s_barrier
	s_and_saveexec_b64 s[0:1], s[18:19]
	s_cbranch_execz .LBB24_186
; %bb.181:
	v_mul_u32_u24_e32 v21, 0x104, v14
	ds_read_b32 v20, v6 offset:2096
	ds_read_b32 v22, v21 offset:2080
	v_cmp_gt_u32_e64 s[10:11], 12, v4
	s_waitcnt lgkmcnt(0)
	v_fma_f32 v20, v20, v22, 0
	s_and_saveexec_b64 s[14:15], s[10:11]
	s_cbranch_execnz .LBB24_1213
; %bb.182:
	s_or_b64 exec, exec, s[14:15]
	v_cmp_gt_u32_e64 s[10:11], 8, v4
	s_and_saveexec_b64 s[14:15], s[10:11]
	s_cbranch_execnz .LBB24_1214
.LBB24_183:
	s_or_b64 exec, exec, s[14:15]
	v_cmp_gt_u32_e64 s[10:11], 4, v4
	s_and_saveexec_b64 s[14:15], s[10:11]
	s_cbranch_execz .LBB24_185
.LBB24_184:
	v_lshlrev_b32_e32 v21, 2, v0
	v_mov_b32_e32 v22, 0
	ds_read_b32 v21, v21 offset:2864
	ds_read_b32 v22, v22 offset:2092
	s_waitcnt lgkmcnt(0)
	v_fmac_f32_e32 v20, v21, v22
.LBB24_185:
	s_or_b64 exec, exec, s[14:15]
	v_xor_b32_e32 v20, 0x80000000, v20
.LBB24_186:
	s_or_b64 exec, exec, s[0:1]
	s_and_saveexec_b64 s[0:1], s[40:41]
	s_cbranch_execz .LBB24_188
; %bb.187:
	v_mov_b32_e32 v21, 0
	ds_read_b32 v21, v21 offset:3120
	s_waitcnt lgkmcnt(0)
	v_mul_f32_e32 v20, v20, v21
	ds_write_b32 v12, v20
.LBB24_188:
	s_or_b64 exec, exec, s[0:1]
	s_waitcnt lgkmcnt(0)
	s_barrier
	s_and_saveexec_b64 s[0:1], s[42:43]
	s_cbranch_execz .LBB24_190
; %bb.189:
	ds_read_b32 v21, v11 offset:3120
	ds_read_b32 v22, v12
	s_waitcnt lgkmcnt(0)
	v_fmac_f32_e32 v20, v21, v22
.LBB24_190:
	s_or_b64 exec, exec, s[0:1]
	s_barrier
	s_and_saveexec_b64 s[0:1], s[44:45]
	s_cbranch_execz .LBB24_192
; %bb.191:
	v_mov_b32_e32 v21, 0
	ds_read_b32 v21, v21 offset:3380
	s_waitcnt lgkmcnt(0)
	v_mul_f32_e32 v20, v20, v21
	ds_write_b32 v12, v20
.LBB24_192:
	s_or_b64 exec, exec, s[0:1]
	s_waitcnt lgkmcnt(0)
	s_barrier
	s_and_saveexec_b64 s[0:1], s[46:47]
	s_cbranch_execz .LBB24_194
; %bb.193:
	ds_read_b32 v21, v11 offset:3376
	ds_read_b32 v22, v12
	s_waitcnt lgkmcnt(0)
	v_fmac_f32_e32 v20, v21, v22
.LBB24_194:
	s_or_b64 exec, exec, s[0:1]
	s_barrier
	s_and_saveexec_b64 s[0:1], s[48:49]
	s_cbranch_execz .LBB24_196
; %bb.195:
	v_mov_b32_e32 v21, 0
	ds_read_b32 v21, v21 offset:3640
	s_waitcnt lgkmcnt(0)
	v_mul_f32_e32 v20, v20, v21
	ds_write_b32 v12, v20
.LBB24_196:
	s_or_b64 exec, exec, s[0:1]
	s_waitcnt lgkmcnt(0)
	s_barrier
	s_and_saveexec_b64 s[0:1], s[38:39]
	s_cbranch_execz .LBB24_198
; %bb.197:
	v_mov_b32_e32 v21, 0
	ds_read_b32 v21, v21 offset:3644
	ds_read_b32 v22, v12
	s_waitcnt lgkmcnt(0)
	v_fmac_f32_e32 v20, v21, v22
.LBB24_198:
	s_or_b64 exec, exec, s[0:1]
	s_barrier
	s_and_saveexec_b64 s[0:1], s[38:39]
	s_cbranch_execz .LBB24_200
; %bb.199:
	v_mov_b32_e32 v21, 0
	ds_read_b32 v21, v21 offset:3900
	s_waitcnt lgkmcnt(0)
	v_mul_f32_e32 v20, v20, v21
	ds_write_b32 v12, v20
.LBB24_200:
	s_or_b64 exec, exec, s[0:1]
	s_waitcnt lgkmcnt(0)
	s_barrier
	s_barrier
	s_and_saveexec_b64 s[0:1], s[18:19]
; %bb.201:
	v_xor_b32_e32 v20, 0x80000000, v20
	ds_write_b32 v6, v20 offset:2096
; %bb.202:
	s_or_b64 exec, exec, s[0:1]
	s_waitcnt lgkmcnt(0)
	s_barrier
	s_barrier
	s_and_saveexec_b64 s[0:1], s[50:51]
	s_cbranch_execz .LBB24_204
; %bb.203:
	v_lshlrev_b32_e32 v20, 8, v0
	ds_read_b32 v21, v20 offset:2096
	s_movk_i32 s10, 0xff04
	v_mad_i32_i24 v22, v0, s10, v20
	s_waitcnt lgkmcnt(0)
	ds_write_b32 v22, v21 offset:3104
	ds_read_b32 v21, v20 offset:2100
	s_waitcnt lgkmcnt(0)
	ds_write_b32 v22, v21 offset:3360
	ds_read_b32 v21, v20 offset:2104
	;; [unrolled: 3-line block ×3, first 2 shown]
	s_waitcnt lgkmcnt(0)
	ds_write_b32 v22, v20 offset:3872
.LBB24_204:
	s_or_b64 exec, exec, s[0:1]
	s_waitcnt lgkmcnt(0)
	s_barrier
	s_and_saveexec_b64 s[0:1], vcc
	s_cbranch_execz .LBB24_206
; %bb.205:
	v_mov_b32_e32 v22, 0
	ds_read_b64 v[20:21], v22 offset:3120
	ds_read_b32 v22, v22 offset:3380
	s_movk_i32 s10, 0xc00
	s_waitcnt lgkmcnt(0)
	v_mul_f32_e32 v20, v20, v22
	v_mul_f32_e32 v20, v21, v20
	v_add_u32_e64 v21, s10, 0
	ds_write2_b32 v21, v20, v20 offset0:13 offset1:76
.LBB24_206:
	s_or_b64 exec, exec, s[0:1]
	v_mov_b32_e32 v20, 0
	s_waitcnt lgkmcnt(0)
	s_barrier
	s_and_saveexec_b64 s[0:1], s[2:3]
	s_cbranch_execz .LBB24_210
; %bb.207:
	v_mul_u32_u24_e32 v20, 0x104, v5
	ds_read_b32 v22, v1 offset:3128
	ds_read_b32 v20, v20 offset:3120
	v_mov_b32_e32 v21, 0
	v_cmp_gt_u32_e64 s[10:11], 2, v4
	s_waitcnt lgkmcnt(0)
	v_fma_f32 v20, v22, v20, 0
	s_and_saveexec_b64 s[14:15], s[10:11]
	s_cbranch_execz .LBB24_209
; %bb.208:
	v_lshlrev_b32_e32 v22, 2, v0
	ds_read_b32 v22, v22 offset:3384
	ds_read_b32 v21, v21 offset:3124
	s_waitcnt lgkmcnt(0)
	v_fmac_f32_e32 v20, v22, v21
.LBB24_209:
	s_or_b64 exec, exec, s[14:15]
	v_xor_b32_e32 v20, 0x80000000, v20
.LBB24_210:
	s_or_b64 exec, exec, s[0:1]
	s_and_saveexec_b64 s[0:1], s[34:35]
	s_cbranch_execz .LBB24_212
; %bb.211:
	v_mov_b32_e32 v21, 0
	ds_read_b32 v21, v21 offset:3640
	s_waitcnt lgkmcnt(0)
	v_mul_f32_e32 v20, v20, v21
	ds_write_b32 v3, v20
.LBB24_212:
	s_or_b64 exec, exec, s[0:1]
	s_waitcnt lgkmcnt(0)
	s_barrier
	s_and_saveexec_b64 s[0:1], s[26:27]
	s_cbranch_execz .LBB24_214
; %bb.213:
	v_mov_b32_e32 v21, 0
	ds_read_b32 v21, v21 offset:3644
	ds_read_b32 v22, v3
	s_waitcnt lgkmcnt(0)
	v_fmac_f32_e32 v20, v21, v22
.LBB24_214:
	s_or_b64 exec, exec, s[0:1]
	s_barrier
	s_and_saveexec_b64 s[0:1], s[26:27]
	s_cbranch_execz .LBB24_216
; %bb.215:
	v_mov_b32_e32 v21, 0
	ds_read_b32 v21, v21 offset:3900
	s_waitcnt lgkmcnt(0)
	v_mul_f32_e32 v20, v20, v21
	ds_write_b32 v3, v20
.LBB24_216:
	s_or_b64 exec, exec, s[0:1]
	s_waitcnt lgkmcnt(0)
	s_barrier
	s_barrier
	s_and_saveexec_b64 s[0:1], s[2:3]
; %bb.217:
	v_xor_b32_e32 v20, 0x80000000, v20
	ds_write_b32 v1, v20 offset:3128
; %bb.218:
	s_or_b64 exec, exec, s[0:1]
	s_waitcnt lgkmcnt(0)
	s_barrier
	s_barrier
	s_and_saveexec_b64 s[0:1], s[36:37]
	s_cbranch_execz .LBB24_220
; %bb.219:
	v_lshlrev_b32_e32 v20, 2, v0
	s_movk_i32 s10, 0xfc
	v_mad_u32_u24 v21, v0, s10, v20
	ds_read_b32 v22, v21 offset:3128
	s_waitcnt lgkmcnt(0)
	ds_write_b32 v20, v22 offset:3632
	ds_read_b32 v21, v21 offset:3132
	s_waitcnt lgkmcnt(0)
	ds_write_b32 v20, v21 offset:3888
.LBB24_220:
	s_or_b64 exec, exec, s[0:1]
	s_waitcnt lgkmcnt(0)
	s_barrier
	s_and_saveexec_b64 s[0:1], vcc
	s_cbranch_execz .LBB24_222
; %bb.221:
	v_mov_b32_e32 v22, 0
	ds_read_b64 v[20:21], v22 offset:3640
	ds_read_b32 v22, v22 offset:3900
	s_movk_i32 s10, 0xc00
	s_waitcnt lgkmcnt(0)
	v_mul_f32_e32 v20, v20, v22
	v_mul_f32_e32 v20, v21, v20
	v_add_u32_e64 v21, s10, 0
	ds_write2_b32 v21, v20, v20 offset0:143 offset1:206
.LBB24_222:
	s_or_b64 exec, exec, s[0:1]
	v_lshrrev_b32_e32 v24, 4, v4
	v_and_b32_e32 v21, 15, v0
	s_movk_i32 s0, 0xff
	v_lshlrev_b32_e32 v23, 6, v24
	v_cmp_lt_u32_e64 s[14:15], s0, v4
	s_movk_i32 s0, 0x100
	v_or_b32_e32 v20, v23, v21
	v_cmp_gt_u32_e64 s[10:11], s0, v4
	v_lshlrev_b32_e32 v20, 2, v20
	v_mov_b32_e32 v25, 0
	s_waitcnt lgkmcnt(0)
	s_barrier
	s_and_saveexec_b64 s[0:1], s[10:11]
	s_cbranch_execz .LBB24_250
; %bb.223:
	v_mul_u32_u24_e32 v25, 0x104, v24
	ds_read_b32 v22, v20 offset:64
	ds_read_b32 v26, v25
	s_movk_i32 s16, 0xf0
	v_cmp_gt_u32_e64 s[16:17], s16, v4
	s_waitcnt lgkmcnt(0)
	v_fma_f32 v22, v22, v26, 0
	s_and_saveexec_b64 s[20:21], s[16:17]
	s_cbranch_execz .LBB24_225
; %bb.224:
	v_lshlrev_b32_e32 v26, 2, v24
	v_sub_u32_e32 v26, v25, v26
	v_lshl_add_u32 v26, v21, 2, v26
	ds_read_b32 v26, v26 offset:320
	ds_read_b32 v27, v25 offset:4
	s_waitcnt lgkmcnt(0)
	v_fmac_f32_e32 v22, v26, v27
.LBB24_225:
	s_or_b64 exec, exec, s[20:21]
	s_movk_i32 s16, 0xe0
	v_cmp_gt_u32_e64 s[16:17], s16, v4
	s_and_saveexec_b64 s[20:21], s[16:17]
	s_cbranch_execz .LBB24_227
; %bb.226:
	v_lshlrev_b32_e32 v26, 2, v24
	v_sub_u32_e32 v26, v25, v26
	v_lshl_add_u32 v26, v21, 2, v26
	ds_read_b32 v26, v26 offset:576
	ds_read_b32 v27, v25 offset:8
	s_waitcnt lgkmcnt(0)
	v_fmac_f32_e32 v22, v26, v27
.LBB24_227:
	s_or_b64 exec, exec, s[20:21]
	s_movk_i32 s16, 0xd0
	v_cmp_gt_u32_e64 s[16:17], s16, v4
	s_and_saveexec_b64 s[20:21], s[16:17]
	s_cbranch_execz .LBB24_229
; %bb.228:
	v_lshlrev_b32_e32 v26, 2, v24
	v_sub_u32_e32 v26, v25, v26
	v_lshl_add_u32 v26, v21, 2, v26
	ds_read_b32 v26, v26 offset:832
	ds_read_b32 v27, v25 offset:12
	s_waitcnt lgkmcnt(0)
	v_fmac_f32_e32 v22, v26, v27
.LBB24_229:
	s_or_b64 exec, exec, s[20:21]
	s_movk_i32 s16, 0xc0
	v_cmp_gt_u32_e64 s[16:17], s16, v4
	s_and_saveexec_b64 s[20:21], s[16:17]
	s_cbranch_execz .LBB24_231
; %bb.230:
	v_lshlrev_b32_e32 v26, 2, v24
	v_sub_u32_e32 v26, v25, v26
	v_lshl_add_u32 v26, v21, 2, v26
	ds_read_b32 v26, v26 offset:1088
	ds_read_b32 v27, v25 offset:16
	s_waitcnt lgkmcnt(0)
	v_fmac_f32_e32 v22, v26, v27
.LBB24_231:
	s_or_b64 exec, exec, s[20:21]
	s_movk_i32 s16, 0xb0
	v_cmp_gt_u32_e64 s[16:17], s16, v4
	s_and_saveexec_b64 s[20:21], s[16:17]
	s_cbranch_execz .LBB24_233
; %bb.232:
	v_lshlrev_b32_e32 v26, 2, v24
	v_sub_u32_e32 v26, v25, v26
	v_lshl_add_u32 v26, v21, 2, v26
	ds_read_b32 v26, v26 offset:1344
	ds_read_b32 v27, v25 offset:20
	s_waitcnt lgkmcnt(0)
	v_fmac_f32_e32 v22, v26, v27
.LBB24_233:
	s_or_b64 exec, exec, s[20:21]
	s_movk_i32 s16, 0xa0
	v_cmp_gt_u32_e64 s[16:17], s16, v4
	s_and_saveexec_b64 s[20:21], s[16:17]
	s_cbranch_execz .LBB24_235
; %bb.234:
	v_lshlrev_b32_e32 v26, 2, v24
	v_sub_u32_e32 v26, v25, v26
	v_lshl_add_u32 v26, v21, 2, v26
	ds_read_b32 v26, v26 offset:1600
	ds_read_b32 v27, v25 offset:24
	s_waitcnt lgkmcnt(0)
	v_fmac_f32_e32 v22, v26, v27
.LBB24_235:
	s_or_b64 exec, exec, s[20:21]
	s_movk_i32 s16, 0x90
	v_cmp_gt_u32_e64 s[16:17], s16, v4
	s_and_saveexec_b64 s[20:21], s[16:17]
	s_cbranch_execz .LBB24_237
; %bb.236:
	v_lshlrev_b32_e32 v26, 2, v24
	v_sub_u32_e32 v26, v25, v26
	v_lshl_add_u32 v26, v21, 2, v26
	ds_read_b32 v26, v26 offset:1856
	ds_read_b32 v27, v25 offset:28
	s_waitcnt lgkmcnt(0)
	v_fmac_f32_e32 v22, v26, v27
.LBB24_237:
	s_or_b64 exec, exec, s[20:21]
	s_movk_i32 s16, 0x80
	v_cmp_gt_u32_e64 s[16:17], s16, v4
	s_and_saveexec_b64 s[20:21], s[16:17]
	s_cbranch_execz .LBB24_239
; %bb.238:
	ds_read_b32 v26, v20 offset:2112
	ds_read_b32 v27, v25 offset:32
	s_waitcnt lgkmcnt(0)
	v_fmac_f32_e32 v22, v26, v27
.LBB24_239:
	s_or_b64 exec, exec, s[20:21]
	s_movk_i32 s16, 0x70
	v_cmp_gt_u32_e64 s[16:17], s16, v4
	s_and_saveexec_b64 s[20:21], s[16:17]
	s_cbranch_execz .LBB24_241
; %bb.240:
	v_lshlrev_b32_e32 v26, 2, v24
	v_sub_u32_e32 v26, v25, v26
	v_lshl_add_u32 v26, v21, 2, v26
	ds_read_b32 v26, v26 offset:2368
	ds_read_b32 v27, v25 offset:36
	s_waitcnt lgkmcnt(0)
	v_fmac_f32_e32 v22, v26, v27
.LBB24_241:
	s_or_b64 exec, exec, s[20:21]
	s_movk_i32 s16, 0x60
	v_cmp_gt_u32_e64 s[16:17], s16, v4
	s_and_saveexec_b64 s[20:21], s[16:17]
	s_cbranch_execz .LBB24_243
; %bb.242:
	v_lshlrev_b32_e32 v26, 2, v21
	v_lshl_add_u32 v26, v23, 2, v26
	ds_read_b32 v26, v26 offset:2624
	ds_read_b32 v27, v25 offset:40
	s_waitcnt lgkmcnt(0)
	v_fmac_f32_e32 v22, v26, v27
.LBB24_243:
	s_or_b64 exec, exec, s[20:21]
	s_movk_i32 s16, 0x50
	v_cmp_gt_u32_e64 s[16:17], s16, v4
	s_and_saveexec_b64 s[20:21], s[16:17]
	s_cbranch_execnz .LBB24_1215
; %bb.244:
	s_or_b64 exec, exec, s[20:21]
	v_cmp_gt_u32_e64 s[16:17], 64, v4
	s_and_saveexec_b64 s[20:21], s[16:17]
	s_cbranch_execnz .LBB24_1216
.LBB24_245:
	s_or_b64 exec, exec, s[20:21]
	v_cmp_gt_u32_e64 s[16:17], 48, v4
	s_and_saveexec_b64 s[20:21], s[16:17]
	s_cbranch_execnz .LBB24_1217
.LBB24_246:
	s_or_b64 exec, exec, s[20:21]
	v_cmp_gt_u32_e64 s[16:17], 32, v4
	s_and_saveexec_b64 s[20:21], s[16:17]
	s_cbranch_execnz .LBB24_1218
.LBB24_247:
	s_or_b64 exec, exec, s[20:21]
	v_cmp_gt_u32_e64 s[16:17], 16, v4
	s_and_saveexec_b64 s[20:21], s[16:17]
	s_cbranch_execz .LBB24_249
.LBB24_248:
	v_lshlrev_b32_e32 v25, 2, v0
	v_mov_b32_e32 v26, 0
	ds_read_b32 v25, v25 offset:3904
	ds_read_b32 v26, v26 offset:60
	s_waitcnt lgkmcnt(0)
	v_fmac_f32_e32 v22, v25, v26
.LBB24_249:
	s_or_b64 exec, exec, s[20:21]
	v_xor_b32_e32 v25, 0x80000000, v22
.LBB24_250:
	s_or_b64 exec, exec, s[0:1]
	v_mov_b32_e32 v22, 0x4000
	v_lshl_add_u32 v22, v24, 2, v22
	v_cmp_eq_u32_e64 s[16:17], 0, v21
	s_xor_b64 s[0:1], s[14:15], -1
	s_and_b64 s[16:17], s[16:17], s[0:1]
	s_mov_b64 s[14:15], exec
	v_writelane_b32 v33, s16, 3
	v_writelane_b32 v33, s17, 4
	s_and_b64 s[16:17], s[14:15], s[16:17]
	s_mov_b64 exec, s[16:17]
	s_cbranch_execz .LBB24_252
; %bb.251:
	v_mov_b32_e32 v26, 0
	ds_read_b32 v26, v26 offset:4160
	s_waitcnt lgkmcnt(0)
	v_mul_f32_e32 v25, v25, v26
	ds_write_b32 v22, v25
.LBB24_252:
	s_or_b64 exec, exec, s[14:15]
	v_cmp_ne_u32_e64 s[14:15], 0, v21
	s_waitcnt lgkmcnt(0)
	s_barrier
	s_and_b64 s[16:17], s[14:15], s[0:1]
	s_mov_b64 s[14:15], exec
	v_writelane_b32 v33, s16, 5
	v_writelane_b32 v33, s17, 6
	s_and_b64 s[16:17], s[14:15], s[16:17]
	s_mov_b64 exec, s[16:17]
	s_cbranch_execz .LBB24_254
; %bb.253:
	v_lshlrev_b32_e32 v26, 2, v21
	ds_read_b32 v26, v26 offset:4160
	ds_read_b32 v27, v22
	s_waitcnt lgkmcnt(0)
	v_fmac_f32_e32 v25, v26, v27
.LBB24_254:
	s_or_b64 exec, exec, s[14:15]
	v_cmp_eq_u32_e64 s[14:15], 1, v21
	s_barrier
	s_and_b64 s[16:17], s[14:15], s[0:1]
	s_mov_b64 s[14:15], exec
	v_writelane_b32 v33, s16, 7
	v_writelane_b32 v33, s17, 8
	s_and_b64 s[16:17], s[14:15], s[16:17]
	s_mov_b64 exec, s[16:17]
	s_cbranch_execz .LBB24_256
; %bb.255:
	v_mov_b32_e32 v26, 0
	ds_read_b32 v26, v26 offset:4420
	s_waitcnt lgkmcnt(0)
	v_mul_f32_e32 v25, v25, v26
	ds_write_b32 v22, v25
.LBB24_256:
	s_or_b64 exec, exec, s[14:15]
	v_cmp_lt_u32_e64 s[14:15], 1, v21
	s_waitcnt lgkmcnt(0)
	s_barrier
	s_and_b64 s[16:17], s[14:15], s[0:1]
	s_mov_b64 s[14:15], exec
	v_writelane_b32 v33, s16, 9
	v_writelane_b32 v33, s17, 10
	s_and_b64 s[16:17], s[14:15], s[16:17]
	s_mov_b64 exec, s[16:17]
	s_cbranch_execz .LBB24_258
; %bb.257:
	v_lshlrev_b32_e32 v26, 2, v21
	ds_read_b32 v26, v26 offset:4416
	ds_read_b32 v27, v22
	s_waitcnt lgkmcnt(0)
	v_fmac_f32_e32 v25, v26, v27
.LBB24_258:
	s_or_b64 exec, exec, s[14:15]
	v_cmp_eq_u32_e64 s[14:15], 2, v21
	s_barrier
	s_and_b64 s[16:17], s[14:15], s[0:1]
	s_mov_b64 s[14:15], exec
	v_writelane_b32 v33, s16, 11
	v_writelane_b32 v33, s17, 12
	s_and_b64 s[16:17], s[14:15], s[16:17]
	s_mov_b64 exec, s[16:17]
	s_cbranch_execz .LBB24_260
; %bb.259:
	v_mov_b32_e32 v26, 0
	ds_read_b32 v26, v26 offset:4680
	s_waitcnt lgkmcnt(0)
	v_mul_f32_e32 v25, v25, v26
	ds_write_b32 v22, v25
.LBB24_260:
	s_or_b64 exec, exec, s[14:15]
	v_cmp_lt_u32_e64 s[14:15], 2, v21
	;; [unrolled: 35-line block ×13, first 2 shown]
	s_and_b64 s[92:93], s[14:15], s[0:1]
	s_waitcnt lgkmcnt(0)
	s_barrier
	s_and_saveexec_b64 s[14:15], s[92:93]
	s_cbranch_execz .LBB24_306
; %bb.305:
	v_lshlrev_b32_e32 v26, 2, v21
	ds_read_b32 v26, v26 offset:7488
	ds_read_b32 v27, v22
	s_waitcnt lgkmcnt(0)
	v_fmac_f32_e32 v25, v26, v27
.LBB24_306:
	s_or_b64 exec, exec, s[14:15]
	v_cmp_eq_u32_e64 s[14:15], 14, v21
	s_and_b64 s[94:95], s[14:15], s[0:1]
	s_barrier
	s_and_saveexec_b64 s[14:15], s[94:95]
	s_cbranch_execz .LBB24_308
; %bb.307:
	v_mov_b32_e32 v26, 0
	ds_read_b32 v26, v26 offset:7800
	s_waitcnt lgkmcnt(0)
	v_mul_f32_e32 v25, v25, v26
	ds_write_b32 v22, v25
.LBB24_308:
	s_or_b64 exec, exec, s[14:15]
	v_cmp_eq_u32_e64 s[14:15], 15, v21
	s_and_b64 s[90:91], s[14:15], s[0:1]
	s_waitcnt lgkmcnt(0)
	s_barrier
	s_and_saveexec_b64 s[0:1], s[90:91]
	s_cbranch_execz .LBB24_310
; %bb.309:
	v_mov_b32_e32 v26, 0
	ds_read_b32 v26, v26 offset:7804
	ds_read_b32 v27, v22
	s_waitcnt lgkmcnt(0)
	v_fmac_f32_e32 v25, v26, v27
.LBB24_310:
	s_or_b64 exec, exec, s[0:1]
	s_barrier
	s_and_saveexec_b64 s[0:1], s[90:91]
	s_cbranch_execz .LBB24_312
; %bb.311:
	v_mov_b32_e32 v26, 0
	ds_read_b32 v26, v26 offset:8060
	s_waitcnt lgkmcnt(0)
	v_mul_f32_e32 v25, v25, v26
	ds_write_b32 v22, v25
.LBB24_312:
	s_or_b64 exec, exec, s[0:1]
	s_waitcnt lgkmcnt(0)
	s_barrier
	s_barrier
	s_and_saveexec_b64 s[0:1], s[10:11]
; %bb.313:
	v_xor_b32_e32 v25, 0x80000000, v25
	ds_write_b32 v20, v25 offset:64
; %bb.314:
	s_or_b64 exec, exec, s[0:1]
	v_cmp_gt_u32_e64 s[14:15], 16, v0
	s_and_b64 s[0:1], s[12:13], s[14:15]
	s_waitcnt lgkmcnt(0)
	s_barrier
	s_barrier
	s_and_saveexec_b64 s[14:15], s[0:1]
	s_cbranch_execz .LBB24_316
; %bb.315:
	v_lshlrev_b32_e32 v25, 8, v0
	ds_read_b32 v26, v25 offset:64
	s_movk_i32 s16, 0xff04
	v_mad_i32_i24 v27, v0, s16, v25
	s_waitcnt lgkmcnt(0)
	ds_write_b32 v27, v26 offset:4096
	ds_read_b32 v26, v25 offset:68
	s_waitcnt lgkmcnt(0)
	ds_write_b32 v27, v26 offset:4352
	ds_read_b32 v26, v25 offset:72
	;; [unrolled: 3-line block ×15, first 2 shown]
	s_waitcnt lgkmcnt(0)
	ds_write_b32 v27, v25 offset:7936
.LBB24_316:
	s_or_b64 exec, exec, s[14:15]
	s_waitcnt lgkmcnt(0)
	s_barrier
	s_and_saveexec_b64 s[14:15], vcc
	s_cbranch_execz .LBB24_318
; %bb.317:
	v_mov_b32_e32 v27, 0
	ds_read_b64 v[25:26], v27 offset:4160
	ds_read_b32 v27, v27 offset:4420
	s_movk_i32 s16, 0x1000
	s_waitcnt lgkmcnt(0)
	v_mul_f32_e32 v25, v25, v27
	v_mul_f32_e32 v25, v26, v25
	v_add_u32_e64 v26, s16, 0
	ds_write2_b32 v26, v25, v25 offset0:17 offset1:80
.LBB24_318:
	s_or_b64 exec, exec, s[14:15]
	v_mov_b32_e32 v25, 0
	s_waitcnt lgkmcnt(0)
	s_barrier
	s_and_saveexec_b64 s[16:17], s[2:3]
	s_cbranch_execz .LBB24_322
; %bb.319:
	v_mul_u32_u24_e32 v25, 0x104, v5
	ds_read_b32 v27, v1 offset:4168
	ds_read_b32 v25, v25 offset:4160
	v_mov_b32_e32 v26, 0
	v_cmp_gt_u32_e64 s[14:15], 2, v4
	s_waitcnt lgkmcnt(0)
	v_fma_f32 v25, v27, v25, 0
	s_and_saveexec_b64 s[20:21], s[14:15]
	s_cbranch_execz .LBB24_321
; %bb.320:
	v_lshlrev_b32_e32 v27, 2, v0
	ds_read_b32 v27, v27 offset:4424
	ds_read_b32 v26, v26 offset:4164
	s_waitcnt lgkmcnt(0)
	v_fmac_f32_e32 v25, v27, v26
.LBB24_321:
	s_or_b64 exec, exec, s[20:21]
	v_xor_b32_e32 v25, 0x80000000, v25
.LBB24_322:
	s_or_b64 exec, exec, s[16:17]
	s_and_saveexec_b64 s[14:15], s[34:35]
	s_cbranch_execz .LBB24_324
; %bb.323:
	v_mov_b32_e32 v26, 0
	ds_read_b32 v26, v26 offset:4680
	s_waitcnt lgkmcnt(0)
	v_mul_f32_e32 v25, v25, v26
	ds_write_b32 v3, v25
.LBB24_324:
	s_or_b64 exec, exec, s[14:15]
	s_waitcnt lgkmcnt(0)
	s_barrier
	s_and_saveexec_b64 s[14:15], s[26:27]
	s_cbranch_execz .LBB24_326
; %bb.325:
	v_mov_b32_e32 v26, 0
	ds_read_b32 v26, v26 offset:4684
	ds_read_b32 v27, v3
	s_waitcnt lgkmcnt(0)
	v_fmac_f32_e32 v25, v26, v27
.LBB24_326:
	s_or_b64 exec, exec, s[14:15]
	s_barrier
	s_and_saveexec_b64 s[14:15], s[26:27]
	s_cbranch_execz .LBB24_328
; %bb.327:
	v_mov_b32_e32 v26, 0
	ds_read_b32 v26, v26 offset:4940
	s_waitcnt lgkmcnt(0)
	v_mul_f32_e32 v25, v25, v26
	ds_write_b32 v3, v25
.LBB24_328:
	s_or_b64 exec, exec, s[14:15]
	s_waitcnt lgkmcnt(0)
	s_barrier
	s_barrier
	s_and_saveexec_b64 s[14:15], s[2:3]
; %bb.329:
	v_xor_b32_e32 v25, 0x80000000, v25
	ds_write_b32 v1, v25 offset:4168
; %bb.330:
	s_or_b64 exec, exec, s[14:15]
	s_waitcnt lgkmcnt(0)
	s_barrier
	s_barrier
	s_and_saveexec_b64 s[14:15], s[36:37]
	s_cbranch_execz .LBB24_332
; %bb.331:
	v_lshlrev_b32_e32 v25, 2, v0
	s_movk_i32 s16, 0xfc
	v_mad_u32_u24 v26, v0, s16, v25
	ds_read_b32 v27, v26 offset:4168
	s_waitcnt lgkmcnt(0)
	ds_write_b32 v25, v27 offset:4672
	ds_read_b32 v26, v26 offset:4172
	s_waitcnt lgkmcnt(0)
	ds_write_b32 v25, v26 offset:4928
.LBB24_332:
	s_or_b64 exec, exec, s[14:15]
	s_waitcnt lgkmcnt(0)
	s_barrier
	s_and_saveexec_b64 s[14:15], vcc
	s_cbranch_execz .LBB24_334
; %bb.333:
	v_mov_b32_e32 v27, 0
	ds_read_b64 v[25:26], v27 offset:4680
	ds_read_b32 v27, v27 offset:4940
	s_movk_i32 s16, 0x1000
	s_waitcnt lgkmcnt(0)
	v_mul_f32_e32 v25, v25, v27
	v_mul_f32_e32 v25, v26, v25
	v_add_u32_e64 v26, s16, 0
	ds_write2_b32 v26, v25, v25 offset0:147 offset1:210
.LBB24_334:
	s_or_b64 exec, exec, s[14:15]
	v_mov_b32_e32 v25, 0
	s_waitcnt lgkmcnt(0)
	s_barrier
	s_and_saveexec_b64 s[16:17], s[18:19]
	s_cbranch_execz .LBB24_340
; %bb.335:
	v_mul_u32_u24_e32 v26, 0x104, v14
	ds_read_b32 v25, v6 offset:4176
	ds_read_b32 v27, v26 offset:4160
	v_cmp_gt_u32_e64 s[14:15], 12, v4
	s_waitcnt lgkmcnt(0)
	v_fma_f32 v25, v25, v27, 0
	s_and_saveexec_b64 s[20:21], s[14:15]
	s_cbranch_execnz .LBB24_1219
; %bb.336:
	s_or_b64 exec, exec, s[20:21]
	v_cmp_gt_u32_e64 s[14:15], 8, v4
	s_and_saveexec_b64 s[20:21], s[14:15]
	s_cbranch_execnz .LBB24_1220
.LBB24_337:
	s_or_b64 exec, exec, s[20:21]
	v_cmp_gt_u32_e64 s[14:15], 4, v4
	s_and_saveexec_b64 s[20:21], s[14:15]
	s_cbranch_execz .LBB24_339
.LBB24_338:
	v_lshlrev_b32_e32 v26, 2, v0
	v_mov_b32_e32 v27, 0
	ds_read_b32 v26, v26 offset:4944
	ds_read_b32 v27, v27 offset:4172
	s_waitcnt lgkmcnt(0)
	v_fmac_f32_e32 v25, v26, v27
.LBB24_339:
	s_or_b64 exec, exec, s[20:21]
	v_xor_b32_e32 v25, 0x80000000, v25
.LBB24_340:
	s_or_b64 exec, exec, s[16:17]
	s_and_saveexec_b64 s[14:15], s[40:41]
	s_cbranch_execz .LBB24_342
; %bb.341:
	v_mov_b32_e32 v26, 0
	ds_read_b32 v26, v26 offset:5200
	s_waitcnt lgkmcnt(0)
	v_mul_f32_e32 v25, v25, v26
	ds_write_b32 v12, v25
.LBB24_342:
	s_or_b64 exec, exec, s[14:15]
	s_waitcnt lgkmcnt(0)
	s_barrier
	s_and_saveexec_b64 s[14:15], s[42:43]
	s_cbranch_execz .LBB24_344
; %bb.343:
	ds_read_b32 v26, v11 offset:5200
	ds_read_b32 v27, v12
	s_waitcnt lgkmcnt(0)
	v_fmac_f32_e32 v25, v26, v27
.LBB24_344:
	s_or_b64 exec, exec, s[14:15]
	s_barrier
	s_and_saveexec_b64 s[14:15], s[44:45]
	s_cbranch_execz .LBB24_346
; %bb.345:
	v_mov_b32_e32 v26, 0
	ds_read_b32 v26, v26 offset:5460
	s_waitcnt lgkmcnt(0)
	v_mul_f32_e32 v25, v25, v26
	ds_write_b32 v12, v25
.LBB24_346:
	s_or_b64 exec, exec, s[14:15]
	s_waitcnt lgkmcnt(0)
	s_barrier
	s_and_saveexec_b64 s[14:15], s[46:47]
	s_cbranch_execz .LBB24_348
; %bb.347:
	ds_read_b32 v26, v11 offset:5456
	ds_read_b32 v27, v12
	s_waitcnt lgkmcnt(0)
	v_fmac_f32_e32 v25, v26, v27
.LBB24_348:
	s_or_b64 exec, exec, s[14:15]
	s_barrier
	s_and_saveexec_b64 s[14:15], s[48:49]
	s_cbranch_execz .LBB24_350
; %bb.349:
	v_mov_b32_e32 v26, 0
	ds_read_b32 v26, v26 offset:5720
	s_waitcnt lgkmcnt(0)
	v_mul_f32_e32 v25, v25, v26
	ds_write_b32 v12, v25
.LBB24_350:
	s_or_b64 exec, exec, s[14:15]
	s_waitcnt lgkmcnt(0)
	s_barrier
	s_and_saveexec_b64 s[14:15], s[38:39]
	s_cbranch_execz .LBB24_352
; %bb.351:
	v_mov_b32_e32 v26, 0
	ds_read_b32 v26, v26 offset:5724
	ds_read_b32 v27, v12
	s_waitcnt lgkmcnt(0)
	v_fmac_f32_e32 v25, v26, v27
.LBB24_352:
	s_or_b64 exec, exec, s[14:15]
	s_barrier
	s_and_saveexec_b64 s[14:15], s[38:39]
	s_cbranch_execz .LBB24_354
; %bb.353:
	v_mov_b32_e32 v26, 0
	ds_read_b32 v26, v26 offset:5980
	s_waitcnt lgkmcnt(0)
	v_mul_f32_e32 v25, v25, v26
	ds_write_b32 v12, v25
.LBB24_354:
	s_or_b64 exec, exec, s[14:15]
	s_waitcnt lgkmcnt(0)
	s_barrier
	s_barrier
	s_and_saveexec_b64 s[14:15], s[18:19]
; %bb.355:
	v_xor_b32_e32 v25, 0x80000000, v25
	ds_write_b32 v6, v25 offset:4176
; %bb.356:
	s_or_b64 exec, exec, s[14:15]
	s_waitcnt lgkmcnt(0)
	s_barrier
	s_barrier
	s_and_saveexec_b64 s[14:15], s[50:51]
	s_cbranch_execz .LBB24_358
; %bb.357:
	v_lshlrev_b32_e32 v25, 8, v0
	ds_read_b32 v26, v25 offset:4176
	s_movk_i32 s16, 0xff04
	v_mad_i32_i24 v27, v0, s16, v25
	s_waitcnt lgkmcnt(0)
	ds_write_b32 v27, v26 offset:5184
	ds_read_b32 v26, v25 offset:4180
	s_waitcnt lgkmcnt(0)
	ds_write_b32 v27, v26 offset:5440
	ds_read_b32 v26, v25 offset:4184
	;; [unrolled: 3-line block ×3, first 2 shown]
	s_waitcnt lgkmcnt(0)
	ds_write_b32 v27, v25 offset:5952
.LBB24_358:
	s_or_b64 exec, exec, s[14:15]
	s_waitcnt lgkmcnt(0)
	s_barrier
	s_and_saveexec_b64 s[14:15], vcc
	s_cbranch_execz .LBB24_360
; %bb.359:
	v_mov_b32_e32 v27, 0
	ds_read_b64 v[25:26], v27 offset:5200
	ds_read_b32 v27, v27 offset:5460
	s_movk_i32 s16, 0x1400
	s_waitcnt lgkmcnt(0)
	v_mul_f32_e32 v25, v25, v27
	v_mul_f32_e32 v25, v26, v25
	v_add_u32_e64 v26, s16, 0
	ds_write2_b32 v26, v25, v25 offset0:21 offset1:84
.LBB24_360:
	s_or_b64 exec, exec, s[14:15]
	v_mov_b32_e32 v25, 0
	s_waitcnt lgkmcnt(0)
	s_barrier
	s_and_saveexec_b64 s[16:17], s[2:3]
	s_cbranch_execz .LBB24_364
; %bb.361:
	v_mul_u32_u24_e32 v25, 0x104, v5
	ds_read_b32 v27, v1 offset:5208
	ds_read_b32 v25, v25 offset:5200
	v_mov_b32_e32 v26, 0
	v_cmp_gt_u32_e64 s[14:15], 2, v4
	s_waitcnt lgkmcnt(0)
	v_fma_f32 v25, v27, v25, 0
	s_and_saveexec_b64 s[20:21], s[14:15]
	s_cbranch_execz .LBB24_363
; %bb.362:
	v_lshlrev_b32_e32 v27, 2, v0
	ds_read_b32 v27, v27 offset:5464
	ds_read_b32 v26, v26 offset:5204
	s_waitcnt lgkmcnt(0)
	v_fmac_f32_e32 v25, v27, v26
.LBB24_363:
	s_or_b64 exec, exec, s[20:21]
	v_xor_b32_e32 v25, 0x80000000, v25
.LBB24_364:
	s_or_b64 exec, exec, s[16:17]
	s_and_saveexec_b64 s[14:15], s[34:35]
	s_cbranch_execz .LBB24_366
; %bb.365:
	v_mov_b32_e32 v26, 0
	ds_read_b32 v26, v26 offset:5720
	s_waitcnt lgkmcnt(0)
	v_mul_f32_e32 v25, v25, v26
	ds_write_b32 v3, v25
.LBB24_366:
	s_or_b64 exec, exec, s[14:15]
	s_waitcnt lgkmcnt(0)
	s_barrier
	s_and_saveexec_b64 s[14:15], s[26:27]
	s_cbranch_execz .LBB24_368
; %bb.367:
	v_mov_b32_e32 v26, 0
	ds_read_b32 v26, v26 offset:5724
	ds_read_b32 v27, v3
	s_waitcnt lgkmcnt(0)
	v_fmac_f32_e32 v25, v26, v27
.LBB24_368:
	s_or_b64 exec, exec, s[14:15]
	s_barrier
	s_and_saveexec_b64 s[14:15], s[26:27]
	s_cbranch_execz .LBB24_370
; %bb.369:
	v_mov_b32_e32 v26, 0
	ds_read_b32 v26, v26 offset:5980
	s_waitcnt lgkmcnt(0)
	v_mul_f32_e32 v25, v25, v26
	ds_write_b32 v3, v25
.LBB24_370:
	s_or_b64 exec, exec, s[14:15]
	s_waitcnt lgkmcnt(0)
	s_barrier
	s_barrier
	s_and_saveexec_b64 s[14:15], s[2:3]
; %bb.371:
	v_xor_b32_e32 v25, 0x80000000, v25
	ds_write_b32 v1, v25 offset:5208
; %bb.372:
	s_or_b64 exec, exec, s[14:15]
	s_waitcnt lgkmcnt(0)
	s_barrier
	s_barrier
	s_and_saveexec_b64 s[14:15], s[36:37]
	s_cbranch_execz .LBB24_374
; %bb.373:
	v_lshlrev_b32_e32 v25, 2, v0
	s_movk_i32 s16, 0xfc
	v_mad_u32_u24 v26, v0, s16, v25
	ds_read_b32 v27, v26 offset:5208
	s_waitcnt lgkmcnt(0)
	ds_write_b32 v25, v27 offset:5712
	ds_read_b32 v26, v26 offset:5212
	s_waitcnt lgkmcnt(0)
	ds_write_b32 v25, v26 offset:5968
.LBB24_374:
	s_or_b64 exec, exec, s[14:15]
	s_waitcnt lgkmcnt(0)
	s_barrier
	s_and_saveexec_b64 s[14:15], vcc
	s_cbranch_execz .LBB24_376
; %bb.375:
	v_mov_b32_e32 v27, 0
	ds_read_b64 v[25:26], v27 offset:5720
	ds_read_b32 v27, v27 offset:5980
	s_movk_i32 s16, 0x1400
	s_waitcnt lgkmcnt(0)
	v_mul_f32_e32 v25, v25, v27
	v_mul_f32_e32 v25, v26, v25
	v_add_u32_e64 v26, s16, 0
	ds_write2_b32 v26, v25, v25 offset0:151 offset1:214
.LBB24_376:
	s_or_b64 exec, exec, s[14:15]
	v_mov_b32_e32 v25, 0
	s_waitcnt lgkmcnt(0)
	s_barrier
	s_and_saveexec_b64 s[16:17], s[8:9]
	s_cbranch_execz .LBB24_386
; %bb.377:
	v_mul_u32_u24_e32 v26, 0x104, v19
	ds_read_b32 v25, v15 offset:4192
	ds_read_b32 v27, v26 offset:4160
	v_cmp_gt_u32_e64 s[14:15], 56, v4
	s_waitcnt lgkmcnt(0)
	v_fma_f32 v25, v25, v27, 0
	s_and_saveexec_b64 s[20:21], s[14:15]
	s_cbranch_execnz .LBB24_1221
; %bb.378:
	s_or_b64 exec, exec, s[20:21]
	v_cmp_gt_u32_e64 s[14:15], 48, v4
	s_and_saveexec_b64 s[20:21], s[14:15]
	s_cbranch_execnz .LBB24_1222
.LBB24_379:
	s_or_b64 exec, exec, s[20:21]
	v_cmp_gt_u32_e64 s[14:15], 40, v4
	s_and_saveexec_b64 s[20:21], s[14:15]
	s_cbranch_execnz .LBB24_1223
.LBB24_380:
	s_or_b64 exec, exec, s[20:21]
	v_cmp_gt_u32_e64 s[14:15], 32, v4
	s_and_saveexec_b64 s[20:21], s[14:15]
	s_cbranch_execnz .LBB24_1224
.LBB24_381:
	s_or_b64 exec, exec, s[20:21]
	v_cmp_gt_u32_e64 s[14:15], 24, v4
	s_and_saveexec_b64 s[20:21], s[14:15]
	s_cbranch_execnz .LBB24_1225
.LBB24_382:
	s_or_b64 exec, exec, s[20:21]
	v_cmp_gt_u32_e64 s[14:15], 16, v4
	s_and_saveexec_b64 s[20:21], s[14:15]
	s_cbranch_execnz .LBB24_1226
.LBB24_383:
	s_or_b64 exec, exec, s[20:21]
	v_cmp_gt_u32_e64 s[14:15], 8, v4
	s_and_saveexec_b64 s[20:21], s[14:15]
	s_cbranch_execz .LBB24_385
.LBB24_384:
	v_lshlrev_b32_e32 v26, 2, v0
	v_mov_b32_e32 v27, 0
	ds_read_b32 v26, v26 offset:5984
	ds_read_b32 v27, v27 offset:4188
	s_waitcnt lgkmcnt(0)
	v_fmac_f32_e32 v25, v26, v27
.LBB24_385:
	s_or_b64 exec, exec, s[20:21]
	v_xor_b32_e32 v25, 0x80000000, v25
.LBB24_386:
	s_or_b64 exec, exec, s[16:17]
	s_and_saveexec_b64 s[14:15], s[52:53]
	s_cbranch_execz .LBB24_388
; %bb.387:
	v_mov_b32_e32 v26, 0
	ds_read_b32 v26, v26 offset:6240
	s_waitcnt lgkmcnt(0)
	v_mul_f32_e32 v25, v25, v26
	ds_write_b32 v17, v25
.LBB24_388:
	s_or_b64 exec, exec, s[14:15]
	s_waitcnt lgkmcnt(0)
	s_barrier
	s_and_saveexec_b64 s[14:15], s[54:55]
	s_cbranch_execz .LBB24_390
; %bb.389:
	ds_read_b32 v26, v16 offset:6240
	ds_read_b32 v27, v17
	s_waitcnt lgkmcnt(0)
	v_fmac_f32_e32 v25, v26, v27
.LBB24_390:
	s_or_b64 exec, exec, s[14:15]
	s_barrier
	s_and_saveexec_b64 s[14:15], s[56:57]
	s_cbranch_execz .LBB24_392
; %bb.391:
	v_mov_b32_e32 v26, 0
	ds_read_b32 v26, v26 offset:6500
	s_waitcnt lgkmcnt(0)
	v_mul_f32_e32 v25, v25, v26
	ds_write_b32 v17, v25
.LBB24_392:
	s_or_b64 exec, exec, s[14:15]
	s_waitcnt lgkmcnt(0)
	s_barrier
	s_and_saveexec_b64 s[14:15], s[58:59]
	s_cbranch_execz .LBB24_394
; %bb.393:
	ds_read_b32 v26, v16 offset:6496
	ds_read_b32 v27, v17
	s_waitcnt lgkmcnt(0)
	v_fmac_f32_e32 v25, v26, v27
.LBB24_394:
	s_or_b64 exec, exec, s[14:15]
	s_barrier
	;; [unrolled: 22-line block ×6, first 2 shown]
	s_and_saveexec_b64 s[14:15], s[78:79]
	s_cbranch_execz .LBB24_412
; %bb.411:
	v_mov_b32_e32 v26, 0
	ds_read_b32 v26, v26 offset:7800
	s_waitcnt lgkmcnt(0)
	v_mul_f32_e32 v25, v25, v26
	ds_write_b32 v17, v25
.LBB24_412:
	s_or_b64 exec, exec, s[14:15]
	s_waitcnt lgkmcnt(0)
	s_barrier
	s_and_saveexec_b64 s[14:15], s[60:61]
	s_cbranch_execz .LBB24_414
; %bb.413:
	v_mov_b32_e32 v26, 0
	ds_read_b32 v26, v26 offset:7804
	ds_read_b32 v27, v17
	s_waitcnt lgkmcnt(0)
	v_fmac_f32_e32 v25, v26, v27
.LBB24_414:
	s_or_b64 exec, exec, s[14:15]
	s_barrier
	s_and_saveexec_b64 s[14:15], s[60:61]
	s_cbranch_execz .LBB24_416
; %bb.415:
	v_mov_b32_e32 v26, 0
	ds_read_b32 v26, v26 offset:8060
	s_waitcnt lgkmcnt(0)
	v_mul_f32_e32 v25, v25, v26
	ds_write_b32 v17, v25
.LBB24_416:
	s_or_b64 exec, exec, s[14:15]
	s_waitcnt lgkmcnt(0)
	s_barrier
	s_barrier
	s_and_saveexec_b64 s[14:15], s[8:9]
; %bb.417:
	v_xor_b32_e32 v25, 0x80000000, v25
	ds_write_b32 v15, v25 offset:4192
; %bb.418:
	s_or_b64 exec, exec, s[14:15]
	s_waitcnt lgkmcnt(0)
	s_barrier
	s_barrier
	s_and_saveexec_b64 s[14:15], s[80:81]
	s_cbranch_execz .LBB24_420
; %bb.419:
	v_lshlrev_b32_e32 v25, 8, v0
	ds_read_b32 v26, v25 offset:4192
	s_movk_i32 s16, 0xff04
	v_mad_i32_i24 v27, v0, s16, v25
	s_waitcnt lgkmcnt(0)
	ds_write_b32 v27, v26 offset:6208
	ds_read_b32 v26, v25 offset:4196
	s_waitcnt lgkmcnt(0)
	ds_write_b32 v27, v26 offset:6464
	ds_read_b32 v26, v25 offset:4200
	;; [unrolled: 3-line block ×7, first 2 shown]
	s_waitcnt lgkmcnt(0)
	ds_write_b32 v27, v25 offset:8000
.LBB24_420:
	s_or_b64 exec, exec, s[14:15]
	s_waitcnt lgkmcnt(0)
	s_barrier
	s_and_saveexec_b64 s[14:15], vcc
	s_cbranch_execz .LBB24_422
; %bb.421:
	v_mov_b32_e32 v27, 0
	ds_read_b64 v[25:26], v27 offset:6240
	ds_read_b32 v27, v27 offset:6500
	s_movk_i32 s16, 0x1800
	s_waitcnt lgkmcnt(0)
	v_mul_f32_e32 v25, v25, v27
	v_mul_f32_e32 v25, v26, v25
	v_add_u32_e64 v26, s16, 0
	ds_write2_b32 v26, v25, v25 offset0:25 offset1:88
.LBB24_422:
	s_or_b64 exec, exec, s[14:15]
	v_mov_b32_e32 v25, 0
	s_waitcnt lgkmcnt(0)
	s_barrier
	s_and_saveexec_b64 s[16:17], s[2:3]
	s_cbranch_execz .LBB24_426
; %bb.423:
	v_mul_u32_u24_e32 v25, 0x104, v5
	ds_read_b32 v27, v1 offset:6248
	ds_read_b32 v25, v25 offset:6240
	v_mov_b32_e32 v26, 0
	v_cmp_gt_u32_e64 s[14:15], 2, v4
	s_waitcnt lgkmcnt(0)
	v_fma_f32 v25, v27, v25, 0
	s_and_saveexec_b64 s[20:21], s[14:15]
	s_cbranch_execz .LBB24_425
; %bb.424:
	v_lshlrev_b32_e32 v27, 2, v0
	ds_read_b32 v27, v27 offset:6504
	ds_read_b32 v26, v26 offset:6244
	s_waitcnt lgkmcnt(0)
	v_fmac_f32_e32 v25, v27, v26
.LBB24_425:
	s_or_b64 exec, exec, s[20:21]
	v_xor_b32_e32 v25, 0x80000000, v25
.LBB24_426:
	s_or_b64 exec, exec, s[16:17]
	s_and_saveexec_b64 s[14:15], s[34:35]
	s_cbranch_execz .LBB24_428
; %bb.427:
	v_mov_b32_e32 v26, 0
	ds_read_b32 v26, v26 offset:6760
	s_waitcnt lgkmcnt(0)
	v_mul_f32_e32 v25, v25, v26
	ds_write_b32 v3, v25
.LBB24_428:
	s_or_b64 exec, exec, s[14:15]
	s_waitcnt lgkmcnt(0)
	s_barrier
	s_and_saveexec_b64 s[14:15], s[26:27]
	s_cbranch_execz .LBB24_430
; %bb.429:
	v_mov_b32_e32 v26, 0
	ds_read_b32 v26, v26 offset:6764
	ds_read_b32 v27, v3
	s_waitcnt lgkmcnt(0)
	v_fmac_f32_e32 v25, v26, v27
.LBB24_430:
	s_or_b64 exec, exec, s[14:15]
	s_barrier
	s_and_saveexec_b64 s[14:15], s[26:27]
	s_cbranch_execz .LBB24_432
; %bb.431:
	v_mov_b32_e32 v26, 0
	ds_read_b32 v26, v26 offset:7020
	s_waitcnt lgkmcnt(0)
	v_mul_f32_e32 v25, v25, v26
	ds_write_b32 v3, v25
.LBB24_432:
	s_or_b64 exec, exec, s[14:15]
	s_waitcnt lgkmcnt(0)
	s_barrier
	s_barrier
	s_and_saveexec_b64 s[14:15], s[2:3]
; %bb.433:
	v_xor_b32_e32 v25, 0x80000000, v25
	ds_write_b32 v1, v25 offset:6248
; %bb.434:
	s_or_b64 exec, exec, s[14:15]
	s_waitcnt lgkmcnt(0)
	s_barrier
	s_barrier
	s_and_saveexec_b64 s[14:15], s[36:37]
	s_cbranch_execz .LBB24_436
; %bb.435:
	v_lshlrev_b32_e32 v25, 2, v0
	s_movk_i32 s16, 0xfc
	v_mad_u32_u24 v26, v0, s16, v25
	ds_read_b32 v27, v26 offset:6248
	s_waitcnt lgkmcnt(0)
	ds_write_b32 v25, v27 offset:6752
	ds_read_b32 v26, v26 offset:6252
	s_waitcnt lgkmcnt(0)
	ds_write_b32 v25, v26 offset:7008
.LBB24_436:
	s_or_b64 exec, exec, s[14:15]
	s_waitcnt lgkmcnt(0)
	s_barrier
	s_and_saveexec_b64 s[14:15], vcc
	s_cbranch_execz .LBB24_438
; %bb.437:
	v_mov_b32_e32 v27, 0
	ds_read_b64 v[25:26], v27 offset:6760
	ds_read_b32 v27, v27 offset:7020
	s_movk_i32 s16, 0x1800
	s_waitcnt lgkmcnt(0)
	v_mul_f32_e32 v25, v25, v27
	v_mul_f32_e32 v25, v26, v25
	v_add_u32_e64 v26, s16, 0
	ds_write2_b32 v26, v25, v25 offset0:155 offset1:218
.LBB24_438:
	s_or_b64 exec, exec, s[14:15]
	v_mov_b32_e32 v25, 0
	s_waitcnt lgkmcnt(0)
	s_barrier
	s_and_saveexec_b64 s[16:17], s[18:19]
	s_cbranch_execz .LBB24_444
; %bb.439:
	v_mul_u32_u24_e32 v26, 0x104, v14
	ds_read_b32 v25, v6 offset:6256
	ds_read_b32 v27, v26 offset:6240
	v_cmp_gt_u32_e64 s[14:15], 12, v4
	s_waitcnt lgkmcnt(0)
	v_fma_f32 v25, v25, v27, 0
	s_and_saveexec_b64 s[20:21], s[14:15]
	s_cbranch_execnz .LBB24_1227
; %bb.440:
	s_or_b64 exec, exec, s[20:21]
	v_cmp_gt_u32_e64 s[14:15], 8, v4
	s_and_saveexec_b64 s[20:21], s[14:15]
	s_cbranch_execnz .LBB24_1228
.LBB24_441:
	s_or_b64 exec, exec, s[20:21]
	v_cmp_gt_u32_e64 s[14:15], 4, v4
	s_and_saveexec_b64 s[20:21], s[14:15]
	s_cbranch_execz .LBB24_443
.LBB24_442:
	v_lshlrev_b32_e32 v26, 2, v0
	v_mov_b32_e32 v27, 0
	ds_read_b32 v26, v26 offset:7024
	ds_read_b32 v27, v27 offset:6252
	s_waitcnt lgkmcnt(0)
	v_fmac_f32_e32 v25, v26, v27
.LBB24_443:
	s_or_b64 exec, exec, s[20:21]
	v_xor_b32_e32 v25, 0x80000000, v25
.LBB24_444:
	s_or_b64 exec, exec, s[16:17]
	s_and_saveexec_b64 s[14:15], s[40:41]
	s_cbranch_execz .LBB24_446
; %bb.445:
	v_mov_b32_e32 v26, 0
	ds_read_b32 v26, v26 offset:7280
	s_waitcnt lgkmcnt(0)
	v_mul_f32_e32 v25, v25, v26
	ds_write_b32 v12, v25
.LBB24_446:
	s_or_b64 exec, exec, s[14:15]
	s_waitcnt lgkmcnt(0)
	s_barrier
	s_and_saveexec_b64 s[14:15], s[42:43]
	s_cbranch_execz .LBB24_448
; %bb.447:
	ds_read_b32 v26, v11 offset:7280
	ds_read_b32 v27, v12
	s_waitcnt lgkmcnt(0)
	v_fmac_f32_e32 v25, v26, v27
.LBB24_448:
	s_or_b64 exec, exec, s[14:15]
	s_barrier
	s_and_saveexec_b64 s[14:15], s[44:45]
	s_cbranch_execz .LBB24_450
; %bb.449:
	v_mov_b32_e32 v26, 0
	ds_read_b32 v26, v26 offset:7540
	s_waitcnt lgkmcnt(0)
	v_mul_f32_e32 v25, v25, v26
	ds_write_b32 v12, v25
.LBB24_450:
	s_or_b64 exec, exec, s[14:15]
	s_waitcnt lgkmcnt(0)
	s_barrier
	s_and_saveexec_b64 s[14:15], s[46:47]
	s_cbranch_execz .LBB24_452
; %bb.451:
	ds_read_b32 v26, v11 offset:7536
	ds_read_b32 v27, v12
	s_waitcnt lgkmcnt(0)
	v_fmac_f32_e32 v25, v26, v27
.LBB24_452:
	s_or_b64 exec, exec, s[14:15]
	s_barrier
	s_and_saveexec_b64 s[14:15], s[48:49]
	s_cbranch_execz .LBB24_454
; %bb.453:
	v_mov_b32_e32 v26, 0
	ds_read_b32 v26, v26 offset:7800
	s_waitcnt lgkmcnt(0)
	v_mul_f32_e32 v25, v25, v26
	ds_write_b32 v12, v25
.LBB24_454:
	s_or_b64 exec, exec, s[14:15]
	s_waitcnt lgkmcnt(0)
	s_barrier
	s_and_saveexec_b64 s[14:15], s[38:39]
	s_cbranch_execz .LBB24_456
; %bb.455:
	v_mov_b32_e32 v26, 0
	ds_read_b32 v26, v26 offset:7804
	ds_read_b32 v27, v12
	s_waitcnt lgkmcnt(0)
	v_fmac_f32_e32 v25, v26, v27
.LBB24_456:
	s_or_b64 exec, exec, s[14:15]
	s_barrier
	s_and_saveexec_b64 s[14:15], s[38:39]
	s_cbranch_execz .LBB24_458
; %bb.457:
	v_mov_b32_e32 v26, 0
	ds_read_b32 v26, v26 offset:8060
	s_waitcnt lgkmcnt(0)
	v_mul_f32_e32 v25, v25, v26
	ds_write_b32 v12, v25
.LBB24_458:
	s_or_b64 exec, exec, s[14:15]
	s_waitcnt lgkmcnt(0)
	s_barrier
	s_barrier
	s_and_saveexec_b64 s[14:15], s[18:19]
; %bb.459:
	v_xor_b32_e32 v25, 0x80000000, v25
	ds_write_b32 v6, v25 offset:6256
; %bb.460:
	s_or_b64 exec, exec, s[14:15]
	s_waitcnt lgkmcnt(0)
	s_barrier
	s_barrier
	s_and_saveexec_b64 s[14:15], s[50:51]
	s_cbranch_execz .LBB24_462
; %bb.461:
	v_lshlrev_b32_e32 v25, 8, v0
	ds_read_b32 v26, v25 offset:6256
	s_movk_i32 s16, 0xff04
	v_mad_i32_i24 v27, v0, s16, v25
	s_waitcnt lgkmcnt(0)
	ds_write_b32 v27, v26 offset:7264
	ds_read_b32 v26, v25 offset:6260
	s_waitcnt lgkmcnt(0)
	ds_write_b32 v27, v26 offset:7520
	ds_read_b32 v26, v25 offset:6264
	;; [unrolled: 3-line block ×3, first 2 shown]
	s_waitcnt lgkmcnt(0)
	ds_write_b32 v27, v25 offset:8032
.LBB24_462:
	s_or_b64 exec, exec, s[14:15]
	s_waitcnt lgkmcnt(0)
	s_barrier
	s_and_saveexec_b64 s[14:15], vcc
	s_cbranch_execz .LBB24_464
; %bb.463:
	v_mov_b32_e32 v27, 0
	ds_read_b64 v[25:26], v27 offset:7280
	ds_read_b32 v27, v27 offset:7540
	s_movk_i32 s16, 0x1c00
	s_waitcnt lgkmcnt(0)
	v_mul_f32_e32 v25, v25, v27
	v_mul_f32_e32 v25, v26, v25
	v_add_u32_e64 v26, s16, 0
	ds_write2_b32 v26, v25, v25 offset0:29 offset1:92
.LBB24_464:
	s_or_b64 exec, exec, s[14:15]
	v_mov_b32_e32 v25, 0
	s_waitcnt lgkmcnt(0)
	s_barrier
	s_and_saveexec_b64 s[16:17], s[2:3]
	s_cbranch_execz .LBB24_468
; %bb.465:
	v_mul_u32_u24_e32 v25, 0x104, v5
	ds_read_b32 v27, v1 offset:7288
	ds_read_b32 v25, v25 offset:7280
	v_mov_b32_e32 v26, 0
	v_cmp_gt_u32_e64 s[14:15], 2, v4
	s_waitcnt lgkmcnt(0)
	v_fma_f32 v25, v27, v25, 0
	s_and_saveexec_b64 s[20:21], s[14:15]
	s_cbranch_execz .LBB24_467
; %bb.466:
	v_lshlrev_b32_e32 v27, 2, v0
	ds_read_b32 v27, v27 offset:7544
	ds_read_b32 v26, v26 offset:7284
	s_waitcnt lgkmcnt(0)
	v_fmac_f32_e32 v25, v27, v26
.LBB24_467:
	s_or_b64 exec, exec, s[20:21]
	v_xor_b32_e32 v25, 0x80000000, v25
.LBB24_468:
	s_or_b64 exec, exec, s[16:17]
	s_and_saveexec_b64 s[14:15], s[34:35]
	s_cbranch_execz .LBB24_470
; %bb.469:
	v_mov_b32_e32 v26, 0
	ds_read_b32 v26, v26 offset:7800
	s_waitcnt lgkmcnt(0)
	v_mul_f32_e32 v25, v25, v26
	ds_write_b32 v3, v25
.LBB24_470:
	s_or_b64 exec, exec, s[14:15]
	s_waitcnt lgkmcnt(0)
	s_barrier
	s_and_saveexec_b64 s[14:15], s[26:27]
	s_cbranch_execz .LBB24_472
; %bb.471:
	v_mov_b32_e32 v26, 0
	ds_read_b32 v26, v26 offset:7804
	ds_read_b32 v27, v3
	s_waitcnt lgkmcnt(0)
	v_fmac_f32_e32 v25, v26, v27
.LBB24_472:
	s_or_b64 exec, exec, s[14:15]
	s_barrier
	s_and_saveexec_b64 s[14:15], s[26:27]
	s_cbranch_execz .LBB24_474
; %bb.473:
	v_mov_b32_e32 v26, 0
	ds_read_b32 v26, v26 offset:8060
	s_waitcnt lgkmcnt(0)
	v_mul_f32_e32 v25, v25, v26
	ds_write_b32 v3, v25
.LBB24_474:
	s_or_b64 exec, exec, s[14:15]
	s_waitcnt lgkmcnt(0)
	s_barrier
	s_barrier
	s_and_saveexec_b64 s[14:15], s[2:3]
; %bb.475:
	v_xor_b32_e32 v25, 0x80000000, v25
	ds_write_b32 v1, v25 offset:7288
; %bb.476:
	s_or_b64 exec, exec, s[14:15]
	s_waitcnt lgkmcnt(0)
	s_barrier
	s_barrier
	s_and_saveexec_b64 s[14:15], s[36:37]
	s_cbranch_execz .LBB24_478
; %bb.477:
	v_lshlrev_b32_e32 v25, 2, v0
	s_movk_i32 s16, 0xfc
	v_mad_u32_u24 v26, v0, s16, v25
	ds_read_b32 v27, v26 offset:7288
	s_waitcnt lgkmcnt(0)
	ds_write_b32 v25, v27 offset:7792
	ds_read_b32 v26, v26 offset:7292
	s_waitcnt lgkmcnt(0)
	ds_write_b32 v25, v26 offset:8048
.LBB24_478:
	s_or_b64 exec, exec, s[14:15]
	s_waitcnt lgkmcnt(0)
	s_barrier
	s_and_saveexec_b64 s[14:15], vcc
	s_cbranch_execz .LBB24_480
; %bb.479:
	v_mov_b32_e32 v27, 0
	ds_read_b64 v[25:26], v27 offset:7800
	ds_read_b32 v27, v27 offset:8060
	s_movk_i32 s16, 0x1c00
	s_waitcnt lgkmcnt(0)
	v_mul_f32_e32 v25, v25, v27
	v_mul_f32_e32 v25, v26, v25
	v_add_u32_e64 v26, s16, 0
	ds_write2_b32 v26, v25, v25 offset0:159 offset1:222
.LBB24_480:
	s_or_b64 exec, exec, s[14:15]
	v_and_b32_e32 v26, 31, v0
	s_movk_i32 s14, 0x3ff
	v_lshrrev_b32_e32 v29, 5, v4
	v_cmp_lt_u32_e64 s[16:17], s14, v4
	s_movk_i32 s14, 0x400
	v_lshlrev_b32_e32 v27, 2, v26
	v_cmp_gt_u32_e64 s[14:15], s14, v4
	v_lshl_or_b32 v25, v29, 8, v27
	v_mov_b32_e32 v28, 0
	s_waitcnt lgkmcnt(0)
	s_barrier
	s_and_saveexec_b64 s[82:83], s[14:15]
	s_cbranch_execz .LBB24_542
; %bb.481:
	v_mul_u32_u24_e32 v30, 0x104, v29
	ds_read_b32 v28, v25 offset:128
	ds_read_b32 v31, v30
	s_movk_i32 s20, 0x3e0
	v_cmp_gt_u32_e64 s[20:21], s20, v4
	s_waitcnt lgkmcnt(0)
	v_fma_f32 v28, v28, v31, 0
	s_and_saveexec_b64 s[84:85], s[20:21]
	s_cbranch_execz .LBB24_483
; %bb.482:
	ds_read_b32 v31, v25 offset:384
	ds_read_b32 v32, v30 offset:4
	s_waitcnt lgkmcnt(0)
	v_fmac_f32_e32 v28, v31, v32
.LBB24_483:
	s_or_b64 exec, exec, s[84:85]
	s_movk_i32 s20, 0x3c0
	v_cmp_gt_u32_e64 s[20:21], s20, v4
	s_and_saveexec_b64 s[84:85], s[20:21]
	s_cbranch_execz .LBB24_485
; %bb.484:
	ds_read_b32 v31, v25 offset:640
	ds_read_b32 v32, v30 offset:8
	s_waitcnt lgkmcnt(0)
	v_fmac_f32_e32 v28, v31, v32
.LBB24_485:
	s_or_b64 exec, exec, s[84:85]
	s_movk_i32 s20, 0x3a0
	v_cmp_gt_u32_e64 s[20:21], s20, v4
	;; [unrolled: 11-line block ×28, first 2 shown]
	s_and_saveexec_b64 s[84:85], s[20:21]
	s_cbranch_execnz .LBB24_1229
; %bb.538:
	s_or_b64 exec, exec, s[84:85]
	v_cmp_gt_u32_e64 s[20:21], 64, v4
	s_and_saveexec_b64 s[84:85], s[20:21]
	s_cbranch_execnz .LBB24_1230
.LBB24_539:
	s_or_b64 exec, exec, s[84:85]
	v_cmp_gt_u32_e64 s[20:21], 32, v4
	s_and_saveexec_b64 s[84:85], s[20:21]
	s_cbranch_execz .LBB24_541
.LBB24_540:
	v_lshlrev_b32_e32 v30, 2, v0
	v_mov_b32_e32 v31, 0
	ds_read_b32 v30, v30 offset:8064
	ds_read_b32 v31, v31 offset:124
	s_waitcnt lgkmcnt(0)
	v_fmac_f32_e32 v28, v30, v31
.LBB24_541:
	s_or_b64 exec, exec, s[84:85]
	v_xor_b32_e32 v28, 0x80000000, v28
.LBB24_542:
	s_or_b64 exec, exec, s[82:83]
	v_mov_b32_e32 v30, 0x4000
	v_cmp_eq_u32_e64 s[20:21], 0, v26
	s_xor_b64 s[82:83], s[16:17], -1
	v_lshl_or_b32 v29, v29, 2, v30
	s_and_b64 s[20:21], s[20:21], s[82:83]
	s_and_saveexec_b64 s[16:17], s[20:21]
	s_cbranch_execz .LBB24_544
; %bb.543:
	v_mov_b32_e32 v30, 0
	ds_read_b32 v30, v30 offset:8320
	s_waitcnt lgkmcnt(0)
	v_mul_f32_e32 v28, v28, v30
	ds_write_b32 v29, v28
.LBB24_544:
	s_or_b64 exec, exec, s[16:17]
	v_cmp_ne_u32_e64 s[16:17], 0, v26
	s_and_b64 s[20:21], s[16:17], s[82:83]
	s_waitcnt lgkmcnt(0)
	s_barrier
	s_and_saveexec_b64 s[16:17], s[20:21]
	s_cbranch_execz .LBB24_546
; %bb.545:
	ds_read_b32 v30, v27 offset:8320
	ds_read_b32 v31, v29
	s_waitcnt lgkmcnt(0)
	v_fmac_f32_e32 v28, v30, v31
.LBB24_546:
	s_or_b64 exec, exec, s[16:17]
	v_cmp_eq_u32_e64 s[16:17], 1, v26
	s_and_b64 s[20:21], s[16:17], s[82:83]
	s_barrier
	s_and_saveexec_b64 s[16:17], s[20:21]
	s_cbranch_execz .LBB24_548
; %bb.547:
	v_mov_b32_e32 v30, 0
	ds_read_b32 v30, v30 offset:8580
	s_waitcnt lgkmcnt(0)
	v_mul_f32_e32 v28, v28, v30
	ds_write_b32 v29, v28
.LBB24_548:
	s_or_b64 exec, exec, s[16:17]
	v_cmp_lt_u32_e64 s[16:17], 1, v26
	s_and_b64 s[20:21], s[16:17], s[82:83]
	s_waitcnt lgkmcnt(0)
	s_barrier
	s_and_saveexec_b64 s[16:17], s[20:21]
	s_cbranch_execz .LBB24_550
; %bb.549:
	ds_read_b32 v30, v27 offset:8576
	ds_read_b32 v31, v29
	s_waitcnt lgkmcnt(0)
	v_fmac_f32_e32 v28, v30, v31
.LBB24_550:
	s_or_b64 exec, exec, s[16:17]
	v_cmp_eq_u32_e64 s[16:17], 2, v26
	s_and_b64 s[20:21], s[16:17], s[82:83]
	s_barrier
	s_and_saveexec_b64 s[16:17], s[20:21]
	s_cbranch_execz .LBB24_552
; %bb.551:
	v_mov_b32_e32 v30, 0
	ds_read_b32 v30, v30 offset:8840
	s_waitcnt lgkmcnt(0)
	v_mul_f32_e32 v28, v28, v30
	ds_write_b32 v29, v28
.LBB24_552:
	s_or_b64 exec, exec, s[16:17]
	v_cmp_lt_u32_e64 s[16:17], 2, v26
	;; [unrolled: 26-line block ×29, first 2 shown]
	s_and_b64 s[20:21], s[16:17], s[82:83]
	s_waitcnt lgkmcnt(0)
	s_barrier
	s_and_saveexec_b64 s[16:17], s[20:21]
	s_cbranch_execz .LBB24_662
; %bb.661:
	ds_read_b32 v27, v27 offset:15744
	ds_read_b32 v30, v29
	s_waitcnt lgkmcnt(0)
	v_fmac_f32_e32 v28, v27, v30
.LBB24_662:
	s_or_b64 exec, exec, s[16:17]
	v_cmp_eq_u32_e64 s[16:17], 30, v26
	s_and_b64 s[20:21], s[16:17], s[82:83]
	s_barrier
	s_and_saveexec_b64 s[16:17], s[20:21]
	s_cbranch_execz .LBB24_664
; %bb.663:
	v_mov_b32_e32 v27, 0
	ds_read_b32 v27, v27 offset:16120
	s_waitcnt lgkmcnt(0)
	v_mul_f32_e32 v28, v28, v27
	ds_write_b32 v29, v28
.LBB24_664:
	s_or_b64 exec, exec, s[16:17]
	v_cmp_eq_u32_e64 s[16:17], 31, v26
	s_and_b64 s[16:17], s[16:17], s[82:83]
	s_waitcnt lgkmcnt(0)
	s_barrier
	s_and_saveexec_b64 s[20:21], s[16:17]
	s_cbranch_execz .LBB24_666
; %bb.665:
	v_mov_b32_e32 v26, 0
	ds_read_b32 v26, v26 offset:16124
	ds_read_b32 v27, v29
	s_waitcnt lgkmcnt(0)
	v_fmac_f32_e32 v28, v26, v27
.LBB24_666:
	s_or_b64 exec, exec, s[20:21]
	s_barrier
	s_and_saveexec_b64 s[20:21], s[16:17]
	s_cbranch_execz .LBB24_668
; %bb.667:
	v_mov_b32_e32 v26, 0
	ds_read_b32 v26, v26 offset:16380
	s_waitcnt lgkmcnt(0)
	v_mul_f32_e32 v28, v28, v26
	ds_write_b32 v29, v28
.LBB24_668:
	s_or_b64 exec, exec, s[20:21]
	s_waitcnt lgkmcnt(0)
	s_barrier
	s_barrier
	s_and_saveexec_b64 s[16:17], s[14:15]
; %bb.669:
	v_xor_b32_e32 v26, 0x80000000, v28
	ds_write_b32 v25, v26 offset:128
; %bb.670:
	s_or_b64 exec, exec, s[16:17]
	v_cmp_gt_u32_e64 s[14:15], 32, v0
	s_and_b64 s[14:15], s[12:13], s[14:15]
	s_waitcnt lgkmcnt(0)
	s_barrier
	s_barrier
	s_and_saveexec_b64 s[12:13], s[14:15]
	s_cbranch_execz .LBB24_672
; %bb.671:
	v_lshlrev_b32_e32 v25, 8, v0
	ds_read_b32 v26, v25 offset:128
	s_movk_i32 s14, 0xff04
	v_mad_i32_i24 v27, v0, s14, v25
	s_waitcnt lgkmcnt(0)
	ds_write_b32 v27, v26 offset:8192
	ds_read_b32 v26, v25 offset:132
	s_waitcnt lgkmcnt(0)
	ds_write_b32 v27, v26 offset:8448
	ds_read_b32 v26, v25 offset:136
	;; [unrolled: 3-line block ×31, first 2 shown]
	s_waitcnt lgkmcnt(0)
	ds_write_b32 v27, v25 offset:16128
.LBB24_672:
	s_or_b64 exec, exec, s[12:13]
	s_waitcnt lgkmcnt(0)
	s_barrier
	s_and_saveexec_b64 s[12:13], vcc
	s_cbranch_execz .LBB24_674
; %bb.673:
	v_mov_b32_e32 v27, 0
	ds_read_b64 v[25:26], v27 offset:8320
	ds_read_b32 v27, v27 offset:8580
	s_movk_i32 s14, 0x2000
	s_waitcnt lgkmcnt(0)
	v_mul_f32_e32 v25, v25, v27
	v_mul_f32_e32 v25, v26, v25
	v_add_u32_e64 v26, s14, 0
	ds_write2_b32 v26, v25, v25 offset0:33 offset1:96
.LBB24_674:
	s_or_b64 exec, exec, s[12:13]
	v_mov_b32_e32 v25, 0
	s_waitcnt lgkmcnt(0)
	s_barrier
	s_and_saveexec_b64 s[14:15], s[2:3]
	s_cbranch_execz .LBB24_678
; %bb.675:
	v_mul_u32_u24_e32 v25, 0x104, v5
	ds_read_b32 v27, v1 offset:8328
	ds_read_b32 v25, v25 offset:8320
	v_mov_b32_e32 v26, 0
	v_cmp_gt_u32_e64 s[12:13], 2, v4
	s_waitcnt lgkmcnt(0)
	v_fma_f32 v25, v27, v25, 0
	s_and_saveexec_b64 s[16:17], s[12:13]
	s_cbranch_execz .LBB24_677
; %bb.676:
	v_lshlrev_b32_e32 v27, 2, v0
	ds_read_b32 v27, v27 offset:8584
	ds_read_b32 v26, v26 offset:8324
	s_waitcnt lgkmcnt(0)
	v_fmac_f32_e32 v25, v27, v26
.LBB24_677:
	s_or_b64 exec, exec, s[16:17]
	v_xor_b32_e32 v25, 0x80000000, v25
.LBB24_678:
	s_or_b64 exec, exec, s[14:15]
	s_and_saveexec_b64 s[12:13], s[34:35]
	s_cbranch_execz .LBB24_680
; %bb.679:
	v_mov_b32_e32 v26, 0
	ds_read_b32 v26, v26 offset:8840
	s_waitcnt lgkmcnt(0)
	v_mul_f32_e32 v25, v25, v26
	ds_write_b32 v3, v25
.LBB24_680:
	s_or_b64 exec, exec, s[12:13]
	s_waitcnt lgkmcnt(0)
	s_barrier
	s_and_saveexec_b64 s[12:13], s[26:27]
	s_cbranch_execz .LBB24_682
; %bb.681:
	v_mov_b32_e32 v26, 0
	ds_read_b32 v26, v26 offset:8844
	ds_read_b32 v27, v3
	s_waitcnt lgkmcnt(0)
	v_fmac_f32_e32 v25, v26, v27
.LBB24_682:
	s_or_b64 exec, exec, s[12:13]
	s_barrier
	s_and_saveexec_b64 s[12:13], s[26:27]
	s_cbranch_execz .LBB24_684
; %bb.683:
	v_mov_b32_e32 v26, 0
	ds_read_b32 v26, v26 offset:9100
	s_waitcnt lgkmcnt(0)
	v_mul_f32_e32 v25, v25, v26
	ds_write_b32 v3, v25
.LBB24_684:
	s_or_b64 exec, exec, s[12:13]
	s_waitcnt lgkmcnt(0)
	s_barrier
	s_barrier
	s_and_saveexec_b64 s[12:13], s[2:3]
; %bb.685:
	v_xor_b32_e32 v25, 0x80000000, v25
	ds_write_b32 v1, v25 offset:8328
; %bb.686:
	s_or_b64 exec, exec, s[12:13]
	s_waitcnt lgkmcnt(0)
	s_barrier
	s_barrier
	s_and_saveexec_b64 s[12:13], s[36:37]
	s_cbranch_execz .LBB24_688
; %bb.687:
	v_lshlrev_b32_e32 v25, 2, v0
	s_movk_i32 s14, 0xfc
	v_mad_u32_u24 v26, v0, s14, v25
	ds_read_b32 v27, v26 offset:8328
	s_waitcnt lgkmcnt(0)
	ds_write_b32 v25, v27 offset:8832
	ds_read_b32 v26, v26 offset:8332
	s_waitcnt lgkmcnt(0)
	ds_write_b32 v25, v26 offset:9088
.LBB24_688:
	s_or_b64 exec, exec, s[12:13]
	s_waitcnt lgkmcnt(0)
	s_barrier
	s_and_saveexec_b64 s[12:13], vcc
	s_cbranch_execz .LBB24_690
; %bb.689:
	v_mov_b32_e32 v27, 0
	ds_read_b64 v[25:26], v27 offset:8840
	ds_read_b32 v27, v27 offset:9100
	s_movk_i32 s14, 0x2000
	s_waitcnt lgkmcnt(0)
	v_mul_f32_e32 v25, v25, v27
	v_mul_f32_e32 v25, v26, v25
	v_add_u32_e64 v26, s14, 0
	ds_write2_b32 v26, v25, v25 offset0:163 offset1:226
.LBB24_690:
	s_or_b64 exec, exec, s[12:13]
	v_mov_b32_e32 v25, 0
	s_waitcnt lgkmcnt(0)
	s_barrier
	s_and_saveexec_b64 s[14:15], s[18:19]
	s_cbranch_execz .LBB24_696
; %bb.691:
	v_mul_u32_u24_e32 v26, 0x104, v14
	ds_read_b32 v25, v6 offset:8336
	ds_read_b32 v27, v26 offset:8320
	v_cmp_gt_u32_e64 s[12:13], 12, v4
	s_waitcnt lgkmcnt(0)
	v_fma_f32 v25, v25, v27, 0
	s_and_saveexec_b64 s[16:17], s[12:13]
	s_cbranch_execnz .LBB24_1231
; %bb.692:
	s_or_b64 exec, exec, s[16:17]
	v_cmp_gt_u32_e64 s[12:13], 8, v4
	s_and_saveexec_b64 s[16:17], s[12:13]
	s_cbranch_execnz .LBB24_1232
.LBB24_693:
	s_or_b64 exec, exec, s[16:17]
	v_cmp_gt_u32_e64 s[12:13], 4, v4
	s_and_saveexec_b64 s[16:17], s[12:13]
	s_cbranch_execz .LBB24_695
.LBB24_694:
	v_lshlrev_b32_e32 v26, 2, v0
	v_mov_b32_e32 v27, 0
	ds_read_b32 v26, v26 offset:9104
	ds_read_b32 v27, v27 offset:8332
	s_waitcnt lgkmcnt(0)
	v_fmac_f32_e32 v25, v26, v27
.LBB24_695:
	s_or_b64 exec, exec, s[16:17]
	v_xor_b32_e32 v25, 0x80000000, v25
.LBB24_696:
	s_or_b64 exec, exec, s[14:15]
	s_and_saveexec_b64 s[12:13], s[40:41]
	s_cbranch_execz .LBB24_698
; %bb.697:
	v_mov_b32_e32 v26, 0
	ds_read_b32 v26, v26 offset:9360
	s_waitcnt lgkmcnt(0)
	v_mul_f32_e32 v25, v25, v26
	ds_write_b32 v12, v25
.LBB24_698:
	s_or_b64 exec, exec, s[12:13]
	s_waitcnt lgkmcnt(0)
	s_barrier
	s_and_saveexec_b64 s[12:13], s[42:43]
	s_cbranch_execz .LBB24_700
; %bb.699:
	ds_read_b32 v26, v11 offset:9360
	ds_read_b32 v27, v12
	s_waitcnt lgkmcnt(0)
	v_fmac_f32_e32 v25, v26, v27
.LBB24_700:
	s_or_b64 exec, exec, s[12:13]
	s_barrier
	s_and_saveexec_b64 s[12:13], s[44:45]
	s_cbranch_execz .LBB24_702
; %bb.701:
	v_mov_b32_e32 v26, 0
	ds_read_b32 v26, v26 offset:9620
	s_waitcnt lgkmcnt(0)
	v_mul_f32_e32 v25, v25, v26
	ds_write_b32 v12, v25
.LBB24_702:
	s_or_b64 exec, exec, s[12:13]
	s_waitcnt lgkmcnt(0)
	s_barrier
	s_and_saveexec_b64 s[12:13], s[46:47]
	s_cbranch_execz .LBB24_704
; %bb.703:
	ds_read_b32 v26, v11 offset:9616
	ds_read_b32 v27, v12
	s_waitcnt lgkmcnt(0)
	v_fmac_f32_e32 v25, v26, v27
.LBB24_704:
	s_or_b64 exec, exec, s[12:13]
	s_barrier
	s_and_saveexec_b64 s[12:13], s[48:49]
	s_cbranch_execz .LBB24_706
; %bb.705:
	v_mov_b32_e32 v26, 0
	ds_read_b32 v26, v26 offset:9880
	s_waitcnt lgkmcnt(0)
	v_mul_f32_e32 v25, v25, v26
	ds_write_b32 v12, v25
.LBB24_706:
	s_or_b64 exec, exec, s[12:13]
	s_waitcnt lgkmcnt(0)
	s_barrier
	s_and_saveexec_b64 s[12:13], s[38:39]
	s_cbranch_execz .LBB24_708
; %bb.707:
	v_mov_b32_e32 v26, 0
	ds_read_b32 v26, v26 offset:9884
	ds_read_b32 v27, v12
	s_waitcnt lgkmcnt(0)
	v_fmac_f32_e32 v25, v26, v27
.LBB24_708:
	s_or_b64 exec, exec, s[12:13]
	s_barrier
	s_and_saveexec_b64 s[12:13], s[38:39]
	s_cbranch_execz .LBB24_710
; %bb.709:
	v_mov_b32_e32 v26, 0
	ds_read_b32 v26, v26 offset:10140
	s_waitcnt lgkmcnt(0)
	v_mul_f32_e32 v25, v25, v26
	ds_write_b32 v12, v25
.LBB24_710:
	s_or_b64 exec, exec, s[12:13]
	s_waitcnt lgkmcnt(0)
	s_barrier
	s_barrier
	s_and_saveexec_b64 s[12:13], s[18:19]
; %bb.711:
	v_xor_b32_e32 v25, 0x80000000, v25
	ds_write_b32 v6, v25 offset:8336
; %bb.712:
	s_or_b64 exec, exec, s[12:13]
	s_waitcnt lgkmcnt(0)
	s_barrier
	s_barrier
	s_and_saveexec_b64 s[12:13], s[50:51]
	s_cbranch_execz .LBB24_714
; %bb.713:
	v_lshlrev_b32_e32 v25, 8, v0
	ds_read_b32 v26, v25 offset:8336
	s_movk_i32 s14, 0xff04
	v_mad_i32_i24 v27, v0, s14, v25
	s_waitcnt lgkmcnt(0)
	ds_write_b32 v27, v26 offset:9344
	ds_read_b32 v26, v25 offset:8340
	s_waitcnt lgkmcnt(0)
	ds_write_b32 v27, v26 offset:9600
	ds_read_b32 v26, v25 offset:8344
	;; [unrolled: 3-line block ×3, first 2 shown]
	s_waitcnt lgkmcnt(0)
	ds_write_b32 v27, v25 offset:10112
.LBB24_714:
	s_or_b64 exec, exec, s[12:13]
	s_waitcnt lgkmcnt(0)
	s_barrier
	s_and_saveexec_b64 s[12:13], vcc
	s_cbranch_execz .LBB24_716
; %bb.715:
	v_mov_b32_e32 v27, 0
	ds_read_b64 v[25:26], v27 offset:9360
	ds_read_b32 v27, v27 offset:9620
	s_movk_i32 s14, 0x2400
	s_waitcnt lgkmcnt(0)
	v_mul_f32_e32 v25, v25, v27
	v_mul_f32_e32 v25, v26, v25
	v_add_u32_e64 v26, s14, 0
	ds_write2_b32 v26, v25, v25 offset0:37 offset1:100
.LBB24_716:
	s_or_b64 exec, exec, s[12:13]
	v_mov_b32_e32 v25, 0
	s_waitcnt lgkmcnt(0)
	s_barrier
	s_and_saveexec_b64 s[14:15], s[2:3]
	s_cbranch_execz .LBB24_720
; %bb.717:
	v_mul_u32_u24_e32 v25, 0x104, v5
	ds_read_b32 v27, v1 offset:9368
	ds_read_b32 v25, v25 offset:9360
	v_mov_b32_e32 v26, 0
	v_cmp_gt_u32_e64 s[12:13], 2, v4
	s_waitcnt lgkmcnt(0)
	v_fma_f32 v25, v27, v25, 0
	s_and_saveexec_b64 s[16:17], s[12:13]
	s_cbranch_execz .LBB24_719
; %bb.718:
	v_lshlrev_b32_e32 v27, 2, v0
	ds_read_b32 v27, v27 offset:9624
	ds_read_b32 v26, v26 offset:9364
	s_waitcnt lgkmcnt(0)
	v_fmac_f32_e32 v25, v27, v26
.LBB24_719:
	s_or_b64 exec, exec, s[16:17]
	v_xor_b32_e32 v25, 0x80000000, v25
.LBB24_720:
	s_or_b64 exec, exec, s[14:15]
	s_and_saveexec_b64 s[12:13], s[34:35]
	s_cbranch_execz .LBB24_722
; %bb.721:
	v_mov_b32_e32 v26, 0
	ds_read_b32 v26, v26 offset:9880
	s_waitcnt lgkmcnt(0)
	v_mul_f32_e32 v25, v25, v26
	ds_write_b32 v3, v25
.LBB24_722:
	s_or_b64 exec, exec, s[12:13]
	s_waitcnt lgkmcnt(0)
	s_barrier
	s_and_saveexec_b64 s[12:13], s[26:27]
	s_cbranch_execz .LBB24_724
; %bb.723:
	v_mov_b32_e32 v26, 0
	ds_read_b32 v26, v26 offset:9884
	ds_read_b32 v27, v3
	s_waitcnt lgkmcnt(0)
	v_fmac_f32_e32 v25, v26, v27
.LBB24_724:
	s_or_b64 exec, exec, s[12:13]
	s_barrier
	s_and_saveexec_b64 s[12:13], s[26:27]
	s_cbranch_execz .LBB24_726
; %bb.725:
	v_mov_b32_e32 v26, 0
	ds_read_b32 v26, v26 offset:10140
	s_waitcnt lgkmcnt(0)
	v_mul_f32_e32 v25, v25, v26
	ds_write_b32 v3, v25
.LBB24_726:
	s_or_b64 exec, exec, s[12:13]
	s_waitcnt lgkmcnt(0)
	s_barrier
	s_barrier
	s_and_saveexec_b64 s[12:13], s[2:3]
; %bb.727:
	v_xor_b32_e32 v25, 0x80000000, v25
	ds_write_b32 v1, v25 offset:9368
; %bb.728:
	s_or_b64 exec, exec, s[12:13]
	s_waitcnt lgkmcnt(0)
	s_barrier
	s_barrier
	s_and_saveexec_b64 s[12:13], s[36:37]
	s_cbranch_execz .LBB24_730
; %bb.729:
	v_lshlrev_b32_e32 v25, 2, v0
	s_movk_i32 s14, 0xfc
	v_mad_u32_u24 v26, v0, s14, v25
	ds_read_b32 v27, v26 offset:9368
	s_waitcnt lgkmcnt(0)
	ds_write_b32 v25, v27 offset:9872
	ds_read_b32 v26, v26 offset:9372
	s_waitcnt lgkmcnt(0)
	ds_write_b32 v25, v26 offset:10128
.LBB24_730:
	s_or_b64 exec, exec, s[12:13]
	s_waitcnt lgkmcnt(0)
	s_barrier
	s_and_saveexec_b64 s[12:13], vcc
	s_cbranch_execz .LBB24_732
; %bb.731:
	v_mov_b32_e32 v27, 0
	ds_read_b64 v[25:26], v27 offset:9880
	ds_read_b32 v27, v27 offset:10140
	s_movk_i32 s14, 0x2400
	s_waitcnt lgkmcnt(0)
	v_mul_f32_e32 v25, v25, v27
	v_mul_f32_e32 v25, v26, v25
	v_add_u32_e64 v26, s14, 0
	ds_write2_b32 v26, v25, v25 offset0:167 offset1:230
.LBB24_732:
	s_or_b64 exec, exec, s[12:13]
	v_mov_b32_e32 v25, 0
	s_waitcnt lgkmcnt(0)
	s_barrier
	s_and_saveexec_b64 s[14:15], s[8:9]
	s_cbranch_execz .LBB24_742
; %bb.733:
	v_mul_u32_u24_e32 v26, 0x104, v19
	ds_read_b32 v25, v15 offset:8352
	ds_read_b32 v27, v26 offset:8320
	v_cmp_gt_u32_e64 s[12:13], 56, v4
	s_waitcnt lgkmcnt(0)
	v_fma_f32 v25, v25, v27, 0
	s_and_saveexec_b64 s[16:17], s[12:13]
	s_cbranch_execnz .LBB24_1233
; %bb.734:
	s_or_b64 exec, exec, s[16:17]
	v_cmp_gt_u32_e64 s[12:13], 48, v4
	s_and_saveexec_b64 s[16:17], s[12:13]
	s_cbranch_execnz .LBB24_1234
.LBB24_735:
	s_or_b64 exec, exec, s[16:17]
	v_cmp_gt_u32_e64 s[12:13], 40, v4
	s_and_saveexec_b64 s[16:17], s[12:13]
	s_cbranch_execnz .LBB24_1235
.LBB24_736:
	s_or_b64 exec, exec, s[16:17]
	v_cmp_gt_u32_e64 s[12:13], 32, v4
	s_and_saveexec_b64 s[16:17], s[12:13]
	s_cbranch_execnz .LBB24_1236
.LBB24_737:
	s_or_b64 exec, exec, s[16:17]
	v_cmp_gt_u32_e64 s[12:13], 24, v4
	s_and_saveexec_b64 s[16:17], s[12:13]
	s_cbranch_execnz .LBB24_1237
.LBB24_738:
	s_or_b64 exec, exec, s[16:17]
	v_cmp_gt_u32_e64 s[12:13], 16, v4
	s_and_saveexec_b64 s[16:17], s[12:13]
	s_cbranch_execnz .LBB24_1238
.LBB24_739:
	s_or_b64 exec, exec, s[16:17]
	v_cmp_gt_u32_e64 s[12:13], 8, v4
	s_and_saveexec_b64 s[16:17], s[12:13]
	s_cbranch_execz .LBB24_741
.LBB24_740:
	v_lshlrev_b32_e32 v26, 2, v0
	v_mov_b32_e32 v27, 0
	ds_read_b32 v26, v26 offset:10144
	ds_read_b32 v27, v27 offset:8348
	s_waitcnt lgkmcnt(0)
	v_fmac_f32_e32 v25, v26, v27
.LBB24_741:
	s_or_b64 exec, exec, s[16:17]
	v_xor_b32_e32 v25, 0x80000000, v25
.LBB24_742:
	s_or_b64 exec, exec, s[14:15]
	s_and_saveexec_b64 s[12:13], s[52:53]
	s_cbranch_execz .LBB24_744
; %bb.743:
	v_mov_b32_e32 v26, 0
	ds_read_b32 v26, v26 offset:10400
	s_waitcnt lgkmcnt(0)
	v_mul_f32_e32 v25, v25, v26
	ds_write_b32 v17, v25
.LBB24_744:
	s_or_b64 exec, exec, s[12:13]
	s_waitcnt lgkmcnt(0)
	s_barrier
	s_and_saveexec_b64 s[12:13], s[54:55]
	s_cbranch_execz .LBB24_746
; %bb.745:
	ds_read_b32 v26, v16 offset:10400
	ds_read_b32 v27, v17
	s_waitcnt lgkmcnt(0)
	v_fmac_f32_e32 v25, v26, v27
.LBB24_746:
	s_or_b64 exec, exec, s[12:13]
	s_barrier
	s_and_saveexec_b64 s[12:13], s[56:57]
	s_cbranch_execz .LBB24_748
; %bb.747:
	v_mov_b32_e32 v26, 0
	ds_read_b32 v26, v26 offset:10660
	s_waitcnt lgkmcnt(0)
	v_mul_f32_e32 v25, v25, v26
	ds_write_b32 v17, v25
.LBB24_748:
	s_or_b64 exec, exec, s[12:13]
	s_waitcnt lgkmcnt(0)
	s_barrier
	s_and_saveexec_b64 s[12:13], s[58:59]
	s_cbranch_execz .LBB24_750
; %bb.749:
	ds_read_b32 v26, v16 offset:10656
	ds_read_b32 v27, v17
	s_waitcnt lgkmcnt(0)
	v_fmac_f32_e32 v25, v26, v27
.LBB24_750:
	s_or_b64 exec, exec, s[12:13]
	s_barrier
	;; [unrolled: 22-line block ×6, first 2 shown]
	s_and_saveexec_b64 s[12:13], s[78:79]
	s_cbranch_execz .LBB24_768
; %bb.767:
	v_mov_b32_e32 v26, 0
	ds_read_b32 v26, v26 offset:11960
	s_waitcnt lgkmcnt(0)
	v_mul_f32_e32 v25, v25, v26
	ds_write_b32 v17, v25
.LBB24_768:
	s_or_b64 exec, exec, s[12:13]
	s_waitcnt lgkmcnt(0)
	s_barrier
	s_and_saveexec_b64 s[12:13], s[60:61]
	s_cbranch_execz .LBB24_770
; %bb.769:
	v_mov_b32_e32 v26, 0
	ds_read_b32 v26, v26 offset:11964
	ds_read_b32 v27, v17
	s_waitcnt lgkmcnt(0)
	v_fmac_f32_e32 v25, v26, v27
.LBB24_770:
	s_or_b64 exec, exec, s[12:13]
	s_barrier
	s_and_saveexec_b64 s[12:13], s[60:61]
	s_cbranch_execz .LBB24_772
; %bb.771:
	v_mov_b32_e32 v26, 0
	ds_read_b32 v26, v26 offset:12220
	s_waitcnt lgkmcnt(0)
	v_mul_f32_e32 v25, v25, v26
	ds_write_b32 v17, v25
.LBB24_772:
	s_or_b64 exec, exec, s[12:13]
	s_waitcnt lgkmcnt(0)
	s_barrier
	s_barrier
	s_and_saveexec_b64 s[12:13], s[8:9]
; %bb.773:
	v_xor_b32_e32 v25, 0x80000000, v25
	ds_write_b32 v15, v25 offset:8352
; %bb.774:
	s_or_b64 exec, exec, s[12:13]
	s_waitcnt lgkmcnt(0)
	s_barrier
	s_barrier
	s_and_saveexec_b64 s[12:13], s[80:81]
	s_cbranch_execz .LBB24_776
; %bb.775:
	v_lshlrev_b32_e32 v25, 8, v0
	ds_read_b32 v26, v25 offset:8352
	s_movk_i32 s14, 0xff04
	v_mad_i32_i24 v27, v0, s14, v25
	s_waitcnt lgkmcnt(0)
	ds_write_b32 v27, v26 offset:10368
	ds_read_b32 v26, v25 offset:8356
	s_waitcnt lgkmcnt(0)
	ds_write_b32 v27, v26 offset:10624
	ds_read_b32 v26, v25 offset:8360
	;; [unrolled: 3-line block ×7, first 2 shown]
	s_waitcnt lgkmcnt(0)
	ds_write_b32 v27, v25 offset:12160
.LBB24_776:
	s_or_b64 exec, exec, s[12:13]
	s_waitcnt lgkmcnt(0)
	s_barrier
	s_and_saveexec_b64 s[12:13], vcc
	s_cbranch_execz .LBB24_778
; %bb.777:
	v_mov_b32_e32 v27, 0
	ds_read_b64 v[25:26], v27 offset:10400
	ds_read_b32 v27, v27 offset:10660
	s_movk_i32 s14, 0x2800
	s_waitcnt lgkmcnt(0)
	v_mul_f32_e32 v25, v25, v27
	v_mul_f32_e32 v25, v26, v25
	v_add_u32_e64 v26, s14, 0
	ds_write2_b32 v26, v25, v25 offset0:41 offset1:104
.LBB24_778:
	s_or_b64 exec, exec, s[12:13]
	v_mov_b32_e32 v25, 0
	s_waitcnt lgkmcnt(0)
	s_barrier
	s_and_saveexec_b64 s[14:15], s[2:3]
	s_cbranch_execz .LBB24_782
; %bb.779:
	v_mul_u32_u24_e32 v25, 0x104, v5
	ds_read_b32 v27, v1 offset:10408
	ds_read_b32 v25, v25 offset:10400
	v_mov_b32_e32 v26, 0
	v_cmp_gt_u32_e64 s[12:13], 2, v4
	s_waitcnt lgkmcnt(0)
	v_fma_f32 v25, v27, v25, 0
	s_and_saveexec_b64 s[16:17], s[12:13]
	s_cbranch_execz .LBB24_781
; %bb.780:
	v_lshlrev_b32_e32 v27, 2, v0
	ds_read_b32 v27, v27 offset:10664
	ds_read_b32 v26, v26 offset:10404
	s_waitcnt lgkmcnt(0)
	v_fmac_f32_e32 v25, v27, v26
.LBB24_781:
	s_or_b64 exec, exec, s[16:17]
	v_xor_b32_e32 v25, 0x80000000, v25
.LBB24_782:
	s_or_b64 exec, exec, s[14:15]
	s_and_saveexec_b64 s[12:13], s[34:35]
	s_cbranch_execz .LBB24_784
; %bb.783:
	v_mov_b32_e32 v26, 0
	ds_read_b32 v26, v26 offset:10920
	s_waitcnt lgkmcnt(0)
	v_mul_f32_e32 v25, v25, v26
	ds_write_b32 v3, v25
.LBB24_784:
	s_or_b64 exec, exec, s[12:13]
	s_waitcnt lgkmcnt(0)
	s_barrier
	s_and_saveexec_b64 s[12:13], s[26:27]
	s_cbranch_execz .LBB24_786
; %bb.785:
	v_mov_b32_e32 v26, 0
	ds_read_b32 v26, v26 offset:10924
	ds_read_b32 v27, v3
	s_waitcnt lgkmcnt(0)
	v_fmac_f32_e32 v25, v26, v27
.LBB24_786:
	s_or_b64 exec, exec, s[12:13]
	s_barrier
	s_and_saveexec_b64 s[12:13], s[26:27]
	s_cbranch_execz .LBB24_788
; %bb.787:
	v_mov_b32_e32 v26, 0
	ds_read_b32 v26, v26 offset:11180
	s_waitcnt lgkmcnt(0)
	v_mul_f32_e32 v25, v25, v26
	ds_write_b32 v3, v25
.LBB24_788:
	s_or_b64 exec, exec, s[12:13]
	s_waitcnt lgkmcnt(0)
	s_barrier
	s_barrier
	s_and_saveexec_b64 s[12:13], s[2:3]
; %bb.789:
	v_xor_b32_e32 v25, 0x80000000, v25
	ds_write_b32 v1, v25 offset:10408
; %bb.790:
	s_or_b64 exec, exec, s[12:13]
	s_waitcnt lgkmcnt(0)
	s_barrier
	s_barrier
	s_and_saveexec_b64 s[12:13], s[36:37]
	s_cbranch_execz .LBB24_792
; %bb.791:
	v_lshlrev_b32_e32 v25, 2, v0
	s_movk_i32 s14, 0xfc
	v_mad_u32_u24 v26, v0, s14, v25
	ds_read_b32 v27, v26 offset:10408
	s_waitcnt lgkmcnt(0)
	ds_write_b32 v25, v27 offset:10912
	ds_read_b32 v26, v26 offset:10412
	s_waitcnt lgkmcnt(0)
	ds_write_b32 v25, v26 offset:11168
.LBB24_792:
	s_or_b64 exec, exec, s[12:13]
	s_waitcnt lgkmcnt(0)
	s_barrier
	s_and_saveexec_b64 s[12:13], vcc
	s_cbranch_execz .LBB24_794
; %bb.793:
	v_mov_b32_e32 v27, 0
	ds_read_b64 v[25:26], v27 offset:10920
	ds_read_b32 v27, v27 offset:11180
	s_movk_i32 s14, 0x2800
	s_waitcnt lgkmcnt(0)
	v_mul_f32_e32 v25, v25, v27
	v_mul_f32_e32 v25, v26, v25
	v_add_u32_e64 v26, s14, 0
	ds_write2_b32 v26, v25, v25 offset0:171 offset1:234
.LBB24_794:
	s_or_b64 exec, exec, s[12:13]
	v_mov_b32_e32 v25, 0
	s_waitcnt lgkmcnt(0)
	s_barrier
	s_and_saveexec_b64 s[14:15], s[18:19]
	s_cbranch_execz .LBB24_800
; %bb.795:
	v_mul_u32_u24_e32 v26, 0x104, v14
	ds_read_b32 v25, v6 offset:10416
	ds_read_b32 v27, v26 offset:10400
	v_cmp_gt_u32_e64 s[12:13], 12, v4
	s_waitcnt lgkmcnt(0)
	v_fma_f32 v25, v25, v27, 0
	s_and_saveexec_b64 s[16:17], s[12:13]
	s_cbranch_execnz .LBB24_1239
; %bb.796:
	s_or_b64 exec, exec, s[16:17]
	v_cmp_gt_u32_e64 s[12:13], 8, v4
	s_and_saveexec_b64 s[16:17], s[12:13]
	s_cbranch_execnz .LBB24_1240
.LBB24_797:
	s_or_b64 exec, exec, s[16:17]
	v_cmp_gt_u32_e64 s[12:13], 4, v4
	s_and_saveexec_b64 s[16:17], s[12:13]
	s_cbranch_execz .LBB24_799
.LBB24_798:
	v_lshlrev_b32_e32 v26, 2, v0
	v_mov_b32_e32 v27, 0
	ds_read_b32 v26, v26 offset:11184
	ds_read_b32 v27, v27 offset:10412
	s_waitcnt lgkmcnt(0)
	v_fmac_f32_e32 v25, v26, v27
.LBB24_799:
	s_or_b64 exec, exec, s[16:17]
	v_xor_b32_e32 v25, 0x80000000, v25
.LBB24_800:
	s_or_b64 exec, exec, s[14:15]
	s_and_saveexec_b64 s[12:13], s[40:41]
	s_cbranch_execz .LBB24_802
; %bb.801:
	v_mov_b32_e32 v26, 0
	ds_read_b32 v26, v26 offset:11440
	s_waitcnt lgkmcnt(0)
	v_mul_f32_e32 v25, v25, v26
	ds_write_b32 v12, v25
.LBB24_802:
	s_or_b64 exec, exec, s[12:13]
	s_waitcnt lgkmcnt(0)
	s_barrier
	s_and_saveexec_b64 s[12:13], s[42:43]
	s_cbranch_execz .LBB24_804
; %bb.803:
	ds_read_b32 v26, v11 offset:11440
	ds_read_b32 v27, v12
	s_waitcnt lgkmcnt(0)
	v_fmac_f32_e32 v25, v26, v27
.LBB24_804:
	s_or_b64 exec, exec, s[12:13]
	s_barrier
	s_and_saveexec_b64 s[12:13], s[44:45]
	s_cbranch_execz .LBB24_806
; %bb.805:
	v_mov_b32_e32 v26, 0
	ds_read_b32 v26, v26 offset:11700
	s_waitcnt lgkmcnt(0)
	v_mul_f32_e32 v25, v25, v26
	ds_write_b32 v12, v25
.LBB24_806:
	s_or_b64 exec, exec, s[12:13]
	s_waitcnt lgkmcnt(0)
	s_barrier
	s_and_saveexec_b64 s[12:13], s[46:47]
	s_cbranch_execz .LBB24_808
; %bb.807:
	ds_read_b32 v26, v11 offset:11696
	ds_read_b32 v27, v12
	s_waitcnt lgkmcnt(0)
	v_fmac_f32_e32 v25, v26, v27
.LBB24_808:
	s_or_b64 exec, exec, s[12:13]
	s_barrier
	s_and_saveexec_b64 s[12:13], s[48:49]
	s_cbranch_execz .LBB24_810
; %bb.809:
	v_mov_b32_e32 v26, 0
	ds_read_b32 v26, v26 offset:11960
	s_waitcnt lgkmcnt(0)
	v_mul_f32_e32 v25, v25, v26
	ds_write_b32 v12, v25
.LBB24_810:
	s_or_b64 exec, exec, s[12:13]
	s_waitcnt lgkmcnt(0)
	s_barrier
	s_and_saveexec_b64 s[12:13], s[38:39]
	s_cbranch_execz .LBB24_812
; %bb.811:
	v_mov_b32_e32 v26, 0
	ds_read_b32 v26, v26 offset:11964
	ds_read_b32 v27, v12
	s_waitcnt lgkmcnt(0)
	v_fmac_f32_e32 v25, v26, v27
.LBB24_812:
	s_or_b64 exec, exec, s[12:13]
	s_barrier
	s_and_saveexec_b64 s[12:13], s[38:39]
	s_cbranch_execz .LBB24_814
; %bb.813:
	v_mov_b32_e32 v26, 0
	ds_read_b32 v26, v26 offset:12220
	s_waitcnt lgkmcnt(0)
	v_mul_f32_e32 v25, v25, v26
	ds_write_b32 v12, v25
.LBB24_814:
	s_or_b64 exec, exec, s[12:13]
	s_waitcnt lgkmcnt(0)
	s_barrier
	s_barrier
	s_and_saveexec_b64 s[12:13], s[18:19]
; %bb.815:
	v_xor_b32_e32 v25, 0x80000000, v25
	ds_write_b32 v6, v25 offset:10416
; %bb.816:
	s_or_b64 exec, exec, s[12:13]
	s_waitcnt lgkmcnt(0)
	s_barrier
	s_barrier
	s_and_saveexec_b64 s[12:13], s[50:51]
	s_cbranch_execz .LBB24_818
; %bb.817:
	v_lshlrev_b32_e32 v25, 8, v0
	ds_read_b32 v26, v25 offset:10416
	s_movk_i32 s14, 0xff04
	v_mad_i32_i24 v27, v0, s14, v25
	s_waitcnt lgkmcnt(0)
	ds_write_b32 v27, v26 offset:11424
	ds_read_b32 v26, v25 offset:10420
	s_waitcnt lgkmcnt(0)
	ds_write_b32 v27, v26 offset:11680
	ds_read_b32 v26, v25 offset:10424
	;; [unrolled: 3-line block ×3, first 2 shown]
	s_waitcnt lgkmcnt(0)
	ds_write_b32 v27, v25 offset:12192
.LBB24_818:
	s_or_b64 exec, exec, s[12:13]
	s_waitcnt lgkmcnt(0)
	s_barrier
	s_and_saveexec_b64 s[12:13], vcc
	s_cbranch_execz .LBB24_820
; %bb.819:
	v_mov_b32_e32 v27, 0
	ds_read_b64 v[25:26], v27 offset:11440
	ds_read_b32 v27, v27 offset:11700
	s_movk_i32 s14, 0x2c00
	s_waitcnt lgkmcnt(0)
	v_mul_f32_e32 v25, v25, v27
	v_mul_f32_e32 v25, v26, v25
	v_add_u32_e64 v26, s14, 0
	ds_write2_b32 v26, v25, v25 offset0:45 offset1:108
.LBB24_820:
	s_or_b64 exec, exec, s[12:13]
	v_mov_b32_e32 v25, 0
	s_waitcnt lgkmcnt(0)
	s_barrier
	s_and_saveexec_b64 s[14:15], s[2:3]
	s_cbranch_execz .LBB24_824
; %bb.821:
	v_mul_u32_u24_e32 v25, 0x104, v5
	ds_read_b32 v27, v1 offset:11448
	ds_read_b32 v25, v25 offset:11440
	v_mov_b32_e32 v26, 0
	v_cmp_gt_u32_e64 s[12:13], 2, v4
	s_waitcnt lgkmcnt(0)
	v_fma_f32 v25, v27, v25, 0
	s_and_saveexec_b64 s[16:17], s[12:13]
	s_cbranch_execz .LBB24_823
; %bb.822:
	v_lshlrev_b32_e32 v27, 2, v0
	ds_read_b32 v27, v27 offset:11704
	ds_read_b32 v26, v26 offset:11444
	s_waitcnt lgkmcnt(0)
	v_fmac_f32_e32 v25, v27, v26
.LBB24_823:
	s_or_b64 exec, exec, s[16:17]
	v_xor_b32_e32 v25, 0x80000000, v25
.LBB24_824:
	s_or_b64 exec, exec, s[14:15]
	s_and_saveexec_b64 s[12:13], s[34:35]
	s_cbranch_execz .LBB24_826
; %bb.825:
	v_mov_b32_e32 v26, 0
	ds_read_b32 v26, v26 offset:11960
	s_waitcnt lgkmcnt(0)
	v_mul_f32_e32 v25, v25, v26
	ds_write_b32 v3, v25
.LBB24_826:
	s_or_b64 exec, exec, s[12:13]
	s_waitcnt lgkmcnt(0)
	s_barrier
	s_and_saveexec_b64 s[12:13], s[26:27]
	s_cbranch_execz .LBB24_828
; %bb.827:
	v_mov_b32_e32 v26, 0
	ds_read_b32 v26, v26 offset:11964
	ds_read_b32 v27, v3
	s_waitcnt lgkmcnt(0)
	v_fmac_f32_e32 v25, v26, v27
.LBB24_828:
	s_or_b64 exec, exec, s[12:13]
	s_barrier
	s_and_saveexec_b64 s[12:13], s[26:27]
	s_cbranch_execz .LBB24_830
; %bb.829:
	v_mov_b32_e32 v26, 0
	ds_read_b32 v26, v26 offset:12220
	s_waitcnt lgkmcnt(0)
	v_mul_f32_e32 v25, v25, v26
	ds_write_b32 v3, v25
.LBB24_830:
	s_or_b64 exec, exec, s[12:13]
	s_waitcnt lgkmcnt(0)
	s_barrier
	s_barrier
	s_and_saveexec_b64 s[12:13], s[2:3]
; %bb.831:
	v_xor_b32_e32 v25, 0x80000000, v25
	ds_write_b32 v1, v25 offset:11448
; %bb.832:
	s_or_b64 exec, exec, s[12:13]
	s_waitcnt lgkmcnt(0)
	s_barrier
	s_barrier
	s_and_saveexec_b64 s[12:13], s[36:37]
	s_cbranch_execz .LBB24_834
; %bb.833:
	v_lshlrev_b32_e32 v25, 2, v0
	s_movk_i32 s14, 0xfc
	v_mad_u32_u24 v26, v0, s14, v25
	ds_read_b32 v27, v26 offset:11448
	s_waitcnt lgkmcnt(0)
	ds_write_b32 v25, v27 offset:11952
	ds_read_b32 v26, v26 offset:11452
	s_waitcnt lgkmcnt(0)
	ds_write_b32 v25, v26 offset:12208
.LBB24_834:
	s_or_b64 exec, exec, s[12:13]
	s_waitcnt lgkmcnt(0)
	s_barrier
	s_and_saveexec_b64 s[12:13], vcc
	s_cbranch_execz .LBB24_836
; %bb.835:
	v_mov_b32_e32 v27, 0
	ds_read_b64 v[25:26], v27 offset:11960
	ds_read_b32 v27, v27 offset:12220
	s_movk_i32 s14, 0x2c00
	s_waitcnt lgkmcnt(0)
	v_mul_f32_e32 v25, v25, v27
	v_mul_f32_e32 v25, v26, v25
	v_add_u32_e64 v26, s14, 0
	ds_write2_b32 v26, v25, v25 offset0:175 offset1:238
.LBB24_836:
	s_or_b64 exec, exec, s[12:13]
	v_mov_b32_e32 v25, 0
	s_waitcnt lgkmcnt(0)
	s_barrier
	s_and_saveexec_b64 s[14:15], s[10:11]
	s_cbranch_execz .LBB24_864
; %bb.837:
	v_mul_u32_u24_e32 v26, 0x104, v24
	ds_read_b32 v25, v20 offset:8384
	ds_read_b32 v27, v26 offset:8320
	s_movk_i32 s12, 0xf0
	v_cmp_gt_u32_e64 s[12:13], s12, v4
	s_waitcnt lgkmcnt(0)
	v_fma_f32 v25, v25, v27, 0
	s_and_saveexec_b64 s[16:17], s[12:13]
	s_cbranch_execz .LBB24_839
; %bb.838:
	v_lshlrev_b32_e32 v27, 2, v24
	v_sub_u32_e32 v27, v26, v27
	v_lshl_add_u32 v27, v21, 2, v27
	ds_read_b32 v27, v27 offset:8640
	ds_read_b32 v28, v26 offset:8324
	s_waitcnt lgkmcnt(0)
	v_fmac_f32_e32 v25, v27, v28
.LBB24_839:
	s_or_b64 exec, exec, s[16:17]
	s_movk_i32 s12, 0xe0
	v_cmp_gt_u32_e64 s[12:13], s12, v4
	s_and_saveexec_b64 s[16:17], s[12:13]
	s_cbranch_execz .LBB24_841
; %bb.840:
	v_lshlrev_b32_e32 v27, 2, v24
	v_sub_u32_e32 v27, v26, v27
	v_lshl_add_u32 v27, v21, 2, v27
	ds_read_b32 v27, v27 offset:8896
	ds_read_b32 v28, v26 offset:8328
	s_waitcnt lgkmcnt(0)
	v_fmac_f32_e32 v25, v27, v28
.LBB24_841:
	s_or_b64 exec, exec, s[16:17]
	s_movk_i32 s12, 0xd0
	v_cmp_gt_u32_e64 s[12:13], s12, v4
	;; [unrolled: 14-line block ×7, first 2 shown]
	s_and_saveexec_b64 s[16:17], s[12:13]
	s_cbranch_execz .LBB24_853
; %bb.852:
	ds_read_b32 v24, v20 offset:10432
	ds_read_b32 v27, v26 offset:8352
	s_waitcnt lgkmcnt(0)
	v_fmac_f32_e32 v25, v24, v27
.LBB24_853:
	s_or_b64 exec, exec, s[16:17]
	s_movk_i32 s12, 0x70
	v_cmp_gt_u32_e64 s[12:13], s12, v4
	s_and_saveexec_b64 s[16:17], s[12:13]
	s_cbranch_execz .LBB24_855
; %bb.854:
	v_lshlrev_b32_e32 v24, 2, v21
	v_lshl_add_u32 v24, v23, 2, v24
	ds_read_b32 v24, v24 offset:10688
	ds_read_b32 v27, v26 offset:8356
	s_waitcnt lgkmcnt(0)
	v_fmac_f32_e32 v25, v24, v27
.LBB24_855:
	s_or_b64 exec, exec, s[16:17]
	s_movk_i32 s12, 0x60
	v_cmp_gt_u32_e64 s[12:13], s12, v4
	s_and_saveexec_b64 s[16:17], s[12:13]
	s_cbranch_execz .LBB24_857
; %bb.856:
	v_lshlrev_b32_e32 v24, 2, v21
	v_lshl_add_u32 v24, v23, 2, v24
	ds_read_b32 v24, v24 offset:10944
	ds_read_b32 v27, v26 offset:8360
	s_waitcnt lgkmcnt(0)
	v_fmac_f32_e32 v25, v24, v27
.LBB24_857:
	s_or_b64 exec, exec, s[16:17]
	s_movk_i32 s12, 0x50
	v_cmp_gt_u32_e64 s[12:13], s12, v4
	s_and_saveexec_b64 s[16:17], s[12:13]
	s_cbranch_execnz .LBB24_1241
; %bb.858:
	s_or_b64 exec, exec, s[16:17]
	v_cmp_gt_u32_e64 s[12:13], 64, v4
	s_and_saveexec_b64 s[16:17], s[12:13]
	s_cbranch_execnz .LBB24_1242
.LBB24_859:
	s_or_b64 exec, exec, s[16:17]
	v_cmp_gt_u32_e64 s[12:13], 48, v4
	s_and_saveexec_b64 s[16:17], s[12:13]
	s_cbranch_execnz .LBB24_1243
.LBB24_860:
	s_or_b64 exec, exec, s[16:17]
	v_cmp_gt_u32_e64 s[12:13], 32, v4
	s_and_saveexec_b64 s[16:17], s[12:13]
	s_cbranch_execnz .LBB24_1244
.LBB24_861:
	s_or_b64 exec, exec, s[16:17]
	v_cmp_gt_u32_e64 s[12:13], 16, v4
	s_and_saveexec_b64 s[16:17], s[12:13]
	s_cbranch_execz .LBB24_863
.LBB24_862:
	v_lshlrev_b32_e32 v23, 2, v0
	v_mov_b32_e32 v24, 0
	ds_read_b32 v23, v23 offset:12224
	ds_read_b32 v24, v24 offset:8380
	s_waitcnt lgkmcnt(0)
	v_fmac_f32_e32 v25, v23, v24
.LBB24_863:
	s_or_b64 exec, exec, s[16:17]
	v_xor_b32_e32 v25, 0x80000000, v25
.LBB24_864:
	s_or_b64 exec, exec, s[14:15]
	s_mov_b64 s[12:13], exec
	v_readlane_b32 s14, v33, 3
	v_readlane_b32 s15, v33, 4
	s_and_b64 s[14:15], s[12:13], s[14:15]
	s_mov_b64 exec, s[14:15]
	s_cbranch_execz .LBB24_866
; %bb.865:
	v_mov_b32_e32 v23, 0
	ds_read_b32 v23, v23 offset:12480
	s_waitcnt lgkmcnt(0)
	v_mul_f32_e32 v25, v25, v23
	ds_write_b32 v22, v25
.LBB24_866:
	s_or_b64 exec, exec, s[12:13]
	s_waitcnt lgkmcnt(0)
	s_barrier
	s_mov_b64 s[12:13], exec
	v_readlane_b32 s14, v33, 5
	v_readlane_b32 s15, v33, 6
	s_and_b64 s[14:15], s[12:13], s[14:15]
	s_mov_b64 exec, s[14:15]
	s_cbranch_execz .LBB24_868
; %bb.867:
	v_lshlrev_b32_e32 v23, 2, v21
	ds_read_b32 v23, v23 offset:12480
	ds_read_b32 v24, v22
	s_waitcnt lgkmcnt(0)
	v_fmac_f32_e32 v25, v23, v24
.LBB24_868:
	s_or_b64 exec, exec, s[12:13]
	s_barrier
	s_mov_b64 s[12:13], exec
	v_readlane_b32 s14, v33, 7
	v_readlane_b32 s15, v33, 8
	s_and_b64 s[14:15], s[12:13], s[14:15]
	s_mov_b64 exec, s[14:15]
	s_cbranch_execz .LBB24_870
; %bb.869:
	v_mov_b32_e32 v23, 0
	ds_read_b32 v23, v23 offset:12740
	s_waitcnt lgkmcnt(0)
	v_mul_f32_e32 v25, v25, v23
	ds_write_b32 v22, v25
.LBB24_870:
	s_or_b64 exec, exec, s[12:13]
	s_waitcnt lgkmcnt(0)
	s_barrier
	s_mov_b64 s[12:13], exec
	v_readlane_b32 s14, v33, 9
	v_readlane_b32 s15, v33, 10
	s_and_b64 s[14:15], s[12:13], s[14:15]
	s_mov_b64 exec, s[14:15]
	s_cbranch_execz .LBB24_872
; %bb.871:
	v_lshlrev_b32_e32 v23, 2, v21
	ds_read_b32 v23, v23 offset:12736
	ds_read_b32 v24, v22
	s_waitcnt lgkmcnt(0)
	v_fmac_f32_e32 v25, v23, v24
.LBB24_872:
	s_or_b64 exec, exec, s[12:13]
	s_barrier
	;; [unrolled: 31-line block ×13, first 2 shown]
	s_mov_b64 s[12:13], exec
	v_readlane_b32 s14, v33, 55
	v_readlane_b32 s15, v33, 56
	s_and_b64 s[14:15], s[12:13], s[14:15]
	s_mov_b64 exec, s[14:15]
	s_cbranch_execz .LBB24_918
; %bb.917:
	v_mov_b32_e32 v23, 0
	ds_read_b32 v23, v23 offset:15860
	s_waitcnt lgkmcnt(0)
	v_mul_f32_e32 v25, v25, v23
	ds_write_b32 v22, v25
.LBB24_918:
	s_or_b64 exec, exec, s[12:13]
	s_waitcnt lgkmcnt(0)
	s_barrier
	s_and_saveexec_b64 s[12:13], s[92:93]
	s_cbranch_execz .LBB24_920
; %bb.919:
	v_lshlrev_b32_e32 v21, 2, v21
	ds_read_b32 v21, v21 offset:15808
	ds_read_b32 v23, v22
	s_waitcnt lgkmcnt(0)
	v_fmac_f32_e32 v25, v21, v23
.LBB24_920:
	s_or_b64 exec, exec, s[12:13]
	s_barrier
	s_and_saveexec_b64 s[12:13], s[94:95]
	s_cbranch_execz .LBB24_922
; %bb.921:
	v_mov_b32_e32 v21, 0
	ds_read_b32 v21, v21 offset:16120
	s_waitcnt lgkmcnt(0)
	v_mul_f32_e32 v25, v25, v21
	ds_write_b32 v22, v25
.LBB24_922:
	s_or_b64 exec, exec, s[12:13]
	s_waitcnt lgkmcnt(0)
	s_barrier
	s_and_saveexec_b64 s[12:13], s[90:91]
	s_cbranch_execz .LBB24_924
; %bb.923:
	v_mov_b32_e32 v21, 0
	ds_read_b32 v21, v21 offset:16124
	ds_read_b32 v23, v22
	s_waitcnt lgkmcnt(0)
	v_fmac_f32_e32 v25, v21, v23
.LBB24_924:
	s_or_b64 exec, exec, s[12:13]
	s_barrier
	s_and_saveexec_b64 s[12:13], s[90:91]
	s_cbranch_execz .LBB24_926
; %bb.925:
	v_mov_b32_e32 v21, 0
	ds_read_b32 v21, v21 offset:16380
	s_waitcnt lgkmcnt(0)
	v_mul_f32_e32 v25, v25, v21
	ds_write_b32 v22, v25
.LBB24_926:
	s_or_b64 exec, exec, s[12:13]
	s_waitcnt lgkmcnt(0)
	s_barrier
	s_barrier
	s_and_saveexec_b64 s[12:13], s[10:11]
; %bb.927:
	v_xor_b32_e32 v21, 0x80000000, v25
	ds_write_b32 v20, v21 offset:8384
; %bb.928:
	s_or_b64 exec, exec, s[12:13]
	s_waitcnt lgkmcnt(0)
	s_barrier
	s_barrier
	s_and_saveexec_b64 s[10:11], s[0:1]
	s_cbranch_execz .LBB24_930
; %bb.929:
	v_lshlrev_b32_e32 v20, 8, v0
	ds_read_b32 v21, v20 offset:8384
	s_movk_i32 s0, 0xff04
	v_mad_i32_i24 v22, v0, s0, v20
	s_waitcnt lgkmcnt(0)
	ds_write_b32 v22, v21 offset:12416
	ds_read_b32 v21, v20 offset:8388
	s_waitcnt lgkmcnt(0)
	ds_write_b32 v22, v21 offset:12672
	ds_read_b32 v21, v20 offset:8392
	;; [unrolled: 3-line block ×15, first 2 shown]
	s_waitcnt lgkmcnt(0)
	ds_write_b32 v22, v20 offset:16256
.LBB24_930:
	s_or_b64 exec, exec, s[10:11]
	s_waitcnt lgkmcnt(0)
	s_barrier
	s_and_saveexec_b64 s[0:1], vcc
	s_cbranch_execz .LBB24_932
; %bb.931:
	v_mov_b32_e32 v22, 0
	ds_read_b64 v[20:21], v22 offset:12480
	ds_read_b32 v22, v22 offset:12740
	s_movk_i32 s10, 0x3000
	s_waitcnt lgkmcnt(0)
	v_mul_f32_e32 v20, v20, v22
	v_mul_f32_e32 v20, v21, v20
	v_add_u32_e64 v21, s10, 0
	ds_write2_b32 v21, v20, v20 offset0:49 offset1:112
.LBB24_932:
	s_or_b64 exec, exec, s[0:1]
	v_mov_b32_e32 v20, 0
	s_waitcnt lgkmcnt(0)
	s_barrier
	s_and_saveexec_b64 s[0:1], s[2:3]
	s_cbranch_execz .LBB24_936
; %bb.933:
	v_mul_u32_u24_e32 v20, 0x104, v5
	ds_read_b32 v22, v1 offset:12488
	ds_read_b32 v20, v20 offset:12480
	v_mov_b32_e32 v21, 0
	v_cmp_gt_u32_e64 s[10:11], 2, v4
	s_waitcnt lgkmcnt(0)
	v_fma_f32 v20, v22, v20, 0
	s_and_saveexec_b64 s[12:13], s[10:11]
	s_cbranch_execz .LBB24_935
; %bb.934:
	v_lshlrev_b32_e32 v22, 2, v0
	ds_read_b32 v22, v22 offset:12744
	ds_read_b32 v21, v21 offset:12484
	s_waitcnt lgkmcnt(0)
	v_fmac_f32_e32 v20, v22, v21
.LBB24_935:
	s_or_b64 exec, exec, s[12:13]
	v_xor_b32_e32 v20, 0x80000000, v20
.LBB24_936:
	s_or_b64 exec, exec, s[0:1]
	s_and_saveexec_b64 s[0:1], s[34:35]
	s_cbranch_execz .LBB24_938
; %bb.937:
	v_mov_b32_e32 v21, 0
	ds_read_b32 v21, v21 offset:13000
	s_waitcnt lgkmcnt(0)
	v_mul_f32_e32 v20, v20, v21
	ds_write_b32 v3, v20
.LBB24_938:
	s_or_b64 exec, exec, s[0:1]
	s_waitcnt lgkmcnt(0)
	s_barrier
	s_and_saveexec_b64 s[0:1], s[26:27]
	s_cbranch_execz .LBB24_940
; %bb.939:
	v_mov_b32_e32 v21, 0
	ds_read_b32 v21, v21 offset:13004
	ds_read_b32 v22, v3
	s_waitcnt lgkmcnt(0)
	v_fmac_f32_e32 v20, v21, v22
.LBB24_940:
	s_or_b64 exec, exec, s[0:1]
	s_barrier
	s_and_saveexec_b64 s[0:1], s[26:27]
	s_cbranch_execz .LBB24_942
; %bb.941:
	v_mov_b32_e32 v21, 0
	ds_read_b32 v21, v21 offset:13260
	s_waitcnt lgkmcnt(0)
	v_mul_f32_e32 v20, v20, v21
	ds_write_b32 v3, v20
.LBB24_942:
	s_or_b64 exec, exec, s[0:1]
	s_waitcnt lgkmcnt(0)
	s_barrier
	s_barrier
	s_and_saveexec_b64 s[0:1], s[2:3]
; %bb.943:
	v_xor_b32_e32 v20, 0x80000000, v20
	ds_write_b32 v1, v20 offset:12488
; %bb.944:
	s_or_b64 exec, exec, s[0:1]
	s_waitcnt lgkmcnt(0)
	s_barrier
	s_barrier
	s_and_saveexec_b64 s[0:1], s[36:37]
	s_cbranch_execz .LBB24_946
; %bb.945:
	v_lshlrev_b32_e32 v20, 2, v0
	s_movk_i32 s10, 0xfc
	v_mad_u32_u24 v21, v0, s10, v20
	ds_read_b32 v22, v21 offset:12488
	s_waitcnt lgkmcnt(0)
	ds_write_b32 v20, v22 offset:12992
	ds_read_b32 v21, v21 offset:12492
	s_waitcnt lgkmcnt(0)
	ds_write_b32 v20, v21 offset:13248
.LBB24_946:
	s_or_b64 exec, exec, s[0:1]
	s_waitcnt lgkmcnt(0)
	s_barrier
	s_and_saveexec_b64 s[0:1], vcc
	s_cbranch_execz .LBB24_948
; %bb.947:
	v_mov_b32_e32 v22, 0
	ds_read_b64 v[20:21], v22 offset:13000
	ds_read_b32 v22, v22 offset:13260
	s_movk_i32 s10, 0x3000
	s_waitcnt lgkmcnt(0)
	v_mul_f32_e32 v20, v20, v22
	v_mul_f32_e32 v20, v21, v20
	v_add_u32_e64 v21, s10, 0
	ds_write2_b32 v21, v20, v20 offset0:179 offset1:242
.LBB24_948:
	s_or_b64 exec, exec, s[0:1]
	v_mov_b32_e32 v20, 0
	s_waitcnt lgkmcnt(0)
	s_barrier
	s_and_saveexec_b64 s[0:1], s[18:19]
	s_cbranch_execz .LBB24_954
; %bb.949:
	v_mul_u32_u24_e32 v21, 0x104, v14
	ds_read_b32 v20, v6 offset:12496
	ds_read_b32 v22, v21 offset:12480
	v_cmp_gt_u32_e64 s[10:11], 12, v4
	s_waitcnt lgkmcnt(0)
	v_fma_f32 v20, v20, v22, 0
	s_and_saveexec_b64 s[12:13], s[10:11]
	s_cbranch_execnz .LBB24_1245
; %bb.950:
	s_or_b64 exec, exec, s[12:13]
	v_cmp_gt_u32_e64 s[10:11], 8, v4
	s_and_saveexec_b64 s[12:13], s[10:11]
	s_cbranch_execnz .LBB24_1246
.LBB24_951:
	s_or_b64 exec, exec, s[12:13]
	v_cmp_gt_u32_e64 s[10:11], 4, v4
	s_and_saveexec_b64 s[12:13], s[10:11]
	s_cbranch_execz .LBB24_953
.LBB24_952:
	v_lshlrev_b32_e32 v21, 2, v0
	v_mov_b32_e32 v22, 0
	ds_read_b32 v21, v21 offset:13264
	ds_read_b32 v22, v22 offset:12492
	s_waitcnt lgkmcnt(0)
	v_fmac_f32_e32 v20, v21, v22
.LBB24_953:
	s_or_b64 exec, exec, s[12:13]
	v_xor_b32_e32 v20, 0x80000000, v20
.LBB24_954:
	s_or_b64 exec, exec, s[0:1]
	s_and_saveexec_b64 s[0:1], s[40:41]
	s_cbranch_execz .LBB24_956
; %bb.955:
	v_mov_b32_e32 v21, 0
	ds_read_b32 v21, v21 offset:13520
	s_waitcnt lgkmcnt(0)
	v_mul_f32_e32 v20, v20, v21
	ds_write_b32 v12, v20
.LBB24_956:
	s_or_b64 exec, exec, s[0:1]
	s_waitcnt lgkmcnt(0)
	s_barrier
	s_and_saveexec_b64 s[0:1], s[42:43]
	s_cbranch_execz .LBB24_958
; %bb.957:
	ds_read_b32 v21, v11 offset:13520
	ds_read_b32 v22, v12
	s_waitcnt lgkmcnt(0)
	v_fmac_f32_e32 v20, v21, v22
.LBB24_958:
	s_or_b64 exec, exec, s[0:1]
	s_barrier
	s_and_saveexec_b64 s[0:1], s[44:45]
	s_cbranch_execz .LBB24_960
; %bb.959:
	v_mov_b32_e32 v21, 0
	ds_read_b32 v21, v21 offset:13780
	s_waitcnt lgkmcnt(0)
	v_mul_f32_e32 v20, v20, v21
	ds_write_b32 v12, v20
.LBB24_960:
	s_or_b64 exec, exec, s[0:1]
	s_waitcnt lgkmcnt(0)
	s_barrier
	s_and_saveexec_b64 s[0:1], s[46:47]
	s_cbranch_execz .LBB24_962
; %bb.961:
	ds_read_b32 v21, v11 offset:13776
	ds_read_b32 v22, v12
	s_waitcnt lgkmcnt(0)
	v_fmac_f32_e32 v20, v21, v22
.LBB24_962:
	s_or_b64 exec, exec, s[0:1]
	s_barrier
	s_and_saveexec_b64 s[0:1], s[48:49]
	s_cbranch_execz .LBB24_964
; %bb.963:
	v_mov_b32_e32 v21, 0
	ds_read_b32 v21, v21 offset:14040
	s_waitcnt lgkmcnt(0)
	v_mul_f32_e32 v20, v20, v21
	ds_write_b32 v12, v20
.LBB24_964:
	s_or_b64 exec, exec, s[0:1]
	s_waitcnt lgkmcnt(0)
	s_barrier
	s_and_saveexec_b64 s[0:1], s[38:39]
	s_cbranch_execz .LBB24_966
; %bb.965:
	v_mov_b32_e32 v21, 0
	ds_read_b32 v21, v21 offset:14044
	ds_read_b32 v22, v12
	s_waitcnt lgkmcnt(0)
	v_fmac_f32_e32 v20, v21, v22
.LBB24_966:
	s_or_b64 exec, exec, s[0:1]
	s_barrier
	s_and_saveexec_b64 s[0:1], s[38:39]
	s_cbranch_execz .LBB24_968
; %bb.967:
	v_mov_b32_e32 v21, 0
	ds_read_b32 v21, v21 offset:14300
	s_waitcnt lgkmcnt(0)
	v_mul_f32_e32 v20, v20, v21
	ds_write_b32 v12, v20
.LBB24_968:
	s_or_b64 exec, exec, s[0:1]
	s_waitcnt lgkmcnt(0)
	s_barrier
	s_barrier
	s_and_saveexec_b64 s[0:1], s[18:19]
; %bb.969:
	v_xor_b32_e32 v20, 0x80000000, v20
	ds_write_b32 v6, v20 offset:12496
; %bb.970:
	s_or_b64 exec, exec, s[0:1]
	s_waitcnt lgkmcnt(0)
	s_barrier
	s_barrier
	s_and_saveexec_b64 s[0:1], s[50:51]
	s_cbranch_execz .LBB24_972
; %bb.971:
	v_lshlrev_b32_e32 v20, 8, v0
	ds_read_b32 v21, v20 offset:12496
	s_movk_i32 s10, 0xff04
	v_mad_i32_i24 v22, v0, s10, v20
	s_waitcnt lgkmcnt(0)
	ds_write_b32 v22, v21 offset:13504
	ds_read_b32 v21, v20 offset:12500
	s_waitcnt lgkmcnt(0)
	ds_write_b32 v22, v21 offset:13760
	ds_read_b32 v21, v20 offset:12504
	;; [unrolled: 3-line block ×3, first 2 shown]
	s_waitcnt lgkmcnt(0)
	ds_write_b32 v22, v20 offset:14272
.LBB24_972:
	s_or_b64 exec, exec, s[0:1]
	s_waitcnt lgkmcnt(0)
	s_barrier
	s_and_saveexec_b64 s[0:1], vcc
	s_cbranch_execz .LBB24_974
; %bb.973:
	v_mov_b32_e32 v22, 0
	ds_read_b64 v[20:21], v22 offset:13520
	ds_read_b32 v22, v22 offset:13780
	s_movk_i32 s10, 0x3400
	s_waitcnt lgkmcnt(0)
	v_mul_f32_e32 v20, v20, v22
	v_mul_f32_e32 v20, v21, v20
	v_add_u32_e64 v21, s10, 0
	ds_write2_b32 v21, v20, v20 offset0:53 offset1:116
.LBB24_974:
	s_or_b64 exec, exec, s[0:1]
	v_mov_b32_e32 v20, 0
	s_waitcnt lgkmcnt(0)
	s_barrier
	s_and_saveexec_b64 s[0:1], s[2:3]
	s_cbranch_execz .LBB24_978
; %bb.975:
	v_mul_u32_u24_e32 v20, 0x104, v5
	ds_read_b32 v22, v1 offset:13528
	ds_read_b32 v20, v20 offset:13520
	v_mov_b32_e32 v21, 0
	v_cmp_gt_u32_e64 s[10:11], 2, v4
	s_waitcnt lgkmcnt(0)
	v_fma_f32 v20, v22, v20, 0
	s_and_saveexec_b64 s[12:13], s[10:11]
	s_cbranch_execz .LBB24_977
; %bb.976:
	v_lshlrev_b32_e32 v22, 2, v0
	ds_read_b32 v22, v22 offset:13784
	ds_read_b32 v21, v21 offset:13524
	s_waitcnt lgkmcnt(0)
	v_fmac_f32_e32 v20, v22, v21
.LBB24_977:
	s_or_b64 exec, exec, s[12:13]
	v_xor_b32_e32 v20, 0x80000000, v20
.LBB24_978:
	s_or_b64 exec, exec, s[0:1]
	s_and_saveexec_b64 s[0:1], s[34:35]
	s_cbranch_execz .LBB24_980
; %bb.979:
	v_mov_b32_e32 v21, 0
	ds_read_b32 v21, v21 offset:14040
	s_waitcnt lgkmcnt(0)
	v_mul_f32_e32 v20, v20, v21
	ds_write_b32 v3, v20
.LBB24_980:
	s_or_b64 exec, exec, s[0:1]
	s_waitcnt lgkmcnt(0)
	s_barrier
	s_and_saveexec_b64 s[0:1], s[26:27]
	s_cbranch_execz .LBB24_982
; %bb.981:
	v_mov_b32_e32 v21, 0
	ds_read_b32 v21, v21 offset:14044
	ds_read_b32 v22, v3
	s_waitcnt lgkmcnt(0)
	v_fmac_f32_e32 v20, v21, v22
.LBB24_982:
	s_or_b64 exec, exec, s[0:1]
	s_barrier
	s_and_saveexec_b64 s[0:1], s[26:27]
	s_cbranch_execz .LBB24_984
; %bb.983:
	v_mov_b32_e32 v21, 0
	ds_read_b32 v21, v21 offset:14300
	s_waitcnt lgkmcnt(0)
	v_mul_f32_e32 v20, v20, v21
	ds_write_b32 v3, v20
.LBB24_984:
	s_or_b64 exec, exec, s[0:1]
	s_waitcnt lgkmcnt(0)
	s_barrier
	s_barrier
	s_and_saveexec_b64 s[0:1], s[2:3]
; %bb.985:
	v_xor_b32_e32 v20, 0x80000000, v20
	ds_write_b32 v1, v20 offset:13528
; %bb.986:
	s_or_b64 exec, exec, s[0:1]
	s_waitcnt lgkmcnt(0)
	s_barrier
	s_barrier
	s_and_saveexec_b64 s[0:1], s[36:37]
	s_cbranch_execz .LBB24_988
; %bb.987:
	v_lshlrev_b32_e32 v20, 2, v0
	s_movk_i32 s10, 0xfc
	v_mad_u32_u24 v21, v0, s10, v20
	ds_read_b32 v22, v21 offset:13528
	s_waitcnt lgkmcnt(0)
	ds_write_b32 v20, v22 offset:14032
	ds_read_b32 v21, v21 offset:13532
	s_waitcnt lgkmcnt(0)
	ds_write_b32 v20, v21 offset:14288
.LBB24_988:
	s_or_b64 exec, exec, s[0:1]
	s_waitcnt lgkmcnt(0)
	s_barrier
	s_and_saveexec_b64 s[0:1], vcc
	s_cbranch_execz .LBB24_990
; %bb.989:
	v_mov_b32_e32 v22, 0
	ds_read_b64 v[20:21], v22 offset:14040
	ds_read_b32 v22, v22 offset:14300
	s_movk_i32 s10, 0x3400
	s_waitcnt lgkmcnt(0)
	v_mul_f32_e32 v20, v20, v22
	v_mul_f32_e32 v20, v21, v20
	v_add_u32_e64 v21, s10, 0
	ds_write2_b32 v21, v20, v20 offset0:183 offset1:246
.LBB24_990:
	s_or_b64 exec, exec, s[0:1]
	v_mov_b32_e32 v20, 0
	s_waitcnt lgkmcnt(0)
	s_barrier
	s_and_saveexec_b64 s[0:1], s[8:9]
	s_cbranch_execz .LBB24_1000
; %bb.991:
	v_mul_u32_u24_e32 v21, 0x104, v19
	ds_read_b32 v20, v15 offset:12512
	ds_read_b32 v22, v21 offset:12480
	v_cmp_gt_u32_e64 s[10:11], 56, v4
	s_waitcnt lgkmcnt(0)
	v_fma_f32 v20, v20, v22, 0
	s_and_saveexec_b64 s[12:13], s[10:11]
	s_cbranch_execnz .LBB24_1247
; %bb.992:
	s_or_b64 exec, exec, s[12:13]
	v_cmp_gt_u32_e64 s[10:11], 48, v4
	s_and_saveexec_b64 s[12:13], s[10:11]
	s_cbranch_execnz .LBB24_1248
.LBB24_993:
	s_or_b64 exec, exec, s[12:13]
	v_cmp_gt_u32_e64 s[10:11], 40, v4
	s_and_saveexec_b64 s[12:13], s[10:11]
	s_cbranch_execnz .LBB24_1249
.LBB24_994:
	s_or_b64 exec, exec, s[12:13]
	v_cmp_gt_u32_e64 s[10:11], 32, v4
	s_and_saveexec_b64 s[12:13], s[10:11]
	s_cbranch_execnz .LBB24_1250
.LBB24_995:
	s_or_b64 exec, exec, s[12:13]
	v_cmp_gt_u32_e64 s[10:11], 24, v4
	s_and_saveexec_b64 s[12:13], s[10:11]
	s_cbranch_execnz .LBB24_1251
.LBB24_996:
	s_or_b64 exec, exec, s[12:13]
	v_cmp_gt_u32_e64 s[10:11], 16, v4
	s_and_saveexec_b64 s[12:13], s[10:11]
	s_cbranch_execnz .LBB24_1252
.LBB24_997:
	s_or_b64 exec, exec, s[12:13]
	v_cmp_gt_u32_e64 s[10:11], 8, v4
	s_and_saveexec_b64 s[12:13], s[10:11]
	s_cbranch_execz .LBB24_999
.LBB24_998:
	v_lshlrev_b32_e32 v18, 2, v0
	v_mov_b32_e32 v19, 0
	ds_read_b32 v18, v18 offset:14304
	ds_read_b32 v19, v19 offset:12508
	s_waitcnt lgkmcnt(0)
	v_fmac_f32_e32 v20, v18, v19
.LBB24_999:
	s_or_b64 exec, exec, s[12:13]
	v_xor_b32_e32 v20, 0x80000000, v20
.LBB24_1000:
	s_or_b64 exec, exec, s[0:1]
	s_and_saveexec_b64 s[0:1], s[52:53]
	s_cbranch_execz .LBB24_1002
; %bb.1001:
	v_mov_b32_e32 v18, 0
	ds_read_b32 v18, v18 offset:14560
	s_waitcnt lgkmcnt(0)
	v_mul_f32_e32 v20, v20, v18
	ds_write_b32 v17, v20
.LBB24_1002:
	s_or_b64 exec, exec, s[0:1]
	s_waitcnt lgkmcnt(0)
	s_barrier
	s_and_saveexec_b64 s[0:1], s[54:55]
	v_readlane_b32 s52, v33, 1
	v_readlane_b32 s53, v33, 2
	s_cbranch_execz .LBB24_1004
; %bb.1003:
	ds_read_b32 v18, v16 offset:14560
	ds_read_b32 v19, v17
	s_waitcnt lgkmcnt(0)
	v_fmac_f32_e32 v20, v18, v19
.LBB24_1004:
	s_or_b64 exec, exec, s[0:1]
	s_barrier
	s_and_saveexec_b64 s[0:1], s[56:57]
	s_cbranch_execz .LBB24_1006
; %bb.1005:
	v_mov_b32_e32 v18, 0
	ds_read_b32 v18, v18 offset:14820
	s_waitcnt lgkmcnt(0)
	v_mul_f32_e32 v20, v20, v18
	ds_write_b32 v17, v20
.LBB24_1006:
	s_or_b64 exec, exec, s[0:1]
	s_waitcnt lgkmcnt(0)
	s_barrier
	s_and_saveexec_b64 s[0:1], s[58:59]
	s_cbranch_execz .LBB24_1008
; %bb.1007:
	ds_read_b32 v18, v16 offset:14816
	ds_read_b32 v19, v17
	s_waitcnt lgkmcnt(0)
	v_fmac_f32_e32 v20, v18, v19
.LBB24_1008:
	s_or_b64 exec, exec, s[0:1]
	s_barrier
	s_and_saveexec_b64 s[0:1], s[62:63]
	s_cbranch_execz .LBB24_1010
; %bb.1009:
	v_mov_b32_e32 v18, 0
	ds_read_b32 v18, v18 offset:15080
	s_waitcnt lgkmcnt(0)
	v_mul_f32_e32 v20, v20, v18
	ds_write_b32 v17, v20
.LBB24_1010:
	s_or_b64 exec, exec, s[0:1]
	s_waitcnt lgkmcnt(0)
	s_barrier
	s_and_saveexec_b64 s[0:1], s[64:65]
	;; [unrolled: 22-line block ×6, first 2 shown]
	s_cbranch_execz .LBB24_1028
; %bb.1027:
	v_mov_b32_e32 v16, 0
	ds_read_b32 v16, v16 offset:16124
	ds_read_b32 v18, v17
	s_waitcnt lgkmcnt(0)
	v_fmac_f32_e32 v20, v16, v18
.LBB24_1028:
	s_or_b64 exec, exec, s[0:1]
	s_barrier
	s_and_saveexec_b64 s[0:1], s[60:61]
	s_cbranch_execz .LBB24_1030
; %bb.1029:
	v_mov_b32_e32 v16, 0
	ds_read_b32 v16, v16 offset:16380
	s_waitcnt lgkmcnt(0)
	v_mul_f32_e32 v20, v20, v16
	ds_write_b32 v17, v20
.LBB24_1030:
	s_or_b64 exec, exec, s[0:1]
	s_waitcnt lgkmcnt(0)
	s_barrier
	s_barrier
	s_and_saveexec_b64 s[0:1], s[8:9]
; %bb.1031:
	v_xor_b32_e32 v16, 0x80000000, v20
	ds_write_b32 v15, v16 offset:12512
; %bb.1032:
	s_or_b64 exec, exec, s[0:1]
	s_waitcnt lgkmcnt(0)
	s_barrier
	s_barrier
	s_and_saveexec_b64 s[0:1], s[80:81]
	s_cbranch_execz .LBB24_1034
; %bb.1033:
	v_lshlrev_b32_e32 v15, 8, v0
	ds_read_b32 v16, v15 offset:12512
	s_movk_i32 s8, 0xff04
	v_mad_i32_i24 v17, v0, s8, v15
	s_waitcnt lgkmcnt(0)
	ds_write_b32 v17, v16 offset:14528
	ds_read_b32 v16, v15 offset:12516
	s_waitcnt lgkmcnt(0)
	ds_write_b32 v17, v16 offset:14784
	ds_read_b32 v16, v15 offset:12520
	;; [unrolled: 3-line block ×7, first 2 shown]
	s_waitcnt lgkmcnt(0)
	ds_write_b32 v17, v15 offset:16320
.LBB24_1034:
	s_or_b64 exec, exec, s[0:1]
	s_waitcnt lgkmcnt(0)
	s_barrier
	s_and_saveexec_b64 s[0:1], vcc
	s_cbranch_execz .LBB24_1036
; %bb.1035:
	v_mov_b32_e32 v17, 0
	ds_read_b64 v[15:16], v17 offset:14560
	ds_read_b32 v17, v17 offset:14820
	s_movk_i32 s8, 0x3800
	s_waitcnt lgkmcnt(0)
	v_mul_f32_e32 v15, v15, v17
	v_mul_f32_e32 v15, v16, v15
	v_add_u32_e64 v16, s8, 0
	ds_write2_b32 v16, v15, v15 offset0:57 offset1:120
.LBB24_1036:
	s_or_b64 exec, exec, s[0:1]
	v_mov_b32_e32 v15, 0
	s_waitcnt lgkmcnt(0)
	s_barrier
	s_and_saveexec_b64 s[0:1], s[2:3]
	s_cbranch_execz .LBB24_1040
; %bb.1037:
	v_mul_u32_u24_e32 v15, 0x104, v5
	ds_read_b32 v17, v1 offset:14568
	ds_read_b32 v15, v15 offset:14560
	v_mov_b32_e32 v16, 0
	v_cmp_gt_u32_e64 s[8:9], 2, v4
	s_waitcnt lgkmcnt(0)
	v_fma_f32 v15, v17, v15, 0
	s_and_saveexec_b64 s[10:11], s[8:9]
	s_cbranch_execz .LBB24_1039
; %bb.1038:
	v_lshlrev_b32_e32 v17, 2, v0
	ds_read_b32 v17, v17 offset:14824
	ds_read_b32 v16, v16 offset:14564
	s_waitcnt lgkmcnt(0)
	v_fmac_f32_e32 v15, v17, v16
.LBB24_1039:
	s_or_b64 exec, exec, s[10:11]
	v_xor_b32_e32 v15, 0x80000000, v15
.LBB24_1040:
	s_or_b64 exec, exec, s[0:1]
	s_and_saveexec_b64 s[0:1], s[34:35]
	s_cbranch_execz .LBB24_1042
; %bb.1041:
	v_mov_b32_e32 v16, 0
	ds_read_b32 v16, v16 offset:15080
	s_waitcnt lgkmcnt(0)
	v_mul_f32_e32 v15, v15, v16
	ds_write_b32 v3, v15
.LBB24_1042:
	s_or_b64 exec, exec, s[0:1]
	s_waitcnt lgkmcnt(0)
	s_barrier
	s_and_saveexec_b64 s[0:1], s[26:27]
	s_cbranch_execz .LBB24_1044
; %bb.1043:
	v_mov_b32_e32 v16, 0
	ds_read_b32 v16, v16 offset:15084
	ds_read_b32 v17, v3
	s_waitcnt lgkmcnt(0)
	v_fmac_f32_e32 v15, v16, v17
.LBB24_1044:
	s_or_b64 exec, exec, s[0:1]
	s_barrier
	s_and_saveexec_b64 s[0:1], s[26:27]
	s_cbranch_execz .LBB24_1046
; %bb.1045:
	v_mov_b32_e32 v16, 0
	ds_read_b32 v16, v16 offset:15340
	s_waitcnt lgkmcnt(0)
	v_mul_f32_e32 v15, v15, v16
	ds_write_b32 v3, v15
.LBB24_1046:
	s_or_b64 exec, exec, s[0:1]
	s_waitcnt lgkmcnt(0)
	s_barrier
	s_barrier
	s_and_saveexec_b64 s[0:1], s[2:3]
; %bb.1047:
	v_xor_b32_e32 v15, 0x80000000, v15
	ds_write_b32 v1, v15 offset:14568
; %bb.1048:
	s_or_b64 exec, exec, s[0:1]
	s_waitcnt lgkmcnt(0)
	s_barrier
	s_barrier
	s_and_saveexec_b64 s[0:1], s[36:37]
	s_cbranch_execz .LBB24_1050
; %bb.1049:
	v_lshlrev_b32_e32 v15, 2, v0
	s_movk_i32 s8, 0xfc
	v_mad_u32_u24 v16, v0, s8, v15
	ds_read_b32 v17, v16 offset:14568
	s_waitcnt lgkmcnt(0)
	ds_write_b32 v15, v17 offset:15072
	ds_read_b32 v16, v16 offset:14572
	s_waitcnt lgkmcnt(0)
	ds_write_b32 v15, v16 offset:15328
.LBB24_1050:
	s_or_b64 exec, exec, s[0:1]
	s_waitcnt lgkmcnt(0)
	s_barrier
	s_and_saveexec_b64 s[0:1], vcc
	s_cbranch_execz .LBB24_1052
; %bb.1051:
	v_mov_b32_e32 v17, 0
	ds_read_b64 v[15:16], v17 offset:15080
	ds_read_b32 v17, v17 offset:15340
	s_movk_i32 s8, 0x3800
	s_waitcnt lgkmcnt(0)
	v_mul_f32_e32 v15, v15, v17
	v_mul_f32_e32 v15, v16, v15
	v_add_u32_e64 v16, s8, 0
	ds_write2_b32 v16, v15, v15 offset0:187 offset1:250
.LBB24_1052:
	s_or_b64 exec, exec, s[0:1]
	v_mov_b32_e32 v15, 0
	s_waitcnt lgkmcnt(0)
	s_barrier
	s_and_saveexec_b64 s[0:1], s[18:19]
	s_cbranch_execz .LBB24_1058
; %bb.1053:
	v_mul_u32_u24_e32 v16, 0x104, v14
	ds_read_b32 v15, v6 offset:14576
	ds_read_b32 v17, v16 offset:14560
	v_cmp_gt_u32_e64 s[8:9], 12, v4
	s_waitcnt lgkmcnt(0)
	v_fma_f32 v15, v15, v17, 0
	s_and_saveexec_b64 s[10:11], s[8:9]
	s_cbranch_execnz .LBB24_1253
; %bb.1054:
	s_or_b64 exec, exec, s[10:11]
	v_cmp_gt_u32_e64 s[8:9], 8, v4
	s_and_saveexec_b64 s[10:11], s[8:9]
	s_cbranch_execnz .LBB24_1254
.LBB24_1055:
	s_or_b64 exec, exec, s[10:11]
	v_cmp_gt_u32_e64 s[8:9], 4, v4
	s_and_saveexec_b64 s[10:11], s[8:9]
	s_cbranch_execz .LBB24_1057
.LBB24_1056:
	v_lshlrev_b32_e32 v13, 2, v0
	v_mov_b32_e32 v14, 0
	ds_read_b32 v13, v13 offset:15344
	ds_read_b32 v14, v14 offset:14572
	s_waitcnt lgkmcnt(0)
	v_fmac_f32_e32 v15, v13, v14
.LBB24_1057:
	s_or_b64 exec, exec, s[10:11]
	v_xor_b32_e32 v15, 0x80000000, v15
.LBB24_1058:
	s_or_b64 exec, exec, s[0:1]
	s_and_saveexec_b64 s[0:1], s[40:41]
	s_cbranch_execz .LBB24_1060
; %bb.1059:
	v_mov_b32_e32 v13, 0
	ds_read_b32 v13, v13 offset:15600
	s_waitcnt lgkmcnt(0)
	v_mul_f32_e32 v15, v15, v13
	ds_write_b32 v12, v15
.LBB24_1060:
	s_or_b64 exec, exec, s[0:1]
	s_waitcnt lgkmcnt(0)
	s_barrier
	s_and_saveexec_b64 s[0:1], s[42:43]
	v_readlane_b32 s40, v33, 0
	s_cbranch_execz .LBB24_1062
; %bb.1061:
	ds_read_b32 v13, v11 offset:15600
	ds_read_b32 v14, v12
	s_waitcnt lgkmcnt(0)
	v_fmac_f32_e32 v15, v13, v14
.LBB24_1062:
	s_or_b64 exec, exec, s[0:1]
	s_barrier
	s_and_saveexec_b64 s[0:1], s[44:45]
	s_cbranch_execz .LBB24_1064
; %bb.1063:
	v_mov_b32_e32 v13, 0
	ds_read_b32 v13, v13 offset:15860
	s_waitcnt lgkmcnt(0)
	v_mul_f32_e32 v15, v15, v13
	ds_write_b32 v12, v15
.LBB24_1064:
	s_or_b64 exec, exec, s[0:1]
	s_waitcnt lgkmcnt(0)
	s_barrier
	s_and_saveexec_b64 s[0:1], s[46:47]
	s_cbranch_execz .LBB24_1066
; %bb.1065:
	ds_read_b32 v11, v11 offset:15856
	ds_read_b32 v13, v12
	s_waitcnt lgkmcnt(0)
	v_fmac_f32_e32 v15, v11, v13
.LBB24_1066:
	s_or_b64 exec, exec, s[0:1]
	s_barrier
	s_and_saveexec_b64 s[0:1], s[48:49]
	s_cbranch_execz .LBB24_1068
; %bb.1067:
	v_mov_b32_e32 v11, 0
	ds_read_b32 v11, v11 offset:16120
	s_waitcnt lgkmcnt(0)
	v_mul_f32_e32 v15, v15, v11
	ds_write_b32 v12, v15
.LBB24_1068:
	s_or_b64 exec, exec, s[0:1]
	s_waitcnt lgkmcnt(0)
	s_barrier
	s_and_saveexec_b64 s[0:1], s[38:39]
	s_cbranch_execz .LBB24_1070
; %bb.1069:
	v_mov_b32_e32 v11, 0
	ds_read_b32 v11, v11 offset:16124
	ds_read_b32 v13, v12
	s_waitcnt lgkmcnt(0)
	v_fmac_f32_e32 v15, v11, v13
.LBB24_1070:
	s_or_b64 exec, exec, s[0:1]
	s_barrier
	s_and_saveexec_b64 s[0:1], s[38:39]
	s_cbranch_execz .LBB24_1072
; %bb.1071:
	v_mov_b32_e32 v11, 0
	ds_read_b32 v11, v11 offset:16380
	s_waitcnt lgkmcnt(0)
	v_mul_f32_e32 v15, v15, v11
	ds_write_b32 v12, v15
.LBB24_1072:
	s_or_b64 exec, exec, s[0:1]
	s_waitcnt lgkmcnt(0)
	s_barrier
	s_barrier
	s_and_saveexec_b64 s[0:1], s[18:19]
; %bb.1073:
	v_xor_b32_e32 v11, 0x80000000, v15
	ds_write_b32 v6, v11 offset:14576
; %bb.1074:
	s_or_b64 exec, exec, s[0:1]
	s_waitcnt lgkmcnt(0)
	s_barrier
	s_barrier
	s_and_saveexec_b64 s[0:1], s[50:51]
	s_cbranch_execz .LBB24_1076
; %bb.1075:
	v_lshlrev_b32_e32 v6, 8, v0
	ds_read_b32 v11, v6 offset:14576
	s_movk_i32 s8, 0xff04
	v_mad_i32_i24 v12, v0, s8, v6
	s_waitcnt lgkmcnt(0)
	ds_write_b32 v12, v11 offset:15584
	ds_read_b32 v11, v6 offset:14580
	s_waitcnt lgkmcnt(0)
	ds_write_b32 v12, v11 offset:15840
	ds_read_b32 v11, v6 offset:14584
	;; [unrolled: 3-line block ×3, first 2 shown]
	s_waitcnt lgkmcnt(0)
	ds_write_b32 v12, v6 offset:16352
.LBB24_1076:
	s_or_b64 exec, exec, s[0:1]
	s_waitcnt lgkmcnt(0)
	s_barrier
	s_and_saveexec_b64 s[0:1], vcc
	s_cbranch_execz .LBB24_1078
; %bb.1077:
	v_mov_b32_e32 v6, 0
	ds_read_b64 v[11:12], v6 offset:15600
	ds_read_b32 v6, v6 offset:15860
	s_movk_i32 s8, 0x3c00
	s_waitcnt lgkmcnt(0)
	v_mul_f32_e32 v6, v11, v6
	v_mul_f32_e32 v6, v12, v6
	v_add_u32_e64 v11, s8, 0
	ds_write2_b32 v11, v6, v6 offset0:61 offset1:124
.LBB24_1078:
	s_or_b64 exec, exec, s[0:1]
	v_mov_b32_e32 v6, 0
	s_waitcnt lgkmcnt(0)
	s_barrier
	s_and_saveexec_b64 s[0:1], s[2:3]
	s_cbranch_execz .LBB24_1082
; %bb.1079:
	v_mul_u32_u24_e32 v5, 0x104, v5
	ds_read_b32 v11, v1 offset:15608
	ds_read_b32 v5, v5 offset:15600
	v_mov_b32_e32 v6, 0
	v_cmp_gt_u32_e64 s[8:9], 2, v4
	s_waitcnt lgkmcnt(0)
	v_fma_f32 v5, v11, v5, 0
	s_and_saveexec_b64 s[10:11], s[8:9]
	s_cbranch_execz .LBB24_1081
; %bb.1080:
	v_lshlrev_b32_e32 v4, 2, v0
	ds_read_b32 v4, v4 offset:15864
	ds_read_b32 v6, v6 offset:15604
	s_waitcnt lgkmcnt(0)
	v_fmac_f32_e32 v5, v4, v6
.LBB24_1081:
	s_or_b64 exec, exec, s[10:11]
	v_xor_b32_e32 v6, 0x80000000, v5
.LBB24_1082:
	s_or_b64 exec, exec, s[0:1]
	s_and_saveexec_b64 s[0:1], s[34:35]
	s_cbranch_execz .LBB24_1084
; %bb.1083:
	v_mov_b32_e32 v4, 0
	ds_read_b32 v4, v4 offset:16120
	s_waitcnt lgkmcnt(0)
	v_mul_f32_e32 v6, v6, v4
	ds_write_b32 v3, v6
.LBB24_1084:
	s_or_b64 exec, exec, s[0:1]
	s_waitcnt lgkmcnt(0)
	s_barrier
	s_and_saveexec_b64 s[0:1], s[26:27]
	s_load_dword s20, s[4:5], 0x6c
	s_cbranch_execz .LBB24_1086
; %bb.1085:
	v_mov_b32_e32 v4, 0
	ds_read_b32 v4, v4 offset:16124
	ds_read_b32 v5, v3
	s_waitcnt lgkmcnt(0)
	v_fmac_f32_e32 v6, v4, v5
.LBB24_1086:
	s_or_b64 exec, exec, s[0:1]
	s_waitcnt lgkmcnt(0)
	s_barrier
	s_and_saveexec_b64 s[0:1], s[26:27]
	s_cbranch_execz .LBB24_1088
; %bb.1087:
	v_mov_b32_e32 v4, 0
	ds_read_b32 v4, v4 offset:16380
	s_waitcnt lgkmcnt(0)
	v_mul_f32_e32 v6, v6, v4
	ds_write_b32 v3, v6
.LBB24_1088:
	s_or_b64 exec, exec, s[0:1]
	s_waitcnt lgkmcnt(0)
	s_barrier
	s_barrier
	s_and_saveexec_b64 s[0:1], s[2:3]
; %bb.1089:
	v_xor_b32_e32 v3, 0x80000000, v6
	ds_write_b32 v1, v3 offset:15608
; %bb.1090:
	s_or_b64 exec, exec, s[0:1]
	s_waitcnt lgkmcnt(0)
	s_barrier
	s_barrier
	s_and_saveexec_b64 s[0:1], s[36:37]
	s_cbranch_execz .LBB24_1092
; %bb.1091:
	v_lshlrev_b32_e32 v1, 2, v0
	s_movk_i32 s2, 0xfc
	v_mad_u32_u24 v3, v0, s2, v1
	ds_read_b32 v4, v3 offset:15608
	s_waitcnt lgkmcnt(0)
	ds_write_b32 v1, v4 offset:16112
	ds_read_b32 v3, v3 offset:15612
	s_waitcnt lgkmcnt(0)
	ds_write_b32 v1, v3 offset:16368
.LBB24_1092:
	s_or_b64 exec, exec, s[0:1]
	s_waitcnt lgkmcnt(0)
	s_barrier
	s_and_saveexec_b64 s[0:1], vcc
	s_cbranch_execz .LBB24_1094
; %bb.1093:
	v_mov_b32_e32 v1, 0
	ds_read_b64 v[3:4], v1 offset:16120
	ds_read_b32 v1, v1 offset:16380
	s_movk_i32 s2, 0x3c00
	s_waitcnt lgkmcnt(0)
	v_mul_f32_e32 v1, v3, v1
	v_mul_f32_e32 v1, v4, v1
	v_add_u32_e64 v3, s2, 0
	ds_write2_b32 v3, v1, v1 offset0:191 offset1:254
.LBB24_1094:
	s_or_b64 exec, exec, s[0:1]
.LBB24_1095:
	s_load_dwordx8 s[12:19], s[4:5], 0x30
	s_load_dwordx2 s[0:1], s[4:5], 0x50
	v_cmp_le_i32_e32 vcc, s86, v0
	v_mov_b32_e32 v11, 0
	v_add_u32_e32 v3, s33, v0
	s_waitcnt lgkmcnt(0)
	s_mul_i32 s3, s19, s28
	s_mul_hi_u32 s8, s18, s28
	s_mul_i32 s2, s18, s28
	s_add_i32 s3, s8, s3
	s_lshl_b64 s[2:3], s[2:3], 2
	s_add_u32 s8, s12, s2
	s_addc_u32 s9, s13, s3
	s_lshl_b64 s[2:3], s[14:15], 2
	s_add_u32 s26, s8, s2
	s_addc_u32 s27, s9, s3
	s_and_b64 s[14:15], vcc, s[22:23]
	v_cmp_eq_u32_e64 s[2:3], 0, v2
	s_xor_b64 s[8:9], s[14:15], -1
	s_and_b64 s[10:11], s[2:3], s[8:9]
	s_barrier
	s_and_saveexec_b64 s[8:9], s[10:11]
	s_cbranch_execz .LBB24_1097
; %bb.1096:
	v_ashrrev_i32_e32 v1, 31, v3
	v_mul_lo_u32 v6, s17, v3
	v_mad_u64_u32 v[4:5], s[10:11], s16, v3, 0
	v_mul_lo_u32 v1, s16, v1
	s_load_dword s4, s[4:5], 0x28
	v_add3_u32 v5, v5, v1, v6
	v_lshlrev_b64 v[4:5], 2, v[4:5]
	v_mov_b32_e32 v1, s27
	v_add_co_u32_e32 v4, vcc, s26, v4
	v_addc_co_u32_e32 v5, vcc, v1, v5, vcc
	global_load_dword v1, v[4:5], off
	s_waitcnt vmcnt(0) lgkmcnt(0)
	v_mul_f32_e64 v11, v1, -s4
.LBB24_1097:
	s_or_b64 exec, exec, s[8:9]
	s_and_b32 s4, 0xffff, s20
	v_mad_u32_u24 v1, v2, s4, v0
	s_cmp_lt_i32 s6, 1
	v_cmp_eq_u32_e64 s[4:5], 0, v1
	s_cbranch_scc1 .LBB24_1123
; %bb.1098:
	v_ashrrev_i32_e32 v6, 31, v3
	v_mul_lo_u32 v12, s25, v3
	v_mad_u64_u32 v[4:5], s[8:9], s24, v3, 0
	v_mul_lo_u32 v6, s24, v6
	s_lshl_b64 s[8:9], s[28:29], 2
	s_add_u32 s18, s0, s8
	s_addc_u32 s19, s1, s9
	v_add3_u32 v5, v5, v6, v12
	v_cmp_gt_i32_e64 s[8:9], s30, v3
	v_lshlrev_b64 v[3:4], 2, v[4:5]
	v_mov_b32_e32 v6, 0x5000
	v_mov_b32_e32 v5, s88
	v_add_co_u32_e32 v14, vcc, s87, v3
	s_mov_b32 s24, 0
	v_cmp_gt_u32_e64 s[12:13], 64, v1
	v_lshl_add_u32 v12, v1, 2, v6
	v_lshl_or_b32 v13, v2, 2, v6
	s_add_i32 s89, s89, 1
	v_addc_co_u32_e32 v15, vcc, v5, v4, vcc
	v_mov_b32_e32 v17, -1
	v_mov_b32_e32 v16, 0
	s_branch .LBB24_1101
.LBB24_1099:                            ;   in Loop: Header=BB24_1101 Depth=1
	ds_read_b32 v3, v13 offset:192
	s_waitcnt vmcnt(0) lgkmcnt(0)
	v_fmac_f32_e32 v11, v5, v3
.LBB24_1100:                            ;   in Loop: Header=BB24_1101 Depth=1
	s_or_b64 exec, exec, s[20:21]
	s_add_i32 s24, s24, 1
	s_cmp_eq_u32 s24, s6
	s_cbranch_scc1 .LBB24_1123
.LBB24_1101:                            ; =>This Loop Header: Depth=1
                                        ;     Child Loop BB24_1103 Depth 2
	v_cmp_gt_i32_e32 vcc, s24, v17
	s_and_b64 s[20:21], s[4:5], vcc
	s_and_saveexec_b64 s[10:11], s[20:21]
	s_cbranch_execz .LBB24_1104
; %bb.1102:                             ;   in Loop: Header=BB24_1101 Depth=1
	global_load_dword v17, v16, s[18:19]
	s_waitcnt vmcnt(0)
	v_cmp_le_i32_e32 vcc, s24, v17
	s_cbranch_vccnz .LBB24_1104
.LBB24_1103:                            ;   Parent Loop BB24_1101 Depth=1
                                        ; =>  This Inner Loop Header: Depth=2
	buffer_wbinvl1_vol
	global_load_dword v17, v16, s[18:19]
	s_waitcnt vmcnt(0)
	v_cmp_gt_i32_e32 vcc, s24, v17
	s_cbranch_vccnz .LBB24_1103
.LBB24_1104:                            ;   in Loop: Header=BB24_1101 Depth=1
	s_or_b64 exec, exec, s[10:11]
	s_sub_i32 s25, s7, s24
	s_lshl_b32 s34, s25, 6
	buffer_wbinvl1_vol
	s_barrier
	s_and_saveexec_b64 s[10:11], s[12:13]
	s_cbranch_execz .LBB24_1108
; %bb.1105:                             ;   in Loop: Header=BB24_1101 Depth=1
	s_ashr_i32 s20, s34, 31
	v_mov_b32_e32 v4, s20
	v_or_b32_e32 v3, s34, v1
	v_cmp_gt_i64_e32 vcc, s[30:31], v[3:4]
	v_mov_b32_e32 v5, 0
	s_and_saveexec_b64 s[20:21], vcc
	s_cbranch_execz .LBB24_1107
; %bb.1106:                             ;   in Loop: Header=BB24_1101 Depth=1
	v_mul_lo_u32 v5, v4, s16
	v_mul_lo_u32 v6, v3, s17
	v_mad_u64_u32 v[3:4], s[36:37], v3, s16, 0
	v_add3_u32 v4, v4, v6, v5
	v_lshlrev_b64 v[3:4], 2, v[3:4]
	v_mov_b32_e32 v5, s27
	v_add_co_u32_e32 v3, vcc, s26, v3
	v_addc_co_u32_e32 v4, vcc, v5, v4, vcc
	global_load_dword v5, v[3:4], off
.LBB24_1107:                            ;   in Loop: Header=BB24_1101 Depth=1
	s_or_b64 exec, exec, s[20:21]
	s_waitcnt vmcnt(0)
	ds_write_b32 v12, v5
.LBB24_1108:                            ;   in Loop: Header=BB24_1101 Depth=1
	s_or_b64 exec, exec, s[10:11]
	v_add_u32_e32 v5, s34, v2
	v_ashrrev_i32_e32 v6, 31, v5
	v_lshlrev_b64 v[3:4], 2, v[5:6]
	s_cmp_lg_u32 s25, s89
	v_add_co_u32_e32 v3, vcc, v14, v3
	s_cselect_b64 s[10:11], -1, 0
	v_addc_co_u32_e32 v4, vcc, v15, v4, vcc
	v_cmp_gt_i32_e32 vcc, s30, v5
	v_cndmask_b32_e64 v6, 0, 1, s[10:11]
	s_and_b64 s[34:35], vcc, s[8:9]
	v_cmp_ne_u32_e64 s[10:11], 1, v6
	s_waitcnt lgkmcnt(0)
	s_barrier
	s_and_saveexec_b64 s[20:21], s[34:35]
	s_cbranch_execz .LBB24_1112
; %bb.1109:                             ;   in Loop: Header=BB24_1101 Depth=1
	s_and_b64 vcc, exec, s[10:11]
	v_mov_b32_e32 v6, v8
	s_cbranch_vccnz .LBB24_1111
; %bb.1110:                             ;   in Loop: Header=BB24_1101 Depth=1
	global_load_dword v6, v[3:4], off
.LBB24_1111:                            ;   in Loop: Header=BB24_1101 Depth=1
	ds_read_b32 v18, v13
	s_waitcnt vmcnt(0) lgkmcnt(0)
	v_fmac_f32_e32 v11, v6, v18
.LBB24_1112:                            ;   in Loop: Header=BB24_1101 Depth=1
	s_or_b64 exec, exec, s[20:21]
	v_add_u32_e32 v6, 16, v5
	v_cmp_gt_i32_e32 vcc, s30, v6
	s_and_b64 s[34:35], vcc, s[8:9]
	s_and_saveexec_b64 s[20:21], s[34:35]
	s_cbranch_execz .LBB24_1116
; %bb.1113:                             ;   in Loop: Header=BB24_1101 Depth=1
	s_and_b64 vcc, exec, s[10:11]
	v_mov_b32_e32 v6, v7
	s_cbranch_vccnz .LBB24_1115
; %bb.1114:                             ;   in Loop: Header=BB24_1101 Depth=1
	global_load_dword v6, v[3:4], off offset:64
.LBB24_1115:                            ;   in Loop: Header=BB24_1101 Depth=1
	ds_read_b32 v18, v13 offset:64
	s_waitcnt vmcnt(0) lgkmcnt(0)
	v_fmac_f32_e32 v11, v6, v18
.LBB24_1116:                            ;   in Loop: Header=BB24_1101 Depth=1
	s_or_b64 exec, exec, s[20:21]
	v_add_u32_e32 v6, 32, v5
	v_cmp_gt_i32_e32 vcc, s30, v6
	s_and_b64 s[34:35], vcc, s[8:9]
	s_and_saveexec_b64 s[20:21], s[34:35]
	s_cbranch_execz .LBB24_1120
; %bb.1117:                             ;   in Loop: Header=BB24_1101 Depth=1
	s_and_b64 vcc, exec, s[10:11]
	v_mov_b32_e32 v6, v10
	s_cbranch_vccnz .LBB24_1119
; %bb.1118:                             ;   in Loop: Header=BB24_1101 Depth=1
	global_load_dword v6, v[3:4], off offset:128
.LBB24_1119:                            ;   in Loop: Header=BB24_1101 Depth=1
	ds_read_b32 v18, v13 offset:128
	s_waitcnt vmcnt(0) lgkmcnt(0)
	v_fmac_f32_e32 v11, v6, v18
.LBB24_1120:                            ;   in Loop: Header=BB24_1101 Depth=1
	s_or_b64 exec, exec, s[20:21]
	v_add_u32_e32 v5, 48, v5
	v_cmp_gt_i32_e32 vcc, s30, v5
	s_and_b64 s[34:35], vcc, s[8:9]
	s_and_saveexec_b64 s[20:21], s[34:35]
	s_cbranch_execz .LBB24_1100
; %bb.1121:                             ;   in Loop: Header=BB24_1101 Depth=1
	s_and_b64 vcc, exec, s[10:11]
	v_mov_b32_e32 v5, v9
	s_cbranch_vccnz .LBB24_1099
; %bb.1122:                             ;   in Loop: Header=BB24_1101 Depth=1
	global_load_dword v5, v[3:4], off offset:192
	s_branch .LBB24_1099
.LBB24_1123:
	v_lshl_add_u32 v3, v2, 6, v0
	s_xor_b64 s[4:5], s[22:23], -1
	v_lshlrev_b32_e32 v3, 2, v3
	ds_write_b32 v3, v11 offset:16384
	s_waitcnt lgkmcnt(0)
	s_barrier
	s_and_saveexec_b64 s[6:7], s[2:3]
	s_cbranch_execz .LBB24_1125
; %bb.1124:
	v_lshlrev_b32_e32 v10, 2, v0
	ds_read2st64_b32 v[4:5], v10 offset0:65 offset1:66
	ds_read2st64_b32 v[6:7], v10 offset0:67 offset1:68
	;; [unrolled: 1-line block ×5, first 2 shown]
	s_waitcnt lgkmcnt(4)
	v_add_f32_e32 v4, v11, v4
	v_add_f32_e32 v4, v4, v5
	s_waitcnt lgkmcnt(3)
	v_add_f32_e32 v4, v4, v6
	v_add_f32_e32 v4, v4, v7
	;; [unrolled: 3-line block ×4, first 2 shown]
	ds_read2st64_b32 v[4:5], v10 offset0:75 offset1:76
	ds_read2st64_b32 v[6:7], v10 offset0:77 offset1:78
	ds_read_b32 v9, v10 offset:20224
	s_waitcnt lgkmcnt(3)
	v_add_f32_e32 v8, v8, v14
	v_add_f32_e32 v8, v8, v15
	s_waitcnt lgkmcnt(2)
	v_add_f32_e32 v4, v8, v4
	v_add_f32_e32 v4, v4, v5
	;; [unrolled: 3-line block ×3, first 2 shown]
	s_waitcnt lgkmcnt(0)
	v_add_f32_e32 v4, v4, v9
	v_cndmask_b32_e64 v11, -v4, 0, s[14:15]
.LBB24_1125:
	s_or_b64 exec, exec, s[6:7]
	s_and_b64 vcc, exec, s[52:53]
	s_cbranch_vccnz .LBB24_1138
; %bb.1126:
	v_mov_b32_e32 v4, 0x5000
	v_lshl_or_b32 v5, v2, 2, v4
	s_and_saveexec_b64 s[6:7], s[2:3]
; %bb.1127:
	v_lshl_add_u32 v4, v0, 2, v5
	ds_write_b32 v4, v11
; %bb.1128:
	s_or_b64 exec, exec, s[6:7]
	v_cmp_le_u32_e32 vcc, v0, v2
	v_mov_b32_e32 v4, 0
	s_waitcnt lgkmcnt(0)
	s_barrier
	s_and_saveexec_b64 s[6:7], vcc
	s_cbranch_execz .LBB24_1130
; %bb.1129:
	ds_read_b32 v4, v3
	ds_read_b32 v6, v5
	s_waitcnt lgkmcnt(0)
	v_fma_f32 v4, v4, v6, 0
.LBB24_1130:
	s_or_b64 exec, exec, s[6:7]
	v_add_u32_e32 v6, 16, v2
	v_cmp_le_u32_e32 vcc, v0, v6
	s_and_saveexec_b64 s[6:7], vcc
	s_cbranch_execz .LBB24_1132
; %bb.1131:
	ds_read_b32 v6, v3 offset:4096
	ds_read_b32 v7, v5 offset:64
	s_waitcnt lgkmcnt(0)
	v_fmac_f32_e32 v4, v6, v7
.LBB24_1132:
	s_or_b64 exec, exec, s[6:7]
	v_add_u32_e32 v6, 32, v2
	v_cmp_le_u32_e32 vcc, v0, v6
	s_and_saveexec_b64 s[6:7], vcc
	s_cbranch_execz .LBB24_1134
; %bb.1133:
	ds_read_b32 v6, v3 offset:8192
	ds_read_b32 v7, v5 offset:128
	s_waitcnt lgkmcnt(0)
	v_fmac_f32_e32 v4, v6, v7
.LBB24_1134:
	s_or_b64 exec, exec, s[6:7]
	v_add_u32_e32 v2, 48, v2
	v_add_u32_e32 v6, 0x4000, v3
	v_cmp_le_u32_e32 vcc, v0, v2
	s_and_saveexec_b64 s[6:7], vcc
	s_cbranch_execz .LBB24_1136
; %bb.1135:
	ds_read_b32 v2, v3 offset:12288
	ds_read_b32 v3, v5 offset:192
	s_waitcnt lgkmcnt(0)
	v_fmac_f32_e32 v4, v2, v3
.LBB24_1136:
	s_or_b64 exec, exec, s[6:7]
	s_mov_b64 s[8:9], 0
	s_mov_b64 s[6:7], 0
	ds_write_b32 v6, v4
	s_waitcnt lgkmcnt(0)
	s_barrier
                                        ; implicit-def: $vgpr2
	s_and_saveexec_b64 s[10:11], s[2:3]
	s_cbranch_execz .LBB24_1201
; %bb.1137:
	v_lshlrev_b32_e32 v12, 2, v0
	ds_read2st64_b32 v[2:3], v12 offset0:65 offset1:66
	ds_read2st64_b32 v[5:6], v12 offset0:67 offset1:68
	;; [unrolled: 1-line block ×4, first 2 shown]
	s_mov_b64 s[6:7], exec
	s_waitcnt lgkmcnt(3)
	v_add_f32_e32 v2, v4, v2
	v_add_f32_e32 v2, v3, v2
	s_waitcnt lgkmcnt(2)
	v_add_f32_e32 v2, v5, v2
	v_add_f32_e32 v2, v6, v2
	;; [unrolled: 3-line block ×3, first 2 shown]
	s_waitcnt lgkmcnt(0)
	v_add_f32_e32 v4, v9, v2
	ds_read2st64_b32 v[2:3], v12 offset0:73 offset1:74
	v_add_f32_e32 v8, v10, v4
	ds_read2st64_b32 v[4:5], v12 offset0:75 offset1:76
	ds_read2st64_b32 v[6:7], v12 offset0:77 offset1:78
	ds_read_b32 v9, v12 offset:20224
	s_waitcnt lgkmcnt(3)
	v_add_f32_e32 v2, v2, v8
	v_add_f32_e32 v2, v3, v2
	s_waitcnt lgkmcnt(2)
	v_add_f32_e32 v2, v4, v2
	v_add_f32_e32 v2, v5, v2
	;; [unrolled: 3-line block ×3, first 2 shown]
	s_waitcnt lgkmcnt(0)
	v_add_f32_e32 v2, v9, v2
	s_or_b64 exec, exec, s[10:11]
	s_and_b64 vcc, exec, s[8:9]
	s_cbranch_vccnz .LBB24_1139
	s_branch .LBB24_1202
.LBB24_1138:
	s_mov_b64 s[6:7], 0
                                        ; implicit-def: $vgpr2
	s_cbranch_execz .LBB24_1202
.LBB24_1139:
	s_movk_i32 s8, 0x104
	v_lshlrev_b32_e32 v3, 8, v0
	v_mov_b32_e32 v4, 0x3c00
	v_mul_u32_u24_e32 v2, 0x104, v0
	v_sub_u32_e32 v3, 0, v3
	v_mad_u32_u24 v4, v0, s8, v4
	s_mov_b32 s10, 63
	s_movk_i32 s11, 0xc100
	v_mov_b32_e32 v5, 0
	s_branch .LBB24_1141
.LBB24_1140:                            ;   in Loop: Header=BB24_1141 Depth=1
	s_or_b64 exec, exec, s[8:9]
	s_add_i32 s10, s10, -4
	s_cmp_lg_u32 s12, 0
	v_add_u32_e32 v3, 0xfffffc00, v3
	s_barrier
	s_cbranch_scc0 .LBB24_1157
.LBB24_1141:                            ; =>This Inner Loop Header: Depth=1
	v_cmp_eq_u32_e32 vcc, s11, v3
	s_and_b64 s[12:13], s[2:3], vcc
	s_and_saveexec_b64 s[8:9], s[12:13]
	s_cbranch_execz .LBB24_1143
; %bb.1142:                             ;   in Loop: Header=BB24_1141 Depth=1
	ds_read_b32 v6, v2
	s_waitcnt lgkmcnt(0)
	v_mul_f32_e32 v11, v11, v6
	ds_write_b32 v5, v11 offset:20736
.LBB24_1143:                            ;   in Loop: Header=BB24_1141 Depth=1
	s_or_b64 exec, exec, s[8:9]
	v_cmp_gt_u32_e32 vcc, s10, v0
	s_and_b64 s[12:13], s[2:3], vcc
	v_add_u32_e32 v6, v4, v3
	s_waitcnt lgkmcnt(0)
	s_barrier
	s_and_saveexec_b64 s[8:9], s[12:13]
	s_cbranch_execz .LBB24_1145
; %bb.1144:                             ;   in Loop: Header=BB24_1141 Depth=1
	ds_read_b32 v7, v6 offset:768
	ds_read_b32 v8, v5 offset:20736
	s_waitcnt lgkmcnt(0)
	v_fmac_f32_e32 v11, v7, v8
.LBB24_1145:                            ;   in Loop: Header=BB24_1141 Depth=1
	s_or_b64 exec, exec, s[8:9]
	s_add_i32 s12, s10, -1
	v_cmp_eq_u32_e32 vcc, s12, v0
	s_and_b64 s[14:15], s[2:3], vcc
	s_barrier
	s_and_saveexec_b64 s[8:9], s[14:15]
	s_cbranch_execz .LBB24_1147
; %bb.1146:                             ;   in Loop: Header=BB24_1141 Depth=1
	ds_read_b32 v7, v2
	s_waitcnt lgkmcnt(0)
	v_mul_f32_e32 v11, v11, v7
	ds_write_b32 v5, v11 offset:20736
.LBB24_1147:                            ;   in Loop: Header=BB24_1141 Depth=1
	s_or_b64 exec, exec, s[8:9]
	v_cmp_gt_u32_e32 vcc, s12, v0
	s_and_b64 s[12:13], s[2:3], vcc
	s_waitcnt lgkmcnt(0)
	s_barrier
	s_and_saveexec_b64 s[8:9], s[12:13]
	s_cbranch_execz .LBB24_1149
; %bb.1148:                             ;   in Loop: Header=BB24_1141 Depth=1
	ds_read_b32 v7, v6 offset:512
	ds_read_b32 v8, v5 offset:20736
	s_waitcnt lgkmcnt(0)
	v_fmac_f32_e32 v11, v7, v8
.LBB24_1149:                            ;   in Loop: Header=BB24_1141 Depth=1
	s_or_b64 exec, exec, s[8:9]
	s_add_i32 s12, s10, -2
	v_cmp_eq_u32_e32 vcc, s12, v0
	s_and_b64 s[14:15], s[2:3], vcc
	s_barrier
	s_and_saveexec_b64 s[8:9], s[14:15]
	s_cbranch_execz .LBB24_1151
; %bb.1150:                             ;   in Loop: Header=BB24_1141 Depth=1
	ds_read_b32 v7, v2
	s_waitcnt lgkmcnt(0)
	v_mul_f32_e32 v11, v11, v7
	ds_write_b32 v5, v11 offset:20736
.LBB24_1151:                            ;   in Loop: Header=BB24_1141 Depth=1
	s_or_b64 exec, exec, s[8:9]
	v_cmp_gt_u32_e32 vcc, s12, v0
	s_and_b64 s[12:13], s[2:3], vcc
	s_waitcnt lgkmcnt(0)
	s_barrier
	s_and_saveexec_b64 s[8:9], s[12:13]
	s_cbranch_execz .LBB24_1153
; %bb.1152:                             ;   in Loop: Header=BB24_1141 Depth=1
	ds_read_b32 v7, v6 offset:256
	ds_read_b32 v8, v5 offset:20736
	s_waitcnt lgkmcnt(0)
	v_fmac_f32_e32 v11, v7, v8
.LBB24_1153:                            ;   in Loop: Header=BB24_1141 Depth=1
	s_or_b64 exec, exec, s[8:9]
	s_add_i32 s12, s10, -3
	v_cmp_eq_u32_e32 vcc, s12, v0
	s_and_b64 s[14:15], s[2:3], vcc
	s_barrier
	s_and_saveexec_b64 s[8:9], s[14:15]
	s_cbranch_execz .LBB24_1155
; %bb.1154:                             ;   in Loop: Header=BB24_1141 Depth=1
	ds_read_b32 v7, v2
	s_waitcnt lgkmcnt(0)
	v_mul_f32_e32 v11, v11, v7
	ds_write_b32 v5, v11 offset:20736
.LBB24_1155:                            ;   in Loop: Header=BB24_1141 Depth=1
	s_or_b64 exec, exec, s[8:9]
	v_cmp_gt_u32_e32 vcc, s12, v0
	s_and_b64 s[14:15], s[2:3], vcc
	s_waitcnt lgkmcnt(0)
	s_barrier
	s_and_saveexec_b64 s[8:9], s[14:15]
	s_cbranch_execz .LBB24_1140
; %bb.1156:                             ;   in Loop: Header=BB24_1141 Depth=1
	ds_read_b32 v6, v6
	ds_read_b32 v7, v5 offset:20736
	s_waitcnt lgkmcnt(0)
	v_fmac_f32_e32 v11, v6, v7
	s_branch .LBB24_1140
.LBB24_1157:
	s_mov_b64 s[8:9], -1
	s_and_b64 vcc, exec, s[4:5]
	s_cbranch_vccnz .LBB24_1203
; %bb.1158:
	s_andn2_b64 vcc, exec, s[8:9]
	s_cbranch_vccz .LBB24_1204
.LBB24_1159:
	s_and_saveexec_b64 s[2:3], s[6:7]
	s_cbranch_execz .LBB24_1161
.LBB24_1160:
	v_mov_b32_e32 v0, s40
	v_add_co_u32_e32 v2, vcc, s33, v1
	v_addc_co_u32_e32 v0, vcc, 0, v0, vcc
	v_mul_lo_u32 v0, v0, s16
	v_mul_lo_u32 v4, v2, s17
	v_mad_u64_u32 v[2:3], s[4:5], v2, s16, 0
	v_add3_u32 v3, v3, v4, v0
	v_lshlrev_b64 v[2:3], 2, v[2:3]
	v_mov_b32_e32 v0, s27
	v_add_co_u32_e32 v2, vcc, s26, v2
	v_addc_co_u32_e32 v3, vcc, v0, v3, vcc
	global_store_dword v[2:3], v11, off
.LBB24_1161:
	s_or_b64 exec, exec, s[2:3]
	v_cmp_eq_u32_e32 vcc, 0, v1
	s_waitcnt vmcnt(0)
	buffer_wbinvl1_vol
	s_barrier
	s_and_saveexec_b64 s[2:3], vcc
	s_cbranch_execz .LBB24_1163
; %bb.1162:
	s_lshl_b64 s[4:5], s[28:29], 2
	s_add_u32 s0, s0, s4
	s_addc_u32 s1, s1, s5
	v_mov_b32_e32 v0, 0
	global_load_dword v1, v0, s[0:1]
	s_waitcnt vmcnt(0)
	v_add_u32_e32 v1, 1, v1
	global_store_dword v0, v1, s[0:1]
.LBB24_1163:
	s_or_b64 exec, exec, s[2:3]
	s_waitcnt vmcnt(0)
	buffer_wbinvl1_vol
	s_endpgm
.LBB24_1164:
                                        ; implicit-def: $vgpr9
                                        ; implicit-def: $vgpr10
                                        ; implicit-def: $vgpr7
                                        ; implicit-def: $vgpr8
                                        ; implicit-def: $sgpr33
	s_cbranch_execnz .LBB24_10
	s_branch .LBB24_11
.LBB24_1165:
	v_cmp_ne_u32_e32 vcc, v0, v2
	s_and_saveexec_b64 s[12:13], vcc
	s_xor_b64 s[12:13], exec, s[12:13]
; %bb.1166:
	v_or_b32_e32 v1, v2, v0
	v_cmp_gt_u32_e32 vcc, 64, v1
	s_and_b64 s[10:11], vcc, exec
                                        ; implicit-def: $vgpr5_vgpr6
; %bb.1167:
	s_or_saveexec_b64 s[12:13], s[12:13]
	v_mov_b32_e32 v1, 0
	s_xor_b64 exec, exec, s[12:13]
	s_cbranch_execz .LBB24_1169
; %bb.1168:
	v_lshlrev_b64 v[5:6], 2, v[5:6]
	v_mov_b32_e32 v1, s88
	v_add_co_u32_e32 v5, vcc, s87, v5
	v_addc_co_u32_e32 v6, vcc, v1, v6, vcc
	global_load_dword v1, v[5:6], off
	s_or_b64 s[10:11], s[10:11], exec
	s_waitcnt vmcnt(0)
	v_div_scale_f32 v5, s[14:15], v1, v1, 1.0
	v_div_scale_f32 v6, vcc, 1.0, v1, 1.0
	v_rcp_f32_e32 v12, v5
	v_fma_f32 v13, -v5, v12, 1.0
	v_fmac_f32_e32 v12, v13, v12
	v_mul_f32_e32 v13, v6, v12
	v_fma_f32 v14, -v5, v13, v6
	v_fmac_f32_e32 v13, v14, v12
	v_fma_f32 v5, -v5, v13, v6
	v_div_fmas_f32 v5, v5, v12, v13
	v_div_fixup_f32 v1, v5, v1, 1.0
.LBB24_1169:
	s_or_b64 exec, exec, s[12:13]
	s_and_b64 s[10:11], s[10:11], exec
                                        ; implicit-def: $vgpr5_vgpr6
	s_andn2_saveexec_b64 s[8:9], s[8:9]
	s_cbranch_execz .LBB24_14
.LBB24_1170:
	v_lshlrev_b64 v[5:6], 2, v[5:6]
	v_mov_b32_e32 v1, s88
	v_add_co_u32_e32 v5, vcc, s87, v5
	v_addc_co_u32_e32 v6, vcc, v1, v6, vcc
	global_load_dword v1, v[5:6], off
	s_or_b64 s[10:11], s[10:11], exec
	s_waitcnt vmcnt(0)
	v_xor_b32_e32 v1, 0x80000000, v1
	s_or_b64 exec, exec, s[8:9]
	s_and_saveexec_b64 s[8:9], s[10:11]
	s_cbranch_execnz .LBB24_15
	s_branch .LBB24_16
.LBB24_1171:
	v_cmp_ne_u32_e32 vcc, v0, v1
	s_and_saveexec_b64 s[10:11], vcc
	s_xor_b64 s[10:11], exec, s[10:11]
; %bb.1172:
	v_or_b32_e32 v5, v1, v0
	v_cmp_gt_u32_e32 vcc, 64, v5
	s_and_b64 s[8:9], vcc, exec
                                        ; implicit-def: $vgpr5_vgpr6
; %bb.1173:
	s_or_saveexec_b64 s[10:11], s[10:11]
	v_mov_b32_e32 v12, 0
	s_xor_b64 exec, exec, s[10:11]
	s_cbranch_execz .LBB24_1175
; %bb.1174:
	v_lshlrev_b64 v[5:6], 2, v[5:6]
	v_mov_b32_e32 v12, s88
	v_add_co_u32_e32 v5, vcc, s87, v5
	v_addc_co_u32_e32 v6, vcc, v12, v6, vcc
	global_load_dword v5, v[5:6], off
	s_or_b64 s[8:9], s[8:9], exec
	s_waitcnt vmcnt(0)
	v_div_scale_f32 v6, s[12:13], v5, v5, 1.0
	v_div_scale_f32 v12, vcc, 1.0, v5, 1.0
	v_rcp_f32_e32 v13, v6
	v_fma_f32 v14, -v6, v13, 1.0
	v_fmac_f32_e32 v13, v14, v13
	v_mul_f32_e32 v14, v12, v13
	v_fma_f32 v15, -v6, v14, v12
	v_fmac_f32_e32 v14, v15, v13
	v_fma_f32 v6, -v6, v14, v12
	v_div_fmas_f32 v6, v6, v13, v14
	v_div_fixup_f32 v12, v6, v5, 1.0
.LBB24_1175:
	s_or_b64 exec, exec, s[10:11]
	s_and_b64 s[8:9], s[8:9], exec
                                        ; implicit-def: $vgpr5_vgpr6
	s_andn2_saveexec_b64 s[2:3], s[2:3]
	s_cbranch_execz .LBB24_18
.LBB24_1176:
	v_lshlrev_b64 v[5:6], 2, v[5:6]
	v_mov_b32_e32 v12, s88
	v_add_co_u32_e32 v5, vcc, s87, v5
	v_addc_co_u32_e32 v6, vcc, v12, v6, vcc
	global_load_dword v5, v[5:6], off
	s_or_b64 s[8:9], s[8:9], exec
	s_waitcnt vmcnt(0)
	v_xor_b32_e32 v12, 0x80000000, v5
	s_or_b64 exec, exec, s[2:3]
	s_and_saveexec_b64 s[2:3], s[8:9]
	s_cbranch_execnz .LBB24_19
	s_branch .LBB24_20
.LBB24_1177:
	v_cmp_ne_u32_e32 vcc, v0, v1
	s_and_saveexec_b64 s[10:11], vcc
	s_xor_b64 s[10:11], exec, s[10:11]
; %bb.1178:
	v_or_b32_e32 v5, v1, v0
	v_cmp_gt_u32_e32 vcc, 64, v5
	s_and_b64 s[8:9], vcc, exec
                                        ; implicit-def: $vgpr5_vgpr6
; %bb.1179:
	s_or_saveexec_b64 s[10:11], s[10:11]
	v_mov_b32_e32 v12, 0
	s_xor_b64 exec, exec, s[10:11]
	s_cbranch_execz .LBB24_1181
; %bb.1180:
	v_lshlrev_b64 v[5:6], 2, v[5:6]
	v_mov_b32_e32 v12, s88
	v_add_co_u32_e32 v5, vcc, s87, v5
	v_addc_co_u32_e32 v6, vcc, v12, v6, vcc
	global_load_dword v5, v[5:6], off
	s_or_b64 s[8:9], s[8:9], exec
	s_waitcnt vmcnt(0)
	v_div_scale_f32 v6, s[12:13], v5, v5, 1.0
	v_div_scale_f32 v12, vcc, 1.0, v5, 1.0
	v_rcp_f32_e32 v13, v6
	v_fma_f32 v14, -v6, v13, 1.0
	v_fmac_f32_e32 v13, v14, v13
	v_mul_f32_e32 v14, v12, v13
	v_fma_f32 v15, -v6, v14, v12
	v_fmac_f32_e32 v14, v15, v13
	v_fma_f32 v6, -v6, v14, v12
	v_div_fmas_f32 v6, v6, v13, v14
	v_div_fixup_f32 v12, v6, v5, 1.0
.LBB24_1181:
	s_or_b64 exec, exec, s[10:11]
	s_and_b64 s[8:9], s[8:9], exec
                                        ; implicit-def: $vgpr5_vgpr6
	s_andn2_saveexec_b64 s[2:3], s[2:3]
	s_cbranch_execz .LBB24_22
.LBB24_1182:
	v_lshlrev_b64 v[5:6], 2, v[5:6]
	v_mov_b32_e32 v12, s88
	v_add_co_u32_e32 v5, vcc, s87, v5
	v_addc_co_u32_e32 v6, vcc, v12, v6, vcc
	global_load_dword v5, v[5:6], off
	s_or_b64 s[8:9], s[8:9], exec
	s_waitcnt vmcnt(0)
	v_xor_b32_e32 v12, 0x80000000, v5
	s_or_b64 exec, exec, s[2:3]
	s_and_saveexec_b64 s[2:3], s[8:9]
	s_cbranch_execnz .LBB24_23
	s_branch .LBB24_24
.LBB24_1183:
	v_cmp_ne_u32_e32 vcc, v0, v2
	s_xor_b64 s[12:13], s[2:3], -1
	s_or_b64 s[14:15], s[12:13], vcc
	s_mov_b64 s[12:13], 0
	s_and_saveexec_b64 s[16:17], s[14:15]
	s_xor_b64 s[14:15], exec, s[16:17]
; %bb.1184:
	v_or_b32_e32 v1, v2, v0
	v_cmp_gt_u32_e32 vcc, 64, v1
	s_and_b64 s[12:13], vcc, exec
                                        ; implicit-def: $vgpr5_vgpr6
; %bb.1185:
	s_or_saveexec_b64 s[14:15], s[14:15]
	v_mov_b32_e32 v1, 0
	s_xor_b64 exec, exec, s[14:15]
	s_cbranch_execz .LBB24_1187
; %bb.1186:
	v_lshlrev_b64 v[5:6], 2, v[5:6]
	v_mov_b32_e32 v1, s88
	v_add_co_u32_e32 v5, vcc, s87, v5
	v_addc_co_u32_e32 v6, vcc, v1, v6, vcc
	global_load_dword v1, v[5:6], off
	s_or_b64 s[12:13], s[12:13], exec
	s_waitcnt vmcnt(0)
	v_div_scale_f32 v5, s[16:17], v1, v1, 1.0
	v_div_scale_f32 v6, vcc, 1.0, v1, 1.0
	v_rcp_f32_e32 v12, v5
	v_fma_f32 v13, -v5, v12, 1.0
	v_fmac_f32_e32 v12, v13, v12
	v_mul_f32_e32 v13, v6, v12
	v_fma_f32 v14, -v5, v13, v6
	v_fmac_f32_e32 v13, v14, v12
	v_fma_f32 v5, -v5, v13, v6
	v_div_fmas_f32 v5, v5, v12, v13
	v_div_fixup_f32 v1, v5, v1, 1.0
.LBB24_1187:
	s_or_b64 exec, exec, s[14:15]
	s_and_b64 s[12:13], s[12:13], exec
                                        ; implicit-def: $vgpr5_vgpr6
	s_andn2_saveexec_b64 s[8:9], s[8:9]
	s_cbranch_execz .LBB24_36
.LBB24_1188:
	v_lshlrev_b64 v[5:6], 2, v[5:6]
	v_mov_b32_e32 v1, s88
	v_add_co_u32_e32 v5, vcc, s87, v5
	v_addc_co_u32_e32 v6, vcc, v1, v6, vcc
	global_load_dword v1, v[5:6], off
	s_or_b64 s[12:13], s[12:13], exec
	s_waitcnt vmcnt(0)
	v_xor_b32_e32 v1, 0x80000000, v1
	s_or_b64 exec, exec, s[8:9]
	s_and_saveexec_b64 s[8:9], s[12:13]
	s_cbranch_execnz .LBB24_37
	s_branch .LBB24_38
.LBB24_1189:
	v_cmp_ne_u32_e32 vcc, v0, v1
	s_xor_b64 s[12:13], s[2:3], -1
	s_or_b64 s[14:15], s[12:13], vcc
	s_mov_b64 s[12:13], 0
	s_and_saveexec_b64 s[16:17], s[14:15]
	s_xor_b64 s[14:15], exec, s[16:17]
; %bb.1190:
	v_or_b32_e32 v5, v1, v0
	v_cmp_gt_u32_e32 vcc, 64, v5
	s_and_b64 s[12:13], vcc, exec
                                        ; implicit-def: $vgpr5_vgpr6
; %bb.1191:
	s_or_saveexec_b64 s[14:15], s[14:15]
	v_mov_b32_e32 v12, 0
	s_xor_b64 exec, exec, s[14:15]
	s_cbranch_execz .LBB24_1193
; %bb.1192:
	v_lshlrev_b64 v[5:6], 2, v[5:6]
	v_mov_b32_e32 v12, s88
	v_add_co_u32_e32 v5, vcc, s87, v5
	v_addc_co_u32_e32 v6, vcc, v12, v6, vcc
	global_load_dword v5, v[5:6], off
	s_or_b64 s[12:13], s[12:13], exec
	s_waitcnt vmcnt(0)
	v_div_scale_f32 v6, s[16:17], v5, v5, 1.0
	v_div_scale_f32 v12, vcc, 1.0, v5, 1.0
	v_rcp_f32_e32 v13, v6
	v_fma_f32 v14, -v6, v13, 1.0
	v_fmac_f32_e32 v13, v14, v13
	v_mul_f32_e32 v14, v12, v13
	v_fma_f32 v15, -v6, v14, v12
	v_fmac_f32_e32 v14, v15, v13
	v_fma_f32 v6, -v6, v14, v12
	v_div_fmas_f32 v6, v6, v13, v14
	v_div_fixup_f32 v12, v6, v5, 1.0
.LBB24_1193:
	s_or_b64 exec, exec, s[14:15]
	s_and_b64 s[12:13], s[12:13], exec
                                        ; implicit-def: $vgpr5_vgpr6
	s_andn2_saveexec_b64 s[8:9], s[8:9]
	s_cbranch_execz .LBB24_40
.LBB24_1194:
	v_lshlrev_b64 v[5:6], 2, v[5:6]
	v_mov_b32_e32 v12, s88
	v_add_co_u32_e32 v5, vcc, s87, v5
	v_addc_co_u32_e32 v6, vcc, v12, v6, vcc
	global_load_dword v5, v[5:6], off
	s_or_b64 s[12:13], s[12:13], exec
	s_waitcnt vmcnt(0)
	v_xor_b32_e32 v12, 0x80000000, v5
	s_or_b64 exec, exec, s[8:9]
	s_and_saveexec_b64 s[8:9], s[12:13]
	s_cbranch_execnz .LBB24_41
	s_branch .LBB24_42
.LBB24_1195:
	v_cmp_ne_u32_e32 vcc, v0, v1
	s_xor_b64 s[12:13], s[2:3], -1
	s_or_b64 s[14:15], s[12:13], vcc
	s_mov_b64 s[12:13], 0
	s_and_saveexec_b64 s[16:17], s[14:15]
	s_xor_b64 s[14:15], exec, s[16:17]
; %bb.1196:
	v_or_b32_e32 v5, v1, v0
	v_cmp_gt_u32_e32 vcc, 64, v5
	s_and_b64 s[12:13], vcc, exec
                                        ; implicit-def: $vgpr5_vgpr6
; %bb.1197:
	s_or_saveexec_b64 s[14:15], s[14:15]
	v_mov_b32_e32 v12, 0
	s_xor_b64 exec, exec, s[14:15]
	s_cbranch_execz .LBB24_1199
; %bb.1198:
	v_lshlrev_b64 v[5:6], 2, v[5:6]
	v_mov_b32_e32 v12, s88
	v_add_co_u32_e32 v5, vcc, s87, v5
	v_addc_co_u32_e32 v6, vcc, v12, v6, vcc
	global_load_dword v5, v[5:6], off
	s_or_b64 s[12:13], s[12:13], exec
	s_waitcnt vmcnt(0)
	v_div_scale_f32 v6, s[16:17], v5, v5, 1.0
	v_div_scale_f32 v12, vcc, 1.0, v5, 1.0
	v_rcp_f32_e32 v13, v6
	v_fma_f32 v14, -v6, v13, 1.0
	v_fmac_f32_e32 v13, v14, v13
	v_mul_f32_e32 v14, v12, v13
	v_fma_f32 v15, -v6, v14, v12
	v_fmac_f32_e32 v14, v15, v13
	v_fma_f32 v6, -v6, v14, v12
	v_div_fmas_f32 v6, v6, v13, v14
	v_div_fixup_f32 v12, v6, v5, 1.0
.LBB24_1199:
	s_or_b64 exec, exec, s[14:15]
	s_and_b64 s[12:13], s[12:13], exec
                                        ; implicit-def: $vgpr5_vgpr6
	s_andn2_saveexec_b64 s[8:9], s[8:9]
	s_cbranch_execz .LBB24_44
.LBB24_1200:
	v_lshlrev_b64 v[5:6], 2, v[5:6]
	v_mov_b32_e32 v12, s88
	v_add_co_u32_e32 v5, vcc, s87, v5
	v_addc_co_u32_e32 v6, vcc, v12, v6, vcc
	global_load_dword v5, v[5:6], off
	s_or_b64 s[12:13], s[12:13], exec
	s_waitcnt vmcnt(0)
	v_xor_b32_e32 v12, 0x80000000, v5
	s_or_b64 exec, exec, s[8:9]
	s_and_saveexec_b64 s[8:9], s[12:13]
	s_cbranch_execnz .LBB24_45
	s_branch .LBB24_46
.LBB24_1201:
	s_or_b64 exec, exec, s[10:11]
	s_and_b64 vcc, exec, s[8:9]
	s_cbranch_vccnz .LBB24_1139
.LBB24_1202:
	v_mov_b32_e32 v11, v2
	s_and_saveexec_b64 s[2:3], s[6:7]
	s_cbranch_execnz .LBB24_1160
	s_branch .LBB24_1161
.LBB24_1203:
	s_andn2_b64 s[4:5], s[6:7], exec
	s_and_b64 s[6:7], s[2:3], exec
	s_or_b64 s[6:7], s[4:5], s[6:7]
	s_cbranch_execnz .LBB24_1159
.LBB24_1204:
	v_cmp_gt_i32_e32 vcc, s86, v0
	s_and_b64 s[2:3], s[2:3], vcc
	s_andn2_b64 s[4:5], s[6:7], exec
	s_and_b64 s[2:3], s[2:3], exec
	s_or_b64 s[6:7], s[4:5], s[2:3]
	s_and_saveexec_b64 s[2:3], s[6:7]
	s_cbranch_execnz .LBB24_1160
	s_branch .LBB24_1161
.LBB24_1205:
	v_lshlrev_b32_e32 v16, 2, v14
	v_sub_u32_e32 v16, v15, v16
	v_lshl_add_u32 v16, v13, 2, v16
	ds_read_b32 v16, v16 offset:272
	ds_read_b32 v17, v15 offset:4
	s_waitcnt lgkmcnt(0)
	v_fmac_f32_e32 v12, v16, v17
	s_or_b64 exec, exec, s[14:15]
	v_cmp_gt_u32_e64 s[10:11], 8, v4
	s_and_saveexec_b64 s[14:15], s[10:11]
	s_cbranch_execz .LBB24_79
.LBB24_1206:
	ds_read_b32 v16, v6 offset:528
	ds_read_b32 v15, v15 offset:8
	s_waitcnt lgkmcnt(0)
	v_fmac_f32_e32 v12, v16, v15
	s_or_b64 exec, exec, s[14:15]
	v_cmp_gt_u32_e64 s[10:11], 4, v4
	s_and_saveexec_b64 s[14:15], s[10:11]
	s_cbranch_execnz .LBB24_80
	s_branch .LBB24_81
.LBB24_1207:
	v_lshlrev_b32_e32 v21, 2, v19
	v_sub_u32_e32 v21, v20, v21
	v_lshl_add_u32 v21, v18, 2, v21
	ds_read_b32 v21, v21 offset:288
	ds_read_b32 v22, v20 offset:4
	s_waitcnt lgkmcnt(0)
	v_fmac_f32_e32 v17, v21, v22
	s_or_b64 exec, exec, s[16:17]
	v_cmp_gt_u32_e64 s[14:15], 48, v4
	s_and_saveexec_b64 s[16:17], s[14:15]
	s_cbranch_execz .LBB24_121
.LBB24_1208:
	v_lshlrev_b32_e32 v21, 2, v19
	v_sub_u32_e32 v21, v20, v21
	v_lshl_add_u32 v21, v18, 2, v21
	ds_read_b32 v21, v21 offset:544
	ds_read_b32 v22, v20 offset:8
	s_waitcnt lgkmcnt(0)
	v_fmac_f32_e32 v17, v21, v22
	s_or_b64 exec, exec, s[16:17]
	v_cmp_gt_u32_e64 s[14:15], 40, v4
	s_and_saveexec_b64 s[16:17], s[14:15]
	s_cbranch_execz .LBB24_122
.LBB24_1209:
	v_lshlrev_b32_e32 v21, 2, v19
	v_sub_u32_e32 v21, v20, v21
	v_lshl_add_u32 v21, v18, 2, v21
	ds_read_b32 v21, v21 offset:800
	ds_read_b32 v22, v20 offset:12
	s_waitcnt lgkmcnt(0)
	v_fmac_f32_e32 v17, v21, v22
	s_or_b64 exec, exec, s[16:17]
	v_cmp_gt_u32_e64 s[14:15], 32, v4
	s_and_saveexec_b64 s[16:17], s[14:15]
	s_cbranch_execz .LBB24_123
.LBB24_1210:
	ds_read_b32 v21, v15 offset:1056
	ds_read_b32 v22, v20 offset:16
	s_waitcnt lgkmcnt(0)
	v_fmac_f32_e32 v17, v21, v22
	s_or_b64 exec, exec, s[16:17]
	v_cmp_gt_u32_e64 s[14:15], 24, v4
	s_and_saveexec_b64 s[16:17], s[14:15]
	s_cbranch_execz .LBB24_124
.LBB24_1211:
	v_lshlrev_b32_e32 v21, 2, v19
	v_sub_u32_e32 v21, v20, v21
	v_lshl_add_u32 v21, v18, 2, v21
	ds_read_b32 v21, v21 offset:1312
	ds_read_b32 v22, v20 offset:20
	s_waitcnt lgkmcnt(0)
	v_fmac_f32_e32 v17, v21, v22
	s_or_b64 exec, exec, s[16:17]
	v_cmp_gt_u32_e64 s[14:15], 16, v4
	s_and_saveexec_b64 s[16:17], s[14:15]
	s_cbranch_execz .LBB24_125
.LBB24_1212:
	ds_read_b32 v21, v15 offset:1568
	ds_read_b32 v20, v20 offset:24
	s_waitcnt lgkmcnt(0)
	v_fmac_f32_e32 v17, v21, v20
	s_or_b64 exec, exec, s[16:17]
	v_cmp_gt_u32_e64 s[14:15], 8, v4
	s_and_saveexec_b64 s[16:17], s[14:15]
	s_cbranch_execnz .LBB24_126
	s_branch .LBB24_127
.LBB24_1213:
	v_lshlrev_b32_e32 v22, 2, v14
	v_sub_u32_e32 v22, v21, v22
	v_lshl_add_u32 v22, v13, 2, v22
	ds_read_b32 v22, v22 offset:2352
	ds_read_b32 v23, v21 offset:2084
	s_waitcnt lgkmcnt(0)
	v_fmac_f32_e32 v20, v22, v23
	s_or_b64 exec, exec, s[14:15]
	v_cmp_gt_u32_e64 s[10:11], 8, v4
	s_and_saveexec_b64 s[14:15], s[10:11]
	s_cbranch_execz .LBB24_183
.LBB24_1214:
	ds_read_b32 v22, v6 offset:2608
	ds_read_b32 v21, v21 offset:2088
	s_waitcnt lgkmcnt(0)
	v_fmac_f32_e32 v20, v22, v21
	s_or_b64 exec, exec, s[14:15]
	v_cmp_gt_u32_e64 s[10:11], 4, v4
	s_and_saveexec_b64 s[14:15], s[10:11]
	s_cbranch_execnz .LBB24_184
	s_branch .LBB24_185
.LBB24_1215:
	v_lshlrev_b32_e32 v26, 2, v21
	v_lshl_add_u32 v26, v23, 2, v26
	ds_read_b32 v26, v26 offset:2880
	ds_read_b32 v27, v25 offset:44
	s_waitcnt lgkmcnt(0)
	v_fmac_f32_e32 v22, v26, v27
	s_or_b64 exec, exec, s[20:21]
	v_cmp_gt_u32_e64 s[16:17], 64, v4
	s_and_saveexec_b64 s[20:21], s[16:17]
	s_cbranch_execz .LBB24_245
.LBB24_1216:
	ds_read_b32 v26, v20 offset:3136
	ds_read_b32 v27, v25 offset:48
	s_waitcnt lgkmcnt(0)
	v_fmac_f32_e32 v22, v26, v27
	s_or_b64 exec, exec, s[20:21]
	v_cmp_gt_u32_e64 s[16:17], 48, v4
	s_and_saveexec_b64 s[20:21], s[16:17]
	s_cbranch_execz .LBB24_246
.LBB24_1217:
	v_lshlrev_b32_e32 v26, 2, v21
	v_lshl_add_u32 v26, v23, 2, v26
	ds_read_b32 v26, v26 offset:3392
	ds_read_b32 v27, v25 offset:52
	s_waitcnt lgkmcnt(0)
	v_fmac_f32_e32 v22, v26, v27
	s_or_b64 exec, exec, s[20:21]
	v_cmp_gt_u32_e64 s[16:17], 32, v4
	s_and_saveexec_b64 s[20:21], s[16:17]
	s_cbranch_execz .LBB24_247
.LBB24_1218:
	ds_read_b32 v26, v20 offset:3648
	ds_read_b32 v25, v25 offset:56
	s_waitcnt lgkmcnt(0)
	v_fmac_f32_e32 v22, v26, v25
	s_or_b64 exec, exec, s[20:21]
	v_cmp_gt_u32_e64 s[16:17], 16, v4
	s_and_saveexec_b64 s[20:21], s[16:17]
	s_cbranch_execnz .LBB24_248
	s_branch .LBB24_249
.LBB24_1219:
	v_lshlrev_b32_e32 v27, 2, v14
	v_sub_u32_e32 v27, v26, v27
	v_lshl_add_u32 v27, v13, 2, v27
	ds_read_b32 v27, v27 offset:4432
	ds_read_b32 v28, v26 offset:4164
	s_waitcnt lgkmcnt(0)
	v_fmac_f32_e32 v25, v27, v28
	s_or_b64 exec, exec, s[20:21]
	v_cmp_gt_u32_e64 s[14:15], 8, v4
	s_and_saveexec_b64 s[20:21], s[14:15]
	s_cbranch_execz .LBB24_337
.LBB24_1220:
	ds_read_b32 v27, v6 offset:4688
	ds_read_b32 v26, v26 offset:4168
	s_waitcnt lgkmcnt(0)
	v_fmac_f32_e32 v25, v27, v26
	s_or_b64 exec, exec, s[20:21]
	v_cmp_gt_u32_e64 s[14:15], 4, v4
	s_and_saveexec_b64 s[20:21], s[14:15]
	s_cbranch_execnz .LBB24_338
	s_branch .LBB24_339
.LBB24_1221:
	v_lshlrev_b32_e32 v27, 2, v19
	v_sub_u32_e32 v27, v26, v27
	v_lshl_add_u32 v27, v18, 2, v27
	ds_read_b32 v27, v27 offset:4448
	ds_read_b32 v28, v26 offset:4164
	s_waitcnt lgkmcnt(0)
	v_fmac_f32_e32 v25, v27, v28
	s_or_b64 exec, exec, s[20:21]
	v_cmp_gt_u32_e64 s[14:15], 48, v4
	s_and_saveexec_b64 s[20:21], s[14:15]
	s_cbranch_execz .LBB24_379
.LBB24_1222:
	v_lshlrev_b32_e32 v27, 2, v19
	v_sub_u32_e32 v27, v26, v27
	v_lshl_add_u32 v27, v18, 2, v27
	ds_read_b32 v27, v27 offset:4704
	ds_read_b32 v28, v26 offset:4168
	s_waitcnt lgkmcnt(0)
	v_fmac_f32_e32 v25, v27, v28
	s_or_b64 exec, exec, s[20:21]
	v_cmp_gt_u32_e64 s[14:15], 40, v4
	s_and_saveexec_b64 s[20:21], s[14:15]
	s_cbranch_execz .LBB24_380
.LBB24_1223:
	v_lshlrev_b32_e32 v27, 2, v19
	v_sub_u32_e32 v27, v26, v27
	v_lshl_add_u32 v27, v18, 2, v27
	ds_read_b32 v27, v27 offset:4960
	ds_read_b32 v28, v26 offset:4172
	s_waitcnt lgkmcnt(0)
	v_fmac_f32_e32 v25, v27, v28
	s_or_b64 exec, exec, s[20:21]
	v_cmp_gt_u32_e64 s[14:15], 32, v4
	s_and_saveexec_b64 s[20:21], s[14:15]
	s_cbranch_execz .LBB24_381
.LBB24_1224:
	ds_read_b32 v27, v15 offset:5216
	ds_read_b32 v28, v26 offset:4176
	s_waitcnt lgkmcnt(0)
	v_fmac_f32_e32 v25, v27, v28
	s_or_b64 exec, exec, s[20:21]
	v_cmp_gt_u32_e64 s[14:15], 24, v4
	s_and_saveexec_b64 s[20:21], s[14:15]
	s_cbranch_execz .LBB24_382
.LBB24_1225:
	v_lshlrev_b32_e32 v27, 2, v19
	v_sub_u32_e32 v27, v26, v27
	v_lshl_add_u32 v27, v18, 2, v27
	ds_read_b32 v27, v27 offset:5472
	ds_read_b32 v28, v26 offset:4180
	s_waitcnt lgkmcnt(0)
	v_fmac_f32_e32 v25, v27, v28
	s_or_b64 exec, exec, s[20:21]
	v_cmp_gt_u32_e64 s[14:15], 16, v4
	s_and_saveexec_b64 s[20:21], s[14:15]
	s_cbranch_execz .LBB24_383
.LBB24_1226:
	ds_read_b32 v27, v15 offset:5728
	ds_read_b32 v26, v26 offset:4184
	s_waitcnt lgkmcnt(0)
	v_fmac_f32_e32 v25, v27, v26
	s_or_b64 exec, exec, s[20:21]
	v_cmp_gt_u32_e64 s[14:15], 8, v4
	s_and_saveexec_b64 s[20:21], s[14:15]
	s_cbranch_execnz .LBB24_384
	s_branch .LBB24_385
.LBB24_1227:
	v_lshlrev_b32_e32 v27, 2, v14
	v_sub_u32_e32 v27, v26, v27
	v_lshl_add_u32 v27, v13, 2, v27
	ds_read_b32 v27, v27 offset:6512
	ds_read_b32 v28, v26 offset:6244
	s_waitcnt lgkmcnt(0)
	v_fmac_f32_e32 v25, v27, v28
	s_or_b64 exec, exec, s[20:21]
	v_cmp_gt_u32_e64 s[14:15], 8, v4
	s_and_saveexec_b64 s[20:21], s[14:15]
	s_cbranch_execz .LBB24_441
.LBB24_1228:
	ds_read_b32 v27, v6 offset:6768
	ds_read_b32 v26, v26 offset:6248
	s_waitcnt lgkmcnt(0)
	v_fmac_f32_e32 v25, v27, v26
	s_or_b64 exec, exec, s[20:21]
	v_cmp_gt_u32_e64 s[14:15], 4, v4
	s_and_saveexec_b64 s[20:21], s[14:15]
	s_cbranch_execnz .LBB24_442
	s_branch .LBB24_443
.LBB24_1229:
	ds_read_b32 v31, v25 offset:7552
	ds_read_b32 v32, v30 offset:116
	s_waitcnt lgkmcnt(0)
	v_fmac_f32_e32 v28, v31, v32
	s_or_b64 exec, exec, s[84:85]
	v_cmp_gt_u32_e64 s[20:21], 64, v4
	s_and_saveexec_b64 s[84:85], s[20:21]
	s_cbranch_execz .LBB24_539
.LBB24_1230:
	ds_read_b32 v31, v25 offset:7808
	ds_read_b32 v30, v30 offset:120
	s_waitcnt lgkmcnt(0)
	v_fmac_f32_e32 v28, v31, v30
	s_or_b64 exec, exec, s[84:85]
	v_cmp_gt_u32_e64 s[20:21], 32, v4
	s_and_saveexec_b64 s[84:85], s[20:21]
	s_cbranch_execnz .LBB24_540
	s_branch .LBB24_541
.LBB24_1231:
	v_lshlrev_b32_e32 v27, 2, v14
	v_sub_u32_e32 v27, v26, v27
	v_lshl_add_u32 v27, v13, 2, v27
	ds_read_b32 v27, v27 offset:8592
	ds_read_b32 v28, v26 offset:8324
	s_waitcnt lgkmcnt(0)
	v_fmac_f32_e32 v25, v27, v28
	s_or_b64 exec, exec, s[16:17]
	v_cmp_gt_u32_e64 s[12:13], 8, v4
	s_and_saveexec_b64 s[16:17], s[12:13]
	s_cbranch_execz .LBB24_693
.LBB24_1232:
	ds_read_b32 v27, v6 offset:8848
	ds_read_b32 v26, v26 offset:8328
	s_waitcnt lgkmcnt(0)
	v_fmac_f32_e32 v25, v27, v26
	s_or_b64 exec, exec, s[16:17]
	v_cmp_gt_u32_e64 s[12:13], 4, v4
	s_and_saveexec_b64 s[16:17], s[12:13]
	s_cbranch_execnz .LBB24_694
	s_branch .LBB24_695
.LBB24_1233:
	v_lshlrev_b32_e32 v27, 2, v19
	v_sub_u32_e32 v27, v26, v27
	v_lshl_add_u32 v27, v18, 2, v27
	ds_read_b32 v27, v27 offset:8608
	ds_read_b32 v28, v26 offset:8324
	s_waitcnt lgkmcnt(0)
	v_fmac_f32_e32 v25, v27, v28
	s_or_b64 exec, exec, s[16:17]
	v_cmp_gt_u32_e64 s[12:13], 48, v4
	s_and_saveexec_b64 s[16:17], s[12:13]
	s_cbranch_execz .LBB24_735
.LBB24_1234:
	v_lshlrev_b32_e32 v27, 2, v19
	v_sub_u32_e32 v27, v26, v27
	v_lshl_add_u32 v27, v18, 2, v27
	ds_read_b32 v27, v27 offset:8864
	ds_read_b32 v28, v26 offset:8328
	s_waitcnt lgkmcnt(0)
	v_fmac_f32_e32 v25, v27, v28
	s_or_b64 exec, exec, s[16:17]
	v_cmp_gt_u32_e64 s[12:13], 40, v4
	s_and_saveexec_b64 s[16:17], s[12:13]
	s_cbranch_execz .LBB24_736
.LBB24_1235:
	v_lshlrev_b32_e32 v27, 2, v19
	v_sub_u32_e32 v27, v26, v27
	v_lshl_add_u32 v27, v18, 2, v27
	ds_read_b32 v27, v27 offset:9120
	ds_read_b32 v28, v26 offset:8332
	s_waitcnt lgkmcnt(0)
	v_fmac_f32_e32 v25, v27, v28
	s_or_b64 exec, exec, s[16:17]
	v_cmp_gt_u32_e64 s[12:13], 32, v4
	s_and_saveexec_b64 s[16:17], s[12:13]
	s_cbranch_execz .LBB24_737
.LBB24_1236:
	ds_read_b32 v27, v15 offset:9376
	ds_read_b32 v28, v26 offset:8336
	s_waitcnt lgkmcnt(0)
	v_fmac_f32_e32 v25, v27, v28
	s_or_b64 exec, exec, s[16:17]
	v_cmp_gt_u32_e64 s[12:13], 24, v4
	s_and_saveexec_b64 s[16:17], s[12:13]
	s_cbranch_execz .LBB24_738
.LBB24_1237:
	v_lshlrev_b32_e32 v27, 2, v19
	v_sub_u32_e32 v27, v26, v27
	v_lshl_add_u32 v27, v18, 2, v27
	ds_read_b32 v27, v27 offset:9632
	ds_read_b32 v28, v26 offset:8340
	s_waitcnt lgkmcnt(0)
	v_fmac_f32_e32 v25, v27, v28
	s_or_b64 exec, exec, s[16:17]
	v_cmp_gt_u32_e64 s[12:13], 16, v4
	s_and_saveexec_b64 s[16:17], s[12:13]
	s_cbranch_execz .LBB24_739
.LBB24_1238:
	ds_read_b32 v27, v15 offset:9888
	ds_read_b32 v26, v26 offset:8344
	s_waitcnt lgkmcnt(0)
	v_fmac_f32_e32 v25, v27, v26
	s_or_b64 exec, exec, s[16:17]
	v_cmp_gt_u32_e64 s[12:13], 8, v4
	s_and_saveexec_b64 s[16:17], s[12:13]
	s_cbranch_execnz .LBB24_740
	s_branch .LBB24_741
.LBB24_1239:
	v_lshlrev_b32_e32 v27, 2, v14
	v_sub_u32_e32 v27, v26, v27
	v_lshl_add_u32 v27, v13, 2, v27
	ds_read_b32 v27, v27 offset:10672
	ds_read_b32 v28, v26 offset:10404
	s_waitcnt lgkmcnt(0)
	v_fmac_f32_e32 v25, v27, v28
	s_or_b64 exec, exec, s[16:17]
	v_cmp_gt_u32_e64 s[12:13], 8, v4
	s_and_saveexec_b64 s[16:17], s[12:13]
	s_cbranch_execz .LBB24_797
.LBB24_1240:
	ds_read_b32 v27, v6 offset:10928
	ds_read_b32 v26, v26 offset:10408
	s_waitcnt lgkmcnt(0)
	v_fmac_f32_e32 v25, v27, v26
	s_or_b64 exec, exec, s[16:17]
	v_cmp_gt_u32_e64 s[12:13], 4, v4
	s_and_saveexec_b64 s[16:17], s[12:13]
	s_cbranch_execnz .LBB24_798
	s_branch .LBB24_799
.LBB24_1241:
	v_lshlrev_b32_e32 v24, 2, v21
	v_lshl_add_u32 v24, v23, 2, v24
	ds_read_b32 v24, v24 offset:11200
	ds_read_b32 v27, v26 offset:8364
	s_waitcnt lgkmcnt(0)
	v_fmac_f32_e32 v25, v24, v27
	s_or_b64 exec, exec, s[16:17]
	v_cmp_gt_u32_e64 s[12:13], 64, v4
	s_and_saveexec_b64 s[16:17], s[12:13]
	s_cbranch_execz .LBB24_859
.LBB24_1242:
	ds_read_b32 v24, v20 offset:11456
	ds_read_b32 v27, v26 offset:8368
	s_waitcnt lgkmcnt(0)
	v_fmac_f32_e32 v25, v24, v27
	s_or_b64 exec, exec, s[16:17]
	v_cmp_gt_u32_e64 s[12:13], 48, v4
	s_and_saveexec_b64 s[16:17], s[12:13]
	s_cbranch_execz .LBB24_860
.LBB24_1243:
	v_lshlrev_b32_e32 v24, 2, v21
	v_lshl_add_u32 v23, v23, 2, v24
	ds_read_b32 v23, v23 offset:11712
	ds_read_b32 v24, v26 offset:8372
	s_waitcnt lgkmcnt(0)
	v_fmac_f32_e32 v25, v23, v24
	s_or_b64 exec, exec, s[16:17]
	v_cmp_gt_u32_e64 s[12:13], 32, v4
	s_and_saveexec_b64 s[16:17], s[12:13]
	s_cbranch_execz .LBB24_861
.LBB24_1244:
	ds_read_b32 v23, v20 offset:11968
	ds_read_b32 v24, v26 offset:8376
	s_waitcnt lgkmcnt(0)
	v_fmac_f32_e32 v25, v23, v24
	s_or_b64 exec, exec, s[16:17]
	v_cmp_gt_u32_e64 s[12:13], 16, v4
	s_and_saveexec_b64 s[16:17], s[12:13]
	s_cbranch_execnz .LBB24_862
	s_branch .LBB24_863
.LBB24_1245:
	v_lshlrev_b32_e32 v22, 2, v14
	v_sub_u32_e32 v22, v21, v22
	v_lshl_add_u32 v22, v13, 2, v22
	ds_read_b32 v22, v22 offset:12752
	ds_read_b32 v23, v21 offset:12484
	s_waitcnt lgkmcnt(0)
	v_fmac_f32_e32 v20, v22, v23
	s_or_b64 exec, exec, s[12:13]
	v_cmp_gt_u32_e64 s[10:11], 8, v4
	s_and_saveexec_b64 s[12:13], s[10:11]
	s_cbranch_execz .LBB24_951
.LBB24_1246:
	ds_read_b32 v22, v6 offset:13008
	ds_read_b32 v21, v21 offset:12488
	s_waitcnt lgkmcnt(0)
	v_fmac_f32_e32 v20, v22, v21
	s_or_b64 exec, exec, s[12:13]
	v_cmp_gt_u32_e64 s[10:11], 4, v4
	s_and_saveexec_b64 s[12:13], s[10:11]
	s_cbranch_execnz .LBB24_952
	s_branch .LBB24_953
.LBB24_1247:
	v_lshlrev_b32_e32 v22, 2, v19
	v_sub_u32_e32 v22, v21, v22
	v_lshl_add_u32 v22, v18, 2, v22
	ds_read_b32 v22, v22 offset:12768
	ds_read_b32 v23, v21 offset:12484
	s_waitcnt lgkmcnt(0)
	v_fmac_f32_e32 v20, v22, v23
	s_or_b64 exec, exec, s[12:13]
	v_cmp_gt_u32_e64 s[10:11], 48, v4
	s_and_saveexec_b64 s[12:13], s[10:11]
	s_cbranch_execz .LBB24_993
.LBB24_1248:
	v_lshlrev_b32_e32 v22, 2, v19
	v_sub_u32_e32 v22, v21, v22
	v_lshl_add_u32 v22, v18, 2, v22
	ds_read_b32 v22, v22 offset:13024
	ds_read_b32 v23, v21 offset:12488
	s_waitcnt lgkmcnt(0)
	v_fmac_f32_e32 v20, v22, v23
	s_or_b64 exec, exec, s[12:13]
	v_cmp_gt_u32_e64 s[10:11], 40, v4
	s_and_saveexec_b64 s[12:13], s[10:11]
	s_cbranch_execz .LBB24_994
.LBB24_1249:
	v_lshlrev_b32_e32 v22, 2, v19
	v_sub_u32_e32 v22, v21, v22
	v_lshl_add_u32 v22, v18, 2, v22
	ds_read_b32 v22, v22 offset:13280
	ds_read_b32 v23, v21 offset:12492
	s_waitcnt lgkmcnt(0)
	v_fmac_f32_e32 v20, v22, v23
	s_or_b64 exec, exec, s[12:13]
	v_cmp_gt_u32_e64 s[10:11], 32, v4
	s_and_saveexec_b64 s[12:13], s[10:11]
	s_cbranch_execz .LBB24_995
.LBB24_1250:
	ds_read_b32 v22, v15 offset:13536
	ds_read_b32 v23, v21 offset:12496
	s_waitcnt lgkmcnt(0)
	v_fmac_f32_e32 v20, v22, v23
	s_or_b64 exec, exec, s[12:13]
	v_cmp_gt_u32_e64 s[10:11], 24, v4
	s_and_saveexec_b64 s[12:13], s[10:11]
	s_cbranch_execz .LBB24_996
.LBB24_1251:
	v_lshlrev_b32_e32 v19, 2, v19
	v_sub_u32_e32 v19, v21, v19
	v_lshl_add_u32 v18, v18, 2, v19
	ds_read_b32 v18, v18 offset:13792
	ds_read_b32 v19, v21 offset:12500
	s_waitcnt lgkmcnt(0)
	v_fmac_f32_e32 v20, v18, v19
	s_or_b64 exec, exec, s[12:13]
	v_cmp_gt_u32_e64 s[10:11], 16, v4
	s_and_saveexec_b64 s[12:13], s[10:11]
	s_cbranch_execz .LBB24_997
.LBB24_1252:
	ds_read_b32 v18, v15 offset:14048
	ds_read_b32 v19, v21 offset:12504
	s_waitcnt lgkmcnt(0)
	v_fmac_f32_e32 v20, v18, v19
	s_or_b64 exec, exec, s[12:13]
	v_cmp_gt_u32_e64 s[10:11], 8, v4
	s_and_saveexec_b64 s[12:13], s[10:11]
	s_cbranch_execnz .LBB24_998
	s_branch .LBB24_999
.LBB24_1253:
	v_lshlrev_b32_e32 v14, 2, v14
	v_sub_u32_e32 v14, v16, v14
	v_lshl_add_u32 v13, v13, 2, v14
	ds_read_b32 v13, v13 offset:14832
	ds_read_b32 v14, v16 offset:14564
	s_waitcnt lgkmcnt(0)
	v_fmac_f32_e32 v15, v13, v14
	s_or_b64 exec, exec, s[10:11]
	v_cmp_gt_u32_e64 s[8:9], 8, v4
	s_and_saveexec_b64 s[10:11], s[8:9]
	s_cbranch_execz .LBB24_1055
.LBB24_1254:
	ds_read_b32 v13, v6 offset:15088
	ds_read_b32 v14, v16 offset:14568
	s_waitcnt lgkmcnt(0)
	v_fmac_f32_e32 v15, v13, v14
	s_or_b64 exec, exec, s[10:11]
	v_cmp_gt_u32_e64 s[8:9], 4, v4
	s_and_saveexec_b64 s[10:11], s[8:9]
	s_cbranch_execnz .LBB24_1056
	s_branch .LBB24_1057
	.section	.rodata,"a",@progbits
	.p2align	6, 0x0
	.amdhsa_kernel _ZL19rocblas_trsv_deviceILi64ELi16ELb1ELb1ELb1ELb0EffPKfPfEviT7_lllT6_T8_lllPii
		.amdhsa_group_segment_fixed_size 20740
		.amdhsa_private_segment_fixed_size 0
		.amdhsa_kernarg_size 352
		.amdhsa_user_sgpr_count 6
		.amdhsa_user_sgpr_private_segment_buffer 1
		.amdhsa_user_sgpr_dispatch_ptr 0
		.amdhsa_user_sgpr_queue_ptr 0
		.amdhsa_user_sgpr_kernarg_segment_ptr 1
		.amdhsa_user_sgpr_dispatch_id 0
		.amdhsa_user_sgpr_flat_scratch_init 0
		.amdhsa_user_sgpr_private_segment_size 0
		.amdhsa_uses_dynamic_stack 0
		.amdhsa_system_sgpr_private_segment_wavefront_offset 0
		.amdhsa_system_sgpr_workgroup_id_x 1
		.amdhsa_system_sgpr_workgroup_id_y 0
		.amdhsa_system_sgpr_workgroup_id_z 1
		.amdhsa_system_sgpr_workgroup_info 0
		.amdhsa_system_vgpr_workitem_id 1
		.amdhsa_next_free_vgpr 34
		.amdhsa_next_free_sgpr 96
		.amdhsa_reserve_vcc 1
		.amdhsa_reserve_flat_scratch 0
		.amdhsa_float_round_mode_32 0
		.amdhsa_float_round_mode_16_64 0
		.amdhsa_float_denorm_mode_32 3
		.amdhsa_float_denorm_mode_16_64 3
		.amdhsa_dx10_clamp 1
		.amdhsa_ieee_mode 1
		.amdhsa_fp16_overflow 0
		.amdhsa_exception_fp_ieee_invalid_op 0
		.amdhsa_exception_fp_denorm_src 0
		.amdhsa_exception_fp_ieee_div_zero 0
		.amdhsa_exception_fp_ieee_overflow 0
		.amdhsa_exception_fp_ieee_underflow 0
		.amdhsa_exception_fp_ieee_inexact 0
		.amdhsa_exception_int_div_zero 0
	.end_amdhsa_kernel
	.section	.text._ZL19rocblas_trsv_deviceILi64ELi16ELb1ELb1ELb1ELb0EffPKfPfEviT7_lllT6_T8_lllPii,"axG",@progbits,_ZL19rocblas_trsv_deviceILi64ELi16ELb1ELb1ELb1ELb0EffPKfPfEviT7_lllT6_T8_lllPii,comdat
.Lfunc_end24:
	.size	_ZL19rocblas_trsv_deviceILi64ELi16ELb1ELb1ELb1ELb0EffPKfPfEviT7_lllT6_T8_lllPii, .Lfunc_end24-_ZL19rocblas_trsv_deviceILi64ELi16ELb1ELb1ELb1ELb0EffPKfPfEviT7_lllT6_T8_lllPii
                                        ; -- End function
	.set _ZL19rocblas_trsv_deviceILi64ELi16ELb1ELb1ELb1ELb0EffPKfPfEviT7_lllT6_T8_lllPii.num_vgpr, 34
	.set _ZL19rocblas_trsv_deviceILi64ELi16ELb1ELb1ELb1ELb0EffPKfPfEviT7_lllT6_T8_lllPii.num_agpr, 0
	.set _ZL19rocblas_trsv_deviceILi64ELi16ELb1ELb1ELb1ELb0EffPKfPfEviT7_lllT6_T8_lllPii.numbered_sgpr, 96
	.set _ZL19rocblas_trsv_deviceILi64ELi16ELb1ELb1ELb1ELb0EffPKfPfEviT7_lllT6_T8_lllPii.num_named_barrier, 0
	.set _ZL19rocblas_trsv_deviceILi64ELi16ELb1ELb1ELb1ELb0EffPKfPfEviT7_lllT6_T8_lllPii.private_seg_size, 0
	.set _ZL19rocblas_trsv_deviceILi64ELi16ELb1ELb1ELb1ELb0EffPKfPfEviT7_lllT6_T8_lllPii.uses_vcc, 1
	.set _ZL19rocblas_trsv_deviceILi64ELi16ELb1ELb1ELb1ELb0EffPKfPfEviT7_lllT6_T8_lllPii.uses_flat_scratch, 0
	.set _ZL19rocblas_trsv_deviceILi64ELi16ELb1ELb1ELb1ELb0EffPKfPfEviT7_lllT6_T8_lllPii.has_dyn_sized_stack, 0
	.set _ZL19rocblas_trsv_deviceILi64ELi16ELb1ELb1ELb1ELb0EffPKfPfEviT7_lllT6_T8_lllPii.has_recursion, 0
	.set _ZL19rocblas_trsv_deviceILi64ELi16ELb1ELb1ELb1ELb0EffPKfPfEviT7_lllT6_T8_lllPii.has_indirect_call, 0
	.section	.AMDGPU.csdata,"",@progbits
; Kernel info:
; codeLenInByte = 39316
; TotalNumSgprs: 100
; NumVgprs: 34
; ScratchSize: 0
; MemoryBound: 0
; FloatMode: 240
; IeeeMode: 1
; LDSByteSize: 20740 bytes/workgroup (compile time only)
; SGPRBlocks: 12
; VGPRBlocks: 8
; NumSGPRsForWavesPerEU: 100
; NumVGPRsForWavesPerEU: 34
; Occupancy: 7
; WaveLimiterHint : 0
; COMPUTE_PGM_RSRC2:SCRATCH_EN: 0
; COMPUTE_PGM_RSRC2:USER_SGPR: 6
; COMPUTE_PGM_RSRC2:TRAP_HANDLER: 0
; COMPUTE_PGM_RSRC2:TGID_X_EN: 1
; COMPUTE_PGM_RSRC2:TGID_Y_EN: 0
; COMPUTE_PGM_RSRC2:TGID_Z_EN: 1
; COMPUTE_PGM_RSRC2:TIDIG_COMP_CNT: 1
	.section	.text._ZL19rocblas_trsv_deviceILi64ELi16ELb0ELb0ELb0ELb1EdPKdS1_PdEviT7_lllT6_T8_lllPii,"axG",@progbits,_ZL19rocblas_trsv_deviceILi64ELi16ELb0ELb0ELb0ELb1EdPKdS1_PdEviT7_lllT6_T8_lllPii,comdat
	.globl	_ZL19rocblas_trsv_deviceILi64ELi16ELb0ELb0ELb0ELb1EdPKdS1_PdEviT7_lllT6_T8_lllPii ; -- Begin function _ZL19rocblas_trsv_deviceILi64ELi16ELb0ELb0ELb0ELb1EdPKdS1_PdEviT7_lllT6_T8_lllPii
	.p2align	8
	.type	_ZL19rocblas_trsv_deviceILi64ELi16ELb0ELb0ELb0ELb1EdPKdS1_PdEviT7_lllT6_T8_lllPii,@function
_ZL19rocblas_trsv_deviceILi64ELi16ELb0ELb0ELb0ELb1EdPKdS1_PdEviT7_lllT6_T8_lllPii: ; @_ZL19rocblas_trsv_deviceILi64ELi16ELb0ELb0ELb0ELb1EdPKdS1_PdEviT7_lllT6_T8_lllPii
; %bb.0:
	s_load_dwordx16 s[16:31], s[4:5], 0x8
	s_load_dword s36, s[4:5], 0x0
	s_mov_b32 s34, s7
	s_mov_b32 s35, 0
	s_waitcnt lgkmcnt(0)
	s_mul_i32 s0, s23, s7
	s_mul_hi_u32 s1, s22, s7
	s_add_i32 s1, s1, s0
	s_mul_i32 s0, s22, s7
	s_load_dword s7, s[4:5], 0x60
	s_lshl_b64 s[0:1], s[0:1], 3
	s_add_u32 s2, s16, s0
	s_addc_u32 s3, s17, s1
	s_lshl_b64 s[0:1], s[18:19], 3
	s_load_dwordx2 s[16:17], s[24:25], 0x0
	s_load_dword s87, s[4:5], 0x6c
	s_add_u32 s85, s2, s0
	s_addc_u32 s86, s3, s1
	s_waitcnt lgkmcnt(0)
	s_add_i32 s7, s7, -1
	s_sub_i32 s33, s7, s6
	s_cmp_eq_u32 s6, 0
	s_cbranch_scc1 .LBB25_10
; %bb.1:
	s_lshl_b32 s2, s33, 6
	v_add3_u32 v12, v1, s2, 64
	v_ashrrev_i32_e32 v2, 31, v12
	v_mul_lo_u32 v6, s20, v2
	v_mul_lo_u32 v7, s21, v12
	v_mad_u64_u32 v[2:3], s[0:1], s20, v12, 0
	v_add_u32_e32 v4, s2, v0
	v_ashrrev_i32_e32 v5, 31, v4
	v_add3_u32 v3, v3, v6, v7
	v_lshlrev_b64 v[2:3], 3, v[2:3]
	v_mov_b32_e32 v6, s86
	v_add_co_u32_e64 v7, s[0:1], s85, v2
	v_addc_co_u32_e64 v6, s[0:1], v6, v3, s[0:1]
	v_lshlrev_b64 v[2:3], 3, v[4:5]
	v_cmp_gt_i32_e32 vcc, s36, v4
	v_add_co_u32_e64 v10, s[0:1], v7, v2
	v_addc_co_u32_e64 v11, s[0:1], v6, v3, s[0:1]
	v_cmp_gt_i32_e64 s[0:1], s36, v12
	v_mov_b32_e32 v4, 0
	v_mov_b32_e32 v2, 0
	;; [unrolled: 1-line block ×4, first 2 shown]
	s_and_b64 s[2:3], vcc, s[0:1]
	s_barrier
	s_and_saveexec_b64 s[0:1], s[2:3]
	s_cbranch_execz .LBB25_3
; %bb.2:
	global_load_dwordx2 v[2:3], v[10:11], off
.LBB25_3:
	s_or_b64 exec, exec, s[0:1]
	v_add_u32_e32 v6, 16, v12
	v_cmp_gt_i32_e64 s[0:1], s36, v6
	s_and_b64 s[0:1], vcc, s[0:1]
	s_waitcnt vmcnt(0)
	s_barrier
	s_and_saveexec_b64 s[2:3], s[0:1]
	s_cbranch_execz .LBB25_5
; %bb.4:
	s_lshl_b64 s[0:1], s[20:21], 7
	v_mov_b32_e32 v5, s1
	v_add_co_u32_e64 v4, s[0:1], s0, v10
	v_addc_co_u32_e64 v5, s[0:1], v11, v5, s[0:1]
	global_load_dwordx2 v[4:5], v[4:5], off
.LBB25_5:
	s_or_b64 exec, exec, s[2:3]
	v_add_u32_e32 v6, 32, v12
	v_cmp_gt_i32_e64 s[0:1], s36, v6
	v_mov_b32_e32 v6, 0
	v_mov_b32_e32 v8, 0
	;; [unrolled: 1-line block ×4, first 2 shown]
	s_and_b64 s[0:1], vcc, s[0:1]
	s_waitcnt vmcnt(0)
	s_barrier
	s_and_saveexec_b64 s[2:3], s[0:1]
	s_cbranch_execz .LBB25_7
; %bb.6:
	s_lshl_b64 s[0:1], s[20:21], 8
	v_mov_b32_e32 v9, s1
	v_add_co_u32_e64 v8, s[0:1], s0, v10
	v_addc_co_u32_e64 v9, s[0:1], v11, v9, s[0:1]
	global_load_dwordx2 v[8:9], v[8:9], off
.LBB25_7:
	s_or_b64 exec, exec, s[2:3]
	v_add_u32_e32 v12, 48, v12
	v_cmp_gt_i32_e64 s[0:1], s36, v12
	s_and_b64 s[2:3], vcc, s[0:1]
	s_waitcnt vmcnt(0)
	s_barrier
	s_and_saveexec_b64 s[0:1], s[2:3]
	s_cbranch_execz .LBB25_9
; %bb.8:
	v_mov_b32_e32 v6, 0x180
	v_mad_u64_u32 v[6:7], s[2:3], s20, v6, v[10:11]
	s_mul_i32 s2, s21, 0x180
	v_add_u32_e32 v7, s2, v7
	global_load_dwordx2 v[6:7], v[6:7], off
.LBB25_9:
	s_or_b64 exec, exec, s[0:1]
	s_branch .LBB25_11
.LBB25_10:
                                        ; implicit-def: $vgpr6_vgpr7
                                        ; implicit-def: $vgpr8_vgpr9
                                        ; implicit-def: $vgpr4_vgpr5
                                        ; implicit-def: $vgpr2_vgpr3
.LBB25_11:
	s_ashr_i32 s37, s36, 31
	s_lshr_b32 s0, s37, 26
	s_add_i32 s0, s36, s0
	s_andn2_b32 s0, s0, 63
	s_sub_i32 s84, s36, s0
	s_add_i32 s0, s36, -1
	s_ashr_i32 s1, s0, 31
	s_lshr_b32 s1, s1, 26
	s_add_i32 s0, s0, s1
	s_ashr_i32 s0, s0, 6
	s_cmp_eq_u32 s0, s33
	s_cselect_b64 s[0:1], -1, 0
	s_cmp_lg_u32 s84, 0
	s_cselect_b64 s[2:3], -1, 0
	s_and_b64 s[18:19], s[2:3], s[0:1]
	s_mov_b64 s[2:3], -1
	s_and_b64 vcc, exec, s[18:19]
	v_cmp_le_u32_e64 s[0:1], v1, v0
	s_cbranch_vccnz .LBB25_33
; %bb.12:
	s_add_u32 s2, s20, 1
	s_addc_u32 s3, s21, 0
	s_lshl_b32 s8, s33, 6
	s_ashr_i32 s9, s8, 31
	s_mul_hi_u32 s10, s2, s8
	s_mul_i32 s9, s2, s9
	s_add_i32 s9, s10, s9
	s_mul_i32 s3, s3, s8
	s_add_i32 s3, s9, s3
	s_mul_i32 s2, s2, s8
	s_lshl_b64 s[2:3], s[2:3], 3
	s_add_u32 s2, s85, s2
	s_addc_u32 s3, s86, s3
	v_lshlrev_b32_e32 v14, 3, v0
	v_mov_b32_e32 v11, s3
	v_add_co_u32_e32 v10, vcc, s2, v14
	v_addc_co_u32_e32 v11, vcc, 0, v11, vcc
	s_mov_b64 s[2:3], 0
	s_and_saveexec_b64 s[8:9], s[0:1]
	s_xor_b64 s[0:1], exec, s[8:9]
; %bb.13:
	v_or_b32_e32 v12, v1, v0
	v_cmp_gt_u32_e32 vcc, 64, v12
	s_and_b64 s[2:3], vcc, exec
; %bb.14:
	s_or_saveexec_b64 s[0:1], s[0:1]
	v_mov_b32_e32 v12, 0
	v_mov_b32_e32 v13, 0
	s_xor_b64 exec, exec, s[0:1]
	s_cbranch_execz .LBB25_16
; %bb.15:
	v_mad_u64_u32 v[12:13], s[8:9], s20, v1, 0
	s_or_b64 s[2:3], s[2:3], exec
	v_mad_u64_u32 v[15:16], s[8:9], s21, v1, v[13:14]
	v_mov_b32_e32 v13, v15
	v_lshlrev_b64 v[12:13], 3, v[12:13]
	v_add_co_u32_e32 v12, vcc, v10, v12
	v_addc_co_u32_e32 v13, vcc, v11, v13, vcc
	global_load_dwordx2 v[12:13], v[12:13], off
	s_waitcnt vmcnt(0)
	v_xor_b32_e32 v13, 0x80000000, v13
.LBB25_16:
	s_or_b64 exec, exec, s[0:1]
	s_and_saveexec_b64 s[0:1], s[2:3]
; %bb.17:
	v_lshl_add_u32 v15, v1, 9, v14
	ds_write_b64 v15, v[12:13]
; %bb.18:
	s_or_b64 exec, exec, s[0:1]
	v_add_u32_e32 v15, 16, v1
	v_cmp_le_u32_e32 vcc, v15, v0
	s_mov_b64 s[0:1], 0
	s_and_saveexec_b64 s[2:3], vcc
	s_xor_b64 s[2:3], exec, s[2:3]
; %bb.19:
	v_or_b32_e32 v12, v15, v0
	v_cmp_gt_u32_e32 vcc, 64, v12
	s_and_b64 s[0:1], vcc, exec
; %bb.20:
	s_or_saveexec_b64 s[2:3], s[2:3]
	v_mov_b32_e32 v12, 0
	v_mov_b32_e32 v13, 0
	s_xor_b64 exec, exec, s[2:3]
	s_cbranch_execz .LBB25_22
; %bb.21:
	v_mad_u64_u32 v[12:13], s[8:9], s20, v15, 0
	s_or_b64 s[0:1], s[0:1], exec
	v_mad_u64_u32 v[16:17], s[8:9], s21, v15, v[13:14]
	v_mov_b32_e32 v13, v16
	v_lshlrev_b64 v[12:13], 3, v[12:13]
	v_add_co_u32_e32 v12, vcc, v10, v12
	v_addc_co_u32_e32 v13, vcc, v11, v13, vcc
	global_load_dwordx2 v[12:13], v[12:13], off
	s_waitcnt vmcnt(0)
	v_xor_b32_e32 v13, 0x80000000, v13
.LBB25_22:
	s_or_b64 exec, exec, s[2:3]
	s_and_saveexec_b64 s[2:3], s[0:1]
; %bb.23:
	v_lshl_add_u32 v15, v15, 9, v14
	ds_write_b64 v15, v[12:13]
; %bb.24:
	s_or_b64 exec, exec, s[2:3]
	v_add_u32_e32 v15, 32, v1
	v_cmp_le_u32_e32 vcc, v15, v0
	s_mov_b64 s[0:1], 0
	s_and_saveexec_b64 s[2:3], vcc
	s_xor_b64 s[2:3], exec, s[2:3]
; %bb.25:
	v_or_b32_e32 v12, v15, v0
	v_cmp_gt_u32_e32 vcc, 64, v12
	s_and_b64 s[0:1], vcc, exec
; %bb.26:
	s_or_saveexec_b64 s[2:3], s[2:3]
	v_mov_b32_e32 v12, 0
	v_mov_b32_e32 v13, 0
	s_xor_b64 exec, exec, s[2:3]
	s_cbranch_execz .LBB25_28
; %bb.27:
	v_mad_u64_u32 v[12:13], s[8:9], s20, v15, 0
	s_or_b64 s[0:1], s[0:1], exec
	v_mad_u64_u32 v[16:17], s[8:9], s21, v15, v[13:14]
	v_mov_b32_e32 v13, v16
	v_lshlrev_b64 v[12:13], 3, v[12:13]
	v_add_co_u32_e32 v12, vcc, v10, v12
	v_addc_co_u32_e32 v13, vcc, v11, v13, vcc
	global_load_dwordx2 v[12:13], v[12:13], off
	s_waitcnt vmcnt(0)
	v_xor_b32_e32 v13, 0x80000000, v13
.LBB25_28:
	s_or_b64 exec, exec, s[2:3]
	s_and_saveexec_b64 s[2:3], s[0:1]
; %bb.29:
	v_lshl_add_u32 v14, v15, 9, v14
	ds_write_b64 v14, v[12:13]
; %bb.30:
	s_or_b64 exec, exec, s[2:3]
	v_add_u32_e32 v14, 48, v1
	v_cmp_le_u32_e32 vcc, v14, v0
	s_mov_b64 s[0:1], -1
	s_mov_b64 s[2:3], 0
	s_mov_b64 s[8:9], 0
	s_and_saveexec_b64 s[10:11], vcc
	s_xor_b64 s[10:11], exec, s[10:11]
; %bb.31:
	v_or_b32_e32 v12, v14, v0
	v_cmp_gt_u32_e32 vcc, 64, v12
	s_and_b64 s[8:9], vcc, exec
	s_xor_b64 s[0:1], exec, -1
; %bb.32:
	s_or_b64 exec, exec, s[10:11]
	v_lshl_add_u32 v15, v14, 6, v0
	s_and_b64 vcc, exec, s[2:3]
	s_cbranch_vccnz .LBB25_34
	s_branch .LBB25_55
.LBB25_33:
	s_mov_b64 s[0:1], 0
	s_mov_b64 s[8:9], 0
                                        ; implicit-def: $vgpr15
                                        ; implicit-def: $vgpr10_vgpr11
                                        ; implicit-def: $vgpr14
	s_and_b64 vcc, exec, s[2:3]
	s_cbranch_vccz .LBB25_55
.LBB25_34:
	s_add_u32 s0, s20, 1
	s_addc_u32 s1, s21, 0
	s_lshl_b32 s2, s33, 6
	s_ashr_i32 s3, s2, 31
	s_mul_hi_u32 s10, s0, s2
	s_mul_i32 s3, s0, s3
	s_add_i32 s3, s10, s3
	s_mul_i32 s1, s1, s2
	s_add_i32 s1, s3, s1
	s_mul_i32 s0, s0, s2
	s_lshl_b64 s[0:1], s[0:1], 3
	s_add_u32 s0, s85, s0
	s_addc_u32 s1, s86, s1
	v_lshlrev_b32_e32 v14, 3, v0
	v_mov_b32_e32 v11, s1
	v_add_co_u32_e64 v10, s[0:1], s0, v14
	v_addc_co_u32_e64 v11, s[0:1], 0, v11, s[0:1]
	v_max_i32_e32 v12, v1, v0
	v_cmp_le_u32_e64 s[0:1], v1, v0
	v_cmp_le_i32_e64 s[2:3], s84, v12
	v_cmp_gt_i32_e32 vcc, s84, v0
	s_or_b64 s[0:1], s[2:3], s[0:1]
	s_mov_b64 s[2:3], 0
	s_and_saveexec_b64 s[10:11], s[0:1]
	s_xor_b64 s[10:11], exec, s[10:11]
; %bb.35:
	v_or_b32_e32 v12, v1, v0
	v_cmp_gt_u32_e64 s[0:1], 64, v12
	s_and_b64 s[2:3], s[0:1], exec
; %bb.36:
	s_or_saveexec_b64 s[10:11], s[10:11]
	v_mov_b32_e32 v12, 0
	v_mov_b32_e32 v13, 0
	s_xor_b64 exec, exec, s[10:11]
	s_cbranch_execz .LBB25_38
; %bb.37:
	v_mad_u64_u32 v[12:13], s[0:1], s20, v1, 0
	s_or_b64 s[2:3], s[2:3], exec
	v_mad_u64_u32 v[15:16], s[0:1], s21, v1, v[13:14]
	v_mov_b32_e32 v13, v15
	v_lshlrev_b64 v[12:13], 3, v[12:13]
	v_add_co_u32_e64 v12, s[0:1], v10, v12
	v_addc_co_u32_e64 v13, s[0:1], v11, v13, s[0:1]
	global_load_dwordx2 v[12:13], v[12:13], off
	s_waitcnt vmcnt(0)
	v_xor_b32_e32 v13, 0x80000000, v13
.LBB25_38:
	s_or_b64 exec, exec, s[10:11]
	s_and_saveexec_b64 s[0:1], s[2:3]
; %bb.39:
	v_lshl_add_u32 v15, v1, 9, v14
	ds_write_b64 v15, v[12:13]
; %bb.40:
	s_or_b64 exec, exec, s[0:1]
	v_add_u32_e32 v15, 16, v1
	v_cmp_gt_u32_e64 s[0:1], v15, v0
	v_cmp_gt_i32_e64 s[2:3], s84, v15
	s_and_b64 s[0:1], s[0:1], s[2:3]
	s_and_b64 s[0:1], s[0:1], vcc
	s_xor_b64 s[0:1], s[0:1], -1
	s_mov_b64 s[2:3], 0
	s_and_saveexec_b64 s[10:11], s[0:1]
	s_xor_b64 s[10:11], exec, s[10:11]
; %bb.41:
	v_or_b32_e32 v12, v15, v0
	v_cmp_gt_u32_e64 s[0:1], 64, v12
	s_and_b64 s[2:3], s[0:1], exec
; %bb.42:
	s_or_saveexec_b64 s[10:11], s[10:11]
	v_mov_b32_e32 v12, 0
	v_mov_b32_e32 v13, 0
	s_xor_b64 exec, exec, s[10:11]
	s_cbranch_execz .LBB25_44
; %bb.43:
	v_mad_u64_u32 v[12:13], s[0:1], s20, v15, 0
	s_or_b64 s[2:3], s[2:3], exec
	v_mad_u64_u32 v[16:17], s[0:1], s21, v15, v[13:14]
	v_mov_b32_e32 v13, v16
	v_lshlrev_b64 v[12:13], 3, v[12:13]
	v_add_co_u32_e64 v12, s[0:1], v10, v12
	v_addc_co_u32_e64 v13, s[0:1], v11, v13, s[0:1]
	global_load_dwordx2 v[12:13], v[12:13], off
	s_waitcnt vmcnt(0)
	v_xor_b32_e32 v13, 0x80000000, v13
.LBB25_44:
	s_or_b64 exec, exec, s[10:11]
	s_and_saveexec_b64 s[0:1], s[2:3]
; %bb.45:
	v_lshl_add_u32 v15, v15, 9, v14
	ds_write_b64 v15, v[12:13]
; %bb.46:
	s_or_b64 exec, exec, s[0:1]
	v_add_u32_e32 v15, 32, v1
	v_cmp_gt_u32_e64 s[0:1], v15, v0
	v_cmp_gt_i32_e64 s[2:3], s84, v15
	s_and_b64 s[0:1], s[0:1], s[2:3]
	s_and_b64 s[0:1], s[0:1], vcc
	s_xor_b64 s[0:1], s[0:1], -1
	s_mov_b64 s[2:3], 0
	s_and_saveexec_b64 s[10:11], s[0:1]
	s_xor_b64 s[10:11], exec, s[10:11]
; %bb.47:
	v_or_b32_e32 v12, v15, v0
	v_cmp_gt_u32_e64 s[0:1], 64, v12
	s_and_b64 s[2:3], s[0:1], exec
; %bb.48:
	s_or_saveexec_b64 s[10:11], s[10:11]
	v_mov_b32_e32 v12, 0
	v_mov_b32_e32 v13, 0
	s_xor_b64 exec, exec, s[10:11]
	s_cbranch_execz .LBB25_50
; %bb.49:
	v_mad_u64_u32 v[12:13], s[0:1], s20, v15, 0
	s_or_b64 s[2:3], s[2:3], exec
	v_mad_u64_u32 v[16:17], s[0:1], s21, v15, v[13:14]
	v_mov_b32_e32 v13, v16
	v_lshlrev_b64 v[12:13], 3, v[12:13]
	v_add_co_u32_e64 v12, s[0:1], v10, v12
	v_addc_co_u32_e64 v13, s[0:1], v11, v13, s[0:1]
	global_load_dwordx2 v[12:13], v[12:13], off
	s_waitcnt vmcnt(0)
	v_xor_b32_e32 v13, 0x80000000, v13
.LBB25_50:
	s_or_b64 exec, exec, s[10:11]
	s_and_saveexec_b64 s[0:1], s[2:3]
; %bb.51:
	v_lshl_add_u32 v14, v15, 9, v14
	ds_write_b64 v14, v[12:13]
; %bb.52:
	s_or_b64 exec, exec, s[0:1]
	v_add_u32_e32 v14, 48, v1
	v_cmp_gt_u32_e64 s[0:1], v14, v0
	v_cmp_gt_i32_e64 s[2:3], s84, v14
	s_and_b64 s[0:1], s[0:1], s[2:3]
	s_and_b64 s[2:3], s[0:1], vcc
	s_mov_b64 s[0:1], -1
	s_xor_b64 s[10:11], s[2:3], -1
	s_and_saveexec_b64 s[2:3], s[10:11]
; %bb.53:
	v_or_b32_e32 v12, v14, v0
	v_cmp_gt_u32_e32 vcc, 64, v12
	s_andn2_b64 s[0:1], s[8:9], exec
	s_and_b64 s[8:9], vcc, exec
	s_or_b64 s[8:9], s[0:1], s[8:9]
	s_xor_b64 s[0:1], exec, -1
; %bb.54:
	s_or_b64 exec, exec, s[2:3]
	v_lshl_add_u32 v15, v14, 6, v0
.LBB25_55:
	v_mov_b32_e32 v12, 0
	v_mov_b32_e32 v13, 0
	s_and_saveexec_b64 s[2:3], s[0:1]
	s_cbranch_execnz .LBB25_1077
; %bb.56:
	s_or_b64 exec, exec, s[2:3]
	s_and_saveexec_b64 s[0:1], s[8:9]
.LBB25_57:
	v_lshlrev_b32_e32 v10, 3, v15
	ds_write_b64 v10, v[12:13]
.LBB25_58:
	s_or_b64 exec, exec, s[0:1]
	s_cmp_lt_i32 s6, 5
	s_cselect_b64 s[0:1], -1, 0
	s_or_b64 s[24:25], s[0:1], s[18:19]
	s_and_b64 vcc, exec, s[24:25]
	s_waitcnt vmcnt(0) lgkmcnt(0)
	s_barrier
	s_cbranch_vccnz .LBB25_1034
; %bb.59:
	v_or_b32_e32 v10, v0, v1
	s_mov_b32 s2, 0
	v_cmp_eq_u32_e32 vcc, 0, v10
	s_and_saveexec_b64 s[0:1], vcc
	s_cbranch_execz .LBB25_61
; %bb.60:
	s_mov_b32 s3, 0x3ff00000
	v_mov_b32_e32 v11, s3
	v_mov_b32_e32 v10, s2
	s_movk_i32 s2, 0x7800
	v_add_u32_e64 v12, s2, 0
	ds_write2_b64 v12, v[10:11], v[10:11] offset0:190 offset1:255
.LBB25_61:
	s_or_b64 exec, exec, s[0:1]
	v_lshlrev_b32_e32 v10, 6, v1
	v_add_u32_e32 v15, v10, v0
	v_and_b32_e32 v11, v10, v0
	v_xor_b32_e32 v10, v10, v0
	v_lshrrev_b16_e32 v10, 1, v10
	v_add_u16_e32 v14, v11, v10
	v_mov_b32_e32 v10, 0
	v_and_b32_e32 v12, 1, v0
	v_sub_u32_e32 v13, 1, v14
	v_cmp_lt_u32_e64 s[2:3], 3, v15
	v_mov_b32_e32 v11, 0
	v_cmp_gt_u32_e64 s[0:1], 4, v15
	s_waitcnt lgkmcnt(0)
	s_barrier
	buffer_wbinvl1_vol
	s_and_saveexec_b64 s[10:11], s[0:1]
	s_cbranch_execz .LBB25_65
; %bb.62:
	v_lshlrev_b32_e32 v16, 9, v13
	v_lshlrev_b32_e32 v10, 3, v12
	ds_read_b64 v[10:11], v10 offset:32224
	ds_read_b64 v[16:17], v16 offset:32240
	v_cmp_gt_u32_e64 s[8:9], 2, v15
	s_waitcnt lgkmcnt(0)
	v_fma_f64 v[10:11], v[10:11], v[16:17], 0
	s_and_saveexec_b64 s[12:13], s[8:9]
	s_cbranch_execz .LBB25_64
; %bb.63:
	v_lshlrev_b32_e32 v16, 3, v0
	v_mov_b32_e32 v18, 0
	ds_read_b64 v[16:17], v16 offset:32736
	ds_read_b64 v[18:19], v18 offset:32760
	s_waitcnt lgkmcnt(0)
	v_fma_f64 v[10:11], v[16:17], v[18:19], v[10:11]
.LBB25_64:
	s_or_b64 exec, exec, s[12:13]
.LBB25_65:
	s_or_b64 exec, exec, s[10:11]
	v_mov_b32_e32 v16, 0x8000
	v_cmp_ne_u32_e64 s[8:9], 0, v12
	s_xor_b64 s[10:11], s[2:3], -1
	v_lshl_add_u32 v14, v14, 3, v16
	s_and_b64 s[40:41], s[8:9], s[10:11]
	s_and_saveexec_b64 s[2:3], s[40:41]
; %bb.66:
	v_xor_b32_e32 v17, 0x80000000, v11
	v_mov_b32_e32 v16, v10
	ds_write_b64 v14, v[16:17]
; %bb.67:
	s_or_b64 exec, exec, s[2:3]
	v_cmp_eq_u32_e64 s[2:3], 0, v12
	s_and_b64 s[38:39], s[2:3], s[10:11]
	s_waitcnt lgkmcnt(0)
	s_barrier
	s_and_saveexec_b64 s[2:3], s[38:39]
	s_cbranch_execz .LBB25_69
; %bb.68:
	v_mov_b32_e32 v16, 0
	ds_read_b64 v[16:17], v16 offset:31712
	ds_read_b64 v[18:19], v14
	s_waitcnt lgkmcnt(0)
	v_fma_f64 v[10:11], -v[16:17], v[18:19], v[10:11]
.LBB25_69:
	s_or_b64 exec, exec, s[2:3]
	s_barrier
	s_and_saveexec_b64 s[2:3], s[38:39]
; %bb.70:
	v_xor_b32_e32 v17, 0x80000000, v11
	v_mov_b32_e32 v16, v10
	ds_write_b64 v14, v[16:17]
; %bb.71:
	s_or_b64 exec, exec, s[2:3]
	s_waitcnt lgkmcnt(0)
	s_barrier
	s_barrier
	s_and_saveexec_b64 s[2:3], s[0:1]
; %bb.72:
	v_lshlrev_b32_e32 v16, 3, v12
	v_lshl_or_b32 v16, v13, 9, v16
	ds_write_b64 v16, v[10:11] offset:32224
; %bb.73:
	s_or_b64 exec, exec, s[2:3]
	s_waitcnt lgkmcnt(0)
	s_barrier
	s_barrier
	s_and_saveexec_b64 s[2:3], vcc
	s_cbranch_execz .LBB25_75
; %bb.74:
	s_mov_b64 s[8:9], 1.0
	v_mov_b32_e32 v11, s9
	v_mov_b32_e32 v10, s8
	s_movk_i32 s8, 0x7800
	v_add_u32_e64 v16, s8, 0
	ds_write2_b64 v16, v[10:11], v[10:11] offset0:60 offset1:125
.LBB25_75:
	s_or_b64 exec, exec, s[2:3]
	v_lshrrev_b32_e32 v18, 2, v15
	v_mov_b32_e32 v10, 0
	v_and_b32_e32 v16, 3, v0
	v_sub_u32_e32 v17, 3, v18
	v_cmp_lt_u32_e64 s[8:9], 15, v15
	v_mov_b32_e32 v11, 0
	v_cmp_gt_u32_e64 s[2:3], 16, v15
	s_waitcnt lgkmcnt(0)
	s_barrier
	buffer_wbinvl1_vol
	s_and_saveexec_b64 s[12:13], s[2:3]
	s_cbranch_execz .LBB25_81
; %bb.76:
	v_lshlrev_b32_e32 v20, 3, v16
	v_lshlrev_b32_e32 v19, 9, v17
	ds_read_b64 v[10:11], v20 offset:31168
	ds_read_b64 v[21:22], v19 offset:31200
	v_cmp_gt_u32_e64 s[10:11], 12, v15
	s_waitcnt lgkmcnt(0)
	v_fma_f64 v[10:11], v[10:11], v[21:22], 0
	s_and_saveexec_b64 s[14:15], s[10:11]
	s_cbranch_execnz .LBB25_1108
; %bb.77:
	s_or_b64 exec, exec, s[14:15]
	v_cmp_gt_u32_e64 s[10:11], 8, v15
	s_and_saveexec_b64 s[14:15], s[10:11]
	s_cbranch_execnz .LBB25_1109
.LBB25_78:
	s_or_b64 exec, exec, s[14:15]
	v_cmp_gt_u32_e64 s[10:11], 4, v15
	s_and_saveexec_b64 s[14:15], s[10:11]
	s_cbranch_execz .LBB25_80
.LBB25_79:
	v_lshlrev_b32_e32 v19, 3, v0
	v_mov_b32_e32 v21, 0
	ds_read_b64 v[19:20], v19 offset:32704
	ds_read_b64 v[21:22], v21 offset:32760
	s_waitcnt lgkmcnt(0)
	v_fma_f64 v[10:11], v[19:20], v[21:22], v[10:11]
.LBB25_80:
	s_or_b64 exec, exec, s[14:15]
.LBB25_81:
                                        ; implicit-def: $vgpr34 : SGPR spill to VGPR lane
	v_writelane_b32 v34, s16, 0
	v_writelane_b32 v34, s17, 1
	s_or_b64 exec, exec, s[12:13]
	v_mov_b32_e32 v19, 0x8000
	v_cmp_eq_u32_e64 s[10:11], 3, v16
	s_xor_b64 s[12:13], s[8:9], -1
	v_lshl_add_u32 v18, v18, 3, v19
	s_and_b64 s[44:45], s[10:11], s[12:13]
	s_and_saveexec_b64 s[8:9], s[44:45]
; %bb.82:
	v_xor_b32_e32 v20, 0x80000000, v11
	v_mov_b32_e32 v19, v10
	ds_write_b64 v18, v[19:20]
; %bb.83:
	s_or_b64 exec, exec, s[8:9]
	v_cmp_ne_u32_e64 s[8:9], 3, v16
	s_and_b64 s[46:47], s[8:9], s[12:13]
	s_waitcnt lgkmcnt(0)
	s_barrier
	s_and_saveexec_b64 s[8:9], s[46:47]
	s_cbranch_execz .LBB25_85
; %bb.84:
	v_lshlrev_b32_e32 v19, 3, v16
	ds_read_b64 v[19:20], v19 offset:30656
	ds_read_b64 v[21:22], v18
	s_waitcnt lgkmcnt(0)
	v_fma_f64 v[10:11], -v[19:20], v[21:22], v[10:11]
.LBB25_85:
	s_or_b64 exec, exec, s[8:9]
	v_cmp_eq_u32_e64 s[8:9], 2, v16
	s_and_b64 s[48:49], s[8:9], s[12:13]
	s_barrier
	s_and_saveexec_b64 s[8:9], s[48:49]
; %bb.86:
	v_xor_b32_e32 v20, 0x80000000, v11
	v_mov_b32_e32 v19, v10
	ds_write_b64 v18, v[19:20]
; %bb.87:
	s_or_b64 exec, exec, s[8:9]
	v_cmp_gt_u32_e64 s[8:9], 2, v16
	s_and_b64 s[50:51], s[8:9], s[12:13]
	s_waitcnt lgkmcnt(0)
	s_barrier
	s_and_saveexec_b64 s[8:9], s[50:51]
	s_cbranch_execz .LBB25_89
; %bb.88:
	v_lshlrev_b32_e32 v19, 3, v16
	ds_read_b64 v[19:20], v19 offset:30144
	ds_read_b64 v[21:22], v18
	s_waitcnt lgkmcnt(0)
	v_fma_f64 v[10:11], -v[19:20], v[21:22], v[10:11]
.LBB25_89:
	s_or_b64 exec, exec, s[8:9]
	v_cmp_eq_u32_e64 s[8:9], 1, v16
	s_and_b64 s[52:53], s[8:9], s[12:13]
	s_barrier
	s_and_saveexec_b64 s[8:9], s[52:53]
; %bb.90:
	v_xor_b32_e32 v20, 0x80000000, v11
	v_mov_b32_e32 v19, v10
	ds_write_b64 v18, v[19:20]
; %bb.91:
	s_or_b64 exec, exec, s[8:9]
	v_cmp_eq_u32_e64 s[8:9], 0, v16
	s_and_b64 s[42:43], s[8:9], s[12:13]
	s_waitcnt lgkmcnt(0)
	s_barrier
	s_and_saveexec_b64 s[8:9], s[42:43]
	s_cbranch_execz .LBB25_93
; %bb.92:
	v_mov_b32_e32 v19, 0
	ds_read_b64 v[19:20], v19 offset:29632
	ds_read_b64 v[21:22], v18
	s_waitcnt lgkmcnt(0)
	v_fma_f64 v[10:11], -v[19:20], v[21:22], v[10:11]
.LBB25_93:
	s_or_b64 exec, exec, s[8:9]
	s_barrier
	s_and_saveexec_b64 s[8:9], s[42:43]
; %bb.94:
	v_xor_b32_e32 v20, 0x80000000, v11
	v_mov_b32_e32 v19, v10
	ds_write_b64 v18, v[19:20]
; %bb.95:
	s_or_b64 exec, exec, s[8:9]
	s_waitcnt lgkmcnt(0)
	s_barrier
	s_barrier
	s_and_saveexec_b64 s[8:9], s[2:3]
; %bb.96:
	v_lshlrev_b32_e32 v19, 3, v16
	v_lshl_or_b32 v19, v17, 9, v19
	ds_write_b64 v19, v[10:11] offset:31168
; %bb.97:
	s_or_b64 exec, exec, s[8:9]
	s_waitcnt lgkmcnt(0)
	s_barrier
	s_barrier
	s_and_saveexec_b64 s[8:9], vcc
	s_cbranch_execz .LBB25_99
; %bb.98:
	s_mov_b64 s[10:11], 1.0
	v_mov_b32_e32 v10, s10
	v_mov_b32_e32 v11, s11
	s_movk_i32 s10, 0x7000
	v_add_u32_e64 v19, s10, 0
	ds_write2_b64 v19, v[10:11], v[10:11] offset0:186 offset1:251
.LBB25_99:
	s_or_b64 exec, exec, s[8:9]
	v_mov_b32_e32 v10, 0
	v_mov_b32_e32 v11, 0
	s_waitcnt lgkmcnt(0)
	s_barrier
	buffer_wbinvl1_vol
	s_and_saveexec_b64 s[10:11], s[0:1]
	s_cbranch_execz .LBB25_103
; %bb.100:
	v_lshlrev_b32_e32 v19, 9, v13
	v_lshlrev_b32_e32 v10, 3, v12
	ds_read_b64 v[10:11], v10 offset:30144
	ds_read_b64 v[19:20], v19 offset:30160
	v_cmp_gt_u32_e64 s[8:9], 2, v15
	s_waitcnt lgkmcnt(0)
	v_fma_f64 v[10:11], v[10:11], v[19:20], 0
	s_and_saveexec_b64 s[12:13], s[8:9]
	s_cbranch_execz .LBB25_102
; %bb.101:
	v_lshlrev_b32_e32 v19, 3, v0
	v_mov_b32_e32 v21, 0
	ds_read_b64 v[19:20], v19 offset:30656
	ds_read_b64 v[21:22], v21 offset:30680
	s_waitcnt lgkmcnt(0)
	v_fma_f64 v[10:11], v[19:20], v[21:22], v[10:11]
.LBB25_102:
	s_or_b64 exec, exec, s[12:13]
.LBB25_103:
	s_or_b64 exec, exec, s[10:11]
	s_and_saveexec_b64 s[8:9], s[40:41]
; %bb.104:
	v_xor_b32_e32 v20, 0x80000000, v11
	v_mov_b32_e32 v19, v10
	ds_write_b64 v14, v[19:20]
; %bb.105:
	s_or_b64 exec, exec, s[8:9]
	s_waitcnt lgkmcnt(0)
	s_barrier
	s_and_saveexec_b64 s[8:9], s[38:39]
	s_cbranch_execz .LBB25_107
; %bb.106:
	v_mov_b32_e32 v19, 0
	ds_read_b64 v[19:20], v19 offset:29632
	ds_read_b64 v[21:22], v14
	s_waitcnt lgkmcnt(0)
	v_fma_f64 v[10:11], -v[19:20], v[21:22], v[10:11]
.LBB25_107:
	s_or_b64 exec, exec, s[8:9]
	s_barrier
	s_and_saveexec_b64 s[8:9], s[38:39]
; %bb.108:
	v_xor_b32_e32 v20, 0x80000000, v11
	v_mov_b32_e32 v19, v10
	ds_write_b64 v14, v[19:20]
; %bb.109:
	s_or_b64 exec, exec, s[8:9]
	s_waitcnt lgkmcnt(0)
	s_barrier
	s_barrier
	s_and_saveexec_b64 s[8:9], s[0:1]
; %bb.110:
	v_lshlrev_b32_e32 v19, 3, v12
	v_lshl_or_b32 v19, v13, 9, v19
	ds_write_b64 v19, v[10:11] offset:30144
; %bb.111:
	s_or_b64 exec, exec, s[8:9]
	s_waitcnt lgkmcnt(0)
	s_barrier
	s_barrier
	s_and_saveexec_b64 s[8:9], vcc
	s_cbranch_execz .LBB25_113
; %bb.112:
	s_mov_b64 s[10:11], 1.0
	v_mov_b32_e32 v10, s10
	v_mov_b32_e32 v11, s11
	s_movk_i32 s10, 0x7000
	v_add_u32_e64 v19, s10, 0
	ds_write2_b64 v19, v[10:11], v[10:11] offset0:56 offset1:121
.LBB25_113:
	s_or_b64 exec, exec, s[8:9]
	v_lshrrev_b32_e32 v21, 3, v15
	v_mov_b32_e32 v10, 0
	v_and_b32_e32 v19, 7, v0
	v_sub_u32_e32 v20, 7, v21
	v_cmp_lt_u32_e64 s[8:9], 63, v15
	v_mov_b32_e32 v11, 0
	v_cmp_gt_u32_e64 s[14:15], 64, v15
	s_waitcnt lgkmcnt(0)
	s_barrier
	buffer_wbinvl1_vol
	s_and_saveexec_b64 s[12:13], s[14:15]
	s_cbranch_execz .LBB25_123
; %bb.114:
	v_lshlrev_b32_e32 v23, 3, v19
	v_lshlrev_b32_e32 v22, 9, v20
	ds_read_b64 v[10:11], v23 offset:29056
	ds_read_b64 v[24:25], v22 offset:29120
	v_cmp_gt_u32_e64 s[10:11], 56, v15
	s_waitcnt lgkmcnt(0)
	v_fma_f64 v[10:11], v[10:11], v[24:25], 0
	s_and_saveexec_b64 s[16:17], s[10:11]
	s_cbranch_execnz .LBB25_1110
; %bb.115:
	s_or_b64 exec, exec, s[16:17]
	v_cmp_gt_u32_e64 s[10:11], 48, v15
	s_and_saveexec_b64 s[16:17], s[10:11]
	s_cbranch_execnz .LBB25_1111
.LBB25_116:
	s_or_b64 exec, exec, s[16:17]
	v_cmp_gt_u32_e64 s[10:11], 40, v15
	s_and_saveexec_b64 s[16:17], s[10:11]
	s_cbranch_execnz .LBB25_1112
.LBB25_117:
	s_or_b64 exec, exec, s[16:17]
	v_cmp_gt_u32_e64 s[10:11], 32, v15
	s_and_saveexec_b64 s[16:17], s[10:11]
	s_cbranch_execnz .LBB25_1113
.LBB25_118:
	s_or_b64 exec, exec, s[16:17]
	v_cmp_gt_u32_e64 s[10:11], 24, v15
	s_and_saveexec_b64 s[16:17], s[10:11]
	s_cbranch_execnz .LBB25_1114
.LBB25_119:
	s_or_b64 exec, exec, s[16:17]
	s_and_saveexec_b64 s[10:11], s[2:3]
	s_cbranch_execnz .LBB25_1115
.LBB25_120:
	s_or_b64 exec, exec, s[10:11]
	v_cmp_gt_u32_e64 s[10:11], 8, v15
	s_and_saveexec_b64 s[16:17], s[10:11]
	s_cbranch_execz .LBB25_122
.LBB25_121:
	v_lshlrev_b32_e32 v22, 3, v0
	v_mov_b32_e32 v24, 0
	ds_read_b64 v[22:23], v22 offset:32640
	ds_read_b64 v[24:25], v24 offset:32760
	s_waitcnt lgkmcnt(0)
	v_fma_f64 v[10:11], v[22:23], v[24:25], v[10:11]
.LBB25_122:
	s_or_b64 exec, exec, s[16:17]
.LBB25_123:
	s_or_b64 exec, exec, s[12:13]
	v_mov_b32_e32 v22, 0x8000
	v_cmp_eq_u32_e64 s[10:11], 7, v19
	s_xor_b64 s[12:13], s[8:9], -1
	v_lshl_add_u32 v21, v21, 3, v22
	s_and_b64 s[54:55], s[10:11], s[12:13]
	s_and_saveexec_b64 s[8:9], s[54:55]
; %bb.124:
	v_xor_b32_e32 v23, 0x80000000, v11
	v_mov_b32_e32 v22, v10
	ds_write_b64 v21, v[22:23]
; %bb.125:
	s_or_b64 exec, exec, s[8:9]
	v_cmp_ne_u32_e64 s[8:9], 7, v19
	s_and_b64 s[56:57], s[8:9], s[12:13]
	s_waitcnt lgkmcnt(0)
	s_barrier
	s_and_saveexec_b64 s[8:9], s[56:57]
	s_cbranch_execz .LBB25_127
; %bb.126:
	v_lshlrev_b32_e32 v22, 3, v19
	ds_read_b64 v[22:23], v22 offset:28544
	ds_read_b64 v[24:25], v21
	s_waitcnt lgkmcnt(0)
	v_fma_f64 v[10:11], -v[22:23], v[24:25], v[10:11]
.LBB25_127:
	s_or_b64 exec, exec, s[8:9]
	v_cmp_eq_u32_e64 s[8:9], 6, v19
	s_and_b64 s[58:59], s[8:9], s[12:13]
	s_barrier
	s_and_saveexec_b64 s[8:9], s[58:59]
; %bb.128:
	v_xor_b32_e32 v23, 0x80000000, v11
	v_mov_b32_e32 v22, v10
	ds_write_b64 v21, v[22:23]
; %bb.129:
	s_or_b64 exec, exec, s[8:9]
	v_cmp_gt_u32_e64 s[8:9], 6, v19
	s_and_b64 s[60:61], s[8:9], s[12:13]
	s_waitcnt lgkmcnt(0)
	s_barrier
	s_and_saveexec_b64 s[8:9], s[60:61]
	s_cbranch_execz .LBB25_131
; %bb.130:
	v_lshlrev_b32_e32 v22, 3, v19
	ds_read_b64 v[22:23], v22 offset:28032
	ds_read_b64 v[24:25], v21
	s_waitcnt lgkmcnt(0)
	v_fma_f64 v[10:11], -v[22:23], v[24:25], v[10:11]
.LBB25_131:
	s_or_b64 exec, exec, s[8:9]
	v_cmp_eq_u32_e64 s[8:9], 5, v19
	s_and_b64 s[62:63], s[8:9], s[12:13]
	s_barrier
	s_and_saveexec_b64 s[8:9], s[62:63]
; %bb.132:
	v_xor_b32_e32 v23, 0x80000000, v11
	v_mov_b32_e32 v22, v10
	ds_write_b64 v21, v[22:23]
; %bb.133:
	s_or_b64 exec, exec, s[8:9]
	v_cmp_gt_u32_e64 s[8:9], 5, v19
	;; [unrolled: 24-line block ×5, first 2 shown]
	s_and_b64 s[78:79], s[8:9], s[12:13]
	s_waitcnt lgkmcnt(0)
	s_barrier
	s_and_saveexec_b64 s[8:9], s[78:79]
	s_cbranch_execz .LBB25_147
; %bb.146:
	v_lshlrev_b32_e32 v22, 3, v19
	ds_read_b64 v[22:23], v22 offset:25984
	ds_read_b64 v[24:25], v21
	s_waitcnt lgkmcnt(0)
	v_fma_f64 v[10:11], -v[22:23], v[24:25], v[10:11]
.LBB25_147:
	s_or_b64 exec, exec, s[8:9]
	v_cmp_eq_u32_e64 s[8:9], 1, v19
	s_and_b64 s[80:81], s[8:9], s[12:13]
	s_barrier
	s_and_saveexec_b64 s[8:9], s[80:81]
; %bb.148:
	v_xor_b32_e32 v23, 0x80000000, v11
	v_mov_b32_e32 v22, v10
	ds_write_b64 v21, v[22:23]
; %bb.149:
	s_or_b64 exec, exec, s[8:9]
	v_cmp_eq_u32_e64 s[8:9], 0, v19
	s_and_b64 s[64:65], s[8:9], s[12:13]
	s_waitcnt lgkmcnt(0)
	s_barrier
	s_and_saveexec_b64 s[8:9], s[64:65]
	s_cbranch_execz .LBB25_151
; %bb.150:
	v_mov_b32_e32 v22, 0
	ds_read_b64 v[22:23], v22 offset:25472
	ds_read_b64 v[24:25], v21
	s_waitcnt lgkmcnt(0)
	v_fma_f64 v[10:11], -v[22:23], v[24:25], v[10:11]
.LBB25_151:
	s_or_b64 exec, exec, s[8:9]
	s_barrier
	s_and_saveexec_b64 s[8:9], s[64:65]
; %bb.152:
	v_xor_b32_e32 v23, 0x80000000, v11
	v_mov_b32_e32 v22, v10
	ds_write_b64 v21, v[22:23]
; %bb.153:
	s_or_b64 exec, exec, s[8:9]
	s_waitcnt lgkmcnt(0)
	s_barrier
	s_barrier
	s_and_saveexec_b64 s[8:9], s[14:15]
; %bb.154:
	v_lshlrev_b32_e32 v22, 3, v19
	v_lshl_or_b32 v22, v20, 9, v22
	ds_write_b64 v22, v[10:11] offset:29056
; %bb.155:
	s_or_b64 exec, exec, s[8:9]
	s_waitcnt lgkmcnt(0)
	s_barrier
	s_barrier
	s_and_saveexec_b64 s[8:9], vcc
	s_cbranch_execz .LBB25_157
; %bb.156:
	s_mov_b64 s[10:11], 1.0
	v_mov_b32_e32 v10, s10
	v_mov_b32_e32 v11, s11
	s_movk_i32 s10, 0x6800
	v_add_u32_e64 v22, s10, 0
	ds_write2_b64 v22, v[10:11], v[10:11] offset0:182 offset1:247
.LBB25_157:
	s_or_b64 exec, exec, s[8:9]
	v_mov_b32_e32 v10, 0
	v_mov_b32_e32 v11, 0
	s_waitcnt lgkmcnt(0)
	s_barrier
	buffer_wbinvl1_vol
	s_and_saveexec_b64 s[10:11], s[0:1]
	s_cbranch_execz .LBB25_161
; %bb.158:
	v_lshlrev_b32_e32 v22, 9, v13
	v_lshlrev_b32_e32 v10, 3, v12
	ds_read_b64 v[10:11], v10 offset:28064
	ds_read_b64 v[22:23], v22 offset:28080
	v_cmp_gt_u32_e64 s[8:9], 2, v15
	s_waitcnt lgkmcnt(0)
	v_fma_f64 v[10:11], v[10:11], v[22:23], 0
	s_and_saveexec_b64 s[12:13], s[8:9]
	s_cbranch_execz .LBB25_160
; %bb.159:
	v_lshlrev_b32_e32 v22, 3, v0
	v_mov_b32_e32 v24, 0
	ds_read_b64 v[22:23], v22 offset:28576
	ds_read_b64 v[24:25], v24 offset:28600
	s_waitcnt lgkmcnt(0)
	v_fma_f64 v[10:11], v[22:23], v[24:25], v[10:11]
.LBB25_160:
	s_or_b64 exec, exec, s[12:13]
.LBB25_161:
	s_or_b64 exec, exec, s[10:11]
	s_and_saveexec_b64 s[8:9], s[40:41]
; %bb.162:
	v_xor_b32_e32 v23, 0x80000000, v11
	v_mov_b32_e32 v22, v10
	ds_write_b64 v14, v[22:23]
; %bb.163:
	s_or_b64 exec, exec, s[8:9]
	s_waitcnt lgkmcnt(0)
	s_barrier
	s_and_saveexec_b64 s[8:9], s[38:39]
	s_cbranch_execz .LBB25_165
; %bb.164:
	v_mov_b32_e32 v22, 0
	ds_read_b64 v[22:23], v22 offset:27552
	ds_read_b64 v[24:25], v14
	s_waitcnt lgkmcnt(0)
	v_fma_f64 v[10:11], -v[22:23], v[24:25], v[10:11]
.LBB25_165:
	s_or_b64 exec, exec, s[8:9]
	s_barrier
	s_and_saveexec_b64 s[8:9], s[38:39]
; %bb.166:
	v_xor_b32_e32 v23, 0x80000000, v11
	v_mov_b32_e32 v22, v10
	ds_write_b64 v14, v[22:23]
; %bb.167:
	s_or_b64 exec, exec, s[8:9]
	s_waitcnt lgkmcnt(0)
	s_barrier
	s_barrier
	s_and_saveexec_b64 s[8:9], s[0:1]
; %bb.168:
	v_lshlrev_b32_e32 v22, 3, v12
	v_lshl_or_b32 v22, v13, 9, v22
	ds_write_b64 v22, v[10:11] offset:28064
; %bb.169:
	s_or_b64 exec, exec, s[8:9]
	s_waitcnt lgkmcnt(0)
	s_barrier
	s_barrier
	s_and_saveexec_b64 s[8:9], vcc
	s_cbranch_execz .LBB25_171
; %bb.170:
	s_mov_b64 s[10:11], 1.0
	v_mov_b32_e32 v10, s10
	v_mov_b32_e32 v11, s11
	s_movk_i32 s10, 0x6800
	v_add_u32_e64 v22, s10, 0
	ds_write2_b64 v22, v[10:11], v[10:11] offset0:52 offset1:117
.LBB25_171:
	s_or_b64 exec, exec, s[8:9]
	v_mov_b32_e32 v10, 0
	v_mov_b32_e32 v11, 0
	s_waitcnt lgkmcnt(0)
	s_barrier
	buffer_wbinvl1_vol
	s_and_saveexec_b64 s[10:11], s[2:3]
	s_cbranch_execz .LBB25_177
; %bb.172:
	v_lshlrev_b32_e32 v23, 3, v16
	v_lshlrev_b32_e32 v22, 9, v17
	ds_read_b64 v[10:11], v23 offset:27008
	ds_read_b64 v[24:25], v22 offset:27040
	v_cmp_gt_u32_e64 s[8:9], 12, v15
	s_waitcnt lgkmcnt(0)
	v_fma_f64 v[10:11], v[10:11], v[24:25], 0
	s_and_saveexec_b64 s[12:13], s[8:9]
	s_cbranch_execnz .LBB25_1116
; %bb.173:
	s_or_b64 exec, exec, s[12:13]
	v_cmp_gt_u32_e64 s[8:9], 8, v15
	s_and_saveexec_b64 s[12:13], s[8:9]
	s_cbranch_execnz .LBB25_1117
.LBB25_174:
	s_or_b64 exec, exec, s[12:13]
	v_cmp_gt_u32_e64 s[8:9], 4, v15
	s_and_saveexec_b64 s[12:13], s[8:9]
	s_cbranch_execz .LBB25_176
.LBB25_175:
	v_lshlrev_b32_e32 v22, 3, v0
	v_mov_b32_e32 v24, 0
	ds_read_b64 v[22:23], v22 offset:28544
	ds_read_b64 v[24:25], v24 offset:28600
	s_waitcnt lgkmcnt(0)
	v_fma_f64 v[10:11], v[22:23], v[24:25], v[10:11]
.LBB25_176:
	s_or_b64 exec, exec, s[12:13]
.LBB25_177:
	s_or_b64 exec, exec, s[10:11]
	s_and_saveexec_b64 s[8:9], s[44:45]
; %bb.178:
	v_xor_b32_e32 v23, 0x80000000, v11
	v_mov_b32_e32 v22, v10
	ds_write_b64 v18, v[22:23]
; %bb.179:
	s_or_b64 exec, exec, s[8:9]
	s_waitcnt lgkmcnt(0)
	s_barrier
	s_and_saveexec_b64 s[8:9], s[46:47]
	s_cbranch_execz .LBB25_181
; %bb.180:
	v_lshlrev_b32_e32 v22, 3, v16
	ds_read_b64 v[22:23], v22 offset:26496
	ds_read_b64 v[24:25], v18
	s_waitcnt lgkmcnt(0)
	v_fma_f64 v[10:11], -v[22:23], v[24:25], v[10:11]
.LBB25_181:
	s_or_b64 exec, exec, s[8:9]
	s_barrier
	s_and_saveexec_b64 s[8:9], s[48:49]
; %bb.182:
	v_xor_b32_e32 v23, 0x80000000, v11
	v_mov_b32_e32 v22, v10
	ds_write_b64 v18, v[22:23]
; %bb.183:
	s_or_b64 exec, exec, s[8:9]
	s_waitcnt lgkmcnt(0)
	s_barrier
	s_and_saveexec_b64 s[8:9], s[50:51]
	s_cbranch_execz .LBB25_185
; %bb.184:
	v_lshlrev_b32_e32 v22, 3, v16
	ds_read_b64 v[22:23], v22 offset:25984
	ds_read_b64 v[24:25], v18
	s_waitcnt lgkmcnt(0)
	v_fma_f64 v[10:11], -v[22:23], v[24:25], v[10:11]
.LBB25_185:
	s_or_b64 exec, exec, s[8:9]
	s_barrier
	s_and_saveexec_b64 s[8:9], s[52:53]
; %bb.186:
	v_xor_b32_e32 v23, 0x80000000, v11
	v_mov_b32_e32 v22, v10
	ds_write_b64 v18, v[22:23]
; %bb.187:
	s_or_b64 exec, exec, s[8:9]
	s_waitcnt lgkmcnt(0)
	s_barrier
	s_and_saveexec_b64 s[8:9], s[42:43]
	s_cbranch_execz .LBB25_189
; %bb.188:
	v_mov_b32_e32 v22, 0
	ds_read_b64 v[22:23], v22 offset:25472
	ds_read_b64 v[24:25], v18
	s_waitcnt lgkmcnt(0)
	v_fma_f64 v[10:11], -v[22:23], v[24:25], v[10:11]
.LBB25_189:
	s_or_b64 exec, exec, s[8:9]
	s_barrier
	s_and_saveexec_b64 s[8:9], s[42:43]
; %bb.190:
	v_xor_b32_e32 v23, 0x80000000, v11
	v_mov_b32_e32 v22, v10
	ds_write_b64 v18, v[22:23]
; %bb.191:
	s_or_b64 exec, exec, s[8:9]
	s_waitcnt lgkmcnt(0)
	s_barrier
	s_barrier
	s_and_saveexec_b64 s[8:9], s[2:3]
; %bb.192:
	v_lshlrev_b32_e32 v22, 3, v16
	v_lshl_or_b32 v22, v17, 9, v22
	ds_write_b64 v22, v[10:11] offset:27008
; %bb.193:
	s_or_b64 exec, exec, s[8:9]
	s_waitcnt lgkmcnt(0)
	s_barrier
	s_barrier
	s_and_saveexec_b64 s[8:9], vcc
	s_cbranch_execz .LBB25_195
; %bb.194:
	s_mov_b64 s[10:11], 1.0
	v_mov_b32_e32 v10, s10
	v_mov_b32_e32 v11, s11
	s_movk_i32 s10, 0x6000
	v_add_u32_e64 v22, s10, 0
	ds_write2_b64 v22, v[10:11], v[10:11] offset0:178 offset1:243
.LBB25_195:
	s_or_b64 exec, exec, s[8:9]
	v_mov_b32_e32 v10, 0
	v_mov_b32_e32 v11, 0
	s_waitcnt lgkmcnt(0)
	s_barrier
	buffer_wbinvl1_vol
	s_and_saveexec_b64 s[10:11], s[0:1]
	s_cbranch_execz .LBB25_199
; %bb.196:
	v_lshlrev_b32_e32 v22, 9, v13
	v_lshlrev_b32_e32 v10, 3, v12
	ds_read_b64 v[10:11], v10 offset:25984
	ds_read_b64 v[22:23], v22 offset:26000
	v_cmp_gt_u32_e64 s[8:9], 2, v15
	s_waitcnt lgkmcnt(0)
	v_fma_f64 v[10:11], v[10:11], v[22:23], 0
	s_and_saveexec_b64 s[12:13], s[8:9]
	s_cbranch_execz .LBB25_198
; %bb.197:
	v_lshlrev_b32_e32 v22, 3, v0
	v_mov_b32_e32 v24, 0
	ds_read_b64 v[22:23], v22 offset:26496
	ds_read_b64 v[24:25], v24 offset:26520
	s_waitcnt lgkmcnt(0)
	v_fma_f64 v[10:11], v[22:23], v[24:25], v[10:11]
.LBB25_198:
	s_or_b64 exec, exec, s[12:13]
.LBB25_199:
	s_or_b64 exec, exec, s[10:11]
	s_and_saveexec_b64 s[8:9], s[40:41]
; %bb.200:
	v_xor_b32_e32 v23, 0x80000000, v11
	v_mov_b32_e32 v22, v10
	ds_write_b64 v14, v[22:23]
; %bb.201:
	s_or_b64 exec, exec, s[8:9]
	s_waitcnt lgkmcnt(0)
	s_barrier
	s_and_saveexec_b64 s[8:9], s[38:39]
	s_cbranch_execz .LBB25_203
; %bb.202:
	v_mov_b32_e32 v22, 0
	ds_read_b64 v[22:23], v22 offset:25472
	ds_read_b64 v[24:25], v14
	s_waitcnt lgkmcnt(0)
	v_fma_f64 v[10:11], -v[22:23], v[24:25], v[10:11]
.LBB25_203:
	s_or_b64 exec, exec, s[8:9]
	s_barrier
	s_and_saveexec_b64 s[8:9], s[38:39]
; %bb.204:
	v_xor_b32_e32 v23, 0x80000000, v11
	v_mov_b32_e32 v22, v10
	ds_write_b64 v14, v[22:23]
; %bb.205:
	s_or_b64 exec, exec, s[8:9]
	s_waitcnt lgkmcnt(0)
	s_barrier
	s_barrier
	s_and_saveexec_b64 s[8:9], s[0:1]
; %bb.206:
	v_lshlrev_b32_e32 v22, 3, v12
	v_lshl_or_b32 v22, v13, 9, v22
	ds_write_b64 v22, v[10:11] offset:25984
; %bb.207:
	s_or_b64 exec, exec, s[8:9]
	s_waitcnt lgkmcnt(0)
	s_barrier
	s_barrier
	s_and_saveexec_b64 s[8:9], vcc
	s_cbranch_execz .LBB25_209
; %bb.208:
	s_mov_b64 s[10:11], 1.0
	v_mov_b32_e32 v10, s10
	v_mov_b32_e32 v11, s11
	s_movk_i32 s10, 0x6000
	v_add_u32_e64 v22, s10, 0
	ds_write2_b64 v22, v[10:11], v[10:11] offset0:48 offset1:113
.LBB25_209:
	s_or_b64 exec, exec, s[8:9]
	s_movk_i32 s8, 0xff
	v_lshrrev_b32_e32 v24, 4, v15
	v_cmp_lt_u32_e64 s[10:11], s8, v15
	s_movk_i32 s8, 0x100
	v_mov_b32_e32 v10, 0
	v_and_b32_e32 v22, 15, v0
	v_sub_u32_e32 v23, 15, v24
	v_mov_b32_e32 v11, 0
	v_cmp_gt_u32_e64 s[8:9], s8, v15
	s_waitcnt lgkmcnt(0)
	s_barrier
	buffer_wbinvl1_vol
	s_and_saveexec_b64 s[16:17], s[8:9]
	s_cbranch_execz .LBB25_237
; %bb.210:
	v_lshlrev_b32_e32 v26, 3, v22
	v_lshlrev_b32_e32 v25, 9, v23
	ds_read_b64 v[10:11], v26 offset:24832
	ds_read_b64 v[27:28], v25 offset:24960
	s_movk_i32 s12, 0xf0
	v_cmp_gt_u32_e64 s[12:13], s12, v15
	s_waitcnt lgkmcnt(0)
	v_fma_f64 v[10:11], v[10:11], v[27:28], 0
	s_and_saveexec_b64 s[22:23], s[12:13]
	s_cbranch_execz .LBB25_212
; %bb.211:
	ds_read_b64 v[27:28], v26 offset:25344
	ds_read_b64 v[29:30], v25 offset:24968
	s_waitcnt lgkmcnt(0)
	v_fma_f64 v[10:11], v[27:28], v[29:30], v[10:11]
.LBB25_212:
	s_or_b64 exec, exec, s[22:23]
	s_movk_i32 s12, 0xe0
	v_cmp_gt_u32_e64 s[12:13], s12, v15
	s_and_saveexec_b64 s[22:23], s[12:13]
	s_cbranch_execz .LBB25_214
; %bb.213:
	ds_read_b64 v[27:28], v26 offset:25856
	ds_read_b64 v[29:30], v25 offset:24976
	s_waitcnt lgkmcnt(0)
	v_fma_f64 v[10:11], v[27:28], v[29:30], v[10:11]
.LBB25_214:
	s_or_b64 exec, exec, s[22:23]
	s_movk_i32 s12, 0xd0
	v_cmp_gt_u32_e64 s[12:13], s12, v15
	;; [unrolled: 11-line block ×10, first 2 shown]
	s_and_saveexec_b64 s[22:23], s[12:13]
	s_cbranch_execnz .LBB25_1118
; %bb.231:
	s_or_b64 exec, exec, s[22:23]
	s_and_saveexec_b64 s[12:13], s[14:15]
	s_cbranch_execnz .LBB25_1119
.LBB25_232:
	s_or_b64 exec, exec, s[12:13]
	v_cmp_gt_u32_e64 s[12:13], 48, v15
	s_and_saveexec_b64 s[22:23], s[12:13]
	s_cbranch_execnz .LBB25_1120
.LBB25_233:
	s_or_b64 exec, exec, s[22:23]
	v_cmp_gt_u32_e64 s[12:13], 32, v15
	s_and_saveexec_b64 s[22:23], s[12:13]
	s_cbranch_execnz .LBB25_1121
.LBB25_234:
	s_or_b64 exec, exec, s[22:23]
	v_cmp_gt_u32_e64 s[12:13], 16, v15
	s_and_saveexec_b64 s[22:23], s[12:13]
	s_cbranch_execz .LBB25_236
.LBB25_235:
	v_lshlrev_b32_e32 v25, 3, v0
	v_mov_b32_e32 v27, 0
	ds_read_b64 v[25:26], v25 offset:32512
	ds_read_b64 v[27:28], v27 offset:32760
	s_waitcnt lgkmcnt(0)
	v_fma_f64 v[10:11], v[25:26], v[27:28], v[10:11]
.LBB25_236:
	s_or_b64 exec, exec, s[22:23]
.LBB25_237:
	s_or_b64 exec, exec, s[16:17]
	v_mov_b32_e32 v25, 0x8000
	v_lshl_add_u32 v24, v24, 3, v25
	v_cmp_eq_u32_e64 s[12:13], 15, v22
	s_xor_b64 s[16:17], s[10:11], -1
	s_and_b64 s[12:13], s[12:13], s[16:17]
	s_mov_b64 s[10:11], exec
	v_writelane_b32 v34, s12, 2
	v_writelane_b32 v34, s13, 3
	s_and_b64 s[12:13], s[10:11], s[12:13]
	s_mov_b64 exec, s[12:13]
; %bb.238:
	v_xor_b32_e32 v26, 0x80000000, v11
	v_mov_b32_e32 v25, v10
	ds_write_b64 v24, v[25:26]
; %bb.239:
	s_or_b64 exec, exec, s[10:11]
	v_cmp_ne_u32_e64 s[10:11], 15, v22
	s_waitcnt lgkmcnt(0)
	s_barrier
	s_and_b64 s[12:13], s[10:11], s[16:17]
	s_mov_b64 s[10:11], exec
	v_writelane_b32 v34, s12, 4
	v_writelane_b32 v34, s13, 5
	s_and_b64 s[12:13], s[10:11], s[12:13]
	s_mov_b64 exec, s[12:13]
	s_cbranch_execz .LBB25_241
; %bb.240:
	v_lshlrev_b32_e32 v25, 3, v22
	ds_read_b64 v[25:26], v25 offset:24320
	ds_read_b64 v[27:28], v24
	s_waitcnt lgkmcnt(0)
	v_fma_f64 v[10:11], -v[25:26], v[27:28], v[10:11]
.LBB25_241:
	s_or_b64 exec, exec, s[10:11]
	v_cmp_eq_u32_e64 s[10:11], 14, v22
	s_barrier
	s_and_b64 s[12:13], s[10:11], s[16:17]
	s_mov_b64 s[10:11], exec
	v_writelane_b32 v34, s12, 6
	v_writelane_b32 v34, s13, 7
	s_and_b64 s[12:13], s[10:11], s[12:13]
	s_mov_b64 exec, s[12:13]
; %bb.242:
	v_xor_b32_e32 v26, 0x80000000, v11
	v_mov_b32_e32 v25, v10
	ds_write_b64 v24, v[25:26]
; %bb.243:
	s_or_b64 exec, exec, s[10:11]
	v_cmp_gt_u32_e64 s[10:11], 14, v22
	s_waitcnt lgkmcnt(0)
	s_barrier
	s_and_b64 s[12:13], s[10:11], s[16:17]
	s_mov_b64 s[10:11], exec
	v_writelane_b32 v34, s12, 8
	v_writelane_b32 v34, s13, 9
	s_and_b64 s[12:13], s[10:11], s[12:13]
	s_mov_b64 exec, s[12:13]
	s_cbranch_execz .LBB25_245
; %bb.244:
	v_lshlrev_b32_e32 v25, 3, v22
	ds_read_b64 v[25:26], v25 offset:23808
	ds_read_b64 v[27:28], v24
	s_waitcnt lgkmcnt(0)
	v_fma_f64 v[10:11], -v[25:26], v[27:28], v[10:11]
.LBB25_245:
	s_or_b64 exec, exec, s[10:11]
	v_cmp_eq_u32_e64 s[10:11], 13, v22
	s_barrier
	s_and_b64 s[12:13], s[10:11], s[16:17]
	s_mov_b64 s[10:11], exec
	v_writelane_b32 v34, s12, 10
	v_writelane_b32 v34, s13, 11
	s_and_b64 s[12:13], s[10:11], s[12:13]
	s_mov_b64 exec, s[12:13]
; %bb.246:
	v_xor_b32_e32 v26, 0x80000000, v11
	v_mov_b32_e32 v25, v10
	ds_write_b64 v24, v[25:26]
; %bb.247:
	s_or_b64 exec, exec, s[10:11]
	v_cmp_gt_u32_e64 s[10:11], 13, v22
	;; [unrolled: 32-line block ×12, first 2 shown]
	s_waitcnt lgkmcnt(0)
	s_barrier
	s_and_b64 s[12:13], s[10:11], s[16:17]
	s_mov_b64 s[10:11], exec
	v_writelane_b32 v34, s12, 52
	v_writelane_b32 v34, s13, 53
	s_and_b64 s[12:13], s[10:11], s[12:13]
	s_mov_b64 exec, s[12:13]
	s_cbranch_execz .LBB25_289
; %bb.288:
	v_lshlrev_b32_e32 v25, 3, v22
	ds_read_b64 v[25:26], v25 offset:18176
	ds_read_b64 v[27:28], v24
	s_waitcnt lgkmcnt(0)
	v_fma_f64 v[10:11], -v[25:26], v[27:28], v[10:11]
.LBB25_289:
	s_or_b64 exec, exec, s[10:11]
	v_cmp_eq_u32_e64 s[10:11], 2, v22
	s_and_b64 s[88:89], s[10:11], s[16:17]
	s_barrier
	s_and_saveexec_b64 s[10:11], s[88:89]
; %bb.290:
	v_xor_b32_e32 v26, 0x80000000, v11
	v_mov_b32_e32 v25, v10
	ds_write_b64 v24, v[25:26]
; %bb.291:
	s_or_b64 exec, exec, s[10:11]
	v_cmp_gt_u32_e64 s[10:11], 2, v22
	s_and_b64 s[90:91], s[10:11], s[16:17]
	s_waitcnt lgkmcnt(0)
	s_barrier
	s_and_saveexec_b64 s[10:11], s[90:91]
	s_cbranch_execz .LBB25_293
; %bb.292:
	v_lshlrev_b32_e32 v25, 3, v22
	ds_read_b64 v[25:26], v25 offset:17664
	ds_read_b64 v[27:28], v24
	s_waitcnt lgkmcnt(0)
	v_fma_f64 v[10:11], -v[25:26], v[27:28], v[10:11]
.LBB25_293:
	s_or_b64 exec, exec, s[10:11]
	v_cmp_eq_u32_e64 s[10:11], 1, v22
	s_and_b64 s[94:95], s[10:11], s[16:17]
	s_barrier
	s_and_saveexec_b64 s[10:11], s[94:95]
; %bb.294:
	v_xor_b32_e32 v26, 0x80000000, v11
	v_mov_b32_e32 v25, v10
	ds_write_b64 v24, v[25:26]
; %bb.295:
	s_or_b64 exec, exec, s[10:11]
	v_cmp_eq_u32_e64 s[10:11], 0, v22
	s_and_b64 s[92:93], s[10:11], s[16:17]
	s_waitcnt lgkmcnt(0)
	s_barrier
	s_and_saveexec_b64 s[10:11], s[92:93]
	s_cbranch_execz .LBB25_297
; %bb.296:
	v_mov_b32_e32 v25, 0
	ds_read_b64 v[25:26], v25 offset:17152
	ds_read_b64 v[27:28], v24
	s_waitcnt lgkmcnt(0)
	v_fma_f64 v[10:11], -v[25:26], v[27:28], v[10:11]
.LBB25_297:
	s_or_b64 exec, exec, s[10:11]
	s_barrier
	s_and_saveexec_b64 s[10:11], s[92:93]
; %bb.298:
	v_xor_b32_e32 v26, 0x80000000, v11
	v_mov_b32_e32 v25, v10
	ds_write_b64 v24, v[25:26]
; %bb.299:
	s_or_b64 exec, exec, s[10:11]
	s_waitcnt lgkmcnt(0)
	s_barrier
	s_barrier
	s_and_saveexec_b64 s[10:11], s[8:9]
; %bb.300:
	v_lshlrev_b32_e32 v25, 3, v22
	v_lshl_or_b32 v25, v23, 9, v25
	ds_write_b64 v25, v[10:11] offset:24832
; %bb.301:
	s_or_b64 exec, exec, s[10:11]
	s_waitcnt lgkmcnt(0)
	s_barrier
	s_barrier
	s_and_saveexec_b64 s[10:11], vcc
	s_cbranch_execz .LBB25_303
; %bb.302:
	s_mov_b64 s[12:13], 1.0
	v_mov_b32_e32 v10, s12
	v_mov_b32_e32 v11, s13
	s_movk_i32 s12, 0x5800
	v_add_u32_e64 v25, s12, 0
	ds_write2_b64 v25, v[10:11], v[10:11] offset0:174 offset1:239
.LBB25_303:
	s_or_b64 exec, exec, s[10:11]
	v_mov_b32_e32 v10, 0
	v_mov_b32_e32 v11, 0
	s_waitcnt lgkmcnt(0)
	s_barrier
	buffer_wbinvl1_vol
	s_and_saveexec_b64 s[12:13], s[0:1]
	s_cbranch_execz .LBB25_307
; %bb.304:
	v_lshlrev_b32_e32 v25, 9, v13
	v_lshlrev_b32_e32 v10, 3, v12
	ds_read_b64 v[10:11], v10 offset:23904
	ds_read_b64 v[25:26], v25 offset:23920
	v_cmp_gt_u32_e64 s[10:11], 2, v15
	s_waitcnt lgkmcnt(0)
	v_fma_f64 v[10:11], v[10:11], v[25:26], 0
	s_and_saveexec_b64 s[16:17], s[10:11]
	s_cbranch_execz .LBB25_306
; %bb.305:
	v_lshlrev_b32_e32 v25, 3, v0
	v_mov_b32_e32 v27, 0
	ds_read_b64 v[25:26], v25 offset:24416
	ds_read_b64 v[27:28], v27 offset:24440
	s_waitcnt lgkmcnt(0)
	v_fma_f64 v[10:11], v[25:26], v[27:28], v[10:11]
.LBB25_306:
	s_or_b64 exec, exec, s[16:17]
.LBB25_307:
	s_or_b64 exec, exec, s[12:13]
	s_and_saveexec_b64 s[10:11], s[40:41]
; %bb.308:
	v_xor_b32_e32 v26, 0x80000000, v11
	v_mov_b32_e32 v25, v10
	ds_write_b64 v14, v[25:26]
; %bb.309:
	s_or_b64 exec, exec, s[10:11]
	s_waitcnt lgkmcnt(0)
	s_barrier
	s_and_saveexec_b64 s[10:11], s[38:39]
	s_cbranch_execz .LBB25_311
; %bb.310:
	v_mov_b32_e32 v25, 0
	ds_read_b64 v[25:26], v25 offset:23392
	ds_read_b64 v[27:28], v14
	s_waitcnt lgkmcnt(0)
	v_fma_f64 v[10:11], -v[25:26], v[27:28], v[10:11]
.LBB25_311:
	s_or_b64 exec, exec, s[10:11]
	s_barrier
	s_and_saveexec_b64 s[10:11], s[38:39]
; %bb.312:
	v_xor_b32_e32 v26, 0x80000000, v11
	v_mov_b32_e32 v25, v10
	ds_write_b64 v14, v[25:26]
; %bb.313:
	s_or_b64 exec, exec, s[10:11]
	s_waitcnt lgkmcnt(0)
	s_barrier
	s_barrier
	s_and_saveexec_b64 s[10:11], s[0:1]
; %bb.314:
	v_lshlrev_b32_e32 v25, 3, v12
	v_lshl_or_b32 v25, v13, 9, v25
	ds_write_b64 v25, v[10:11] offset:23904
; %bb.315:
	s_or_b64 exec, exec, s[10:11]
	s_waitcnt lgkmcnt(0)
	s_barrier
	s_barrier
	s_and_saveexec_b64 s[10:11], vcc
	s_cbranch_execz .LBB25_317
; %bb.316:
	s_mov_b64 s[12:13], 1.0
	v_mov_b32_e32 v10, s12
	v_mov_b32_e32 v11, s13
	s_movk_i32 s12, 0x5800
	v_add_u32_e64 v25, s12, 0
	ds_write2_b64 v25, v[10:11], v[10:11] offset0:44 offset1:109
.LBB25_317:
	s_or_b64 exec, exec, s[10:11]
	v_mov_b32_e32 v10, 0
	v_mov_b32_e32 v11, 0
	s_waitcnt lgkmcnt(0)
	s_barrier
	buffer_wbinvl1_vol
	s_and_saveexec_b64 s[12:13], s[2:3]
	s_cbranch_execz .LBB25_323
; %bb.318:
	v_lshlrev_b32_e32 v26, 3, v16
	v_lshlrev_b32_e32 v25, 9, v17
	ds_read_b64 v[10:11], v26 offset:22848
	ds_read_b64 v[27:28], v25 offset:22880
	v_cmp_gt_u32_e64 s[10:11], 12, v15
	s_waitcnt lgkmcnt(0)
	v_fma_f64 v[10:11], v[10:11], v[27:28], 0
	s_and_saveexec_b64 s[16:17], s[10:11]
	s_cbranch_execnz .LBB25_1122
; %bb.319:
	s_or_b64 exec, exec, s[16:17]
	v_cmp_gt_u32_e64 s[10:11], 8, v15
	s_and_saveexec_b64 s[16:17], s[10:11]
	s_cbranch_execnz .LBB25_1123
.LBB25_320:
	s_or_b64 exec, exec, s[16:17]
	v_cmp_gt_u32_e64 s[10:11], 4, v15
	s_and_saveexec_b64 s[16:17], s[10:11]
	s_cbranch_execz .LBB25_322
.LBB25_321:
	v_lshlrev_b32_e32 v25, 3, v0
	v_mov_b32_e32 v27, 0
	ds_read_b64 v[25:26], v25 offset:24384
	ds_read_b64 v[27:28], v27 offset:24440
	s_waitcnt lgkmcnt(0)
	v_fma_f64 v[10:11], v[25:26], v[27:28], v[10:11]
.LBB25_322:
	s_or_b64 exec, exec, s[16:17]
.LBB25_323:
	s_or_b64 exec, exec, s[12:13]
	s_and_saveexec_b64 s[10:11], s[44:45]
; %bb.324:
	v_xor_b32_e32 v26, 0x80000000, v11
	v_mov_b32_e32 v25, v10
	ds_write_b64 v18, v[25:26]
; %bb.325:
	s_or_b64 exec, exec, s[10:11]
	s_waitcnt lgkmcnt(0)
	s_barrier
	s_and_saveexec_b64 s[10:11], s[46:47]
	s_cbranch_execz .LBB25_327
; %bb.326:
	v_lshlrev_b32_e32 v25, 3, v16
	ds_read_b64 v[25:26], v25 offset:22336
	ds_read_b64 v[27:28], v18
	s_waitcnt lgkmcnt(0)
	v_fma_f64 v[10:11], -v[25:26], v[27:28], v[10:11]
.LBB25_327:
	s_or_b64 exec, exec, s[10:11]
	s_barrier
	s_and_saveexec_b64 s[10:11], s[48:49]
; %bb.328:
	v_xor_b32_e32 v26, 0x80000000, v11
	v_mov_b32_e32 v25, v10
	ds_write_b64 v18, v[25:26]
; %bb.329:
	s_or_b64 exec, exec, s[10:11]
	s_waitcnt lgkmcnt(0)
	s_barrier
	s_and_saveexec_b64 s[10:11], s[50:51]
	s_cbranch_execz .LBB25_331
; %bb.330:
	v_lshlrev_b32_e32 v25, 3, v16
	ds_read_b64 v[25:26], v25 offset:21824
	ds_read_b64 v[27:28], v18
	s_waitcnt lgkmcnt(0)
	v_fma_f64 v[10:11], -v[25:26], v[27:28], v[10:11]
.LBB25_331:
	s_or_b64 exec, exec, s[10:11]
	s_barrier
	s_and_saveexec_b64 s[10:11], s[52:53]
; %bb.332:
	v_xor_b32_e32 v26, 0x80000000, v11
	v_mov_b32_e32 v25, v10
	ds_write_b64 v18, v[25:26]
; %bb.333:
	s_or_b64 exec, exec, s[10:11]
	s_waitcnt lgkmcnt(0)
	s_barrier
	s_and_saveexec_b64 s[10:11], s[42:43]
	s_cbranch_execz .LBB25_335
; %bb.334:
	v_mov_b32_e32 v25, 0
	ds_read_b64 v[25:26], v25 offset:21312
	ds_read_b64 v[27:28], v18
	s_waitcnt lgkmcnt(0)
	v_fma_f64 v[10:11], -v[25:26], v[27:28], v[10:11]
.LBB25_335:
	s_or_b64 exec, exec, s[10:11]
	s_barrier
	s_and_saveexec_b64 s[10:11], s[42:43]
; %bb.336:
	v_xor_b32_e32 v26, 0x80000000, v11
	v_mov_b32_e32 v25, v10
	ds_write_b64 v18, v[25:26]
; %bb.337:
	s_or_b64 exec, exec, s[10:11]
	s_waitcnt lgkmcnt(0)
	s_barrier
	s_barrier
	s_and_saveexec_b64 s[10:11], s[2:3]
; %bb.338:
	v_lshlrev_b32_e32 v25, 3, v16
	v_lshl_or_b32 v25, v17, 9, v25
	ds_write_b64 v25, v[10:11] offset:22848
; %bb.339:
	s_or_b64 exec, exec, s[10:11]
	s_waitcnt lgkmcnt(0)
	s_barrier
	s_barrier
	s_and_saveexec_b64 s[10:11], vcc
	s_cbranch_execz .LBB25_341
; %bb.340:
	s_mov_b64 s[12:13], 1.0
	v_mov_b32_e32 v10, s12
	v_mov_b32_e32 v11, s13
	s_movk_i32 s12, 0x5000
	v_add_u32_e64 v25, s12, 0
	ds_write2_b64 v25, v[10:11], v[10:11] offset0:170 offset1:235
.LBB25_341:
	s_or_b64 exec, exec, s[10:11]
	v_mov_b32_e32 v10, 0
	v_mov_b32_e32 v11, 0
	s_waitcnt lgkmcnt(0)
	s_barrier
	buffer_wbinvl1_vol
	s_and_saveexec_b64 s[12:13], s[0:1]
	s_cbranch_execz .LBB25_345
; %bb.342:
	v_lshlrev_b32_e32 v25, 9, v13
	v_lshlrev_b32_e32 v10, 3, v12
	ds_read_b64 v[10:11], v10 offset:21824
	ds_read_b64 v[25:26], v25 offset:21840
	v_cmp_gt_u32_e64 s[10:11], 2, v15
	s_waitcnt lgkmcnt(0)
	v_fma_f64 v[10:11], v[10:11], v[25:26], 0
	s_and_saveexec_b64 s[16:17], s[10:11]
	s_cbranch_execz .LBB25_344
; %bb.343:
	v_lshlrev_b32_e32 v25, 3, v0
	v_mov_b32_e32 v27, 0
	ds_read_b64 v[25:26], v25 offset:22336
	ds_read_b64 v[27:28], v27 offset:22360
	s_waitcnt lgkmcnt(0)
	v_fma_f64 v[10:11], v[25:26], v[27:28], v[10:11]
.LBB25_344:
	s_or_b64 exec, exec, s[16:17]
.LBB25_345:
	s_or_b64 exec, exec, s[12:13]
	s_and_saveexec_b64 s[10:11], s[40:41]
; %bb.346:
	v_xor_b32_e32 v26, 0x80000000, v11
	v_mov_b32_e32 v25, v10
	ds_write_b64 v14, v[25:26]
; %bb.347:
	s_or_b64 exec, exec, s[10:11]
	s_waitcnt lgkmcnt(0)
	s_barrier
	s_and_saveexec_b64 s[10:11], s[38:39]
	s_cbranch_execz .LBB25_349
; %bb.348:
	v_mov_b32_e32 v25, 0
	ds_read_b64 v[25:26], v25 offset:21312
	ds_read_b64 v[27:28], v14
	s_waitcnt lgkmcnt(0)
	v_fma_f64 v[10:11], -v[25:26], v[27:28], v[10:11]
.LBB25_349:
	s_or_b64 exec, exec, s[10:11]
	s_barrier
	s_and_saveexec_b64 s[10:11], s[38:39]
; %bb.350:
	v_xor_b32_e32 v26, 0x80000000, v11
	v_mov_b32_e32 v25, v10
	ds_write_b64 v14, v[25:26]
; %bb.351:
	s_or_b64 exec, exec, s[10:11]
	s_waitcnt lgkmcnt(0)
	s_barrier
	s_barrier
	s_and_saveexec_b64 s[10:11], s[0:1]
; %bb.352:
	v_lshlrev_b32_e32 v25, 3, v12
	v_lshl_or_b32 v25, v13, 9, v25
	ds_write_b64 v25, v[10:11] offset:21824
; %bb.353:
	s_or_b64 exec, exec, s[10:11]
	s_waitcnt lgkmcnt(0)
	s_barrier
	s_barrier
	s_and_saveexec_b64 s[10:11], vcc
	s_cbranch_execz .LBB25_355
; %bb.354:
	s_mov_b64 s[12:13], 1.0
	v_mov_b32_e32 v10, s12
	v_mov_b32_e32 v11, s13
	s_movk_i32 s12, 0x5000
	v_add_u32_e64 v25, s12, 0
	ds_write2_b64 v25, v[10:11], v[10:11] offset0:40 offset1:105
.LBB25_355:
	s_or_b64 exec, exec, s[10:11]
	v_mov_b32_e32 v10, 0
	v_mov_b32_e32 v11, 0
	s_waitcnt lgkmcnt(0)
	s_barrier
	buffer_wbinvl1_vol
	s_and_saveexec_b64 s[12:13], s[14:15]
	s_cbranch_execz .LBB25_365
; %bb.356:
	v_lshlrev_b32_e32 v26, 3, v19
	v_lshlrev_b32_e32 v25, 9, v20
	ds_read_b64 v[10:11], v26 offset:20736
	ds_read_b64 v[27:28], v25 offset:20800
	v_cmp_gt_u32_e64 s[10:11], 56, v15
	s_waitcnt lgkmcnt(0)
	v_fma_f64 v[10:11], v[10:11], v[27:28], 0
	s_and_saveexec_b64 s[16:17], s[10:11]
	s_cbranch_execnz .LBB25_1124
; %bb.357:
	s_or_b64 exec, exec, s[16:17]
	v_cmp_gt_u32_e64 s[10:11], 48, v15
	s_and_saveexec_b64 s[16:17], s[10:11]
	s_cbranch_execnz .LBB25_1125
.LBB25_358:
	s_or_b64 exec, exec, s[16:17]
	v_cmp_gt_u32_e64 s[10:11], 40, v15
	s_and_saveexec_b64 s[16:17], s[10:11]
	s_cbranch_execnz .LBB25_1126
.LBB25_359:
	s_or_b64 exec, exec, s[16:17]
	v_cmp_gt_u32_e64 s[10:11], 32, v15
	s_and_saveexec_b64 s[16:17], s[10:11]
	s_cbranch_execnz .LBB25_1127
.LBB25_360:
	s_or_b64 exec, exec, s[16:17]
	v_cmp_gt_u32_e64 s[10:11], 24, v15
	s_and_saveexec_b64 s[16:17], s[10:11]
	s_cbranch_execnz .LBB25_1128
.LBB25_361:
	s_or_b64 exec, exec, s[16:17]
	s_and_saveexec_b64 s[10:11], s[2:3]
	s_cbranch_execnz .LBB25_1129
.LBB25_362:
	s_or_b64 exec, exec, s[10:11]
	v_cmp_gt_u32_e64 s[10:11], 8, v15
	s_and_saveexec_b64 s[16:17], s[10:11]
	s_cbranch_execz .LBB25_364
.LBB25_363:
	v_lshlrev_b32_e32 v25, 3, v0
	v_mov_b32_e32 v27, 0
	ds_read_b64 v[25:26], v25 offset:24320
	ds_read_b64 v[27:28], v27 offset:24440
	s_waitcnt lgkmcnt(0)
	v_fma_f64 v[10:11], v[25:26], v[27:28], v[10:11]
.LBB25_364:
	s_or_b64 exec, exec, s[16:17]
.LBB25_365:
	s_or_b64 exec, exec, s[12:13]
	s_and_saveexec_b64 s[10:11], s[54:55]
; %bb.366:
	v_xor_b32_e32 v26, 0x80000000, v11
	v_mov_b32_e32 v25, v10
	ds_write_b64 v21, v[25:26]
; %bb.367:
	s_or_b64 exec, exec, s[10:11]
	s_waitcnt lgkmcnt(0)
	s_barrier
	s_and_saveexec_b64 s[10:11], s[56:57]
	s_cbranch_execz .LBB25_369
; %bb.368:
	v_lshlrev_b32_e32 v25, 3, v19
	ds_read_b64 v[25:26], v25 offset:20224
	ds_read_b64 v[27:28], v21
	s_waitcnt lgkmcnt(0)
	v_fma_f64 v[10:11], -v[25:26], v[27:28], v[10:11]
.LBB25_369:
	s_or_b64 exec, exec, s[10:11]
	s_barrier
	s_and_saveexec_b64 s[10:11], s[58:59]
; %bb.370:
	v_xor_b32_e32 v26, 0x80000000, v11
	v_mov_b32_e32 v25, v10
	ds_write_b64 v21, v[25:26]
; %bb.371:
	s_or_b64 exec, exec, s[10:11]
	s_waitcnt lgkmcnt(0)
	s_barrier
	s_and_saveexec_b64 s[10:11], s[60:61]
	s_cbranch_execz .LBB25_373
; %bb.372:
	v_lshlrev_b32_e32 v25, 3, v19
	ds_read_b64 v[25:26], v25 offset:19712
	ds_read_b64 v[27:28], v21
	s_waitcnt lgkmcnt(0)
	v_fma_f64 v[10:11], -v[25:26], v[27:28], v[10:11]
.LBB25_373:
	s_or_b64 exec, exec, s[10:11]
	s_barrier
	;; [unrolled: 20-line block ×6, first 2 shown]
	s_and_saveexec_b64 s[10:11], s[80:81]
; %bb.390:
	v_xor_b32_e32 v26, 0x80000000, v11
	v_mov_b32_e32 v25, v10
	ds_write_b64 v21, v[25:26]
; %bb.391:
	s_or_b64 exec, exec, s[10:11]
	s_waitcnt lgkmcnt(0)
	s_barrier
	s_and_saveexec_b64 s[10:11], s[64:65]
	s_cbranch_execz .LBB25_393
; %bb.392:
	v_mov_b32_e32 v25, 0
	ds_read_b64 v[25:26], v25 offset:17152
	ds_read_b64 v[27:28], v21
	s_waitcnt lgkmcnt(0)
	v_fma_f64 v[10:11], -v[25:26], v[27:28], v[10:11]
.LBB25_393:
	s_or_b64 exec, exec, s[10:11]
	s_barrier
	s_and_saveexec_b64 s[10:11], s[64:65]
; %bb.394:
	v_xor_b32_e32 v26, 0x80000000, v11
	v_mov_b32_e32 v25, v10
	ds_write_b64 v21, v[25:26]
; %bb.395:
	s_or_b64 exec, exec, s[10:11]
	s_waitcnt lgkmcnt(0)
	s_barrier
	s_barrier
	s_and_saveexec_b64 s[10:11], s[14:15]
; %bb.396:
	v_lshlrev_b32_e32 v25, 3, v19
	v_lshl_or_b32 v25, v20, 9, v25
	ds_write_b64 v25, v[10:11] offset:20736
; %bb.397:
	s_or_b64 exec, exec, s[10:11]
	s_waitcnt lgkmcnt(0)
	s_barrier
	s_barrier
	s_and_saveexec_b64 s[10:11], vcc
	s_cbranch_execz .LBB25_399
; %bb.398:
	s_mov_b64 s[12:13], 1.0
	v_mov_b32_e32 v10, s12
	v_mov_b32_e32 v11, s13
	s_movk_i32 s12, 0x4800
	v_add_u32_e64 v25, s12, 0
	ds_write2_b64 v25, v[10:11], v[10:11] offset0:166 offset1:231
.LBB25_399:
	s_or_b64 exec, exec, s[10:11]
	v_mov_b32_e32 v10, 0
	v_mov_b32_e32 v11, 0
	s_waitcnt lgkmcnt(0)
	s_barrier
	buffer_wbinvl1_vol
	s_and_saveexec_b64 s[12:13], s[0:1]
	s_cbranch_execz .LBB25_403
; %bb.400:
	v_lshlrev_b32_e32 v25, 9, v13
	v_lshlrev_b32_e32 v10, 3, v12
	ds_read_b64 v[10:11], v10 offset:19744
	ds_read_b64 v[25:26], v25 offset:19760
	v_cmp_gt_u32_e64 s[10:11], 2, v15
	s_waitcnt lgkmcnt(0)
	v_fma_f64 v[10:11], v[10:11], v[25:26], 0
	s_and_saveexec_b64 s[16:17], s[10:11]
	s_cbranch_execz .LBB25_402
; %bb.401:
	v_lshlrev_b32_e32 v25, 3, v0
	v_mov_b32_e32 v27, 0
	ds_read_b64 v[25:26], v25 offset:20256
	ds_read_b64 v[27:28], v27 offset:20280
	s_waitcnt lgkmcnt(0)
	v_fma_f64 v[10:11], v[25:26], v[27:28], v[10:11]
.LBB25_402:
	s_or_b64 exec, exec, s[16:17]
.LBB25_403:
	s_or_b64 exec, exec, s[12:13]
	s_and_saveexec_b64 s[10:11], s[40:41]
; %bb.404:
	v_xor_b32_e32 v26, 0x80000000, v11
	v_mov_b32_e32 v25, v10
	ds_write_b64 v14, v[25:26]
; %bb.405:
	s_or_b64 exec, exec, s[10:11]
	s_waitcnt lgkmcnt(0)
	s_barrier
	s_and_saveexec_b64 s[10:11], s[38:39]
	s_cbranch_execz .LBB25_407
; %bb.406:
	v_mov_b32_e32 v25, 0
	ds_read_b64 v[25:26], v25 offset:19232
	ds_read_b64 v[27:28], v14
	s_waitcnt lgkmcnt(0)
	v_fma_f64 v[10:11], -v[25:26], v[27:28], v[10:11]
.LBB25_407:
	s_or_b64 exec, exec, s[10:11]
	s_barrier
	s_and_saveexec_b64 s[10:11], s[38:39]
; %bb.408:
	v_xor_b32_e32 v26, 0x80000000, v11
	v_mov_b32_e32 v25, v10
	ds_write_b64 v14, v[25:26]
; %bb.409:
	s_or_b64 exec, exec, s[10:11]
	s_waitcnt lgkmcnt(0)
	s_barrier
	s_barrier
	s_and_saveexec_b64 s[10:11], s[0:1]
; %bb.410:
	v_lshlrev_b32_e32 v25, 3, v12
	v_lshl_or_b32 v25, v13, 9, v25
	ds_write_b64 v25, v[10:11] offset:19744
; %bb.411:
	s_or_b64 exec, exec, s[10:11]
	s_waitcnt lgkmcnt(0)
	s_barrier
	s_barrier
	s_and_saveexec_b64 s[10:11], vcc
	s_cbranch_execz .LBB25_413
; %bb.412:
	s_mov_b64 s[12:13], 1.0
	v_mov_b32_e32 v10, s12
	v_mov_b32_e32 v11, s13
	s_movk_i32 s12, 0x4800
	v_add_u32_e64 v25, s12, 0
	ds_write2_b64 v25, v[10:11], v[10:11] offset0:36 offset1:101
.LBB25_413:
	s_or_b64 exec, exec, s[10:11]
	v_mov_b32_e32 v10, 0
	v_mov_b32_e32 v11, 0
	s_waitcnt lgkmcnt(0)
	s_barrier
	buffer_wbinvl1_vol
	s_and_saveexec_b64 s[12:13], s[2:3]
	s_cbranch_execz .LBB25_419
; %bb.414:
	v_lshlrev_b32_e32 v26, 3, v16
	v_lshlrev_b32_e32 v25, 9, v17
	ds_read_b64 v[10:11], v26 offset:18688
	ds_read_b64 v[27:28], v25 offset:18720
	v_cmp_gt_u32_e64 s[10:11], 12, v15
	s_waitcnt lgkmcnt(0)
	v_fma_f64 v[10:11], v[10:11], v[27:28], 0
	s_and_saveexec_b64 s[16:17], s[10:11]
	s_cbranch_execnz .LBB25_1130
; %bb.415:
	s_or_b64 exec, exec, s[16:17]
	v_cmp_gt_u32_e64 s[10:11], 8, v15
	s_and_saveexec_b64 s[16:17], s[10:11]
	s_cbranch_execnz .LBB25_1131
.LBB25_416:
	s_or_b64 exec, exec, s[16:17]
	v_cmp_gt_u32_e64 s[10:11], 4, v15
	s_and_saveexec_b64 s[16:17], s[10:11]
	s_cbranch_execz .LBB25_418
.LBB25_417:
	v_lshlrev_b32_e32 v25, 3, v0
	v_mov_b32_e32 v27, 0
	ds_read_b64 v[25:26], v25 offset:20224
	ds_read_b64 v[27:28], v27 offset:20280
	s_waitcnt lgkmcnt(0)
	v_fma_f64 v[10:11], v[25:26], v[27:28], v[10:11]
.LBB25_418:
	s_or_b64 exec, exec, s[16:17]
.LBB25_419:
	s_or_b64 exec, exec, s[12:13]
	s_and_saveexec_b64 s[10:11], s[44:45]
; %bb.420:
	v_xor_b32_e32 v26, 0x80000000, v11
	v_mov_b32_e32 v25, v10
	ds_write_b64 v18, v[25:26]
; %bb.421:
	s_or_b64 exec, exec, s[10:11]
	s_waitcnt lgkmcnt(0)
	s_barrier
	s_and_saveexec_b64 s[10:11], s[46:47]
	s_cbranch_execz .LBB25_423
; %bb.422:
	v_lshlrev_b32_e32 v25, 3, v16
	ds_read_b64 v[25:26], v25 offset:18176
	ds_read_b64 v[27:28], v18
	s_waitcnt lgkmcnt(0)
	v_fma_f64 v[10:11], -v[25:26], v[27:28], v[10:11]
.LBB25_423:
	s_or_b64 exec, exec, s[10:11]
	s_barrier
	s_and_saveexec_b64 s[10:11], s[48:49]
; %bb.424:
	v_xor_b32_e32 v26, 0x80000000, v11
	v_mov_b32_e32 v25, v10
	ds_write_b64 v18, v[25:26]
; %bb.425:
	s_or_b64 exec, exec, s[10:11]
	s_waitcnt lgkmcnt(0)
	s_barrier
	s_and_saveexec_b64 s[10:11], s[50:51]
	s_cbranch_execz .LBB25_427
; %bb.426:
	v_lshlrev_b32_e32 v25, 3, v16
	ds_read_b64 v[25:26], v25 offset:17664
	ds_read_b64 v[27:28], v18
	s_waitcnt lgkmcnt(0)
	v_fma_f64 v[10:11], -v[25:26], v[27:28], v[10:11]
.LBB25_427:
	s_or_b64 exec, exec, s[10:11]
	s_barrier
	s_and_saveexec_b64 s[10:11], s[52:53]
; %bb.428:
	v_xor_b32_e32 v26, 0x80000000, v11
	v_mov_b32_e32 v25, v10
	ds_write_b64 v18, v[25:26]
; %bb.429:
	s_or_b64 exec, exec, s[10:11]
	s_waitcnt lgkmcnt(0)
	s_barrier
	s_and_saveexec_b64 s[10:11], s[42:43]
	s_cbranch_execz .LBB25_431
; %bb.430:
	v_mov_b32_e32 v25, 0
	ds_read_b64 v[25:26], v25 offset:17152
	ds_read_b64 v[27:28], v18
	s_waitcnt lgkmcnt(0)
	v_fma_f64 v[10:11], -v[25:26], v[27:28], v[10:11]
.LBB25_431:
	s_or_b64 exec, exec, s[10:11]
	s_barrier
	s_and_saveexec_b64 s[10:11], s[42:43]
; %bb.432:
	v_xor_b32_e32 v26, 0x80000000, v11
	v_mov_b32_e32 v25, v10
	ds_write_b64 v18, v[25:26]
; %bb.433:
	s_or_b64 exec, exec, s[10:11]
	s_waitcnt lgkmcnt(0)
	s_barrier
	s_barrier
	s_and_saveexec_b64 s[10:11], s[2:3]
; %bb.434:
	v_lshlrev_b32_e32 v25, 3, v16
	v_lshl_or_b32 v25, v17, 9, v25
	ds_write_b64 v25, v[10:11] offset:18688
; %bb.435:
	s_or_b64 exec, exec, s[10:11]
	s_waitcnt lgkmcnt(0)
	s_barrier
	s_barrier
	s_and_saveexec_b64 s[10:11], vcc
	s_cbranch_execz .LBB25_437
; %bb.436:
	s_mov_b64 s[12:13], 1.0
	v_mov_b32_e32 v10, s12
	v_mov_b32_e32 v11, s13
	s_movk_i32 s12, 0x4000
	v_add_u32_e64 v25, s12, 0
	ds_write2_b64 v25, v[10:11], v[10:11] offset0:162 offset1:227
.LBB25_437:
	s_or_b64 exec, exec, s[10:11]
	v_mov_b32_e32 v10, 0
	v_mov_b32_e32 v11, 0
	s_waitcnt lgkmcnt(0)
	s_barrier
	buffer_wbinvl1_vol
	s_and_saveexec_b64 s[12:13], s[0:1]
	s_cbranch_execz .LBB25_441
; %bb.438:
	v_lshlrev_b32_e32 v25, 9, v13
	v_lshlrev_b32_e32 v10, 3, v12
	ds_read_b64 v[10:11], v10 offset:17664
	ds_read_b64 v[25:26], v25 offset:17680
	v_cmp_gt_u32_e64 s[10:11], 2, v15
	s_waitcnt lgkmcnt(0)
	v_fma_f64 v[10:11], v[10:11], v[25:26], 0
	s_and_saveexec_b64 s[16:17], s[10:11]
	s_cbranch_execz .LBB25_440
; %bb.439:
	v_lshlrev_b32_e32 v25, 3, v0
	v_mov_b32_e32 v27, 0
	ds_read_b64 v[25:26], v25 offset:18176
	ds_read_b64 v[27:28], v27 offset:18200
	s_waitcnt lgkmcnt(0)
	v_fma_f64 v[10:11], v[25:26], v[27:28], v[10:11]
.LBB25_440:
	s_or_b64 exec, exec, s[16:17]
.LBB25_441:
	s_or_b64 exec, exec, s[12:13]
	s_and_saveexec_b64 s[10:11], s[40:41]
; %bb.442:
	v_xor_b32_e32 v26, 0x80000000, v11
	v_mov_b32_e32 v25, v10
	ds_write_b64 v14, v[25:26]
; %bb.443:
	s_or_b64 exec, exec, s[10:11]
	s_waitcnt lgkmcnt(0)
	s_barrier
	s_and_saveexec_b64 s[10:11], s[38:39]
	s_cbranch_execz .LBB25_445
; %bb.444:
	v_mov_b32_e32 v25, 0
	ds_read_b64 v[25:26], v25 offset:17152
	ds_read_b64 v[27:28], v14
	s_waitcnt lgkmcnt(0)
	v_fma_f64 v[10:11], -v[25:26], v[27:28], v[10:11]
.LBB25_445:
	s_or_b64 exec, exec, s[10:11]
	s_barrier
	s_and_saveexec_b64 s[10:11], s[38:39]
; %bb.446:
	v_xor_b32_e32 v26, 0x80000000, v11
	v_mov_b32_e32 v25, v10
	ds_write_b64 v14, v[25:26]
; %bb.447:
	s_or_b64 exec, exec, s[10:11]
	s_waitcnt lgkmcnt(0)
	s_barrier
	s_barrier
	s_and_saveexec_b64 s[10:11], s[0:1]
; %bb.448:
	v_lshlrev_b32_e32 v25, 3, v12
	v_lshl_or_b32 v25, v13, 9, v25
	ds_write_b64 v25, v[10:11] offset:17664
; %bb.449:
	s_or_b64 exec, exec, s[10:11]
	s_waitcnt lgkmcnt(0)
	s_barrier
	s_barrier
	s_and_saveexec_b64 s[10:11], vcc
	s_cbranch_execz .LBB25_451
; %bb.450:
	s_mov_b64 s[12:13], 1.0
	v_mov_b32_e32 v10, s12
	v_mov_b32_e32 v11, s13
	s_movk_i32 s12, 0x4000
	v_add_u32_e64 v25, s12, 0
	ds_write2_b64 v25, v[10:11], v[10:11] offset0:32 offset1:97
.LBB25_451:
	s_or_b64 exec, exec, s[10:11]
	s_movk_i32 s10, 0x3ff
	v_and_b32_e32 v27, 31, v0
	v_lshrrev_b32_e32 v28, 5, v15
	v_cmp_lt_u32_e64 s[12:13], s10, v15
	s_movk_i32 s10, 0x400
	v_mov_b32_e32 v10, 0
	v_sub_u32_e32 v25, 31, v28
	v_cmp_gt_u32_e64 s[10:11], s10, v15
	v_mov_b32_e32 v11, 0
	v_lshlrev_b32_e32 v26, 3, v27
	s_waitcnt lgkmcnt(0)
	s_barrier
	buffer_wbinvl1_vol
	s_and_saveexec_b64 s[22:23], s[10:11]
	s_cbranch_execz .LBB25_513
; %bb.452:
	v_lshlrev_b32_e32 v29, 9, v25
	ds_read_b64 v[10:11], v26 offset:16384
	ds_read_b64 v[30:31], v29 offset:16640
	s_movk_i32 s16, 0x3e0
	v_cmp_gt_u32_e64 s[16:17], s16, v15
	s_waitcnt lgkmcnt(0)
	v_fma_f64 v[10:11], v[10:11], v[30:31], 0
	s_and_saveexec_b64 s[82:83], s[16:17]
	s_cbranch_execz .LBB25_454
; %bb.453:
	ds_read_b64 v[30:31], v26 offset:16896
	ds_read_b64 v[32:33], v29 offset:16648
	s_waitcnt lgkmcnt(0)
	v_fma_f64 v[10:11], v[30:31], v[32:33], v[10:11]
.LBB25_454:
	s_or_b64 exec, exec, s[82:83]
	s_movk_i32 s16, 0x3c0
	v_cmp_gt_u32_e64 s[16:17], s16, v15
	s_and_saveexec_b64 s[82:83], s[16:17]
	s_cbranch_execz .LBB25_456
; %bb.455:
	ds_read_b64 v[30:31], v26 offset:17408
	ds_read_b64 v[32:33], v29 offset:16656
	s_waitcnt lgkmcnt(0)
	v_fma_f64 v[10:11], v[30:31], v[32:33], v[10:11]
.LBB25_456:
	s_or_b64 exec, exec, s[82:83]
	s_movk_i32 s16, 0x3a0
	v_cmp_gt_u32_e64 s[16:17], s16, v15
	;; [unrolled: 11-line block ×22, first 2 shown]
	s_and_saveexec_b64 s[82:83], s[16:17]
	s_cbranch_execz .LBB25_498
; %bb.497:
	ds_read_b64 v[30:31], v26 offset:28160
	ds_read_b64 v[32:33], v29 offset:16824
	s_waitcnt lgkmcnt(0)
	v_fma_f64 v[10:11], v[30:31], v[32:33], v[10:11]
.LBB25_498:
	s_or_b64 exec, exec, s[82:83]
	s_and_saveexec_b64 s[16:17], s[8:9]
	s_cbranch_execz .LBB25_500
; %bb.499:
	ds_read_b64 v[30:31], v26 offset:28672
	ds_read_b64 v[32:33], v29 offset:16832
	s_waitcnt lgkmcnt(0)
	v_fma_f64 v[10:11], v[30:31], v[32:33], v[10:11]
.LBB25_500:
	s_or_b64 exec, exec, s[16:17]
	s_movk_i32 s16, 0xe0
	v_cmp_gt_u32_e64 s[16:17], s16, v15
	s_and_saveexec_b64 s[82:83], s[16:17]
	s_cbranch_execz .LBB25_502
; %bb.501:
	ds_read_b64 v[30:31], v26 offset:29184
	ds_read_b64 v[32:33], v29 offset:16840
	s_waitcnt lgkmcnt(0)
	v_fma_f64 v[10:11], v[30:31], v[32:33], v[10:11]
.LBB25_502:
	s_or_b64 exec, exec, s[82:83]
	s_movk_i32 s16, 0xc0
	v_cmp_gt_u32_e64 s[16:17], s16, v15
	;; [unrolled: 11-line block ×5, first 2 shown]
	s_and_saveexec_b64 s[82:83], s[16:17]
	s_cbranch_execnz .LBB25_1132
; %bb.509:
	s_or_b64 exec, exec, s[82:83]
	s_and_saveexec_b64 s[16:17], s[14:15]
	s_cbranch_execnz .LBB25_1133
.LBB25_510:
	s_or_b64 exec, exec, s[16:17]
	v_cmp_gt_u32_e64 s[16:17], 32, v15
	s_and_saveexec_b64 s[82:83], s[16:17]
	s_cbranch_execz .LBB25_512
.LBB25_511:
	v_lshlrev_b32_e32 v29, 3, v0
	v_mov_b32_e32 v31, 0
	ds_read_b64 v[29:30], v29 offset:32256
	ds_read_b64 v[31:32], v31 offset:32760
	s_waitcnt lgkmcnt(0)
	v_fma_f64 v[10:11], v[29:30], v[31:32], v[10:11]
.LBB25_512:
	s_or_b64 exec, exec, s[82:83]
.LBB25_513:
	s_or_b64 exec, exec, s[22:23]
	v_mov_b32_e32 v29, 0x8000
	v_cmp_eq_u32_e64 s[16:17], 31, v27
	s_xor_b64 s[22:23], s[12:13], -1
	v_lshl_add_u32 v28, v28, 3, v29
	s_and_b64 s[16:17], s[22:23], s[16:17]
	s_and_saveexec_b64 s[12:13], s[16:17]
; %bb.514:
	v_xor_b32_e32 v30, 0x80000000, v11
	v_mov_b32_e32 v29, v10
	ds_write_b64 v28, v[29:30]
; %bb.515:
	s_or_b64 exec, exec, s[12:13]
	v_cmp_ne_u32_e64 s[12:13], 31, v27
	s_and_b64 s[16:17], s[22:23], s[12:13]
	s_waitcnt lgkmcnt(0)
	s_barrier
	s_and_saveexec_b64 s[12:13], s[16:17]
	s_cbranch_execz .LBB25_517
; %bb.516:
	ds_read_b64 v[29:30], v26 offset:15872
	ds_read_b64 v[31:32], v28
	s_waitcnt lgkmcnt(0)
	v_fma_f64 v[10:11], -v[29:30], v[31:32], v[10:11]
.LBB25_517:
	s_or_b64 exec, exec, s[12:13]
	v_cmp_eq_u32_e64 s[12:13], 30, v27
	s_and_b64 s[16:17], s[22:23], s[12:13]
	s_barrier
	s_and_saveexec_b64 s[12:13], s[16:17]
; %bb.518:
	v_xor_b32_e32 v30, 0x80000000, v11
	v_mov_b32_e32 v29, v10
	ds_write_b64 v28, v[29:30]
; %bb.519:
	s_or_b64 exec, exec, s[12:13]
	v_cmp_gt_u32_e64 s[12:13], 30, v27
	s_and_b64 s[16:17], s[22:23], s[12:13]
	s_waitcnt lgkmcnt(0)
	s_barrier
	s_and_saveexec_b64 s[12:13], s[16:17]
	s_cbranch_execz .LBB25_521
; %bb.520:
	ds_read_b64 v[29:30], v26 offset:15360
	ds_read_b64 v[31:32], v28
	s_waitcnt lgkmcnt(0)
	v_fma_f64 v[10:11], -v[29:30], v[31:32], v[10:11]
.LBB25_521:
	s_or_b64 exec, exec, s[12:13]
	v_cmp_eq_u32_e64 s[12:13], 29, v27
	s_and_b64 s[16:17], s[22:23], s[12:13]
	s_barrier
	s_and_saveexec_b64 s[12:13], s[16:17]
; %bb.522:
	v_xor_b32_e32 v30, 0x80000000, v11
	v_mov_b32_e32 v29, v10
	ds_write_b64 v28, v[29:30]
; %bb.523:
	s_or_b64 exec, exec, s[12:13]
	v_cmp_gt_u32_e64 s[12:13], 29, v27
	;; [unrolled: 23-line block ×29, first 2 shown]
	s_and_b64 s[16:17], s[22:23], s[12:13]
	s_waitcnt lgkmcnt(0)
	s_barrier
	s_and_saveexec_b64 s[12:13], s[16:17]
	s_cbranch_execz .LBB25_633
; %bb.632:
	ds_read_b64 v[29:30], v26 offset:1024
	ds_read_b64 v[31:32], v28
	s_waitcnt lgkmcnt(0)
	v_fma_f64 v[10:11], -v[29:30], v[31:32], v[10:11]
.LBB25_633:
	s_or_b64 exec, exec, s[12:13]
	v_cmp_eq_u32_e64 s[12:13], 1, v27
	s_and_b64 s[16:17], s[22:23], s[12:13]
	s_barrier
	s_and_saveexec_b64 s[12:13], s[16:17]
; %bb.634:
	v_xor_b32_e32 v30, 0x80000000, v11
	v_mov_b32_e32 v29, v10
	ds_write_b64 v28, v[29:30]
; %bb.635:
	s_or_b64 exec, exec, s[12:13]
	v_cmp_eq_u32_e64 s[12:13], 0, v27
	s_and_b64 s[12:13], s[22:23], s[12:13]
	s_waitcnt lgkmcnt(0)
	s_barrier
	s_and_saveexec_b64 s[16:17], s[12:13]
	s_cbranch_execz .LBB25_637
; %bb.636:
	ds_read_b64 v[29:30], v26 offset:512
	ds_read_b64 v[31:32], v28
	s_waitcnt lgkmcnt(0)
	v_fma_f64 v[10:11], -v[29:30], v[31:32], v[10:11]
.LBB25_637:
	s_or_b64 exec, exec, s[16:17]
	s_barrier
	s_and_saveexec_b64 s[16:17], s[12:13]
; %bb.638:
	v_xor_b32_e32 v30, 0x80000000, v11
	v_mov_b32_e32 v29, v10
	ds_write_b64 v28, v[29:30]
; %bb.639:
	s_or_b64 exec, exec, s[16:17]
	s_waitcnt lgkmcnt(0)
	s_barrier
	s_barrier
	s_and_saveexec_b64 s[12:13], s[10:11]
; %bb.640:
	v_lshl_or_b32 v25, v25, 9, v26
	ds_write_b64 v25, v[10:11] offset:16384
; %bb.641:
	s_or_b64 exec, exec, s[12:13]
	s_waitcnt lgkmcnt(0)
	s_barrier
	s_barrier
	s_and_saveexec_b64 s[10:11], vcc
	s_cbranch_execz .LBB25_643
; %bb.642:
	s_mov_b64 s[12:13], 1.0
	v_mov_b32_e32 v10, s12
	v_mov_b32_e32 v11, s13
	s_movk_i32 s12, 0x3800
	v_add_u32_e64 v25, s12, 0
	ds_write2_b64 v25, v[10:11], v[10:11] offset0:158 offset1:223
.LBB25_643:
	s_or_b64 exec, exec, s[10:11]
	v_mov_b32_e32 v10, 0
	v_mov_b32_e32 v11, 0
	s_waitcnt lgkmcnt(0)
	s_barrier
	buffer_wbinvl1_vol
	s_and_saveexec_b64 s[12:13], s[0:1]
	s_cbranch_execz .LBB25_647
; %bb.644:
	v_lshlrev_b32_e32 v25, 9, v13
	v_lshlrev_b32_e32 v10, 3, v12
	ds_read_b64 v[10:11], v10 offset:15584
	ds_read_b64 v[25:26], v25 offset:15600
	v_cmp_gt_u32_e64 s[10:11], 2, v15
	s_waitcnt lgkmcnt(0)
	v_fma_f64 v[10:11], v[10:11], v[25:26], 0
	s_and_saveexec_b64 s[16:17], s[10:11]
	s_cbranch_execz .LBB25_646
; %bb.645:
	v_lshlrev_b32_e32 v25, 3, v0
	v_mov_b32_e32 v27, 0
	ds_read_b64 v[25:26], v25 offset:16096
	ds_read_b64 v[27:28], v27 offset:16120
	s_waitcnt lgkmcnt(0)
	v_fma_f64 v[10:11], v[25:26], v[27:28], v[10:11]
.LBB25_646:
	s_or_b64 exec, exec, s[16:17]
.LBB25_647:
	s_or_b64 exec, exec, s[12:13]
	s_and_saveexec_b64 s[10:11], s[40:41]
; %bb.648:
	v_xor_b32_e32 v26, 0x80000000, v11
	v_mov_b32_e32 v25, v10
	ds_write_b64 v14, v[25:26]
; %bb.649:
	s_or_b64 exec, exec, s[10:11]
	s_waitcnt lgkmcnt(0)
	s_barrier
	s_and_saveexec_b64 s[10:11], s[38:39]
	s_cbranch_execz .LBB25_651
; %bb.650:
	v_mov_b32_e32 v25, 0
	ds_read_b64 v[25:26], v25 offset:15072
	ds_read_b64 v[27:28], v14
	s_waitcnt lgkmcnt(0)
	v_fma_f64 v[10:11], -v[25:26], v[27:28], v[10:11]
.LBB25_651:
	s_or_b64 exec, exec, s[10:11]
	s_barrier
	s_and_saveexec_b64 s[10:11], s[38:39]
; %bb.652:
	v_xor_b32_e32 v26, 0x80000000, v11
	v_mov_b32_e32 v25, v10
	ds_write_b64 v14, v[25:26]
; %bb.653:
	s_or_b64 exec, exec, s[10:11]
	s_waitcnt lgkmcnt(0)
	s_barrier
	s_barrier
	s_and_saveexec_b64 s[10:11], s[0:1]
; %bb.654:
	v_lshlrev_b32_e32 v25, 3, v12
	v_lshl_or_b32 v25, v13, 9, v25
	ds_write_b64 v25, v[10:11] offset:15584
; %bb.655:
	s_or_b64 exec, exec, s[10:11]
	s_waitcnt lgkmcnt(0)
	s_barrier
	s_barrier
	s_and_saveexec_b64 s[10:11], vcc
	s_cbranch_execz .LBB25_657
; %bb.656:
	s_mov_b64 s[12:13], 1.0
	v_mov_b32_e32 v10, s12
	v_mov_b32_e32 v11, s13
	s_movk_i32 s12, 0x3800
	v_add_u32_e64 v25, s12, 0
	ds_write2_b64 v25, v[10:11], v[10:11] offset0:28 offset1:93
.LBB25_657:
	s_or_b64 exec, exec, s[10:11]
	v_mov_b32_e32 v10, 0
	v_mov_b32_e32 v11, 0
	s_waitcnt lgkmcnt(0)
	s_barrier
	buffer_wbinvl1_vol
	s_and_saveexec_b64 s[12:13], s[2:3]
	s_cbranch_execz .LBB25_663
; %bb.658:
	v_lshlrev_b32_e32 v26, 3, v16
	v_lshlrev_b32_e32 v25, 9, v17
	ds_read_b64 v[10:11], v26 offset:14528
	ds_read_b64 v[27:28], v25 offset:14560
	v_cmp_gt_u32_e64 s[10:11], 12, v15
	s_waitcnt lgkmcnt(0)
	v_fma_f64 v[10:11], v[10:11], v[27:28], 0
	s_and_saveexec_b64 s[16:17], s[10:11]
	s_cbranch_execnz .LBB25_1134
; %bb.659:
	s_or_b64 exec, exec, s[16:17]
	v_cmp_gt_u32_e64 s[10:11], 8, v15
	s_and_saveexec_b64 s[16:17], s[10:11]
	s_cbranch_execnz .LBB25_1135
.LBB25_660:
	s_or_b64 exec, exec, s[16:17]
	v_cmp_gt_u32_e64 s[10:11], 4, v15
	s_and_saveexec_b64 s[16:17], s[10:11]
	s_cbranch_execz .LBB25_662
.LBB25_661:
	v_lshlrev_b32_e32 v25, 3, v0
	v_mov_b32_e32 v27, 0
	ds_read_b64 v[25:26], v25 offset:16064
	ds_read_b64 v[27:28], v27 offset:16120
	s_waitcnt lgkmcnt(0)
	v_fma_f64 v[10:11], v[25:26], v[27:28], v[10:11]
.LBB25_662:
	s_or_b64 exec, exec, s[16:17]
.LBB25_663:
	s_or_b64 exec, exec, s[12:13]
	s_and_saveexec_b64 s[10:11], s[44:45]
; %bb.664:
	v_xor_b32_e32 v26, 0x80000000, v11
	v_mov_b32_e32 v25, v10
	ds_write_b64 v18, v[25:26]
; %bb.665:
	s_or_b64 exec, exec, s[10:11]
	s_waitcnt lgkmcnt(0)
	s_barrier
	s_and_saveexec_b64 s[10:11], s[46:47]
	s_cbranch_execz .LBB25_667
; %bb.666:
	v_lshlrev_b32_e32 v25, 3, v16
	ds_read_b64 v[25:26], v25 offset:14016
	ds_read_b64 v[27:28], v18
	s_waitcnt lgkmcnt(0)
	v_fma_f64 v[10:11], -v[25:26], v[27:28], v[10:11]
.LBB25_667:
	s_or_b64 exec, exec, s[10:11]
	s_barrier
	s_and_saveexec_b64 s[10:11], s[48:49]
; %bb.668:
	v_xor_b32_e32 v26, 0x80000000, v11
	v_mov_b32_e32 v25, v10
	ds_write_b64 v18, v[25:26]
; %bb.669:
	s_or_b64 exec, exec, s[10:11]
	s_waitcnt lgkmcnt(0)
	s_barrier
	s_and_saveexec_b64 s[10:11], s[50:51]
	s_cbranch_execz .LBB25_671
; %bb.670:
	v_lshlrev_b32_e32 v25, 3, v16
	ds_read_b64 v[25:26], v25 offset:13504
	ds_read_b64 v[27:28], v18
	s_waitcnt lgkmcnt(0)
	v_fma_f64 v[10:11], -v[25:26], v[27:28], v[10:11]
.LBB25_671:
	s_or_b64 exec, exec, s[10:11]
	s_barrier
	s_and_saveexec_b64 s[10:11], s[52:53]
; %bb.672:
	v_xor_b32_e32 v26, 0x80000000, v11
	v_mov_b32_e32 v25, v10
	ds_write_b64 v18, v[25:26]
; %bb.673:
	s_or_b64 exec, exec, s[10:11]
	s_waitcnt lgkmcnt(0)
	s_barrier
	s_and_saveexec_b64 s[10:11], s[42:43]
	s_cbranch_execz .LBB25_675
; %bb.674:
	v_mov_b32_e32 v25, 0
	ds_read_b64 v[25:26], v25 offset:12992
	ds_read_b64 v[27:28], v18
	s_waitcnt lgkmcnt(0)
	v_fma_f64 v[10:11], -v[25:26], v[27:28], v[10:11]
.LBB25_675:
	s_or_b64 exec, exec, s[10:11]
	s_barrier
	s_and_saveexec_b64 s[10:11], s[42:43]
; %bb.676:
	v_xor_b32_e32 v26, 0x80000000, v11
	v_mov_b32_e32 v25, v10
	ds_write_b64 v18, v[25:26]
; %bb.677:
	s_or_b64 exec, exec, s[10:11]
	s_waitcnt lgkmcnt(0)
	s_barrier
	s_barrier
	s_and_saveexec_b64 s[10:11], s[2:3]
; %bb.678:
	v_lshlrev_b32_e32 v25, 3, v16
	v_lshl_or_b32 v25, v17, 9, v25
	ds_write_b64 v25, v[10:11] offset:14528
; %bb.679:
	s_or_b64 exec, exec, s[10:11]
	s_waitcnt lgkmcnt(0)
	s_barrier
	s_barrier
	s_and_saveexec_b64 s[10:11], vcc
	s_cbranch_execz .LBB25_681
; %bb.680:
	s_mov_b64 s[12:13], 1.0
	v_mov_b32_e32 v10, s12
	v_mov_b32_e32 v11, s13
	s_movk_i32 s12, 0x3000
	v_add_u32_e64 v25, s12, 0
	ds_write2_b64 v25, v[10:11], v[10:11] offset0:154 offset1:219
.LBB25_681:
	s_or_b64 exec, exec, s[10:11]
	v_mov_b32_e32 v10, 0
	v_mov_b32_e32 v11, 0
	s_waitcnt lgkmcnt(0)
	s_barrier
	buffer_wbinvl1_vol
	s_and_saveexec_b64 s[12:13], s[0:1]
	s_cbranch_execz .LBB25_685
; %bb.682:
	v_lshlrev_b32_e32 v25, 9, v13
	v_lshlrev_b32_e32 v10, 3, v12
	ds_read_b64 v[10:11], v10 offset:13504
	ds_read_b64 v[25:26], v25 offset:13520
	v_cmp_gt_u32_e64 s[10:11], 2, v15
	s_waitcnt lgkmcnt(0)
	v_fma_f64 v[10:11], v[10:11], v[25:26], 0
	s_and_saveexec_b64 s[16:17], s[10:11]
	s_cbranch_execz .LBB25_684
; %bb.683:
	v_lshlrev_b32_e32 v25, 3, v0
	v_mov_b32_e32 v27, 0
	ds_read_b64 v[25:26], v25 offset:14016
	ds_read_b64 v[27:28], v27 offset:14040
	s_waitcnt lgkmcnt(0)
	v_fma_f64 v[10:11], v[25:26], v[27:28], v[10:11]
.LBB25_684:
	s_or_b64 exec, exec, s[16:17]
.LBB25_685:
	s_or_b64 exec, exec, s[12:13]
	s_and_saveexec_b64 s[10:11], s[40:41]
; %bb.686:
	v_xor_b32_e32 v26, 0x80000000, v11
	v_mov_b32_e32 v25, v10
	ds_write_b64 v14, v[25:26]
; %bb.687:
	s_or_b64 exec, exec, s[10:11]
	s_waitcnt lgkmcnt(0)
	s_barrier
	s_and_saveexec_b64 s[10:11], s[38:39]
	s_cbranch_execz .LBB25_689
; %bb.688:
	v_mov_b32_e32 v25, 0
	ds_read_b64 v[25:26], v25 offset:12992
	ds_read_b64 v[27:28], v14
	s_waitcnt lgkmcnt(0)
	v_fma_f64 v[10:11], -v[25:26], v[27:28], v[10:11]
.LBB25_689:
	s_or_b64 exec, exec, s[10:11]
	s_barrier
	s_and_saveexec_b64 s[10:11], s[38:39]
; %bb.690:
	v_xor_b32_e32 v26, 0x80000000, v11
	v_mov_b32_e32 v25, v10
	ds_write_b64 v14, v[25:26]
; %bb.691:
	s_or_b64 exec, exec, s[10:11]
	s_waitcnt lgkmcnt(0)
	s_barrier
	s_barrier
	s_and_saveexec_b64 s[10:11], s[0:1]
; %bb.692:
	v_lshlrev_b32_e32 v25, 3, v12
	v_lshl_or_b32 v25, v13, 9, v25
	ds_write_b64 v25, v[10:11] offset:13504
; %bb.693:
	s_or_b64 exec, exec, s[10:11]
	s_waitcnt lgkmcnt(0)
	s_barrier
	s_barrier
	s_and_saveexec_b64 s[10:11], vcc
	s_cbranch_execz .LBB25_695
; %bb.694:
	s_mov_b64 s[12:13], 1.0
	v_mov_b32_e32 v10, s12
	v_mov_b32_e32 v11, s13
	s_movk_i32 s12, 0x3000
	v_add_u32_e64 v25, s12, 0
	ds_write2_b64 v25, v[10:11], v[10:11] offset0:24 offset1:89
.LBB25_695:
	s_or_b64 exec, exec, s[10:11]
	v_mov_b32_e32 v10, 0
	v_mov_b32_e32 v11, 0
	s_waitcnt lgkmcnt(0)
	s_barrier
	buffer_wbinvl1_vol
	s_and_saveexec_b64 s[12:13], s[14:15]
	s_cbranch_execz .LBB25_705
; %bb.696:
	v_lshlrev_b32_e32 v26, 3, v19
	v_lshlrev_b32_e32 v25, 9, v20
	ds_read_b64 v[10:11], v26 offset:12416
	ds_read_b64 v[27:28], v25 offset:12480
	v_cmp_gt_u32_e64 s[10:11], 56, v15
	s_waitcnt lgkmcnt(0)
	v_fma_f64 v[10:11], v[10:11], v[27:28], 0
	s_and_saveexec_b64 s[16:17], s[10:11]
	s_cbranch_execnz .LBB25_1136
; %bb.697:
	s_or_b64 exec, exec, s[16:17]
	v_cmp_gt_u32_e64 s[10:11], 48, v15
	s_and_saveexec_b64 s[16:17], s[10:11]
	s_cbranch_execnz .LBB25_1137
.LBB25_698:
	s_or_b64 exec, exec, s[16:17]
	v_cmp_gt_u32_e64 s[10:11], 40, v15
	s_and_saveexec_b64 s[16:17], s[10:11]
	s_cbranch_execnz .LBB25_1138
.LBB25_699:
	s_or_b64 exec, exec, s[16:17]
	v_cmp_gt_u32_e64 s[10:11], 32, v15
	s_and_saveexec_b64 s[16:17], s[10:11]
	s_cbranch_execnz .LBB25_1139
.LBB25_700:
	s_or_b64 exec, exec, s[16:17]
	v_cmp_gt_u32_e64 s[10:11], 24, v15
	s_and_saveexec_b64 s[16:17], s[10:11]
	s_cbranch_execnz .LBB25_1140
.LBB25_701:
	s_or_b64 exec, exec, s[16:17]
	s_and_saveexec_b64 s[10:11], s[2:3]
	s_cbranch_execnz .LBB25_1141
.LBB25_702:
	s_or_b64 exec, exec, s[10:11]
	v_cmp_gt_u32_e64 s[10:11], 8, v15
	s_and_saveexec_b64 s[16:17], s[10:11]
	s_cbranch_execz .LBB25_704
.LBB25_703:
	v_lshlrev_b32_e32 v25, 3, v0
	v_mov_b32_e32 v27, 0
	ds_read_b64 v[25:26], v25 offset:16000
	ds_read_b64 v[27:28], v27 offset:16120
	s_waitcnt lgkmcnt(0)
	v_fma_f64 v[10:11], v[25:26], v[27:28], v[10:11]
.LBB25_704:
	s_or_b64 exec, exec, s[16:17]
.LBB25_705:
	s_or_b64 exec, exec, s[12:13]
	s_and_saveexec_b64 s[10:11], s[54:55]
; %bb.706:
	v_xor_b32_e32 v26, 0x80000000, v11
	v_mov_b32_e32 v25, v10
	ds_write_b64 v21, v[25:26]
; %bb.707:
	s_or_b64 exec, exec, s[10:11]
	s_waitcnt lgkmcnt(0)
	s_barrier
	s_and_saveexec_b64 s[10:11], s[56:57]
	s_cbranch_execz .LBB25_709
; %bb.708:
	v_lshlrev_b32_e32 v25, 3, v19
	ds_read_b64 v[25:26], v25 offset:11904
	ds_read_b64 v[27:28], v21
	s_waitcnt lgkmcnt(0)
	v_fma_f64 v[10:11], -v[25:26], v[27:28], v[10:11]
.LBB25_709:
	s_or_b64 exec, exec, s[10:11]
	s_barrier
	s_and_saveexec_b64 s[10:11], s[58:59]
; %bb.710:
	v_xor_b32_e32 v26, 0x80000000, v11
	v_mov_b32_e32 v25, v10
	ds_write_b64 v21, v[25:26]
; %bb.711:
	s_or_b64 exec, exec, s[10:11]
	s_waitcnt lgkmcnt(0)
	s_barrier
	s_and_saveexec_b64 s[10:11], s[60:61]
	s_cbranch_execz .LBB25_713
; %bb.712:
	v_lshlrev_b32_e32 v25, 3, v19
	ds_read_b64 v[25:26], v25 offset:11392
	ds_read_b64 v[27:28], v21
	s_waitcnt lgkmcnt(0)
	v_fma_f64 v[10:11], -v[25:26], v[27:28], v[10:11]
.LBB25_713:
	s_or_b64 exec, exec, s[10:11]
	s_barrier
	;; [unrolled: 20-line block ×6, first 2 shown]
	s_and_saveexec_b64 s[10:11], s[80:81]
; %bb.730:
	v_xor_b32_e32 v26, 0x80000000, v11
	v_mov_b32_e32 v25, v10
	ds_write_b64 v21, v[25:26]
; %bb.731:
	s_or_b64 exec, exec, s[10:11]
	s_waitcnt lgkmcnt(0)
	s_barrier
	s_and_saveexec_b64 s[10:11], s[64:65]
	s_cbranch_execz .LBB25_733
; %bb.732:
	v_mov_b32_e32 v25, 0
	ds_read_b64 v[25:26], v25 offset:8832
	ds_read_b64 v[27:28], v21
	s_waitcnt lgkmcnt(0)
	v_fma_f64 v[10:11], -v[25:26], v[27:28], v[10:11]
.LBB25_733:
	s_or_b64 exec, exec, s[10:11]
	s_barrier
	s_and_saveexec_b64 s[10:11], s[64:65]
; %bb.734:
	v_xor_b32_e32 v26, 0x80000000, v11
	v_mov_b32_e32 v25, v10
	ds_write_b64 v21, v[25:26]
; %bb.735:
	s_or_b64 exec, exec, s[10:11]
	s_waitcnt lgkmcnt(0)
	s_barrier
	s_barrier
	s_and_saveexec_b64 s[10:11], s[14:15]
; %bb.736:
	v_lshlrev_b32_e32 v25, 3, v19
	v_lshl_or_b32 v25, v20, 9, v25
	ds_write_b64 v25, v[10:11] offset:12416
; %bb.737:
	s_or_b64 exec, exec, s[10:11]
	s_waitcnt lgkmcnt(0)
	s_barrier
	s_barrier
	s_and_saveexec_b64 s[10:11], vcc
	s_cbranch_execz .LBB25_739
; %bb.738:
	s_mov_b64 s[12:13], 1.0
	v_mov_b32_e32 v10, s12
	v_mov_b32_e32 v11, s13
	s_movk_i32 s12, 0x2800
	v_add_u32_e64 v25, s12, 0
	ds_write2_b64 v25, v[10:11], v[10:11] offset0:150 offset1:215
.LBB25_739:
	s_or_b64 exec, exec, s[10:11]
	v_mov_b32_e32 v10, 0
	v_mov_b32_e32 v11, 0
	s_waitcnt lgkmcnt(0)
	s_barrier
	buffer_wbinvl1_vol
	s_and_saveexec_b64 s[12:13], s[0:1]
	s_cbranch_execz .LBB25_743
; %bb.740:
	v_lshlrev_b32_e32 v25, 9, v13
	v_lshlrev_b32_e32 v10, 3, v12
	ds_read_b64 v[10:11], v10 offset:11424
	ds_read_b64 v[25:26], v25 offset:11440
	v_cmp_gt_u32_e64 s[10:11], 2, v15
	s_waitcnt lgkmcnt(0)
	v_fma_f64 v[10:11], v[10:11], v[25:26], 0
	s_and_saveexec_b64 s[16:17], s[10:11]
	s_cbranch_execz .LBB25_742
; %bb.741:
	v_lshlrev_b32_e32 v25, 3, v0
	v_mov_b32_e32 v27, 0
	ds_read_b64 v[25:26], v25 offset:11936
	ds_read_b64 v[27:28], v27 offset:11960
	s_waitcnt lgkmcnt(0)
	v_fma_f64 v[10:11], v[25:26], v[27:28], v[10:11]
.LBB25_742:
	s_or_b64 exec, exec, s[16:17]
.LBB25_743:
	s_or_b64 exec, exec, s[12:13]
	s_and_saveexec_b64 s[10:11], s[40:41]
; %bb.744:
	v_xor_b32_e32 v26, 0x80000000, v11
	v_mov_b32_e32 v25, v10
	ds_write_b64 v14, v[25:26]
; %bb.745:
	s_or_b64 exec, exec, s[10:11]
	s_waitcnt lgkmcnt(0)
	s_barrier
	s_and_saveexec_b64 s[10:11], s[38:39]
	s_cbranch_execz .LBB25_747
; %bb.746:
	v_mov_b32_e32 v25, 0
	ds_read_b64 v[25:26], v25 offset:10912
	ds_read_b64 v[27:28], v14
	s_waitcnt lgkmcnt(0)
	v_fma_f64 v[10:11], -v[25:26], v[27:28], v[10:11]
.LBB25_747:
	s_or_b64 exec, exec, s[10:11]
	s_barrier
	s_and_saveexec_b64 s[10:11], s[38:39]
; %bb.748:
	v_xor_b32_e32 v26, 0x80000000, v11
	v_mov_b32_e32 v25, v10
	ds_write_b64 v14, v[25:26]
; %bb.749:
	s_or_b64 exec, exec, s[10:11]
	s_waitcnt lgkmcnt(0)
	s_barrier
	s_barrier
	s_and_saveexec_b64 s[10:11], s[0:1]
; %bb.750:
	v_lshlrev_b32_e32 v25, 3, v12
	v_lshl_or_b32 v25, v13, 9, v25
	ds_write_b64 v25, v[10:11] offset:11424
; %bb.751:
	s_or_b64 exec, exec, s[10:11]
	s_waitcnt lgkmcnt(0)
	s_barrier
	s_barrier
	s_and_saveexec_b64 s[10:11], vcc
	s_cbranch_execz .LBB25_753
; %bb.752:
	s_mov_b64 s[12:13], 1.0
	v_mov_b32_e32 v10, s12
	v_mov_b32_e32 v11, s13
	s_movk_i32 s12, 0x2800
	v_add_u32_e64 v25, s12, 0
	ds_write2_b64 v25, v[10:11], v[10:11] offset0:20 offset1:85
.LBB25_753:
	s_or_b64 exec, exec, s[10:11]
	v_mov_b32_e32 v10, 0
	v_mov_b32_e32 v11, 0
	s_waitcnt lgkmcnt(0)
	s_barrier
	buffer_wbinvl1_vol
	s_and_saveexec_b64 s[12:13], s[2:3]
	s_cbranch_execz .LBB25_759
; %bb.754:
	v_lshlrev_b32_e32 v26, 3, v16
	v_lshlrev_b32_e32 v25, 9, v17
	ds_read_b64 v[10:11], v26 offset:10368
	ds_read_b64 v[27:28], v25 offset:10400
	v_cmp_gt_u32_e64 s[10:11], 12, v15
	s_waitcnt lgkmcnt(0)
	v_fma_f64 v[10:11], v[10:11], v[27:28], 0
	s_and_saveexec_b64 s[16:17], s[10:11]
	s_cbranch_execnz .LBB25_1142
; %bb.755:
	s_or_b64 exec, exec, s[16:17]
	v_cmp_gt_u32_e64 s[10:11], 8, v15
	s_and_saveexec_b64 s[16:17], s[10:11]
	s_cbranch_execnz .LBB25_1143
.LBB25_756:
	s_or_b64 exec, exec, s[16:17]
	v_cmp_gt_u32_e64 s[10:11], 4, v15
	s_and_saveexec_b64 s[16:17], s[10:11]
	s_cbranch_execz .LBB25_758
.LBB25_757:
	v_lshlrev_b32_e32 v25, 3, v0
	v_mov_b32_e32 v27, 0
	ds_read_b64 v[25:26], v25 offset:11904
	ds_read_b64 v[27:28], v27 offset:11960
	s_waitcnt lgkmcnt(0)
	v_fma_f64 v[10:11], v[25:26], v[27:28], v[10:11]
.LBB25_758:
	s_or_b64 exec, exec, s[16:17]
.LBB25_759:
	s_or_b64 exec, exec, s[12:13]
	s_and_saveexec_b64 s[10:11], s[44:45]
; %bb.760:
	v_xor_b32_e32 v26, 0x80000000, v11
	v_mov_b32_e32 v25, v10
	ds_write_b64 v18, v[25:26]
; %bb.761:
	s_or_b64 exec, exec, s[10:11]
	s_waitcnt lgkmcnt(0)
	s_barrier
	s_and_saveexec_b64 s[10:11], s[46:47]
	s_cbranch_execz .LBB25_763
; %bb.762:
	v_lshlrev_b32_e32 v25, 3, v16
	ds_read_b64 v[25:26], v25 offset:9856
	ds_read_b64 v[27:28], v18
	s_waitcnt lgkmcnt(0)
	v_fma_f64 v[10:11], -v[25:26], v[27:28], v[10:11]
.LBB25_763:
	s_or_b64 exec, exec, s[10:11]
	s_barrier
	s_and_saveexec_b64 s[10:11], s[48:49]
; %bb.764:
	v_xor_b32_e32 v26, 0x80000000, v11
	v_mov_b32_e32 v25, v10
	ds_write_b64 v18, v[25:26]
; %bb.765:
	s_or_b64 exec, exec, s[10:11]
	s_waitcnt lgkmcnt(0)
	s_barrier
	s_and_saveexec_b64 s[10:11], s[50:51]
	s_cbranch_execz .LBB25_767
; %bb.766:
	v_lshlrev_b32_e32 v25, 3, v16
	ds_read_b64 v[25:26], v25 offset:9344
	ds_read_b64 v[27:28], v18
	s_waitcnt lgkmcnt(0)
	v_fma_f64 v[10:11], -v[25:26], v[27:28], v[10:11]
.LBB25_767:
	s_or_b64 exec, exec, s[10:11]
	s_barrier
	s_and_saveexec_b64 s[10:11], s[52:53]
; %bb.768:
	v_xor_b32_e32 v26, 0x80000000, v11
	v_mov_b32_e32 v25, v10
	ds_write_b64 v18, v[25:26]
; %bb.769:
	s_or_b64 exec, exec, s[10:11]
	s_waitcnt lgkmcnt(0)
	s_barrier
	s_and_saveexec_b64 s[10:11], s[42:43]
	s_cbranch_execz .LBB25_771
; %bb.770:
	v_mov_b32_e32 v25, 0
	ds_read_b64 v[25:26], v25 offset:8832
	ds_read_b64 v[27:28], v18
	s_waitcnt lgkmcnt(0)
	v_fma_f64 v[10:11], -v[25:26], v[27:28], v[10:11]
.LBB25_771:
	s_or_b64 exec, exec, s[10:11]
	s_barrier
	s_and_saveexec_b64 s[10:11], s[42:43]
; %bb.772:
	v_xor_b32_e32 v26, 0x80000000, v11
	v_mov_b32_e32 v25, v10
	ds_write_b64 v18, v[25:26]
; %bb.773:
	s_or_b64 exec, exec, s[10:11]
	s_waitcnt lgkmcnt(0)
	s_barrier
	s_barrier
	s_and_saveexec_b64 s[10:11], s[2:3]
; %bb.774:
	v_lshlrev_b32_e32 v25, 3, v16
	v_lshl_or_b32 v25, v17, 9, v25
	ds_write_b64 v25, v[10:11] offset:10368
; %bb.775:
	s_or_b64 exec, exec, s[10:11]
	s_waitcnt lgkmcnt(0)
	s_barrier
	s_barrier
	s_and_saveexec_b64 s[10:11], vcc
	s_cbranch_execz .LBB25_777
; %bb.776:
	s_mov_b64 s[12:13], 1.0
	v_mov_b32_e32 v10, s12
	v_mov_b32_e32 v11, s13
	s_movk_i32 s12, 0x2000
	v_add_u32_e64 v25, s12, 0
	ds_write2_b64 v25, v[10:11], v[10:11] offset0:146 offset1:211
.LBB25_777:
	s_or_b64 exec, exec, s[10:11]
	v_mov_b32_e32 v10, 0
	v_mov_b32_e32 v11, 0
	s_waitcnt lgkmcnt(0)
	s_barrier
	buffer_wbinvl1_vol
	s_and_saveexec_b64 s[12:13], s[0:1]
	s_cbranch_execz .LBB25_781
; %bb.778:
	v_lshlrev_b32_e32 v25, 9, v13
	v_lshlrev_b32_e32 v10, 3, v12
	ds_read_b64 v[10:11], v10 offset:9344
	ds_read_b64 v[25:26], v25 offset:9360
	v_cmp_gt_u32_e64 s[10:11], 2, v15
	s_waitcnt lgkmcnt(0)
	v_fma_f64 v[10:11], v[10:11], v[25:26], 0
	s_and_saveexec_b64 s[16:17], s[10:11]
	s_cbranch_execz .LBB25_780
; %bb.779:
	v_lshlrev_b32_e32 v25, 3, v0
	v_mov_b32_e32 v27, 0
	ds_read_b64 v[25:26], v25 offset:9856
	ds_read_b64 v[27:28], v27 offset:9880
	s_waitcnt lgkmcnt(0)
	v_fma_f64 v[10:11], v[25:26], v[27:28], v[10:11]
.LBB25_780:
	s_or_b64 exec, exec, s[16:17]
.LBB25_781:
	s_or_b64 exec, exec, s[12:13]
	s_and_saveexec_b64 s[10:11], s[40:41]
; %bb.782:
	v_xor_b32_e32 v26, 0x80000000, v11
	v_mov_b32_e32 v25, v10
	ds_write_b64 v14, v[25:26]
; %bb.783:
	s_or_b64 exec, exec, s[10:11]
	s_waitcnt lgkmcnt(0)
	s_barrier
	s_and_saveexec_b64 s[10:11], s[38:39]
	s_cbranch_execz .LBB25_785
; %bb.784:
	v_mov_b32_e32 v25, 0
	ds_read_b64 v[25:26], v25 offset:8832
	ds_read_b64 v[27:28], v14
	s_waitcnt lgkmcnt(0)
	v_fma_f64 v[10:11], -v[25:26], v[27:28], v[10:11]
.LBB25_785:
	s_or_b64 exec, exec, s[10:11]
	s_barrier
	s_and_saveexec_b64 s[10:11], s[38:39]
; %bb.786:
	v_xor_b32_e32 v26, 0x80000000, v11
	v_mov_b32_e32 v25, v10
	ds_write_b64 v14, v[25:26]
; %bb.787:
	s_or_b64 exec, exec, s[10:11]
	s_waitcnt lgkmcnt(0)
	s_barrier
	s_barrier
	s_and_saveexec_b64 s[10:11], s[0:1]
; %bb.788:
	v_lshlrev_b32_e32 v25, 3, v12
	v_lshl_or_b32 v25, v13, 9, v25
	ds_write_b64 v25, v[10:11] offset:9344
; %bb.789:
	s_or_b64 exec, exec, s[10:11]
	s_waitcnt lgkmcnt(0)
	s_barrier
	s_barrier
	s_and_saveexec_b64 s[10:11], vcc
	s_cbranch_execz .LBB25_791
; %bb.790:
	s_mov_b64 s[12:13], 1.0
	v_mov_b32_e32 v10, s12
	v_mov_b32_e32 v11, s13
	s_movk_i32 s12, 0x2000
	v_add_u32_e64 v25, s12, 0
	ds_write2_b64 v25, v[10:11], v[10:11] offset0:16 offset1:81
.LBB25_791:
	s_or_b64 exec, exec, s[10:11]
	v_mov_b32_e32 v10, 0
	v_mov_b32_e32 v11, 0
	s_waitcnt lgkmcnt(0)
	s_barrier
	buffer_wbinvl1_vol
	s_and_saveexec_b64 s[12:13], s[8:9]
	s_cbranch_execz .LBB25_819
; %bb.792:
	v_lshlrev_b32_e32 v26, 3, v22
	v_lshlrev_b32_e32 v25, 9, v23
	ds_read_b64 v[10:11], v26 offset:8192
	ds_read_b64 v[27:28], v25 offset:8320
	s_movk_i32 s10, 0xf0
	v_cmp_gt_u32_e64 s[10:11], s10, v15
	s_waitcnt lgkmcnt(0)
	v_fma_f64 v[10:11], v[10:11], v[27:28], 0
	s_and_saveexec_b64 s[16:17], s[10:11]
	s_cbranch_execz .LBB25_794
; %bb.793:
	ds_read_b64 v[27:28], v26 offset:8704
	ds_read_b64 v[29:30], v25 offset:8328
	s_waitcnt lgkmcnt(0)
	v_fma_f64 v[10:11], v[27:28], v[29:30], v[10:11]
.LBB25_794:
	s_or_b64 exec, exec, s[16:17]
	s_movk_i32 s10, 0xe0
	v_cmp_gt_u32_e64 s[10:11], s10, v15
	s_and_saveexec_b64 s[16:17], s[10:11]
	s_cbranch_execz .LBB25_796
; %bb.795:
	ds_read_b64 v[27:28], v26 offset:9216
	ds_read_b64 v[29:30], v25 offset:8336
	s_waitcnt lgkmcnt(0)
	v_fma_f64 v[10:11], v[27:28], v[29:30], v[10:11]
.LBB25_796:
	s_or_b64 exec, exec, s[16:17]
	s_movk_i32 s10, 0xd0
	v_cmp_gt_u32_e64 s[10:11], s10, v15
	;; [unrolled: 11-line block ×10, first 2 shown]
	s_and_saveexec_b64 s[16:17], s[10:11]
	s_cbranch_execnz .LBB25_1144
; %bb.813:
	s_or_b64 exec, exec, s[16:17]
	s_and_saveexec_b64 s[10:11], s[14:15]
	s_cbranch_execnz .LBB25_1145
.LBB25_814:
	s_or_b64 exec, exec, s[10:11]
	v_cmp_gt_u32_e64 s[10:11], 48, v15
	s_and_saveexec_b64 s[16:17], s[10:11]
	s_cbranch_execnz .LBB25_1146
.LBB25_815:
	s_or_b64 exec, exec, s[16:17]
	v_cmp_gt_u32_e64 s[10:11], 32, v15
	s_and_saveexec_b64 s[16:17], s[10:11]
	s_cbranch_execnz .LBB25_1147
.LBB25_816:
	s_or_b64 exec, exec, s[16:17]
	v_cmp_gt_u32_e64 s[10:11], 16, v15
	s_and_saveexec_b64 s[16:17], s[10:11]
	s_cbranch_execz .LBB25_818
.LBB25_817:
	v_lshlrev_b32_e32 v25, 3, v0
	v_mov_b32_e32 v27, 0
	ds_read_b64 v[25:26], v25 offset:15872
	ds_read_b64 v[27:28], v27 offset:16120
	s_waitcnt lgkmcnt(0)
	v_fma_f64 v[10:11], v[25:26], v[27:28], v[10:11]
.LBB25_818:
	s_or_b64 exec, exec, s[16:17]
.LBB25_819:
	s_or_b64 exec, exec, s[12:13]
	s_mov_b64 s[10:11], exec
	v_readlane_b32 s12, v34, 2
	v_readlane_b32 s13, v34, 3
	s_and_b64 s[12:13], s[10:11], s[12:13]
	s_mov_b64 exec, s[12:13]
; %bb.820:
	v_xor_b32_e32 v26, 0x80000000, v11
	v_mov_b32_e32 v25, v10
	ds_write_b64 v24, v[25:26]
; %bb.821:
	s_or_b64 exec, exec, s[10:11]
	s_waitcnt lgkmcnt(0)
	s_barrier
	s_mov_b64 s[10:11], exec
	v_readlane_b32 s12, v34, 4
	v_readlane_b32 s13, v34, 5
	s_and_b64 s[12:13], s[10:11], s[12:13]
	s_mov_b64 exec, s[12:13]
	s_cbranch_execz .LBB25_823
; %bb.822:
	v_lshlrev_b32_e32 v25, 3, v22
	ds_read_b64 v[25:26], v25 offset:7680
	ds_read_b64 v[27:28], v24
	s_waitcnt lgkmcnt(0)
	v_fma_f64 v[10:11], -v[25:26], v[27:28], v[10:11]
.LBB25_823:
	s_or_b64 exec, exec, s[10:11]
	s_barrier
	s_mov_b64 s[10:11], exec
	v_readlane_b32 s12, v34, 6
	v_readlane_b32 s13, v34, 7
	s_and_b64 s[12:13], s[10:11], s[12:13]
	s_mov_b64 exec, s[12:13]
; %bb.824:
	v_xor_b32_e32 v26, 0x80000000, v11
	v_mov_b32_e32 v25, v10
	ds_write_b64 v24, v[25:26]
; %bb.825:
	s_or_b64 exec, exec, s[10:11]
	s_waitcnt lgkmcnt(0)
	s_barrier
	s_mov_b64 s[10:11], exec
	v_readlane_b32 s12, v34, 8
	v_readlane_b32 s13, v34, 9
	s_and_b64 s[12:13], s[10:11], s[12:13]
	s_mov_b64 exec, s[12:13]
	s_cbranch_execz .LBB25_827
; %bb.826:
	v_lshlrev_b32_e32 v25, 3, v22
	ds_read_b64 v[25:26], v25 offset:7168
	ds_read_b64 v[27:28], v24
	s_waitcnt lgkmcnt(0)
	v_fma_f64 v[10:11], -v[25:26], v[27:28], v[10:11]
.LBB25_827:
	s_or_b64 exec, exec, s[10:11]
	s_barrier
	;; [unrolled: 28-line block ×13, first 2 shown]
	s_and_saveexec_b64 s[10:11], s[88:89]
; %bb.872:
	v_xor_b32_e32 v26, 0x80000000, v11
	v_mov_b32_e32 v25, v10
	ds_write_b64 v24, v[25:26]
; %bb.873:
	s_or_b64 exec, exec, s[10:11]
	s_waitcnt lgkmcnt(0)
	s_barrier
	s_and_saveexec_b64 s[10:11], s[90:91]
	s_cbranch_execz .LBB25_875
; %bb.874:
	v_lshlrev_b32_e32 v25, 3, v22
	ds_read_b64 v[25:26], v25 offset:1024
	ds_read_b64 v[27:28], v24
	s_waitcnt lgkmcnt(0)
	v_fma_f64 v[10:11], -v[25:26], v[27:28], v[10:11]
.LBB25_875:
	s_or_b64 exec, exec, s[10:11]
	s_barrier
	s_and_saveexec_b64 s[10:11], s[94:95]
; %bb.876:
	v_xor_b32_e32 v26, 0x80000000, v11
	v_mov_b32_e32 v25, v10
	ds_write_b64 v24, v[25:26]
; %bb.877:
	s_or_b64 exec, exec, s[10:11]
	s_waitcnt lgkmcnt(0)
	s_barrier
	s_and_saveexec_b64 s[10:11], s[92:93]
	s_cbranch_execz .LBB25_879
; %bb.878:
	v_mov_b32_e32 v25, 0
	ds_read_b64 v[25:26], v25 offset:512
	ds_read_b64 v[27:28], v24
	s_waitcnt lgkmcnt(0)
	v_fma_f64 v[10:11], -v[25:26], v[27:28], v[10:11]
.LBB25_879:
	s_or_b64 exec, exec, s[10:11]
	s_barrier
	s_and_saveexec_b64 s[10:11], s[92:93]
; %bb.880:
	v_xor_b32_e32 v26, 0x80000000, v11
	v_mov_b32_e32 v25, v10
	ds_write_b64 v24, v[25:26]
; %bb.881:
	s_or_b64 exec, exec, s[10:11]
	s_waitcnt lgkmcnt(0)
	s_barrier
	s_barrier
	s_and_saveexec_b64 s[10:11], s[8:9]
; %bb.882:
	v_lshlrev_b32_e32 v22, 3, v22
	v_lshl_or_b32 v22, v23, 9, v22
	ds_write_b64 v22, v[10:11] offset:8192
; %bb.883:
	s_or_b64 exec, exec, s[10:11]
	s_waitcnt lgkmcnt(0)
	s_barrier
	s_barrier
	s_and_saveexec_b64 s[8:9], vcc
	s_cbranch_execz .LBB25_885
; %bb.884:
	s_mov_b64 s[10:11], 1.0
	v_mov_b32_e32 v10, s10
	v_mov_b32_e32 v11, s11
	s_movk_i32 s10, 0x1800
	v_add_u32_e64 v22, s10, 0
	ds_write2_b64 v22, v[10:11], v[10:11] offset0:142 offset1:207
.LBB25_885:
	s_or_b64 exec, exec, s[8:9]
	v_mov_b32_e32 v10, 0
	v_mov_b32_e32 v11, 0
	s_waitcnt lgkmcnt(0)
	s_barrier
	buffer_wbinvl1_vol
	s_and_saveexec_b64 s[10:11], s[0:1]
	s_cbranch_execz .LBB25_889
; %bb.886:
	v_lshlrev_b32_e32 v22, 9, v13
	v_lshlrev_b32_e32 v10, 3, v12
	ds_read_b64 v[10:11], v10 offset:7264
	ds_read_b64 v[22:23], v22 offset:7280
	v_cmp_gt_u32_e64 s[8:9], 2, v15
	s_waitcnt lgkmcnt(0)
	v_fma_f64 v[10:11], v[10:11], v[22:23], 0
	s_and_saveexec_b64 s[12:13], s[8:9]
	s_cbranch_execz .LBB25_888
; %bb.887:
	v_lshlrev_b32_e32 v22, 3, v0
	v_mov_b32_e32 v24, 0
	ds_read_b64 v[22:23], v22 offset:7776
	ds_read_b64 v[24:25], v24 offset:7800
	s_waitcnt lgkmcnt(0)
	v_fma_f64 v[10:11], v[22:23], v[24:25], v[10:11]
.LBB25_888:
	s_or_b64 exec, exec, s[12:13]
.LBB25_889:
	s_or_b64 exec, exec, s[10:11]
	s_and_saveexec_b64 s[8:9], s[40:41]
; %bb.890:
	v_xor_b32_e32 v23, 0x80000000, v11
	v_mov_b32_e32 v22, v10
	ds_write_b64 v14, v[22:23]
; %bb.891:
	s_or_b64 exec, exec, s[8:9]
	s_waitcnt lgkmcnt(0)
	s_barrier
	s_and_saveexec_b64 s[8:9], s[38:39]
	s_cbranch_execz .LBB25_893
; %bb.892:
	v_mov_b32_e32 v22, 0
	ds_read_b64 v[22:23], v22 offset:6752
	ds_read_b64 v[24:25], v14
	s_waitcnt lgkmcnt(0)
	v_fma_f64 v[10:11], -v[22:23], v[24:25], v[10:11]
.LBB25_893:
	s_or_b64 exec, exec, s[8:9]
	s_barrier
	s_and_saveexec_b64 s[8:9], s[38:39]
; %bb.894:
	v_xor_b32_e32 v23, 0x80000000, v11
	v_mov_b32_e32 v22, v10
	ds_write_b64 v14, v[22:23]
; %bb.895:
	s_or_b64 exec, exec, s[8:9]
	s_waitcnt lgkmcnt(0)
	s_barrier
	s_barrier
	s_and_saveexec_b64 s[8:9], s[0:1]
; %bb.896:
	v_lshlrev_b32_e32 v22, 3, v12
	v_lshl_or_b32 v22, v13, 9, v22
	ds_write_b64 v22, v[10:11] offset:7264
; %bb.897:
	s_or_b64 exec, exec, s[8:9]
	s_waitcnt lgkmcnt(0)
	s_barrier
	s_barrier
	s_and_saveexec_b64 s[8:9], vcc
	s_cbranch_execz .LBB25_899
; %bb.898:
	s_mov_b64 s[10:11], 1.0
	v_mov_b32_e32 v10, s10
	v_mov_b32_e32 v11, s11
	s_movk_i32 s10, 0x1800
	v_add_u32_e64 v22, s10, 0
	ds_write2_b64 v22, v[10:11], v[10:11] offset0:12 offset1:77
.LBB25_899:
	s_or_b64 exec, exec, s[8:9]
	v_mov_b32_e32 v10, 0
	v_mov_b32_e32 v11, 0
	s_waitcnt lgkmcnt(0)
	s_barrier
	buffer_wbinvl1_vol
	s_and_saveexec_b64 s[10:11], s[2:3]
	s_cbranch_execz .LBB25_905
; %bb.900:
	v_lshlrev_b32_e32 v23, 3, v16
	v_lshlrev_b32_e32 v22, 9, v17
	ds_read_b64 v[10:11], v23 offset:6208
	ds_read_b64 v[24:25], v22 offset:6240
	v_cmp_gt_u32_e64 s[8:9], 12, v15
	s_waitcnt lgkmcnt(0)
	v_fma_f64 v[10:11], v[10:11], v[24:25], 0
	s_and_saveexec_b64 s[12:13], s[8:9]
	s_cbranch_execnz .LBB25_1148
; %bb.901:
	s_or_b64 exec, exec, s[12:13]
	v_cmp_gt_u32_e64 s[8:9], 8, v15
	s_and_saveexec_b64 s[12:13], s[8:9]
	s_cbranch_execnz .LBB25_1149
.LBB25_902:
	s_or_b64 exec, exec, s[12:13]
	v_cmp_gt_u32_e64 s[8:9], 4, v15
	s_and_saveexec_b64 s[12:13], s[8:9]
	s_cbranch_execz .LBB25_904
.LBB25_903:
	v_lshlrev_b32_e32 v22, 3, v0
	v_mov_b32_e32 v24, 0
	ds_read_b64 v[22:23], v22 offset:7744
	ds_read_b64 v[24:25], v24 offset:7800
	s_waitcnt lgkmcnt(0)
	v_fma_f64 v[10:11], v[22:23], v[24:25], v[10:11]
.LBB25_904:
	s_or_b64 exec, exec, s[12:13]
.LBB25_905:
	s_or_b64 exec, exec, s[10:11]
	s_and_saveexec_b64 s[8:9], s[44:45]
; %bb.906:
	v_xor_b32_e32 v23, 0x80000000, v11
	v_mov_b32_e32 v22, v10
	ds_write_b64 v18, v[22:23]
; %bb.907:
	s_or_b64 exec, exec, s[8:9]
	s_waitcnt lgkmcnt(0)
	s_barrier
	s_and_saveexec_b64 s[8:9], s[46:47]
	s_cbranch_execz .LBB25_909
; %bb.908:
	v_lshlrev_b32_e32 v22, 3, v16
	ds_read_b64 v[22:23], v22 offset:5696
	ds_read_b64 v[24:25], v18
	s_waitcnt lgkmcnt(0)
	v_fma_f64 v[10:11], -v[22:23], v[24:25], v[10:11]
.LBB25_909:
	s_or_b64 exec, exec, s[8:9]
	s_barrier
	s_and_saveexec_b64 s[8:9], s[48:49]
; %bb.910:
	v_xor_b32_e32 v23, 0x80000000, v11
	v_mov_b32_e32 v22, v10
	ds_write_b64 v18, v[22:23]
; %bb.911:
	s_or_b64 exec, exec, s[8:9]
	s_waitcnt lgkmcnt(0)
	s_barrier
	s_and_saveexec_b64 s[8:9], s[50:51]
	s_cbranch_execz .LBB25_913
; %bb.912:
	v_lshlrev_b32_e32 v22, 3, v16
	ds_read_b64 v[22:23], v22 offset:5184
	ds_read_b64 v[24:25], v18
	s_waitcnt lgkmcnt(0)
	v_fma_f64 v[10:11], -v[22:23], v[24:25], v[10:11]
.LBB25_913:
	s_or_b64 exec, exec, s[8:9]
	s_barrier
	s_and_saveexec_b64 s[8:9], s[52:53]
; %bb.914:
	v_xor_b32_e32 v23, 0x80000000, v11
	v_mov_b32_e32 v22, v10
	ds_write_b64 v18, v[22:23]
; %bb.915:
	s_or_b64 exec, exec, s[8:9]
	s_waitcnt lgkmcnt(0)
	s_barrier
	s_and_saveexec_b64 s[8:9], s[42:43]
	s_cbranch_execz .LBB25_917
; %bb.916:
	v_mov_b32_e32 v22, 0
	ds_read_b64 v[22:23], v22 offset:4672
	ds_read_b64 v[24:25], v18
	s_waitcnt lgkmcnt(0)
	v_fma_f64 v[10:11], -v[22:23], v[24:25], v[10:11]
.LBB25_917:
	s_or_b64 exec, exec, s[8:9]
	s_barrier
	s_and_saveexec_b64 s[8:9], s[42:43]
; %bb.918:
	v_xor_b32_e32 v23, 0x80000000, v11
	v_mov_b32_e32 v22, v10
	ds_write_b64 v18, v[22:23]
; %bb.919:
	s_or_b64 exec, exec, s[8:9]
	s_waitcnt lgkmcnt(0)
	s_barrier
	s_barrier
	s_and_saveexec_b64 s[8:9], s[2:3]
; %bb.920:
	v_lshlrev_b32_e32 v22, 3, v16
	v_lshl_or_b32 v22, v17, 9, v22
	ds_write_b64 v22, v[10:11] offset:6208
; %bb.921:
	s_or_b64 exec, exec, s[8:9]
	s_waitcnt lgkmcnt(0)
	s_barrier
	s_barrier
	s_and_saveexec_b64 s[8:9], vcc
	s_cbranch_execz .LBB25_923
; %bb.922:
	s_mov_b64 s[10:11], 1.0
	v_mov_b32_e32 v10, s10
	v_mov_b32_e32 v11, s11
	s_movk_i32 s10, 0x1000
	v_add_u32_e64 v22, s10, 0
	ds_write2_b64 v22, v[10:11], v[10:11] offset0:138 offset1:203
.LBB25_923:
	s_or_b64 exec, exec, s[8:9]
	v_mov_b32_e32 v10, 0
	v_mov_b32_e32 v11, 0
	s_waitcnt lgkmcnt(0)
	s_barrier
	buffer_wbinvl1_vol
	s_and_saveexec_b64 s[10:11], s[0:1]
	s_cbranch_execz .LBB25_927
; %bb.924:
	v_lshlrev_b32_e32 v22, 9, v13
	v_lshlrev_b32_e32 v10, 3, v12
	ds_read_b64 v[10:11], v10 offset:5184
	ds_read_b64 v[22:23], v22 offset:5200
	v_cmp_gt_u32_e64 s[8:9], 2, v15
	s_waitcnt lgkmcnt(0)
	v_fma_f64 v[10:11], v[10:11], v[22:23], 0
	s_and_saveexec_b64 s[12:13], s[8:9]
	s_cbranch_execz .LBB25_926
; %bb.925:
	v_lshlrev_b32_e32 v22, 3, v0
	v_mov_b32_e32 v24, 0
	ds_read_b64 v[22:23], v22 offset:5696
	ds_read_b64 v[24:25], v24 offset:5720
	s_waitcnt lgkmcnt(0)
	v_fma_f64 v[10:11], v[22:23], v[24:25], v[10:11]
.LBB25_926:
	s_or_b64 exec, exec, s[12:13]
.LBB25_927:
	s_or_b64 exec, exec, s[10:11]
	s_and_saveexec_b64 s[8:9], s[40:41]
; %bb.928:
	v_xor_b32_e32 v23, 0x80000000, v11
	v_mov_b32_e32 v22, v10
	ds_write_b64 v14, v[22:23]
; %bb.929:
	s_or_b64 exec, exec, s[8:9]
	s_waitcnt lgkmcnt(0)
	s_barrier
	s_and_saveexec_b64 s[8:9], s[38:39]
	s_cbranch_execz .LBB25_931
; %bb.930:
	v_mov_b32_e32 v22, 0
	ds_read_b64 v[22:23], v22 offset:4672
	ds_read_b64 v[24:25], v14
	s_waitcnt lgkmcnt(0)
	v_fma_f64 v[10:11], -v[22:23], v[24:25], v[10:11]
.LBB25_931:
	s_or_b64 exec, exec, s[8:9]
	s_barrier
	s_and_saveexec_b64 s[8:9], s[38:39]
; %bb.932:
	v_xor_b32_e32 v23, 0x80000000, v11
	v_mov_b32_e32 v22, v10
	ds_write_b64 v14, v[22:23]
; %bb.933:
	s_or_b64 exec, exec, s[8:9]
	s_waitcnt lgkmcnt(0)
	s_barrier
	s_barrier
	s_and_saveexec_b64 s[8:9], s[0:1]
; %bb.934:
	v_lshlrev_b32_e32 v22, 3, v12
	v_lshl_or_b32 v22, v13, 9, v22
	ds_write_b64 v22, v[10:11] offset:5184
; %bb.935:
	s_or_b64 exec, exec, s[8:9]
	s_waitcnt lgkmcnt(0)
	s_barrier
	s_barrier
	s_and_saveexec_b64 s[8:9], vcc
	s_cbranch_execz .LBB25_937
; %bb.936:
	s_mov_b64 s[10:11], 1.0
	v_mov_b32_e32 v10, s10
	v_mov_b32_e32 v11, s11
	s_movk_i32 s10, 0x1000
	v_add_u32_e64 v22, s10, 0
	ds_write2_b64 v22, v[10:11], v[10:11] offset0:8 offset1:73
.LBB25_937:
	s_or_b64 exec, exec, s[8:9]
	v_mov_b32_e32 v10, 0
	v_mov_b32_e32 v11, 0
	s_waitcnt lgkmcnt(0)
	s_barrier
	buffer_wbinvl1_vol
	s_and_saveexec_b64 s[10:11], s[14:15]
	s_cbranch_execz .LBB25_947
; %bb.938:
	v_lshlrev_b32_e32 v23, 3, v19
	v_lshlrev_b32_e32 v22, 9, v20
	ds_read_b64 v[10:11], v23 offset:4096
	ds_read_b64 v[24:25], v22 offset:4160
	v_cmp_gt_u32_e64 s[8:9], 56, v15
	s_waitcnt lgkmcnt(0)
	v_fma_f64 v[10:11], v[10:11], v[24:25], 0
	s_and_saveexec_b64 s[12:13], s[8:9]
	s_cbranch_execnz .LBB25_1150
; %bb.939:
	s_or_b64 exec, exec, s[12:13]
	v_cmp_gt_u32_e64 s[8:9], 48, v15
	s_and_saveexec_b64 s[12:13], s[8:9]
	s_cbranch_execnz .LBB25_1151
.LBB25_940:
	s_or_b64 exec, exec, s[12:13]
	v_cmp_gt_u32_e64 s[8:9], 40, v15
	s_and_saveexec_b64 s[12:13], s[8:9]
	s_cbranch_execnz .LBB25_1152
.LBB25_941:
	s_or_b64 exec, exec, s[12:13]
	v_cmp_gt_u32_e64 s[8:9], 32, v15
	s_and_saveexec_b64 s[12:13], s[8:9]
	s_cbranch_execnz .LBB25_1153
.LBB25_942:
	s_or_b64 exec, exec, s[12:13]
	v_cmp_gt_u32_e64 s[8:9], 24, v15
	s_and_saveexec_b64 s[12:13], s[8:9]
	s_cbranch_execnz .LBB25_1154
.LBB25_943:
	s_or_b64 exec, exec, s[12:13]
	s_and_saveexec_b64 s[8:9], s[2:3]
	s_cbranch_execnz .LBB25_1155
.LBB25_944:
	s_or_b64 exec, exec, s[8:9]
	v_cmp_gt_u32_e64 s[8:9], 8, v15
	s_and_saveexec_b64 s[12:13], s[8:9]
	s_cbranch_execz .LBB25_946
.LBB25_945:
	v_lshlrev_b32_e32 v22, 3, v0
	v_mov_b32_e32 v24, 0
	ds_read_b64 v[22:23], v22 offset:7680
	ds_read_b64 v[24:25], v24 offset:7800
	s_waitcnt lgkmcnt(0)
	v_fma_f64 v[10:11], v[22:23], v[24:25], v[10:11]
.LBB25_946:
	s_or_b64 exec, exec, s[12:13]
.LBB25_947:
	s_or_b64 exec, exec, s[10:11]
	s_and_saveexec_b64 s[8:9], s[54:55]
; %bb.948:
	v_xor_b32_e32 v23, 0x80000000, v11
	v_mov_b32_e32 v22, v10
	ds_write_b64 v21, v[22:23]
; %bb.949:
	s_or_b64 exec, exec, s[8:9]
	s_waitcnt lgkmcnt(0)
	s_barrier
	s_and_saveexec_b64 s[8:9], s[56:57]
	s_cbranch_execz .LBB25_951
; %bb.950:
	v_lshlrev_b32_e32 v22, 3, v19
	ds_read_b64 v[22:23], v22 offset:3584
	ds_read_b64 v[24:25], v21
	s_waitcnt lgkmcnt(0)
	v_fma_f64 v[10:11], -v[22:23], v[24:25], v[10:11]
.LBB25_951:
	s_or_b64 exec, exec, s[8:9]
	s_barrier
	s_and_saveexec_b64 s[8:9], s[58:59]
; %bb.952:
	v_xor_b32_e32 v23, 0x80000000, v11
	v_mov_b32_e32 v22, v10
	ds_write_b64 v21, v[22:23]
; %bb.953:
	s_or_b64 exec, exec, s[8:9]
	s_waitcnt lgkmcnt(0)
	s_barrier
	s_and_saveexec_b64 s[8:9], s[60:61]
	s_cbranch_execz .LBB25_955
; %bb.954:
	v_lshlrev_b32_e32 v22, 3, v19
	ds_read_b64 v[22:23], v22 offset:3072
	ds_read_b64 v[24:25], v21
	s_waitcnt lgkmcnt(0)
	v_fma_f64 v[10:11], -v[22:23], v[24:25], v[10:11]
.LBB25_955:
	s_or_b64 exec, exec, s[8:9]
	s_barrier
	;; [unrolled: 20-line block ×6, first 2 shown]
	s_and_saveexec_b64 s[8:9], s[80:81]
; %bb.972:
	v_xor_b32_e32 v23, 0x80000000, v11
	v_mov_b32_e32 v22, v10
	ds_write_b64 v21, v[22:23]
; %bb.973:
	s_or_b64 exec, exec, s[8:9]
	s_waitcnt lgkmcnt(0)
	s_barrier
	s_and_saveexec_b64 s[8:9], s[64:65]
	s_cbranch_execz .LBB25_975
; %bb.974:
	v_mov_b32_e32 v22, 0
	ds_read_b64 v[22:23], v22 offset:512
	ds_read_b64 v[24:25], v21
	s_waitcnt lgkmcnt(0)
	v_fma_f64 v[10:11], -v[22:23], v[24:25], v[10:11]
.LBB25_975:
	s_or_b64 exec, exec, s[8:9]
	s_barrier
	s_and_saveexec_b64 s[8:9], s[64:65]
; %bb.976:
	v_xor_b32_e32 v23, 0x80000000, v11
	v_mov_b32_e32 v22, v10
	ds_write_b64 v21, v[22:23]
; %bb.977:
	s_or_b64 exec, exec, s[8:9]
	s_waitcnt lgkmcnt(0)
	s_barrier
	s_barrier
	s_and_saveexec_b64 s[8:9], s[14:15]
; %bb.978:
	v_lshlrev_b32_e32 v19, 3, v19
	v_lshl_or_b32 v19, v20, 9, v19
	ds_write_b64 v19, v[10:11] offset:4096
; %bb.979:
	s_or_b64 exec, exec, s[8:9]
	s_waitcnt lgkmcnt(0)
	s_barrier
	s_barrier
	s_and_saveexec_b64 s[8:9], vcc
	s_cbranch_execz .LBB25_981
; %bb.980:
	s_mov_b64 s[10:11], 1.0
	v_mov_b32_e32 v10, s10
	v_mov_b32_e32 v11, s11
	s_movk_i32 s10, 0x800
	v_add_u32_e64 v19, s10, 0
	ds_write2_b64 v19, v[10:11], v[10:11] offset0:134 offset1:199
.LBB25_981:
	s_or_b64 exec, exec, s[8:9]
	v_mov_b32_e32 v10, 0
	v_mov_b32_e32 v11, 0
	s_waitcnt lgkmcnt(0)
	s_barrier
	buffer_wbinvl1_vol
	s_and_saveexec_b64 s[10:11], s[0:1]
	s_cbranch_execz .LBB25_985
; %bb.982:
	v_lshlrev_b32_e32 v19, 9, v13
	v_lshlrev_b32_e32 v10, 3, v12
	ds_read_b64 v[10:11], v10 offset:3104
	ds_read_b64 v[19:20], v19 offset:3120
	v_cmp_gt_u32_e64 s[8:9], 2, v15
	s_waitcnt lgkmcnt(0)
	v_fma_f64 v[10:11], v[10:11], v[19:20], 0
	s_and_saveexec_b64 s[12:13], s[8:9]
	s_cbranch_execz .LBB25_984
; %bb.983:
	v_lshlrev_b32_e32 v19, 3, v0
	v_mov_b32_e32 v21, 0
	ds_read_b64 v[19:20], v19 offset:3616
	ds_read_b64 v[21:22], v21 offset:3640
	s_waitcnt lgkmcnt(0)
	v_fma_f64 v[10:11], v[19:20], v[21:22], v[10:11]
.LBB25_984:
	s_or_b64 exec, exec, s[12:13]
.LBB25_985:
	s_or_b64 exec, exec, s[10:11]
	s_and_saveexec_b64 s[8:9], s[40:41]
; %bb.986:
	v_xor_b32_e32 v20, 0x80000000, v11
	v_mov_b32_e32 v19, v10
	ds_write_b64 v14, v[19:20]
; %bb.987:
	s_or_b64 exec, exec, s[8:9]
	s_waitcnt lgkmcnt(0)
	s_barrier
	s_and_saveexec_b64 s[8:9], s[38:39]
	s_cbranch_execz .LBB25_989
; %bb.988:
	v_mov_b32_e32 v19, 0
	ds_read_b64 v[19:20], v19 offset:2592
	ds_read_b64 v[21:22], v14
	s_waitcnt lgkmcnt(0)
	v_fma_f64 v[10:11], -v[19:20], v[21:22], v[10:11]
.LBB25_989:
	s_or_b64 exec, exec, s[8:9]
	s_barrier
	s_and_saveexec_b64 s[8:9], s[38:39]
; %bb.990:
	v_xor_b32_e32 v20, 0x80000000, v11
	v_mov_b32_e32 v19, v10
	ds_write_b64 v14, v[19:20]
; %bb.991:
	s_or_b64 exec, exec, s[8:9]
	s_waitcnt lgkmcnt(0)
	s_barrier
	s_barrier
	s_and_saveexec_b64 s[8:9], s[0:1]
; %bb.992:
	v_lshlrev_b32_e32 v19, 3, v12
	v_lshl_or_b32 v19, v13, 9, v19
	ds_write_b64 v19, v[10:11] offset:3104
; %bb.993:
	s_or_b64 exec, exec, s[8:9]
	s_waitcnt lgkmcnt(0)
	s_barrier
	s_barrier
	s_and_saveexec_b64 s[8:9], vcc
	s_cbranch_execz .LBB25_995
; %bb.994:
	s_mov_b64 s[10:11], 1.0
	v_mov_b32_e32 v10, s10
	v_mov_b32_e32 v11, s11
	s_movk_i32 s10, 0x800
	v_add_u32_e64 v19, s10, 0
	ds_write2_b64 v19, v[10:11], v[10:11] offset0:4 offset1:69
.LBB25_995:
	s_or_b64 exec, exec, s[8:9]
	v_mov_b32_e32 v10, 0
	v_mov_b32_e32 v11, 0
	s_waitcnt lgkmcnt(0)
	s_barrier
	buffer_wbinvl1_vol
	s_and_saveexec_b64 s[10:11], s[2:3]
	s_cbranch_execz .LBB25_1001
; %bb.996:
	v_lshlrev_b32_e32 v20, 3, v16
	v_lshlrev_b32_e32 v19, 9, v17
	ds_read_b64 v[10:11], v20 offset:2048
	ds_read_b64 v[21:22], v19 offset:2080
	v_cmp_gt_u32_e64 s[8:9], 12, v15
	s_waitcnt lgkmcnt(0)
	v_fma_f64 v[10:11], v[10:11], v[21:22], 0
	s_and_saveexec_b64 s[12:13], s[8:9]
	s_cbranch_execnz .LBB25_1156
; %bb.997:
	s_or_b64 exec, exec, s[12:13]
	v_cmp_gt_u32_e64 s[8:9], 8, v15
	s_and_saveexec_b64 s[12:13], s[8:9]
	s_cbranch_execnz .LBB25_1157
.LBB25_998:
	s_or_b64 exec, exec, s[12:13]
	v_cmp_gt_u32_e64 s[8:9], 4, v15
	s_and_saveexec_b64 s[12:13], s[8:9]
	s_cbranch_execz .LBB25_1000
.LBB25_999:
	v_lshlrev_b32_e32 v19, 3, v0
	v_mov_b32_e32 v21, 0
	ds_read_b64 v[19:20], v19 offset:3584
	ds_read_b64 v[21:22], v21 offset:3640
	s_waitcnt lgkmcnt(0)
	v_fma_f64 v[10:11], v[19:20], v[21:22], v[10:11]
.LBB25_1000:
	s_or_b64 exec, exec, s[12:13]
.LBB25_1001:
	s_or_b64 exec, exec, s[10:11]
	s_and_saveexec_b64 s[8:9], s[44:45]
; %bb.1002:
	v_xor_b32_e32 v20, 0x80000000, v11
	v_mov_b32_e32 v19, v10
	ds_write_b64 v18, v[19:20]
; %bb.1003:
	s_or_b64 exec, exec, s[8:9]
	s_waitcnt lgkmcnt(0)
	s_barrier
	s_and_saveexec_b64 s[8:9], s[46:47]
	v_readlane_b32 s16, v34, 0
	v_readlane_b32 s17, v34, 1
	s_cbranch_execz .LBB25_1005
; %bb.1004:
	v_lshlrev_b32_e32 v19, 3, v16
	ds_read_b64 v[19:20], v19 offset:1536
	ds_read_b64 v[21:22], v18
	s_waitcnt lgkmcnt(0)
	v_fma_f64 v[10:11], -v[19:20], v[21:22], v[10:11]
.LBB25_1005:
	s_or_b64 exec, exec, s[8:9]
	s_barrier
	s_and_saveexec_b64 s[8:9], s[48:49]
; %bb.1006:
	v_xor_b32_e32 v20, 0x80000000, v11
	v_mov_b32_e32 v19, v10
	ds_write_b64 v18, v[19:20]
; %bb.1007:
	s_or_b64 exec, exec, s[8:9]
	s_waitcnt lgkmcnt(0)
	s_barrier
	s_and_saveexec_b64 s[8:9], s[50:51]
	s_cbranch_execz .LBB25_1009
; %bb.1008:
	v_lshlrev_b32_e32 v19, 3, v16
	ds_read_b64 v[19:20], v19 offset:1024
	ds_read_b64 v[21:22], v18
	s_waitcnt lgkmcnt(0)
	v_fma_f64 v[10:11], -v[19:20], v[21:22], v[10:11]
.LBB25_1009:
	s_or_b64 exec, exec, s[8:9]
	s_barrier
	s_and_saveexec_b64 s[8:9], s[52:53]
; %bb.1010:
	v_xor_b32_e32 v20, 0x80000000, v11
	v_mov_b32_e32 v19, v10
	ds_write_b64 v18, v[19:20]
; %bb.1011:
	s_or_b64 exec, exec, s[8:9]
	s_waitcnt lgkmcnt(0)
	s_barrier
	s_and_saveexec_b64 s[8:9], s[42:43]
	s_cbranch_execz .LBB25_1013
; %bb.1012:
	v_mov_b32_e32 v19, 0
	ds_read_b64 v[19:20], v19 offset:512
	ds_read_b64 v[21:22], v18
	s_waitcnt lgkmcnt(0)
	v_fma_f64 v[10:11], -v[19:20], v[21:22], v[10:11]
.LBB25_1013:
	s_or_b64 exec, exec, s[8:9]
	s_barrier
	s_and_saveexec_b64 s[8:9], s[42:43]
; %bb.1014:
	v_xor_b32_e32 v20, 0x80000000, v11
	v_mov_b32_e32 v19, v10
	ds_write_b64 v18, v[19:20]
; %bb.1015:
	s_or_b64 exec, exec, s[8:9]
	s_waitcnt lgkmcnt(0)
	s_barrier
	s_barrier
	s_and_saveexec_b64 s[8:9], s[2:3]
; %bb.1016:
	v_lshlrev_b32_e32 v16, 3, v16
	v_lshl_or_b32 v16, v17, 9, v16
	ds_write_b64 v16, v[10:11] offset:2048
; %bb.1017:
	s_or_b64 exec, exec, s[8:9]
	s_waitcnt lgkmcnt(0)
	s_barrier
	s_barrier
	s_and_saveexec_b64 s[2:3], vcc
; %bb.1018:
	s_mov_b64 s[8:9], 1.0
	v_mov_b32_e32 v11, s9
	v_mov_b32_e32 v16, 0
	;; [unrolled: 1-line block ×3, first 2 shown]
	ds_write2_b64 v16, v[10:11], v[10:11] offset0:130 offset1:195
; %bb.1019:
	s_or_b64 exec, exec, s[2:3]
	v_mov_b32_e32 v10, 0
	v_mov_b32_e32 v11, 0
	s_waitcnt lgkmcnt(0)
	s_barrier
	buffer_wbinvl1_vol
	s_and_saveexec_b64 s[8:9], s[0:1]
	s_cbranch_execz .LBB25_1023
; %bb.1020:
	v_lshlrev_b32_e32 v16, 9, v13
	v_lshlrev_b32_e32 v10, 3, v12
	ds_read_b64 v[10:11], v10 offset:1024
	ds_read_b64 v[16:17], v16 offset:1040
	v_cmp_gt_u32_e64 s[2:3], 2, v15
	s_waitcnt lgkmcnt(0)
	v_fma_f64 v[10:11], v[10:11], v[16:17], 0
	s_and_saveexec_b64 s[10:11], s[2:3]
	s_cbranch_execz .LBB25_1022
; %bb.1021:
	v_lshlrev_b32_e32 v15, 3, v0
	v_mov_b32_e32 v17, 0
	ds_read_b64 v[15:16], v15 offset:1536
	ds_read_b64 v[17:18], v17 offset:1560
	s_waitcnt lgkmcnt(0)
	v_fma_f64 v[10:11], v[15:16], v[17:18], v[10:11]
.LBB25_1022:
	s_or_b64 exec, exec, s[10:11]
.LBB25_1023:
	s_or_b64 exec, exec, s[8:9]
	s_and_saveexec_b64 s[2:3], s[40:41]
; %bb.1024:
	v_xor_b32_e32 v16, 0x80000000, v11
	v_mov_b32_e32 v15, v10
	ds_write_b64 v14, v[15:16]
; %bb.1025:
	s_or_b64 exec, exec, s[2:3]
	s_waitcnt lgkmcnt(0)
	s_barrier
	s_and_saveexec_b64 s[2:3], s[38:39]
	s_cbranch_execz .LBB25_1027
; %bb.1026:
	v_mov_b32_e32 v15, 0
	ds_read_b64 v[15:16], v15 offset:512
	ds_read_b64 v[17:18], v14
	s_waitcnt lgkmcnt(0)
	v_fma_f64 v[10:11], -v[15:16], v[17:18], v[10:11]
.LBB25_1027:
	s_or_b64 exec, exec, s[2:3]
	s_barrier
	s_and_saveexec_b64 s[2:3], s[38:39]
; %bb.1028:
	v_xor_b32_e32 v16, 0x80000000, v11
	v_mov_b32_e32 v15, v10
	ds_write_b64 v14, v[15:16]
; %bb.1029:
	s_or_b64 exec, exec, s[2:3]
	s_waitcnt lgkmcnt(0)
	s_barrier
	s_barrier
	s_and_saveexec_b64 s[2:3], s[0:1]
; %bb.1030:
	v_lshlrev_b32_e32 v12, 3, v12
	v_lshl_or_b32 v12, v13, 9, v12
	ds_write_b64 v12, v[10:11] offset:1024
; %bb.1031:
	s_or_b64 exec, exec, s[2:3]
	s_waitcnt lgkmcnt(0)
	s_barrier
	s_barrier
	s_and_saveexec_b64 s[0:1], vcc
; %bb.1032:
	s_mov_b64 s[2:3], 1.0
	v_mov_b32_e32 v11, s3
	v_mov_b32_e32 v12, 0
	;; [unrolled: 1-line block ×3, first 2 shown]
	ds_write2_b64 v12, v[10:11], v[10:11] offset1:65
; %bb.1033:
	s_or_b64 exec, exec, s[0:1]
.LBB25_1034:
	s_load_dwordx4 s[12:15], s[4:5], 0x48
	v_cmp_le_i32_e32 vcc, s84, v0
	v_mov_b32_e32 v10, 0
	v_mov_b32_e32 v11, 0
	v_lshl_add_u32 v12, s33, 6, v0
	s_waitcnt lgkmcnt(0)
	s_mul_i32 s1, s13, s34
	s_mul_hi_u32 s2, s12, s34
	s_mul_i32 s0, s12, s34
	s_add_i32 s1, s2, s1
	s_lshl_b64 s[0:1], s[0:1], 3
	s_add_u32 s2, s26, s0
	s_addc_u32 s3, s27, s1
	s_lshl_b64 s[0:1], s[28:29], 3
	s_add_u32 s38, s2, s0
	s_addc_u32 s39, s3, s1
	s_and_b64 s[12:13], vcc, s[18:19]
	v_cmp_eq_u32_e64 s[0:1], 0, v1
	s_xor_b64 s[2:3], s[12:13], -1
	s_and_b64 s[4:5], s[0:1], s[2:3]
	s_barrier
	s_and_saveexec_b64 s[2:3], s[4:5]
	s_cbranch_execz .LBB25_1036
; %bb.1035:
	v_ashrrev_i32_e32 v13, 31, v12
	v_mul_lo_u32 v14, s31, v12
	v_mad_u64_u32 v[10:11], s[4:5], s30, v12, 0
	v_mul_lo_u32 v13, s30, v13
	v_add3_u32 v11, v11, v13, v14
	v_lshlrev_b64 v[10:11], 3, v[10:11]
	v_mov_b32_e32 v13, s39
	v_add_co_u32_e32 v10, vcc, s38, v10
	v_addc_co_u32_e32 v11, vcc, v13, v11, vcc
	global_load_dwordx2 v[10:11], v[10:11], off
	s_waitcnt vmcnt(0)
	v_mul_f64 v[10:11], v[10:11], -s[16:17]
.LBB25_1036:
	s_or_b64 exec, exec, s[2:3]
	s_and_b32 s2, 0xffff, s87
	v_mad_u32_u24 v16, v1, s2, v0
	v_mov_b32_e32 v17, 0
	s_cmp_lt_i32 s6, 1
	v_cmp_eq_u32_e64 s[2:3], 0, v16
	s_cbranch_scc1 .LBB25_1062
; %bb.1037:
	v_ashrrev_i32_e32 v13, 31, v12
	v_cmp_gt_i32_e64 s[10:11], s36, v12
	v_lshlrev_b64 v[12:13], 3, v[12:13]
	s_lshl_b64 s[4:5], s[34:35], 2
	v_mov_b32_e32 v14, 0xa000
	s_add_u32 s16, s14, s4
	v_lshl_add_u32 v18, v16, 3, v14
	v_lshl_or_b32 v19, v1, 3, v14
	v_mov_b32_e32 v14, s86
	v_add_co_u32_e32 v20, vcc, s85, v12
	s_mul_i32 s8, s21, 0x180
	s_mul_hi_u32 s9, s20, 0x180
	s_mov_b32 s40, 0
	s_addc_u32 s17, s15, s5
	v_cmp_gt_u32_e64 s[4:5], 64, v16
	s_add_i32 s41, s33, 1
	v_addc_co_u32_e32 v21, vcc, v14, v13, vcc
	s_lshl_b64 s[22:23], s[20:21], 7
	s_lshl_b64 s[26:27], s[20:21], 8
	s_add_i32 s42, s9, s8
	s_mul_i32 s43, s20, 0x180
	v_mov_b32_e32 v22, -1
	s_branch .LBB25_1040
.LBB25_1038:                            ;   in Loop: Header=BB25_1040 Depth=1
	ds_read_b64 v[12:13], v19 offset:384
	s_waitcnt vmcnt(0) lgkmcnt(0)
	v_fma_f64 v[10:11], v[14:15], v[12:13], v[10:11]
.LBB25_1039:                            ;   in Loop: Header=BB25_1040 Depth=1
	s_or_b64 exec, exec, s[28:29]
	s_add_i32 s40, s40, 1
	s_cmp_eq_u32 s40, s6
	s_cbranch_scc1 .LBB25_1062
.LBB25_1040:                            ; =>This Loop Header: Depth=1
                                        ;     Child Loop BB25_1042 Depth 2
	v_cmp_gt_i32_e32 vcc, s40, v22
	s_and_b64 s[28:29], s[2:3], vcc
	s_and_saveexec_b64 s[8:9], s[28:29]
	s_cbranch_execz .LBB25_1043
; %bb.1041:                             ;   in Loop: Header=BB25_1040 Depth=1
	global_load_dword v22, v17, s[16:17]
	s_waitcnt vmcnt(0)
	v_cmp_le_i32_e32 vcc, s40, v22
	s_cbranch_vccnz .LBB25_1043
.LBB25_1042:                            ;   Parent Loop BB25_1040 Depth=1
                                        ; =>  This Inner Loop Header: Depth=2
	buffer_wbinvl1_vol
	global_load_dword v22, v17, s[16:17]
	s_waitcnt vmcnt(0)
	v_cmp_gt_i32_e32 vcc, s40, v22
	s_cbranch_vccnz .LBB25_1042
.LBB25_1043:                            ;   in Loop: Header=BB25_1040 Depth=1
	s_or_b64 exec, exec, s[8:9]
	s_sub_i32 s44, s7, s40
	s_lshl_b32 s45, s44, 6
	buffer_wbinvl1_vol
	s_barrier
	s_and_saveexec_b64 s[8:9], s[4:5]
	s_cbranch_execz .LBB25_1047
; %bb.1044:                             ;   in Loop: Header=BB25_1040 Depth=1
	s_ashr_i32 s28, s45, 31
	v_mov_b32_e32 v13, s28
	v_or_b32_e32 v12, s45, v16
	v_cmp_gt_i64_e32 vcc, s[36:37], v[12:13]
	v_mov_b32_e32 v14, 0
	v_mov_b32_e32 v15, 0
	s_and_saveexec_b64 s[28:29], vcc
	s_cbranch_execz .LBB25_1046
; %bb.1045:                             ;   in Loop: Header=BB25_1040 Depth=1
	v_mul_lo_u32 v14, v13, s30
	v_mul_lo_u32 v15, v12, s31
	v_mad_u64_u32 v[12:13], s[46:47], v12, s30, 0
	v_add3_u32 v13, v13, v15, v14
	v_lshlrev_b64 v[12:13], 3, v[12:13]
	v_mov_b32_e32 v14, s39
	v_add_co_u32_e32 v12, vcc, s38, v12
	v_addc_co_u32_e32 v13, vcc, v14, v13, vcc
	global_load_dwordx2 v[14:15], v[12:13], off
.LBB25_1046:                            ;   in Loop: Header=BB25_1040 Depth=1
	s_or_b64 exec, exec, s[28:29]
	s_waitcnt vmcnt(0)
	ds_write_b64 v18, v[14:15]
.LBB25_1047:                            ;   in Loop: Header=BB25_1040 Depth=1
	s_or_b64 exec, exec, s[8:9]
	v_add_u32_e32 v23, s45, v1
	v_ashrrev_i32_e32 v14, 31, v23
	v_mul_lo_u32 v15, s21, v23
	v_mad_u64_u32 v[12:13], s[8:9], s20, v23, 0
	v_mul_lo_u32 v14, s20, v14
	s_cmp_lg_u32 s44, s41
	s_cselect_b64 s[8:9], -1, 0
	s_waitcnt lgkmcnt(0)
	v_add3_u32 v13, v13, v14, v15
	v_lshlrev_b64 v[12:13], 3, v[12:13]
	v_cndmask_b32_e64 v14, 0, 1, s[8:9]
	v_add_co_u32_e32 v12, vcc, v20, v12
	v_addc_co_u32_e32 v13, vcc, v21, v13, vcc
	v_cmp_gt_i32_e32 vcc, s36, v23
	s_and_b64 s[44:45], s[10:11], vcc
	v_cmp_ne_u32_e64 s[8:9], 1, v14
	s_barrier
	s_and_saveexec_b64 s[28:29], s[44:45]
	s_cbranch_execz .LBB25_1051
; %bb.1048:                             ;   in Loop: Header=BB25_1040 Depth=1
	v_mov_b32_e32 v15, v3
	s_and_b64 vcc, exec, s[8:9]
	v_mov_b32_e32 v14, v2
	s_cbranch_vccnz .LBB25_1050
; %bb.1049:                             ;   in Loop: Header=BB25_1040 Depth=1
	global_load_dwordx2 v[14:15], v[12:13], off
.LBB25_1050:                            ;   in Loop: Header=BB25_1040 Depth=1
	ds_read_b64 v[24:25], v19
	s_waitcnt vmcnt(0) lgkmcnt(0)
	v_fma_f64 v[10:11], v[14:15], v[24:25], v[10:11]
.LBB25_1051:                            ;   in Loop: Header=BB25_1040 Depth=1
	s_or_b64 exec, exec, s[28:29]
	v_add_u32_e32 v14, 16, v23
	v_cmp_gt_i32_e32 vcc, s36, v14
	s_and_b64 s[44:45], s[10:11], vcc
	s_and_saveexec_b64 s[28:29], s[44:45]
	s_cbranch_execz .LBB25_1055
; %bb.1052:                             ;   in Loop: Header=BB25_1040 Depth=1
	v_mov_b32_e32 v15, v5
	s_and_b64 vcc, exec, s[8:9]
	v_mov_b32_e32 v14, v4
	s_cbranch_vccnz .LBB25_1054
; %bb.1053:                             ;   in Loop: Header=BB25_1040 Depth=1
	v_mov_b32_e32 v15, s23
	v_add_co_u32_e32 v14, vcc, s22, v12
	v_addc_co_u32_e32 v15, vcc, v13, v15, vcc
	global_load_dwordx2 v[14:15], v[14:15], off
.LBB25_1054:                            ;   in Loop: Header=BB25_1040 Depth=1
	ds_read_b64 v[24:25], v19 offset:128
	s_waitcnt vmcnt(0) lgkmcnt(0)
	v_fma_f64 v[10:11], v[14:15], v[24:25], v[10:11]
.LBB25_1055:                            ;   in Loop: Header=BB25_1040 Depth=1
	s_or_b64 exec, exec, s[28:29]
	v_add_u32_e32 v14, 32, v23
	v_cmp_gt_i32_e32 vcc, s36, v14
	s_and_b64 s[44:45], s[10:11], vcc
	s_and_saveexec_b64 s[28:29], s[44:45]
	s_cbranch_execz .LBB25_1059
; %bb.1056:                             ;   in Loop: Header=BB25_1040 Depth=1
	v_mov_b32_e32 v15, v9
	s_and_b64 vcc, exec, s[8:9]
	v_mov_b32_e32 v14, v8
	s_cbranch_vccnz .LBB25_1058
; %bb.1057:                             ;   in Loop: Header=BB25_1040 Depth=1
	v_mov_b32_e32 v15, s27
	v_add_co_u32_e32 v14, vcc, s26, v12
	v_addc_co_u32_e32 v15, vcc, v13, v15, vcc
	global_load_dwordx2 v[14:15], v[14:15], off
.LBB25_1058:                            ;   in Loop: Header=BB25_1040 Depth=1
	ds_read_b64 v[24:25], v19 offset:256
	s_waitcnt vmcnt(0) lgkmcnt(0)
	v_fma_f64 v[10:11], v[14:15], v[24:25], v[10:11]
.LBB25_1059:                            ;   in Loop: Header=BB25_1040 Depth=1
	s_or_b64 exec, exec, s[28:29]
	v_add_u32_e32 v14, 48, v23
	v_cmp_gt_i32_e32 vcc, s36, v14
	s_and_b64 s[44:45], s[10:11], vcc
	s_and_saveexec_b64 s[28:29], s[44:45]
	s_cbranch_execz .LBB25_1039
; %bb.1060:                             ;   in Loop: Header=BB25_1040 Depth=1
	v_mov_b32_e32 v15, v7
	s_and_b64 vcc, exec, s[8:9]
	v_mov_b32_e32 v14, v6
	s_cbranch_vccnz .LBB25_1038
; %bb.1061:                             ;   in Loop: Header=BB25_1040 Depth=1
	v_mov_b32_e32 v14, s42
	v_add_co_u32_e32 v12, vcc, s43, v12
	v_addc_co_u32_e32 v13, vcc, v13, v14, vcc
	global_load_dwordx2 v[14:15], v[12:13], off
	s_branch .LBB25_1038
.LBB25_1062:
	v_lshl_add_u32 v2, v1, 6, v0
	s_xor_b64 s[2:3], s[18:19], -1
	s_xor_b64 s[4:5], s[24:25], -1
	v_lshlrev_b32_e32 v4, 3, v2
	ds_write_b64 v4, v[10:11] offset:32768
	s_waitcnt lgkmcnt(0)
	s_barrier
	s_and_saveexec_b64 s[6:7], s[0:1]
	s_cbranch_execz .LBB25_1064
; %bb.1063:
	v_lshlrev_b32_e32 v15, 3, v0
	ds_read2st64_b64 v[5:8], v15 offset0:65 offset1:66
	ds_read_b64 v[2:3], v15 offset:40448
	s_waitcnt lgkmcnt(1)
	v_add_f64 v[5:6], v[10:11], v[5:6]
	v_add_f64 v[13:14], v[5:6], v[7:8]
	ds_read2st64_b64 v[5:8], v15 offset0:67 offset1:68
	ds_read2st64_b64 v[9:12], v15 offset0:69 offset1:70
	s_waitcnt lgkmcnt(1)
	v_add_f64 v[5:6], v[13:14], v[5:6]
	v_add_f64 v[5:6], v[5:6], v[7:8]
	s_waitcnt lgkmcnt(0)
	v_add_f64 v[5:6], v[5:6], v[9:10]
	v_add_f64 v[13:14], v[5:6], v[11:12]
	ds_read2st64_b64 v[5:8], v15 offset0:71 offset1:72
	ds_read2st64_b64 v[9:12], v15 offset0:73 offset1:74
	s_waitcnt lgkmcnt(1)
	v_add_f64 v[5:6], v[13:14], v[5:6]
	v_add_f64 v[5:6], v[5:6], v[7:8]
	;; [unrolled: 8-line block ×3, first 2 shown]
	s_waitcnt lgkmcnt(0)
	v_add_f64 v[5:6], v[5:6], v[9:10]
	v_add_f64 v[5:6], v[5:6], v[11:12]
	;; [unrolled: 1-line block ×3, first 2 shown]
	v_xor_b32_e32 v3, 0x80000000, v3
	v_cndmask_b32_e64 v11, v3, 0, s[12:13]
	v_cndmask_b32_e64 v10, v2, 0, s[12:13]
.LBB25_1064:
	s_or_b64 exec, exec, s[6:7]
	s_andn2_b64 vcc, exec, s[4:5]
	s_cbranch_vccnz .LBB25_1078
; %bb.1065:
	v_mov_b32_e32 v2, 0xa000
	v_lshl_or_b32 v5, v1, 3, v2
	s_and_saveexec_b64 s[4:5], s[0:1]
; %bb.1066:
	v_lshl_add_u32 v2, v0, 3, v5
	ds_write_b64 v2, v[10:11]
; %bb.1067:
	s_or_b64 exec, exec, s[4:5]
	v_mov_b32_e32 v2, 0
	v_mov_b32_e32 v3, 0
	v_cmp_le_u32_e32 vcc, v0, v1
	s_waitcnt lgkmcnt(0)
	s_barrier
	s_and_saveexec_b64 s[4:5], vcc
	s_cbranch_execz .LBB25_1069
; %bb.1068:
	ds_read_b64 v[2:3], v4
	ds_read_b64 v[6:7], v5
	s_waitcnt lgkmcnt(0)
	v_fma_f64 v[2:3], v[2:3], v[6:7], 0
.LBB25_1069:
	s_or_b64 exec, exec, s[4:5]
	v_add_u32_e32 v6, 16, v1
	v_cmp_le_u32_e32 vcc, v0, v6
	s_and_saveexec_b64 s[4:5], vcc
	s_cbranch_execz .LBB25_1071
; %bb.1070:
	ds_read_b64 v[6:7], v4 offset:8192
	ds_read_b64 v[8:9], v5 offset:128
	s_waitcnt lgkmcnt(0)
	v_fma_f64 v[2:3], v[6:7], v[8:9], v[2:3]
.LBB25_1071:
	s_or_b64 exec, exec, s[4:5]
	v_add_u32_e32 v6, 32, v1
	v_cmp_le_u32_e32 vcc, v0, v6
	s_and_saveexec_b64 s[4:5], vcc
	s_cbranch_execz .LBB25_1073
; %bb.1072:
	ds_read_b64 v[6:7], v4 offset:16384
	ds_read_b64 v[8:9], v5 offset:256
	s_waitcnt lgkmcnt(0)
	v_fma_f64 v[2:3], v[6:7], v[8:9], v[2:3]
.LBB25_1073:
	s_or_b64 exec, exec, s[4:5]
	v_add_u32_e32 v1, 48, v1
	v_add_u32_e32 v6, 0x8000, v4
	v_cmp_le_u32_e32 vcc, v0, v1
	s_and_saveexec_b64 s[4:5], vcc
	s_cbranch_execz .LBB25_1075
; %bb.1074:
	ds_read_b64 v[7:8], v4 offset:24576
	ds_read_b64 v[4:5], v5 offset:384
	s_waitcnt lgkmcnt(0)
	v_fma_f64 v[2:3], v[7:8], v[4:5], v[2:3]
.LBB25_1075:
	s_or_b64 exec, exec, s[4:5]
	s_mov_b64 s[6:7], 0
	s_mov_b64 s[4:5], 0
	ds_write_b64 v6, v[2:3]
	s_waitcnt lgkmcnt(0)
	s_barrier
                                        ; implicit-def: $vgpr4_vgpr5
	s_and_saveexec_b64 s[8:9], s[0:1]
	s_cbranch_execz .LBB25_1104
; %bb.1076:
	v_lshlrev_b32_e32 v9, 3, v0
	ds_read2st64_b64 v[4:7], v9 offset0:65 offset1:66
	ds_read_b64 v[12:13], v9 offset:40448
	s_mov_b64 s[4:5], exec
	s_waitcnt lgkmcnt(1)
	v_add_f64 v[1:2], v[2:3], v[4:5]
	v_add_f64 v[14:15], v[6:7], v[1:2]
	ds_read2st64_b64 v[1:4], v9 offset0:67 offset1:68
	ds_read2st64_b64 v[5:8], v9 offset0:69 offset1:70
	s_waitcnt lgkmcnt(1)
	v_add_f64 v[1:2], v[1:2], v[14:15]
	v_add_f64 v[1:2], v[3:4], v[1:2]
	s_waitcnt lgkmcnt(0)
	v_add_f64 v[1:2], v[5:6], v[1:2]
	v_add_f64 v[14:15], v[7:8], v[1:2]
	ds_read2st64_b64 v[1:4], v9 offset0:71 offset1:72
	ds_read2st64_b64 v[5:8], v9 offset0:73 offset1:74
	s_waitcnt lgkmcnt(1)
	v_add_f64 v[1:2], v[1:2], v[14:15]
	v_add_f64 v[1:2], v[3:4], v[1:2]
	;; [unrolled: 8-line block ×3, first 2 shown]
	s_waitcnt lgkmcnt(0)
	v_add_f64 v[1:2], v[5:6], v[1:2]
	v_add_f64 v[1:2], v[7:8], v[1:2]
	;; [unrolled: 1-line block ×3, first 2 shown]
	s_or_b64 exec, exec, s[8:9]
	s_and_b64 vcc, exec, s[6:7]
	s_cbranch_vccnz .LBB25_1079
	s_branch .LBB25_1105
.LBB25_1077:
	v_mad_u64_u32 v[12:13], s[0:1], s20, v14, 0
	s_or_b64 s[8:9], s[8:9], exec
	v_mad_u64_u32 v[13:14], s[0:1], s21, v14, v[13:14]
	v_lshlrev_b64 v[12:13], 3, v[12:13]
	v_add_co_u32_e32 v10, vcc, v10, v12
	v_addc_co_u32_e32 v11, vcc, v11, v13, vcc
	global_load_dwordx2 v[12:13], v[10:11], off
	s_waitcnt vmcnt(0)
	v_xor_b32_e32 v13, 0x80000000, v13
	s_or_b64 exec, exec, s[2:3]
	s_and_saveexec_b64 s[0:1], s[8:9]
	s_cbranch_execnz .LBB25_57
	s_branch .LBB25_58
.LBB25_1078:
	s_mov_b64 s[4:5], 0
                                        ; implicit-def: $vgpr4_vgpr5
	s_cbranch_execz .LBB25_1105
.LBB25_1079:
	v_mov_b32_e32 v1, 0x7800
	v_lshl_add_u32 v1, v0, 3, v1
	v_mov_b32_e32 v3, 63
	v_mov_b32_e32 v2, 0
	s_branch .LBB25_1081
.LBB25_1080:                            ;   in Loop: Header=BB25_1081 Depth=1
	s_or_b64 exec, exec, s[6:7]
	v_subrev_co_u32_e32 v3, vcc, 1, v3
	s_andn2_b64 vcc, exec, vcc
	v_add_u32_e32 v1, 0xfffff800, v1
	s_barrier
	s_cbranch_vccz .LBB25_1097
.LBB25_1081:                            ; =>This Inner Loop Header: Depth=1
	v_cmp_eq_u32_e32 vcc, v0, v3
	s_and_b64 s[8:9], s[0:1], vcc
	s_and_saveexec_b64 s[6:7], s[8:9]
; %bb.1082:                             ;   in Loop: Header=BB25_1081 Depth=1
	ds_write_b64 v2, v[10:11] offset:41472
; %bb.1083:                             ;   in Loop: Header=BB25_1081 Depth=1
	s_or_b64 exec, exec, s[6:7]
	v_cmp_lt_u32_e32 vcc, v0, v3
	s_and_b64 s[8:9], s[0:1], vcc
	s_waitcnt lgkmcnt(0)
	s_barrier
	s_and_saveexec_b64 s[6:7], s[8:9]
	s_cbranch_execz .LBB25_1085
; %bb.1084:                             ;   in Loop: Header=BB25_1081 Depth=1
	ds_read_b64 v[4:5], v1 offset:1536
	ds_read_b64 v[6:7], v2 offset:41472
	s_waitcnt lgkmcnt(0)
	v_fma_f64 v[10:11], v[4:5], v[6:7], v[10:11]
.LBB25_1085:                            ;   in Loop: Header=BB25_1081 Depth=1
	s_or_b64 exec, exec, s[6:7]
	v_add_u32_e32 v3, -1, v3
	v_cmp_eq_u32_e32 vcc, v0, v3
	s_and_b64 s[8:9], s[0:1], vcc
	s_barrier
	s_and_saveexec_b64 s[6:7], s[8:9]
; %bb.1086:                             ;   in Loop: Header=BB25_1081 Depth=1
	ds_write_b64 v2, v[10:11] offset:41472
; %bb.1087:                             ;   in Loop: Header=BB25_1081 Depth=1
	s_or_b64 exec, exec, s[6:7]
	v_cmp_lt_u32_e32 vcc, v0, v3
	s_and_b64 s[8:9], s[0:1], vcc
	s_waitcnt lgkmcnt(0)
	s_barrier
	s_and_saveexec_b64 s[6:7], s[8:9]
	s_cbranch_execz .LBB25_1089
; %bb.1088:                             ;   in Loop: Header=BB25_1081 Depth=1
	ds_read_b64 v[4:5], v1 offset:1024
	ds_read_b64 v[6:7], v2 offset:41472
	s_waitcnt lgkmcnt(0)
	v_fma_f64 v[10:11], v[4:5], v[6:7], v[10:11]
.LBB25_1089:                            ;   in Loop: Header=BB25_1081 Depth=1
	s_or_b64 exec, exec, s[6:7]
	v_add_u32_e32 v3, -1, v3
	v_cmp_eq_u32_e32 vcc, v0, v3
	s_and_b64 s[8:9], s[0:1], vcc
	s_barrier
	;; [unrolled: 22-line block ×3, first 2 shown]
	s_and_saveexec_b64 s[6:7], s[8:9]
; %bb.1094:                             ;   in Loop: Header=BB25_1081 Depth=1
	ds_write_b64 v2, v[10:11] offset:41472
; %bb.1095:                             ;   in Loop: Header=BB25_1081 Depth=1
	s_or_b64 exec, exec, s[6:7]
	v_cmp_lt_u32_e32 vcc, v0, v3
	s_and_b64 s[8:9], s[0:1], vcc
	s_waitcnt lgkmcnt(0)
	s_barrier
	s_and_saveexec_b64 s[6:7], s[8:9]
	s_cbranch_execz .LBB25_1080
; %bb.1096:                             ;   in Loop: Header=BB25_1081 Depth=1
	ds_read_b64 v[4:5], v1
	ds_read_b64 v[6:7], v2 offset:41472
	s_waitcnt lgkmcnt(0)
	v_fma_f64 v[10:11], v[4:5], v[6:7], v[10:11]
	s_branch .LBB25_1080
.LBB25_1097:
	s_mov_b64 s[6:7], -1
	s_and_b64 vcc, exec, s[2:3]
	s_cbranch_vccnz .LBB25_1106
; %bb.1098:
	s_andn2_b64 vcc, exec, s[6:7]
	s_cbranch_vccz .LBB25_1107
.LBB25_1099:
	s_and_saveexec_b64 s[0:1], s[4:5]
	s_cbranch_execz .LBB25_1101
.LBB25_1100:
	s_lshl_b32 s2, s33, 6
	s_ashr_i32 s3, s2, 31
	v_mov_b32_e32 v0, s3
	v_add_co_u32_e32 v1, vcc, s2, v16
	v_addc_co_u32_e32 v0, vcc, 0, v0, vcc
	v_mul_lo_u32 v2, v0, s30
	v_mul_lo_u32 v3, v1, s31
	v_mad_u64_u32 v[0:1], s[2:3], v1, s30, 0
	v_add3_u32 v1, v1, v3, v2
	v_lshlrev_b64 v[0:1], 3, v[0:1]
	v_mov_b32_e32 v2, s39
	v_add_co_u32_e32 v0, vcc, s38, v0
	v_addc_co_u32_e32 v1, vcc, v2, v1, vcc
	global_store_dwordx2 v[0:1], v[10:11], off
.LBB25_1101:
	s_or_b64 exec, exec, s[0:1]
	v_cmp_eq_u32_e32 vcc, 0, v16
	s_waitcnt vmcnt(0)
	buffer_wbinvl1_vol
	s_barrier
	s_and_saveexec_b64 s[0:1], vcc
	s_cbranch_execz .LBB25_1103
; %bb.1102:
	s_lshl_b64 s[2:3], s[34:35], 2
	s_add_u32 s2, s14, s2
	s_addc_u32 s3, s15, s3
	v_mov_b32_e32 v0, 0
	global_load_dword v1, v0, s[2:3]
	s_waitcnt vmcnt(0)
	v_add_u32_e32 v1, 1, v1
	global_store_dword v0, v1, s[2:3]
.LBB25_1103:
	s_or_b64 exec, exec, s[0:1]
	s_waitcnt vmcnt(0)
	buffer_wbinvl1_vol
	s_endpgm
.LBB25_1104:
	s_or_b64 exec, exec, s[8:9]
	s_and_b64 vcc, exec, s[6:7]
	s_cbranch_vccnz .LBB25_1079
.LBB25_1105:
	v_mov_b32_e32 v11, v5
	v_mov_b32_e32 v10, v4
	s_and_saveexec_b64 s[0:1], s[4:5]
	s_cbranch_execnz .LBB25_1100
	s_branch .LBB25_1101
.LBB25_1106:
	s_andn2_b64 s[2:3], s[4:5], exec
	s_and_b64 s[4:5], s[0:1], exec
	s_or_b64 s[4:5], s[2:3], s[4:5]
	s_cbranch_execnz .LBB25_1099
.LBB25_1107:
	v_cmp_gt_i32_e32 vcc, s84, v0
	s_and_b64 s[0:1], s[0:1], vcc
	s_andn2_b64 s[2:3], s[4:5], exec
	s_and_b64 s[0:1], s[0:1], exec
	s_or_b64 s[4:5], s[2:3], s[0:1]
	s_and_saveexec_b64 s[0:1], s[4:5]
	s_cbranch_execnz .LBB25_1100
	s_branch .LBB25_1101
.LBB25_1108:
	ds_read_b64 v[21:22], v20 offset:31680
	ds_read_b64 v[23:24], v19 offset:31208
	s_waitcnt lgkmcnt(0)
	v_fma_f64 v[10:11], v[21:22], v[23:24], v[10:11]
	s_or_b64 exec, exec, s[14:15]
	v_cmp_gt_u32_e64 s[10:11], 8, v15
	s_and_saveexec_b64 s[14:15], s[10:11]
	s_cbranch_execz .LBB25_78
.LBB25_1109:
	ds_read_b64 v[20:21], v20 offset:32192
	ds_read_b64 v[22:23], v19 offset:31216
	s_waitcnt lgkmcnt(0)
	v_fma_f64 v[10:11], v[20:21], v[22:23], v[10:11]
	s_or_b64 exec, exec, s[14:15]
	v_cmp_gt_u32_e64 s[10:11], 4, v15
	s_and_saveexec_b64 s[14:15], s[10:11]
	s_cbranch_execnz .LBB25_79
	s_branch .LBB25_80
.LBB25_1110:
	ds_read_b64 v[24:25], v23 offset:29568
	ds_read_b64 v[26:27], v22 offset:29128
	s_waitcnt lgkmcnt(0)
	v_fma_f64 v[10:11], v[24:25], v[26:27], v[10:11]
	s_or_b64 exec, exec, s[16:17]
	v_cmp_gt_u32_e64 s[10:11], 48, v15
	s_and_saveexec_b64 s[16:17], s[10:11]
	s_cbranch_execz .LBB25_116
.LBB25_1111:
	ds_read_b64 v[24:25], v23 offset:30080
	ds_read_b64 v[26:27], v22 offset:29136
	s_waitcnt lgkmcnt(0)
	v_fma_f64 v[10:11], v[24:25], v[26:27], v[10:11]
	s_or_b64 exec, exec, s[16:17]
	v_cmp_gt_u32_e64 s[10:11], 40, v15
	s_and_saveexec_b64 s[16:17], s[10:11]
	s_cbranch_execz .LBB25_117
.LBB25_1112:
	ds_read_b64 v[24:25], v23 offset:30592
	ds_read_b64 v[26:27], v22 offset:29144
	s_waitcnt lgkmcnt(0)
	v_fma_f64 v[10:11], v[24:25], v[26:27], v[10:11]
	s_or_b64 exec, exec, s[16:17]
	v_cmp_gt_u32_e64 s[10:11], 32, v15
	s_and_saveexec_b64 s[16:17], s[10:11]
	s_cbranch_execz .LBB25_118
.LBB25_1113:
	ds_read_b64 v[24:25], v23 offset:31104
	ds_read_b64 v[26:27], v22 offset:29152
	s_waitcnt lgkmcnt(0)
	v_fma_f64 v[10:11], v[24:25], v[26:27], v[10:11]
	s_or_b64 exec, exec, s[16:17]
	v_cmp_gt_u32_e64 s[10:11], 24, v15
	s_and_saveexec_b64 s[16:17], s[10:11]
	s_cbranch_execz .LBB25_119
.LBB25_1114:
	ds_read_b64 v[24:25], v23 offset:31616
	ds_read_b64 v[26:27], v22 offset:29160
	s_waitcnt lgkmcnt(0)
	v_fma_f64 v[10:11], v[24:25], v[26:27], v[10:11]
	s_or_b64 exec, exec, s[16:17]
	s_and_saveexec_b64 s[10:11], s[2:3]
	s_cbranch_execz .LBB25_120
.LBB25_1115:
	ds_read_b64 v[23:24], v23 offset:32128
	ds_read_b64 v[25:26], v22 offset:29168
	s_waitcnt lgkmcnt(0)
	v_fma_f64 v[10:11], v[23:24], v[25:26], v[10:11]
	s_or_b64 exec, exec, s[10:11]
	v_cmp_gt_u32_e64 s[10:11], 8, v15
	s_and_saveexec_b64 s[16:17], s[10:11]
	s_cbranch_execnz .LBB25_121
	s_branch .LBB25_122
.LBB25_1116:
	ds_read_b64 v[24:25], v23 offset:27520
	ds_read_b64 v[26:27], v22 offset:27048
	s_waitcnt lgkmcnt(0)
	v_fma_f64 v[10:11], v[24:25], v[26:27], v[10:11]
	s_or_b64 exec, exec, s[12:13]
	v_cmp_gt_u32_e64 s[8:9], 8, v15
	s_and_saveexec_b64 s[12:13], s[8:9]
	s_cbranch_execz .LBB25_174
.LBB25_1117:
	ds_read_b64 v[23:24], v23 offset:28032
	ds_read_b64 v[25:26], v22 offset:27056
	s_waitcnt lgkmcnt(0)
	v_fma_f64 v[10:11], v[23:24], v[25:26], v[10:11]
	s_or_b64 exec, exec, s[12:13]
	v_cmp_gt_u32_e64 s[8:9], 4, v15
	s_and_saveexec_b64 s[12:13], s[8:9]
	s_cbranch_execnz .LBB25_175
	s_branch .LBB25_176
.LBB25_1118:
	ds_read_b64 v[27:28], v26 offset:30464
	ds_read_b64 v[29:30], v25 offset:25048
	s_waitcnt lgkmcnt(0)
	v_fma_f64 v[10:11], v[27:28], v[29:30], v[10:11]
	s_or_b64 exec, exec, s[22:23]
	s_and_saveexec_b64 s[12:13], s[14:15]
	s_cbranch_execz .LBB25_232
.LBB25_1119:
	ds_read_b64 v[27:28], v26 offset:30976
	ds_read_b64 v[29:30], v25 offset:25056
	s_waitcnt lgkmcnt(0)
	v_fma_f64 v[10:11], v[27:28], v[29:30], v[10:11]
	s_or_b64 exec, exec, s[12:13]
	v_cmp_gt_u32_e64 s[12:13], 48, v15
	s_and_saveexec_b64 s[22:23], s[12:13]
	s_cbranch_execz .LBB25_233
.LBB25_1120:
	ds_read_b64 v[27:28], v26 offset:31488
	ds_read_b64 v[29:30], v25 offset:25064
	s_waitcnt lgkmcnt(0)
	v_fma_f64 v[10:11], v[27:28], v[29:30], v[10:11]
	s_or_b64 exec, exec, s[22:23]
	v_cmp_gt_u32_e64 s[12:13], 32, v15
	s_and_saveexec_b64 s[22:23], s[12:13]
	s_cbranch_execz .LBB25_234
.LBB25_1121:
	ds_read_b64 v[26:27], v26 offset:32000
	ds_read_b64 v[28:29], v25 offset:25072
	s_waitcnt lgkmcnt(0)
	v_fma_f64 v[10:11], v[26:27], v[28:29], v[10:11]
	s_or_b64 exec, exec, s[22:23]
	v_cmp_gt_u32_e64 s[12:13], 16, v15
	s_and_saveexec_b64 s[22:23], s[12:13]
	s_cbranch_execnz .LBB25_235
	s_branch .LBB25_236
.LBB25_1122:
	ds_read_b64 v[27:28], v26 offset:23360
	ds_read_b64 v[29:30], v25 offset:22888
	s_waitcnt lgkmcnt(0)
	v_fma_f64 v[10:11], v[27:28], v[29:30], v[10:11]
	s_or_b64 exec, exec, s[16:17]
	v_cmp_gt_u32_e64 s[10:11], 8, v15
	s_and_saveexec_b64 s[16:17], s[10:11]
	s_cbranch_execz .LBB25_320
.LBB25_1123:
	ds_read_b64 v[26:27], v26 offset:23872
	ds_read_b64 v[28:29], v25 offset:22896
	s_waitcnt lgkmcnt(0)
	v_fma_f64 v[10:11], v[26:27], v[28:29], v[10:11]
	s_or_b64 exec, exec, s[16:17]
	v_cmp_gt_u32_e64 s[10:11], 4, v15
	s_and_saveexec_b64 s[16:17], s[10:11]
	s_cbranch_execnz .LBB25_321
	s_branch .LBB25_322
.LBB25_1124:
	ds_read_b64 v[27:28], v26 offset:21248
	ds_read_b64 v[29:30], v25 offset:20808
	s_waitcnt lgkmcnt(0)
	v_fma_f64 v[10:11], v[27:28], v[29:30], v[10:11]
	s_or_b64 exec, exec, s[16:17]
	v_cmp_gt_u32_e64 s[10:11], 48, v15
	s_and_saveexec_b64 s[16:17], s[10:11]
	s_cbranch_execz .LBB25_358
.LBB25_1125:
	ds_read_b64 v[27:28], v26 offset:21760
	ds_read_b64 v[29:30], v25 offset:20816
	s_waitcnt lgkmcnt(0)
	v_fma_f64 v[10:11], v[27:28], v[29:30], v[10:11]
	s_or_b64 exec, exec, s[16:17]
	v_cmp_gt_u32_e64 s[10:11], 40, v15
	s_and_saveexec_b64 s[16:17], s[10:11]
	s_cbranch_execz .LBB25_359
.LBB25_1126:
	ds_read_b64 v[27:28], v26 offset:22272
	ds_read_b64 v[29:30], v25 offset:20824
	s_waitcnt lgkmcnt(0)
	v_fma_f64 v[10:11], v[27:28], v[29:30], v[10:11]
	s_or_b64 exec, exec, s[16:17]
	v_cmp_gt_u32_e64 s[10:11], 32, v15
	s_and_saveexec_b64 s[16:17], s[10:11]
	s_cbranch_execz .LBB25_360
.LBB25_1127:
	ds_read_b64 v[27:28], v26 offset:22784
	ds_read_b64 v[29:30], v25 offset:20832
	s_waitcnt lgkmcnt(0)
	v_fma_f64 v[10:11], v[27:28], v[29:30], v[10:11]
	s_or_b64 exec, exec, s[16:17]
	v_cmp_gt_u32_e64 s[10:11], 24, v15
	s_and_saveexec_b64 s[16:17], s[10:11]
	s_cbranch_execz .LBB25_361
.LBB25_1128:
	ds_read_b64 v[27:28], v26 offset:23296
	ds_read_b64 v[29:30], v25 offset:20840
	s_waitcnt lgkmcnt(0)
	v_fma_f64 v[10:11], v[27:28], v[29:30], v[10:11]
	s_or_b64 exec, exec, s[16:17]
	s_and_saveexec_b64 s[10:11], s[2:3]
	s_cbranch_execz .LBB25_362
.LBB25_1129:
	ds_read_b64 v[26:27], v26 offset:23808
	ds_read_b64 v[28:29], v25 offset:20848
	s_waitcnt lgkmcnt(0)
	v_fma_f64 v[10:11], v[26:27], v[28:29], v[10:11]
	s_or_b64 exec, exec, s[10:11]
	v_cmp_gt_u32_e64 s[10:11], 8, v15
	s_and_saveexec_b64 s[16:17], s[10:11]
	s_cbranch_execnz .LBB25_363
	s_branch .LBB25_364
.LBB25_1130:
	ds_read_b64 v[27:28], v26 offset:19200
	ds_read_b64 v[29:30], v25 offset:18728
	s_waitcnt lgkmcnt(0)
	v_fma_f64 v[10:11], v[27:28], v[29:30], v[10:11]
	s_or_b64 exec, exec, s[16:17]
	v_cmp_gt_u32_e64 s[10:11], 8, v15
	s_and_saveexec_b64 s[16:17], s[10:11]
	s_cbranch_execz .LBB25_416
.LBB25_1131:
	ds_read_b64 v[26:27], v26 offset:19712
	ds_read_b64 v[28:29], v25 offset:18736
	s_waitcnt lgkmcnt(0)
	v_fma_f64 v[10:11], v[26:27], v[28:29], v[10:11]
	s_or_b64 exec, exec, s[16:17]
	v_cmp_gt_u32_e64 s[10:11], 4, v15
	s_and_saveexec_b64 s[16:17], s[10:11]
	s_cbranch_execnz .LBB25_417
	s_branch .LBB25_418
.LBB25_1132:
	ds_read_b64 v[30:31], v26 offset:31232
	ds_read_b64 v[32:33], v29 offset:16872
	s_waitcnt lgkmcnt(0)
	v_fma_f64 v[10:11], v[30:31], v[32:33], v[10:11]
	s_or_b64 exec, exec, s[82:83]
	s_and_saveexec_b64 s[16:17], s[14:15]
	s_cbranch_execz .LBB25_510
.LBB25_1133:
	ds_read_b64 v[30:31], v26 offset:31744
	ds_read_b64 v[32:33], v29 offset:16880
	s_waitcnt lgkmcnt(0)
	v_fma_f64 v[10:11], v[30:31], v[32:33], v[10:11]
	s_or_b64 exec, exec, s[16:17]
	v_cmp_gt_u32_e64 s[16:17], 32, v15
	s_and_saveexec_b64 s[82:83], s[16:17]
	s_cbranch_execnz .LBB25_511
	s_branch .LBB25_512
.LBB25_1134:
	ds_read_b64 v[27:28], v26 offset:15040
	ds_read_b64 v[29:30], v25 offset:14568
	s_waitcnt lgkmcnt(0)
	v_fma_f64 v[10:11], v[27:28], v[29:30], v[10:11]
	s_or_b64 exec, exec, s[16:17]
	v_cmp_gt_u32_e64 s[10:11], 8, v15
	s_and_saveexec_b64 s[16:17], s[10:11]
	s_cbranch_execz .LBB25_660
.LBB25_1135:
	ds_read_b64 v[26:27], v26 offset:15552
	ds_read_b64 v[28:29], v25 offset:14576
	s_waitcnt lgkmcnt(0)
	v_fma_f64 v[10:11], v[26:27], v[28:29], v[10:11]
	s_or_b64 exec, exec, s[16:17]
	v_cmp_gt_u32_e64 s[10:11], 4, v15
	s_and_saveexec_b64 s[16:17], s[10:11]
	s_cbranch_execnz .LBB25_661
	s_branch .LBB25_662
.LBB25_1136:
	ds_read_b64 v[27:28], v26 offset:12928
	ds_read_b64 v[29:30], v25 offset:12488
	s_waitcnt lgkmcnt(0)
	v_fma_f64 v[10:11], v[27:28], v[29:30], v[10:11]
	s_or_b64 exec, exec, s[16:17]
	v_cmp_gt_u32_e64 s[10:11], 48, v15
	s_and_saveexec_b64 s[16:17], s[10:11]
	s_cbranch_execz .LBB25_698
.LBB25_1137:
	ds_read_b64 v[27:28], v26 offset:13440
	ds_read_b64 v[29:30], v25 offset:12496
	s_waitcnt lgkmcnt(0)
	v_fma_f64 v[10:11], v[27:28], v[29:30], v[10:11]
	s_or_b64 exec, exec, s[16:17]
	v_cmp_gt_u32_e64 s[10:11], 40, v15
	s_and_saveexec_b64 s[16:17], s[10:11]
	s_cbranch_execz .LBB25_699
.LBB25_1138:
	ds_read_b64 v[27:28], v26 offset:13952
	ds_read_b64 v[29:30], v25 offset:12504
	s_waitcnt lgkmcnt(0)
	v_fma_f64 v[10:11], v[27:28], v[29:30], v[10:11]
	s_or_b64 exec, exec, s[16:17]
	v_cmp_gt_u32_e64 s[10:11], 32, v15
	s_and_saveexec_b64 s[16:17], s[10:11]
	s_cbranch_execz .LBB25_700
.LBB25_1139:
	ds_read_b64 v[27:28], v26 offset:14464
	ds_read_b64 v[29:30], v25 offset:12512
	s_waitcnt lgkmcnt(0)
	v_fma_f64 v[10:11], v[27:28], v[29:30], v[10:11]
	s_or_b64 exec, exec, s[16:17]
	v_cmp_gt_u32_e64 s[10:11], 24, v15
	s_and_saveexec_b64 s[16:17], s[10:11]
	s_cbranch_execz .LBB25_701
.LBB25_1140:
	ds_read_b64 v[27:28], v26 offset:14976
	ds_read_b64 v[29:30], v25 offset:12520
	s_waitcnt lgkmcnt(0)
	v_fma_f64 v[10:11], v[27:28], v[29:30], v[10:11]
	s_or_b64 exec, exec, s[16:17]
	s_and_saveexec_b64 s[10:11], s[2:3]
	s_cbranch_execz .LBB25_702
.LBB25_1141:
	ds_read_b64 v[26:27], v26 offset:15488
	ds_read_b64 v[28:29], v25 offset:12528
	s_waitcnt lgkmcnt(0)
	v_fma_f64 v[10:11], v[26:27], v[28:29], v[10:11]
	s_or_b64 exec, exec, s[10:11]
	v_cmp_gt_u32_e64 s[10:11], 8, v15
	s_and_saveexec_b64 s[16:17], s[10:11]
	s_cbranch_execnz .LBB25_703
	s_branch .LBB25_704
.LBB25_1142:
	ds_read_b64 v[27:28], v26 offset:10880
	ds_read_b64 v[29:30], v25 offset:10408
	s_waitcnt lgkmcnt(0)
	v_fma_f64 v[10:11], v[27:28], v[29:30], v[10:11]
	s_or_b64 exec, exec, s[16:17]
	v_cmp_gt_u32_e64 s[10:11], 8, v15
	s_and_saveexec_b64 s[16:17], s[10:11]
	s_cbranch_execz .LBB25_756
.LBB25_1143:
	ds_read_b64 v[26:27], v26 offset:11392
	ds_read_b64 v[28:29], v25 offset:10416
	s_waitcnt lgkmcnt(0)
	v_fma_f64 v[10:11], v[26:27], v[28:29], v[10:11]
	s_or_b64 exec, exec, s[16:17]
	v_cmp_gt_u32_e64 s[10:11], 4, v15
	s_and_saveexec_b64 s[16:17], s[10:11]
	s_cbranch_execnz .LBB25_757
	s_branch .LBB25_758
.LBB25_1144:
	ds_read_b64 v[27:28], v26 offset:13824
	ds_read_b64 v[29:30], v25 offset:8408
	s_waitcnt lgkmcnt(0)
	v_fma_f64 v[10:11], v[27:28], v[29:30], v[10:11]
	s_or_b64 exec, exec, s[16:17]
	s_and_saveexec_b64 s[10:11], s[14:15]
	s_cbranch_execz .LBB25_814
.LBB25_1145:
	ds_read_b64 v[27:28], v26 offset:14336
	ds_read_b64 v[29:30], v25 offset:8416
	s_waitcnt lgkmcnt(0)
	v_fma_f64 v[10:11], v[27:28], v[29:30], v[10:11]
	s_or_b64 exec, exec, s[10:11]
	v_cmp_gt_u32_e64 s[10:11], 48, v15
	s_and_saveexec_b64 s[16:17], s[10:11]
	s_cbranch_execz .LBB25_815
.LBB25_1146:
	ds_read_b64 v[27:28], v26 offset:14848
	ds_read_b64 v[29:30], v25 offset:8424
	s_waitcnt lgkmcnt(0)
	v_fma_f64 v[10:11], v[27:28], v[29:30], v[10:11]
	s_or_b64 exec, exec, s[16:17]
	v_cmp_gt_u32_e64 s[10:11], 32, v15
	s_and_saveexec_b64 s[16:17], s[10:11]
	s_cbranch_execz .LBB25_816
.LBB25_1147:
	ds_read_b64 v[26:27], v26 offset:15360
	ds_read_b64 v[28:29], v25 offset:8432
	s_waitcnt lgkmcnt(0)
	v_fma_f64 v[10:11], v[26:27], v[28:29], v[10:11]
	s_or_b64 exec, exec, s[16:17]
	v_cmp_gt_u32_e64 s[10:11], 16, v15
	s_and_saveexec_b64 s[16:17], s[10:11]
	s_cbranch_execnz .LBB25_817
	s_branch .LBB25_818
.LBB25_1148:
	ds_read_b64 v[24:25], v23 offset:6720
	ds_read_b64 v[26:27], v22 offset:6248
	s_waitcnt lgkmcnt(0)
	v_fma_f64 v[10:11], v[24:25], v[26:27], v[10:11]
	s_or_b64 exec, exec, s[12:13]
	v_cmp_gt_u32_e64 s[8:9], 8, v15
	s_and_saveexec_b64 s[12:13], s[8:9]
	s_cbranch_execz .LBB25_902
.LBB25_1149:
	ds_read_b64 v[23:24], v23 offset:7232
	ds_read_b64 v[25:26], v22 offset:6256
	s_waitcnt lgkmcnt(0)
	v_fma_f64 v[10:11], v[23:24], v[25:26], v[10:11]
	s_or_b64 exec, exec, s[12:13]
	v_cmp_gt_u32_e64 s[8:9], 4, v15
	s_and_saveexec_b64 s[12:13], s[8:9]
	s_cbranch_execnz .LBB25_903
	s_branch .LBB25_904
.LBB25_1150:
	ds_read_b64 v[24:25], v23 offset:4608
	ds_read_b64 v[26:27], v22 offset:4168
	s_waitcnt lgkmcnt(0)
	v_fma_f64 v[10:11], v[24:25], v[26:27], v[10:11]
	s_or_b64 exec, exec, s[12:13]
	v_cmp_gt_u32_e64 s[8:9], 48, v15
	s_and_saveexec_b64 s[12:13], s[8:9]
	s_cbranch_execz .LBB25_940
.LBB25_1151:
	ds_read_b64 v[24:25], v23 offset:5120
	ds_read_b64 v[26:27], v22 offset:4176
	s_waitcnt lgkmcnt(0)
	v_fma_f64 v[10:11], v[24:25], v[26:27], v[10:11]
	s_or_b64 exec, exec, s[12:13]
	v_cmp_gt_u32_e64 s[8:9], 40, v15
	s_and_saveexec_b64 s[12:13], s[8:9]
	s_cbranch_execz .LBB25_941
.LBB25_1152:
	ds_read_b64 v[24:25], v23 offset:5632
	ds_read_b64 v[26:27], v22 offset:4184
	s_waitcnt lgkmcnt(0)
	v_fma_f64 v[10:11], v[24:25], v[26:27], v[10:11]
	s_or_b64 exec, exec, s[12:13]
	v_cmp_gt_u32_e64 s[8:9], 32, v15
	s_and_saveexec_b64 s[12:13], s[8:9]
	s_cbranch_execz .LBB25_942
.LBB25_1153:
	ds_read_b64 v[24:25], v23 offset:6144
	ds_read_b64 v[26:27], v22 offset:4192
	s_waitcnt lgkmcnt(0)
	v_fma_f64 v[10:11], v[24:25], v[26:27], v[10:11]
	s_or_b64 exec, exec, s[12:13]
	v_cmp_gt_u32_e64 s[8:9], 24, v15
	s_and_saveexec_b64 s[12:13], s[8:9]
	s_cbranch_execz .LBB25_943
.LBB25_1154:
	ds_read_b64 v[24:25], v23 offset:6656
	ds_read_b64 v[26:27], v22 offset:4200
	s_waitcnt lgkmcnt(0)
	v_fma_f64 v[10:11], v[24:25], v[26:27], v[10:11]
	s_or_b64 exec, exec, s[12:13]
	s_and_saveexec_b64 s[8:9], s[2:3]
	s_cbranch_execz .LBB25_944
.LBB25_1155:
	ds_read_b64 v[23:24], v23 offset:7168
	ds_read_b64 v[25:26], v22 offset:4208
	s_waitcnt lgkmcnt(0)
	v_fma_f64 v[10:11], v[23:24], v[25:26], v[10:11]
	s_or_b64 exec, exec, s[8:9]
	v_cmp_gt_u32_e64 s[8:9], 8, v15
	s_and_saveexec_b64 s[12:13], s[8:9]
	s_cbranch_execnz .LBB25_945
	s_branch .LBB25_946
.LBB25_1156:
	ds_read_b64 v[21:22], v20 offset:2560
	ds_read_b64 v[23:24], v19 offset:2088
	s_waitcnt lgkmcnt(0)
	v_fma_f64 v[10:11], v[21:22], v[23:24], v[10:11]
	s_or_b64 exec, exec, s[12:13]
	v_cmp_gt_u32_e64 s[8:9], 8, v15
	s_and_saveexec_b64 s[12:13], s[8:9]
	s_cbranch_execz .LBB25_998
.LBB25_1157:
	ds_read_b64 v[20:21], v20 offset:3072
	ds_read_b64 v[22:23], v19 offset:2096
	s_waitcnt lgkmcnt(0)
	v_fma_f64 v[10:11], v[20:21], v[22:23], v[10:11]
	s_or_b64 exec, exec, s[12:13]
	v_cmp_gt_u32_e64 s[8:9], 4, v15
	s_and_saveexec_b64 s[12:13], s[8:9]
	s_cbranch_execnz .LBB25_999
	s_branch .LBB25_1000
	.section	.rodata,"a",@progbits
	.p2align	6, 0x0
	.amdhsa_kernel _ZL19rocblas_trsv_deviceILi64ELi16ELb0ELb0ELb0ELb1EdPKdS1_PdEviT7_lllT6_T8_lllPii
		.amdhsa_group_segment_fixed_size 41480
		.amdhsa_private_segment_fixed_size 0
		.amdhsa_kernarg_size 352
		.amdhsa_user_sgpr_count 6
		.amdhsa_user_sgpr_private_segment_buffer 1
		.amdhsa_user_sgpr_dispatch_ptr 0
		.amdhsa_user_sgpr_queue_ptr 0
		.amdhsa_user_sgpr_kernarg_segment_ptr 1
		.amdhsa_user_sgpr_dispatch_id 0
		.amdhsa_user_sgpr_flat_scratch_init 0
		.amdhsa_user_sgpr_private_segment_size 0
		.amdhsa_uses_dynamic_stack 0
		.amdhsa_system_sgpr_private_segment_wavefront_offset 0
		.amdhsa_system_sgpr_workgroup_id_x 1
		.amdhsa_system_sgpr_workgroup_id_y 0
		.amdhsa_system_sgpr_workgroup_id_z 1
		.amdhsa_system_sgpr_workgroup_info 0
		.amdhsa_system_vgpr_workitem_id 1
		.amdhsa_next_free_vgpr 49
		.amdhsa_next_free_sgpr 98
		.amdhsa_reserve_vcc 1
		.amdhsa_reserve_flat_scratch 0
		.amdhsa_float_round_mode_32 0
		.amdhsa_float_round_mode_16_64 0
		.amdhsa_float_denorm_mode_32 3
		.amdhsa_float_denorm_mode_16_64 3
		.amdhsa_dx10_clamp 1
		.amdhsa_ieee_mode 1
		.amdhsa_fp16_overflow 0
		.amdhsa_exception_fp_ieee_invalid_op 0
		.amdhsa_exception_fp_denorm_src 0
		.amdhsa_exception_fp_ieee_div_zero 0
		.amdhsa_exception_fp_ieee_overflow 0
		.amdhsa_exception_fp_ieee_underflow 0
		.amdhsa_exception_fp_ieee_inexact 0
		.amdhsa_exception_int_div_zero 0
	.end_amdhsa_kernel
	.section	.text._ZL19rocblas_trsv_deviceILi64ELi16ELb0ELb0ELb0ELb1EdPKdS1_PdEviT7_lllT6_T8_lllPii,"axG",@progbits,_ZL19rocblas_trsv_deviceILi64ELi16ELb0ELb0ELb0ELb1EdPKdS1_PdEviT7_lllT6_T8_lllPii,comdat
.Lfunc_end25:
	.size	_ZL19rocblas_trsv_deviceILi64ELi16ELb0ELb0ELb0ELb1EdPKdS1_PdEviT7_lllT6_T8_lllPii, .Lfunc_end25-_ZL19rocblas_trsv_deviceILi64ELi16ELb0ELb0ELb0ELb1EdPKdS1_PdEviT7_lllT6_T8_lllPii
                                        ; -- End function
	.set _ZL19rocblas_trsv_deviceILi64ELi16ELb0ELb0ELb0ELb1EdPKdS1_PdEviT7_lllT6_T8_lllPii.num_vgpr, 35
	.set _ZL19rocblas_trsv_deviceILi64ELi16ELb0ELb0ELb0ELb1EdPKdS1_PdEviT7_lllT6_T8_lllPii.num_agpr, 0
	.set _ZL19rocblas_trsv_deviceILi64ELi16ELb0ELb0ELb0ELb1EdPKdS1_PdEviT7_lllT6_T8_lllPii.numbered_sgpr, 96
	.set _ZL19rocblas_trsv_deviceILi64ELi16ELb0ELb0ELb0ELb1EdPKdS1_PdEviT7_lllT6_T8_lllPii.num_named_barrier, 0
	.set _ZL19rocblas_trsv_deviceILi64ELi16ELb0ELb0ELb0ELb1EdPKdS1_PdEviT7_lllT6_T8_lllPii.private_seg_size, 0
	.set _ZL19rocblas_trsv_deviceILi64ELi16ELb0ELb0ELb0ELb1EdPKdS1_PdEviT7_lllT6_T8_lllPii.uses_vcc, 1
	.set _ZL19rocblas_trsv_deviceILi64ELi16ELb0ELb0ELb0ELb1EdPKdS1_PdEviT7_lllT6_T8_lllPii.uses_flat_scratch, 0
	.set _ZL19rocblas_trsv_deviceILi64ELi16ELb0ELb0ELb0ELb1EdPKdS1_PdEviT7_lllT6_T8_lllPii.has_dyn_sized_stack, 0
	.set _ZL19rocblas_trsv_deviceILi64ELi16ELb0ELb0ELb0ELb1EdPKdS1_PdEviT7_lllT6_T8_lllPii.has_recursion, 0
	.set _ZL19rocblas_trsv_deviceILi64ELi16ELb0ELb0ELb0ELb1EdPKdS1_PdEviT7_lllT6_T8_lllPii.has_indirect_call, 0
	.section	.AMDGPU.csdata,"",@progbits
; Kernel info:
; codeLenInByte = 31756
; TotalNumSgprs: 100
; NumVgprs: 35
; ScratchSize: 0
; MemoryBound: 0
; FloatMode: 240
; IeeeMode: 1
; LDSByteSize: 41480 bytes/workgroup (compile time only)
; SGPRBlocks: 12
; VGPRBlocks: 12
; NumSGPRsForWavesPerEU: 102
; NumVGPRsForWavesPerEU: 49
; Occupancy: 4
; WaveLimiterHint : 0
; COMPUTE_PGM_RSRC2:SCRATCH_EN: 0
; COMPUTE_PGM_RSRC2:USER_SGPR: 6
; COMPUTE_PGM_RSRC2:TRAP_HANDLER: 0
; COMPUTE_PGM_RSRC2:TGID_X_EN: 1
; COMPUTE_PGM_RSRC2:TGID_Y_EN: 0
; COMPUTE_PGM_RSRC2:TGID_Z_EN: 1
; COMPUTE_PGM_RSRC2:TIDIG_COMP_CNT: 1
	.section	.text._ZL19rocblas_trsv_deviceILi64ELi16ELb0ELb1ELb0ELb1EdPKdS1_PdEviT7_lllT6_T8_lllPii,"axG",@progbits,_ZL19rocblas_trsv_deviceILi64ELi16ELb0ELb1ELb0ELb1EdPKdS1_PdEviT7_lllT6_T8_lllPii,comdat
	.globl	_ZL19rocblas_trsv_deviceILi64ELi16ELb0ELb1ELb0ELb1EdPKdS1_PdEviT7_lllT6_T8_lllPii ; -- Begin function _ZL19rocblas_trsv_deviceILi64ELi16ELb0ELb1ELb0ELb1EdPKdS1_PdEviT7_lllT6_T8_lllPii
	.p2align	8
	.type	_ZL19rocblas_trsv_deviceILi64ELi16ELb0ELb1ELb0ELb1EdPKdS1_PdEviT7_lllT6_T8_lllPii,@function
_ZL19rocblas_trsv_deviceILi64ELi16ELb0ELb1ELb0ELb1EdPKdS1_PdEviT7_lllT6_T8_lllPii: ; @_ZL19rocblas_trsv_deviceILi64ELi16ELb0ELb1ELb0ELb1EdPKdS1_PdEviT7_lllT6_T8_lllPii
; %bb.0:
	s_load_dwordx16 s[36:51], s[4:5], 0x8
	s_load_dword s33, s[4:5], 0x0
	s_mov_b32 s22, s7
	s_mov_b32 s23, 0
	s_waitcnt lgkmcnt(0)
	s_mul_i32 s0, s43, s7
	s_mul_hi_u32 s1, s42, s7
	s_add_i32 s1, s1, s0
	s_mul_i32 s0, s42, s7
	s_lshl_b64 s[0:1], s[0:1], 3
	s_add_u32 s2, s36, s0
	s_addc_u32 s3, s37, s1
	s_lshl_b64 s[0:1], s[38:39], 3
	s_load_dwordx2 s[38:39], s[44:45], 0x0
	s_load_dword s26, s[4:5], 0x6c
	s_add_u32 s88, s2, s0
	s_addc_u32 s89, s3, s1
	s_cmp_eq_u32 s6, 0
	s_cbranch_scc1 .LBB26_10
; %bb.1:
	s_lshl_b32 s2, s6, 6
	v_add_u32_e32 v4, s2, v0
	v_ashrrev_i32_e32 v2, 31, v4
	v_mul_lo_u32 v5, s40, v2
	v_mul_lo_u32 v6, s41, v4
	v_mad_u64_u32 v[2:3], s[0:1], s40, v4, 0
	v_add_u32_e32 v7, s2, v1
	v_subrev_u32_e32 v10, 64, v7
	v_add3_u32 v3, v3, v5, v6
	v_lshlrev_b64 v[2:3], 3, v[2:3]
	v_ashrrev_i32_e32 v11, 31, v10
	v_cmp_gt_i32_e32 vcc, s33, v4
	v_mov_b32_e32 v4, s89
	v_add_co_u32_e64 v5, s[0:1], s88, v2
	v_addc_co_u32_e64 v4, s[0:1], v4, v3, s[0:1]
	v_lshlrev_b64 v[2:3], 3, v[10:11]
	s_waitcnt lgkmcnt(0)
	v_add_co_u32_e64 v11, s[0:1], v5, v2
	v_addc_co_u32_e64 v12, s[0:1], v4, v3, s[0:1]
	v_cmp_gt_i32_e64 s[0:1], s33, v10
	v_mov_b32_e32 v2, 0
	v_mov_b32_e32 v4, 0
	v_mov_b32_e32 v3, 0
	v_mov_b32_e32 v5, 0
	s_and_b64 s[2:3], s[0:1], vcc
	s_barrier
	s_and_saveexec_b64 s[0:1], s[2:3]
	s_cbranch_execz .LBB26_3
; %bb.2:
	global_load_dwordx2 v[4:5], v[11:12], off
.LBB26_3:
	s_or_b64 exec, exec, s[0:1]
	v_add_u32_e32 v6, 16, v10
	v_cmp_gt_i32_e64 s[0:1], s33, v6
	s_and_b64 s[2:3], s[0:1], vcc
	s_waitcnt vmcnt(0)
	s_barrier
	s_and_saveexec_b64 s[0:1], s[2:3]
	s_cbranch_execz .LBB26_5
; %bb.4:
	global_load_dwordx2 v[2:3], v[11:12], off offset:128
.LBB26_5:
	s_or_b64 exec, exec, s[0:1]
	v_add_u32_e32 v6, 32, v10
	v_cmp_gt_i32_e64 s[0:1], s33, v6
	v_mov_b32_e32 v6, 0
	v_mov_b32_e32 v8, 0
	v_mov_b32_e32 v7, 0
	v_mov_b32_e32 v9, 0
	s_and_b64 s[2:3], s[0:1], vcc
	s_waitcnt vmcnt(0)
	s_barrier
	s_and_saveexec_b64 s[0:1], s[2:3]
	s_cbranch_execz .LBB26_7
; %bb.6:
	global_load_dwordx2 v[8:9], v[11:12], off offset:256
.LBB26_7:
	s_or_b64 exec, exec, s[0:1]
	v_add_u32_e32 v10, 48, v10
	v_cmp_gt_i32_e64 s[0:1], s33, v10
	s_and_b64 s[2:3], s[0:1], vcc
	s_waitcnt vmcnt(0)
	s_barrier
	s_and_saveexec_b64 s[0:1], s[2:3]
	s_cbranch_execz .LBB26_9
; %bb.8:
	global_load_dwordx2 v[6:7], v[11:12], off offset:384
.LBB26_9:
	s_or_b64 exec, exec, s[0:1]
	s_branch .LBB26_11
.LBB26_10:
                                        ; implicit-def: $vgpr6_vgpr7
                                        ; implicit-def: $vgpr8_vgpr9
                                        ; implicit-def: $vgpr2_vgpr3
                                        ; implicit-def: $vgpr4_vgpr5
.LBB26_11:
	s_ashr_i32 s0, s33, 31
	s_lshr_b32 s0, s0, 26
	s_add_i32 s0, s33, s0
	s_andn2_b32 s0, s0, 63
	s_sub_i32 s7, s33, s0
	s_add_i32 s0, s33, -1
	s_ashr_i32 s1, s0, 31
	s_lshr_b32 s1, s1, 26
	s_add_i32 s0, s0, s1
	s_ashr_i32 s0, s0, 6
	s_cmp_eq_u32 s0, s6
	s_cselect_b64 s[0:1], -1, 0
	s_cmp_lg_u32 s7, 0
	s_cselect_b64 s[2:3], -1, 0
	s_and_b64 s[24:25], s[2:3], s[0:1]
	s_cmp_lt_i32 s6, 5
	s_cselect_b64 s[2:3], -1, 0
	s_mov_b64 s[12:13], -1
	s_or_b64 s[0:1], s[2:3], s[24:25]
	v_lshlrev_b32_e32 v14, 6, v0
	s_and_b64 vcc, exec, s[24:25]
	v_cmp_le_u32_e64 s[8:9], v1, v0
	v_lshlrev_b32_e32 v18, 3, v0
	s_cbranch_vccnz .LBB26_33
; %bb.12:
	s_add_u32 s10, s40, 1
	s_addc_u32 s11, s41, 0
	s_lshl_b32 s12, s6, 6
	s_ashr_i32 s13, s12, 31
	s_mul_hi_u32 s14, s10, s12
	s_mul_i32 s13, s10, s13
	s_add_i32 s13, s14, s13
	s_mul_i32 s11, s11, s12
	s_add_i32 s11, s13, s11
	s_mul_i32 s10, s10, s12
	s_lshl_b64 s[10:11], s[10:11], 3
	s_add_u32 s10, s88, s10
	s_addc_u32 s11, s89, s11
	v_lshlrev_b32_e32 v10, 3, v0
	v_mov_b32_e32 v11, s11
	v_add_co_u32_e32 v10, vcc, s10, v10
	v_addc_co_u32_e32 v11, vcc, 0, v11, vcc
	s_mov_b64 s[10:11], 0
	s_and_saveexec_b64 s[12:13], s[8:9]
	s_xor_b64 s[8:9], exec, s[12:13]
; %bb.13:
	v_or_b32_e32 v12, v1, v0
	v_cmp_gt_u32_e32 vcc, 64, v12
	s_and_b64 s[10:11], vcc, exec
; %bb.14:
	s_or_saveexec_b64 s[8:9], s[8:9]
	v_mov_b32_e32 v12, 0
	v_mov_b32_e32 v13, 0
	s_xor_b64 exec, exec, s[8:9]
	s_cbranch_execz .LBB26_16
; %bb.15:
	v_mad_u64_u32 v[12:13], s[12:13], s40, v1, 0
	s_or_b64 s[10:11], s[10:11], exec
	v_mad_u64_u32 v[15:16], s[12:13], s41, v1, v[13:14]
	v_mov_b32_e32 v13, v15
	v_lshlrev_b64 v[12:13], 3, v[12:13]
	v_add_co_u32_e32 v12, vcc, v10, v12
	v_addc_co_u32_e32 v13, vcc, v11, v13, vcc
	global_load_dwordx2 v[12:13], v[12:13], off
	s_waitcnt vmcnt(0)
	v_xor_b32_e32 v13, 0x80000000, v13
.LBB26_16:
	s_or_b64 exec, exec, s[8:9]
	s_and_saveexec_b64 s[8:9], s[10:11]
; %bb.17:
	v_add_u32_e32 v15, v1, v14
	v_lshl_add_u32 v16, v1, 6, v0
	v_cndmask_b32_e64 v15, v16, v15, s[2:3]
	v_lshlrev_b32_e32 v15, 3, v15
	ds_write_b64 v15, v[12:13]
; %bb.18:
	s_or_b64 exec, exec, s[8:9]
	v_add_u32_e32 v15, 16, v1
	v_cmp_le_u32_e32 vcc, v15, v0
	s_mov_b64 s[2:3], 0
	s_and_saveexec_b64 s[8:9], vcc
	s_xor_b64 s[8:9], exec, s[8:9]
; %bb.19:
	v_or_b32_e32 v12, v15, v0
	v_cmp_gt_u32_e32 vcc, 64, v12
	s_and_b64 s[2:3], vcc, exec
; %bb.20:
	s_or_saveexec_b64 s[8:9], s[8:9]
	v_mov_b32_e32 v12, 0
	v_mov_b32_e32 v13, 0
	s_xor_b64 exec, exec, s[8:9]
	s_cbranch_execz .LBB26_22
; %bb.21:
	v_mad_u64_u32 v[12:13], s[10:11], s40, v15, 0
	s_or_b64 s[2:3], s[2:3], exec
	v_mad_u64_u32 v[16:17], s[10:11], s41, v15, v[13:14]
	v_mov_b32_e32 v13, v16
	v_lshlrev_b64 v[12:13], 3, v[12:13]
	v_add_co_u32_e32 v12, vcc, v10, v12
	v_addc_co_u32_e32 v13, vcc, v11, v13, vcc
	global_load_dwordx2 v[12:13], v[12:13], off
	s_waitcnt vmcnt(0)
	v_xor_b32_e32 v13, 0x80000000, v13
.LBB26_22:
	s_or_b64 exec, exec, s[8:9]
	s_and_saveexec_b64 s[8:9], s[2:3]
; %bb.23:
	v_add_u32_e32 v16, v15, v14
	v_lshl_add_u32 v15, v15, 6, v0
	v_cndmask_b32_e64 v15, v15, v16, s[0:1]
	v_lshlrev_b32_e32 v15, 3, v15
	ds_write_b64 v15, v[12:13]
; %bb.24:
	s_or_b64 exec, exec, s[8:9]
	v_add_u32_e32 v15, 32, v1
	v_cmp_le_u32_e32 vcc, v15, v0
	s_mov_b64 s[2:3], 0
	s_and_saveexec_b64 s[8:9], vcc
	s_xor_b64 s[8:9], exec, s[8:9]
; %bb.25:
	v_or_b32_e32 v12, v15, v0
	v_cmp_gt_u32_e32 vcc, 64, v12
	s_and_b64 s[2:3], vcc, exec
; %bb.26:
	s_or_saveexec_b64 s[8:9], s[8:9]
	v_mov_b32_e32 v12, 0
	v_mov_b32_e32 v13, 0
	s_xor_b64 exec, exec, s[8:9]
	s_cbranch_execz .LBB26_28
; %bb.27:
	v_mad_u64_u32 v[12:13], s[10:11], s40, v15, 0
	s_or_b64 s[2:3], s[2:3], exec
	v_mad_u64_u32 v[16:17], s[10:11], s41, v15, v[13:14]
	v_mov_b32_e32 v13, v16
	v_lshlrev_b64 v[12:13], 3, v[12:13]
	v_add_co_u32_e32 v12, vcc, v10, v12
	v_addc_co_u32_e32 v13, vcc, v11, v13, vcc
	global_load_dwordx2 v[12:13], v[12:13], off
	s_waitcnt vmcnt(0)
	v_xor_b32_e32 v13, 0x80000000, v13
.LBB26_28:
	s_or_b64 exec, exec, s[8:9]
	s_and_saveexec_b64 s[8:9], s[2:3]
; %bb.29:
	v_add_u32_e32 v16, v15, v14
	v_lshl_add_u32 v15, v15, 6, v0
	v_cndmask_b32_e64 v15, v15, v16, s[0:1]
	v_lshlrev_b32_e32 v15, 3, v15
	ds_write_b64 v15, v[12:13]
; %bb.30:
	s_or_b64 exec, exec, s[8:9]
	v_add_u32_e32 v15, 48, v1
	v_add_u32_e32 v12, v15, v14
	v_lshl_add_u32 v13, v15, 6, v0
	v_cmp_le_u32_e32 vcc, v15, v0
	s_mov_b64 s[2:3], -1
	s_mov_b64 s[12:13], 0
	s_mov_b64 s[10:11], 0
	s_and_saveexec_b64 s[8:9], vcc
	s_xor_b64 s[8:9], exec, s[8:9]
; %bb.31:
	v_or_b32_e32 v16, v15, v0
	v_cmp_gt_u32_e32 vcc, 64, v16
	s_and_b64 s[10:11], vcc, exec
	s_xor_b64 s[2:3], exec, -1
; %bb.32:
	s_or_b64 exec, exec, s[8:9]
	v_cndmask_b32_e64 v16, v13, v12, s[0:1]
	s_and_b64 vcc, exec, s[12:13]
	s_cbranch_vccnz .LBB26_34
	s_branch .LBB26_55
.LBB26_33:
	s_mov_b64 s[2:3], 0
	s_mov_b64 s[10:11], 0
                                        ; implicit-def: $vgpr16
                                        ; implicit-def: $vgpr10_vgpr11
                                        ; implicit-def: $vgpr15
	s_and_b64 vcc, exec, s[12:13]
	s_cbranch_vccz .LBB26_55
.LBB26_34:
	s_add_u32 s2, s40, 1
	s_addc_u32 s3, s41, 0
	s_lshl_b32 s8, s6, 6
	s_ashr_i32 s9, s8, 31
	s_mul_hi_u32 s12, s2, s8
	s_mul_i32 s9, s2, s9
	s_add_i32 s9, s12, s9
	s_mul_i32 s3, s3, s8
	s_add_i32 s3, s9, s3
	s_mul_i32 s2, s2, s8
	s_lshl_b64 s[2:3], s[2:3], 3
	s_add_u32 s2, s88, s2
	s_addc_u32 s3, s89, s3
	v_lshlrev_b32_e32 v10, 3, v0
	v_mov_b32_e32 v11, s3
	v_add_co_u32_e64 v10, s[2:3], s2, v10
	v_addc_co_u32_e64 v11, s[2:3], 0, v11, s[2:3]
	v_max_i32_e32 v12, v1, v0
	v_cmp_le_u32_e64 s[2:3], v1, v0
	v_cmp_le_i32_e64 s[8:9], s7, v12
	v_cmp_gt_i32_e32 vcc, s7, v0
	s_or_b64 s[2:3], s[8:9], s[2:3]
	s_mov_b64 s[8:9], 0
	s_and_saveexec_b64 s[12:13], s[2:3]
	s_xor_b64 s[12:13], exec, s[12:13]
; %bb.35:
	v_or_b32_e32 v12, v1, v0
	v_cmp_gt_u32_e64 s[2:3], 64, v12
	s_and_b64 s[8:9], s[2:3], exec
; %bb.36:
	s_or_saveexec_b64 s[12:13], s[12:13]
	v_mov_b32_e32 v12, 0
	v_mov_b32_e32 v13, 0
	s_xor_b64 exec, exec, s[12:13]
	s_cbranch_execz .LBB26_38
; %bb.37:
	v_mad_u64_u32 v[12:13], s[2:3], s40, v1, 0
	s_or_b64 s[8:9], s[8:9], exec
	v_mad_u64_u32 v[15:16], s[2:3], s41, v1, v[13:14]
	v_mov_b32_e32 v13, v15
	v_lshlrev_b64 v[12:13], 3, v[12:13]
	v_add_co_u32_e64 v12, s[2:3], v10, v12
	v_addc_co_u32_e64 v13, s[2:3], v11, v13, s[2:3]
	global_load_dwordx2 v[12:13], v[12:13], off
	s_waitcnt vmcnt(0)
	v_xor_b32_e32 v13, 0x80000000, v13
.LBB26_38:
	s_or_b64 exec, exec, s[12:13]
	s_and_saveexec_b64 s[2:3], s[8:9]
; %bb.39:
	v_lshlrev_b32_e32 v15, 3, v14
	v_lshl_add_u32 v15, v1, 3, v15
	ds_write_b64 v15, v[12:13]
; %bb.40:
	s_or_b64 exec, exec, s[2:3]
	v_add_u32_e32 v15, 16, v1
	v_cmp_gt_u32_e64 s[2:3], v15, v0
	v_cmp_gt_i32_e64 s[8:9], s7, v15
	s_and_b64 s[2:3], s[2:3], s[8:9]
	s_and_b64 s[2:3], s[2:3], vcc
	s_xor_b64 s[2:3], s[2:3], -1
	s_mov_b64 s[8:9], 0
	s_and_saveexec_b64 s[12:13], s[2:3]
	s_xor_b64 s[12:13], exec, s[12:13]
; %bb.41:
	v_or_b32_e32 v12, v15, v0
	v_cmp_gt_u32_e64 s[2:3], 64, v12
	s_and_b64 s[8:9], s[2:3], exec
; %bb.42:
	s_or_saveexec_b64 s[12:13], s[12:13]
	v_mov_b32_e32 v12, 0
	v_mov_b32_e32 v13, 0
	s_xor_b64 exec, exec, s[12:13]
	s_cbranch_execz .LBB26_44
; %bb.43:
	v_mad_u64_u32 v[12:13], s[2:3], s40, v15, 0
	s_or_b64 s[8:9], s[8:9], exec
	v_mad_u64_u32 v[16:17], s[2:3], s41, v15, v[13:14]
	v_mov_b32_e32 v13, v16
	v_lshlrev_b64 v[12:13], 3, v[12:13]
	v_add_co_u32_e64 v12, s[2:3], v10, v12
	v_addc_co_u32_e64 v13, s[2:3], v11, v13, s[2:3]
	global_load_dwordx2 v[12:13], v[12:13], off
	s_waitcnt vmcnt(0)
	v_xor_b32_e32 v13, 0x80000000, v13
.LBB26_44:
	s_or_b64 exec, exec, s[12:13]
	s_and_saveexec_b64 s[2:3], s[8:9]
; %bb.45:
	v_add_u32_e32 v16, v15, v14
	v_lshl_add_u32 v15, v15, 6, v0
	v_cndmask_b32_e64 v15, v15, v16, s[0:1]
	v_lshlrev_b32_e32 v15, 3, v15
	ds_write_b64 v15, v[12:13]
; %bb.46:
	s_or_b64 exec, exec, s[2:3]
	v_add_u32_e32 v15, 32, v1
	v_cmp_gt_u32_e64 s[2:3], v15, v0
	v_cmp_gt_i32_e64 s[8:9], s7, v15
	s_and_b64 s[2:3], s[2:3], s[8:9]
	s_and_b64 s[2:3], s[2:3], vcc
	s_xor_b64 s[2:3], s[2:3], -1
	s_mov_b64 s[8:9], 0
	s_and_saveexec_b64 s[12:13], s[2:3]
	s_xor_b64 s[12:13], exec, s[12:13]
; %bb.47:
	v_or_b32_e32 v12, v15, v0
	v_cmp_gt_u32_e64 s[2:3], 64, v12
	s_and_b64 s[8:9], s[2:3], exec
; %bb.48:
	s_or_saveexec_b64 s[12:13], s[12:13]
	v_mov_b32_e32 v12, 0
	v_mov_b32_e32 v13, 0
	s_xor_b64 exec, exec, s[12:13]
	s_cbranch_execz .LBB26_50
; %bb.49:
	v_mad_u64_u32 v[12:13], s[2:3], s40, v15, 0
	s_or_b64 s[8:9], s[8:9], exec
	v_mad_u64_u32 v[16:17], s[2:3], s41, v15, v[13:14]
	v_mov_b32_e32 v13, v16
	v_lshlrev_b64 v[12:13], 3, v[12:13]
	v_add_co_u32_e64 v12, s[2:3], v10, v12
	v_addc_co_u32_e64 v13, s[2:3], v11, v13, s[2:3]
	global_load_dwordx2 v[12:13], v[12:13], off
	s_waitcnt vmcnt(0)
	v_xor_b32_e32 v13, 0x80000000, v13
.LBB26_50:
	s_or_b64 exec, exec, s[12:13]
	s_and_saveexec_b64 s[2:3], s[8:9]
; %bb.51:
	v_add_u32_e32 v16, v15, v14
	v_lshl_add_u32 v15, v15, 6, v0
	v_cndmask_b32_e64 v15, v15, v16, s[0:1]
	v_lshlrev_b32_e32 v15, 3, v15
	ds_write_b64 v15, v[12:13]
; %bb.52:
	s_or_b64 exec, exec, s[2:3]
	v_add_u32_e32 v15, 48, v1
	v_cmp_gt_u32_e64 s[2:3], v15, v0
	v_cmp_gt_i32_e64 s[8:9], s7, v15
	s_and_b64 s[2:3], s[2:3], s[8:9]
	s_and_b64 s[8:9], s[2:3], vcc
	v_add_u32_e32 v12, v15, v14
	v_lshl_add_u32 v13, v15, 6, v0
	s_mov_b64 s[2:3], -1
	s_xor_b64 s[12:13], s[8:9], -1
	s_and_saveexec_b64 s[8:9], s[12:13]
; %bb.53:
	v_or_b32_e32 v14, v15, v0
	v_cmp_gt_u32_e32 vcc, 64, v14
	s_andn2_b64 s[2:3], s[10:11], exec
	s_and_b64 s[10:11], vcc, exec
	s_or_b64 s[10:11], s[2:3], s[10:11]
	s_xor_b64 s[2:3], exec, -1
; %bb.54:
	s_or_b64 exec, exec, s[8:9]
	v_cndmask_b32_e64 v16, v13, v12, s[0:1]
.LBB26_55:
	v_mov_b32_e32 v12, 0
	v_mov_b32_e32 v13, 0
	s_and_saveexec_b64 s[8:9], s[2:3]
	s_cbranch_execnz .LBB26_1139
; %bb.56:
	s_or_b64 exec, exec, s[8:9]
	s_xor_b64 s[0:1], s[0:1], -1
	s_and_saveexec_b64 s[2:3], s[10:11]
.LBB26_57:
	v_lshlrev_b32_e32 v10, 3, v16
	ds_write_b64 v10, v[12:13]
.LBB26_58:
	s_or_b64 exec, exec, s[2:3]
	v_cndmask_b32_e64 v10, 0, 1, s[0:1]
	v_cmp_ne_u32_e64 s[58:59], 1, v10
	s_andn2_b64 vcc, exec, s[0:1]
	s_waitcnt vmcnt(0) lgkmcnt(0)
	s_barrier
	s_cbranch_vccnz .LBB26_1096
; %bb.59:
	v_or_b32_e32 v10, v0, v1
	v_cmp_eq_u32_e32 vcc, 0, v10
	s_and_saveexec_b64 s[0:1], vcc
	s_cbranch_execz .LBB26_61
; %bb.60:
	v_mov_b32_e32 v10, 0
	ds_read_b64 v[12:13], v10 offset:32752
	v_mov_b32_e32 v11, 0x3ff00000
	ds_write_b64 v10, v[10:11] offset:32760
	s_waitcnt lgkmcnt(1)
	ds_write_b128 v10, v[10:13] offset:32240
.LBB26_61:
	s_or_b64 exec, exec, s[0:1]
	v_lshlrev_b32_e32 v10, 6, v1
	v_add_u32_e32 v15, v10, v0
	v_and_b32_e32 v11, v10, v0
	v_xor_b32_e32 v10, v10, v0
	v_lshrrev_b16_e32 v10, 1, v10
	v_add_u16_e32 v14, v11, v10
	v_mov_b32_e32 v10, 0
	v_and_b32_e32 v12, 1, v0
	v_sub_u32_e32 v13, 1, v14
	v_cmp_lt_u32_e64 s[8:9], 3, v15
	v_mov_b32_e32 v11, 0
	v_cmp_gt_u32_e64 s[2:3], 4, v15
	s_waitcnt lgkmcnt(0)
	s_barrier
	buffer_wbinvl1_vol
	s_and_saveexec_b64 s[0:1], s[2:3]
	s_cbranch_execz .LBB26_65
; %bb.62:
	v_lshlrev_b32_e32 v16, 9, v13
	v_lshlrev_b32_e32 v10, 3, v12
	ds_read_b64 v[10:11], v10 offset:32224
	ds_read_b64 v[16:17], v16 offset:32240
	v_cmp_gt_u32_e64 s[10:11], 2, v15
	s_waitcnt lgkmcnt(0)
	v_fma_f64 v[10:11], v[10:11], v[16:17], 0
	s_and_saveexec_b64 s[12:13], s[10:11]
	s_cbranch_execz .LBB26_64
; %bb.63:
	v_lshlrev_b32_e32 v16, 3, v0
	v_mov_b32_e32 v19, 0
	ds_read_b64 v[16:17], v16 offset:32736
	ds_read_b64 v[19:20], v19 offset:32760
	s_waitcnt lgkmcnt(0)
	v_fma_f64 v[10:11], v[16:17], v[19:20], v[10:11]
.LBB26_64:
	s_or_b64 exec, exec, s[12:13]
.LBB26_65:
	s_or_b64 exec, exec, s[0:1]
	v_mov_b32_e32 v16, 0x8000
	v_cmp_ne_u32_e64 s[10:11], 0, v12
	s_xor_b64 s[0:1], s[8:9], -1
	v_lshl_add_u32 v14, v14, 3, v16
	s_and_b64 s[30:31], s[10:11], s[0:1]
	s_and_saveexec_b64 s[8:9], s[30:31]
; %bb.66:
	v_xor_b32_e32 v17, 0x80000000, v11
	v_mov_b32_e32 v16, v10
	ds_write_b64 v14, v[16:17]
; %bb.67:
	s_or_b64 exec, exec, s[8:9]
	v_cmp_eq_u32_e64 s[8:9], 0, v12
	s_and_b64 s[28:29], s[8:9], s[0:1]
	s_waitcnt lgkmcnt(0)
	s_barrier
	s_and_saveexec_b64 s[0:1], s[28:29]
	s_cbranch_execz .LBB26_69
; %bb.68:
	v_mov_b32_e32 v16, 0
	ds_read_b64 v[16:17], v16 offset:31712
	ds_read_b64 v[19:20], v14
	s_waitcnt lgkmcnt(0)
	v_fma_f64 v[10:11], -v[16:17], v[19:20], v[10:11]
.LBB26_69:
	s_or_b64 exec, exec, s[0:1]
	s_barrier
	s_and_saveexec_b64 s[0:1], s[28:29]
; %bb.70:
	v_xor_b32_e32 v17, 0x80000000, v11
	v_mov_b32_e32 v16, v10
	ds_write_b64 v14, v[16:17]
; %bb.71:
	s_or_b64 exec, exec, s[0:1]
	s_waitcnt lgkmcnt(0)
	s_barrier
	s_barrier
	s_and_saveexec_b64 s[0:1], s[2:3]
; %bb.72:
	v_lshlrev_b32_e32 v16, 3, v12
	v_lshl_or_b32 v16, v13, 9, v16
	ds_write_b64 v16, v[10:11] offset:32224
; %bb.73:
	s_or_b64 exec, exec, s[0:1]
	v_cmp_eq_u32_e64 s[12:13], 0, v1
	v_cmp_gt_u32_e64 s[8:9], 2, v0
	s_and_b64 s[34:35], s[12:13], s[8:9]
	s_waitcnt lgkmcnt(0)
	s_barrier
	s_barrier
	s_and_saveexec_b64 s[0:1], s[34:35]
	s_cbranch_execz .LBB26_75
; %bb.74:
	v_lshlrev_b32_e32 v16, 3, v0
	s_movk_i32 s8, 0x1f8
	v_mad_u32_u24 v17, v0, s8, v16
	ds_read_b64 v[10:11], v17 offset:32224
	s_waitcnt lgkmcnt(0)
	ds_write_b64 v16, v[10:11] offset:31216
	ds_read_b64 v[10:11], v17 offset:32232
	s_waitcnt lgkmcnt(0)
	ds_write_b64 v16, v[10:11] offset:31728
.LBB26_75:
	s_or_b64 exec, exec, s[0:1]
	s_waitcnt lgkmcnt(0)
	s_barrier
	s_and_saveexec_b64 s[0:1], vcc
	s_cbranch_execz .LBB26_77
; %bb.76:
	v_mov_b32_e32 v19, 0
	ds_read_b64 v[21:22], v19 offset:31712
	v_mov_b32_e32 v20, 0x3ff00000
	ds_write_b64 v19, v[19:20] offset:31720
	s_waitcnt lgkmcnt(1)
	ds_write_b128 v19, v[19:22] offset:31200
.LBB26_77:
	s_or_b64 exec, exec, s[0:1]
	v_lshrrev_b32_e32 v19, 2, v15
	v_mov_b32_e32 v10, 0
	v_and_b32_e32 v16, 3, v0
	v_sub_u32_e32 v17, 3, v19
	v_cmp_lt_u32_e64 s[8:9], 15, v15
	v_mov_b32_e32 v11, 0
	v_cmp_gt_u32_e64 s[18:19], 16, v15
	s_waitcnt lgkmcnt(0)
	s_barrier
	buffer_wbinvl1_vol
	s_and_saveexec_b64 s[0:1], s[18:19]
	s_cbranch_execz .LBB26_83
; %bb.78:
	v_lshlrev_b32_e32 v21, 3, v16
	v_lshlrev_b32_e32 v20, 9, v17
	ds_read_b64 v[10:11], v21 offset:31168
	ds_read_b64 v[22:23], v20 offset:31200
	v_cmp_gt_u32_e64 s[10:11], 12, v15
	s_waitcnt lgkmcnt(0)
	v_fma_f64 v[10:11], v[10:11], v[22:23], 0
	s_and_saveexec_b64 s[14:15], s[10:11]
	s_cbranch_execnz .LBB26_1172
; %bb.79:
	s_or_b64 exec, exec, s[14:15]
	v_cmp_gt_u32_e64 s[10:11], 8, v15
	s_and_saveexec_b64 s[14:15], s[10:11]
	s_cbranch_execnz .LBB26_1173
.LBB26_80:
	s_or_b64 exec, exec, s[14:15]
	v_cmp_gt_u32_e64 s[10:11], 4, v15
	s_and_saveexec_b64 s[14:15], s[10:11]
	s_cbranch_execz .LBB26_82
.LBB26_81:
	v_lshlrev_b32_e32 v20, 3, v0
	v_mov_b32_e32 v22, 0
	ds_read_b64 v[20:21], v20 offset:32704
	ds_read_b64 v[22:23], v22 offset:32760
	s_waitcnt lgkmcnt(0)
	v_fma_f64 v[10:11], v[20:21], v[22:23], v[10:11]
.LBB26_82:
	s_or_b64 exec, exec, s[14:15]
.LBB26_83:
                                        ; implicit-def: $vgpr35 : SGPR spill to VGPR lane
	v_writelane_b32 v35, s38, 0
	v_writelane_b32 v35, s39, 1
	s_or_b64 exec, exec, s[0:1]
	v_mov_b32_e32 v20, 0x8000
	v_cmp_eq_u32_e64 s[10:11], 3, v16
	s_xor_b64 s[0:1], s[8:9], -1
	v_lshl_add_u32 v19, v19, 3, v20
	s_and_b64 s[38:39], s[10:11], s[0:1]
	s_and_saveexec_b64 s[8:9], s[38:39]
; %bb.84:
	v_xor_b32_e32 v21, 0x80000000, v11
	v_mov_b32_e32 v20, v10
	ds_write_b64 v19, v[20:21]
; %bb.85:
	s_or_b64 exec, exec, s[8:9]
	v_cmp_ne_u32_e64 s[8:9], 3, v16
	s_and_b64 s[42:43], s[8:9], s[0:1]
	s_waitcnt lgkmcnt(0)
	s_barrier
	s_and_saveexec_b64 s[8:9], s[42:43]
	s_cbranch_execz .LBB26_87
; %bb.86:
	v_lshlrev_b32_e32 v20, 3, v16
	ds_read_b64 v[20:21], v20 offset:30656
	ds_read_b64 v[22:23], v19
	s_waitcnt lgkmcnt(0)
	v_fma_f64 v[10:11], -v[20:21], v[22:23], v[10:11]
.LBB26_87:
	s_or_b64 exec, exec, s[8:9]
	v_cmp_eq_u32_e64 s[8:9], 2, v16
	s_and_b64 s[44:45], s[8:9], s[0:1]
	s_barrier
	s_and_saveexec_b64 s[8:9], s[44:45]
; %bb.88:
	v_xor_b32_e32 v21, 0x80000000, v11
	v_mov_b32_e32 v20, v10
	ds_write_b64 v19, v[20:21]
; %bb.89:
	s_or_b64 exec, exec, s[8:9]
	v_cmp_gt_u32_e64 s[8:9], 2, v16
	s_and_b64 s[52:53], s[8:9], s[0:1]
	s_waitcnt lgkmcnt(0)
	s_barrier
	s_and_saveexec_b64 s[8:9], s[52:53]
	s_cbranch_execz .LBB26_91
; %bb.90:
	v_lshlrev_b32_e32 v20, 3, v16
	ds_read_b64 v[20:21], v20 offset:30144
	ds_read_b64 v[22:23], v19
	s_waitcnt lgkmcnt(0)
	v_fma_f64 v[10:11], -v[20:21], v[22:23], v[10:11]
.LBB26_91:
	s_or_b64 exec, exec, s[8:9]
	v_cmp_eq_u32_e64 s[8:9], 1, v16
	s_and_b64 s[54:55], s[8:9], s[0:1]
	s_barrier
	s_and_saveexec_b64 s[8:9], s[54:55]
; %bb.92:
	v_xor_b32_e32 v21, 0x80000000, v11
	v_mov_b32_e32 v20, v10
	ds_write_b64 v19, v[20:21]
; %bb.93:
	s_or_b64 exec, exec, s[8:9]
	v_cmp_eq_u32_e64 s[8:9], 0, v16
	s_and_b64 s[36:37], s[8:9], s[0:1]
	s_waitcnt lgkmcnt(0)
	s_barrier
	s_and_saveexec_b64 s[0:1], s[36:37]
	s_cbranch_execz .LBB26_95
; %bb.94:
	v_mov_b32_e32 v20, 0
	ds_read_b64 v[20:21], v20 offset:29632
	ds_read_b64 v[22:23], v19
	s_waitcnt lgkmcnt(0)
	v_fma_f64 v[10:11], -v[20:21], v[22:23], v[10:11]
.LBB26_95:
	s_or_b64 exec, exec, s[0:1]
	s_barrier
	s_and_saveexec_b64 s[0:1], s[36:37]
; %bb.96:
	v_xor_b32_e32 v21, 0x80000000, v11
	v_mov_b32_e32 v20, v10
	ds_write_b64 v19, v[20:21]
; %bb.97:
	s_or_b64 exec, exec, s[0:1]
	s_waitcnt lgkmcnt(0)
	s_barrier
	s_barrier
	s_and_saveexec_b64 s[0:1], s[18:19]
; %bb.98:
	v_lshlrev_b32_e32 v20, 3, v16
	v_lshl_or_b32 v20, v17, 9, v20
	ds_write_b64 v20, v[10:11] offset:31168
; %bb.99:
	s_or_b64 exec, exec, s[0:1]
	v_cmp_gt_u32_e64 s[8:9], 4, v0
	s_and_b64 s[56:57], s[12:13], s[8:9]
	s_waitcnt lgkmcnt(0)
	s_barrier
	s_barrier
	s_and_saveexec_b64 s[0:1], s[56:57]
	s_cbranch_execz .LBB26_101
; %bb.100:
	v_lshlrev_b32_e32 v20, 9, v0
	ds_read_b64 v[10:11], v20 offset:31168
	s_movk_i32 s8, 0xfe08
	v_mad_i32_i24 v21, v0, s8, v20
	s_waitcnt lgkmcnt(0)
	ds_write_b64 v21, v[10:11] offset:29152
	ds_read_b64 v[10:11], v20 offset:31176
	s_waitcnt lgkmcnt(0)
	ds_write_b64 v21, v[10:11] offset:29664
	ds_read_b64 v[10:11], v20 offset:31184
	;; [unrolled: 3-line block ×3, first 2 shown]
	s_waitcnt lgkmcnt(0)
	ds_write_b64 v21, v[10:11] offset:30688
.LBB26_101:
	s_or_b64 exec, exec, s[0:1]
	s_waitcnt lgkmcnt(0)
	s_barrier
	s_and_saveexec_b64 s[0:1], vcc
	s_cbranch_execz .LBB26_103
; %bb.102:
	v_mov_b32_e32 v20, 0
	ds_read_b64 v[22:23], v20 offset:30672
	v_mov_b32_e32 v21, 0x3ff00000
	ds_write_b64 v20, v[20:21] offset:30680
	s_waitcnt lgkmcnt(1)
	ds_write_b128 v20, v[20:23] offset:30160
.LBB26_103:
	s_or_b64 exec, exec, s[0:1]
	v_mov_b32_e32 v10, 0
	v_mov_b32_e32 v11, 0
	s_waitcnt lgkmcnt(0)
	s_barrier
	buffer_wbinvl1_vol
	s_and_saveexec_b64 s[0:1], s[2:3]
	s_cbranch_execz .LBB26_107
; %bb.104:
	v_lshlrev_b32_e32 v20, 9, v13
	v_lshlrev_b32_e32 v10, 3, v12
	ds_read_b64 v[10:11], v10 offset:30144
	ds_read_b64 v[20:21], v20 offset:30160
	v_cmp_gt_u32_e64 s[8:9], 2, v15
	s_waitcnt lgkmcnt(0)
	v_fma_f64 v[10:11], v[10:11], v[20:21], 0
	s_and_saveexec_b64 s[10:11], s[8:9]
	s_cbranch_execz .LBB26_106
; %bb.105:
	v_lshlrev_b32_e32 v20, 3, v0
	v_mov_b32_e32 v22, 0
	ds_read_b64 v[20:21], v20 offset:30656
	ds_read_b64 v[22:23], v22 offset:30680
	s_waitcnt lgkmcnt(0)
	v_fma_f64 v[10:11], v[20:21], v[22:23], v[10:11]
.LBB26_106:
	s_or_b64 exec, exec, s[10:11]
.LBB26_107:
	s_or_b64 exec, exec, s[0:1]
	s_and_saveexec_b64 s[0:1], s[30:31]
; %bb.108:
	v_xor_b32_e32 v21, 0x80000000, v11
	v_mov_b32_e32 v20, v10
	ds_write_b64 v14, v[20:21]
; %bb.109:
	s_or_b64 exec, exec, s[0:1]
	s_waitcnt lgkmcnt(0)
	s_barrier
	s_and_saveexec_b64 s[0:1], s[28:29]
	s_cbranch_execz .LBB26_111
; %bb.110:
	v_mov_b32_e32 v20, 0
	ds_read_b64 v[20:21], v20 offset:29632
	ds_read_b64 v[22:23], v14
	s_waitcnt lgkmcnt(0)
	v_fma_f64 v[10:11], -v[20:21], v[22:23], v[10:11]
.LBB26_111:
	s_or_b64 exec, exec, s[0:1]
	s_barrier
	s_and_saveexec_b64 s[0:1], s[28:29]
; %bb.112:
	v_xor_b32_e32 v21, 0x80000000, v11
	v_mov_b32_e32 v20, v10
	ds_write_b64 v14, v[20:21]
; %bb.113:
	s_or_b64 exec, exec, s[0:1]
	s_waitcnt lgkmcnt(0)
	s_barrier
	s_barrier
	s_and_saveexec_b64 s[0:1], s[2:3]
; %bb.114:
	v_lshlrev_b32_e32 v20, 3, v12
	v_lshl_or_b32 v20, v13, 9, v20
	ds_write_b64 v20, v[10:11] offset:30144
; %bb.115:
	s_or_b64 exec, exec, s[0:1]
	s_waitcnt lgkmcnt(0)
	s_barrier
	s_barrier
	s_and_saveexec_b64 s[0:1], s[34:35]
	s_cbranch_execz .LBB26_117
; %bb.116:
	v_lshlrev_b32_e32 v20, 3, v0
	s_movk_i32 s8, 0x1f8
	v_mad_u32_u24 v21, v0, s8, v20
	ds_read_b64 v[10:11], v21 offset:30144
	s_waitcnt lgkmcnt(0)
	ds_write_b64 v20, v[10:11] offset:29136
	ds_read_b64 v[10:11], v21 offset:30152
	s_waitcnt lgkmcnt(0)
	ds_write_b64 v20, v[10:11] offset:29648
.LBB26_117:
	s_or_b64 exec, exec, s[0:1]
	s_waitcnt lgkmcnt(0)
	s_barrier
	s_and_saveexec_b64 s[0:1], vcc
	s_cbranch_execz .LBB26_119
; %bb.118:
	v_mov_b32_e32 v20, 0
	ds_read_b64 v[22:23], v20 offset:29632
	v_mov_b32_e32 v21, 0x3ff00000
	ds_write_b64 v20, v[20:21] offset:29640
	s_waitcnt lgkmcnt(1)
	ds_write_b128 v20, v[20:23] offset:29120
.LBB26_119:
	s_or_b64 exec, exec, s[0:1]
	v_lshrrev_b32_e32 v22, 3, v15
	v_mov_b32_e32 v10, 0
	v_and_b32_e32 v20, 7, v0
	v_sub_u32_e32 v21, 7, v22
	v_cmp_lt_u32_e64 s[10:11], 63, v15
	v_mov_b32_e32 v11, 0
	v_cmp_gt_u32_e64 s[8:9], 64, v15
	s_waitcnt lgkmcnt(0)
	s_barrier
	buffer_wbinvl1_vol
	s_and_saveexec_b64 s[0:1], s[8:9]
	s_cbranch_execz .LBB26_129
; %bb.120:
	v_lshlrev_b32_e32 v24, 3, v20
	v_lshlrev_b32_e32 v23, 9, v21
	ds_read_b64 v[10:11], v24 offset:29056
	ds_read_b64 v[25:26], v23 offset:29120
	v_cmp_gt_u32_e64 s[14:15], 56, v15
	s_waitcnt lgkmcnt(0)
	v_fma_f64 v[10:11], v[10:11], v[25:26], 0
	s_and_saveexec_b64 s[16:17], s[14:15]
	s_cbranch_execnz .LBB26_1174
; %bb.121:
	s_or_b64 exec, exec, s[16:17]
	v_cmp_gt_u32_e64 s[14:15], 48, v15
	s_and_saveexec_b64 s[16:17], s[14:15]
	s_cbranch_execnz .LBB26_1175
.LBB26_122:
	s_or_b64 exec, exec, s[16:17]
	v_cmp_gt_u32_e64 s[14:15], 40, v15
	s_and_saveexec_b64 s[16:17], s[14:15]
	s_cbranch_execnz .LBB26_1176
.LBB26_123:
	s_or_b64 exec, exec, s[16:17]
	v_cmp_gt_u32_e64 s[14:15], 32, v15
	s_and_saveexec_b64 s[16:17], s[14:15]
	s_cbranch_execnz .LBB26_1177
.LBB26_124:
	s_or_b64 exec, exec, s[16:17]
	v_cmp_gt_u32_e64 s[14:15], 24, v15
	s_and_saveexec_b64 s[16:17], s[14:15]
	s_cbranch_execnz .LBB26_1178
.LBB26_125:
	s_or_b64 exec, exec, s[16:17]
	s_and_saveexec_b64 s[14:15], s[18:19]
	s_cbranch_execnz .LBB26_1179
.LBB26_126:
	s_or_b64 exec, exec, s[14:15]
	v_cmp_gt_u32_e64 s[14:15], 8, v15
	s_and_saveexec_b64 s[16:17], s[14:15]
	s_cbranch_execz .LBB26_128
.LBB26_127:
	v_lshlrev_b32_e32 v23, 3, v0
	v_mov_b32_e32 v25, 0
	ds_read_b64 v[23:24], v23 offset:32640
	ds_read_b64 v[25:26], v25 offset:32760
	s_waitcnt lgkmcnt(0)
	v_fma_f64 v[10:11], v[23:24], v[25:26], v[10:11]
.LBB26_128:
	s_or_b64 exec, exec, s[16:17]
.LBB26_129:
	v_writelane_b32 v35, s58, 2
	v_writelane_b32 v35, s59, 3
	s_or_b64 exec, exec, s[0:1]
	v_mov_b32_e32 v23, 0x8000
	v_cmp_eq_u32_e64 s[14:15], 7, v20
	s_xor_b64 s[0:1], s[10:11], -1
	v_lshl_add_u32 v22, v22, 3, v23
	s_and_b64 s[58:59], s[14:15], s[0:1]
	s_and_saveexec_b64 s[10:11], s[58:59]
; %bb.130:
	v_xor_b32_e32 v24, 0x80000000, v11
	v_mov_b32_e32 v23, v10
	ds_write_b64 v22, v[23:24]
; %bb.131:
	s_or_b64 exec, exec, s[10:11]
	v_cmp_ne_u32_e64 s[10:11], 7, v20
	s_and_b64 s[60:61], s[10:11], s[0:1]
	s_waitcnt lgkmcnt(0)
	s_barrier
	s_and_saveexec_b64 s[10:11], s[60:61]
	s_cbranch_execz .LBB26_133
; %bb.132:
	v_lshlrev_b32_e32 v23, 3, v20
	ds_read_b64 v[23:24], v23 offset:28544
	ds_read_b64 v[25:26], v22
	s_waitcnt lgkmcnt(0)
	v_fma_f64 v[10:11], -v[23:24], v[25:26], v[10:11]
.LBB26_133:
	s_or_b64 exec, exec, s[10:11]
	v_cmp_eq_u32_e64 s[10:11], 6, v20
	s_and_b64 s[62:63], s[10:11], s[0:1]
	s_barrier
	s_and_saveexec_b64 s[10:11], s[62:63]
; %bb.134:
	v_xor_b32_e32 v24, 0x80000000, v11
	v_mov_b32_e32 v23, v10
	ds_write_b64 v22, v[23:24]
; %bb.135:
	s_or_b64 exec, exec, s[10:11]
	v_cmp_gt_u32_e64 s[10:11], 6, v20
	s_and_b64 s[64:65], s[10:11], s[0:1]
	s_waitcnt lgkmcnt(0)
	s_barrier
	s_and_saveexec_b64 s[10:11], s[64:65]
	s_cbranch_execz .LBB26_137
; %bb.136:
	v_lshlrev_b32_e32 v23, 3, v20
	ds_read_b64 v[23:24], v23 offset:28032
	ds_read_b64 v[25:26], v22
	s_waitcnt lgkmcnt(0)
	v_fma_f64 v[10:11], -v[23:24], v[25:26], v[10:11]
.LBB26_137:
	s_or_b64 exec, exec, s[10:11]
	v_cmp_eq_u32_e64 s[10:11], 5, v20
	s_and_b64 s[66:67], s[10:11], s[0:1]
	s_barrier
	s_and_saveexec_b64 s[10:11], s[66:67]
; %bb.138:
	v_xor_b32_e32 v24, 0x80000000, v11
	v_mov_b32_e32 v23, v10
	ds_write_b64 v22, v[23:24]
; %bb.139:
	s_or_b64 exec, exec, s[10:11]
	v_cmp_gt_u32_e64 s[10:11], 5, v20
	;; [unrolled: 24-line block ×5, first 2 shown]
	s_and_b64 s[82:83], s[10:11], s[0:1]
	s_waitcnt lgkmcnt(0)
	s_barrier
	s_and_saveexec_b64 s[10:11], s[82:83]
	s_cbranch_execz .LBB26_153
; %bb.152:
	v_lshlrev_b32_e32 v23, 3, v20
	ds_read_b64 v[23:24], v23 offset:25984
	ds_read_b64 v[25:26], v22
	s_waitcnt lgkmcnt(0)
	v_fma_f64 v[10:11], -v[23:24], v[25:26], v[10:11]
.LBB26_153:
	s_or_b64 exec, exec, s[10:11]
	v_cmp_eq_u32_e64 s[10:11], 1, v20
	s_and_b64 s[84:85], s[10:11], s[0:1]
	s_barrier
	s_and_saveexec_b64 s[10:11], s[84:85]
; %bb.154:
	v_xor_b32_e32 v24, 0x80000000, v11
	v_mov_b32_e32 v23, v10
	ds_write_b64 v22, v[23:24]
; %bb.155:
	s_or_b64 exec, exec, s[10:11]
	v_cmp_eq_u32_e64 s[10:11], 0, v20
	s_and_b64 s[68:69], s[10:11], s[0:1]
	s_waitcnt lgkmcnt(0)
	s_barrier
	s_and_saveexec_b64 s[0:1], s[68:69]
	s_cbranch_execz .LBB26_157
; %bb.156:
	v_mov_b32_e32 v23, 0
	ds_read_b64 v[23:24], v23 offset:25472
	ds_read_b64 v[25:26], v22
	s_waitcnt lgkmcnt(0)
	v_fma_f64 v[10:11], -v[23:24], v[25:26], v[10:11]
.LBB26_157:
	s_or_b64 exec, exec, s[0:1]
	s_barrier
	s_and_saveexec_b64 s[0:1], s[68:69]
; %bb.158:
	v_xor_b32_e32 v24, 0x80000000, v11
	v_mov_b32_e32 v23, v10
	ds_write_b64 v22, v[23:24]
; %bb.159:
	s_or_b64 exec, exec, s[0:1]
	s_waitcnt lgkmcnt(0)
	s_barrier
	s_barrier
	s_and_saveexec_b64 s[0:1], s[8:9]
; %bb.160:
	v_lshlrev_b32_e32 v23, 3, v20
	v_lshl_or_b32 v23, v21, 9, v23
	ds_write_b64 v23, v[10:11] offset:29056
; %bb.161:
	s_or_b64 exec, exec, s[0:1]
	v_cmp_gt_u32_e64 s[10:11], 8, v0
	s_and_b64 s[86:87], s[12:13], s[10:11]
	s_waitcnt lgkmcnt(0)
	s_barrier
	s_barrier
	s_and_saveexec_b64 s[0:1], s[86:87]
	s_cbranch_execz .LBB26_163
; %bb.162:
	v_lshlrev_b32_e32 v23, 9, v0
	ds_read_b64 v[10:11], v23 offset:29056
	s_movk_i32 s10, 0xfe08
	v_mad_i32_i24 v24, v0, s10, v23
	s_waitcnt lgkmcnt(0)
	ds_write_b64 v24, v[10:11] offset:25024
	ds_read_b64 v[10:11], v23 offset:29064
	s_waitcnt lgkmcnt(0)
	ds_write_b64 v24, v[10:11] offset:25536
	ds_read_b64 v[10:11], v23 offset:29072
	;; [unrolled: 3-line block ×7, first 2 shown]
	s_waitcnt lgkmcnt(0)
	ds_write_b64 v24, v[10:11] offset:28608
.LBB26_163:
	s_or_b64 exec, exec, s[0:1]
	s_waitcnt lgkmcnt(0)
	s_barrier
	s_and_saveexec_b64 s[0:1], vcc
	s_cbranch_execz .LBB26_165
; %bb.164:
	v_mov_b32_e32 v23, 0
	ds_read_b64 v[25:26], v23 offset:28592
	v_mov_b32_e32 v24, 0x3ff00000
	ds_write_b64 v23, v[23:24] offset:28600
	s_waitcnt lgkmcnt(1)
	ds_write_b128 v23, v[23:26] offset:28080
.LBB26_165:
	s_or_b64 exec, exec, s[0:1]
	v_mov_b32_e32 v10, 0
	v_mov_b32_e32 v11, 0
	s_waitcnt lgkmcnt(0)
	s_barrier
	buffer_wbinvl1_vol
	s_and_saveexec_b64 s[0:1], s[2:3]
	s_cbranch_execz .LBB26_169
; %bb.166:
	v_lshlrev_b32_e32 v23, 9, v13
	v_lshlrev_b32_e32 v10, 3, v12
	ds_read_b64 v[10:11], v10 offset:28064
	ds_read_b64 v[23:24], v23 offset:28080
	v_cmp_gt_u32_e64 s[10:11], 2, v15
	s_waitcnt lgkmcnt(0)
	v_fma_f64 v[10:11], v[10:11], v[23:24], 0
	s_and_saveexec_b64 s[14:15], s[10:11]
	s_cbranch_execz .LBB26_168
; %bb.167:
	v_lshlrev_b32_e32 v23, 3, v0
	v_mov_b32_e32 v25, 0
	ds_read_b64 v[23:24], v23 offset:28576
	ds_read_b64 v[25:26], v25 offset:28600
	s_waitcnt lgkmcnt(0)
	v_fma_f64 v[10:11], v[23:24], v[25:26], v[10:11]
.LBB26_168:
	s_or_b64 exec, exec, s[14:15]
.LBB26_169:
	s_or_b64 exec, exec, s[0:1]
	s_and_saveexec_b64 s[0:1], s[30:31]
; %bb.170:
	v_xor_b32_e32 v24, 0x80000000, v11
	v_mov_b32_e32 v23, v10
	ds_write_b64 v14, v[23:24]
; %bb.171:
	s_or_b64 exec, exec, s[0:1]
	s_waitcnt lgkmcnt(0)
	s_barrier
	s_and_saveexec_b64 s[0:1], s[28:29]
	s_cbranch_execz .LBB26_173
; %bb.172:
	v_mov_b32_e32 v23, 0
	ds_read_b64 v[23:24], v23 offset:27552
	ds_read_b64 v[25:26], v14
	s_waitcnt lgkmcnt(0)
	v_fma_f64 v[10:11], -v[23:24], v[25:26], v[10:11]
.LBB26_173:
	s_or_b64 exec, exec, s[0:1]
	s_barrier
	s_and_saveexec_b64 s[0:1], s[28:29]
; %bb.174:
	v_xor_b32_e32 v24, 0x80000000, v11
	v_mov_b32_e32 v23, v10
	ds_write_b64 v14, v[23:24]
; %bb.175:
	s_or_b64 exec, exec, s[0:1]
	s_waitcnt lgkmcnt(0)
	s_barrier
	s_barrier
	s_and_saveexec_b64 s[0:1], s[2:3]
; %bb.176:
	v_lshlrev_b32_e32 v23, 3, v12
	v_lshl_or_b32 v23, v13, 9, v23
	ds_write_b64 v23, v[10:11] offset:28064
; %bb.177:
	s_or_b64 exec, exec, s[0:1]
	s_waitcnt lgkmcnt(0)
	s_barrier
	s_barrier
	s_and_saveexec_b64 s[0:1], s[34:35]
	s_cbranch_execz .LBB26_179
; %bb.178:
	v_lshlrev_b32_e32 v23, 3, v0
	s_movk_i32 s10, 0x1f8
	v_mad_u32_u24 v24, v0, s10, v23
	ds_read_b64 v[10:11], v24 offset:28064
	s_waitcnt lgkmcnt(0)
	ds_write_b64 v23, v[10:11] offset:27056
	ds_read_b64 v[10:11], v24 offset:28072
	s_waitcnt lgkmcnt(0)
	ds_write_b64 v23, v[10:11] offset:27568
.LBB26_179:
	s_or_b64 exec, exec, s[0:1]
	s_waitcnt lgkmcnt(0)
	s_barrier
	s_and_saveexec_b64 s[0:1], vcc
	s_cbranch_execz .LBB26_181
; %bb.180:
	v_mov_b32_e32 v23, 0
	ds_read_b64 v[25:26], v23 offset:27552
	v_mov_b32_e32 v24, 0x3ff00000
	ds_write_b64 v23, v[23:24] offset:27560
	s_waitcnt lgkmcnt(1)
	ds_write_b128 v23, v[23:26] offset:27040
.LBB26_181:
	s_or_b64 exec, exec, s[0:1]
	v_mov_b32_e32 v10, 0
	v_mov_b32_e32 v11, 0
	s_waitcnt lgkmcnt(0)
	s_barrier
	buffer_wbinvl1_vol
	s_and_saveexec_b64 s[0:1], s[18:19]
	s_cbranch_execz .LBB26_187
; %bb.182:
	v_lshlrev_b32_e32 v24, 3, v16
	v_lshlrev_b32_e32 v23, 9, v17
	ds_read_b64 v[10:11], v24 offset:27008
	ds_read_b64 v[25:26], v23 offset:27040
	v_cmp_gt_u32_e64 s[10:11], 12, v15
	s_waitcnt lgkmcnt(0)
	v_fma_f64 v[10:11], v[10:11], v[25:26], 0
	s_and_saveexec_b64 s[14:15], s[10:11]
	s_cbranch_execnz .LBB26_1180
; %bb.183:
	s_or_b64 exec, exec, s[14:15]
	v_cmp_gt_u32_e64 s[10:11], 8, v15
	s_and_saveexec_b64 s[14:15], s[10:11]
	s_cbranch_execnz .LBB26_1181
.LBB26_184:
	s_or_b64 exec, exec, s[14:15]
	v_cmp_gt_u32_e64 s[10:11], 4, v15
	s_and_saveexec_b64 s[14:15], s[10:11]
	s_cbranch_execz .LBB26_186
.LBB26_185:
	v_lshlrev_b32_e32 v23, 3, v0
	v_mov_b32_e32 v25, 0
	ds_read_b64 v[23:24], v23 offset:28544
	ds_read_b64 v[25:26], v25 offset:28600
	s_waitcnt lgkmcnt(0)
	v_fma_f64 v[10:11], v[23:24], v[25:26], v[10:11]
.LBB26_186:
	s_or_b64 exec, exec, s[14:15]
.LBB26_187:
	s_or_b64 exec, exec, s[0:1]
	s_and_saveexec_b64 s[0:1], s[38:39]
; %bb.188:
	v_xor_b32_e32 v24, 0x80000000, v11
	v_mov_b32_e32 v23, v10
	ds_write_b64 v19, v[23:24]
; %bb.189:
	s_or_b64 exec, exec, s[0:1]
	s_waitcnt lgkmcnt(0)
	s_barrier
	s_and_saveexec_b64 s[0:1], s[42:43]
	s_cbranch_execz .LBB26_191
; %bb.190:
	v_lshlrev_b32_e32 v23, 3, v16
	ds_read_b64 v[23:24], v23 offset:26496
	ds_read_b64 v[25:26], v19
	s_waitcnt lgkmcnt(0)
	v_fma_f64 v[10:11], -v[23:24], v[25:26], v[10:11]
.LBB26_191:
	s_or_b64 exec, exec, s[0:1]
	s_barrier
	s_and_saveexec_b64 s[0:1], s[44:45]
; %bb.192:
	v_xor_b32_e32 v24, 0x80000000, v11
	v_mov_b32_e32 v23, v10
	ds_write_b64 v19, v[23:24]
; %bb.193:
	s_or_b64 exec, exec, s[0:1]
	s_waitcnt lgkmcnt(0)
	s_barrier
	s_and_saveexec_b64 s[0:1], s[52:53]
	s_cbranch_execz .LBB26_195
; %bb.194:
	v_lshlrev_b32_e32 v23, 3, v16
	ds_read_b64 v[23:24], v23 offset:25984
	ds_read_b64 v[25:26], v19
	s_waitcnt lgkmcnt(0)
	v_fma_f64 v[10:11], -v[23:24], v[25:26], v[10:11]
.LBB26_195:
	s_or_b64 exec, exec, s[0:1]
	s_barrier
	s_and_saveexec_b64 s[0:1], s[54:55]
; %bb.196:
	v_xor_b32_e32 v24, 0x80000000, v11
	v_mov_b32_e32 v23, v10
	ds_write_b64 v19, v[23:24]
; %bb.197:
	s_or_b64 exec, exec, s[0:1]
	s_waitcnt lgkmcnt(0)
	s_barrier
	s_and_saveexec_b64 s[0:1], s[36:37]
	s_cbranch_execz .LBB26_199
; %bb.198:
	v_mov_b32_e32 v23, 0
	ds_read_b64 v[23:24], v23 offset:25472
	ds_read_b64 v[25:26], v19
	s_waitcnt lgkmcnt(0)
	v_fma_f64 v[10:11], -v[23:24], v[25:26], v[10:11]
.LBB26_199:
	s_or_b64 exec, exec, s[0:1]
	s_barrier
	s_and_saveexec_b64 s[0:1], s[36:37]
; %bb.200:
	v_xor_b32_e32 v24, 0x80000000, v11
	v_mov_b32_e32 v23, v10
	ds_write_b64 v19, v[23:24]
; %bb.201:
	s_or_b64 exec, exec, s[0:1]
	s_waitcnt lgkmcnt(0)
	s_barrier
	s_barrier
	s_and_saveexec_b64 s[0:1], s[18:19]
; %bb.202:
	v_lshlrev_b32_e32 v23, 3, v16
	v_lshl_or_b32 v23, v17, 9, v23
	ds_write_b64 v23, v[10:11] offset:27008
; %bb.203:
	s_or_b64 exec, exec, s[0:1]
	s_waitcnt lgkmcnt(0)
	s_barrier
	s_barrier
	s_and_saveexec_b64 s[0:1], s[56:57]
	s_cbranch_execz .LBB26_205
; %bb.204:
	v_lshlrev_b32_e32 v23, 9, v0
	ds_read_b64 v[10:11], v23 offset:27008
	s_movk_i32 s10, 0xfe08
	v_mad_i32_i24 v24, v0, s10, v23
	s_waitcnt lgkmcnt(0)
	ds_write_b64 v24, v[10:11] offset:24992
	ds_read_b64 v[10:11], v23 offset:27016
	s_waitcnt lgkmcnt(0)
	ds_write_b64 v24, v[10:11] offset:25504
	ds_read_b64 v[10:11], v23 offset:27024
	;; [unrolled: 3-line block ×3, first 2 shown]
	s_waitcnt lgkmcnt(0)
	ds_write_b64 v24, v[10:11] offset:26528
.LBB26_205:
	s_or_b64 exec, exec, s[0:1]
	s_waitcnt lgkmcnt(0)
	s_barrier
	s_and_saveexec_b64 s[0:1], vcc
	s_cbranch_execz .LBB26_207
; %bb.206:
	v_mov_b32_e32 v23, 0
	ds_read_b64 v[25:26], v23 offset:26512
	v_mov_b32_e32 v24, 0x3ff00000
	ds_write_b64 v23, v[23:24] offset:26520
	s_waitcnt lgkmcnt(1)
	ds_write_b128 v23, v[23:26] offset:26000
.LBB26_207:
	s_or_b64 exec, exec, s[0:1]
	v_mov_b32_e32 v10, 0
	v_mov_b32_e32 v11, 0
	s_waitcnt lgkmcnt(0)
	s_barrier
	buffer_wbinvl1_vol
	s_and_saveexec_b64 s[0:1], s[2:3]
	s_cbranch_execz .LBB26_211
; %bb.208:
	v_lshlrev_b32_e32 v23, 9, v13
	v_lshlrev_b32_e32 v10, 3, v12
	ds_read_b64 v[10:11], v10 offset:25984
	ds_read_b64 v[23:24], v23 offset:26000
	v_cmp_gt_u32_e64 s[10:11], 2, v15
	s_waitcnt lgkmcnt(0)
	v_fma_f64 v[10:11], v[10:11], v[23:24], 0
	s_and_saveexec_b64 s[14:15], s[10:11]
	s_cbranch_execz .LBB26_210
; %bb.209:
	v_lshlrev_b32_e32 v23, 3, v0
	v_mov_b32_e32 v25, 0
	ds_read_b64 v[23:24], v23 offset:26496
	ds_read_b64 v[25:26], v25 offset:26520
	s_waitcnt lgkmcnt(0)
	v_fma_f64 v[10:11], v[23:24], v[25:26], v[10:11]
.LBB26_210:
	s_or_b64 exec, exec, s[14:15]
.LBB26_211:
	s_or_b64 exec, exec, s[0:1]
	s_and_saveexec_b64 s[0:1], s[30:31]
; %bb.212:
	v_xor_b32_e32 v24, 0x80000000, v11
	v_mov_b32_e32 v23, v10
	ds_write_b64 v14, v[23:24]
; %bb.213:
	s_or_b64 exec, exec, s[0:1]
	s_waitcnt lgkmcnt(0)
	s_barrier
	s_and_saveexec_b64 s[0:1], s[28:29]
	s_cbranch_execz .LBB26_215
; %bb.214:
	v_mov_b32_e32 v23, 0
	ds_read_b64 v[23:24], v23 offset:25472
	ds_read_b64 v[25:26], v14
	s_waitcnt lgkmcnt(0)
	v_fma_f64 v[10:11], -v[23:24], v[25:26], v[10:11]
.LBB26_215:
	s_or_b64 exec, exec, s[0:1]
	s_barrier
	s_and_saveexec_b64 s[0:1], s[28:29]
; %bb.216:
	v_xor_b32_e32 v24, 0x80000000, v11
	v_mov_b32_e32 v23, v10
	ds_write_b64 v14, v[23:24]
; %bb.217:
	s_or_b64 exec, exec, s[0:1]
	s_waitcnt lgkmcnt(0)
	s_barrier
	s_barrier
	s_and_saveexec_b64 s[0:1], s[2:3]
; %bb.218:
	v_lshlrev_b32_e32 v23, 3, v12
	v_lshl_or_b32 v23, v13, 9, v23
	ds_write_b64 v23, v[10:11] offset:25984
; %bb.219:
	s_or_b64 exec, exec, s[0:1]
	s_waitcnt lgkmcnt(0)
	s_barrier
	s_barrier
	s_and_saveexec_b64 s[0:1], s[34:35]
	s_cbranch_execz .LBB26_221
; %bb.220:
	v_lshlrev_b32_e32 v23, 3, v0
	s_movk_i32 s10, 0x1f8
	v_mad_u32_u24 v24, v0, s10, v23
	ds_read_b64 v[10:11], v24 offset:25984
	s_waitcnt lgkmcnt(0)
	ds_write_b64 v23, v[10:11] offset:24976
	ds_read_b64 v[10:11], v24 offset:25992
	s_waitcnt lgkmcnt(0)
	ds_write_b64 v23, v[10:11] offset:25488
.LBB26_221:
	s_or_b64 exec, exec, s[0:1]
	s_waitcnt lgkmcnt(0)
	s_barrier
	s_and_saveexec_b64 s[0:1], vcc
	s_cbranch_execz .LBB26_223
; %bb.222:
	v_mov_b32_e32 v23, 0
	ds_read_b64 v[25:26], v23 offset:25472
	v_mov_b32_e32 v24, 0x3ff00000
	ds_write_b64 v23, v[23:24] offset:25480
	s_waitcnt lgkmcnt(1)
	ds_write_b128 v23, v[23:26] offset:24960
.LBB26_223:
	s_or_b64 exec, exec, s[0:1]
	s_movk_i32 s0, 0xff
	v_lshrrev_b32_e32 v25, 4, v15
	v_cmp_lt_u32_e64 s[14:15], s0, v15
	s_movk_i32 s0, 0x100
	v_mov_b32_e32 v10, 0
	v_and_b32_e32 v23, 15, v0
	v_sub_u32_e32 v24, 15, v25
	v_mov_b32_e32 v11, 0
	v_cmp_gt_u32_e64 s[10:11], s0, v15
	s_waitcnt lgkmcnt(0)
	s_barrier
	buffer_wbinvl1_vol
	s_and_saveexec_b64 s[0:1], s[10:11]
	s_cbranch_execz .LBB26_251
; %bb.224:
	v_lshlrev_b32_e32 v27, 3, v23
	v_lshlrev_b32_e32 v26, 9, v24
	ds_read_b64 v[10:11], v27 offset:24832
	ds_read_b64 v[28:29], v26 offset:24960
	s_movk_i32 s16, 0xf0
	v_cmp_gt_u32_e64 s[16:17], s16, v15
	s_waitcnt lgkmcnt(0)
	v_fma_f64 v[10:11], v[10:11], v[28:29], 0
	s_and_saveexec_b64 s[20:21], s[16:17]
	s_cbranch_execz .LBB26_226
; %bb.225:
	ds_read_b64 v[28:29], v27 offset:25344
	ds_read_b64 v[30:31], v26 offset:24968
	s_waitcnt lgkmcnt(0)
	v_fma_f64 v[10:11], v[28:29], v[30:31], v[10:11]
.LBB26_226:
	s_or_b64 exec, exec, s[20:21]
	s_movk_i32 s16, 0xe0
	v_cmp_gt_u32_e64 s[16:17], s16, v15
	s_and_saveexec_b64 s[20:21], s[16:17]
	s_cbranch_execz .LBB26_228
; %bb.227:
	ds_read_b64 v[28:29], v27 offset:25856
	ds_read_b64 v[30:31], v26 offset:24976
	s_waitcnt lgkmcnt(0)
	v_fma_f64 v[10:11], v[28:29], v[30:31], v[10:11]
.LBB26_228:
	s_or_b64 exec, exec, s[20:21]
	s_movk_i32 s16, 0xd0
	v_cmp_gt_u32_e64 s[16:17], s16, v15
	;; [unrolled: 11-line block ×10, first 2 shown]
	s_and_saveexec_b64 s[20:21], s[16:17]
	s_cbranch_execnz .LBB26_1182
; %bb.245:
	s_or_b64 exec, exec, s[20:21]
	s_and_saveexec_b64 s[16:17], s[8:9]
	s_cbranch_execnz .LBB26_1183
.LBB26_246:
	s_or_b64 exec, exec, s[16:17]
	v_cmp_gt_u32_e64 s[16:17], 48, v15
	s_and_saveexec_b64 s[20:21], s[16:17]
	s_cbranch_execnz .LBB26_1184
.LBB26_247:
	s_or_b64 exec, exec, s[20:21]
	v_cmp_gt_u32_e64 s[16:17], 32, v15
	s_and_saveexec_b64 s[20:21], s[16:17]
	s_cbranch_execnz .LBB26_1185
.LBB26_248:
	s_or_b64 exec, exec, s[20:21]
	v_cmp_gt_u32_e64 s[16:17], 16, v15
	s_and_saveexec_b64 s[20:21], s[16:17]
	s_cbranch_execz .LBB26_250
.LBB26_249:
	v_lshlrev_b32_e32 v26, 3, v0
	v_mov_b32_e32 v28, 0
	ds_read_b64 v[26:27], v26 offset:32512
	ds_read_b64 v[28:29], v28 offset:32760
	s_waitcnt lgkmcnt(0)
	v_fma_f64 v[10:11], v[26:27], v[28:29], v[10:11]
.LBB26_250:
	s_or_b64 exec, exec, s[20:21]
.LBB26_251:
	s_or_b64 exec, exec, s[0:1]
	v_mov_b32_e32 v26, 0x8000
	v_lshl_add_u32 v25, v25, 3, v26
	v_cmp_eq_u32_e64 s[16:17], 15, v23
	s_xor_b64 s[20:21], s[14:15], -1
	s_and_b64 s[14:15], s[16:17], s[20:21]
	s_mov_b64 s[0:1], exec
	v_writelane_b32 v35, s14, 4
	v_writelane_b32 v35, s15, 5
	s_and_b64 s[14:15], s[0:1], s[14:15]
	s_mov_b64 exec, s[14:15]
; %bb.252:
	v_xor_b32_e32 v27, 0x80000000, v11
	v_mov_b32_e32 v26, v10
	ds_write_b64 v25, v[26:27]
; %bb.253:
	s_or_b64 exec, exec, s[0:1]
	v_cmp_ne_u32_e64 s[14:15], 15, v23
	s_waitcnt lgkmcnt(0)
	s_barrier
	s_and_b64 s[14:15], s[14:15], s[20:21]
	s_mov_b64 s[0:1], exec
	v_writelane_b32 v35, s14, 6
	v_writelane_b32 v35, s15, 7
	s_and_b64 s[14:15], s[0:1], s[14:15]
	s_mov_b64 exec, s[14:15]
	s_cbranch_execz .LBB26_255
; %bb.254:
	v_lshlrev_b32_e32 v26, 3, v23
	ds_read_b64 v[26:27], v26 offset:24320
	ds_read_b64 v[28:29], v25
	s_waitcnt lgkmcnt(0)
	v_fma_f64 v[10:11], -v[26:27], v[28:29], v[10:11]
.LBB26_255:
	s_or_b64 exec, exec, s[0:1]
	v_cmp_eq_u32_e64 s[14:15], 14, v23
	s_barrier
	s_and_b64 s[14:15], s[14:15], s[20:21]
	s_mov_b64 s[0:1], exec
	v_writelane_b32 v35, s14, 8
	v_writelane_b32 v35, s15, 9
	s_and_b64 s[14:15], s[0:1], s[14:15]
	s_mov_b64 exec, s[14:15]
; %bb.256:
	v_xor_b32_e32 v27, 0x80000000, v11
	v_mov_b32_e32 v26, v10
	ds_write_b64 v25, v[26:27]
; %bb.257:
	s_or_b64 exec, exec, s[0:1]
	v_cmp_gt_u32_e64 s[14:15], 14, v23
	s_waitcnt lgkmcnt(0)
	s_barrier
	s_and_b64 s[14:15], s[14:15], s[20:21]
	s_mov_b64 s[0:1], exec
	v_writelane_b32 v35, s14, 10
	v_writelane_b32 v35, s15, 11
	s_and_b64 s[14:15], s[0:1], s[14:15]
	s_mov_b64 exec, s[14:15]
	s_cbranch_execz .LBB26_259
; %bb.258:
	v_lshlrev_b32_e32 v26, 3, v23
	ds_read_b64 v[26:27], v26 offset:23808
	ds_read_b64 v[28:29], v25
	s_waitcnt lgkmcnt(0)
	v_fma_f64 v[10:11], -v[26:27], v[28:29], v[10:11]
.LBB26_259:
	s_or_b64 exec, exec, s[0:1]
	v_cmp_eq_u32_e64 s[14:15], 13, v23
	s_barrier
	s_and_b64 s[14:15], s[14:15], s[20:21]
	s_mov_b64 s[0:1], exec
	v_writelane_b32 v35, s14, 12
	v_writelane_b32 v35, s15, 13
	s_and_b64 s[14:15], s[0:1], s[14:15]
	s_mov_b64 exec, s[14:15]
; %bb.260:
	v_xor_b32_e32 v27, 0x80000000, v11
	v_mov_b32_e32 v26, v10
	ds_write_b64 v25, v[26:27]
; %bb.261:
	s_or_b64 exec, exec, s[0:1]
	v_cmp_gt_u32_e64 s[14:15], 13, v23
	;; [unrolled: 32-line block ×13, first 2 shown]
	s_and_b64 s[0:1], s[14:15], s[20:21]
	s_waitcnt lgkmcnt(0)
	s_barrier
	s_and_saveexec_b64 s[14:15], s[0:1]
	s_cbranch_execz .LBB26_307
; %bb.306:
	v_lshlrev_b32_e32 v26, 3, v23
	ds_read_b64 v[26:27], v26 offset:17664
	ds_read_b64 v[28:29], v25
	s_waitcnt lgkmcnt(0)
	v_fma_f64 v[10:11], -v[26:27], v[28:29], v[10:11]
.LBB26_307:
	s_or_b64 exec, exec, s[14:15]
	v_cmp_eq_u32_e64 s[14:15], 1, v23
	s_barrier
	s_and_b64 s[16:17], s[14:15], s[20:21]
	s_mov_b64 s[14:15], exec
	v_writelane_b32 v35, s16, 58
	v_writelane_b32 v35, s17, 59
	s_and_b64 s[16:17], s[14:15], s[16:17]
	s_mov_b64 exec, s[16:17]
; %bb.308:
	v_xor_b32_e32 v27, 0x80000000, v11
	v_mov_b32_e32 v26, v10
	ds_write_b64 v25, v[26:27]
; %bb.309:
	s_or_b64 exec, exec, s[14:15]
	v_cmp_eq_u32_e64 s[14:15], 0, v23
	s_and_b64 s[94:95], s[14:15], s[20:21]
	s_waitcnt lgkmcnt(0)
	s_barrier
	s_and_saveexec_b64 s[14:15], s[94:95]
	s_cbranch_execz .LBB26_311
; %bb.310:
	v_mov_b32_e32 v26, 0
	ds_read_b64 v[26:27], v26 offset:17152
	ds_read_b64 v[28:29], v25
	s_waitcnt lgkmcnt(0)
	v_fma_f64 v[10:11], -v[26:27], v[28:29], v[10:11]
.LBB26_311:
	s_or_b64 exec, exec, s[14:15]
	s_barrier
	s_and_saveexec_b64 s[14:15], s[94:95]
; %bb.312:
	v_xor_b32_e32 v27, 0x80000000, v11
	v_mov_b32_e32 v26, v10
	ds_write_b64 v25, v[26:27]
; %bb.313:
	s_or_b64 exec, exec, s[14:15]
	s_waitcnt lgkmcnt(0)
	s_barrier
	s_barrier
	s_and_saveexec_b64 s[14:15], s[10:11]
; %bb.314:
	v_lshlrev_b32_e32 v26, 3, v23
	v_lshl_or_b32 v26, v24, 9, v26
	ds_write_b64 v26, v[10:11] offset:24832
; %bb.315:
	s_or_b64 exec, exec, s[14:15]
	v_cmp_gt_u32_e64 s[14:15], 16, v0
	s_and_b64 s[90:91], s[12:13], s[14:15]
	s_waitcnt lgkmcnt(0)
	s_barrier
	s_barrier
	s_and_saveexec_b64 s[14:15], s[90:91]
	s_cbranch_execz .LBB26_317
; %bb.316:
	v_lshlrev_b32_e32 v26, 9, v0
	ds_read_b64 v[10:11], v26 offset:24832
	s_movk_i32 s16, 0xfe08
	v_mad_i32_i24 v27, v0, s16, v26
	s_waitcnt lgkmcnt(0)
	ds_write_b64 v27, v[10:11] offset:16768
	ds_read_b64 v[10:11], v26 offset:24840
	s_waitcnt lgkmcnt(0)
	ds_write_b64 v27, v[10:11] offset:17280
	ds_read_b64 v[10:11], v26 offset:24848
	;; [unrolled: 3-line block ×15, first 2 shown]
	s_waitcnt lgkmcnt(0)
	ds_write_b64 v27, v[10:11] offset:24448
.LBB26_317:
	s_or_b64 exec, exec, s[14:15]
	s_waitcnt lgkmcnt(0)
	s_barrier
	s_and_saveexec_b64 s[14:15], vcc
	s_cbranch_execz .LBB26_319
; %bb.318:
	v_mov_b32_e32 v26, 0
	ds_read_b64 v[28:29], v26 offset:24432
	v_mov_b32_e32 v27, 0x3ff00000
	ds_write_b64 v26, v[26:27] offset:24440
	s_waitcnt lgkmcnt(1)
	ds_write_b128 v26, v[26:29] offset:23920
.LBB26_319:
	s_or_b64 exec, exec, s[14:15]
	v_mov_b32_e32 v10, 0
	v_mov_b32_e32 v11, 0
	s_waitcnt lgkmcnt(0)
	s_barrier
	buffer_wbinvl1_vol
	s_and_saveexec_b64 s[16:17], s[2:3]
	s_cbranch_execz .LBB26_323
; %bb.320:
	v_lshlrev_b32_e32 v26, 9, v13
	v_lshlrev_b32_e32 v10, 3, v12
	ds_read_b64 v[10:11], v10 offset:23904
	ds_read_b64 v[26:27], v26 offset:23920
	v_cmp_gt_u32_e64 s[14:15], 2, v15
	s_waitcnt lgkmcnt(0)
	v_fma_f64 v[10:11], v[10:11], v[26:27], 0
	s_and_saveexec_b64 s[20:21], s[14:15]
	s_cbranch_execz .LBB26_322
; %bb.321:
	v_lshlrev_b32_e32 v26, 3, v0
	v_mov_b32_e32 v28, 0
	ds_read_b64 v[26:27], v26 offset:24416
	ds_read_b64 v[28:29], v28 offset:24440
	s_waitcnt lgkmcnt(0)
	v_fma_f64 v[10:11], v[26:27], v[28:29], v[10:11]
.LBB26_322:
	s_or_b64 exec, exec, s[20:21]
.LBB26_323:
	s_or_b64 exec, exec, s[16:17]
	s_and_saveexec_b64 s[14:15], s[30:31]
; %bb.324:
	v_xor_b32_e32 v27, 0x80000000, v11
	v_mov_b32_e32 v26, v10
	ds_write_b64 v14, v[26:27]
; %bb.325:
	s_or_b64 exec, exec, s[14:15]
	s_waitcnt lgkmcnt(0)
	s_barrier
	s_and_saveexec_b64 s[14:15], s[28:29]
	s_cbranch_execz .LBB26_327
; %bb.326:
	v_mov_b32_e32 v26, 0
	ds_read_b64 v[26:27], v26 offset:23392
	ds_read_b64 v[28:29], v14
	s_waitcnt lgkmcnt(0)
	v_fma_f64 v[10:11], -v[26:27], v[28:29], v[10:11]
.LBB26_327:
	s_or_b64 exec, exec, s[14:15]
	s_barrier
	s_and_saveexec_b64 s[14:15], s[28:29]
; %bb.328:
	v_xor_b32_e32 v27, 0x80000000, v11
	v_mov_b32_e32 v26, v10
	ds_write_b64 v14, v[26:27]
; %bb.329:
	s_or_b64 exec, exec, s[14:15]
	s_waitcnt lgkmcnt(0)
	s_barrier
	s_barrier
	s_and_saveexec_b64 s[14:15], s[2:3]
; %bb.330:
	v_lshlrev_b32_e32 v26, 3, v12
	v_lshl_or_b32 v26, v13, 9, v26
	ds_write_b64 v26, v[10:11] offset:23904
; %bb.331:
	s_or_b64 exec, exec, s[14:15]
	s_waitcnt lgkmcnt(0)
	s_barrier
	s_barrier
	s_and_saveexec_b64 s[14:15], s[34:35]
	s_cbranch_execz .LBB26_333
; %bb.332:
	v_lshlrev_b32_e32 v26, 3, v0
	s_movk_i32 s16, 0x1f8
	v_mad_u32_u24 v27, v0, s16, v26
	ds_read_b64 v[10:11], v27 offset:23904
	s_waitcnt lgkmcnt(0)
	ds_write_b64 v26, v[10:11] offset:22896
	ds_read_b64 v[10:11], v27 offset:23912
	s_waitcnt lgkmcnt(0)
	ds_write_b64 v26, v[10:11] offset:23408
.LBB26_333:
	s_or_b64 exec, exec, s[14:15]
	s_waitcnt lgkmcnt(0)
	s_barrier
	s_and_saveexec_b64 s[14:15], vcc
	s_cbranch_execz .LBB26_335
; %bb.334:
	v_mov_b32_e32 v26, 0
	ds_read_b64 v[28:29], v26 offset:23392
	v_mov_b32_e32 v27, 0x3ff00000
	ds_write_b64 v26, v[26:27] offset:23400
	s_waitcnt lgkmcnt(1)
	ds_write_b128 v26, v[26:29] offset:22880
.LBB26_335:
	s_or_b64 exec, exec, s[14:15]
	v_mov_b32_e32 v10, 0
	v_mov_b32_e32 v11, 0
	s_waitcnt lgkmcnt(0)
	s_barrier
	buffer_wbinvl1_vol
	s_and_saveexec_b64 s[16:17], s[18:19]
	s_cbranch_execz .LBB26_341
; %bb.336:
	v_lshlrev_b32_e32 v27, 3, v16
	v_lshlrev_b32_e32 v26, 9, v17
	ds_read_b64 v[10:11], v27 offset:22848
	ds_read_b64 v[28:29], v26 offset:22880
	v_cmp_gt_u32_e64 s[14:15], 12, v15
	s_waitcnt lgkmcnt(0)
	v_fma_f64 v[10:11], v[10:11], v[28:29], 0
	s_and_saveexec_b64 s[20:21], s[14:15]
	s_cbranch_execnz .LBB26_1186
; %bb.337:
	s_or_b64 exec, exec, s[20:21]
	v_cmp_gt_u32_e64 s[14:15], 8, v15
	s_and_saveexec_b64 s[20:21], s[14:15]
	s_cbranch_execnz .LBB26_1187
.LBB26_338:
	s_or_b64 exec, exec, s[20:21]
	v_cmp_gt_u32_e64 s[14:15], 4, v15
	s_and_saveexec_b64 s[20:21], s[14:15]
	s_cbranch_execz .LBB26_340
.LBB26_339:
	v_lshlrev_b32_e32 v26, 3, v0
	v_mov_b32_e32 v28, 0
	ds_read_b64 v[26:27], v26 offset:24384
	ds_read_b64 v[28:29], v28 offset:24440
	s_waitcnt lgkmcnt(0)
	v_fma_f64 v[10:11], v[26:27], v[28:29], v[10:11]
.LBB26_340:
	s_or_b64 exec, exec, s[20:21]
.LBB26_341:
	s_or_b64 exec, exec, s[16:17]
	s_and_saveexec_b64 s[14:15], s[38:39]
; %bb.342:
	v_xor_b32_e32 v27, 0x80000000, v11
	v_mov_b32_e32 v26, v10
	ds_write_b64 v19, v[26:27]
; %bb.343:
	s_or_b64 exec, exec, s[14:15]
	s_waitcnt lgkmcnt(0)
	s_barrier
	s_and_saveexec_b64 s[14:15], s[42:43]
	s_cbranch_execz .LBB26_345
; %bb.344:
	v_lshlrev_b32_e32 v26, 3, v16
	ds_read_b64 v[26:27], v26 offset:22336
	ds_read_b64 v[28:29], v19
	s_waitcnt lgkmcnt(0)
	v_fma_f64 v[10:11], -v[26:27], v[28:29], v[10:11]
.LBB26_345:
	s_or_b64 exec, exec, s[14:15]
	s_barrier
	s_and_saveexec_b64 s[14:15], s[44:45]
; %bb.346:
	v_xor_b32_e32 v27, 0x80000000, v11
	v_mov_b32_e32 v26, v10
	ds_write_b64 v19, v[26:27]
; %bb.347:
	s_or_b64 exec, exec, s[14:15]
	s_waitcnt lgkmcnt(0)
	s_barrier
	s_and_saveexec_b64 s[14:15], s[52:53]
	s_cbranch_execz .LBB26_349
; %bb.348:
	v_lshlrev_b32_e32 v26, 3, v16
	ds_read_b64 v[26:27], v26 offset:21824
	ds_read_b64 v[28:29], v19
	s_waitcnt lgkmcnt(0)
	v_fma_f64 v[10:11], -v[26:27], v[28:29], v[10:11]
.LBB26_349:
	s_or_b64 exec, exec, s[14:15]
	s_barrier
	s_and_saveexec_b64 s[14:15], s[54:55]
; %bb.350:
	v_xor_b32_e32 v27, 0x80000000, v11
	v_mov_b32_e32 v26, v10
	ds_write_b64 v19, v[26:27]
; %bb.351:
	s_or_b64 exec, exec, s[14:15]
	s_waitcnt lgkmcnt(0)
	s_barrier
	s_and_saveexec_b64 s[14:15], s[36:37]
	s_cbranch_execz .LBB26_353
; %bb.352:
	v_mov_b32_e32 v26, 0
	ds_read_b64 v[26:27], v26 offset:21312
	ds_read_b64 v[28:29], v19
	s_waitcnt lgkmcnt(0)
	v_fma_f64 v[10:11], -v[26:27], v[28:29], v[10:11]
.LBB26_353:
	s_or_b64 exec, exec, s[14:15]
	s_barrier
	s_and_saveexec_b64 s[14:15], s[36:37]
; %bb.354:
	v_xor_b32_e32 v27, 0x80000000, v11
	v_mov_b32_e32 v26, v10
	ds_write_b64 v19, v[26:27]
; %bb.355:
	s_or_b64 exec, exec, s[14:15]
	s_waitcnt lgkmcnt(0)
	s_barrier
	s_barrier
	s_and_saveexec_b64 s[14:15], s[18:19]
; %bb.356:
	v_lshlrev_b32_e32 v26, 3, v16
	v_lshl_or_b32 v26, v17, 9, v26
	ds_write_b64 v26, v[10:11] offset:22848
; %bb.357:
	s_or_b64 exec, exec, s[14:15]
	s_waitcnt lgkmcnt(0)
	s_barrier
	s_barrier
	s_and_saveexec_b64 s[14:15], s[56:57]
	s_cbranch_execz .LBB26_359
; %bb.358:
	v_lshlrev_b32_e32 v26, 9, v0
	ds_read_b64 v[10:11], v26 offset:22848
	s_movk_i32 s16, 0xfe08
	v_mad_i32_i24 v27, v0, s16, v26
	s_waitcnt lgkmcnt(0)
	ds_write_b64 v27, v[10:11] offset:20832
	ds_read_b64 v[10:11], v26 offset:22856
	s_waitcnt lgkmcnt(0)
	ds_write_b64 v27, v[10:11] offset:21344
	ds_read_b64 v[10:11], v26 offset:22864
	;; [unrolled: 3-line block ×3, first 2 shown]
	s_waitcnt lgkmcnt(0)
	ds_write_b64 v27, v[10:11] offset:22368
.LBB26_359:
	s_or_b64 exec, exec, s[14:15]
	s_waitcnt lgkmcnt(0)
	s_barrier
	s_and_saveexec_b64 s[14:15], vcc
	s_cbranch_execz .LBB26_361
; %bb.360:
	v_mov_b32_e32 v26, 0
	ds_read_b64 v[28:29], v26 offset:22352
	v_mov_b32_e32 v27, 0x3ff00000
	ds_write_b64 v26, v[26:27] offset:22360
	s_waitcnt lgkmcnt(1)
	ds_write_b128 v26, v[26:29] offset:21840
.LBB26_361:
	s_or_b64 exec, exec, s[14:15]
	v_mov_b32_e32 v10, 0
	v_mov_b32_e32 v11, 0
	s_waitcnt lgkmcnt(0)
	s_barrier
	buffer_wbinvl1_vol
	s_and_saveexec_b64 s[16:17], s[2:3]
	s_cbranch_execz .LBB26_365
; %bb.362:
	v_lshlrev_b32_e32 v26, 9, v13
	v_lshlrev_b32_e32 v10, 3, v12
	ds_read_b64 v[10:11], v10 offset:21824
	ds_read_b64 v[26:27], v26 offset:21840
	v_cmp_gt_u32_e64 s[14:15], 2, v15
	s_waitcnt lgkmcnt(0)
	v_fma_f64 v[10:11], v[10:11], v[26:27], 0
	s_and_saveexec_b64 s[20:21], s[14:15]
	s_cbranch_execz .LBB26_364
; %bb.363:
	v_lshlrev_b32_e32 v26, 3, v0
	v_mov_b32_e32 v28, 0
	ds_read_b64 v[26:27], v26 offset:22336
	ds_read_b64 v[28:29], v28 offset:22360
	s_waitcnt lgkmcnt(0)
	v_fma_f64 v[10:11], v[26:27], v[28:29], v[10:11]
.LBB26_364:
	s_or_b64 exec, exec, s[20:21]
.LBB26_365:
	s_or_b64 exec, exec, s[16:17]
	s_and_saveexec_b64 s[14:15], s[30:31]
; %bb.366:
	v_xor_b32_e32 v27, 0x80000000, v11
	v_mov_b32_e32 v26, v10
	ds_write_b64 v14, v[26:27]
; %bb.367:
	s_or_b64 exec, exec, s[14:15]
	s_waitcnt lgkmcnt(0)
	s_barrier
	s_and_saveexec_b64 s[14:15], s[28:29]
	s_cbranch_execz .LBB26_369
; %bb.368:
	v_mov_b32_e32 v26, 0
	ds_read_b64 v[26:27], v26 offset:21312
	ds_read_b64 v[28:29], v14
	s_waitcnt lgkmcnt(0)
	v_fma_f64 v[10:11], -v[26:27], v[28:29], v[10:11]
.LBB26_369:
	s_or_b64 exec, exec, s[14:15]
	s_barrier
	s_and_saveexec_b64 s[14:15], s[28:29]
; %bb.370:
	v_xor_b32_e32 v27, 0x80000000, v11
	v_mov_b32_e32 v26, v10
	ds_write_b64 v14, v[26:27]
; %bb.371:
	s_or_b64 exec, exec, s[14:15]
	s_waitcnt lgkmcnt(0)
	s_barrier
	s_barrier
	s_and_saveexec_b64 s[14:15], s[2:3]
; %bb.372:
	v_lshlrev_b32_e32 v26, 3, v12
	v_lshl_or_b32 v26, v13, 9, v26
	ds_write_b64 v26, v[10:11] offset:21824
; %bb.373:
	s_or_b64 exec, exec, s[14:15]
	s_waitcnt lgkmcnt(0)
	s_barrier
	s_barrier
	s_and_saveexec_b64 s[14:15], s[34:35]
	s_cbranch_execz .LBB26_375
; %bb.374:
	v_lshlrev_b32_e32 v26, 3, v0
	s_movk_i32 s16, 0x1f8
	v_mad_u32_u24 v27, v0, s16, v26
	ds_read_b64 v[10:11], v27 offset:21824
	s_waitcnt lgkmcnt(0)
	ds_write_b64 v26, v[10:11] offset:20816
	ds_read_b64 v[10:11], v27 offset:21832
	s_waitcnt lgkmcnt(0)
	ds_write_b64 v26, v[10:11] offset:21328
.LBB26_375:
	s_or_b64 exec, exec, s[14:15]
	s_waitcnt lgkmcnt(0)
	s_barrier
	s_and_saveexec_b64 s[14:15], vcc
	s_cbranch_execz .LBB26_377
; %bb.376:
	v_mov_b32_e32 v26, 0
	ds_read_b64 v[28:29], v26 offset:21312
	v_mov_b32_e32 v27, 0x3ff00000
	ds_write_b64 v26, v[26:27] offset:21320
	s_waitcnt lgkmcnt(1)
	ds_write_b128 v26, v[26:29] offset:20800
.LBB26_377:
	s_or_b64 exec, exec, s[14:15]
	v_mov_b32_e32 v10, 0
	v_mov_b32_e32 v11, 0
	s_waitcnt lgkmcnt(0)
	s_barrier
	buffer_wbinvl1_vol
	s_and_saveexec_b64 s[16:17], s[8:9]
	s_cbranch_execz .LBB26_387
; %bb.378:
	v_lshlrev_b32_e32 v27, 3, v20
	v_lshlrev_b32_e32 v26, 9, v21
	ds_read_b64 v[10:11], v27 offset:20736
	ds_read_b64 v[28:29], v26 offset:20800
	v_cmp_gt_u32_e64 s[14:15], 56, v15
	s_waitcnt lgkmcnt(0)
	v_fma_f64 v[10:11], v[10:11], v[28:29], 0
	s_and_saveexec_b64 s[20:21], s[14:15]
	s_cbranch_execnz .LBB26_1188
; %bb.379:
	s_or_b64 exec, exec, s[20:21]
	v_cmp_gt_u32_e64 s[14:15], 48, v15
	s_and_saveexec_b64 s[20:21], s[14:15]
	s_cbranch_execnz .LBB26_1189
.LBB26_380:
	s_or_b64 exec, exec, s[20:21]
	v_cmp_gt_u32_e64 s[14:15], 40, v15
	s_and_saveexec_b64 s[20:21], s[14:15]
	s_cbranch_execnz .LBB26_1190
.LBB26_381:
	s_or_b64 exec, exec, s[20:21]
	v_cmp_gt_u32_e64 s[14:15], 32, v15
	s_and_saveexec_b64 s[20:21], s[14:15]
	s_cbranch_execnz .LBB26_1191
.LBB26_382:
	s_or_b64 exec, exec, s[20:21]
	v_cmp_gt_u32_e64 s[14:15], 24, v15
	s_and_saveexec_b64 s[20:21], s[14:15]
	s_cbranch_execnz .LBB26_1192
.LBB26_383:
	s_or_b64 exec, exec, s[20:21]
	s_and_saveexec_b64 s[14:15], s[18:19]
	s_cbranch_execnz .LBB26_1193
.LBB26_384:
	s_or_b64 exec, exec, s[14:15]
	v_cmp_gt_u32_e64 s[14:15], 8, v15
	s_and_saveexec_b64 s[20:21], s[14:15]
	s_cbranch_execz .LBB26_386
.LBB26_385:
	v_lshlrev_b32_e32 v26, 3, v0
	v_mov_b32_e32 v28, 0
	ds_read_b64 v[26:27], v26 offset:24320
	ds_read_b64 v[28:29], v28 offset:24440
	s_waitcnt lgkmcnt(0)
	v_fma_f64 v[10:11], v[26:27], v[28:29], v[10:11]
.LBB26_386:
	s_or_b64 exec, exec, s[20:21]
.LBB26_387:
	s_or_b64 exec, exec, s[16:17]
	s_and_saveexec_b64 s[14:15], s[58:59]
; %bb.388:
	v_xor_b32_e32 v27, 0x80000000, v11
	v_mov_b32_e32 v26, v10
	ds_write_b64 v22, v[26:27]
; %bb.389:
	s_or_b64 exec, exec, s[14:15]
	s_waitcnt lgkmcnt(0)
	s_barrier
	s_and_saveexec_b64 s[14:15], s[60:61]
	s_cbranch_execz .LBB26_391
; %bb.390:
	v_lshlrev_b32_e32 v26, 3, v20
	ds_read_b64 v[26:27], v26 offset:20224
	ds_read_b64 v[28:29], v22
	s_waitcnt lgkmcnt(0)
	v_fma_f64 v[10:11], -v[26:27], v[28:29], v[10:11]
.LBB26_391:
	s_or_b64 exec, exec, s[14:15]
	s_barrier
	s_and_saveexec_b64 s[14:15], s[62:63]
; %bb.392:
	v_xor_b32_e32 v27, 0x80000000, v11
	v_mov_b32_e32 v26, v10
	ds_write_b64 v22, v[26:27]
; %bb.393:
	s_or_b64 exec, exec, s[14:15]
	s_waitcnt lgkmcnt(0)
	s_barrier
	s_and_saveexec_b64 s[14:15], s[64:65]
	s_cbranch_execz .LBB26_395
; %bb.394:
	v_lshlrev_b32_e32 v26, 3, v20
	ds_read_b64 v[26:27], v26 offset:19712
	ds_read_b64 v[28:29], v22
	s_waitcnt lgkmcnt(0)
	v_fma_f64 v[10:11], -v[26:27], v[28:29], v[10:11]
.LBB26_395:
	s_or_b64 exec, exec, s[14:15]
	s_barrier
	;; [unrolled: 20-line block ×6, first 2 shown]
	s_and_saveexec_b64 s[14:15], s[84:85]
; %bb.412:
	v_xor_b32_e32 v27, 0x80000000, v11
	v_mov_b32_e32 v26, v10
	ds_write_b64 v22, v[26:27]
; %bb.413:
	s_or_b64 exec, exec, s[14:15]
	s_waitcnt lgkmcnt(0)
	s_barrier
	s_and_saveexec_b64 s[14:15], s[68:69]
	s_cbranch_execz .LBB26_415
; %bb.414:
	v_mov_b32_e32 v26, 0
	ds_read_b64 v[26:27], v26 offset:17152
	ds_read_b64 v[28:29], v22
	s_waitcnt lgkmcnt(0)
	v_fma_f64 v[10:11], -v[26:27], v[28:29], v[10:11]
.LBB26_415:
	s_or_b64 exec, exec, s[14:15]
	s_barrier
	s_and_saveexec_b64 s[14:15], s[68:69]
; %bb.416:
	v_xor_b32_e32 v27, 0x80000000, v11
	v_mov_b32_e32 v26, v10
	ds_write_b64 v22, v[26:27]
; %bb.417:
	s_or_b64 exec, exec, s[14:15]
	s_waitcnt lgkmcnt(0)
	s_barrier
	s_barrier
	s_and_saveexec_b64 s[14:15], s[8:9]
; %bb.418:
	v_lshlrev_b32_e32 v26, 3, v20
	v_lshl_or_b32 v26, v21, 9, v26
	ds_write_b64 v26, v[10:11] offset:20736
; %bb.419:
	s_or_b64 exec, exec, s[14:15]
	s_waitcnt lgkmcnt(0)
	s_barrier
	s_barrier
	s_and_saveexec_b64 s[14:15], s[86:87]
	s_cbranch_execz .LBB26_421
; %bb.420:
	v_lshlrev_b32_e32 v26, 9, v0
	ds_read_b64 v[10:11], v26 offset:20736
	s_movk_i32 s16, 0xfe08
	v_mad_i32_i24 v27, v0, s16, v26
	s_waitcnt lgkmcnt(0)
	ds_write_b64 v27, v[10:11] offset:16704
	ds_read_b64 v[10:11], v26 offset:20744
	s_waitcnt lgkmcnt(0)
	ds_write_b64 v27, v[10:11] offset:17216
	ds_read_b64 v[10:11], v26 offset:20752
	;; [unrolled: 3-line block ×7, first 2 shown]
	s_waitcnt lgkmcnt(0)
	ds_write_b64 v27, v[10:11] offset:20288
.LBB26_421:
	s_or_b64 exec, exec, s[14:15]
	s_waitcnt lgkmcnt(0)
	s_barrier
	s_and_saveexec_b64 s[14:15], vcc
	s_cbranch_execz .LBB26_423
; %bb.422:
	v_mov_b32_e32 v26, 0
	ds_read_b64 v[28:29], v26 offset:20272
	v_mov_b32_e32 v27, 0x3ff00000
	ds_write_b64 v26, v[26:27] offset:20280
	s_waitcnt lgkmcnt(1)
	ds_write_b128 v26, v[26:29] offset:19760
.LBB26_423:
	s_or_b64 exec, exec, s[14:15]
	v_mov_b32_e32 v10, 0
	v_mov_b32_e32 v11, 0
	s_waitcnt lgkmcnt(0)
	s_barrier
	buffer_wbinvl1_vol
	s_and_saveexec_b64 s[16:17], s[2:3]
	s_cbranch_execz .LBB26_427
; %bb.424:
	v_lshlrev_b32_e32 v26, 9, v13
	v_lshlrev_b32_e32 v10, 3, v12
	ds_read_b64 v[10:11], v10 offset:19744
	ds_read_b64 v[26:27], v26 offset:19760
	v_cmp_gt_u32_e64 s[14:15], 2, v15
	s_waitcnt lgkmcnt(0)
	v_fma_f64 v[10:11], v[10:11], v[26:27], 0
	s_and_saveexec_b64 s[20:21], s[14:15]
	s_cbranch_execz .LBB26_426
; %bb.425:
	v_lshlrev_b32_e32 v26, 3, v0
	v_mov_b32_e32 v28, 0
	ds_read_b64 v[26:27], v26 offset:20256
	ds_read_b64 v[28:29], v28 offset:20280
	s_waitcnt lgkmcnt(0)
	v_fma_f64 v[10:11], v[26:27], v[28:29], v[10:11]
.LBB26_426:
	s_or_b64 exec, exec, s[20:21]
.LBB26_427:
	s_or_b64 exec, exec, s[16:17]
	s_and_saveexec_b64 s[14:15], s[30:31]
; %bb.428:
	v_xor_b32_e32 v27, 0x80000000, v11
	v_mov_b32_e32 v26, v10
	ds_write_b64 v14, v[26:27]
; %bb.429:
	s_or_b64 exec, exec, s[14:15]
	s_waitcnt lgkmcnt(0)
	s_barrier
	s_and_saveexec_b64 s[14:15], s[28:29]
	s_cbranch_execz .LBB26_431
; %bb.430:
	v_mov_b32_e32 v26, 0
	ds_read_b64 v[26:27], v26 offset:19232
	ds_read_b64 v[28:29], v14
	s_waitcnt lgkmcnt(0)
	v_fma_f64 v[10:11], -v[26:27], v[28:29], v[10:11]
.LBB26_431:
	s_or_b64 exec, exec, s[14:15]
	s_barrier
	s_and_saveexec_b64 s[14:15], s[28:29]
; %bb.432:
	v_xor_b32_e32 v27, 0x80000000, v11
	v_mov_b32_e32 v26, v10
	ds_write_b64 v14, v[26:27]
; %bb.433:
	s_or_b64 exec, exec, s[14:15]
	s_waitcnt lgkmcnt(0)
	s_barrier
	s_barrier
	s_and_saveexec_b64 s[14:15], s[2:3]
; %bb.434:
	v_lshlrev_b32_e32 v26, 3, v12
	v_lshl_or_b32 v26, v13, 9, v26
	ds_write_b64 v26, v[10:11] offset:19744
; %bb.435:
	s_or_b64 exec, exec, s[14:15]
	s_waitcnt lgkmcnt(0)
	s_barrier
	s_barrier
	s_and_saveexec_b64 s[14:15], s[34:35]
	s_cbranch_execz .LBB26_437
; %bb.436:
	v_lshlrev_b32_e32 v26, 3, v0
	s_movk_i32 s16, 0x1f8
	v_mad_u32_u24 v27, v0, s16, v26
	ds_read_b64 v[10:11], v27 offset:19744
	s_waitcnt lgkmcnt(0)
	ds_write_b64 v26, v[10:11] offset:18736
	ds_read_b64 v[10:11], v27 offset:19752
	s_waitcnt lgkmcnt(0)
	ds_write_b64 v26, v[10:11] offset:19248
.LBB26_437:
	s_or_b64 exec, exec, s[14:15]
	s_waitcnt lgkmcnt(0)
	s_barrier
	s_and_saveexec_b64 s[14:15], vcc
	s_cbranch_execz .LBB26_439
; %bb.438:
	v_mov_b32_e32 v26, 0
	ds_read_b64 v[28:29], v26 offset:19232
	v_mov_b32_e32 v27, 0x3ff00000
	ds_write_b64 v26, v[26:27] offset:19240
	s_waitcnt lgkmcnt(1)
	ds_write_b128 v26, v[26:29] offset:18720
.LBB26_439:
	s_or_b64 exec, exec, s[14:15]
	v_mov_b32_e32 v10, 0
	v_mov_b32_e32 v11, 0
	s_waitcnt lgkmcnt(0)
	s_barrier
	buffer_wbinvl1_vol
	s_and_saveexec_b64 s[16:17], s[18:19]
	s_cbranch_execz .LBB26_445
; %bb.440:
	v_lshlrev_b32_e32 v27, 3, v16
	v_lshlrev_b32_e32 v26, 9, v17
	ds_read_b64 v[10:11], v27 offset:18688
	ds_read_b64 v[28:29], v26 offset:18720
	v_cmp_gt_u32_e64 s[14:15], 12, v15
	s_waitcnt lgkmcnt(0)
	v_fma_f64 v[10:11], v[10:11], v[28:29], 0
	s_and_saveexec_b64 s[20:21], s[14:15]
	s_cbranch_execnz .LBB26_1194
; %bb.441:
	s_or_b64 exec, exec, s[20:21]
	v_cmp_gt_u32_e64 s[14:15], 8, v15
	s_and_saveexec_b64 s[20:21], s[14:15]
	s_cbranch_execnz .LBB26_1195
.LBB26_442:
	s_or_b64 exec, exec, s[20:21]
	v_cmp_gt_u32_e64 s[14:15], 4, v15
	s_and_saveexec_b64 s[20:21], s[14:15]
	s_cbranch_execz .LBB26_444
.LBB26_443:
	v_lshlrev_b32_e32 v26, 3, v0
	v_mov_b32_e32 v28, 0
	ds_read_b64 v[26:27], v26 offset:20224
	ds_read_b64 v[28:29], v28 offset:20280
	s_waitcnt lgkmcnt(0)
	v_fma_f64 v[10:11], v[26:27], v[28:29], v[10:11]
.LBB26_444:
	s_or_b64 exec, exec, s[20:21]
.LBB26_445:
	s_or_b64 exec, exec, s[16:17]
	s_and_saveexec_b64 s[14:15], s[38:39]
; %bb.446:
	v_xor_b32_e32 v27, 0x80000000, v11
	v_mov_b32_e32 v26, v10
	ds_write_b64 v19, v[26:27]
; %bb.447:
	s_or_b64 exec, exec, s[14:15]
	s_waitcnt lgkmcnt(0)
	s_barrier
	s_and_saveexec_b64 s[14:15], s[42:43]
	s_cbranch_execz .LBB26_449
; %bb.448:
	v_lshlrev_b32_e32 v26, 3, v16
	ds_read_b64 v[26:27], v26 offset:18176
	ds_read_b64 v[28:29], v19
	s_waitcnt lgkmcnt(0)
	v_fma_f64 v[10:11], -v[26:27], v[28:29], v[10:11]
.LBB26_449:
	s_or_b64 exec, exec, s[14:15]
	s_barrier
	s_and_saveexec_b64 s[14:15], s[44:45]
; %bb.450:
	v_xor_b32_e32 v27, 0x80000000, v11
	v_mov_b32_e32 v26, v10
	ds_write_b64 v19, v[26:27]
; %bb.451:
	s_or_b64 exec, exec, s[14:15]
	s_waitcnt lgkmcnt(0)
	s_barrier
	s_and_saveexec_b64 s[14:15], s[52:53]
	s_cbranch_execz .LBB26_453
; %bb.452:
	v_lshlrev_b32_e32 v26, 3, v16
	ds_read_b64 v[26:27], v26 offset:17664
	ds_read_b64 v[28:29], v19
	s_waitcnt lgkmcnt(0)
	v_fma_f64 v[10:11], -v[26:27], v[28:29], v[10:11]
.LBB26_453:
	s_or_b64 exec, exec, s[14:15]
	s_barrier
	s_and_saveexec_b64 s[14:15], s[54:55]
; %bb.454:
	v_xor_b32_e32 v27, 0x80000000, v11
	v_mov_b32_e32 v26, v10
	ds_write_b64 v19, v[26:27]
; %bb.455:
	s_or_b64 exec, exec, s[14:15]
	s_waitcnt lgkmcnt(0)
	s_barrier
	s_and_saveexec_b64 s[14:15], s[36:37]
	s_cbranch_execz .LBB26_457
; %bb.456:
	v_mov_b32_e32 v26, 0
	ds_read_b64 v[26:27], v26 offset:17152
	ds_read_b64 v[28:29], v19
	s_waitcnt lgkmcnt(0)
	v_fma_f64 v[10:11], -v[26:27], v[28:29], v[10:11]
.LBB26_457:
	s_or_b64 exec, exec, s[14:15]
	s_barrier
	s_and_saveexec_b64 s[14:15], s[36:37]
; %bb.458:
	v_xor_b32_e32 v27, 0x80000000, v11
	v_mov_b32_e32 v26, v10
	ds_write_b64 v19, v[26:27]
; %bb.459:
	s_or_b64 exec, exec, s[14:15]
	s_waitcnt lgkmcnt(0)
	s_barrier
	s_barrier
	s_and_saveexec_b64 s[14:15], s[18:19]
; %bb.460:
	v_lshlrev_b32_e32 v26, 3, v16
	v_lshl_or_b32 v26, v17, 9, v26
	ds_write_b64 v26, v[10:11] offset:18688
; %bb.461:
	s_or_b64 exec, exec, s[14:15]
	s_waitcnt lgkmcnt(0)
	s_barrier
	s_barrier
	s_and_saveexec_b64 s[14:15], s[56:57]
	s_cbranch_execz .LBB26_463
; %bb.462:
	v_lshlrev_b32_e32 v26, 9, v0
	ds_read_b64 v[10:11], v26 offset:18688
	s_movk_i32 s16, 0xfe08
	v_mad_i32_i24 v27, v0, s16, v26
	s_waitcnt lgkmcnt(0)
	ds_write_b64 v27, v[10:11] offset:16672
	ds_read_b64 v[10:11], v26 offset:18696
	s_waitcnt lgkmcnt(0)
	ds_write_b64 v27, v[10:11] offset:17184
	ds_read_b64 v[10:11], v26 offset:18704
	;; [unrolled: 3-line block ×3, first 2 shown]
	s_waitcnt lgkmcnt(0)
	ds_write_b64 v27, v[10:11] offset:18208
.LBB26_463:
	s_or_b64 exec, exec, s[14:15]
	s_waitcnt lgkmcnt(0)
	s_barrier
	s_and_saveexec_b64 s[14:15], vcc
	s_cbranch_execz .LBB26_465
; %bb.464:
	v_mov_b32_e32 v26, 0
	ds_read_b64 v[28:29], v26 offset:18192
	v_mov_b32_e32 v27, 0x3ff00000
	ds_write_b64 v26, v[26:27] offset:18200
	s_waitcnt lgkmcnt(1)
	ds_write_b128 v26, v[26:29] offset:17680
.LBB26_465:
	s_or_b64 exec, exec, s[14:15]
	v_mov_b32_e32 v10, 0
	v_mov_b32_e32 v11, 0
	s_waitcnt lgkmcnt(0)
	s_barrier
	buffer_wbinvl1_vol
	s_and_saveexec_b64 s[16:17], s[2:3]
	s_cbranch_execz .LBB26_469
; %bb.466:
	v_lshlrev_b32_e32 v26, 9, v13
	v_lshlrev_b32_e32 v10, 3, v12
	ds_read_b64 v[10:11], v10 offset:17664
	ds_read_b64 v[26:27], v26 offset:17680
	v_cmp_gt_u32_e64 s[14:15], 2, v15
	s_waitcnt lgkmcnt(0)
	v_fma_f64 v[10:11], v[10:11], v[26:27], 0
	s_and_saveexec_b64 s[20:21], s[14:15]
	s_cbranch_execz .LBB26_468
; %bb.467:
	v_lshlrev_b32_e32 v26, 3, v0
	v_mov_b32_e32 v28, 0
	ds_read_b64 v[26:27], v26 offset:18176
	ds_read_b64 v[28:29], v28 offset:18200
	s_waitcnt lgkmcnt(0)
	v_fma_f64 v[10:11], v[26:27], v[28:29], v[10:11]
.LBB26_468:
	s_or_b64 exec, exec, s[20:21]
.LBB26_469:
	s_or_b64 exec, exec, s[16:17]
	s_and_saveexec_b64 s[14:15], s[30:31]
; %bb.470:
	v_xor_b32_e32 v27, 0x80000000, v11
	v_mov_b32_e32 v26, v10
	ds_write_b64 v14, v[26:27]
; %bb.471:
	s_or_b64 exec, exec, s[14:15]
	s_waitcnt lgkmcnt(0)
	s_barrier
	s_and_saveexec_b64 s[14:15], s[28:29]
	s_cbranch_execz .LBB26_473
; %bb.472:
	v_mov_b32_e32 v26, 0
	ds_read_b64 v[26:27], v26 offset:17152
	ds_read_b64 v[28:29], v14
	s_waitcnt lgkmcnt(0)
	v_fma_f64 v[10:11], -v[26:27], v[28:29], v[10:11]
.LBB26_473:
	s_or_b64 exec, exec, s[14:15]
	s_barrier
	s_and_saveexec_b64 s[14:15], s[28:29]
; %bb.474:
	v_xor_b32_e32 v27, 0x80000000, v11
	v_mov_b32_e32 v26, v10
	ds_write_b64 v14, v[26:27]
; %bb.475:
	s_or_b64 exec, exec, s[14:15]
	s_waitcnt lgkmcnt(0)
	s_barrier
	s_barrier
	s_and_saveexec_b64 s[14:15], s[2:3]
; %bb.476:
	v_lshlrev_b32_e32 v26, 3, v12
	v_lshl_or_b32 v26, v13, 9, v26
	ds_write_b64 v26, v[10:11] offset:17664
; %bb.477:
	s_or_b64 exec, exec, s[14:15]
	s_waitcnt lgkmcnt(0)
	s_barrier
	s_barrier
	s_and_saveexec_b64 s[14:15], s[34:35]
	s_cbranch_execz .LBB26_479
; %bb.478:
	v_lshlrev_b32_e32 v26, 3, v0
	s_movk_i32 s16, 0x1f8
	v_mad_u32_u24 v27, v0, s16, v26
	ds_read_b64 v[10:11], v27 offset:17664
	s_waitcnt lgkmcnt(0)
	ds_write_b64 v26, v[10:11] offset:16656
	ds_read_b64 v[10:11], v27 offset:17672
	s_waitcnt lgkmcnt(0)
	ds_write_b64 v26, v[10:11] offset:17168
.LBB26_479:
	s_or_b64 exec, exec, s[14:15]
	s_waitcnt lgkmcnt(0)
	s_barrier
	s_and_saveexec_b64 s[14:15], vcc
	s_cbranch_execz .LBB26_481
; %bb.480:
	v_mov_b32_e32 v26, 0
	ds_read_b64 v[28:29], v26 offset:17152
	v_mov_b32_e32 v27, 0x3ff00000
	ds_write_b64 v26, v[26:27] offset:17160
	s_waitcnt lgkmcnt(1)
	ds_write_b128 v26, v[26:29] offset:16640
.LBB26_481:
	s_or_b64 exec, exec, s[14:15]
	s_movk_i32 s14, 0x3ff
	v_and_b32_e32 v28, 31, v0
	v_lshrrev_b32_e32 v29, 5, v15
	v_cmp_lt_u32_e64 s[16:17], s14, v15
	s_movk_i32 s14, 0x400
	v_mov_b32_e32 v10, 0
	v_sub_u32_e32 v26, 31, v29
	v_cmp_gt_u32_e64 s[14:15], s14, v15
	v_mov_b32_e32 v11, 0
	v_lshlrev_b32_e32 v27, 3, v28
	s_waitcnt lgkmcnt(0)
	s_barrier
	buffer_wbinvl1_vol
	s_and_saveexec_b64 s[92:93], s[14:15]
	s_cbranch_execz .LBB26_543
; %bb.482:
	v_lshlrev_b32_e32 v30, 9, v26
	ds_read_b64 v[10:11], v27 offset:16384
	ds_read_b64 v[31:32], v30 offset:16640
	s_movk_i32 s20, 0x3e0
	v_cmp_gt_u32_e64 s[20:21], s20, v15
	s_waitcnt lgkmcnt(0)
	v_fma_f64 v[10:11], v[10:11], v[31:32], 0
	s_and_saveexec_b64 s[26:27], s[20:21]
	s_cbranch_execz .LBB26_484
; %bb.483:
	ds_read_b64 v[31:32], v27 offset:16896
	ds_read_b64 v[33:34], v30 offset:16648
	s_waitcnt lgkmcnt(0)
	v_fma_f64 v[10:11], v[31:32], v[33:34], v[10:11]
.LBB26_484:
	s_or_b64 exec, exec, s[26:27]
	s_movk_i32 s20, 0x3c0
	v_cmp_gt_u32_e64 s[20:21], s20, v15
	s_and_saveexec_b64 s[26:27], s[20:21]
	s_cbranch_execz .LBB26_486
; %bb.485:
	ds_read_b64 v[31:32], v27 offset:17408
	ds_read_b64 v[33:34], v30 offset:16656
	s_waitcnt lgkmcnt(0)
	v_fma_f64 v[10:11], v[31:32], v[33:34], v[10:11]
.LBB26_486:
	s_or_b64 exec, exec, s[26:27]
	s_movk_i32 s20, 0x3a0
	v_cmp_gt_u32_e64 s[20:21], s20, v15
	s_and_saveexec_b64 s[26:27], s[20:21]
	s_cbranch_execz .LBB26_488
; %bb.487:
	ds_read_b64 v[31:32], v27 offset:17920
	ds_read_b64 v[33:34], v30 offset:16664
	s_waitcnt lgkmcnt(0)
	v_fma_f64 v[10:11], v[31:32], v[33:34], v[10:11]
.LBB26_488:
	s_or_b64 exec, exec, s[26:27]
	s_movk_i32 s20, 0x380
	v_cmp_gt_u32_e64 s[20:21], s20, v15
	s_and_saveexec_b64 s[26:27], s[20:21]
	s_cbranch_execz .LBB26_490
; %bb.489:
	ds_read_b64 v[31:32], v27 offset:18432
	ds_read_b64 v[33:34], v30 offset:16672
	s_waitcnt lgkmcnt(0)
	v_fma_f64 v[10:11], v[31:32], v[33:34], v[10:11]
.LBB26_490:
	s_or_b64 exec, exec, s[26:27]
	s_movk_i32 s20, 0x360
	v_cmp_gt_u32_e64 s[20:21], s20, v15
	s_and_saveexec_b64 s[26:27], s[20:21]
	s_cbranch_execz .LBB26_492
; %bb.491:
	ds_read_b64 v[31:32], v27 offset:18944
	ds_read_b64 v[33:34], v30 offset:16680
	s_waitcnt lgkmcnt(0)
	v_fma_f64 v[10:11], v[31:32], v[33:34], v[10:11]
.LBB26_492:
	s_or_b64 exec, exec, s[26:27]
	s_movk_i32 s20, 0x340
	v_cmp_gt_u32_e64 s[20:21], s20, v15
	s_and_saveexec_b64 s[26:27], s[20:21]
	s_cbranch_execz .LBB26_494
; %bb.493:
	ds_read_b64 v[31:32], v27 offset:19456
	ds_read_b64 v[33:34], v30 offset:16688
	s_waitcnt lgkmcnt(0)
	v_fma_f64 v[10:11], v[31:32], v[33:34], v[10:11]
.LBB26_494:
	s_or_b64 exec, exec, s[26:27]
	s_movk_i32 s20, 0x320
	v_cmp_gt_u32_e64 s[20:21], s20, v15
	s_and_saveexec_b64 s[26:27], s[20:21]
	s_cbranch_execz .LBB26_496
; %bb.495:
	ds_read_b64 v[31:32], v27 offset:19968
	ds_read_b64 v[33:34], v30 offset:16696
	s_waitcnt lgkmcnt(0)
	v_fma_f64 v[10:11], v[31:32], v[33:34], v[10:11]
.LBB26_496:
	s_or_b64 exec, exec, s[26:27]
	s_movk_i32 s20, 0x300
	v_cmp_gt_u32_e64 s[20:21], s20, v15
	s_and_saveexec_b64 s[26:27], s[20:21]
	s_cbranch_execz .LBB26_498
; %bb.497:
	ds_read_b64 v[31:32], v27 offset:20480
	ds_read_b64 v[33:34], v30 offset:16704
	s_waitcnt lgkmcnt(0)
	v_fma_f64 v[10:11], v[31:32], v[33:34], v[10:11]
.LBB26_498:
	s_or_b64 exec, exec, s[26:27]
	s_movk_i32 s20, 0x2e0
	v_cmp_gt_u32_e64 s[20:21], s20, v15
	s_and_saveexec_b64 s[26:27], s[20:21]
	s_cbranch_execz .LBB26_500
; %bb.499:
	ds_read_b64 v[31:32], v27 offset:20992
	ds_read_b64 v[33:34], v30 offset:16712
	s_waitcnt lgkmcnt(0)
	v_fma_f64 v[10:11], v[31:32], v[33:34], v[10:11]
.LBB26_500:
	s_or_b64 exec, exec, s[26:27]
	s_movk_i32 s20, 0x2c0
	v_cmp_gt_u32_e64 s[20:21], s20, v15
	s_and_saveexec_b64 s[26:27], s[20:21]
	s_cbranch_execz .LBB26_502
; %bb.501:
	ds_read_b64 v[31:32], v27 offset:21504
	ds_read_b64 v[33:34], v30 offset:16720
	s_waitcnt lgkmcnt(0)
	v_fma_f64 v[10:11], v[31:32], v[33:34], v[10:11]
.LBB26_502:
	s_or_b64 exec, exec, s[26:27]
	s_movk_i32 s20, 0x2a0
	v_cmp_gt_u32_e64 s[20:21], s20, v15
	s_and_saveexec_b64 s[26:27], s[20:21]
	s_cbranch_execz .LBB26_504
; %bb.503:
	ds_read_b64 v[31:32], v27 offset:22016
	ds_read_b64 v[33:34], v30 offset:16728
	s_waitcnt lgkmcnt(0)
	v_fma_f64 v[10:11], v[31:32], v[33:34], v[10:11]
.LBB26_504:
	s_or_b64 exec, exec, s[26:27]
	s_movk_i32 s20, 0x280
	v_cmp_gt_u32_e64 s[20:21], s20, v15
	s_and_saveexec_b64 s[26:27], s[20:21]
	s_cbranch_execz .LBB26_506
; %bb.505:
	ds_read_b64 v[31:32], v27 offset:22528
	ds_read_b64 v[33:34], v30 offset:16736
	s_waitcnt lgkmcnt(0)
	v_fma_f64 v[10:11], v[31:32], v[33:34], v[10:11]
.LBB26_506:
	s_or_b64 exec, exec, s[26:27]
	s_movk_i32 s20, 0x260
	v_cmp_gt_u32_e64 s[20:21], s20, v15
	s_and_saveexec_b64 s[26:27], s[20:21]
	s_cbranch_execz .LBB26_508
; %bb.507:
	ds_read_b64 v[31:32], v27 offset:23040
	ds_read_b64 v[33:34], v30 offset:16744
	s_waitcnt lgkmcnt(0)
	v_fma_f64 v[10:11], v[31:32], v[33:34], v[10:11]
.LBB26_508:
	s_or_b64 exec, exec, s[26:27]
	s_movk_i32 s20, 0x240
	v_cmp_gt_u32_e64 s[20:21], s20, v15
	s_and_saveexec_b64 s[26:27], s[20:21]
	s_cbranch_execz .LBB26_510
; %bb.509:
	ds_read_b64 v[31:32], v27 offset:23552
	ds_read_b64 v[33:34], v30 offset:16752
	s_waitcnt lgkmcnt(0)
	v_fma_f64 v[10:11], v[31:32], v[33:34], v[10:11]
.LBB26_510:
	s_or_b64 exec, exec, s[26:27]
	s_movk_i32 s20, 0x220
	v_cmp_gt_u32_e64 s[20:21], s20, v15
	s_and_saveexec_b64 s[26:27], s[20:21]
	s_cbranch_execz .LBB26_512
; %bb.511:
	ds_read_b64 v[31:32], v27 offset:24064
	ds_read_b64 v[33:34], v30 offset:16760
	s_waitcnt lgkmcnt(0)
	v_fma_f64 v[10:11], v[31:32], v[33:34], v[10:11]
.LBB26_512:
	s_or_b64 exec, exec, s[26:27]
	s_movk_i32 s20, 0x200
	v_cmp_gt_u32_e64 s[20:21], s20, v15
	s_and_saveexec_b64 s[26:27], s[20:21]
	s_cbranch_execz .LBB26_514
; %bb.513:
	ds_read_b64 v[31:32], v27 offset:24576
	ds_read_b64 v[33:34], v30 offset:16768
	s_waitcnt lgkmcnt(0)
	v_fma_f64 v[10:11], v[31:32], v[33:34], v[10:11]
.LBB26_514:
	s_or_b64 exec, exec, s[26:27]
	s_movk_i32 s20, 0x1e0
	v_cmp_gt_u32_e64 s[20:21], s20, v15
	s_and_saveexec_b64 s[26:27], s[20:21]
	s_cbranch_execz .LBB26_516
; %bb.515:
	ds_read_b64 v[31:32], v27 offset:25088
	ds_read_b64 v[33:34], v30 offset:16776
	s_waitcnt lgkmcnt(0)
	v_fma_f64 v[10:11], v[31:32], v[33:34], v[10:11]
.LBB26_516:
	s_or_b64 exec, exec, s[26:27]
	s_movk_i32 s20, 0x1c0
	v_cmp_gt_u32_e64 s[20:21], s20, v15
	s_and_saveexec_b64 s[26:27], s[20:21]
	s_cbranch_execz .LBB26_518
; %bb.517:
	ds_read_b64 v[31:32], v27 offset:25600
	ds_read_b64 v[33:34], v30 offset:16784
	s_waitcnt lgkmcnt(0)
	v_fma_f64 v[10:11], v[31:32], v[33:34], v[10:11]
.LBB26_518:
	s_or_b64 exec, exec, s[26:27]
	s_movk_i32 s20, 0x1a0
	v_cmp_gt_u32_e64 s[20:21], s20, v15
	s_and_saveexec_b64 s[26:27], s[20:21]
	s_cbranch_execz .LBB26_520
; %bb.519:
	ds_read_b64 v[31:32], v27 offset:26112
	ds_read_b64 v[33:34], v30 offset:16792
	s_waitcnt lgkmcnt(0)
	v_fma_f64 v[10:11], v[31:32], v[33:34], v[10:11]
.LBB26_520:
	s_or_b64 exec, exec, s[26:27]
	s_movk_i32 s20, 0x180
	v_cmp_gt_u32_e64 s[20:21], s20, v15
	s_and_saveexec_b64 s[26:27], s[20:21]
	s_cbranch_execz .LBB26_522
; %bb.521:
	ds_read_b64 v[31:32], v27 offset:26624
	ds_read_b64 v[33:34], v30 offset:16800
	s_waitcnt lgkmcnt(0)
	v_fma_f64 v[10:11], v[31:32], v[33:34], v[10:11]
.LBB26_522:
	s_or_b64 exec, exec, s[26:27]
	s_movk_i32 s20, 0x160
	v_cmp_gt_u32_e64 s[20:21], s20, v15
	s_and_saveexec_b64 s[26:27], s[20:21]
	s_cbranch_execz .LBB26_524
; %bb.523:
	ds_read_b64 v[31:32], v27 offset:27136
	ds_read_b64 v[33:34], v30 offset:16808
	s_waitcnt lgkmcnt(0)
	v_fma_f64 v[10:11], v[31:32], v[33:34], v[10:11]
.LBB26_524:
	s_or_b64 exec, exec, s[26:27]
	s_movk_i32 s20, 0x140
	v_cmp_gt_u32_e64 s[20:21], s20, v15
	s_and_saveexec_b64 s[26:27], s[20:21]
	s_cbranch_execz .LBB26_526
; %bb.525:
	ds_read_b64 v[31:32], v27 offset:27648
	ds_read_b64 v[33:34], v30 offset:16816
	s_waitcnt lgkmcnt(0)
	v_fma_f64 v[10:11], v[31:32], v[33:34], v[10:11]
.LBB26_526:
	s_or_b64 exec, exec, s[26:27]
	s_movk_i32 s20, 0x120
	v_cmp_gt_u32_e64 s[20:21], s20, v15
	s_and_saveexec_b64 s[26:27], s[20:21]
	s_cbranch_execz .LBB26_528
; %bb.527:
	ds_read_b64 v[31:32], v27 offset:28160
	ds_read_b64 v[33:34], v30 offset:16824
	s_waitcnt lgkmcnt(0)
	v_fma_f64 v[10:11], v[31:32], v[33:34], v[10:11]
.LBB26_528:
	s_or_b64 exec, exec, s[26:27]
	s_and_saveexec_b64 s[20:21], s[10:11]
	s_cbranch_execz .LBB26_530
; %bb.529:
	ds_read_b64 v[31:32], v27 offset:28672
	ds_read_b64 v[33:34], v30 offset:16832
	s_waitcnt lgkmcnt(0)
	v_fma_f64 v[10:11], v[31:32], v[33:34], v[10:11]
.LBB26_530:
	s_or_b64 exec, exec, s[20:21]
	s_movk_i32 s20, 0xe0
	v_cmp_gt_u32_e64 s[20:21], s20, v15
	s_and_saveexec_b64 s[26:27], s[20:21]
	s_cbranch_execz .LBB26_532
; %bb.531:
	ds_read_b64 v[31:32], v27 offset:29184
	ds_read_b64 v[33:34], v30 offset:16840
	s_waitcnt lgkmcnt(0)
	v_fma_f64 v[10:11], v[31:32], v[33:34], v[10:11]
.LBB26_532:
	s_or_b64 exec, exec, s[26:27]
	s_movk_i32 s20, 0xc0
	v_cmp_gt_u32_e64 s[20:21], s20, v15
	;; [unrolled: 11-line block ×5, first 2 shown]
	s_and_saveexec_b64 s[26:27], s[20:21]
	s_cbranch_execnz .LBB26_1196
; %bb.539:
	s_or_b64 exec, exec, s[26:27]
	s_and_saveexec_b64 s[20:21], s[8:9]
	s_cbranch_execnz .LBB26_1197
.LBB26_540:
	s_or_b64 exec, exec, s[20:21]
	v_cmp_gt_u32_e64 s[20:21], 32, v15
	s_and_saveexec_b64 s[26:27], s[20:21]
	s_cbranch_execz .LBB26_542
.LBB26_541:
	v_lshlrev_b32_e32 v30, 3, v0
	v_mov_b32_e32 v32, 0
	ds_read_b64 v[30:31], v30 offset:32256
	ds_read_b64 v[32:33], v32 offset:32760
	s_waitcnt lgkmcnt(0)
	v_fma_f64 v[10:11], v[30:31], v[32:33], v[10:11]
.LBB26_542:
	s_or_b64 exec, exec, s[26:27]
.LBB26_543:
	s_or_b64 exec, exec, s[92:93]
	v_mov_b32_e32 v30, 0x8000
	v_cmp_eq_u32_e64 s[20:21], 31, v28
	s_xor_b64 s[92:93], s[16:17], -1
	v_lshl_add_u32 v29, v29, 3, v30
	s_and_b64 s[20:21], s[92:93], s[20:21]
	s_and_saveexec_b64 s[16:17], s[20:21]
; %bb.544:
	v_xor_b32_e32 v31, 0x80000000, v11
	v_mov_b32_e32 v30, v10
	ds_write_b64 v29, v[30:31]
; %bb.545:
	s_or_b64 exec, exec, s[16:17]
	v_cmp_ne_u32_e64 s[16:17], 31, v28
	s_and_b64 s[20:21], s[92:93], s[16:17]
	s_waitcnt lgkmcnt(0)
	s_barrier
	s_and_saveexec_b64 s[16:17], s[20:21]
	s_cbranch_execz .LBB26_547
; %bb.546:
	ds_read_b64 v[30:31], v27 offset:15872
	ds_read_b64 v[32:33], v29
	s_waitcnt lgkmcnt(0)
	v_fma_f64 v[10:11], -v[30:31], v[32:33], v[10:11]
.LBB26_547:
	s_or_b64 exec, exec, s[16:17]
	v_cmp_eq_u32_e64 s[16:17], 30, v28
	s_and_b64 s[20:21], s[92:93], s[16:17]
	s_barrier
	s_and_saveexec_b64 s[16:17], s[20:21]
; %bb.548:
	v_xor_b32_e32 v31, 0x80000000, v11
	v_mov_b32_e32 v30, v10
	ds_write_b64 v29, v[30:31]
; %bb.549:
	s_or_b64 exec, exec, s[16:17]
	v_cmp_gt_u32_e64 s[16:17], 30, v28
	s_and_b64 s[20:21], s[92:93], s[16:17]
	s_waitcnt lgkmcnt(0)
	s_barrier
	s_and_saveexec_b64 s[16:17], s[20:21]
	s_cbranch_execz .LBB26_551
; %bb.550:
	ds_read_b64 v[30:31], v27 offset:15360
	ds_read_b64 v[32:33], v29
	s_waitcnt lgkmcnt(0)
	v_fma_f64 v[10:11], -v[30:31], v[32:33], v[10:11]
.LBB26_551:
	s_or_b64 exec, exec, s[16:17]
	v_cmp_eq_u32_e64 s[16:17], 29, v28
	s_and_b64 s[20:21], s[92:93], s[16:17]
	s_barrier
	s_and_saveexec_b64 s[16:17], s[20:21]
; %bb.552:
	v_xor_b32_e32 v31, 0x80000000, v11
	v_mov_b32_e32 v30, v10
	ds_write_b64 v29, v[30:31]
; %bb.553:
	s_or_b64 exec, exec, s[16:17]
	v_cmp_gt_u32_e64 s[16:17], 29, v28
	;; [unrolled: 23-line block ×29, first 2 shown]
	s_and_b64 s[20:21], s[92:93], s[16:17]
	s_waitcnt lgkmcnt(0)
	s_barrier
	s_and_saveexec_b64 s[16:17], s[20:21]
	s_cbranch_execz .LBB26_663
; %bb.662:
	ds_read_b64 v[30:31], v27 offset:1024
	ds_read_b64 v[32:33], v29
	s_waitcnt lgkmcnt(0)
	v_fma_f64 v[10:11], -v[30:31], v[32:33], v[10:11]
.LBB26_663:
	s_or_b64 exec, exec, s[16:17]
	v_cmp_eq_u32_e64 s[16:17], 1, v28
	s_and_b64 s[20:21], s[92:93], s[16:17]
	s_barrier
	s_and_saveexec_b64 s[16:17], s[20:21]
; %bb.664:
	v_xor_b32_e32 v31, 0x80000000, v11
	v_mov_b32_e32 v30, v10
	ds_write_b64 v29, v[30:31]
; %bb.665:
	s_or_b64 exec, exec, s[16:17]
	v_cmp_eq_u32_e64 s[16:17], 0, v28
	s_and_b64 s[16:17], s[92:93], s[16:17]
	s_waitcnt lgkmcnt(0)
	s_barrier
	s_and_saveexec_b64 s[20:21], s[16:17]
	s_cbranch_execz .LBB26_667
; %bb.666:
	ds_read_b64 v[30:31], v27 offset:512
	ds_read_b64 v[32:33], v29
	s_waitcnt lgkmcnt(0)
	v_fma_f64 v[10:11], -v[30:31], v[32:33], v[10:11]
.LBB26_667:
	s_or_b64 exec, exec, s[20:21]
	s_barrier
	s_and_saveexec_b64 s[20:21], s[16:17]
; %bb.668:
	v_xor_b32_e32 v31, 0x80000000, v11
	v_mov_b32_e32 v30, v10
	ds_write_b64 v29, v[30:31]
; %bb.669:
	s_or_b64 exec, exec, s[20:21]
	s_waitcnt lgkmcnt(0)
	s_barrier
	s_barrier
	s_and_saveexec_b64 s[16:17], s[14:15]
; %bb.670:
	v_lshl_or_b32 v26, v26, 9, v27
	ds_write_b64 v26, v[10:11] offset:16384
; %bb.671:
	s_or_b64 exec, exec, s[16:17]
	v_cmp_gt_u32_e64 s[14:15], 32, v0
	s_and_b64 s[14:15], s[12:13], s[14:15]
	s_waitcnt lgkmcnt(0)
	s_barrier
	s_barrier
	s_and_saveexec_b64 s[12:13], s[14:15]
	s_cbranch_execz .LBB26_673
; %bb.672:
	v_lshlrev_b32_e32 v26, 9, v0
	ds_read_b64 v[10:11], v26 offset:16384
	s_movk_i32 s14, 0xfe08
	v_mad_i32_i24 v27, v0, s14, v26
	s_waitcnt lgkmcnt(0)
	ds_write_b64 v27, v[10:11] offset:256
	ds_read_b64 v[10:11], v26 offset:16392
	s_waitcnt lgkmcnt(0)
	ds_write_b64 v27, v[10:11] offset:768
	ds_read_b64 v[10:11], v26 offset:16400
	;; [unrolled: 3-line block ×31, first 2 shown]
	s_waitcnt lgkmcnt(0)
	ds_write_b64 v27, v[10:11] offset:16128
.LBB26_673:
	s_or_b64 exec, exec, s[12:13]
	s_waitcnt lgkmcnt(0)
	s_barrier
	s_and_saveexec_b64 s[12:13], vcc
	s_cbranch_execz .LBB26_675
; %bb.674:
	v_mov_b32_e32 v26, 0
	ds_read_b64 v[28:29], v26 offset:16112
	v_mov_b32_e32 v27, 0x3ff00000
	ds_write_b64 v26, v[26:27] offset:16120
	s_waitcnt lgkmcnt(1)
	ds_write_b128 v26, v[26:29] offset:15600
.LBB26_675:
	s_or_b64 exec, exec, s[12:13]
	v_mov_b32_e32 v10, 0
	v_mov_b32_e32 v11, 0
	s_waitcnt lgkmcnt(0)
	s_barrier
	buffer_wbinvl1_vol
	s_and_saveexec_b64 s[14:15], s[2:3]
	s_cbranch_execz .LBB26_679
; %bb.676:
	v_lshlrev_b32_e32 v26, 9, v13
	v_lshlrev_b32_e32 v10, 3, v12
	ds_read_b64 v[10:11], v10 offset:15584
	ds_read_b64 v[26:27], v26 offset:15600
	v_cmp_gt_u32_e64 s[12:13], 2, v15
	s_waitcnt lgkmcnt(0)
	v_fma_f64 v[10:11], v[10:11], v[26:27], 0
	s_and_saveexec_b64 s[16:17], s[12:13]
	s_cbranch_execz .LBB26_678
; %bb.677:
	v_lshlrev_b32_e32 v26, 3, v0
	v_mov_b32_e32 v28, 0
	ds_read_b64 v[26:27], v26 offset:16096
	ds_read_b64 v[28:29], v28 offset:16120
	s_waitcnt lgkmcnt(0)
	v_fma_f64 v[10:11], v[26:27], v[28:29], v[10:11]
.LBB26_678:
	s_or_b64 exec, exec, s[16:17]
.LBB26_679:
	s_or_b64 exec, exec, s[14:15]
	s_and_saveexec_b64 s[12:13], s[30:31]
; %bb.680:
	v_xor_b32_e32 v27, 0x80000000, v11
	v_mov_b32_e32 v26, v10
	ds_write_b64 v14, v[26:27]
; %bb.681:
	s_or_b64 exec, exec, s[12:13]
	s_waitcnt lgkmcnt(0)
	s_barrier
	s_and_saveexec_b64 s[12:13], s[28:29]
	s_cbranch_execz .LBB26_683
; %bb.682:
	v_mov_b32_e32 v26, 0
	ds_read_b64 v[26:27], v26 offset:15072
	ds_read_b64 v[28:29], v14
	s_waitcnt lgkmcnt(0)
	v_fma_f64 v[10:11], -v[26:27], v[28:29], v[10:11]
.LBB26_683:
	s_or_b64 exec, exec, s[12:13]
	s_barrier
	s_and_saveexec_b64 s[12:13], s[28:29]
; %bb.684:
	v_xor_b32_e32 v27, 0x80000000, v11
	v_mov_b32_e32 v26, v10
	ds_write_b64 v14, v[26:27]
; %bb.685:
	s_or_b64 exec, exec, s[12:13]
	s_waitcnt lgkmcnt(0)
	s_barrier
	s_barrier
	s_and_saveexec_b64 s[12:13], s[2:3]
; %bb.686:
	v_lshlrev_b32_e32 v26, 3, v12
	v_lshl_or_b32 v26, v13, 9, v26
	ds_write_b64 v26, v[10:11] offset:15584
; %bb.687:
	s_or_b64 exec, exec, s[12:13]
	s_waitcnt lgkmcnt(0)
	s_barrier
	s_barrier
	s_and_saveexec_b64 s[12:13], s[34:35]
	s_cbranch_execz .LBB26_689
; %bb.688:
	v_lshlrev_b32_e32 v26, 3, v0
	s_movk_i32 s14, 0x1f8
	v_mad_u32_u24 v27, v0, s14, v26
	ds_read_b64 v[10:11], v27 offset:15584
	s_waitcnt lgkmcnt(0)
	ds_write_b64 v26, v[10:11] offset:14576
	ds_read_b64 v[10:11], v27 offset:15592
	s_waitcnt lgkmcnt(0)
	ds_write_b64 v26, v[10:11] offset:15088
.LBB26_689:
	s_or_b64 exec, exec, s[12:13]
	s_waitcnt lgkmcnt(0)
	s_barrier
	s_and_saveexec_b64 s[12:13], vcc
	s_cbranch_execz .LBB26_691
; %bb.690:
	v_mov_b32_e32 v26, 0
	ds_read_b64 v[28:29], v26 offset:15072
	v_mov_b32_e32 v27, 0x3ff00000
	ds_write_b64 v26, v[26:27] offset:15080
	s_waitcnt lgkmcnt(1)
	ds_write_b128 v26, v[26:29] offset:14560
.LBB26_691:
	s_or_b64 exec, exec, s[12:13]
	v_mov_b32_e32 v10, 0
	v_mov_b32_e32 v11, 0
	s_waitcnt lgkmcnt(0)
	s_barrier
	buffer_wbinvl1_vol
	s_and_saveexec_b64 s[14:15], s[18:19]
	s_cbranch_execz .LBB26_697
; %bb.692:
	v_lshlrev_b32_e32 v27, 3, v16
	v_lshlrev_b32_e32 v26, 9, v17
	ds_read_b64 v[10:11], v27 offset:14528
	ds_read_b64 v[28:29], v26 offset:14560
	v_cmp_gt_u32_e64 s[12:13], 12, v15
	s_waitcnt lgkmcnt(0)
	v_fma_f64 v[10:11], v[10:11], v[28:29], 0
	s_and_saveexec_b64 s[16:17], s[12:13]
	s_cbranch_execnz .LBB26_1198
; %bb.693:
	s_or_b64 exec, exec, s[16:17]
	v_cmp_gt_u32_e64 s[12:13], 8, v15
	s_and_saveexec_b64 s[16:17], s[12:13]
	s_cbranch_execnz .LBB26_1199
.LBB26_694:
	s_or_b64 exec, exec, s[16:17]
	v_cmp_gt_u32_e64 s[12:13], 4, v15
	s_and_saveexec_b64 s[16:17], s[12:13]
	s_cbranch_execz .LBB26_696
.LBB26_695:
	v_lshlrev_b32_e32 v26, 3, v0
	v_mov_b32_e32 v28, 0
	ds_read_b64 v[26:27], v26 offset:16064
	ds_read_b64 v[28:29], v28 offset:16120
	s_waitcnt lgkmcnt(0)
	v_fma_f64 v[10:11], v[26:27], v[28:29], v[10:11]
.LBB26_696:
	s_or_b64 exec, exec, s[16:17]
.LBB26_697:
	s_or_b64 exec, exec, s[14:15]
	s_and_saveexec_b64 s[12:13], s[38:39]
; %bb.698:
	v_xor_b32_e32 v27, 0x80000000, v11
	v_mov_b32_e32 v26, v10
	ds_write_b64 v19, v[26:27]
; %bb.699:
	s_or_b64 exec, exec, s[12:13]
	s_waitcnt lgkmcnt(0)
	s_barrier
	s_and_saveexec_b64 s[12:13], s[42:43]
	s_cbranch_execz .LBB26_701
; %bb.700:
	v_lshlrev_b32_e32 v26, 3, v16
	ds_read_b64 v[26:27], v26 offset:14016
	ds_read_b64 v[28:29], v19
	s_waitcnt lgkmcnt(0)
	v_fma_f64 v[10:11], -v[26:27], v[28:29], v[10:11]
.LBB26_701:
	s_or_b64 exec, exec, s[12:13]
	s_barrier
	s_and_saveexec_b64 s[12:13], s[44:45]
; %bb.702:
	v_xor_b32_e32 v27, 0x80000000, v11
	v_mov_b32_e32 v26, v10
	ds_write_b64 v19, v[26:27]
; %bb.703:
	s_or_b64 exec, exec, s[12:13]
	s_waitcnt lgkmcnt(0)
	s_barrier
	s_and_saveexec_b64 s[12:13], s[52:53]
	s_cbranch_execz .LBB26_705
; %bb.704:
	v_lshlrev_b32_e32 v26, 3, v16
	ds_read_b64 v[26:27], v26 offset:13504
	ds_read_b64 v[28:29], v19
	s_waitcnt lgkmcnt(0)
	v_fma_f64 v[10:11], -v[26:27], v[28:29], v[10:11]
.LBB26_705:
	s_or_b64 exec, exec, s[12:13]
	s_barrier
	s_and_saveexec_b64 s[12:13], s[54:55]
; %bb.706:
	v_xor_b32_e32 v27, 0x80000000, v11
	v_mov_b32_e32 v26, v10
	ds_write_b64 v19, v[26:27]
; %bb.707:
	s_or_b64 exec, exec, s[12:13]
	s_waitcnt lgkmcnt(0)
	s_barrier
	s_and_saveexec_b64 s[12:13], s[36:37]
	s_cbranch_execz .LBB26_709
; %bb.708:
	v_mov_b32_e32 v26, 0
	ds_read_b64 v[26:27], v26 offset:12992
	ds_read_b64 v[28:29], v19
	s_waitcnt lgkmcnt(0)
	v_fma_f64 v[10:11], -v[26:27], v[28:29], v[10:11]
.LBB26_709:
	s_or_b64 exec, exec, s[12:13]
	s_barrier
	s_and_saveexec_b64 s[12:13], s[36:37]
; %bb.710:
	v_xor_b32_e32 v27, 0x80000000, v11
	v_mov_b32_e32 v26, v10
	ds_write_b64 v19, v[26:27]
; %bb.711:
	s_or_b64 exec, exec, s[12:13]
	s_waitcnt lgkmcnt(0)
	s_barrier
	s_barrier
	s_and_saveexec_b64 s[12:13], s[18:19]
; %bb.712:
	v_lshlrev_b32_e32 v26, 3, v16
	v_lshl_or_b32 v26, v17, 9, v26
	ds_write_b64 v26, v[10:11] offset:14528
; %bb.713:
	s_or_b64 exec, exec, s[12:13]
	s_waitcnt lgkmcnt(0)
	s_barrier
	s_barrier
	s_and_saveexec_b64 s[12:13], s[56:57]
	s_cbranch_execz .LBB26_715
; %bb.714:
	v_lshlrev_b32_e32 v26, 9, v0
	ds_read_b64 v[10:11], v26 offset:14528
	s_movk_i32 s14, 0xfe08
	v_mad_i32_i24 v27, v0, s14, v26
	s_waitcnt lgkmcnt(0)
	ds_write_b64 v27, v[10:11] offset:12512
	ds_read_b64 v[10:11], v26 offset:14536
	s_waitcnt lgkmcnt(0)
	ds_write_b64 v27, v[10:11] offset:13024
	ds_read_b64 v[10:11], v26 offset:14544
	;; [unrolled: 3-line block ×3, first 2 shown]
	s_waitcnt lgkmcnt(0)
	ds_write_b64 v27, v[10:11] offset:14048
.LBB26_715:
	s_or_b64 exec, exec, s[12:13]
	s_waitcnt lgkmcnt(0)
	s_barrier
	s_and_saveexec_b64 s[12:13], vcc
	s_cbranch_execz .LBB26_717
; %bb.716:
	v_mov_b32_e32 v26, 0
	ds_read_b64 v[28:29], v26 offset:14032
	v_mov_b32_e32 v27, 0x3ff00000
	ds_write_b64 v26, v[26:27] offset:14040
	s_waitcnt lgkmcnt(1)
	ds_write_b128 v26, v[26:29] offset:13520
.LBB26_717:
	s_or_b64 exec, exec, s[12:13]
	v_mov_b32_e32 v10, 0
	v_mov_b32_e32 v11, 0
	s_waitcnt lgkmcnt(0)
	s_barrier
	buffer_wbinvl1_vol
	s_and_saveexec_b64 s[14:15], s[2:3]
	s_cbranch_execz .LBB26_721
; %bb.718:
	v_lshlrev_b32_e32 v26, 9, v13
	v_lshlrev_b32_e32 v10, 3, v12
	ds_read_b64 v[10:11], v10 offset:13504
	ds_read_b64 v[26:27], v26 offset:13520
	v_cmp_gt_u32_e64 s[12:13], 2, v15
	s_waitcnt lgkmcnt(0)
	v_fma_f64 v[10:11], v[10:11], v[26:27], 0
	s_and_saveexec_b64 s[16:17], s[12:13]
	s_cbranch_execz .LBB26_720
; %bb.719:
	v_lshlrev_b32_e32 v26, 3, v0
	v_mov_b32_e32 v28, 0
	ds_read_b64 v[26:27], v26 offset:14016
	ds_read_b64 v[28:29], v28 offset:14040
	s_waitcnt lgkmcnt(0)
	v_fma_f64 v[10:11], v[26:27], v[28:29], v[10:11]
.LBB26_720:
	s_or_b64 exec, exec, s[16:17]
.LBB26_721:
	s_or_b64 exec, exec, s[14:15]
	s_and_saveexec_b64 s[12:13], s[30:31]
; %bb.722:
	v_xor_b32_e32 v27, 0x80000000, v11
	v_mov_b32_e32 v26, v10
	ds_write_b64 v14, v[26:27]
; %bb.723:
	s_or_b64 exec, exec, s[12:13]
	s_waitcnt lgkmcnt(0)
	s_barrier
	s_and_saveexec_b64 s[12:13], s[28:29]
	s_cbranch_execz .LBB26_725
; %bb.724:
	v_mov_b32_e32 v26, 0
	ds_read_b64 v[26:27], v26 offset:12992
	ds_read_b64 v[28:29], v14
	s_waitcnt lgkmcnt(0)
	v_fma_f64 v[10:11], -v[26:27], v[28:29], v[10:11]
.LBB26_725:
	s_or_b64 exec, exec, s[12:13]
	s_barrier
	s_and_saveexec_b64 s[12:13], s[28:29]
; %bb.726:
	v_xor_b32_e32 v27, 0x80000000, v11
	v_mov_b32_e32 v26, v10
	ds_write_b64 v14, v[26:27]
; %bb.727:
	s_or_b64 exec, exec, s[12:13]
	s_waitcnt lgkmcnt(0)
	s_barrier
	s_barrier
	s_and_saveexec_b64 s[12:13], s[2:3]
; %bb.728:
	v_lshlrev_b32_e32 v26, 3, v12
	v_lshl_or_b32 v26, v13, 9, v26
	ds_write_b64 v26, v[10:11] offset:13504
; %bb.729:
	s_or_b64 exec, exec, s[12:13]
	s_waitcnt lgkmcnt(0)
	s_barrier
	s_barrier
	s_and_saveexec_b64 s[12:13], s[34:35]
	s_cbranch_execz .LBB26_731
; %bb.730:
	v_lshlrev_b32_e32 v26, 3, v0
	s_movk_i32 s14, 0x1f8
	v_mad_u32_u24 v27, v0, s14, v26
	ds_read_b64 v[10:11], v27 offset:13504
	s_waitcnt lgkmcnt(0)
	ds_write_b64 v26, v[10:11] offset:12496
	ds_read_b64 v[10:11], v27 offset:13512
	s_waitcnt lgkmcnt(0)
	ds_write_b64 v26, v[10:11] offset:13008
.LBB26_731:
	s_or_b64 exec, exec, s[12:13]
	s_waitcnt lgkmcnt(0)
	s_barrier
	s_and_saveexec_b64 s[12:13], vcc
	s_cbranch_execz .LBB26_733
; %bb.732:
	v_mov_b32_e32 v26, 0
	ds_read_b64 v[28:29], v26 offset:12992
	v_mov_b32_e32 v27, 0x3ff00000
	ds_write_b64 v26, v[26:27] offset:13000
	s_waitcnt lgkmcnt(1)
	ds_write_b128 v26, v[26:29] offset:12480
.LBB26_733:
	s_or_b64 exec, exec, s[12:13]
	v_mov_b32_e32 v10, 0
	v_mov_b32_e32 v11, 0
	s_waitcnt lgkmcnt(0)
	s_barrier
	buffer_wbinvl1_vol
	s_and_saveexec_b64 s[14:15], s[8:9]
	s_cbranch_execz .LBB26_743
; %bb.734:
	v_lshlrev_b32_e32 v27, 3, v20
	v_lshlrev_b32_e32 v26, 9, v21
	ds_read_b64 v[10:11], v27 offset:12416
	ds_read_b64 v[28:29], v26 offset:12480
	v_cmp_gt_u32_e64 s[12:13], 56, v15
	s_waitcnt lgkmcnt(0)
	v_fma_f64 v[10:11], v[10:11], v[28:29], 0
	s_and_saveexec_b64 s[16:17], s[12:13]
	s_cbranch_execnz .LBB26_1200
; %bb.735:
	s_or_b64 exec, exec, s[16:17]
	v_cmp_gt_u32_e64 s[12:13], 48, v15
	s_and_saveexec_b64 s[16:17], s[12:13]
	s_cbranch_execnz .LBB26_1201
.LBB26_736:
	s_or_b64 exec, exec, s[16:17]
	v_cmp_gt_u32_e64 s[12:13], 40, v15
	s_and_saveexec_b64 s[16:17], s[12:13]
	s_cbranch_execnz .LBB26_1202
.LBB26_737:
	s_or_b64 exec, exec, s[16:17]
	v_cmp_gt_u32_e64 s[12:13], 32, v15
	s_and_saveexec_b64 s[16:17], s[12:13]
	s_cbranch_execnz .LBB26_1203
.LBB26_738:
	s_or_b64 exec, exec, s[16:17]
	v_cmp_gt_u32_e64 s[12:13], 24, v15
	s_and_saveexec_b64 s[16:17], s[12:13]
	s_cbranch_execnz .LBB26_1204
.LBB26_739:
	s_or_b64 exec, exec, s[16:17]
	s_and_saveexec_b64 s[12:13], s[18:19]
	s_cbranch_execnz .LBB26_1205
.LBB26_740:
	s_or_b64 exec, exec, s[12:13]
	v_cmp_gt_u32_e64 s[12:13], 8, v15
	s_and_saveexec_b64 s[16:17], s[12:13]
	s_cbranch_execz .LBB26_742
.LBB26_741:
	v_lshlrev_b32_e32 v26, 3, v0
	v_mov_b32_e32 v28, 0
	ds_read_b64 v[26:27], v26 offset:16000
	ds_read_b64 v[28:29], v28 offset:16120
	s_waitcnt lgkmcnt(0)
	v_fma_f64 v[10:11], v[26:27], v[28:29], v[10:11]
.LBB26_742:
	s_or_b64 exec, exec, s[16:17]
.LBB26_743:
	s_or_b64 exec, exec, s[14:15]
	s_and_saveexec_b64 s[12:13], s[58:59]
; %bb.744:
	v_xor_b32_e32 v27, 0x80000000, v11
	v_mov_b32_e32 v26, v10
	ds_write_b64 v22, v[26:27]
; %bb.745:
	s_or_b64 exec, exec, s[12:13]
	s_waitcnt lgkmcnt(0)
	s_barrier
	s_and_saveexec_b64 s[12:13], s[60:61]
	s_cbranch_execz .LBB26_747
; %bb.746:
	v_lshlrev_b32_e32 v26, 3, v20
	ds_read_b64 v[26:27], v26 offset:11904
	ds_read_b64 v[28:29], v22
	s_waitcnt lgkmcnt(0)
	v_fma_f64 v[10:11], -v[26:27], v[28:29], v[10:11]
.LBB26_747:
	s_or_b64 exec, exec, s[12:13]
	s_barrier
	s_and_saveexec_b64 s[12:13], s[62:63]
; %bb.748:
	v_xor_b32_e32 v27, 0x80000000, v11
	v_mov_b32_e32 v26, v10
	ds_write_b64 v22, v[26:27]
; %bb.749:
	s_or_b64 exec, exec, s[12:13]
	s_waitcnt lgkmcnt(0)
	s_barrier
	s_and_saveexec_b64 s[12:13], s[64:65]
	s_cbranch_execz .LBB26_751
; %bb.750:
	v_lshlrev_b32_e32 v26, 3, v20
	ds_read_b64 v[26:27], v26 offset:11392
	ds_read_b64 v[28:29], v22
	s_waitcnt lgkmcnt(0)
	v_fma_f64 v[10:11], -v[26:27], v[28:29], v[10:11]
.LBB26_751:
	s_or_b64 exec, exec, s[12:13]
	s_barrier
	;; [unrolled: 20-line block ×6, first 2 shown]
	s_and_saveexec_b64 s[12:13], s[84:85]
; %bb.768:
	v_xor_b32_e32 v27, 0x80000000, v11
	v_mov_b32_e32 v26, v10
	ds_write_b64 v22, v[26:27]
; %bb.769:
	s_or_b64 exec, exec, s[12:13]
	s_waitcnt lgkmcnt(0)
	s_barrier
	s_and_saveexec_b64 s[12:13], s[68:69]
	s_cbranch_execz .LBB26_771
; %bb.770:
	v_mov_b32_e32 v26, 0
	ds_read_b64 v[26:27], v26 offset:8832
	ds_read_b64 v[28:29], v22
	s_waitcnt lgkmcnt(0)
	v_fma_f64 v[10:11], -v[26:27], v[28:29], v[10:11]
.LBB26_771:
	s_or_b64 exec, exec, s[12:13]
	s_barrier
	s_and_saveexec_b64 s[12:13], s[68:69]
; %bb.772:
	v_xor_b32_e32 v27, 0x80000000, v11
	v_mov_b32_e32 v26, v10
	ds_write_b64 v22, v[26:27]
; %bb.773:
	s_or_b64 exec, exec, s[12:13]
	s_waitcnt lgkmcnt(0)
	s_barrier
	s_barrier
	s_and_saveexec_b64 s[12:13], s[8:9]
; %bb.774:
	v_lshlrev_b32_e32 v26, 3, v20
	v_lshl_or_b32 v26, v21, 9, v26
	ds_write_b64 v26, v[10:11] offset:12416
; %bb.775:
	s_or_b64 exec, exec, s[12:13]
	s_waitcnt lgkmcnt(0)
	s_barrier
	s_barrier
	s_and_saveexec_b64 s[12:13], s[86:87]
	s_cbranch_execz .LBB26_777
; %bb.776:
	v_lshlrev_b32_e32 v26, 9, v0
	ds_read_b64 v[10:11], v26 offset:12416
	s_movk_i32 s14, 0xfe08
	v_mad_i32_i24 v27, v0, s14, v26
	s_waitcnt lgkmcnt(0)
	ds_write_b64 v27, v[10:11] offset:8384
	ds_read_b64 v[10:11], v26 offset:12424
	s_waitcnt lgkmcnt(0)
	ds_write_b64 v27, v[10:11] offset:8896
	ds_read_b64 v[10:11], v26 offset:12432
	;; [unrolled: 3-line block ×7, first 2 shown]
	s_waitcnt lgkmcnt(0)
	ds_write_b64 v27, v[10:11] offset:11968
.LBB26_777:
	s_or_b64 exec, exec, s[12:13]
	s_waitcnt lgkmcnt(0)
	s_barrier
	s_and_saveexec_b64 s[12:13], vcc
	s_cbranch_execz .LBB26_779
; %bb.778:
	v_mov_b32_e32 v26, 0
	ds_read_b64 v[28:29], v26 offset:11952
	v_mov_b32_e32 v27, 0x3ff00000
	ds_write_b64 v26, v[26:27] offset:11960
	s_waitcnt lgkmcnt(1)
	ds_write_b128 v26, v[26:29] offset:11440
.LBB26_779:
	s_or_b64 exec, exec, s[12:13]
	v_mov_b32_e32 v10, 0
	v_mov_b32_e32 v11, 0
	s_waitcnt lgkmcnt(0)
	s_barrier
	buffer_wbinvl1_vol
	s_and_saveexec_b64 s[14:15], s[2:3]
	s_cbranch_execz .LBB26_783
; %bb.780:
	v_lshlrev_b32_e32 v26, 9, v13
	v_lshlrev_b32_e32 v10, 3, v12
	ds_read_b64 v[10:11], v10 offset:11424
	ds_read_b64 v[26:27], v26 offset:11440
	v_cmp_gt_u32_e64 s[12:13], 2, v15
	s_waitcnt lgkmcnt(0)
	v_fma_f64 v[10:11], v[10:11], v[26:27], 0
	s_and_saveexec_b64 s[16:17], s[12:13]
	s_cbranch_execz .LBB26_782
; %bb.781:
	v_lshlrev_b32_e32 v26, 3, v0
	v_mov_b32_e32 v28, 0
	ds_read_b64 v[26:27], v26 offset:11936
	ds_read_b64 v[28:29], v28 offset:11960
	s_waitcnt lgkmcnt(0)
	v_fma_f64 v[10:11], v[26:27], v[28:29], v[10:11]
.LBB26_782:
	s_or_b64 exec, exec, s[16:17]
.LBB26_783:
	s_or_b64 exec, exec, s[14:15]
	s_and_saveexec_b64 s[12:13], s[30:31]
; %bb.784:
	v_xor_b32_e32 v27, 0x80000000, v11
	v_mov_b32_e32 v26, v10
	ds_write_b64 v14, v[26:27]
; %bb.785:
	s_or_b64 exec, exec, s[12:13]
	s_waitcnt lgkmcnt(0)
	s_barrier
	s_and_saveexec_b64 s[12:13], s[28:29]
	s_cbranch_execz .LBB26_787
; %bb.786:
	v_mov_b32_e32 v26, 0
	ds_read_b64 v[26:27], v26 offset:10912
	ds_read_b64 v[28:29], v14
	s_waitcnt lgkmcnt(0)
	v_fma_f64 v[10:11], -v[26:27], v[28:29], v[10:11]
.LBB26_787:
	s_or_b64 exec, exec, s[12:13]
	s_barrier
	s_and_saveexec_b64 s[12:13], s[28:29]
; %bb.788:
	v_xor_b32_e32 v27, 0x80000000, v11
	v_mov_b32_e32 v26, v10
	ds_write_b64 v14, v[26:27]
; %bb.789:
	s_or_b64 exec, exec, s[12:13]
	s_waitcnt lgkmcnt(0)
	s_barrier
	s_barrier
	s_and_saveexec_b64 s[12:13], s[2:3]
; %bb.790:
	v_lshlrev_b32_e32 v26, 3, v12
	v_lshl_or_b32 v26, v13, 9, v26
	ds_write_b64 v26, v[10:11] offset:11424
; %bb.791:
	s_or_b64 exec, exec, s[12:13]
	s_waitcnt lgkmcnt(0)
	s_barrier
	s_barrier
	s_and_saveexec_b64 s[12:13], s[34:35]
	s_cbranch_execz .LBB26_793
; %bb.792:
	v_lshlrev_b32_e32 v26, 3, v0
	s_movk_i32 s14, 0x1f8
	v_mad_u32_u24 v27, v0, s14, v26
	ds_read_b64 v[10:11], v27 offset:11424
	s_waitcnt lgkmcnt(0)
	ds_write_b64 v26, v[10:11] offset:10416
	ds_read_b64 v[10:11], v27 offset:11432
	s_waitcnt lgkmcnt(0)
	ds_write_b64 v26, v[10:11] offset:10928
.LBB26_793:
	s_or_b64 exec, exec, s[12:13]
	s_waitcnt lgkmcnt(0)
	s_barrier
	s_and_saveexec_b64 s[12:13], vcc
	s_cbranch_execz .LBB26_795
; %bb.794:
	v_mov_b32_e32 v26, 0
	ds_read_b64 v[28:29], v26 offset:10912
	v_mov_b32_e32 v27, 0x3ff00000
	ds_write_b64 v26, v[26:27] offset:10920
	s_waitcnt lgkmcnt(1)
	ds_write_b128 v26, v[26:29] offset:10400
.LBB26_795:
	s_or_b64 exec, exec, s[12:13]
	v_mov_b32_e32 v10, 0
	v_mov_b32_e32 v11, 0
	s_waitcnt lgkmcnt(0)
	s_barrier
	buffer_wbinvl1_vol
	s_and_saveexec_b64 s[14:15], s[18:19]
	s_cbranch_execz .LBB26_801
; %bb.796:
	v_lshlrev_b32_e32 v27, 3, v16
	v_lshlrev_b32_e32 v26, 9, v17
	ds_read_b64 v[10:11], v27 offset:10368
	ds_read_b64 v[28:29], v26 offset:10400
	v_cmp_gt_u32_e64 s[12:13], 12, v15
	s_waitcnt lgkmcnt(0)
	v_fma_f64 v[10:11], v[10:11], v[28:29], 0
	s_and_saveexec_b64 s[16:17], s[12:13]
	s_cbranch_execnz .LBB26_1206
; %bb.797:
	s_or_b64 exec, exec, s[16:17]
	v_cmp_gt_u32_e64 s[12:13], 8, v15
	s_and_saveexec_b64 s[16:17], s[12:13]
	s_cbranch_execnz .LBB26_1207
.LBB26_798:
	s_or_b64 exec, exec, s[16:17]
	v_cmp_gt_u32_e64 s[12:13], 4, v15
	s_and_saveexec_b64 s[16:17], s[12:13]
	s_cbranch_execz .LBB26_800
.LBB26_799:
	v_lshlrev_b32_e32 v26, 3, v0
	v_mov_b32_e32 v28, 0
	ds_read_b64 v[26:27], v26 offset:11904
	ds_read_b64 v[28:29], v28 offset:11960
	s_waitcnt lgkmcnt(0)
	v_fma_f64 v[10:11], v[26:27], v[28:29], v[10:11]
.LBB26_800:
	s_or_b64 exec, exec, s[16:17]
.LBB26_801:
	s_or_b64 exec, exec, s[14:15]
	s_and_saveexec_b64 s[12:13], s[38:39]
; %bb.802:
	v_xor_b32_e32 v27, 0x80000000, v11
	v_mov_b32_e32 v26, v10
	ds_write_b64 v19, v[26:27]
; %bb.803:
	s_or_b64 exec, exec, s[12:13]
	s_waitcnt lgkmcnt(0)
	s_barrier
	s_and_saveexec_b64 s[12:13], s[42:43]
	s_cbranch_execz .LBB26_805
; %bb.804:
	v_lshlrev_b32_e32 v26, 3, v16
	ds_read_b64 v[26:27], v26 offset:9856
	ds_read_b64 v[28:29], v19
	s_waitcnt lgkmcnt(0)
	v_fma_f64 v[10:11], -v[26:27], v[28:29], v[10:11]
.LBB26_805:
	s_or_b64 exec, exec, s[12:13]
	s_barrier
	s_and_saveexec_b64 s[12:13], s[44:45]
; %bb.806:
	v_xor_b32_e32 v27, 0x80000000, v11
	v_mov_b32_e32 v26, v10
	ds_write_b64 v19, v[26:27]
; %bb.807:
	s_or_b64 exec, exec, s[12:13]
	s_waitcnt lgkmcnt(0)
	s_barrier
	s_and_saveexec_b64 s[12:13], s[52:53]
	s_cbranch_execz .LBB26_809
; %bb.808:
	v_lshlrev_b32_e32 v26, 3, v16
	ds_read_b64 v[26:27], v26 offset:9344
	ds_read_b64 v[28:29], v19
	s_waitcnt lgkmcnt(0)
	v_fma_f64 v[10:11], -v[26:27], v[28:29], v[10:11]
.LBB26_809:
	s_or_b64 exec, exec, s[12:13]
	s_barrier
	s_and_saveexec_b64 s[12:13], s[54:55]
; %bb.810:
	v_xor_b32_e32 v27, 0x80000000, v11
	v_mov_b32_e32 v26, v10
	ds_write_b64 v19, v[26:27]
; %bb.811:
	s_or_b64 exec, exec, s[12:13]
	s_waitcnt lgkmcnt(0)
	s_barrier
	s_and_saveexec_b64 s[12:13], s[36:37]
	s_cbranch_execz .LBB26_813
; %bb.812:
	v_mov_b32_e32 v26, 0
	ds_read_b64 v[26:27], v26 offset:8832
	ds_read_b64 v[28:29], v19
	s_waitcnt lgkmcnt(0)
	v_fma_f64 v[10:11], -v[26:27], v[28:29], v[10:11]
.LBB26_813:
	s_or_b64 exec, exec, s[12:13]
	s_barrier
	s_and_saveexec_b64 s[12:13], s[36:37]
; %bb.814:
	v_xor_b32_e32 v27, 0x80000000, v11
	v_mov_b32_e32 v26, v10
	ds_write_b64 v19, v[26:27]
; %bb.815:
	s_or_b64 exec, exec, s[12:13]
	s_waitcnt lgkmcnt(0)
	s_barrier
	s_barrier
	s_and_saveexec_b64 s[12:13], s[18:19]
; %bb.816:
	v_lshlrev_b32_e32 v26, 3, v16
	v_lshl_or_b32 v26, v17, 9, v26
	ds_write_b64 v26, v[10:11] offset:10368
; %bb.817:
	s_or_b64 exec, exec, s[12:13]
	s_waitcnt lgkmcnt(0)
	s_barrier
	s_barrier
	s_and_saveexec_b64 s[12:13], s[56:57]
	s_cbranch_execz .LBB26_819
; %bb.818:
	v_lshlrev_b32_e32 v26, 9, v0
	ds_read_b64 v[10:11], v26 offset:10368
	s_movk_i32 s14, 0xfe08
	v_mad_i32_i24 v27, v0, s14, v26
	s_waitcnt lgkmcnt(0)
	ds_write_b64 v27, v[10:11] offset:8352
	ds_read_b64 v[10:11], v26 offset:10376
	s_waitcnt lgkmcnt(0)
	ds_write_b64 v27, v[10:11] offset:8864
	ds_read_b64 v[10:11], v26 offset:10384
	;; [unrolled: 3-line block ×3, first 2 shown]
	s_waitcnt lgkmcnt(0)
	ds_write_b64 v27, v[10:11] offset:9888
.LBB26_819:
	s_or_b64 exec, exec, s[12:13]
	s_waitcnt lgkmcnt(0)
	s_barrier
	s_and_saveexec_b64 s[12:13], vcc
	s_cbranch_execz .LBB26_821
; %bb.820:
	v_mov_b32_e32 v26, 0
	ds_read_b64 v[28:29], v26 offset:9872
	v_mov_b32_e32 v27, 0x3ff00000
	ds_write_b64 v26, v[26:27] offset:9880
	s_waitcnt lgkmcnt(1)
	ds_write_b128 v26, v[26:29] offset:9360
.LBB26_821:
	s_or_b64 exec, exec, s[12:13]
	v_mov_b32_e32 v10, 0
	v_mov_b32_e32 v11, 0
	s_waitcnt lgkmcnt(0)
	s_barrier
	buffer_wbinvl1_vol
	s_and_saveexec_b64 s[14:15], s[2:3]
	s_cbranch_execz .LBB26_825
; %bb.822:
	v_lshlrev_b32_e32 v26, 9, v13
	v_lshlrev_b32_e32 v10, 3, v12
	ds_read_b64 v[10:11], v10 offset:9344
	ds_read_b64 v[26:27], v26 offset:9360
	v_cmp_gt_u32_e64 s[12:13], 2, v15
	s_waitcnt lgkmcnt(0)
	v_fma_f64 v[10:11], v[10:11], v[26:27], 0
	s_and_saveexec_b64 s[16:17], s[12:13]
	s_cbranch_execz .LBB26_824
; %bb.823:
	v_lshlrev_b32_e32 v26, 3, v0
	v_mov_b32_e32 v28, 0
	ds_read_b64 v[26:27], v26 offset:9856
	ds_read_b64 v[28:29], v28 offset:9880
	s_waitcnt lgkmcnt(0)
	v_fma_f64 v[10:11], v[26:27], v[28:29], v[10:11]
.LBB26_824:
	s_or_b64 exec, exec, s[16:17]
.LBB26_825:
	s_or_b64 exec, exec, s[14:15]
	s_and_saveexec_b64 s[12:13], s[30:31]
; %bb.826:
	v_xor_b32_e32 v27, 0x80000000, v11
	v_mov_b32_e32 v26, v10
	ds_write_b64 v14, v[26:27]
; %bb.827:
	s_or_b64 exec, exec, s[12:13]
	s_waitcnt lgkmcnt(0)
	s_barrier
	s_and_saveexec_b64 s[12:13], s[28:29]
	s_cbranch_execz .LBB26_829
; %bb.828:
	v_mov_b32_e32 v26, 0
	ds_read_b64 v[26:27], v26 offset:8832
	ds_read_b64 v[28:29], v14
	s_waitcnt lgkmcnt(0)
	v_fma_f64 v[10:11], -v[26:27], v[28:29], v[10:11]
.LBB26_829:
	s_or_b64 exec, exec, s[12:13]
	s_barrier
	s_and_saveexec_b64 s[12:13], s[28:29]
; %bb.830:
	v_xor_b32_e32 v27, 0x80000000, v11
	v_mov_b32_e32 v26, v10
	ds_write_b64 v14, v[26:27]
; %bb.831:
	s_or_b64 exec, exec, s[12:13]
	s_waitcnt lgkmcnt(0)
	s_barrier
	s_barrier
	s_and_saveexec_b64 s[12:13], s[2:3]
; %bb.832:
	v_lshlrev_b32_e32 v26, 3, v12
	v_lshl_or_b32 v26, v13, 9, v26
	ds_write_b64 v26, v[10:11] offset:9344
; %bb.833:
	s_or_b64 exec, exec, s[12:13]
	s_waitcnt lgkmcnt(0)
	s_barrier
	s_barrier
	s_and_saveexec_b64 s[12:13], s[34:35]
	s_cbranch_execz .LBB26_835
; %bb.834:
	v_lshlrev_b32_e32 v26, 3, v0
	s_movk_i32 s14, 0x1f8
	v_mad_u32_u24 v27, v0, s14, v26
	ds_read_b64 v[10:11], v27 offset:9344
	s_waitcnt lgkmcnt(0)
	ds_write_b64 v26, v[10:11] offset:8336
	ds_read_b64 v[10:11], v27 offset:9352
	s_waitcnt lgkmcnt(0)
	ds_write_b64 v26, v[10:11] offset:8848
.LBB26_835:
	s_or_b64 exec, exec, s[12:13]
	s_waitcnt lgkmcnt(0)
	s_barrier
	s_and_saveexec_b64 s[12:13], vcc
	s_cbranch_execz .LBB26_837
; %bb.836:
	v_mov_b32_e32 v26, 0
	ds_read_b64 v[28:29], v26 offset:8832
	v_mov_b32_e32 v27, 0x3ff00000
	ds_write_b64 v26, v[26:27] offset:8840
	s_waitcnt lgkmcnt(1)
	ds_write_b128 v26, v[26:29] offset:8320
.LBB26_837:
	s_or_b64 exec, exec, s[12:13]
	v_mov_b32_e32 v10, 0
	v_mov_b32_e32 v11, 0
	s_waitcnt lgkmcnt(0)
	s_barrier
	buffer_wbinvl1_vol
	s_and_saveexec_b64 s[14:15], s[10:11]
	s_cbranch_execz .LBB26_865
; %bb.838:
	v_lshlrev_b32_e32 v27, 3, v23
	v_lshlrev_b32_e32 v26, 9, v24
	ds_read_b64 v[10:11], v27 offset:8192
	ds_read_b64 v[28:29], v26 offset:8320
	s_movk_i32 s12, 0xf0
	v_cmp_gt_u32_e64 s[12:13], s12, v15
	s_waitcnt lgkmcnt(0)
	v_fma_f64 v[10:11], v[10:11], v[28:29], 0
	s_and_saveexec_b64 s[16:17], s[12:13]
	s_cbranch_execz .LBB26_840
; %bb.839:
	ds_read_b64 v[28:29], v27 offset:8704
	ds_read_b64 v[30:31], v26 offset:8328
	s_waitcnt lgkmcnt(0)
	v_fma_f64 v[10:11], v[28:29], v[30:31], v[10:11]
.LBB26_840:
	s_or_b64 exec, exec, s[16:17]
	s_movk_i32 s12, 0xe0
	v_cmp_gt_u32_e64 s[12:13], s12, v15
	s_and_saveexec_b64 s[16:17], s[12:13]
	s_cbranch_execz .LBB26_842
; %bb.841:
	ds_read_b64 v[28:29], v27 offset:9216
	ds_read_b64 v[30:31], v26 offset:8336
	s_waitcnt lgkmcnt(0)
	v_fma_f64 v[10:11], v[28:29], v[30:31], v[10:11]
.LBB26_842:
	s_or_b64 exec, exec, s[16:17]
	s_movk_i32 s12, 0xd0
	v_cmp_gt_u32_e64 s[12:13], s12, v15
	;; [unrolled: 11-line block ×10, first 2 shown]
	s_and_saveexec_b64 s[16:17], s[12:13]
	s_cbranch_execnz .LBB26_1208
; %bb.859:
	s_or_b64 exec, exec, s[16:17]
	s_and_saveexec_b64 s[12:13], s[8:9]
	s_cbranch_execnz .LBB26_1209
.LBB26_860:
	s_or_b64 exec, exec, s[12:13]
	v_cmp_gt_u32_e64 s[12:13], 48, v15
	s_and_saveexec_b64 s[16:17], s[12:13]
	s_cbranch_execnz .LBB26_1210
.LBB26_861:
	s_or_b64 exec, exec, s[16:17]
	v_cmp_gt_u32_e64 s[12:13], 32, v15
	s_and_saveexec_b64 s[16:17], s[12:13]
	s_cbranch_execnz .LBB26_1211
.LBB26_862:
	s_or_b64 exec, exec, s[16:17]
	v_cmp_gt_u32_e64 s[12:13], 16, v15
	s_and_saveexec_b64 s[16:17], s[12:13]
	s_cbranch_execz .LBB26_864
.LBB26_863:
	v_lshlrev_b32_e32 v26, 3, v0
	v_mov_b32_e32 v28, 0
	ds_read_b64 v[26:27], v26 offset:15872
	ds_read_b64 v[28:29], v28 offset:16120
	s_waitcnt lgkmcnt(0)
	v_fma_f64 v[10:11], v[26:27], v[28:29], v[10:11]
.LBB26_864:
	s_or_b64 exec, exec, s[16:17]
.LBB26_865:
	s_or_b64 exec, exec, s[14:15]
	s_mov_b64 s[12:13], exec
	v_readlane_b32 s14, v35, 4
	v_readlane_b32 s15, v35, 5
	s_and_b64 s[14:15], s[12:13], s[14:15]
	s_mov_b64 exec, s[14:15]
; %bb.866:
	v_xor_b32_e32 v27, 0x80000000, v11
	v_mov_b32_e32 v26, v10
	ds_write_b64 v25, v[26:27]
; %bb.867:
	s_or_b64 exec, exec, s[12:13]
	s_waitcnt lgkmcnt(0)
	s_barrier
	s_mov_b64 s[12:13], exec
	v_readlane_b32 s14, v35, 6
	v_readlane_b32 s15, v35, 7
	s_and_b64 s[14:15], s[12:13], s[14:15]
	s_mov_b64 exec, s[14:15]
	s_cbranch_execz .LBB26_869
; %bb.868:
	v_lshlrev_b32_e32 v26, 3, v23
	ds_read_b64 v[26:27], v26 offset:7680
	ds_read_b64 v[28:29], v25
	s_waitcnt lgkmcnt(0)
	v_fma_f64 v[10:11], -v[26:27], v[28:29], v[10:11]
.LBB26_869:
	s_or_b64 exec, exec, s[12:13]
	s_barrier
	s_mov_b64 s[12:13], exec
	v_readlane_b32 s14, v35, 8
	v_readlane_b32 s15, v35, 9
	s_and_b64 s[14:15], s[12:13], s[14:15]
	s_mov_b64 exec, s[14:15]
; %bb.870:
	v_xor_b32_e32 v27, 0x80000000, v11
	v_mov_b32_e32 v26, v10
	ds_write_b64 v25, v[26:27]
; %bb.871:
	s_or_b64 exec, exec, s[12:13]
	s_waitcnt lgkmcnt(0)
	s_barrier
	s_mov_b64 s[12:13], exec
	v_readlane_b32 s14, v35, 10
	v_readlane_b32 s15, v35, 11
	s_and_b64 s[14:15], s[12:13], s[14:15]
	s_mov_b64 exec, s[14:15]
	s_cbranch_execz .LBB26_873
; %bb.872:
	v_lshlrev_b32_e32 v26, 3, v23
	ds_read_b64 v[26:27], v26 offset:7168
	ds_read_b64 v[28:29], v25
	s_waitcnt lgkmcnt(0)
	v_fma_f64 v[10:11], -v[26:27], v[28:29], v[10:11]
.LBB26_873:
	s_or_b64 exec, exec, s[12:13]
	s_barrier
	;; [unrolled: 28-line block ×13, first 2 shown]
	s_mov_b64 s[12:13], exec
	v_readlane_b32 s14, v35, 56
	v_readlane_b32 s15, v35, 57
	s_and_b64 s[14:15], s[12:13], s[14:15]
	s_mov_b64 exec, s[14:15]
; %bb.918:
	v_xor_b32_e32 v27, 0x80000000, v11
	v_mov_b32_e32 v26, v10
	ds_write_b64 v25, v[26:27]
; %bb.919:
	s_or_b64 exec, exec, s[12:13]
	s_waitcnt lgkmcnt(0)
	s_barrier
	s_and_saveexec_b64 s[12:13], s[0:1]
	s_cbranch_execz .LBB26_921
; %bb.920:
	v_lshlrev_b32_e32 v26, 3, v23
	ds_read_b64 v[26:27], v26 offset:1024
	ds_read_b64 v[28:29], v25
	s_waitcnt lgkmcnt(0)
	v_fma_f64 v[10:11], -v[26:27], v[28:29], v[10:11]
.LBB26_921:
	s_or_b64 exec, exec, s[12:13]
	s_barrier
	s_mov_b64 s[0:1], exec
	v_readlane_b32 s12, v35, 58
	v_readlane_b32 s13, v35, 59
	s_and_b64 s[12:13], s[0:1], s[12:13]
	s_mov_b64 exec, s[12:13]
; %bb.922:
	v_xor_b32_e32 v27, 0x80000000, v11
	v_mov_b32_e32 v26, v10
	ds_write_b64 v25, v[26:27]
; %bb.923:
	s_or_b64 exec, exec, s[0:1]
	s_waitcnt lgkmcnt(0)
	s_barrier
	s_and_saveexec_b64 s[0:1], s[94:95]
	s_cbranch_execz .LBB26_925
; %bb.924:
	v_mov_b32_e32 v26, 0
	ds_read_b64 v[26:27], v26 offset:512
	ds_read_b64 v[28:29], v25
	s_waitcnt lgkmcnt(0)
	v_fma_f64 v[10:11], -v[26:27], v[28:29], v[10:11]
.LBB26_925:
	s_or_b64 exec, exec, s[0:1]
	s_barrier
	s_and_saveexec_b64 s[0:1], s[94:95]
; %bb.926:
	v_xor_b32_e32 v27, 0x80000000, v11
	v_mov_b32_e32 v26, v10
	ds_write_b64 v25, v[26:27]
; %bb.927:
	s_or_b64 exec, exec, s[0:1]
	s_waitcnt lgkmcnt(0)
	s_barrier
	s_barrier
	s_and_saveexec_b64 s[0:1], s[10:11]
; %bb.928:
	v_lshlrev_b32_e32 v23, 3, v23
	v_lshl_or_b32 v23, v24, 9, v23
	ds_write_b64 v23, v[10:11] offset:8192
; %bb.929:
	s_or_b64 exec, exec, s[0:1]
	s_waitcnt lgkmcnt(0)
	s_barrier
	s_barrier
	s_and_saveexec_b64 s[0:1], s[90:91]
	s_cbranch_execz .LBB26_931
; %bb.930:
	v_lshlrev_b32_e32 v23, 9, v0
	ds_read_b64 v[10:11], v23 offset:8192
	s_movk_i32 s10, 0xfe08
	v_mad_i32_i24 v24, v0, s10, v23
	s_waitcnt lgkmcnt(0)
	ds_write_b64 v24, v[10:11] offset:128
	ds_read_b64 v[10:11], v23 offset:8200
	s_waitcnt lgkmcnt(0)
	ds_write_b64 v24, v[10:11] offset:640
	ds_read_b64 v[10:11], v23 offset:8208
	;; [unrolled: 3-line block ×15, first 2 shown]
	s_waitcnt lgkmcnt(0)
	ds_write_b64 v24, v[10:11] offset:7808
.LBB26_931:
	s_or_b64 exec, exec, s[0:1]
	s_waitcnt lgkmcnt(0)
	s_barrier
	s_and_saveexec_b64 s[0:1], vcc
	s_cbranch_execz .LBB26_933
; %bb.932:
	v_mov_b32_e32 v23, 0
	ds_read_b64 v[25:26], v23 offset:7792
	v_mov_b32_e32 v24, 0x3ff00000
	ds_write_b64 v23, v[23:24] offset:7800
	s_waitcnt lgkmcnt(1)
	ds_write_b128 v23, v[23:26] offset:7280
.LBB26_933:
	s_or_b64 exec, exec, s[0:1]
	v_mov_b32_e32 v10, 0
	v_mov_b32_e32 v11, 0
	s_waitcnt lgkmcnt(0)
	s_barrier
	buffer_wbinvl1_vol
	s_and_saveexec_b64 s[0:1], s[2:3]
	s_cbranch_execz .LBB26_937
; %bb.934:
	v_lshlrev_b32_e32 v23, 9, v13
	v_lshlrev_b32_e32 v10, 3, v12
	ds_read_b64 v[10:11], v10 offset:7264
	ds_read_b64 v[23:24], v23 offset:7280
	v_cmp_gt_u32_e64 s[10:11], 2, v15
	s_waitcnt lgkmcnt(0)
	v_fma_f64 v[10:11], v[10:11], v[23:24], 0
	s_and_saveexec_b64 s[12:13], s[10:11]
	s_cbranch_execz .LBB26_936
; %bb.935:
	v_lshlrev_b32_e32 v23, 3, v0
	v_mov_b32_e32 v25, 0
	ds_read_b64 v[23:24], v23 offset:7776
	ds_read_b64 v[25:26], v25 offset:7800
	s_waitcnt lgkmcnt(0)
	v_fma_f64 v[10:11], v[23:24], v[25:26], v[10:11]
.LBB26_936:
	s_or_b64 exec, exec, s[12:13]
.LBB26_937:
	s_or_b64 exec, exec, s[0:1]
	s_and_saveexec_b64 s[0:1], s[30:31]
; %bb.938:
	v_xor_b32_e32 v24, 0x80000000, v11
	v_mov_b32_e32 v23, v10
	ds_write_b64 v14, v[23:24]
; %bb.939:
	s_or_b64 exec, exec, s[0:1]
	s_waitcnt lgkmcnt(0)
	s_barrier
	s_and_saveexec_b64 s[0:1], s[28:29]
	s_cbranch_execz .LBB26_941
; %bb.940:
	v_mov_b32_e32 v23, 0
	ds_read_b64 v[23:24], v23 offset:6752
	ds_read_b64 v[25:26], v14
	s_waitcnt lgkmcnt(0)
	v_fma_f64 v[10:11], -v[23:24], v[25:26], v[10:11]
.LBB26_941:
	s_or_b64 exec, exec, s[0:1]
	s_barrier
	s_and_saveexec_b64 s[0:1], s[28:29]
; %bb.942:
	v_xor_b32_e32 v24, 0x80000000, v11
	v_mov_b32_e32 v23, v10
	ds_write_b64 v14, v[23:24]
; %bb.943:
	s_or_b64 exec, exec, s[0:1]
	s_waitcnt lgkmcnt(0)
	s_barrier
	s_barrier
	s_and_saveexec_b64 s[0:1], s[2:3]
; %bb.944:
	v_lshlrev_b32_e32 v23, 3, v12
	v_lshl_or_b32 v23, v13, 9, v23
	ds_write_b64 v23, v[10:11] offset:7264
; %bb.945:
	s_or_b64 exec, exec, s[0:1]
	s_waitcnt lgkmcnt(0)
	s_barrier
	s_barrier
	s_and_saveexec_b64 s[0:1], s[34:35]
	s_cbranch_execz .LBB26_947
; %bb.946:
	v_lshlrev_b32_e32 v23, 3, v0
	s_movk_i32 s10, 0x1f8
	v_mad_u32_u24 v24, v0, s10, v23
	ds_read_b64 v[10:11], v24 offset:7264
	s_waitcnt lgkmcnt(0)
	ds_write_b64 v23, v[10:11] offset:6256
	ds_read_b64 v[10:11], v24 offset:7272
	s_waitcnt lgkmcnt(0)
	ds_write_b64 v23, v[10:11] offset:6768
.LBB26_947:
	s_or_b64 exec, exec, s[0:1]
	s_waitcnt lgkmcnt(0)
	s_barrier
	s_and_saveexec_b64 s[0:1], vcc
	s_cbranch_execz .LBB26_949
; %bb.948:
	v_mov_b32_e32 v23, 0
	ds_read_b64 v[25:26], v23 offset:6752
	v_mov_b32_e32 v24, 0x3ff00000
	ds_write_b64 v23, v[23:24] offset:6760
	s_waitcnt lgkmcnt(1)
	ds_write_b128 v23, v[23:26] offset:6240
.LBB26_949:
	s_or_b64 exec, exec, s[0:1]
	v_mov_b32_e32 v10, 0
	v_mov_b32_e32 v11, 0
	s_waitcnt lgkmcnt(0)
	s_barrier
	buffer_wbinvl1_vol
	s_and_saveexec_b64 s[0:1], s[18:19]
	s_cbranch_execz .LBB26_955
; %bb.950:
	v_lshlrev_b32_e32 v24, 3, v16
	v_lshlrev_b32_e32 v23, 9, v17
	ds_read_b64 v[10:11], v24 offset:6208
	ds_read_b64 v[25:26], v23 offset:6240
	v_cmp_gt_u32_e64 s[10:11], 12, v15
	s_waitcnt lgkmcnt(0)
	v_fma_f64 v[10:11], v[10:11], v[25:26], 0
	s_and_saveexec_b64 s[12:13], s[10:11]
	s_cbranch_execnz .LBB26_1212
; %bb.951:
	s_or_b64 exec, exec, s[12:13]
	v_cmp_gt_u32_e64 s[10:11], 8, v15
	s_and_saveexec_b64 s[12:13], s[10:11]
	s_cbranch_execnz .LBB26_1213
.LBB26_952:
	s_or_b64 exec, exec, s[12:13]
	v_cmp_gt_u32_e64 s[10:11], 4, v15
	s_and_saveexec_b64 s[12:13], s[10:11]
	s_cbranch_execz .LBB26_954
.LBB26_953:
	v_lshlrev_b32_e32 v23, 3, v0
	v_mov_b32_e32 v25, 0
	ds_read_b64 v[23:24], v23 offset:7744
	ds_read_b64 v[25:26], v25 offset:7800
	s_waitcnt lgkmcnt(0)
	v_fma_f64 v[10:11], v[23:24], v[25:26], v[10:11]
.LBB26_954:
	s_or_b64 exec, exec, s[12:13]
.LBB26_955:
	s_or_b64 exec, exec, s[0:1]
	s_and_saveexec_b64 s[0:1], s[38:39]
; %bb.956:
	v_xor_b32_e32 v24, 0x80000000, v11
	v_mov_b32_e32 v23, v10
	ds_write_b64 v19, v[23:24]
; %bb.957:
	s_or_b64 exec, exec, s[0:1]
	s_waitcnt lgkmcnt(0)
	s_barrier
	s_and_saveexec_b64 s[0:1], s[42:43]
	s_cbranch_execz .LBB26_959
; %bb.958:
	v_lshlrev_b32_e32 v23, 3, v16
	ds_read_b64 v[23:24], v23 offset:5696
	ds_read_b64 v[25:26], v19
	s_waitcnt lgkmcnt(0)
	v_fma_f64 v[10:11], -v[23:24], v[25:26], v[10:11]
.LBB26_959:
	s_or_b64 exec, exec, s[0:1]
	s_barrier
	s_and_saveexec_b64 s[0:1], s[44:45]
; %bb.960:
	v_xor_b32_e32 v24, 0x80000000, v11
	v_mov_b32_e32 v23, v10
	ds_write_b64 v19, v[23:24]
; %bb.961:
	s_or_b64 exec, exec, s[0:1]
	s_waitcnt lgkmcnt(0)
	s_barrier
	s_and_saveexec_b64 s[0:1], s[52:53]
	s_cbranch_execz .LBB26_963
; %bb.962:
	v_lshlrev_b32_e32 v23, 3, v16
	ds_read_b64 v[23:24], v23 offset:5184
	ds_read_b64 v[25:26], v19
	s_waitcnt lgkmcnt(0)
	v_fma_f64 v[10:11], -v[23:24], v[25:26], v[10:11]
.LBB26_963:
	s_or_b64 exec, exec, s[0:1]
	s_barrier
	s_and_saveexec_b64 s[0:1], s[54:55]
; %bb.964:
	v_xor_b32_e32 v24, 0x80000000, v11
	v_mov_b32_e32 v23, v10
	ds_write_b64 v19, v[23:24]
; %bb.965:
	s_or_b64 exec, exec, s[0:1]
	s_waitcnt lgkmcnt(0)
	s_barrier
	s_and_saveexec_b64 s[0:1], s[36:37]
	s_cbranch_execz .LBB26_967
; %bb.966:
	v_mov_b32_e32 v23, 0
	ds_read_b64 v[23:24], v23 offset:4672
	ds_read_b64 v[25:26], v19
	s_waitcnt lgkmcnt(0)
	v_fma_f64 v[10:11], -v[23:24], v[25:26], v[10:11]
.LBB26_967:
	s_or_b64 exec, exec, s[0:1]
	s_barrier
	s_and_saveexec_b64 s[0:1], s[36:37]
; %bb.968:
	v_xor_b32_e32 v24, 0x80000000, v11
	v_mov_b32_e32 v23, v10
	ds_write_b64 v19, v[23:24]
; %bb.969:
	s_or_b64 exec, exec, s[0:1]
	s_waitcnt lgkmcnt(0)
	s_barrier
	s_barrier
	s_and_saveexec_b64 s[0:1], s[18:19]
; %bb.970:
	v_lshlrev_b32_e32 v23, 3, v16
	v_lshl_or_b32 v23, v17, 9, v23
	ds_write_b64 v23, v[10:11] offset:6208
; %bb.971:
	s_or_b64 exec, exec, s[0:1]
	s_waitcnt lgkmcnt(0)
	s_barrier
	s_barrier
	s_and_saveexec_b64 s[0:1], s[56:57]
	s_cbranch_execz .LBB26_973
; %bb.972:
	v_lshlrev_b32_e32 v23, 9, v0
	ds_read_b64 v[10:11], v23 offset:6208
	s_movk_i32 s10, 0xfe08
	v_mad_i32_i24 v24, v0, s10, v23
	s_waitcnt lgkmcnt(0)
	ds_write_b64 v24, v[10:11] offset:4192
	ds_read_b64 v[10:11], v23 offset:6216
	s_waitcnt lgkmcnt(0)
	ds_write_b64 v24, v[10:11] offset:4704
	ds_read_b64 v[10:11], v23 offset:6224
	;; [unrolled: 3-line block ×3, first 2 shown]
	s_waitcnt lgkmcnt(0)
	ds_write_b64 v24, v[10:11] offset:5728
.LBB26_973:
	s_or_b64 exec, exec, s[0:1]
	s_waitcnt lgkmcnt(0)
	s_barrier
	s_and_saveexec_b64 s[0:1], vcc
	s_cbranch_execz .LBB26_975
; %bb.974:
	v_mov_b32_e32 v23, 0
	ds_read_b64 v[25:26], v23 offset:5712
	v_mov_b32_e32 v24, 0x3ff00000
	ds_write_b64 v23, v[23:24] offset:5720
	s_waitcnt lgkmcnt(1)
	ds_write_b128 v23, v[23:26] offset:5200
.LBB26_975:
	s_or_b64 exec, exec, s[0:1]
	v_mov_b32_e32 v10, 0
	v_mov_b32_e32 v11, 0
	s_waitcnt lgkmcnt(0)
	s_barrier
	buffer_wbinvl1_vol
	s_and_saveexec_b64 s[0:1], s[2:3]
	s_cbranch_execz .LBB26_979
; %bb.976:
	v_lshlrev_b32_e32 v23, 9, v13
	v_lshlrev_b32_e32 v10, 3, v12
	ds_read_b64 v[10:11], v10 offset:5184
	ds_read_b64 v[23:24], v23 offset:5200
	v_cmp_gt_u32_e64 s[10:11], 2, v15
	s_waitcnt lgkmcnt(0)
	v_fma_f64 v[10:11], v[10:11], v[23:24], 0
	s_and_saveexec_b64 s[12:13], s[10:11]
	s_cbranch_execz .LBB26_978
; %bb.977:
	v_lshlrev_b32_e32 v23, 3, v0
	v_mov_b32_e32 v25, 0
	ds_read_b64 v[23:24], v23 offset:5696
	ds_read_b64 v[25:26], v25 offset:5720
	s_waitcnt lgkmcnt(0)
	v_fma_f64 v[10:11], v[23:24], v[25:26], v[10:11]
.LBB26_978:
	s_or_b64 exec, exec, s[12:13]
.LBB26_979:
	s_or_b64 exec, exec, s[0:1]
	s_and_saveexec_b64 s[0:1], s[30:31]
; %bb.980:
	v_xor_b32_e32 v24, 0x80000000, v11
	v_mov_b32_e32 v23, v10
	ds_write_b64 v14, v[23:24]
; %bb.981:
	s_or_b64 exec, exec, s[0:1]
	s_waitcnt lgkmcnt(0)
	s_barrier
	s_and_saveexec_b64 s[0:1], s[28:29]
	s_cbranch_execz .LBB26_983
; %bb.982:
	v_mov_b32_e32 v23, 0
	ds_read_b64 v[23:24], v23 offset:4672
	ds_read_b64 v[25:26], v14
	s_waitcnt lgkmcnt(0)
	v_fma_f64 v[10:11], -v[23:24], v[25:26], v[10:11]
.LBB26_983:
	s_or_b64 exec, exec, s[0:1]
	s_barrier
	s_and_saveexec_b64 s[0:1], s[28:29]
; %bb.984:
	v_xor_b32_e32 v24, 0x80000000, v11
	v_mov_b32_e32 v23, v10
	ds_write_b64 v14, v[23:24]
; %bb.985:
	s_or_b64 exec, exec, s[0:1]
	s_waitcnt lgkmcnt(0)
	s_barrier
	s_barrier
	s_and_saveexec_b64 s[0:1], s[2:3]
; %bb.986:
	v_lshlrev_b32_e32 v23, 3, v12
	v_lshl_or_b32 v23, v13, 9, v23
	ds_write_b64 v23, v[10:11] offset:5184
; %bb.987:
	s_or_b64 exec, exec, s[0:1]
	s_waitcnt lgkmcnt(0)
	s_barrier
	s_barrier
	s_and_saveexec_b64 s[0:1], s[34:35]
	s_cbranch_execz .LBB26_989
; %bb.988:
	v_lshlrev_b32_e32 v23, 3, v0
	s_movk_i32 s10, 0x1f8
	v_mad_u32_u24 v24, v0, s10, v23
	ds_read_b64 v[10:11], v24 offset:5184
	s_waitcnt lgkmcnt(0)
	ds_write_b64 v23, v[10:11] offset:4176
	ds_read_b64 v[10:11], v24 offset:5192
	s_waitcnt lgkmcnt(0)
	ds_write_b64 v23, v[10:11] offset:4688
.LBB26_989:
	s_or_b64 exec, exec, s[0:1]
	s_waitcnt lgkmcnt(0)
	s_barrier
	s_and_saveexec_b64 s[0:1], vcc
	s_cbranch_execz .LBB26_991
; %bb.990:
	v_mov_b32_e32 v23, 0
	ds_read_b64 v[25:26], v23 offset:4672
	v_mov_b32_e32 v24, 0x3ff00000
	ds_write_b64 v23, v[23:24] offset:4680
	s_waitcnt lgkmcnt(1)
	ds_write_b128 v23, v[23:26] offset:4160
.LBB26_991:
	s_or_b64 exec, exec, s[0:1]
	v_mov_b32_e32 v10, 0
	v_mov_b32_e32 v11, 0
	s_waitcnt lgkmcnt(0)
	s_barrier
	buffer_wbinvl1_vol
	s_and_saveexec_b64 s[0:1], s[8:9]
	s_cbranch_execz .LBB26_1001
; %bb.992:
	v_lshlrev_b32_e32 v24, 3, v20
	v_lshlrev_b32_e32 v23, 9, v21
	ds_read_b64 v[10:11], v24 offset:4096
	ds_read_b64 v[25:26], v23 offset:4160
	v_cmp_gt_u32_e64 s[10:11], 56, v15
	s_waitcnt lgkmcnt(0)
	v_fma_f64 v[10:11], v[10:11], v[25:26], 0
	s_and_saveexec_b64 s[12:13], s[10:11]
	s_cbranch_execnz .LBB26_1214
; %bb.993:
	s_or_b64 exec, exec, s[12:13]
	v_cmp_gt_u32_e64 s[10:11], 48, v15
	s_and_saveexec_b64 s[12:13], s[10:11]
	s_cbranch_execnz .LBB26_1215
.LBB26_994:
	s_or_b64 exec, exec, s[12:13]
	v_cmp_gt_u32_e64 s[10:11], 40, v15
	s_and_saveexec_b64 s[12:13], s[10:11]
	s_cbranch_execnz .LBB26_1216
.LBB26_995:
	s_or_b64 exec, exec, s[12:13]
	v_cmp_gt_u32_e64 s[10:11], 32, v15
	s_and_saveexec_b64 s[12:13], s[10:11]
	s_cbranch_execnz .LBB26_1217
.LBB26_996:
	s_or_b64 exec, exec, s[12:13]
	v_cmp_gt_u32_e64 s[10:11], 24, v15
	s_and_saveexec_b64 s[12:13], s[10:11]
	s_cbranch_execnz .LBB26_1218
.LBB26_997:
	s_or_b64 exec, exec, s[12:13]
	s_and_saveexec_b64 s[10:11], s[18:19]
	s_cbranch_execnz .LBB26_1219
.LBB26_998:
	s_or_b64 exec, exec, s[10:11]
	v_cmp_gt_u32_e64 s[10:11], 8, v15
	s_and_saveexec_b64 s[12:13], s[10:11]
	s_cbranch_execz .LBB26_1000
.LBB26_999:
	v_lshlrev_b32_e32 v23, 3, v0
	v_mov_b32_e32 v25, 0
	ds_read_b64 v[23:24], v23 offset:7680
	ds_read_b64 v[25:26], v25 offset:7800
	s_waitcnt lgkmcnt(0)
	v_fma_f64 v[10:11], v[23:24], v[25:26], v[10:11]
.LBB26_1000:
	s_or_b64 exec, exec, s[12:13]
.LBB26_1001:
	s_or_b64 exec, exec, s[0:1]
	s_and_saveexec_b64 s[0:1], s[58:59]
; %bb.1002:
	v_xor_b32_e32 v24, 0x80000000, v11
	v_mov_b32_e32 v23, v10
	ds_write_b64 v22, v[23:24]
; %bb.1003:
	s_or_b64 exec, exec, s[0:1]
	s_waitcnt lgkmcnt(0)
	s_barrier
	s_and_saveexec_b64 s[0:1], s[60:61]
	v_readlane_b32 s58, v35, 2
	v_readlane_b32 s59, v35, 3
	s_cbranch_execz .LBB26_1005
; %bb.1004:
	v_lshlrev_b32_e32 v23, 3, v20
	ds_read_b64 v[23:24], v23 offset:3584
	ds_read_b64 v[25:26], v22
	s_waitcnt lgkmcnt(0)
	v_fma_f64 v[10:11], -v[23:24], v[25:26], v[10:11]
.LBB26_1005:
	s_or_b64 exec, exec, s[0:1]
	s_barrier
	s_and_saveexec_b64 s[0:1], s[62:63]
; %bb.1006:
	v_xor_b32_e32 v24, 0x80000000, v11
	v_mov_b32_e32 v23, v10
	ds_write_b64 v22, v[23:24]
; %bb.1007:
	s_or_b64 exec, exec, s[0:1]
	s_waitcnt lgkmcnt(0)
	s_barrier
	s_and_saveexec_b64 s[0:1], s[64:65]
	s_cbranch_execz .LBB26_1009
; %bb.1008:
	v_lshlrev_b32_e32 v23, 3, v20
	ds_read_b64 v[23:24], v23 offset:3072
	ds_read_b64 v[25:26], v22
	s_waitcnt lgkmcnt(0)
	v_fma_f64 v[10:11], -v[23:24], v[25:26], v[10:11]
.LBB26_1009:
	s_or_b64 exec, exec, s[0:1]
	s_barrier
	s_and_saveexec_b64 s[0:1], s[66:67]
; %bb.1010:
	v_xor_b32_e32 v24, 0x80000000, v11
	v_mov_b32_e32 v23, v10
	ds_write_b64 v22, v[23:24]
; %bb.1011:
	s_or_b64 exec, exec, s[0:1]
	s_waitcnt lgkmcnt(0)
	s_barrier
	s_and_saveexec_b64 s[0:1], s[70:71]
	;; [unrolled: 20-line block ×6, first 2 shown]
	s_cbranch_execz .LBB26_1029
; %bb.1028:
	v_mov_b32_e32 v23, 0
	ds_read_b64 v[23:24], v23 offset:512
	ds_read_b64 v[25:26], v22
	s_waitcnt lgkmcnt(0)
	v_fma_f64 v[10:11], -v[23:24], v[25:26], v[10:11]
.LBB26_1029:
	s_or_b64 exec, exec, s[0:1]
	s_barrier
	s_and_saveexec_b64 s[0:1], s[68:69]
; %bb.1030:
	v_xor_b32_e32 v24, 0x80000000, v11
	v_mov_b32_e32 v23, v10
	ds_write_b64 v22, v[23:24]
; %bb.1031:
	s_or_b64 exec, exec, s[0:1]
	s_waitcnt lgkmcnt(0)
	s_barrier
	s_barrier
	s_and_saveexec_b64 s[0:1], s[8:9]
; %bb.1032:
	v_lshlrev_b32_e32 v20, 3, v20
	v_lshl_or_b32 v20, v21, 9, v20
	ds_write_b64 v20, v[10:11] offset:4096
; %bb.1033:
	s_or_b64 exec, exec, s[0:1]
	s_waitcnt lgkmcnt(0)
	s_barrier
	s_barrier
	s_and_saveexec_b64 s[0:1], s[86:87]
	s_cbranch_execz .LBB26_1035
; %bb.1034:
	v_lshlrev_b32_e32 v20, 9, v0
	ds_read_b64 v[10:11], v20 offset:4096
	s_movk_i32 s8, 0xfe08
	v_mad_i32_i24 v21, v0, s8, v20
	s_waitcnt lgkmcnt(0)
	ds_write_b64 v21, v[10:11] offset:64
	ds_read_b64 v[10:11], v20 offset:4104
	s_waitcnt lgkmcnt(0)
	ds_write_b64 v21, v[10:11] offset:576
	ds_read_b64 v[10:11], v20 offset:4112
	;; [unrolled: 3-line block ×7, first 2 shown]
	s_waitcnt lgkmcnt(0)
	ds_write_b64 v21, v[10:11] offset:3648
.LBB26_1035:
	s_or_b64 exec, exec, s[0:1]
	s_waitcnt lgkmcnt(0)
	s_barrier
	s_and_saveexec_b64 s[0:1], vcc
	s_cbranch_execz .LBB26_1037
; %bb.1036:
	v_mov_b32_e32 v20, 0
	ds_read_b64 v[22:23], v20 offset:3632
	v_mov_b32_e32 v21, 0x3ff00000
	ds_write_b64 v20, v[20:21] offset:3640
	s_waitcnt lgkmcnt(1)
	ds_write_b128 v20, v[20:23] offset:3120
.LBB26_1037:
	s_or_b64 exec, exec, s[0:1]
	v_mov_b32_e32 v10, 0
	v_mov_b32_e32 v11, 0
	s_waitcnt lgkmcnt(0)
	s_barrier
	buffer_wbinvl1_vol
	s_and_saveexec_b64 s[0:1], s[2:3]
	s_cbranch_execz .LBB26_1041
; %bb.1038:
	v_lshlrev_b32_e32 v20, 9, v13
	v_lshlrev_b32_e32 v10, 3, v12
	ds_read_b64 v[10:11], v10 offset:3104
	ds_read_b64 v[20:21], v20 offset:3120
	v_cmp_gt_u32_e64 s[8:9], 2, v15
	s_waitcnt lgkmcnt(0)
	v_fma_f64 v[10:11], v[10:11], v[20:21], 0
	s_and_saveexec_b64 s[10:11], s[8:9]
	s_cbranch_execz .LBB26_1040
; %bb.1039:
	v_lshlrev_b32_e32 v20, 3, v0
	v_mov_b32_e32 v22, 0
	ds_read_b64 v[20:21], v20 offset:3616
	ds_read_b64 v[22:23], v22 offset:3640
	s_waitcnt lgkmcnt(0)
	v_fma_f64 v[10:11], v[20:21], v[22:23], v[10:11]
.LBB26_1040:
	s_or_b64 exec, exec, s[10:11]
.LBB26_1041:
	s_or_b64 exec, exec, s[0:1]
	s_and_saveexec_b64 s[0:1], s[30:31]
; %bb.1042:
	v_xor_b32_e32 v21, 0x80000000, v11
	v_mov_b32_e32 v20, v10
	ds_write_b64 v14, v[20:21]
; %bb.1043:
	s_or_b64 exec, exec, s[0:1]
	s_waitcnt lgkmcnt(0)
	s_barrier
	s_and_saveexec_b64 s[0:1], s[28:29]
	s_cbranch_execz .LBB26_1045
; %bb.1044:
	v_mov_b32_e32 v20, 0
	ds_read_b64 v[20:21], v20 offset:2592
	ds_read_b64 v[22:23], v14
	s_waitcnt lgkmcnt(0)
	v_fma_f64 v[10:11], -v[20:21], v[22:23], v[10:11]
.LBB26_1045:
	s_or_b64 exec, exec, s[0:1]
	s_barrier
	s_and_saveexec_b64 s[0:1], s[28:29]
; %bb.1046:
	v_xor_b32_e32 v21, 0x80000000, v11
	v_mov_b32_e32 v20, v10
	ds_write_b64 v14, v[20:21]
; %bb.1047:
	s_or_b64 exec, exec, s[0:1]
	s_waitcnt lgkmcnt(0)
	s_barrier
	s_barrier
	s_and_saveexec_b64 s[0:1], s[2:3]
; %bb.1048:
	v_lshlrev_b32_e32 v20, 3, v12
	v_lshl_or_b32 v20, v13, 9, v20
	ds_write_b64 v20, v[10:11] offset:3104
; %bb.1049:
	s_or_b64 exec, exec, s[0:1]
	s_waitcnt lgkmcnt(0)
	s_barrier
	s_barrier
	s_and_saveexec_b64 s[0:1], s[34:35]
	s_cbranch_execz .LBB26_1051
; %bb.1050:
	v_lshlrev_b32_e32 v20, 3, v0
	s_movk_i32 s8, 0x1f8
	v_mad_u32_u24 v21, v0, s8, v20
	ds_read_b64 v[10:11], v21 offset:3104
	s_waitcnt lgkmcnt(0)
	ds_write_b64 v20, v[10:11] offset:2096
	ds_read_b64 v[10:11], v21 offset:3112
	s_waitcnt lgkmcnt(0)
	ds_write_b64 v20, v[10:11] offset:2608
.LBB26_1051:
	s_or_b64 exec, exec, s[0:1]
	s_waitcnt lgkmcnt(0)
	s_barrier
	s_and_saveexec_b64 s[0:1], vcc
	s_cbranch_execz .LBB26_1053
; %bb.1052:
	v_mov_b32_e32 v20, 0
	ds_read_b64 v[22:23], v20 offset:2592
	v_mov_b32_e32 v21, 0x3ff00000
	ds_write_b64 v20, v[20:21] offset:2600
	s_waitcnt lgkmcnt(1)
	ds_write_b128 v20, v[20:23] offset:2080
.LBB26_1053:
	s_or_b64 exec, exec, s[0:1]
	v_mov_b32_e32 v10, 0
	v_mov_b32_e32 v11, 0
	s_waitcnt lgkmcnt(0)
	s_barrier
	buffer_wbinvl1_vol
	s_and_saveexec_b64 s[0:1], s[18:19]
	s_cbranch_execz .LBB26_1059
; %bb.1054:
	v_lshlrev_b32_e32 v21, 3, v16
	v_lshlrev_b32_e32 v20, 9, v17
	ds_read_b64 v[10:11], v21 offset:2048
	ds_read_b64 v[22:23], v20 offset:2080
	v_cmp_gt_u32_e64 s[8:9], 12, v15
	s_waitcnt lgkmcnt(0)
	v_fma_f64 v[10:11], v[10:11], v[22:23], 0
	s_and_saveexec_b64 s[10:11], s[8:9]
	s_cbranch_execnz .LBB26_1220
; %bb.1055:
	s_or_b64 exec, exec, s[10:11]
	v_cmp_gt_u32_e64 s[8:9], 8, v15
	s_and_saveexec_b64 s[10:11], s[8:9]
	s_cbranch_execnz .LBB26_1221
.LBB26_1056:
	s_or_b64 exec, exec, s[10:11]
	v_cmp_gt_u32_e64 s[8:9], 4, v15
	s_and_saveexec_b64 s[10:11], s[8:9]
	s_cbranch_execz .LBB26_1058
.LBB26_1057:
	v_lshlrev_b32_e32 v20, 3, v0
	v_mov_b32_e32 v22, 0
	ds_read_b64 v[20:21], v20 offset:3584
	ds_read_b64 v[22:23], v22 offset:3640
	s_waitcnt lgkmcnt(0)
	v_fma_f64 v[10:11], v[20:21], v[22:23], v[10:11]
.LBB26_1058:
	s_or_b64 exec, exec, s[10:11]
.LBB26_1059:
	s_or_b64 exec, exec, s[0:1]
	s_and_saveexec_b64 s[0:1], s[38:39]
; %bb.1060:
	v_xor_b32_e32 v21, 0x80000000, v11
	v_mov_b32_e32 v20, v10
	ds_write_b64 v19, v[20:21]
; %bb.1061:
	s_or_b64 exec, exec, s[0:1]
	s_waitcnt lgkmcnt(0)
	s_barrier
	s_and_saveexec_b64 s[0:1], s[42:43]
	s_load_dword s26, s[4:5], 0x6c
	v_readlane_b32 s38, v35, 0
	v_readlane_b32 s39, v35, 1
	s_cbranch_execz .LBB26_1063
; %bb.1062:
	v_lshlrev_b32_e32 v20, 3, v16
	ds_read_b64 v[20:21], v20 offset:1536
	ds_read_b64 v[22:23], v19
	s_waitcnt lgkmcnt(0)
	v_fma_f64 v[10:11], -v[20:21], v[22:23], v[10:11]
.LBB26_1063:
	s_or_b64 exec, exec, s[0:1]
	s_waitcnt lgkmcnt(0)
	s_barrier
	s_and_saveexec_b64 s[0:1], s[44:45]
; %bb.1064:
	v_xor_b32_e32 v21, 0x80000000, v11
	v_mov_b32_e32 v20, v10
	ds_write_b64 v19, v[20:21]
; %bb.1065:
	s_or_b64 exec, exec, s[0:1]
	s_waitcnt lgkmcnt(0)
	s_barrier
	s_and_saveexec_b64 s[0:1], s[52:53]
	s_cbranch_execz .LBB26_1067
; %bb.1066:
	v_lshlrev_b32_e32 v20, 3, v16
	ds_read_b64 v[20:21], v20 offset:1024
	ds_read_b64 v[22:23], v19
	s_waitcnt lgkmcnt(0)
	v_fma_f64 v[10:11], -v[20:21], v[22:23], v[10:11]
.LBB26_1067:
	s_or_b64 exec, exec, s[0:1]
	s_barrier
	s_and_saveexec_b64 s[0:1], s[54:55]
; %bb.1068:
	v_xor_b32_e32 v21, 0x80000000, v11
	v_mov_b32_e32 v20, v10
	ds_write_b64 v19, v[20:21]
; %bb.1069:
	s_or_b64 exec, exec, s[0:1]
	s_waitcnt lgkmcnt(0)
	s_barrier
	s_and_saveexec_b64 s[0:1], s[36:37]
	s_cbranch_execz .LBB26_1071
; %bb.1070:
	v_mov_b32_e32 v20, 0
	ds_read_b64 v[20:21], v20 offset:512
	ds_read_b64 v[22:23], v19
	s_waitcnt lgkmcnt(0)
	v_fma_f64 v[10:11], -v[20:21], v[22:23], v[10:11]
.LBB26_1071:
	s_or_b64 exec, exec, s[0:1]
	s_barrier
	s_and_saveexec_b64 s[0:1], s[36:37]
; %bb.1072:
	v_xor_b32_e32 v21, 0x80000000, v11
	v_mov_b32_e32 v20, v10
	ds_write_b64 v19, v[20:21]
; %bb.1073:
	s_or_b64 exec, exec, s[0:1]
	s_waitcnt lgkmcnt(0)
	s_barrier
	s_barrier
	s_and_saveexec_b64 s[0:1], s[18:19]
; %bb.1074:
	v_lshlrev_b32_e32 v16, 3, v16
	v_lshl_or_b32 v16, v17, 9, v16
	ds_write_b64 v16, v[10:11] offset:2048
; %bb.1075:
	s_or_b64 exec, exec, s[0:1]
	s_waitcnt lgkmcnt(0)
	s_barrier
	s_barrier
	s_and_saveexec_b64 s[0:1], s[56:57]
	s_cbranch_execz .LBB26_1077
; %bb.1076:
	v_lshlrev_b32_e32 v16, 9, v0
	ds_read_b64 v[10:11], v16 offset:2048
	s_movk_i32 s8, 0xfe08
	v_mad_i32_i24 v17, v0, s8, v16
	s_waitcnt lgkmcnt(0)
	ds_write_b64 v17, v[10:11] offset:32
	ds_read_b64 v[10:11], v16 offset:2056
	s_waitcnt lgkmcnt(0)
	ds_write_b64 v17, v[10:11] offset:544
	ds_read_b64 v[10:11], v16 offset:2064
	;; [unrolled: 3-line block ×3, first 2 shown]
	s_waitcnt lgkmcnt(0)
	ds_write_b64 v17, v[10:11] offset:1568
.LBB26_1077:
	s_or_b64 exec, exec, s[0:1]
	s_waitcnt lgkmcnt(0)
	s_barrier
	s_and_saveexec_b64 s[0:1], vcc
	s_cbranch_execz .LBB26_1079
; %bb.1078:
	v_mov_b32_e32 v19, 0
	ds_read_b64 v[21:22], v19 offset:1552
	v_mov_b32_e32 v20, 0x3ff00000
	ds_write_b64 v19, v[19:20] offset:1560
	s_waitcnt lgkmcnt(1)
	ds_write_b128 v19, v[19:22] offset:1040
.LBB26_1079:
	s_or_b64 exec, exec, s[0:1]
	v_mov_b32_e32 v10, 0
	v_mov_b32_e32 v11, 0
	s_waitcnt lgkmcnt(0)
	s_barrier
	buffer_wbinvl1_vol
	s_and_saveexec_b64 s[0:1], s[2:3]
	s_cbranch_execz .LBB26_1083
; %bb.1080:
	v_lshlrev_b32_e32 v16, 9, v13
	v_lshlrev_b32_e32 v10, 3, v12
	ds_read_b64 v[10:11], v10 offset:1024
	ds_read_b64 v[16:17], v16 offset:1040
	v_cmp_gt_u32_e64 s[8:9], 2, v15
	s_waitcnt lgkmcnt(0)
	v_fma_f64 v[10:11], v[10:11], v[16:17], 0
	s_and_saveexec_b64 s[10:11], s[8:9]
	s_cbranch_execz .LBB26_1082
; %bb.1081:
	v_lshlrev_b32_e32 v15, 3, v0
	v_mov_b32_e32 v17, 0
	ds_read_b64 v[15:16], v15 offset:1536
	ds_read_b64 v[19:20], v17 offset:1560
	s_waitcnt lgkmcnt(0)
	v_fma_f64 v[10:11], v[15:16], v[19:20], v[10:11]
.LBB26_1082:
	s_or_b64 exec, exec, s[10:11]
.LBB26_1083:
	s_or_b64 exec, exec, s[0:1]
	s_and_saveexec_b64 s[0:1], s[30:31]
; %bb.1084:
	v_xor_b32_e32 v16, 0x80000000, v11
	v_mov_b32_e32 v15, v10
	ds_write_b64 v14, v[15:16]
; %bb.1085:
	s_or_b64 exec, exec, s[0:1]
	s_waitcnt lgkmcnt(0)
	s_barrier
	s_and_saveexec_b64 s[0:1], s[28:29]
	s_cbranch_execz .LBB26_1087
; %bb.1086:
	v_mov_b32_e32 v15, 0
	ds_read_b64 v[15:16], v15 offset:512
	ds_read_b64 v[19:20], v14
	s_waitcnt lgkmcnt(0)
	v_fma_f64 v[10:11], -v[15:16], v[19:20], v[10:11]
.LBB26_1087:
	s_or_b64 exec, exec, s[0:1]
	s_barrier
	s_and_saveexec_b64 s[0:1], s[28:29]
; %bb.1088:
	v_xor_b32_e32 v16, 0x80000000, v11
	v_mov_b32_e32 v15, v10
	ds_write_b64 v14, v[15:16]
; %bb.1089:
	s_or_b64 exec, exec, s[0:1]
	s_waitcnt lgkmcnt(0)
	s_barrier
	s_barrier
	s_and_saveexec_b64 s[0:1], s[2:3]
; %bb.1090:
	v_lshlrev_b32_e32 v12, 3, v12
	v_lshl_or_b32 v12, v13, 9, v12
	ds_write_b64 v12, v[10:11] offset:1024
; %bb.1091:
	s_or_b64 exec, exec, s[0:1]
	s_waitcnt lgkmcnt(0)
	s_barrier
	s_barrier
	s_and_saveexec_b64 s[0:1], s[34:35]
	s_cbranch_execz .LBB26_1093
; %bb.1092:
	v_lshlrev_b32_e32 v12, 3, v0
	s_movk_i32 s2, 0x1f8
	v_mad_u32_u24 v13, v0, s2, v12
	ds_read_b64 v[10:11], v13 offset:1024
	s_waitcnt lgkmcnt(0)
	ds_write_b64 v12, v[10:11] offset:16
	ds_read_b64 v[10:11], v13 offset:1032
	s_waitcnt lgkmcnt(0)
	ds_write_b64 v12, v[10:11] offset:528
.LBB26_1093:
	s_or_b64 exec, exec, s[0:1]
	s_waitcnt lgkmcnt(0)
	s_barrier
	s_and_saveexec_b64 s[0:1], vcc
	s_cbranch_execz .LBB26_1095
; %bb.1094:
	v_mov_b32_e32 v10, 0
	ds_read_b64 v[12:13], v10 offset:512
	v_mov_b32_e32 v11, 0x3ff00000
	ds_write_b64 v10, v[10:11] offset:520
	s_waitcnt lgkmcnt(1)
	ds_write_b128 v10, v[10:13]
.LBB26_1095:
	s_or_b64 exec, exec, s[0:1]
.LBB26_1096:
	s_load_dwordx4 s[12:15], s[4:5], 0x48
	v_cmp_le_i32_e32 vcc, s7, v0
	v_mov_b32_e32 v10, 0
	v_mov_b32_e32 v11, 0
	v_lshl_add_u32 v12, s6, 6, v0
	s_waitcnt lgkmcnt(0)
	s_mul_i32 s1, s13, s22
	s_mul_hi_u32 s2, s12, s22
	s_mul_i32 s0, s12, s22
	s_add_i32 s1, s2, s1
	s_lshl_b64 s[0:1], s[0:1], 3
	s_add_u32 s2, s46, s0
	s_addc_u32 s3, s47, s1
	s_lshl_b64 s[0:1], s[48:49], 3
	s_add_u32 s20, s2, s0
	s_addc_u32 s21, s3, s1
	s_and_b64 s[16:17], vcc, s[24:25]
	v_cmp_eq_u32_e64 s[2:3], 0, v1
	s_xor_b64 s[0:1], s[16:17], -1
	s_and_b64 s[4:5], s[2:3], s[0:1]
	s_barrier
	s_and_saveexec_b64 s[0:1], s[4:5]
	s_cbranch_execz .LBB26_1098
; %bb.1097:
	v_ashrrev_i32_e32 v13, 31, v12
	v_mul_lo_u32 v14, s51, v12
	v_mad_u64_u32 v[10:11], s[4:5], s50, v12, 0
	v_mul_lo_u32 v13, s50, v13
	v_add3_u32 v11, v11, v13, v14
	v_lshlrev_b64 v[10:11], 3, v[10:11]
	v_mov_b32_e32 v13, s21
	v_add_co_u32_e32 v10, vcc, s20, v10
	v_addc_co_u32_e32 v11, vcc, v13, v11, vcc
	global_load_dwordx2 v[10:11], v[10:11], off
	s_waitcnt vmcnt(0)
	v_mul_f64 v[10:11], v[10:11], -s[38:39]
.LBB26_1098:
	s_or_b64 exec, exec, s[0:1]
	s_and_b32 s0, 0xffff, s26
	v_mad_u32_u24 v19, v1, s0, v0
	v_mov_b32_e32 v13, 0
	s_cmp_lt_i32 s6, 1
	v_cmp_eq_u32_e64 s[4:5], 0, v19
	s_cbranch_scc1 .LBB26_1124
; %bb.1099:
	v_mad_u64_u32 v[14:15], s[0:1], s40, v12, 0
	v_cmp_gt_i32_e64 s[8:9], s33, v12
	s_mov_b32 s26, 0
	v_mad_u64_u32 v[15:16], s[0:1], s41, v12, v[15:16]
	s_lshl_b64 s[0:1], s[22:23], 2
	s_add_u32 s0, s14, s0
	v_lshlrev_b64 v[14:15], 3, v[14:15]
	v_mov_b32_e32 v16, 0xa000
	v_mov_b32_e32 v12, s89
	v_add_co_u32_e32 v22, vcc, s88, v14
	s_addc_u32 s1, s15, s1
	v_cmp_gt_u32_e64 s[12:13], 64, v19
	v_lshl_add_u32 v20, v19, 3, v16
	v_lshl_or_b32 v21, v1, 3, v16
	s_add_i32 s27, s6, -1
	v_addc_co_u32_e32 v23, vcc, v12, v15, vcc
	v_mov_b32_e32 v24, -1
	s_branch .LBB26_1102
.LBB26_1100:                            ;   in Loop: Header=BB26_1102 Depth=1
	ds_read_b64 v[14:15], v21 offset:384
	s_waitcnt vmcnt(0) lgkmcnt(0)
	v_fma_f64 v[10:11], v[16:17], v[14:15], v[10:11]
.LBB26_1101:                            ;   in Loop: Header=BB26_1102 Depth=1
	s_or_b64 exec, exec, s[18:19]
	s_add_i32 s26, s26, 1
	s_cmp_eq_u32 s26, s6
	s_cbranch_scc1 .LBB26_1124
.LBB26_1102:                            ; =>This Loop Header: Depth=1
                                        ;     Child Loop BB26_1104 Depth 2
	v_cmp_gt_i32_e32 vcc, s26, v24
	s_and_b64 s[18:19], s[4:5], vcc
	s_and_saveexec_b64 s[10:11], s[18:19]
	s_cbranch_execz .LBB26_1105
; %bb.1103:                             ;   in Loop: Header=BB26_1102 Depth=1
	global_load_dword v24, v13, s[0:1]
	s_waitcnt vmcnt(0)
	v_cmp_le_i32_e32 vcc, s26, v24
	s_cbranch_vccnz .LBB26_1105
.LBB26_1104:                            ;   Parent Loop BB26_1102 Depth=1
                                        ; =>  This Inner Loop Header: Depth=2
	buffer_wbinvl1_vol
	global_load_dword v24, v13, s[0:1]
	s_waitcnt vmcnt(0)
	v_cmp_gt_i32_e32 vcc, s26, v24
	s_cbranch_vccnz .LBB26_1104
.LBB26_1105:                            ;   in Loop: Header=BB26_1102 Depth=1
	s_or_b64 exec, exec, s[10:11]
	s_lshl_b32 s28, s26, 6
	buffer_wbinvl1_vol
	s_barrier
	s_and_saveexec_b64 s[10:11], s[12:13]
	s_cbranch_execz .LBB26_1109
; %bb.1106:                             ;   in Loop: Header=BB26_1102 Depth=1
	v_or_b32_e32 v12, s28, v19
	v_mov_b32_e32 v14, 0
	v_mov_b32_e32 v15, 0
	v_cmp_gt_i32_e32 vcc, s33, v12
	s_and_saveexec_b64 s[18:19], vcc
	s_cbranch_execz .LBB26_1108
; %bb.1107:                             ;   in Loop: Header=BB26_1102 Depth=1
	v_mad_u64_u32 v[14:15], s[30:31], s50, v12, 0
	v_mad_u64_u32 v[15:16], s[30:31], s51, v12, v[15:16]
	v_mov_b32_e32 v12, s21
	v_lshlrev_b64 v[14:15], 3, v[14:15]
	v_add_co_u32_e32 v14, vcc, s20, v14
	v_addc_co_u32_e32 v15, vcc, v12, v15, vcc
	global_load_dwordx2 v[14:15], v[14:15], off
.LBB26_1108:                            ;   in Loop: Header=BB26_1102 Depth=1
	s_or_b64 exec, exec, s[18:19]
	s_waitcnt vmcnt(0)
	ds_write_b64 v20, v[14:15]
.LBB26_1109:                            ;   in Loop: Header=BB26_1102 Depth=1
	s_or_b64 exec, exec, s[10:11]
	v_add_u32_e32 v12, s28, v1
	v_lshlrev_b64 v[14:15], 3, v[12:13]
	s_cmp_lg_u32 s26, s27
	v_add_co_u32_e32 v14, vcc, v22, v14
	s_cselect_b64 s[10:11], -1, 0
	v_addc_co_u32_e32 v15, vcc, v23, v15, vcc
	v_cmp_gt_i32_e32 vcc, s33, v12
	v_cndmask_b32_e64 v16, 0, 1, s[10:11]
	s_and_b64 s[28:29], vcc, s[8:9]
	v_cmp_ne_u32_e64 s[10:11], 1, v16
	s_waitcnt lgkmcnt(0)
	s_barrier
	s_and_saveexec_b64 s[18:19], s[28:29]
	s_cbranch_execz .LBB26_1113
; %bb.1110:                             ;   in Loop: Header=BB26_1102 Depth=1
	v_mov_b32_e32 v17, v5
	s_and_b64 vcc, exec, s[10:11]
	v_mov_b32_e32 v16, v4
	s_cbranch_vccnz .LBB26_1112
; %bb.1111:                             ;   in Loop: Header=BB26_1102 Depth=1
	global_load_dwordx2 v[16:17], v[14:15], off
.LBB26_1112:                            ;   in Loop: Header=BB26_1102 Depth=1
	ds_read_b64 v[25:26], v21
	s_waitcnt vmcnt(0) lgkmcnt(0)
	v_fma_f64 v[10:11], v[16:17], v[25:26], v[10:11]
.LBB26_1113:                            ;   in Loop: Header=BB26_1102 Depth=1
	s_or_b64 exec, exec, s[18:19]
	v_add_u32_e32 v16, 16, v12
	v_cmp_gt_i32_e32 vcc, s33, v16
	s_and_b64 s[28:29], vcc, s[8:9]
	s_and_saveexec_b64 s[18:19], s[28:29]
	s_cbranch_execz .LBB26_1117
; %bb.1114:                             ;   in Loop: Header=BB26_1102 Depth=1
	v_mov_b32_e32 v17, v3
	s_and_b64 vcc, exec, s[10:11]
	v_mov_b32_e32 v16, v2
	s_cbranch_vccnz .LBB26_1116
; %bb.1115:                             ;   in Loop: Header=BB26_1102 Depth=1
	global_load_dwordx2 v[16:17], v[14:15], off offset:128
.LBB26_1116:                            ;   in Loop: Header=BB26_1102 Depth=1
	ds_read_b64 v[25:26], v21 offset:128
	s_waitcnt vmcnt(0) lgkmcnt(0)
	v_fma_f64 v[10:11], v[16:17], v[25:26], v[10:11]
.LBB26_1117:                            ;   in Loop: Header=BB26_1102 Depth=1
	s_or_b64 exec, exec, s[18:19]
	v_add_u32_e32 v16, 32, v12
	v_cmp_gt_i32_e32 vcc, s33, v16
	s_and_b64 s[28:29], vcc, s[8:9]
	s_and_saveexec_b64 s[18:19], s[28:29]
	s_cbranch_execz .LBB26_1121
; %bb.1118:                             ;   in Loop: Header=BB26_1102 Depth=1
	v_mov_b32_e32 v17, v9
	s_and_b64 vcc, exec, s[10:11]
	v_mov_b32_e32 v16, v8
	s_cbranch_vccnz .LBB26_1120
; %bb.1119:                             ;   in Loop: Header=BB26_1102 Depth=1
	global_load_dwordx2 v[16:17], v[14:15], off offset:256
.LBB26_1120:                            ;   in Loop: Header=BB26_1102 Depth=1
	ds_read_b64 v[25:26], v21 offset:256
	s_waitcnt vmcnt(0) lgkmcnt(0)
	v_fma_f64 v[10:11], v[16:17], v[25:26], v[10:11]
.LBB26_1121:                            ;   in Loop: Header=BB26_1102 Depth=1
	s_or_b64 exec, exec, s[18:19]
	v_add_u32_e32 v12, 48, v12
	v_cmp_gt_i32_e32 vcc, s33, v12
	s_and_b64 s[28:29], vcc, s[8:9]
	s_and_saveexec_b64 s[18:19], s[28:29]
	s_cbranch_execz .LBB26_1101
; %bb.1122:                             ;   in Loop: Header=BB26_1102 Depth=1
	v_mov_b32_e32 v17, v7
	s_and_b64 vcc, exec, s[10:11]
	v_mov_b32_e32 v16, v6
	s_cbranch_vccnz .LBB26_1100
; %bb.1123:                             ;   in Loop: Header=BB26_1102 Depth=1
	global_load_dwordx2 v[16:17], v[14:15], off offset:384
	s_branch .LBB26_1100
.LBB26_1124:
	v_lshl_add_u32 v2, v1, 6, v0
	s_xor_b64 s[0:1], s[24:25], -1
	v_lshlrev_b32_e32 v4, 3, v2
	ds_write_b64 v4, v[10:11] offset:32768
	s_waitcnt lgkmcnt(0)
	s_barrier
	s_and_saveexec_b64 s[4:5], s[2:3]
	s_cbranch_execz .LBB26_1126
; %bb.1125:
	v_lshlrev_b32_e32 v15, 3, v0
	ds_read2st64_b64 v[5:8], v15 offset0:65 offset1:66
	ds_read_b64 v[2:3], v15 offset:40448
	s_waitcnt lgkmcnt(1)
	v_add_f64 v[5:6], v[10:11], v[5:6]
	v_add_f64 v[13:14], v[5:6], v[7:8]
	ds_read2st64_b64 v[5:8], v15 offset0:67 offset1:68
	ds_read2st64_b64 v[9:12], v15 offset0:69 offset1:70
	s_waitcnt lgkmcnt(1)
	v_add_f64 v[5:6], v[13:14], v[5:6]
	v_add_f64 v[5:6], v[5:6], v[7:8]
	s_waitcnt lgkmcnt(0)
	v_add_f64 v[5:6], v[5:6], v[9:10]
	v_add_f64 v[13:14], v[5:6], v[11:12]
	ds_read2st64_b64 v[5:8], v15 offset0:71 offset1:72
	ds_read2st64_b64 v[9:12], v15 offset0:73 offset1:74
	s_waitcnt lgkmcnt(1)
	v_add_f64 v[5:6], v[13:14], v[5:6]
	v_add_f64 v[5:6], v[5:6], v[7:8]
	;; [unrolled: 8-line block ×3, first 2 shown]
	s_waitcnt lgkmcnt(0)
	v_add_f64 v[5:6], v[5:6], v[9:10]
	v_add_f64 v[5:6], v[5:6], v[11:12]
	v_add_f64 v[2:3], v[5:6], v[2:3]
	v_xor_b32_e32 v3, 0x80000000, v3
	v_cndmask_b32_e64 v11, v3, 0, s[16:17]
	v_cndmask_b32_e64 v10, v2, 0, s[16:17]
.LBB26_1126:
	s_or_b64 exec, exec, s[4:5]
	s_and_b64 vcc, exec, s[58:59]
	s_cbranch_vccnz .LBB26_1140
; %bb.1127:
	v_mov_b32_e32 v2, 0xa000
	v_lshl_or_b32 v5, v1, 3, v2
	s_and_saveexec_b64 s[4:5], s[2:3]
; %bb.1128:
	v_lshl_add_u32 v2, v0, 3, v5
	ds_write_b64 v2, v[10:11]
; %bb.1129:
	s_or_b64 exec, exec, s[4:5]
	v_mov_b32_e32 v2, 0
	v_mov_b32_e32 v3, 0
	v_cmp_le_u32_e32 vcc, v1, v0
	s_waitcnt lgkmcnt(0)
	s_barrier
	s_and_saveexec_b64 s[4:5], vcc
	s_cbranch_execz .LBB26_1131
; %bb.1130:
	ds_read_b64 v[2:3], v4
	ds_read_b64 v[6:7], v5
	s_waitcnt lgkmcnt(0)
	v_fma_f64 v[2:3], v[2:3], v[6:7], 0
.LBB26_1131:
	s_or_b64 exec, exec, s[4:5]
	v_add_u32_e32 v6, 16, v1
	v_cmp_ge_u32_e32 vcc, v0, v6
	s_and_saveexec_b64 s[4:5], vcc
	s_cbranch_execz .LBB26_1133
; %bb.1132:
	ds_read_b64 v[6:7], v4 offset:8192
	ds_read_b64 v[8:9], v5 offset:128
	s_waitcnt lgkmcnt(0)
	v_fma_f64 v[2:3], v[6:7], v[8:9], v[2:3]
.LBB26_1133:
	s_or_b64 exec, exec, s[4:5]
	v_add_u32_e32 v6, 32, v1
	v_cmp_ge_u32_e32 vcc, v0, v6
	s_and_saveexec_b64 s[4:5], vcc
	s_cbranch_execz .LBB26_1135
; %bb.1134:
	ds_read_b64 v[6:7], v4 offset:16384
	ds_read_b64 v[8:9], v5 offset:256
	s_waitcnt lgkmcnt(0)
	v_fma_f64 v[2:3], v[6:7], v[8:9], v[2:3]
.LBB26_1135:
	s_or_b64 exec, exec, s[4:5]
	v_add_u32_e32 v1, 48, v1
	v_add_u32_e32 v6, 0x8000, v4
	v_cmp_ge_u32_e32 vcc, v0, v1
	s_and_saveexec_b64 s[4:5], vcc
	s_cbranch_execz .LBB26_1137
; %bb.1136:
	ds_read_b64 v[7:8], v4 offset:24576
	ds_read_b64 v[4:5], v5 offset:384
	s_waitcnt lgkmcnt(0)
	v_fma_f64 v[2:3], v[7:8], v[4:5], v[2:3]
.LBB26_1137:
	s_or_b64 exec, exec, s[4:5]
	s_mov_b64 s[8:9], 0
	s_mov_b64 s[4:5], 0
	ds_write_b64 v6, v[2:3]
	s_waitcnt lgkmcnt(0)
	s_barrier
                                        ; implicit-def: $vgpr6_vgpr7
                                        ; implicit-def: $vgpr4_vgpr5
	s_and_saveexec_b64 s[10:11], s[2:3]
	s_cbranch_execz .LBB26_1161
; %bb.1138:
	v_lshlrev_b32_e32 v9, 3, v0
	ds_read2st64_b64 v[4:7], v9 offset0:65 offset1:66
	ds_read_b64 v[12:13], v9 offset:40448
	s_mov_b64 s[4:5], exec
	s_waitcnt lgkmcnt(1)
	v_add_f64 v[1:2], v[2:3], v[4:5]
	v_add_f64 v[14:15], v[6:7], v[1:2]
	ds_read2st64_b64 v[1:4], v9 offset0:67 offset1:68
	ds_read2st64_b64 v[5:8], v9 offset0:69 offset1:70
	s_waitcnt lgkmcnt(1)
	v_add_f64 v[1:2], v[1:2], v[14:15]
	v_add_f64 v[1:2], v[3:4], v[1:2]
	s_waitcnt lgkmcnt(0)
	v_add_f64 v[1:2], v[5:6], v[1:2]
	v_add_f64 v[14:15], v[7:8], v[1:2]
	ds_read2st64_b64 v[1:4], v9 offset0:71 offset1:72
	ds_read2st64_b64 v[5:8], v9 offset0:73 offset1:74
	s_waitcnt lgkmcnt(1)
	v_add_f64 v[1:2], v[1:2], v[14:15]
	v_add_f64 v[1:2], v[3:4], v[1:2]
	;; [unrolled: 8-line block ×3, first 2 shown]
	v_lshl_add_u32 v3, s6, 6, v19
	s_waitcnt lgkmcnt(0)
	v_add_f64 v[1:2], v[5:6], v[1:2]
	v_mad_u64_u32 v[4:5], s[12:13], s50, v3, 0
	v_add_f64 v[1:2], v[7:8], v[1:2]
	v_add_f64 v[6:7], v[12:13], v[1:2]
	v_mov_b32_e32 v1, v5
	v_mad_u64_u32 v[1:2], s[12:13], s51, v3, v[1:2]
	v_mov_b32_e32 v5, v1
	s_or_b64 exec, exec, s[10:11]
	s_and_b64 vcc, exec, s[8:9]
	s_cbranch_vccnz .LBB26_1141
	s_branch .LBB26_1162
.LBB26_1139:
	v_mad_u64_u32 v[12:13], s[2:3], s40, v15, 0
	s_or_b64 s[10:11], s[10:11], exec
	v_mad_u64_u32 v[13:14], s[2:3], s41, v15, v[13:14]
	v_lshlrev_b64 v[12:13], 3, v[12:13]
	v_add_co_u32_e32 v10, vcc, v10, v12
	v_addc_co_u32_e32 v11, vcc, v11, v13, vcc
	global_load_dwordx2 v[12:13], v[10:11], off
	s_waitcnt vmcnt(0)
	v_xor_b32_e32 v13, 0x80000000, v13
	s_or_b64 exec, exec, s[8:9]
	s_xor_b64 s[0:1], s[0:1], -1
	s_and_saveexec_b64 s[2:3], s[10:11]
	s_cbranch_execnz .LBB26_57
	s_branch .LBB26_58
.LBB26_1140:
	s_mov_b64 s[4:5], 0
                                        ; implicit-def: $vgpr6_vgpr7
                                        ; implicit-def: $vgpr4_vgpr5
	s_cbranch_execz .LBB26_1162
.LBB26_1141:
	s_mov_b32 s10, 0
	v_mov_b32_e32 v1, 0
	v_mov_b32_e32 v2, v0
	s_branch .LBB26_1143
.LBB26_1142:                            ;   in Loop: Header=BB26_1143 Depth=1
	s_or_b64 exec, exec, s[8:9]
	s_add_i32 s10, s10, 4
	v_add_u32_e32 v18, 0x800, v18
	s_cmp_lg_u32 s10, 64
	v_add_u32_e32 v2, -4, v2
	s_barrier
	s_cbranch_scc0 .LBB26_1159
.LBB26_1143:                            ; =>This Inner Loop Header: Depth=1
	v_cmp_eq_u32_e32 vcc, 0, v2
	s_and_b64 s[12:13], s[2:3], vcc
	s_and_saveexec_b64 s[8:9], s[12:13]
; %bb.1144:                             ;   in Loop: Header=BB26_1143 Depth=1
	ds_write_b64 v1, v[10:11] offset:41472
; %bb.1145:                             ;   in Loop: Header=BB26_1143 Depth=1
	s_or_b64 exec, exec, s[8:9]
	v_cmp_lt_u32_e32 vcc, s10, v0
	s_and_b64 s[12:13], s[2:3], vcc
	s_waitcnt lgkmcnt(0)
	s_barrier
	s_and_saveexec_b64 s[8:9], s[12:13]
	s_cbranch_execz .LBB26_1147
; %bb.1146:                             ;   in Loop: Header=BB26_1143 Depth=1
	ds_read_b64 v[3:4], v18
	ds_read_b64 v[5:6], v1 offset:41472
	s_waitcnt lgkmcnt(0)
	v_fma_f64 v[10:11], v[3:4], v[5:6], v[10:11]
.LBB26_1147:                            ;   in Loop: Header=BB26_1143 Depth=1
	s_or_b64 exec, exec, s[8:9]
	s_or_b32 s11, s10, 1
	v_cmp_eq_u32_e32 vcc, s11, v0
	s_and_b64 s[12:13], s[2:3], vcc
	s_barrier
	s_and_saveexec_b64 s[8:9], s[12:13]
; %bb.1148:                             ;   in Loop: Header=BB26_1143 Depth=1
	ds_write_b64 v1, v[10:11] offset:41472
; %bb.1149:                             ;   in Loop: Header=BB26_1143 Depth=1
	s_or_b64 exec, exec, s[8:9]
	v_cmp_lt_u32_e32 vcc, s11, v0
	s_and_b64 s[12:13], s[2:3], vcc
	s_waitcnt lgkmcnt(0)
	s_barrier
	s_and_saveexec_b64 s[8:9], s[12:13]
	s_cbranch_execz .LBB26_1151
; %bb.1150:                             ;   in Loop: Header=BB26_1143 Depth=1
	ds_read_b64 v[3:4], v18 offset:512
	ds_read_b64 v[5:6], v1 offset:41472
	s_waitcnt lgkmcnt(0)
	v_fma_f64 v[10:11], v[3:4], v[5:6], v[10:11]
.LBB26_1151:                            ;   in Loop: Header=BB26_1143 Depth=1
	s_or_b64 exec, exec, s[8:9]
	s_or_b32 s11, s10, 2
	v_cmp_eq_u32_e32 vcc, s11, v0
	s_and_b64 s[12:13], s[2:3], vcc
	s_barrier
	s_and_saveexec_b64 s[8:9], s[12:13]
; %bb.1152:                             ;   in Loop: Header=BB26_1143 Depth=1
	ds_write_b64 v1, v[10:11] offset:41472
; %bb.1153:                             ;   in Loop: Header=BB26_1143 Depth=1
	s_or_b64 exec, exec, s[8:9]
	v_cmp_lt_u32_e32 vcc, s11, v0
	s_and_b64 s[12:13], s[2:3], vcc
	s_waitcnt lgkmcnt(0)
	s_barrier
	s_and_saveexec_b64 s[8:9], s[12:13]
	s_cbranch_execz .LBB26_1155
; %bb.1154:                             ;   in Loop: Header=BB26_1143 Depth=1
	ds_read_b64 v[3:4], v18 offset:1024
	ds_read_b64 v[5:6], v1 offset:41472
	s_waitcnt lgkmcnt(0)
	v_fma_f64 v[10:11], v[3:4], v[5:6], v[10:11]
.LBB26_1155:                            ;   in Loop: Header=BB26_1143 Depth=1
	s_or_b64 exec, exec, s[8:9]
	s_or_b32 s11, s10, 3
	v_cmp_eq_u32_e32 vcc, s11, v0
	s_and_b64 s[12:13], s[2:3], vcc
	s_barrier
	s_and_saveexec_b64 s[8:9], s[12:13]
; %bb.1156:                             ;   in Loop: Header=BB26_1143 Depth=1
	ds_write_b64 v1, v[10:11] offset:41472
; %bb.1157:                             ;   in Loop: Header=BB26_1143 Depth=1
	s_or_b64 exec, exec, s[8:9]
	v_cmp_lt_u32_e32 vcc, s11, v0
	s_and_b64 s[12:13], s[2:3], vcc
	s_waitcnt lgkmcnt(0)
	s_barrier
	s_and_saveexec_b64 s[8:9], s[12:13]
	s_cbranch_execz .LBB26_1142
; %bb.1158:                             ;   in Loop: Header=BB26_1143 Depth=1
	ds_read_b64 v[3:4], v18 offset:1536
	ds_read_b64 v[5:6], v1 offset:41472
	s_waitcnt lgkmcnt(0)
	v_fma_f64 v[10:11], v[3:4], v[5:6], v[10:11]
	s_branch .LBB26_1142
.LBB26_1159:
	s_and_b64 vcc, exec, s[0:1]
	s_cbranch_vccz .LBB26_1163
; %bb.1160:
	s_and_b64 s[0:1], s[2:3], exec
	s_cbranch_execz .LBB26_1164
	s_branch .LBB26_1165
.LBB26_1161:
	s_or_b64 exec, exec, s[10:11]
	s_and_b64 vcc, exec, s[8:9]
	s_cbranch_vccnz .LBB26_1141
.LBB26_1162:
	v_mov_b32_e32 v11, v7
	v_mov_b32_e32 v10, v6
	s_and_saveexec_b64 s[0:1], s[4:5]
	s_cbranch_execnz .LBB26_1168
	s_branch .LBB26_1169
.LBB26_1163:
	s_mov_b64 s[0:1], 0
.LBB26_1164:
	v_cmp_gt_i32_e32 vcc, s7, v0
	s_and_b64 s[2:3], s[2:3], vcc
	s_andn2_b64 s[0:1], s[0:1], exec
	s_and_b64 s[2:3], s[2:3], exec
	s_or_b64 s[0:1], s[0:1], s[2:3]
.LBB26_1165:
                                        ; implicit-def: $vgpr4_vgpr5
	s_and_saveexec_b64 s[2:3], s[0:1]
	s_cbranch_execz .LBB26_1167
; %bb.1166:
	s_lshl_b32 s0, s6, 6
	s_ashr_i32 s1, s0, 31
	v_mov_b32_e32 v0, s1
	v_add_co_u32_e32 v1, vcc, s0, v19
	v_addc_co_u32_e32 v0, vcc, 0, v0, vcc
	v_mul_lo_u32 v0, v0, s50
	v_mul_lo_u32 v2, v1, s51
	v_mad_u64_u32 v[4:5], s[0:1], v1, s50, 0
	s_or_b64 s[4:5], s[4:5], exec
	v_add3_u32 v5, v5, v2, v0
.LBB26_1167:
	s_or_b64 exec, exec, s[2:3]
	s_and_saveexec_b64 s[0:1], s[4:5]
	s_cbranch_execz .LBB26_1169
.LBB26_1168:
	v_lshlrev_b64 v[0:1], 3, v[4:5]
	v_mov_b32_e32 v2, s21
	v_add_co_u32_e32 v0, vcc, s20, v0
	v_addc_co_u32_e32 v1, vcc, v2, v1, vcc
	global_store_dwordx2 v[0:1], v[10:11], off
.LBB26_1169:
	s_or_b64 exec, exec, s[0:1]
	v_cmp_eq_u32_e32 vcc, 0, v19
	s_waitcnt vmcnt(0)
	buffer_wbinvl1_vol
	s_barrier
	s_and_saveexec_b64 s[0:1], vcc
	s_cbranch_execz .LBB26_1171
; %bb.1170:
	s_lshl_b64 s[2:3], s[22:23], 2
	s_add_u32 s2, s14, s2
	s_addc_u32 s3, s15, s3
	v_mov_b32_e32 v0, 0
	global_load_dword v1, v0, s[2:3]
	s_waitcnt vmcnt(0)
	v_add_u32_e32 v1, 1, v1
	global_store_dword v0, v1, s[2:3]
.LBB26_1171:
	s_or_b64 exec, exec, s[0:1]
	s_waitcnt vmcnt(0)
	buffer_wbinvl1_vol
	s_endpgm
.LBB26_1172:
	ds_read_b64 v[22:23], v21 offset:31680
	ds_read_b64 v[24:25], v20 offset:31208
	s_waitcnt lgkmcnt(0)
	v_fma_f64 v[10:11], v[22:23], v[24:25], v[10:11]
	s_or_b64 exec, exec, s[14:15]
	v_cmp_gt_u32_e64 s[10:11], 8, v15
	s_and_saveexec_b64 s[14:15], s[10:11]
	s_cbranch_execz .LBB26_80
.LBB26_1173:
	ds_read_b64 v[21:22], v21 offset:32192
	ds_read_b64 v[23:24], v20 offset:31216
	s_waitcnt lgkmcnt(0)
	v_fma_f64 v[10:11], v[21:22], v[23:24], v[10:11]
	s_or_b64 exec, exec, s[14:15]
	v_cmp_gt_u32_e64 s[10:11], 4, v15
	s_and_saveexec_b64 s[14:15], s[10:11]
	s_cbranch_execnz .LBB26_81
	s_branch .LBB26_82
.LBB26_1174:
	ds_read_b64 v[25:26], v24 offset:29568
	ds_read_b64 v[27:28], v23 offset:29128
	s_waitcnt lgkmcnt(0)
	v_fma_f64 v[10:11], v[25:26], v[27:28], v[10:11]
	s_or_b64 exec, exec, s[16:17]
	v_cmp_gt_u32_e64 s[14:15], 48, v15
	s_and_saveexec_b64 s[16:17], s[14:15]
	s_cbranch_execz .LBB26_122
.LBB26_1175:
	ds_read_b64 v[25:26], v24 offset:30080
	ds_read_b64 v[27:28], v23 offset:29136
	s_waitcnt lgkmcnt(0)
	v_fma_f64 v[10:11], v[25:26], v[27:28], v[10:11]
	s_or_b64 exec, exec, s[16:17]
	v_cmp_gt_u32_e64 s[14:15], 40, v15
	s_and_saveexec_b64 s[16:17], s[14:15]
	s_cbranch_execz .LBB26_123
.LBB26_1176:
	ds_read_b64 v[25:26], v24 offset:30592
	ds_read_b64 v[27:28], v23 offset:29144
	s_waitcnt lgkmcnt(0)
	v_fma_f64 v[10:11], v[25:26], v[27:28], v[10:11]
	s_or_b64 exec, exec, s[16:17]
	v_cmp_gt_u32_e64 s[14:15], 32, v15
	s_and_saveexec_b64 s[16:17], s[14:15]
	s_cbranch_execz .LBB26_124
.LBB26_1177:
	ds_read_b64 v[25:26], v24 offset:31104
	ds_read_b64 v[27:28], v23 offset:29152
	s_waitcnt lgkmcnt(0)
	v_fma_f64 v[10:11], v[25:26], v[27:28], v[10:11]
	s_or_b64 exec, exec, s[16:17]
	v_cmp_gt_u32_e64 s[14:15], 24, v15
	s_and_saveexec_b64 s[16:17], s[14:15]
	s_cbranch_execz .LBB26_125
.LBB26_1178:
	ds_read_b64 v[25:26], v24 offset:31616
	ds_read_b64 v[27:28], v23 offset:29160
	s_waitcnt lgkmcnt(0)
	v_fma_f64 v[10:11], v[25:26], v[27:28], v[10:11]
	s_or_b64 exec, exec, s[16:17]
	s_and_saveexec_b64 s[14:15], s[18:19]
	s_cbranch_execz .LBB26_126
.LBB26_1179:
	ds_read_b64 v[24:25], v24 offset:32128
	ds_read_b64 v[26:27], v23 offset:29168
	s_waitcnt lgkmcnt(0)
	v_fma_f64 v[10:11], v[24:25], v[26:27], v[10:11]
	s_or_b64 exec, exec, s[14:15]
	v_cmp_gt_u32_e64 s[14:15], 8, v15
	s_and_saveexec_b64 s[16:17], s[14:15]
	s_cbranch_execnz .LBB26_127
	s_branch .LBB26_128
.LBB26_1180:
	ds_read_b64 v[25:26], v24 offset:27520
	ds_read_b64 v[27:28], v23 offset:27048
	s_waitcnt lgkmcnt(0)
	v_fma_f64 v[10:11], v[25:26], v[27:28], v[10:11]
	s_or_b64 exec, exec, s[14:15]
	v_cmp_gt_u32_e64 s[10:11], 8, v15
	s_and_saveexec_b64 s[14:15], s[10:11]
	s_cbranch_execz .LBB26_184
.LBB26_1181:
	ds_read_b64 v[24:25], v24 offset:28032
	ds_read_b64 v[26:27], v23 offset:27056
	s_waitcnt lgkmcnt(0)
	v_fma_f64 v[10:11], v[24:25], v[26:27], v[10:11]
	s_or_b64 exec, exec, s[14:15]
	v_cmp_gt_u32_e64 s[10:11], 4, v15
	s_and_saveexec_b64 s[14:15], s[10:11]
	s_cbranch_execnz .LBB26_185
	s_branch .LBB26_186
.LBB26_1182:
	ds_read_b64 v[28:29], v27 offset:30464
	ds_read_b64 v[30:31], v26 offset:25048
	s_waitcnt lgkmcnt(0)
	v_fma_f64 v[10:11], v[28:29], v[30:31], v[10:11]
	s_or_b64 exec, exec, s[20:21]
	s_and_saveexec_b64 s[16:17], s[8:9]
	s_cbranch_execz .LBB26_246
.LBB26_1183:
	ds_read_b64 v[28:29], v27 offset:30976
	ds_read_b64 v[30:31], v26 offset:25056
	s_waitcnt lgkmcnt(0)
	v_fma_f64 v[10:11], v[28:29], v[30:31], v[10:11]
	s_or_b64 exec, exec, s[16:17]
	v_cmp_gt_u32_e64 s[16:17], 48, v15
	s_and_saveexec_b64 s[20:21], s[16:17]
	s_cbranch_execz .LBB26_247
.LBB26_1184:
	ds_read_b64 v[28:29], v27 offset:31488
	ds_read_b64 v[30:31], v26 offset:25064
	s_waitcnt lgkmcnt(0)
	v_fma_f64 v[10:11], v[28:29], v[30:31], v[10:11]
	s_or_b64 exec, exec, s[20:21]
	v_cmp_gt_u32_e64 s[16:17], 32, v15
	s_and_saveexec_b64 s[20:21], s[16:17]
	s_cbranch_execz .LBB26_248
.LBB26_1185:
	ds_read_b64 v[27:28], v27 offset:32000
	ds_read_b64 v[29:30], v26 offset:25072
	s_waitcnt lgkmcnt(0)
	v_fma_f64 v[10:11], v[27:28], v[29:30], v[10:11]
	s_or_b64 exec, exec, s[20:21]
	v_cmp_gt_u32_e64 s[16:17], 16, v15
	s_and_saveexec_b64 s[20:21], s[16:17]
	s_cbranch_execnz .LBB26_249
	s_branch .LBB26_250
.LBB26_1186:
	ds_read_b64 v[28:29], v27 offset:23360
	ds_read_b64 v[30:31], v26 offset:22888
	s_waitcnt lgkmcnt(0)
	v_fma_f64 v[10:11], v[28:29], v[30:31], v[10:11]
	s_or_b64 exec, exec, s[20:21]
	v_cmp_gt_u32_e64 s[14:15], 8, v15
	s_and_saveexec_b64 s[20:21], s[14:15]
	s_cbranch_execz .LBB26_338
.LBB26_1187:
	ds_read_b64 v[27:28], v27 offset:23872
	ds_read_b64 v[29:30], v26 offset:22896
	s_waitcnt lgkmcnt(0)
	v_fma_f64 v[10:11], v[27:28], v[29:30], v[10:11]
	s_or_b64 exec, exec, s[20:21]
	v_cmp_gt_u32_e64 s[14:15], 4, v15
	s_and_saveexec_b64 s[20:21], s[14:15]
	s_cbranch_execnz .LBB26_339
	s_branch .LBB26_340
.LBB26_1188:
	ds_read_b64 v[28:29], v27 offset:21248
	ds_read_b64 v[30:31], v26 offset:20808
	s_waitcnt lgkmcnt(0)
	v_fma_f64 v[10:11], v[28:29], v[30:31], v[10:11]
	s_or_b64 exec, exec, s[20:21]
	v_cmp_gt_u32_e64 s[14:15], 48, v15
	s_and_saveexec_b64 s[20:21], s[14:15]
	s_cbranch_execz .LBB26_380
.LBB26_1189:
	ds_read_b64 v[28:29], v27 offset:21760
	ds_read_b64 v[30:31], v26 offset:20816
	s_waitcnt lgkmcnt(0)
	v_fma_f64 v[10:11], v[28:29], v[30:31], v[10:11]
	s_or_b64 exec, exec, s[20:21]
	v_cmp_gt_u32_e64 s[14:15], 40, v15
	s_and_saveexec_b64 s[20:21], s[14:15]
	s_cbranch_execz .LBB26_381
.LBB26_1190:
	ds_read_b64 v[28:29], v27 offset:22272
	ds_read_b64 v[30:31], v26 offset:20824
	s_waitcnt lgkmcnt(0)
	v_fma_f64 v[10:11], v[28:29], v[30:31], v[10:11]
	s_or_b64 exec, exec, s[20:21]
	v_cmp_gt_u32_e64 s[14:15], 32, v15
	s_and_saveexec_b64 s[20:21], s[14:15]
	s_cbranch_execz .LBB26_382
.LBB26_1191:
	ds_read_b64 v[28:29], v27 offset:22784
	ds_read_b64 v[30:31], v26 offset:20832
	s_waitcnt lgkmcnt(0)
	v_fma_f64 v[10:11], v[28:29], v[30:31], v[10:11]
	s_or_b64 exec, exec, s[20:21]
	v_cmp_gt_u32_e64 s[14:15], 24, v15
	s_and_saveexec_b64 s[20:21], s[14:15]
	s_cbranch_execz .LBB26_383
.LBB26_1192:
	ds_read_b64 v[28:29], v27 offset:23296
	ds_read_b64 v[30:31], v26 offset:20840
	s_waitcnt lgkmcnt(0)
	v_fma_f64 v[10:11], v[28:29], v[30:31], v[10:11]
	s_or_b64 exec, exec, s[20:21]
	s_and_saveexec_b64 s[14:15], s[18:19]
	s_cbranch_execz .LBB26_384
.LBB26_1193:
	ds_read_b64 v[27:28], v27 offset:23808
	ds_read_b64 v[29:30], v26 offset:20848
	s_waitcnt lgkmcnt(0)
	v_fma_f64 v[10:11], v[27:28], v[29:30], v[10:11]
	s_or_b64 exec, exec, s[14:15]
	v_cmp_gt_u32_e64 s[14:15], 8, v15
	s_and_saveexec_b64 s[20:21], s[14:15]
	s_cbranch_execnz .LBB26_385
	s_branch .LBB26_386
.LBB26_1194:
	ds_read_b64 v[28:29], v27 offset:19200
	ds_read_b64 v[30:31], v26 offset:18728
	s_waitcnt lgkmcnt(0)
	v_fma_f64 v[10:11], v[28:29], v[30:31], v[10:11]
	s_or_b64 exec, exec, s[20:21]
	v_cmp_gt_u32_e64 s[14:15], 8, v15
	s_and_saveexec_b64 s[20:21], s[14:15]
	s_cbranch_execz .LBB26_442
.LBB26_1195:
	ds_read_b64 v[27:28], v27 offset:19712
	ds_read_b64 v[29:30], v26 offset:18736
	s_waitcnt lgkmcnt(0)
	v_fma_f64 v[10:11], v[27:28], v[29:30], v[10:11]
	s_or_b64 exec, exec, s[20:21]
	v_cmp_gt_u32_e64 s[14:15], 4, v15
	s_and_saveexec_b64 s[20:21], s[14:15]
	s_cbranch_execnz .LBB26_443
	s_branch .LBB26_444
.LBB26_1196:
	ds_read_b64 v[31:32], v27 offset:31232
	ds_read_b64 v[33:34], v30 offset:16872
	s_waitcnt lgkmcnt(0)
	v_fma_f64 v[10:11], v[31:32], v[33:34], v[10:11]
	s_or_b64 exec, exec, s[26:27]
	s_and_saveexec_b64 s[20:21], s[8:9]
	s_cbranch_execz .LBB26_540
.LBB26_1197:
	ds_read_b64 v[31:32], v27 offset:31744
	ds_read_b64 v[33:34], v30 offset:16880
	s_waitcnt lgkmcnt(0)
	v_fma_f64 v[10:11], v[31:32], v[33:34], v[10:11]
	s_or_b64 exec, exec, s[20:21]
	v_cmp_gt_u32_e64 s[20:21], 32, v15
	s_and_saveexec_b64 s[26:27], s[20:21]
	s_cbranch_execnz .LBB26_541
	s_branch .LBB26_542
.LBB26_1198:
	ds_read_b64 v[28:29], v27 offset:15040
	ds_read_b64 v[30:31], v26 offset:14568
	s_waitcnt lgkmcnt(0)
	v_fma_f64 v[10:11], v[28:29], v[30:31], v[10:11]
	s_or_b64 exec, exec, s[16:17]
	v_cmp_gt_u32_e64 s[12:13], 8, v15
	s_and_saveexec_b64 s[16:17], s[12:13]
	s_cbranch_execz .LBB26_694
.LBB26_1199:
	ds_read_b64 v[27:28], v27 offset:15552
	ds_read_b64 v[29:30], v26 offset:14576
	s_waitcnt lgkmcnt(0)
	v_fma_f64 v[10:11], v[27:28], v[29:30], v[10:11]
	s_or_b64 exec, exec, s[16:17]
	v_cmp_gt_u32_e64 s[12:13], 4, v15
	s_and_saveexec_b64 s[16:17], s[12:13]
	s_cbranch_execnz .LBB26_695
	s_branch .LBB26_696
.LBB26_1200:
	ds_read_b64 v[28:29], v27 offset:12928
	ds_read_b64 v[30:31], v26 offset:12488
	s_waitcnt lgkmcnt(0)
	v_fma_f64 v[10:11], v[28:29], v[30:31], v[10:11]
	s_or_b64 exec, exec, s[16:17]
	v_cmp_gt_u32_e64 s[12:13], 48, v15
	s_and_saveexec_b64 s[16:17], s[12:13]
	s_cbranch_execz .LBB26_736
.LBB26_1201:
	ds_read_b64 v[28:29], v27 offset:13440
	ds_read_b64 v[30:31], v26 offset:12496
	s_waitcnt lgkmcnt(0)
	v_fma_f64 v[10:11], v[28:29], v[30:31], v[10:11]
	s_or_b64 exec, exec, s[16:17]
	v_cmp_gt_u32_e64 s[12:13], 40, v15
	s_and_saveexec_b64 s[16:17], s[12:13]
	s_cbranch_execz .LBB26_737
.LBB26_1202:
	ds_read_b64 v[28:29], v27 offset:13952
	ds_read_b64 v[30:31], v26 offset:12504
	s_waitcnt lgkmcnt(0)
	v_fma_f64 v[10:11], v[28:29], v[30:31], v[10:11]
	s_or_b64 exec, exec, s[16:17]
	v_cmp_gt_u32_e64 s[12:13], 32, v15
	s_and_saveexec_b64 s[16:17], s[12:13]
	s_cbranch_execz .LBB26_738
.LBB26_1203:
	ds_read_b64 v[28:29], v27 offset:14464
	ds_read_b64 v[30:31], v26 offset:12512
	s_waitcnt lgkmcnt(0)
	v_fma_f64 v[10:11], v[28:29], v[30:31], v[10:11]
	s_or_b64 exec, exec, s[16:17]
	v_cmp_gt_u32_e64 s[12:13], 24, v15
	s_and_saveexec_b64 s[16:17], s[12:13]
	s_cbranch_execz .LBB26_739
.LBB26_1204:
	ds_read_b64 v[28:29], v27 offset:14976
	ds_read_b64 v[30:31], v26 offset:12520
	s_waitcnt lgkmcnt(0)
	v_fma_f64 v[10:11], v[28:29], v[30:31], v[10:11]
	s_or_b64 exec, exec, s[16:17]
	s_and_saveexec_b64 s[12:13], s[18:19]
	s_cbranch_execz .LBB26_740
.LBB26_1205:
	ds_read_b64 v[27:28], v27 offset:15488
	ds_read_b64 v[29:30], v26 offset:12528
	s_waitcnt lgkmcnt(0)
	v_fma_f64 v[10:11], v[27:28], v[29:30], v[10:11]
	s_or_b64 exec, exec, s[12:13]
	v_cmp_gt_u32_e64 s[12:13], 8, v15
	s_and_saveexec_b64 s[16:17], s[12:13]
	s_cbranch_execnz .LBB26_741
	s_branch .LBB26_742
.LBB26_1206:
	ds_read_b64 v[28:29], v27 offset:10880
	ds_read_b64 v[30:31], v26 offset:10408
	s_waitcnt lgkmcnt(0)
	v_fma_f64 v[10:11], v[28:29], v[30:31], v[10:11]
	s_or_b64 exec, exec, s[16:17]
	v_cmp_gt_u32_e64 s[12:13], 8, v15
	s_and_saveexec_b64 s[16:17], s[12:13]
	s_cbranch_execz .LBB26_798
.LBB26_1207:
	ds_read_b64 v[27:28], v27 offset:11392
	ds_read_b64 v[29:30], v26 offset:10416
	s_waitcnt lgkmcnt(0)
	v_fma_f64 v[10:11], v[27:28], v[29:30], v[10:11]
	s_or_b64 exec, exec, s[16:17]
	v_cmp_gt_u32_e64 s[12:13], 4, v15
	s_and_saveexec_b64 s[16:17], s[12:13]
	s_cbranch_execnz .LBB26_799
	s_branch .LBB26_800
.LBB26_1208:
	ds_read_b64 v[28:29], v27 offset:13824
	ds_read_b64 v[30:31], v26 offset:8408
	s_waitcnt lgkmcnt(0)
	v_fma_f64 v[10:11], v[28:29], v[30:31], v[10:11]
	s_or_b64 exec, exec, s[16:17]
	s_and_saveexec_b64 s[12:13], s[8:9]
	s_cbranch_execz .LBB26_860
.LBB26_1209:
	ds_read_b64 v[28:29], v27 offset:14336
	ds_read_b64 v[30:31], v26 offset:8416
	s_waitcnt lgkmcnt(0)
	v_fma_f64 v[10:11], v[28:29], v[30:31], v[10:11]
	s_or_b64 exec, exec, s[12:13]
	v_cmp_gt_u32_e64 s[12:13], 48, v15
	s_and_saveexec_b64 s[16:17], s[12:13]
	s_cbranch_execz .LBB26_861
.LBB26_1210:
	ds_read_b64 v[28:29], v27 offset:14848
	ds_read_b64 v[30:31], v26 offset:8424
	s_waitcnt lgkmcnt(0)
	v_fma_f64 v[10:11], v[28:29], v[30:31], v[10:11]
	s_or_b64 exec, exec, s[16:17]
	v_cmp_gt_u32_e64 s[12:13], 32, v15
	s_and_saveexec_b64 s[16:17], s[12:13]
	s_cbranch_execz .LBB26_862
.LBB26_1211:
	ds_read_b64 v[27:28], v27 offset:15360
	ds_read_b64 v[29:30], v26 offset:8432
	s_waitcnt lgkmcnt(0)
	v_fma_f64 v[10:11], v[27:28], v[29:30], v[10:11]
	s_or_b64 exec, exec, s[16:17]
	v_cmp_gt_u32_e64 s[12:13], 16, v15
	s_and_saveexec_b64 s[16:17], s[12:13]
	s_cbranch_execnz .LBB26_863
	s_branch .LBB26_864
.LBB26_1212:
	ds_read_b64 v[25:26], v24 offset:6720
	ds_read_b64 v[27:28], v23 offset:6248
	s_waitcnt lgkmcnt(0)
	v_fma_f64 v[10:11], v[25:26], v[27:28], v[10:11]
	s_or_b64 exec, exec, s[12:13]
	v_cmp_gt_u32_e64 s[10:11], 8, v15
	s_and_saveexec_b64 s[12:13], s[10:11]
	s_cbranch_execz .LBB26_952
.LBB26_1213:
	ds_read_b64 v[24:25], v24 offset:7232
	ds_read_b64 v[26:27], v23 offset:6256
	s_waitcnt lgkmcnt(0)
	v_fma_f64 v[10:11], v[24:25], v[26:27], v[10:11]
	s_or_b64 exec, exec, s[12:13]
	v_cmp_gt_u32_e64 s[10:11], 4, v15
	s_and_saveexec_b64 s[12:13], s[10:11]
	s_cbranch_execnz .LBB26_953
	s_branch .LBB26_954
.LBB26_1214:
	ds_read_b64 v[25:26], v24 offset:4608
	ds_read_b64 v[27:28], v23 offset:4168
	s_waitcnt lgkmcnt(0)
	v_fma_f64 v[10:11], v[25:26], v[27:28], v[10:11]
	s_or_b64 exec, exec, s[12:13]
	v_cmp_gt_u32_e64 s[10:11], 48, v15
	s_and_saveexec_b64 s[12:13], s[10:11]
	s_cbranch_execz .LBB26_994
.LBB26_1215:
	ds_read_b64 v[25:26], v24 offset:5120
	ds_read_b64 v[27:28], v23 offset:4176
	s_waitcnt lgkmcnt(0)
	v_fma_f64 v[10:11], v[25:26], v[27:28], v[10:11]
	s_or_b64 exec, exec, s[12:13]
	v_cmp_gt_u32_e64 s[10:11], 40, v15
	s_and_saveexec_b64 s[12:13], s[10:11]
	s_cbranch_execz .LBB26_995
.LBB26_1216:
	ds_read_b64 v[25:26], v24 offset:5632
	ds_read_b64 v[27:28], v23 offset:4184
	s_waitcnt lgkmcnt(0)
	v_fma_f64 v[10:11], v[25:26], v[27:28], v[10:11]
	s_or_b64 exec, exec, s[12:13]
	v_cmp_gt_u32_e64 s[10:11], 32, v15
	s_and_saveexec_b64 s[12:13], s[10:11]
	s_cbranch_execz .LBB26_996
.LBB26_1217:
	ds_read_b64 v[25:26], v24 offset:6144
	ds_read_b64 v[27:28], v23 offset:4192
	s_waitcnt lgkmcnt(0)
	v_fma_f64 v[10:11], v[25:26], v[27:28], v[10:11]
	s_or_b64 exec, exec, s[12:13]
	v_cmp_gt_u32_e64 s[10:11], 24, v15
	s_and_saveexec_b64 s[12:13], s[10:11]
	s_cbranch_execz .LBB26_997
.LBB26_1218:
	ds_read_b64 v[25:26], v24 offset:6656
	ds_read_b64 v[27:28], v23 offset:4200
	s_waitcnt lgkmcnt(0)
	v_fma_f64 v[10:11], v[25:26], v[27:28], v[10:11]
	s_or_b64 exec, exec, s[12:13]
	s_and_saveexec_b64 s[10:11], s[18:19]
	s_cbranch_execz .LBB26_998
.LBB26_1219:
	ds_read_b64 v[24:25], v24 offset:7168
	ds_read_b64 v[26:27], v23 offset:4208
	s_waitcnt lgkmcnt(0)
	v_fma_f64 v[10:11], v[24:25], v[26:27], v[10:11]
	s_or_b64 exec, exec, s[10:11]
	v_cmp_gt_u32_e64 s[10:11], 8, v15
	s_and_saveexec_b64 s[12:13], s[10:11]
	s_cbranch_execnz .LBB26_999
	s_branch .LBB26_1000
.LBB26_1220:
	ds_read_b64 v[22:23], v21 offset:2560
	ds_read_b64 v[24:25], v20 offset:2088
	s_waitcnt lgkmcnt(0)
	v_fma_f64 v[10:11], v[22:23], v[24:25], v[10:11]
	s_or_b64 exec, exec, s[10:11]
	v_cmp_gt_u32_e64 s[8:9], 8, v15
	s_and_saveexec_b64 s[10:11], s[8:9]
	s_cbranch_execz .LBB26_1056
.LBB26_1221:
	ds_read_b64 v[21:22], v21 offset:3072
	ds_read_b64 v[23:24], v20 offset:2096
	s_waitcnt lgkmcnt(0)
	v_fma_f64 v[10:11], v[21:22], v[23:24], v[10:11]
	s_or_b64 exec, exec, s[10:11]
	v_cmp_gt_u32_e64 s[8:9], 4, v15
	s_and_saveexec_b64 s[10:11], s[8:9]
	s_cbranch_execnz .LBB26_1057
	s_branch .LBB26_1058
	.section	.rodata,"a",@progbits
	.p2align	6, 0x0
	.amdhsa_kernel _ZL19rocblas_trsv_deviceILi64ELi16ELb0ELb1ELb0ELb1EdPKdS1_PdEviT7_lllT6_T8_lllPii
		.amdhsa_group_segment_fixed_size 41480
		.amdhsa_private_segment_fixed_size 0
		.amdhsa_kernarg_size 352
		.amdhsa_user_sgpr_count 6
		.amdhsa_user_sgpr_private_segment_buffer 1
		.amdhsa_user_sgpr_dispatch_ptr 0
		.amdhsa_user_sgpr_queue_ptr 0
		.amdhsa_user_sgpr_kernarg_segment_ptr 1
		.amdhsa_user_sgpr_dispatch_id 0
		.amdhsa_user_sgpr_flat_scratch_init 0
		.amdhsa_user_sgpr_private_segment_size 0
		.amdhsa_uses_dynamic_stack 0
		.amdhsa_system_sgpr_private_segment_wavefront_offset 0
		.amdhsa_system_sgpr_workgroup_id_x 1
		.amdhsa_system_sgpr_workgroup_id_y 0
		.amdhsa_system_sgpr_workgroup_id_z 1
		.amdhsa_system_sgpr_workgroup_info 0
		.amdhsa_system_vgpr_workitem_id 1
		.amdhsa_next_free_vgpr 49
		.amdhsa_next_free_sgpr 98
		.amdhsa_reserve_vcc 1
		.amdhsa_reserve_flat_scratch 0
		.amdhsa_float_round_mode_32 0
		.amdhsa_float_round_mode_16_64 0
		.amdhsa_float_denorm_mode_32 3
		.amdhsa_float_denorm_mode_16_64 3
		.amdhsa_dx10_clamp 1
		.amdhsa_ieee_mode 1
		.amdhsa_fp16_overflow 0
		.amdhsa_exception_fp_ieee_invalid_op 0
		.amdhsa_exception_fp_denorm_src 0
		.amdhsa_exception_fp_ieee_div_zero 0
		.amdhsa_exception_fp_ieee_overflow 0
		.amdhsa_exception_fp_ieee_underflow 0
		.amdhsa_exception_fp_ieee_inexact 0
		.amdhsa_exception_int_div_zero 0
	.end_amdhsa_kernel
	.section	.text._ZL19rocblas_trsv_deviceILi64ELi16ELb0ELb1ELb0ELb1EdPKdS1_PdEviT7_lllT6_T8_lllPii,"axG",@progbits,_ZL19rocblas_trsv_deviceILi64ELi16ELb0ELb1ELb0ELb1EdPKdS1_PdEviT7_lllT6_T8_lllPii,comdat
.Lfunc_end26:
	.size	_ZL19rocblas_trsv_deviceILi64ELi16ELb0ELb1ELb0ELb1EdPKdS1_PdEviT7_lllT6_T8_lllPii, .Lfunc_end26-_ZL19rocblas_trsv_deviceILi64ELi16ELb0ELb1ELb0ELb1EdPKdS1_PdEviT7_lllT6_T8_lllPii
                                        ; -- End function
	.set _ZL19rocblas_trsv_deviceILi64ELi16ELb0ELb1ELb0ELb1EdPKdS1_PdEviT7_lllT6_T8_lllPii.num_vgpr, 36
	.set _ZL19rocblas_trsv_deviceILi64ELi16ELb0ELb1ELb0ELb1EdPKdS1_PdEviT7_lllT6_T8_lllPii.num_agpr, 0
	.set _ZL19rocblas_trsv_deviceILi64ELi16ELb0ELb1ELb0ELb1EdPKdS1_PdEviT7_lllT6_T8_lllPii.numbered_sgpr, 96
	.set _ZL19rocblas_trsv_deviceILi64ELi16ELb0ELb1ELb0ELb1EdPKdS1_PdEviT7_lllT6_T8_lllPii.num_named_barrier, 0
	.set _ZL19rocblas_trsv_deviceILi64ELi16ELb0ELb1ELb0ELb1EdPKdS1_PdEviT7_lllT6_T8_lllPii.private_seg_size, 0
	.set _ZL19rocblas_trsv_deviceILi64ELi16ELb0ELb1ELb0ELb1EdPKdS1_PdEviT7_lllT6_T8_lllPii.uses_vcc, 1
	.set _ZL19rocblas_trsv_deviceILi64ELi16ELb0ELb1ELb0ELb1EdPKdS1_PdEviT7_lllT6_T8_lllPii.uses_flat_scratch, 0
	.set _ZL19rocblas_trsv_deviceILi64ELi16ELb0ELb1ELb0ELb1EdPKdS1_PdEviT7_lllT6_T8_lllPii.has_dyn_sized_stack, 0
	.set _ZL19rocblas_trsv_deviceILi64ELi16ELb0ELb1ELb0ELb1EdPKdS1_PdEviT7_lllT6_T8_lllPii.has_recursion, 0
	.set _ZL19rocblas_trsv_deviceILi64ELi16ELb0ELb1ELb0ELb1EdPKdS1_PdEviT7_lllT6_T8_lllPii.has_indirect_call, 0
	.section	.AMDGPU.csdata,"",@progbits
; Kernel info:
; codeLenInByte = 36488
; TotalNumSgprs: 100
; NumVgprs: 36
; ScratchSize: 0
; MemoryBound: 0
; FloatMode: 240
; IeeeMode: 1
; LDSByteSize: 41480 bytes/workgroup (compile time only)
; SGPRBlocks: 12
; VGPRBlocks: 12
; NumSGPRsForWavesPerEU: 102
; NumVGPRsForWavesPerEU: 49
; Occupancy: 4
; WaveLimiterHint : 0
; COMPUTE_PGM_RSRC2:SCRATCH_EN: 0
; COMPUTE_PGM_RSRC2:USER_SGPR: 6
; COMPUTE_PGM_RSRC2:TRAP_HANDLER: 0
; COMPUTE_PGM_RSRC2:TGID_X_EN: 1
; COMPUTE_PGM_RSRC2:TGID_Y_EN: 0
; COMPUTE_PGM_RSRC2:TGID_Z_EN: 1
; COMPUTE_PGM_RSRC2:TIDIG_COMP_CNT: 1
	.section	.text._ZL19rocblas_trsv_deviceILi64ELi16ELb0ELb1ELb1ELb1EdPKdS1_PdEviT7_lllT6_T8_lllPii,"axG",@progbits,_ZL19rocblas_trsv_deviceILi64ELi16ELb0ELb1ELb1ELb1EdPKdS1_PdEviT7_lllT6_T8_lllPii,comdat
	.globl	_ZL19rocblas_trsv_deviceILi64ELi16ELb0ELb1ELb1ELb1EdPKdS1_PdEviT7_lllT6_T8_lllPii ; -- Begin function _ZL19rocblas_trsv_deviceILi64ELi16ELb0ELb1ELb1ELb1EdPKdS1_PdEviT7_lllT6_T8_lllPii
	.p2align	8
	.type	_ZL19rocblas_trsv_deviceILi64ELi16ELb0ELb1ELb1ELb1EdPKdS1_PdEviT7_lllT6_T8_lllPii,@function
_ZL19rocblas_trsv_deviceILi64ELi16ELb0ELb1ELb1ELb1EdPKdS1_PdEviT7_lllT6_T8_lllPii: ; @_ZL19rocblas_trsv_deviceILi64ELi16ELb0ELb1ELb1ELb1EdPKdS1_PdEviT7_lllT6_T8_lllPii
; %bb.0:
	s_load_dwordx16 s[36:51], s[4:5], 0x8
	s_load_dword s33, s[4:5], 0x0
	s_mov_b32 s22, s7
	s_mov_b32 s23, 0
	s_waitcnt lgkmcnt(0)
	s_mul_i32 s0, s43, s7
	s_mul_hi_u32 s1, s42, s7
	s_add_i32 s1, s1, s0
	s_mul_i32 s0, s42, s7
	s_lshl_b64 s[0:1], s[0:1], 3
	s_add_u32 s2, s36, s0
	s_addc_u32 s3, s37, s1
	s_lshl_b64 s[0:1], s[38:39], 3
	s_load_dwordx2 s[38:39], s[44:45], 0x0
	s_load_dword s26, s[4:5], 0x6c
	s_add_u32 s88, s2, s0
	s_addc_u32 s89, s3, s1
	s_cmp_eq_u32 s6, 0
	s_cbranch_scc1 .LBB27_10
; %bb.1:
	s_lshl_b32 s2, s6, 6
	v_add_u32_e32 v4, s2, v0
	v_ashrrev_i32_e32 v2, 31, v4
	v_mul_lo_u32 v5, s40, v2
	v_mul_lo_u32 v6, s41, v4
	v_mad_u64_u32 v[2:3], s[0:1], s40, v4, 0
	v_add_u32_e32 v7, s2, v1
	v_subrev_u32_e32 v10, 64, v7
	v_add3_u32 v3, v3, v5, v6
	v_lshlrev_b64 v[2:3], 3, v[2:3]
	v_ashrrev_i32_e32 v11, 31, v10
	v_cmp_gt_i32_e32 vcc, s33, v4
	v_mov_b32_e32 v4, s89
	v_add_co_u32_e64 v5, s[0:1], s88, v2
	v_addc_co_u32_e64 v4, s[0:1], v4, v3, s[0:1]
	v_lshlrev_b64 v[2:3], 3, v[10:11]
	s_waitcnt lgkmcnt(0)
	v_add_co_u32_e64 v11, s[0:1], v5, v2
	v_addc_co_u32_e64 v12, s[0:1], v4, v3, s[0:1]
	v_cmp_gt_i32_e64 s[0:1], s33, v10
	v_mov_b32_e32 v2, 0
	v_mov_b32_e32 v4, 0
	;; [unrolled: 1-line block ×4, first 2 shown]
	s_and_b64 s[2:3], s[0:1], vcc
	s_barrier
	s_and_saveexec_b64 s[0:1], s[2:3]
	s_cbranch_execz .LBB27_3
; %bb.2:
	global_load_dwordx2 v[4:5], v[11:12], off
.LBB27_3:
	s_or_b64 exec, exec, s[0:1]
	v_add_u32_e32 v6, 16, v10
	v_cmp_gt_i32_e64 s[0:1], s33, v6
	s_and_b64 s[2:3], s[0:1], vcc
	s_waitcnt vmcnt(0)
	s_barrier
	s_and_saveexec_b64 s[0:1], s[2:3]
	s_cbranch_execz .LBB27_5
; %bb.4:
	global_load_dwordx2 v[2:3], v[11:12], off offset:128
.LBB27_5:
	s_or_b64 exec, exec, s[0:1]
	v_add_u32_e32 v6, 32, v10
	v_cmp_gt_i32_e64 s[0:1], s33, v6
	v_mov_b32_e32 v6, 0
	v_mov_b32_e32 v8, 0
	;; [unrolled: 1-line block ×4, first 2 shown]
	s_and_b64 s[2:3], s[0:1], vcc
	s_waitcnt vmcnt(0)
	s_barrier
	s_and_saveexec_b64 s[0:1], s[2:3]
	s_cbranch_execz .LBB27_7
; %bb.6:
	global_load_dwordx2 v[8:9], v[11:12], off offset:256
.LBB27_7:
	s_or_b64 exec, exec, s[0:1]
	v_add_u32_e32 v10, 48, v10
	v_cmp_gt_i32_e64 s[0:1], s33, v10
	s_and_b64 s[2:3], s[0:1], vcc
	s_waitcnt vmcnt(0)
	s_barrier
	s_and_saveexec_b64 s[0:1], s[2:3]
	s_cbranch_execz .LBB27_9
; %bb.8:
	global_load_dwordx2 v[6:7], v[11:12], off offset:384
.LBB27_9:
	s_or_b64 exec, exec, s[0:1]
	s_branch .LBB27_11
.LBB27_10:
                                        ; implicit-def: $vgpr6_vgpr7
                                        ; implicit-def: $vgpr8_vgpr9
                                        ; implicit-def: $vgpr2_vgpr3
                                        ; implicit-def: $vgpr4_vgpr5
.LBB27_11:
	s_ashr_i32 s0, s33, 31
	s_lshr_b32 s0, s0, 26
	s_add_i32 s0, s33, s0
	s_andn2_b32 s0, s0, 63
	s_sub_i32 s7, s33, s0
	s_add_i32 s0, s33, -1
	s_ashr_i32 s1, s0, 31
	s_lshr_b32 s1, s1, 26
	s_add_i32 s0, s0, s1
	s_ashr_i32 s0, s0, 6
	s_cmp_eq_u32 s0, s6
	s_cselect_b64 s[0:1], -1, 0
	s_cmp_lg_u32 s7, 0
	s_cselect_b64 s[2:3], -1, 0
	s_and_b64 s[24:25], s[2:3], s[0:1]
	s_cmp_lt_i32 s6, 5
	s_cselect_b64 s[2:3], -1, 0
	s_mov_b64 s[12:13], -1
	s_or_b64 s[0:1], s[2:3], s[24:25]
	v_lshlrev_b32_e32 v14, 6, v0
	s_and_b64 vcc, exec, s[24:25]
	v_cmp_le_u32_e64 s[8:9], v1, v0
	v_lshlrev_b32_e32 v18, 3, v0
	s_cbranch_vccnz .LBB27_33
; %bb.12:
	s_add_u32 s10, s40, 1
	s_addc_u32 s11, s41, 0
	s_lshl_b32 s12, s6, 6
	s_ashr_i32 s13, s12, 31
	s_mul_hi_u32 s14, s10, s12
	s_mul_i32 s13, s10, s13
	s_add_i32 s13, s14, s13
	s_mul_i32 s11, s11, s12
	s_add_i32 s11, s13, s11
	s_mul_i32 s10, s10, s12
	s_lshl_b64 s[10:11], s[10:11], 3
	s_add_u32 s10, s88, s10
	s_addc_u32 s11, s89, s11
	v_lshlrev_b32_e32 v10, 3, v0
	v_mov_b32_e32 v11, s11
	v_add_co_u32_e32 v10, vcc, s10, v10
	v_addc_co_u32_e32 v11, vcc, 0, v11, vcc
	s_mov_b64 s[10:11], 0
	s_and_saveexec_b64 s[12:13], s[8:9]
	s_xor_b64 s[8:9], exec, s[12:13]
; %bb.13:
	v_or_b32_e32 v12, v1, v0
	v_cmp_gt_u32_e32 vcc, 64, v12
	s_and_b64 s[10:11], vcc, exec
; %bb.14:
	s_or_saveexec_b64 s[8:9], s[8:9]
	v_mov_b32_e32 v12, 0
	v_mov_b32_e32 v13, 0
	s_xor_b64 exec, exec, s[8:9]
	s_cbranch_execz .LBB27_16
; %bb.15:
	v_mad_u64_u32 v[12:13], s[12:13], s40, v1, 0
	s_or_b64 s[10:11], s[10:11], exec
	v_mad_u64_u32 v[15:16], s[12:13], s41, v1, v[13:14]
	v_mov_b32_e32 v13, v15
	v_lshlrev_b64 v[12:13], 3, v[12:13]
	v_add_co_u32_e32 v12, vcc, v10, v12
	v_addc_co_u32_e32 v13, vcc, v11, v13, vcc
	global_load_dwordx2 v[12:13], v[12:13], off
	s_waitcnt vmcnt(0)
	v_xor_b32_e32 v13, 0x80000000, v13
.LBB27_16:
	s_or_b64 exec, exec, s[8:9]
	s_and_saveexec_b64 s[8:9], s[10:11]
; %bb.17:
	v_add_u32_e32 v15, v1, v14
	v_lshl_add_u32 v16, v1, 6, v0
	v_cndmask_b32_e64 v15, v16, v15, s[2:3]
	v_lshlrev_b32_e32 v15, 3, v15
	ds_write_b64 v15, v[12:13]
; %bb.18:
	s_or_b64 exec, exec, s[8:9]
	v_add_u32_e32 v15, 16, v1
	v_cmp_le_u32_e32 vcc, v15, v0
	s_mov_b64 s[2:3], 0
	s_and_saveexec_b64 s[8:9], vcc
	s_xor_b64 s[8:9], exec, s[8:9]
; %bb.19:
	v_or_b32_e32 v12, v15, v0
	v_cmp_gt_u32_e32 vcc, 64, v12
	s_and_b64 s[2:3], vcc, exec
; %bb.20:
	s_or_saveexec_b64 s[8:9], s[8:9]
	v_mov_b32_e32 v12, 0
	v_mov_b32_e32 v13, 0
	s_xor_b64 exec, exec, s[8:9]
	s_cbranch_execz .LBB27_22
; %bb.21:
	v_mad_u64_u32 v[12:13], s[10:11], s40, v15, 0
	s_or_b64 s[2:3], s[2:3], exec
	v_mad_u64_u32 v[16:17], s[10:11], s41, v15, v[13:14]
	v_mov_b32_e32 v13, v16
	v_lshlrev_b64 v[12:13], 3, v[12:13]
	v_add_co_u32_e32 v12, vcc, v10, v12
	v_addc_co_u32_e32 v13, vcc, v11, v13, vcc
	global_load_dwordx2 v[12:13], v[12:13], off
	s_waitcnt vmcnt(0)
	v_xor_b32_e32 v13, 0x80000000, v13
.LBB27_22:
	s_or_b64 exec, exec, s[8:9]
	s_and_saveexec_b64 s[8:9], s[2:3]
; %bb.23:
	v_add_u32_e32 v16, v15, v14
	v_lshl_add_u32 v15, v15, 6, v0
	v_cndmask_b32_e64 v15, v15, v16, s[0:1]
	v_lshlrev_b32_e32 v15, 3, v15
	ds_write_b64 v15, v[12:13]
; %bb.24:
	s_or_b64 exec, exec, s[8:9]
	v_add_u32_e32 v15, 32, v1
	v_cmp_le_u32_e32 vcc, v15, v0
	s_mov_b64 s[2:3], 0
	s_and_saveexec_b64 s[8:9], vcc
	s_xor_b64 s[8:9], exec, s[8:9]
; %bb.25:
	v_or_b32_e32 v12, v15, v0
	v_cmp_gt_u32_e32 vcc, 64, v12
	s_and_b64 s[2:3], vcc, exec
; %bb.26:
	s_or_saveexec_b64 s[8:9], s[8:9]
	v_mov_b32_e32 v12, 0
	v_mov_b32_e32 v13, 0
	s_xor_b64 exec, exec, s[8:9]
	s_cbranch_execz .LBB27_28
; %bb.27:
	v_mad_u64_u32 v[12:13], s[10:11], s40, v15, 0
	s_or_b64 s[2:3], s[2:3], exec
	v_mad_u64_u32 v[16:17], s[10:11], s41, v15, v[13:14]
	v_mov_b32_e32 v13, v16
	v_lshlrev_b64 v[12:13], 3, v[12:13]
	v_add_co_u32_e32 v12, vcc, v10, v12
	v_addc_co_u32_e32 v13, vcc, v11, v13, vcc
	global_load_dwordx2 v[12:13], v[12:13], off
	s_waitcnt vmcnt(0)
	v_xor_b32_e32 v13, 0x80000000, v13
.LBB27_28:
	s_or_b64 exec, exec, s[8:9]
	s_and_saveexec_b64 s[8:9], s[2:3]
; %bb.29:
	v_add_u32_e32 v16, v15, v14
	v_lshl_add_u32 v15, v15, 6, v0
	v_cndmask_b32_e64 v15, v15, v16, s[0:1]
	v_lshlrev_b32_e32 v15, 3, v15
	ds_write_b64 v15, v[12:13]
; %bb.30:
	s_or_b64 exec, exec, s[8:9]
	v_add_u32_e32 v15, 48, v1
	v_add_u32_e32 v12, v15, v14
	v_lshl_add_u32 v13, v15, 6, v0
	v_cmp_le_u32_e32 vcc, v15, v0
	s_mov_b64 s[2:3], -1
	s_mov_b64 s[12:13], 0
	s_mov_b64 s[10:11], 0
	s_and_saveexec_b64 s[8:9], vcc
	s_xor_b64 s[8:9], exec, s[8:9]
; %bb.31:
	v_or_b32_e32 v16, v15, v0
	v_cmp_gt_u32_e32 vcc, 64, v16
	s_and_b64 s[10:11], vcc, exec
	s_xor_b64 s[2:3], exec, -1
; %bb.32:
	s_or_b64 exec, exec, s[8:9]
	v_cndmask_b32_e64 v16, v13, v12, s[0:1]
	s_and_b64 vcc, exec, s[12:13]
	s_cbranch_vccnz .LBB27_34
	s_branch .LBB27_55
.LBB27_33:
	s_mov_b64 s[2:3], 0
	s_mov_b64 s[10:11], 0
                                        ; implicit-def: $vgpr16
                                        ; implicit-def: $vgpr10_vgpr11
                                        ; implicit-def: $vgpr15
	s_and_b64 vcc, exec, s[12:13]
	s_cbranch_vccz .LBB27_55
.LBB27_34:
	s_add_u32 s2, s40, 1
	s_addc_u32 s3, s41, 0
	s_lshl_b32 s8, s6, 6
	s_ashr_i32 s9, s8, 31
	s_mul_hi_u32 s12, s2, s8
	s_mul_i32 s9, s2, s9
	s_add_i32 s9, s12, s9
	s_mul_i32 s3, s3, s8
	s_add_i32 s3, s9, s3
	s_mul_i32 s2, s2, s8
	s_lshl_b64 s[2:3], s[2:3], 3
	s_add_u32 s2, s88, s2
	s_addc_u32 s3, s89, s3
	v_lshlrev_b32_e32 v10, 3, v0
	v_mov_b32_e32 v11, s3
	v_add_co_u32_e64 v10, s[2:3], s2, v10
	v_addc_co_u32_e64 v11, s[2:3], 0, v11, s[2:3]
	v_max_i32_e32 v12, v1, v0
	v_cmp_le_u32_e64 s[2:3], v1, v0
	v_cmp_le_i32_e64 s[8:9], s7, v12
	v_cmp_gt_i32_e32 vcc, s7, v0
	s_or_b64 s[2:3], s[8:9], s[2:3]
	s_mov_b64 s[8:9], 0
	s_and_saveexec_b64 s[12:13], s[2:3]
	s_xor_b64 s[12:13], exec, s[12:13]
; %bb.35:
	v_or_b32_e32 v12, v1, v0
	v_cmp_gt_u32_e64 s[2:3], 64, v12
	s_and_b64 s[8:9], s[2:3], exec
; %bb.36:
	s_or_saveexec_b64 s[12:13], s[12:13]
	v_mov_b32_e32 v12, 0
	v_mov_b32_e32 v13, 0
	s_xor_b64 exec, exec, s[12:13]
	s_cbranch_execz .LBB27_38
; %bb.37:
	v_mad_u64_u32 v[12:13], s[2:3], s40, v1, 0
	s_or_b64 s[8:9], s[8:9], exec
	v_mad_u64_u32 v[15:16], s[2:3], s41, v1, v[13:14]
	v_mov_b32_e32 v13, v15
	v_lshlrev_b64 v[12:13], 3, v[12:13]
	v_add_co_u32_e64 v12, s[2:3], v10, v12
	v_addc_co_u32_e64 v13, s[2:3], v11, v13, s[2:3]
	global_load_dwordx2 v[12:13], v[12:13], off
	s_waitcnt vmcnt(0)
	v_xor_b32_e32 v13, 0x80000000, v13
.LBB27_38:
	s_or_b64 exec, exec, s[12:13]
	s_and_saveexec_b64 s[2:3], s[8:9]
; %bb.39:
	v_lshlrev_b32_e32 v15, 3, v14
	v_lshl_add_u32 v15, v1, 3, v15
	ds_write_b64 v15, v[12:13]
; %bb.40:
	s_or_b64 exec, exec, s[2:3]
	v_add_u32_e32 v15, 16, v1
	v_cmp_gt_u32_e64 s[2:3], v15, v0
	v_cmp_gt_i32_e64 s[8:9], s7, v15
	s_and_b64 s[2:3], s[2:3], s[8:9]
	s_and_b64 s[2:3], s[2:3], vcc
	s_xor_b64 s[2:3], s[2:3], -1
	s_mov_b64 s[8:9], 0
	s_and_saveexec_b64 s[12:13], s[2:3]
	s_xor_b64 s[12:13], exec, s[12:13]
; %bb.41:
	v_or_b32_e32 v12, v15, v0
	v_cmp_gt_u32_e64 s[2:3], 64, v12
	s_and_b64 s[8:9], s[2:3], exec
; %bb.42:
	s_or_saveexec_b64 s[12:13], s[12:13]
	v_mov_b32_e32 v12, 0
	v_mov_b32_e32 v13, 0
	s_xor_b64 exec, exec, s[12:13]
	s_cbranch_execz .LBB27_44
; %bb.43:
	v_mad_u64_u32 v[12:13], s[2:3], s40, v15, 0
	s_or_b64 s[8:9], s[8:9], exec
	v_mad_u64_u32 v[16:17], s[2:3], s41, v15, v[13:14]
	v_mov_b32_e32 v13, v16
	v_lshlrev_b64 v[12:13], 3, v[12:13]
	v_add_co_u32_e64 v12, s[2:3], v10, v12
	v_addc_co_u32_e64 v13, s[2:3], v11, v13, s[2:3]
	global_load_dwordx2 v[12:13], v[12:13], off
	s_waitcnt vmcnt(0)
	v_xor_b32_e32 v13, 0x80000000, v13
.LBB27_44:
	s_or_b64 exec, exec, s[12:13]
	s_and_saveexec_b64 s[2:3], s[8:9]
; %bb.45:
	v_add_u32_e32 v16, v15, v14
	v_lshl_add_u32 v15, v15, 6, v0
	v_cndmask_b32_e64 v15, v15, v16, s[0:1]
	v_lshlrev_b32_e32 v15, 3, v15
	ds_write_b64 v15, v[12:13]
; %bb.46:
	s_or_b64 exec, exec, s[2:3]
	v_add_u32_e32 v15, 32, v1
	v_cmp_gt_u32_e64 s[2:3], v15, v0
	v_cmp_gt_i32_e64 s[8:9], s7, v15
	s_and_b64 s[2:3], s[2:3], s[8:9]
	s_and_b64 s[2:3], s[2:3], vcc
	s_xor_b64 s[2:3], s[2:3], -1
	s_mov_b64 s[8:9], 0
	s_and_saveexec_b64 s[12:13], s[2:3]
	s_xor_b64 s[12:13], exec, s[12:13]
; %bb.47:
	v_or_b32_e32 v12, v15, v0
	v_cmp_gt_u32_e64 s[2:3], 64, v12
	s_and_b64 s[8:9], s[2:3], exec
; %bb.48:
	s_or_saveexec_b64 s[12:13], s[12:13]
	v_mov_b32_e32 v12, 0
	v_mov_b32_e32 v13, 0
	s_xor_b64 exec, exec, s[12:13]
	s_cbranch_execz .LBB27_50
; %bb.49:
	v_mad_u64_u32 v[12:13], s[2:3], s40, v15, 0
	s_or_b64 s[8:9], s[8:9], exec
	v_mad_u64_u32 v[16:17], s[2:3], s41, v15, v[13:14]
	v_mov_b32_e32 v13, v16
	v_lshlrev_b64 v[12:13], 3, v[12:13]
	v_add_co_u32_e64 v12, s[2:3], v10, v12
	v_addc_co_u32_e64 v13, s[2:3], v11, v13, s[2:3]
	global_load_dwordx2 v[12:13], v[12:13], off
	s_waitcnt vmcnt(0)
	v_xor_b32_e32 v13, 0x80000000, v13
.LBB27_50:
	s_or_b64 exec, exec, s[12:13]
	s_and_saveexec_b64 s[2:3], s[8:9]
; %bb.51:
	v_add_u32_e32 v16, v15, v14
	v_lshl_add_u32 v15, v15, 6, v0
	v_cndmask_b32_e64 v15, v15, v16, s[0:1]
	v_lshlrev_b32_e32 v15, 3, v15
	ds_write_b64 v15, v[12:13]
; %bb.52:
	s_or_b64 exec, exec, s[2:3]
	v_add_u32_e32 v15, 48, v1
	v_cmp_gt_u32_e64 s[2:3], v15, v0
	v_cmp_gt_i32_e64 s[8:9], s7, v15
	s_and_b64 s[2:3], s[2:3], s[8:9]
	s_and_b64 s[8:9], s[2:3], vcc
	v_add_u32_e32 v12, v15, v14
	v_lshl_add_u32 v13, v15, 6, v0
	s_mov_b64 s[2:3], -1
	s_xor_b64 s[12:13], s[8:9], -1
	s_and_saveexec_b64 s[8:9], s[12:13]
; %bb.53:
	v_or_b32_e32 v14, v15, v0
	v_cmp_gt_u32_e32 vcc, 64, v14
	s_andn2_b64 s[2:3], s[10:11], exec
	s_and_b64 s[10:11], vcc, exec
	s_or_b64 s[10:11], s[2:3], s[10:11]
	s_xor_b64 s[2:3], exec, -1
; %bb.54:
	s_or_b64 exec, exec, s[8:9]
	v_cndmask_b32_e64 v16, v13, v12, s[0:1]
.LBB27_55:
	v_mov_b32_e32 v12, 0
	v_mov_b32_e32 v13, 0
	s_and_saveexec_b64 s[8:9], s[2:3]
	s_cbranch_execnz .LBB27_1139
; %bb.56:
	s_or_b64 exec, exec, s[8:9]
	s_xor_b64 s[0:1], s[0:1], -1
	s_and_saveexec_b64 s[2:3], s[10:11]
.LBB27_57:
	v_lshlrev_b32_e32 v10, 3, v16
	ds_write_b64 v10, v[12:13]
.LBB27_58:
	s_or_b64 exec, exec, s[2:3]
	v_cndmask_b32_e64 v10, 0, 1, s[0:1]
	v_cmp_ne_u32_e64 s[58:59], 1, v10
	s_andn2_b64 vcc, exec, s[0:1]
	s_waitcnt vmcnt(0) lgkmcnt(0)
	s_barrier
	s_cbranch_vccnz .LBB27_1096
; %bb.59:
	v_or_b32_e32 v10, v0, v1
	v_cmp_eq_u32_e32 vcc, 0, v10
	s_and_saveexec_b64 s[0:1], vcc
	s_cbranch_execz .LBB27_61
; %bb.60:
	v_mov_b32_e32 v10, 0
	ds_read_b64 v[12:13], v10 offset:32752
	v_mov_b32_e32 v11, 0x3ff00000
	ds_write_b64 v10, v[10:11] offset:32760
	s_waitcnt lgkmcnt(1)
	ds_write_b128 v10, v[10:13] offset:32240
.LBB27_61:
	s_or_b64 exec, exec, s[0:1]
	v_lshlrev_b32_e32 v10, 6, v1
	v_add_u32_e32 v15, v10, v0
	v_and_b32_e32 v11, v10, v0
	v_xor_b32_e32 v10, v10, v0
	v_lshrrev_b16_e32 v10, 1, v10
	v_add_u16_e32 v14, v11, v10
	v_mov_b32_e32 v10, 0
	v_and_b32_e32 v12, 1, v0
	v_sub_u32_e32 v13, 1, v14
	v_cmp_lt_u32_e64 s[8:9], 3, v15
	v_mov_b32_e32 v11, 0
	v_cmp_gt_u32_e64 s[2:3], 4, v15
	s_waitcnt lgkmcnt(0)
	s_barrier
	buffer_wbinvl1_vol
	s_and_saveexec_b64 s[0:1], s[2:3]
	s_cbranch_execz .LBB27_65
; %bb.62:
	v_lshlrev_b32_e32 v16, 9, v13
	v_lshlrev_b32_e32 v10, 3, v12
	ds_read_b64 v[10:11], v10 offset:32224
	ds_read_b64 v[16:17], v16 offset:32240
	v_cmp_gt_u32_e64 s[10:11], 2, v15
	s_waitcnt lgkmcnt(0)
	v_fma_f64 v[10:11], v[10:11], v[16:17], 0
	s_and_saveexec_b64 s[12:13], s[10:11]
	s_cbranch_execz .LBB27_64
; %bb.63:
	v_lshlrev_b32_e32 v16, 3, v0
	v_mov_b32_e32 v19, 0
	ds_read_b64 v[16:17], v16 offset:32736
	ds_read_b64 v[19:20], v19 offset:32760
	s_waitcnt lgkmcnt(0)
	v_fma_f64 v[10:11], v[16:17], v[19:20], v[10:11]
.LBB27_64:
	s_or_b64 exec, exec, s[12:13]
.LBB27_65:
	s_or_b64 exec, exec, s[0:1]
	v_mov_b32_e32 v16, 0x8000
	v_cmp_ne_u32_e64 s[10:11], 0, v12
	s_xor_b64 s[0:1], s[8:9], -1
	v_lshl_add_u32 v14, v14, 3, v16
	s_and_b64 s[30:31], s[10:11], s[0:1]
	s_and_saveexec_b64 s[8:9], s[30:31]
; %bb.66:
	v_xor_b32_e32 v17, 0x80000000, v11
	v_mov_b32_e32 v16, v10
	ds_write_b64 v14, v[16:17]
; %bb.67:
	s_or_b64 exec, exec, s[8:9]
	v_cmp_eq_u32_e64 s[8:9], 0, v12
	s_and_b64 s[28:29], s[8:9], s[0:1]
	s_waitcnt lgkmcnt(0)
	s_barrier
	s_and_saveexec_b64 s[0:1], s[28:29]
	s_cbranch_execz .LBB27_69
; %bb.68:
	v_mov_b32_e32 v16, 0
	ds_read_b64 v[16:17], v16 offset:31712
	ds_read_b64 v[19:20], v14
	s_waitcnt lgkmcnt(0)
	v_fma_f64 v[10:11], -v[16:17], v[19:20], v[10:11]
.LBB27_69:
	s_or_b64 exec, exec, s[0:1]
	s_barrier
	s_and_saveexec_b64 s[0:1], s[28:29]
; %bb.70:
	v_xor_b32_e32 v17, 0x80000000, v11
	v_mov_b32_e32 v16, v10
	ds_write_b64 v14, v[16:17]
; %bb.71:
	s_or_b64 exec, exec, s[0:1]
	s_waitcnt lgkmcnt(0)
	s_barrier
	s_barrier
	s_and_saveexec_b64 s[0:1], s[2:3]
; %bb.72:
	v_lshlrev_b32_e32 v16, 3, v12
	v_lshl_or_b32 v16, v13, 9, v16
	ds_write_b64 v16, v[10:11] offset:32224
; %bb.73:
	s_or_b64 exec, exec, s[0:1]
	v_cmp_eq_u32_e64 s[12:13], 0, v1
	v_cmp_gt_u32_e64 s[8:9], 2, v0
	s_and_b64 s[34:35], s[12:13], s[8:9]
	s_waitcnt lgkmcnt(0)
	s_barrier
	s_barrier
	s_and_saveexec_b64 s[0:1], s[34:35]
	s_cbranch_execz .LBB27_75
; %bb.74:
	v_lshlrev_b32_e32 v16, 3, v0
	s_movk_i32 s8, 0x1f8
	v_mad_u32_u24 v17, v0, s8, v16
	ds_read_b64 v[10:11], v17 offset:32224
	s_waitcnt lgkmcnt(0)
	ds_write_b64 v16, v[10:11] offset:31216
	ds_read_b64 v[10:11], v17 offset:32232
	s_waitcnt lgkmcnt(0)
	ds_write_b64 v16, v[10:11] offset:31728
.LBB27_75:
	s_or_b64 exec, exec, s[0:1]
	s_waitcnt lgkmcnt(0)
	s_barrier
	s_and_saveexec_b64 s[0:1], vcc
	s_cbranch_execz .LBB27_77
; %bb.76:
	v_mov_b32_e32 v19, 0
	ds_read_b64 v[21:22], v19 offset:31712
	v_mov_b32_e32 v20, 0x3ff00000
	ds_write_b64 v19, v[19:20] offset:31720
	s_waitcnt lgkmcnt(1)
	ds_write_b128 v19, v[19:22] offset:31200
.LBB27_77:
	s_or_b64 exec, exec, s[0:1]
	v_lshrrev_b32_e32 v19, 2, v15
	v_mov_b32_e32 v10, 0
	v_and_b32_e32 v16, 3, v0
	v_sub_u32_e32 v17, 3, v19
	v_cmp_lt_u32_e64 s[8:9], 15, v15
	v_mov_b32_e32 v11, 0
	v_cmp_gt_u32_e64 s[18:19], 16, v15
	s_waitcnt lgkmcnt(0)
	s_barrier
	buffer_wbinvl1_vol
	s_and_saveexec_b64 s[0:1], s[18:19]
	s_cbranch_execz .LBB27_83
; %bb.78:
	v_lshlrev_b32_e32 v21, 3, v16
	v_lshlrev_b32_e32 v20, 9, v17
	ds_read_b64 v[10:11], v21 offset:31168
	ds_read_b64 v[22:23], v20 offset:31200
	v_cmp_gt_u32_e64 s[10:11], 12, v15
	s_waitcnt lgkmcnt(0)
	v_fma_f64 v[10:11], v[10:11], v[22:23], 0
	s_and_saveexec_b64 s[14:15], s[10:11]
	s_cbranch_execnz .LBB27_1172
; %bb.79:
	s_or_b64 exec, exec, s[14:15]
	v_cmp_gt_u32_e64 s[10:11], 8, v15
	s_and_saveexec_b64 s[14:15], s[10:11]
	s_cbranch_execnz .LBB27_1173
.LBB27_80:
	s_or_b64 exec, exec, s[14:15]
	v_cmp_gt_u32_e64 s[10:11], 4, v15
	s_and_saveexec_b64 s[14:15], s[10:11]
	s_cbranch_execz .LBB27_82
.LBB27_81:
	v_lshlrev_b32_e32 v20, 3, v0
	v_mov_b32_e32 v22, 0
	ds_read_b64 v[20:21], v20 offset:32704
	ds_read_b64 v[22:23], v22 offset:32760
	s_waitcnt lgkmcnt(0)
	v_fma_f64 v[10:11], v[20:21], v[22:23], v[10:11]
.LBB27_82:
	s_or_b64 exec, exec, s[14:15]
.LBB27_83:
                                        ; implicit-def: $vgpr35 : SGPR spill to VGPR lane
	v_writelane_b32 v35, s38, 0
	v_writelane_b32 v35, s39, 1
	s_or_b64 exec, exec, s[0:1]
	v_mov_b32_e32 v20, 0x8000
	v_cmp_eq_u32_e64 s[10:11], 3, v16
	s_xor_b64 s[0:1], s[8:9], -1
	v_lshl_add_u32 v19, v19, 3, v20
	s_and_b64 s[38:39], s[10:11], s[0:1]
	s_and_saveexec_b64 s[8:9], s[38:39]
; %bb.84:
	v_xor_b32_e32 v21, 0x80000000, v11
	v_mov_b32_e32 v20, v10
	ds_write_b64 v19, v[20:21]
; %bb.85:
	s_or_b64 exec, exec, s[8:9]
	v_cmp_ne_u32_e64 s[8:9], 3, v16
	s_and_b64 s[42:43], s[8:9], s[0:1]
	s_waitcnt lgkmcnt(0)
	s_barrier
	s_and_saveexec_b64 s[8:9], s[42:43]
	s_cbranch_execz .LBB27_87
; %bb.86:
	v_lshlrev_b32_e32 v20, 3, v16
	ds_read_b64 v[20:21], v20 offset:30656
	ds_read_b64 v[22:23], v19
	s_waitcnt lgkmcnt(0)
	v_fma_f64 v[10:11], -v[20:21], v[22:23], v[10:11]
.LBB27_87:
	s_or_b64 exec, exec, s[8:9]
	v_cmp_eq_u32_e64 s[8:9], 2, v16
	s_and_b64 s[44:45], s[8:9], s[0:1]
	s_barrier
	s_and_saveexec_b64 s[8:9], s[44:45]
; %bb.88:
	v_xor_b32_e32 v21, 0x80000000, v11
	v_mov_b32_e32 v20, v10
	ds_write_b64 v19, v[20:21]
; %bb.89:
	s_or_b64 exec, exec, s[8:9]
	v_cmp_gt_u32_e64 s[8:9], 2, v16
	s_and_b64 s[52:53], s[8:9], s[0:1]
	s_waitcnt lgkmcnt(0)
	s_barrier
	s_and_saveexec_b64 s[8:9], s[52:53]
	s_cbranch_execz .LBB27_91
; %bb.90:
	v_lshlrev_b32_e32 v20, 3, v16
	ds_read_b64 v[20:21], v20 offset:30144
	ds_read_b64 v[22:23], v19
	s_waitcnt lgkmcnt(0)
	v_fma_f64 v[10:11], -v[20:21], v[22:23], v[10:11]
.LBB27_91:
	s_or_b64 exec, exec, s[8:9]
	v_cmp_eq_u32_e64 s[8:9], 1, v16
	s_and_b64 s[54:55], s[8:9], s[0:1]
	s_barrier
	s_and_saveexec_b64 s[8:9], s[54:55]
; %bb.92:
	v_xor_b32_e32 v21, 0x80000000, v11
	v_mov_b32_e32 v20, v10
	ds_write_b64 v19, v[20:21]
; %bb.93:
	s_or_b64 exec, exec, s[8:9]
	v_cmp_eq_u32_e64 s[8:9], 0, v16
	s_and_b64 s[36:37], s[8:9], s[0:1]
	s_waitcnt lgkmcnt(0)
	s_barrier
	s_and_saveexec_b64 s[0:1], s[36:37]
	s_cbranch_execz .LBB27_95
; %bb.94:
	v_mov_b32_e32 v20, 0
	ds_read_b64 v[20:21], v20 offset:29632
	ds_read_b64 v[22:23], v19
	s_waitcnt lgkmcnt(0)
	v_fma_f64 v[10:11], -v[20:21], v[22:23], v[10:11]
.LBB27_95:
	s_or_b64 exec, exec, s[0:1]
	s_barrier
	s_and_saveexec_b64 s[0:1], s[36:37]
; %bb.96:
	v_xor_b32_e32 v21, 0x80000000, v11
	v_mov_b32_e32 v20, v10
	ds_write_b64 v19, v[20:21]
; %bb.97:
	s_or_b64 exec, exec, s[0:1]
	s_waitcnt lgkmcnt(0)
	s_barrier
	s_barrier
	s_and_saveexec_b64 s[0:1], s[18:19]
; %bb.98:
	v_lshlrev_b32_e32 v20, 3, v16
	v_lshl_or_b32 v20, v17, 9, v20
	ds_write_b64 v20, v[10:11] offset:31168
; %bb.99:
	s_or_b64 exec, exec, s[0:1]
	v_cmp_gt_u32_e64 s[8:9], 4, v0
	s_and_b64 s[56:57], s[12:13], s[8:9]
	s_waitcnt lgkmcnt(0)
	s_barrier
	s_barrier
	s_and_saveexec_b64 s[0:1], s[56:57]
	s_cbranch_execz .LBB27_101
; %bb.100:
	v_lshlrev_b32_e32 v20, 9, v0
	ds_read_b64 v[10:11], v20 offset:31168
	s_movk_i32 s8, 0xfe08
	v_mad_i32_i24 v21, v0, s8, v20
	s_waitcnt lgkmcnt(0)
	ds_write_b64 v21, v[10:11] offset:29152
	ds_read_b64 v[10:11], v20 offset:31176
	s_waitcnt lgkmcnt(0)
	ds_write_b64 v21, v[10:11] offset:29664
	ds_read_b64 v[10:11], v20 offset:31184
	s_waitcnt lgkmcnt(0)
	ds_write_b64 v21, v[10:11] offset:30176
	ds_read_b64 v[10:11], v20 offset:31192
	s_waitcnt lgkmcnt(0)
	ds_write_b64 v21, v[10:11] offset:30688
.LBB27_101:
	s_or_b64 exec, exec, s[0:1]
	s_waitcnt lgkmcnt(0)
	s_barrier
	s_and_saveexec_b64 s[0:1], vcc
	s_cbranch_execz .LBB27_103
; %bb.102:
	v_mov_b32_e32 v20, 0
	ds_read_b64 v[22:23], v20 offset:30672
	v_mov_b32_e32 v21, 0x3ff00000
	ds_write_b64 v20, v[20:21] offset:30680
	s_waitcnt lgkmcnt(1)
	ds_write_b128 v20, v[20:23] offset:30160
.LBB27_103:
	s_or_b64 exec, exec, s[0:1]
	v_mov_b32_e32 v10, 0
	v_mov_b32_e32 v11, 0
	s_waitcnt lgkmcnt(0)
	s_barrier
	buffer_wbinvl1_vol
	s_and_saveexec_b64 s[0:1], s[2:3]
	s_cbranch_execz .LBB27_107
; %bb.104:
	v_lshlrev_b32_e32 v20, 9, v13
	v_lshlrev_b32_e32 v10, 3, v12
	ds_read_b64 v[10:11], v10 offset:30144
	ds_read_b64 v[20:21], v20 offset:30160
	v_cmp_gt_u32_e64 s[8:9], 2, v15
	s_waitcnt lgkmcnt(0)
	v_fma_f64 v[10:11], v[10:11], v[20:21], 0
	s_and_saveexec_b64 s[10:11], s[8:9]
	s_cbranch_execz .LBB27_106
; %bb.105:
	v_lshlrev_b32_e32 v20, 3, v0
	v_mov_b32_e32 v22, 0
	ds_read_b64 v[20:21], v20 offset:30656
	ds_read_b64 v[22:23], v22 offset:30680
	s_waitcnt lgkmcnt(0)
	v_fma_f64 v[10:11], v[20:21], v[22:23], v[10:11]
.LBB27_106:
	s_or_b64 exec, exec, s[10:11]
.LBB27_107:
	s_or_b64 exec, exec, s[0:1]
	s_and_saveexec_b64 s[0:1], s[30:31]
; %bb.108:
	v_xor_b32_e32 v21, 0x80000000, v11
	v_mov_b32_e32 v20, v10
	ds_write_b64 v14, v[20:21]
; %bb.109:
	s_or_b64 exec, exec, s[0:1]
	s_waitcnt lgkmcnt(0)
	s_barrier
	s_and_saveexec_b64 s[0:1], s[28:29]
	s_cbranch_execz .LBB27_111
; %bb.110:
	v_mov_b32_e32 v20, 0
	ds_read_b64 v[20:21], v20 offset:29632
	ds_read_b64 v[22:23], v14
	s_waitcnt lgkmcnt(0)
	v_fma_f64 v[10:11], -v[20:21], v[22:23], v[10:11]
.LBB27_111:
	s_or_b64 exec, exec, s[0:1]
	s_barrier
	s_and_saveexec_b64 s[0:1], s[28:29]
; %bb.112:
	v_xor_b32_e32 v21, 0x80000000, v11
	v_mov_b32_e32 v20, v10
	ds_write_b64 v14, v[20:21]
; %bb.113:
	s_or_b64 exec, exec, s[0:1]
	s_waitcnt lgkmcnt(0)
	s_barrier
	s_barrier
	s_and_saveexec_b64 s[0:1], s[2:3]
; %bb.114:
	v_lshlrev_b32_e32 v20, 3, v12
	v_lshl_or_b32 v20, v13, 9, v20
	ds_write_b64 v20, v[10:11] offset:30144
; %bb.115:
	s_or_b64 exec, exec, s[0:1]
	s_waitcnt lgkmcnt(0)
	s_barrier
	s_barrier
	s_and_saveexec_b64 s[0:1], s[34:35]
	s_cbranch_execz .LBB27_117
; %bb.116:
	v_lshlrev_b32_e32 v20, 3, v0
	s_movk_i32 s8, 0x1f8
	v_mad_u32_u24 v21, v0, s8, v20
	ds_read_b64 v[10:11], v21 offset:30144
	s_waitcnt lgkmcnt(0)
	ds_write_b64 v20, v[10:11] offset:29136
	ds_read_b64 v[10:11], v21 offset:30152
	s_waitcnt lgkmcnt(0)
	ds_write_b64 v20, v[10:11] offset:29648
.LBB27_117:
	s_or_b64 exec, exec, s[0:1]
	s_waitcnt lgkmcnt(0)
	s_barrier
	s_and_saveexec_b64 s[0:1], vcc
	s_cbranch_execz .LBB27_119
; %bb.118:
	v_mov_b32_e32 v20, 0
	ds_read_b64 v[22:23], v20 offset:29632
	v_mov_b32_e32 v21, 0x3ff00000
	ds_write_b64 v20, v[20:21] offset:29640
	s_waitcnt lgkmcnt(1)
	ds_write_b128 v20, v[20:23] offset:29120
.LBB27_119:
	s_or_b64 exec, exec, s[0:1]
	v_lshrrev_b32_e32 v22, 3, v15
	v_mov_b32_e32 v10, 0
	v_and_b32_e32 v20, 7, v0
	v_sub_u32_e32 v21, 7, v22
	v_cmp_lt_u32_e64 s[10:11], 63, v15
	v_mov_b32_e32 v11, 0
	v_cmp_gt_u32_e64 s[8:9], 64, v15
	s_waitcnt lgkmcnt(0)
	s_barrier
	buffer_wbinvl1_vol
	s_and_saveexec_b64 s[0:1], s[8:9]
	s_cbranch_execz .LBB27_129
; %bb.120:
	v_lshlrev_b32_e32 v24, 3, v20
	v_lshlrev_b32_e32 v23, 9, v21
	ds_read_b64 v[10:11], v24 offset:29056
	ds_read_b64 v[25:26], v23 offset:29120
	v_cmp_gt_u32_e64 s[14:15], 56, v15
	s_waitcnt lgkmcnt(0)
	v_fma_f64 v[10:11], v[10:11], v[25:26], 0
	s_and_saveexec_b64 s[16:17], s[14:15]
	s_cbranch_execnz .LBB27_1174
; %bb.121:
	s_or_b64 exec, exec, s[16:17]
	v_cmp_gt_u32_e64 s[14:15], 48, v15
	s_and_saveexec_b64 s[16:17], s[14:15]
	s_cbranch_execnz .LBB27_1175
.LBB27_122:
	s_or_b64 exec, exec, s[16:17]
	v_cmp_gt_u32_e64 s[14:15], 40, v15
	s_and_saveexec_b64 s[16:17], s[14:15]
	s_cbranch_execnz .LBB27_1176
.LBB27_123:
	s_or_b64 exec, exec, s[16:17]
	v_cmp_gt_u32_e64 s[14:15], 32, v15
	s_and_saveexec_b64 s[16:17], s[14:15]
	s_cbranch_execnz .LBB27_1177
.LBB27_124:
	s_or_b64 exec, exec, s[16:17]
	v_cmp_gt_u32_e64 s[14:15], 24, v15
	s_and_saveexec_b64 s[16:17], s[14:15]
	s_cbranch_execnz .LBB27_1178
.LBB27_125:
	s_or_b64 exec, exec, s[16:17]
	s_and_saveexec_b64 s[14:15], s[18:19]
	s_cbranch_execnz .LBB27_1179
.LBB27_126:
	s_or_b64 exec, exec, s[14:15]
	v_cmp_gt_u32_e64 s[14:15], 8, v15
	s_and_saveexec_b64 s[16:17], s[14:15]
	s_cbranch_execz .LBB27_128
.LBB27_127:
	v_lshlrev_b32_e32 v23, 3, v0
	v_mov_b32_e32 v25, 0
	ds_read_b64 v[23:24], v23 offset:32640
	ds_read_b64 v[25:26], v25 offset:32760
	s_waitcnt lgkmcnt(0)
	v_fma_f64 v[10:11], v[23:24], v[25:26], v[10:11]
.LBB27_128:
	s_or_b64 exec, exec, s[16:17]
.LBB27_129:
	v_writelane_b32 v35, s58, 2
	v_writelane_b32 v35, s59, 3
	s_or_b64 exec, exec, s[0:1]
	v_mov_b32_e32 v23, 0x8000
	v_cmp_eq_u32_e64 s[14:15], 7, v20
	s_xor_b64 s[0:1], s[10:11], -1
	v_lshl_add_u32 v22, v22, 3, v23
	s_and_b64 s[58:59], s[14:15], s[0:1]
	s_and_saveexec_b64 s[10:11], s[58:59]
; %bb.130:
	v_xor_b32_e32 v24, 0x80000000, v11
	v_mov_b32_e32 v23, v10
	ds_write_b64 v22, v[23:24]
; %bb.131:
	s_or_b64 exec, exec, s[10:11]
	v_cmp_ne_u32_e64 s[10:11], 7, v20
	s_and_b64 s[60:61], s[10:11], s[0:1]
	s_waitcnt lgkmcnt(0)
	s_barrier
	s_and_saveexec_b64 s[10:11], s[60:61]
	s_cbranch_execz .LBB27_133
; %bb.132:
	v_lshlrev_b32_e32 v23, 3, v20
	ds_read_b64 v[23:24], v23 offset:28544
	ds_read_b64 v[25:26], v22
	s_waitcnt lgkmcnt(0)
	v_fma_f64 v[10:11], -v[23:24], v[25:26], v[10:11]
.LBB27_133:
	s_or_b64 exec, exec, s[10:11]
	v_cmp_eq_u32_e64 s[10:11], 6, v20
	s_and_b64 s[62:63], s[10:11], s[0:1]
	s_barrier
	s_and_saveexec_b64 s[10:11], s[62:63]
; %bb.134:
	v_xor_b32_e32 v24, 0x80000000, v11
	v_mov_b32_e32 v23, v10
	ds_write_b64 v22, v[23:24]
; %bb.135:
	s_or_b64 exec, exec, s[10:11]
	v_cmp_gt_u32_e64 s[10:11], 6, v20
	s_and_b64 s[64:65], s[10:11], s[0:1]
	s_waitcnt lgkmcnt(0)
	s_barrier
	s_and_saveexec_b64 s[10:11], s[64:65]
	s_cbranch_execz .LBB27_137
; %bb.136:
	v_lshlrev_b32_e32 v23, 3, v20
	ds_read_b64 v[23:24], v23 offset:28032
	ds_read_b64 v[25:26], v22
	s_waitcnt lgkmcnt(0)
	v_fma_f64 v[10:11], -v[23:24], v[25:26], v[10:11]
.LBB27_137:
	s_or_b64 exec, exec, s[10:11]
	v_cmp_eq_u32_e64 s[10:11], 5, v20
	s_and_b64 s[66:67], s[10:11], s[0:1]
	s_barrier
	s_and_saveexec_b64 s[10:11], s[66:67]
; %bb.138:
	v_xor_b32_e32 v24, 0x80000000, v11
	v_mov_b32_e32 v23, v10
	ds_write_b64 v22, v[23:24]
; %bb.139:
	s_or_b64 exec, exec, s[10:11]
	v_cmp_gt_u32_e64 s[10:11], 5, v20
	;; [unrolled: 24-line block ×5, first 2 shown]
	s_and_b64 s[82:83], s[10:11], s[0:1]
	s_waitcnt lgkmcnt(0)
	s_barrier
	s_and_saveexec_b64 s[10:11], s[82:83]
	s_cbranch_execz .LBB27_153
; %bb.152:
	v_lshlrev_b32_e32 v23, 3, v20
	ds_read_b64 v[23:24], v23 offset:25984
	ds_read_b64 v[25:26], v22
	s_waitcnt lgkmcnt(0)
	v_fma_f64 v[10:11], -v[23:24], v[25:26], v[10:11]
.LBB27_153:
	s_or_b64 exec, exec, s[10:11]
	v_cmp_eq_u32_e64 s[10:11], 1, v20
	s_and_b64 s[84:85], s[10:11], s[0:1]
	s_barrier
	s_and_saveexec_b64 s[10:11], s[84:85]
; %bb.154:
	v_xor_b32_e32 v24, 0x80000000, v11
	v_mov_b32_e32 v23, v10
	ds_write_b64 v22, v[23:24]
; %bb.155:
	s_or_b64 exec, exec, s[10:11]
	v_cmp_eq_u32_e64 s[10:11], 0, v20
	s_and_b64 s[68:69], s[10:11], s[0:1]
	s_waitcnt lgkmcnt(0)
	s_barrier
	s_and_saveexec_b64 s[0:1], s[68:69]
	s_cbranch_execz .LBB27_157
; %bb.156:
	v_mov_b32_e32 v23, 0
	ds_read_b64 v[23:24], v23 offset:25472
	ds_read_b64 v[25:26], v22
	s_waitcnt lgkmcnt(0)
	v_fma_f64 v[10:11], -v[23:24], v[25:26], v[10:11]
.LBB27_157:
	s_or_b64 exec, exec, s[0:1]
	s_barrier
	s_and_saveexec_b64 s[0:1], s[68:69]
; %bb.158:
	v_xor_b32_e32 v24, 0x80000000, v11
	v_mov_b32_e32 v23, v10
	ds_write_b64 v22, v[23:24]
; %bb.159:
	s_or_b64 exec, exec, s[0:1]
	s_waitcnt lgkmcnt(0)
	s_barrier
	s_barrier
	s_and_saveexec_b64 s[0:1], s[8:9]
; %bb.160:
	v_lshlrev_b32_e32 v23, 3, v20
	v_lshl_or_b32 v23, v21, 9, v23
	ds_write_b64 v23, v[10:11] offset:29056
; %bb.161:
	s_or_b64 exec, exec, s[0:1]
	v_cmp_gt_u32_e64 s[10:11], 8, v0
	s_and_b64 s[86:87], s[12:13], s[10:11]
	s_waitcnt lgkmcnt(0)
	s_barrier
	s_barrier
	s_and_saveexec_b64 s[0:1], s[86:87]
	s_cbranch_execz .LBB27_163
; %bb.162:
	v_lshlrev_b32_e32 v23, 9, v0
	ds_read_b64 v[10:11], v23 offset:29056
	s_movk_i32 s10, 0xfe08
	v_mad_i32_i24 v24, v0, s10, v23
	s_waitcnt lgkmcnt(0)
	ds_write_b64 v24, v[10:11] offset:25024
	ds_read_b64 v[10:11], v23 offset:29064
	s_waitcnt lgkmcnt(0)
	ds_write_b64 v24, v[10:11] offset:25536
	ds_read_b64 v[10:11], v23 offset:29072
	;; [unrolled: 3-line block ×7, first 2 shown]
	s_waitcnt lgkmcnt(0)
	ds_write_b64 v24, v[10:11] offset:28608
.LBB27_163:
	s_or_b64 exec, exec, s[0:1]
	s_waitcnt lgkmcnt(0)
	s_barrier
	s_and_saveexec_b64 s[0:1], vcc
	s_cbranch_execz .LBB27_165
; %bb.164:
	v_mov_b32_e32 v23, 0
	ds_read_b64 v[25:26], v23 offset:28592
	v_mov_b32_e32 v24, 0x3ff00000
	ds_write_b64 v23, v[23:24] offset:28600
	s_waitcnt lgkmcnt(1)
	ds_write_b128 v23, v[23:26] offset:28080
.LBB27_165:
	s_or_b64 exec, exec, s[0:1]
	v_mov_b32_e32 v10, 0
	v_mov_b32_e32 v11, 0
	s_waitcnt lgkmcnt(0)
	s_barrier
	buffer_wbinvl1_vol
	s_and_saveexec_b64 s[0:1], s[2:3]
	s_cbranch_execz .LBB27_169
; %bb.166:
	v_lshlrev_b32_e32 v23, 9, v13
	v_lshlrev_b32_e32 v10, 3, v12
	ds_read_b64 v[10:11], v10 offset:28064
	ds_read_b64 v[23:24], v23 offset:28080
	v_cmp_gt_u32_e64 s[10:11], 2, v15
	s_waitcnt lgkmcnt(0)
	v_fma_f64 v[10:11], v[10:11], v[23:24], 0
	s_and_saveexec_b64 s[14:15], s[10:11]
	s_cbranch_execz .LBB27_168
; %bb.167:
	v_lshlrev_b32_e32 v23, 3, v0
	v_mov_b32_e32 v25, 0
	ds_read_b64 v[23:24], v23 offset:28576
	ds_read_b64 v[25:26], v25 offset:28600
	s_waitcnt lgkmcnt(0)
	v_fma_f64 v[10:11], v[23:24], v[25:26], v[10:11]
.LBB27_168:
	s_or_b64 exec, exec, s[14:15]
.LBB27_169:
	s_or_b64 exec, exec, s[0:1]
	s_and_saveexec_b64 s[0:1], s[30:31]
; %bb.170:
	v_xor_b32_e32 v24, 0x80000000, v11
	v_mov_b32_e32 v23, v10
	ds_write_b64 v14, v[23:24]
; %bb.171:
	s_or_b64 exec, exec, s[0:1]
	s_waitcnt lgkmcnt(0)
	s_barrier
	s_and_saveexec_b64 s[0:1], s[28:29]
	s_cbranch_execz .LBB27_173
; %bb.172:
	v_mov_b32_e32 v23, 0
	ds_read_b64 v[23:24], v23 offset:27552
	ds_read_b64 v[25:26], v14
	s_waitcnt lgkmcnt(0)
	v_fma_f64 v[10:11], -v[23:24], v[25:26], v[10:11]
.LBB27_173:
	s_or_b64 exec, exec, s[0:1]
	s_barrier
	s_and_saveexec_b64 s[0:1], s[28:29]
; %bb.174:
	v_xor_b32_e32 v24, 0x80000000, v11
	v_mov_b32_e32 v23, v10
	ds_write_b64 v14, v[23:24]
; %bb.175:
	s_or_b64 exec, exec, s[0:1]
	s_waitcnt lgkmcnt(0)
	s_barrier
	s_barrier
	s_and_saveexec_b64 s[0:1], s[2:3]
; %bb.176:
	v_lshlrev_b32_e32 v23, 3, v12
	v_lshl_or_b32 v23, v13, 9, v23
	ds_write_b64 v23, v[10:11] offset:28064
; %bb.177:
	s_or_b64 exec, exec, s[0:1]
	s_waitcnt lgkmcnt(0)
	s_barrier
	s_barrier
	s_and_saveexec_b64 s[0:1], s[34:35]
	s_cbranch_execz .LBB27_179
; %bb.178:
	v_lshlrev_b32_e32 v23, 3, v0
	s_movk_i32 s10, 0x1f8
	v_mad_u32_u24 v24, v0, s10, v23
	ds_read_b64 v[10:11], v24 offset:28064
	s_waitcnt lgkmcnt(0)
	ds_write_b64 v23, v[10:11] offset:27056
	ds_read_b64 v[10:11], v24 offset:28072
	s_waitcnt lgkmcnt(0)
	ds_write_b64 v23, v[10:11] offset:27568
.LBB27_179:
	s_or_b64 exec, exec, s[0:1]
	s_waitcnt lgkmcnt(0)
	s_barrier
	s_and_saveexec_b64 s[0:1], vcc
	s_cbranch_execz .LBB27_181
; %bb.180:
	v_mov_b32_e32 v23, 0
	ds_read_b64 v[25:26], v23 offset:27552
	v_mov_b32_e32 v24, 0x3ff00000
	ds_write_b64 v23, v[23:24] offset:27560
	s_waitcnt lgkmcnt(1)
	ds_write_b128 v23, v[23:26] offset:27040
.LBB27_181:
	s_or_b64 exec, exec, s[0:1]
	v_mov_b32_e32 v10, 0
	v_mov_b32_e32 v11, 0
	s_waitcnt lgkmcnt(0)
	s_barrier
	buffer_wbinvl1_vol
	s_and_saveexec_b64 s[0:1], s[18:19]
	s_cbranch_execz .LBB27_187
; %bb.182:
	v_lshlrev_b32_e32 v24, 3, v16
	v_lshlrev_b32_e32 v23, 9, v17
	ds_read_b64 v[10:11], v24 offset:27008
	ds_read_b64 v[25:26], v23 offset:27040
	v_cmp_gt_u32_e64 s[10:11], 12, v15
	s_waitcnt lgkmcnt(0)
	v_fma_f64 v[10:11], v[10:11], v[25:26], 0
	s_and_saveexec_b64 s[14:15], s[10:11]
	s_cbranch_execnz .LBB27_1180
; %bb.183:
	s_or_b64 exec, exec, s[14:15]
	v_cmp_gt_u32_e64 s[10:11], 8, v15
	s_and_saveexec_b64 s[14:15], s[10:11]
	s_cbranch_execnz .LBB27_1181
.LBB27_184:
	s_or_b64 exec, exec, s[14:15]
	v_cmp_gt_u32_e64 s[10:11], 4, v15
	s_and_saveexec_b64 s[14:15], s[10:11]
	s_cbranch_execz .LBB27_186
.LBB27_185:
	v_lshlrev_b32_e32 v23, 3, v0
	v_mov_b32_e32 v25, 0
	ds_read_b64 v[23:24], v23 offset:28544
	ds_read_b64 v[25:26], v25 offset:28600
	s_waitcnt lgkmcnt(0)
	v_fma_f64 v[10:11], v[23:24], v[25:26], v[10:11]
.LBB27_186:
	s_or_b64 exec, exec, s[14:15]
.LBB27_187:
	s_or_b64 exec, exec, s[0:1]
	s_and_saveexec_b64 s[0:1], s[38:39]
; %bb.188:
	v_xor_b32_e32 v24, 0x80000000, v11
	v_mov_b32_e32 v23, v10
	ds_write_b64 v19, v[23:24]
; %bb.189:
	s_or_b64 exec, exec, s[0:1]
	s_waitcnt lgkmcnt(0)
	s_barrier
	s_and_saveexec_b64 s[0:1], s[42:43]
	s_cbranch_execz .LBB27_191
; %bb.190:
	v_lshlrev_b32_e32 v23, 3, v16
	ds_read_b64 v[23:24], v23 offset:26496
	ds_read_b64 v[25:26], v19
	s_waitcnt lgkmcnt(0)
	v_fma_f64 v[10:11], -v[23:24], v[25:26], v[10:11]
.LBB27_191:
	s_or_b64 exec, exec, s[0:1]
	s_barrier
	s_and_saveexec_b64 s[0:1], s[44:45]
; %bb.192:
	v_xor_b32_e32 v24, 0x80000000, v11
	v_mov_b32_e32 v23, v10
	ds_write_b64 v19, v[23:24]
; %bb.193:
	s_or_b64 exec, exec, s[0:1]
	s_waitcnt lgkmcnt(0)
	s_barrier
	s_and_saveexec_b64 s[0:1], s[52:53]
	s_cbranch_execz .LBB27_195
; %bb.194:
	v_lshlrev_b32_e32 v23, 3, v16
	ds_read_b64 v[23:24], v23 offset:25984
	ds_read_b64 v[25:26], v19
	s_waitcnt lgkmcnt(0)
	v_fma_f64 v[10:11], -v[23:24], v[25:26], v[10:11]
.LBB27_195:
	s_or_b64 exec, exec, s[0:1]
	s_barrier
	s_and_saveexec_b64 s[0:1], s[54:55]
; %bb.196:
	v_xor_b32_e32 v24, 0x80000000, v11
	v_mov_b32_e32 v23, v10
	ds_write_b64 v19, v[23:24]
; %bb.197:
	s_or_b64 exec, exec, s[0:1]
	s_waitcnt lgkmcnt(0)
	s_barrier
	s_and_saveexec_b64 s[0:1], s[36:37]
	s_cbranch_execz .LBB27_199
; %bb.198:
	v_mov_b32_e32 v23, 0
	ds_read_b64 v[23:24], v23 offset:25472
	ds_read_b64 v[25:26], v19
	s_waitcnt lgkmcnt(0)
	v_fma_f64 v[10:11], -v[23:24], v[25:26], v[10:11]
.LBB27_199:
	s_or_b64 exec, exec, s[0:1]
	s_barrier
	s_and_saveexec_b64 s[0:1], s[36:37]
; %bb.200:
	v_xor_b32_e32 v24, 0x80000000, v11
	v_mov_b32_e32 v23, v10
	ds_write_b64 v19, v[23:24]
; %bb.201:
	s_or_b64 exec, exec, s[0:1]
	s_waitcnt lgkmcnt(0)
	s_barrier
	s_barrier
	s_and_saveexec_b64 s[0:1], s[18:19]
; %bb.202:
	v_lshlrev_b32_e32 v23, 3, v16
	v_lshl_or_b32 v23, v17, 9, v23
	ds_write_b64 v23, v[10:11] offset:27008
; %bb.203:
	s_or_b64 exec, exec, s[0:1]
	s_waitcnt lgkmcnt(0)
	s_barrier
	s_barrier
	s_and_saveexec_b64 s[0:1], s[56:57]
	s_cbranch_execz .LBB27_205
; %bb.204:
	v_lshlrev_b32_e32 v23, 9, v0
	ds_read_b64 v[10:11], v23 offset:27008
	s_movk_i32 s10, 0xfe08
	v_mad_i32_i24 v24, v0, s10, v23
	s_waitcnt lgkmcnt(0)
	ds_write_b64 v24, v[10:11] offset:24992
	ds_read_b64 v[10:11], v23 offset:27016
	s_waitcnt lgkmcnt(0)
	ds_write_b64 v24, v[10:11] offset:25504
	ds_read_b64 v[10:11], v23 offset:27024
	;; [unrolled: 3-line block ×3, first 2 shown]
	s_waitcnt lgkmcnt(0)
	ds_write_b64 v24, v[10:11] offset:26528
.LBB27_205:
	s_or_b64 exec, exec, s[0:1]
	s_waitcnt lgkmcnt(0)
	s_barrier
	s_and_saveexec_b64 s[0:1], vcc
	s_cbranch_execz .LBB27_207
; %bb.206:
	v_mov_b32_e32 v23, 0
	ds_read_b64 v[25:26], v23 offset:26512
	v_mov_b32_e32 v24, 0x3ff00000
	ds_write_b64 v23, v[23:24] offset:26520
	s_waitcnt lgkmcnt(1)
	ds_write_b128 v23, v[23:26] offset:26000
.LBB27_207:
	s_or_b64 exec, exec, s[0:1]
	v_mov_b32_e32 v10, 0
	v_mov_b32_e32 v11, 0
	s_waitcnt lgkmcnt(0)
	s_barrier
	buffer_wbinvl1_vol
	s_and_saveexec_b64 s[0:1], s[2:3]
	s_cbranch_execz .LBB27_211
; %bb.208:
	v_lshlrev_b32_e32 v23, 9, v13
	v_lshlrev_b32_e32 v10, 3, v12
	ds_read_b64 v[10:11], v10 offset:25984
	ds_read_b64 v[23:24], v23 offset:26000
	v_cmp_gt_u32_e64 s[10:11], 2, v15
	s_waitcnt lgkmcnt(0)
	v_fma_f64 v[10:11], v[10:11], v[23:24], 0
	s_and_saveexec_b64 s[14:15], s[10:11]
	s_cbranch_execz .LBB27_210
; %bb.209:
	v_lshlrev_b32_e32 v23, 3, v0
	v_mov_b32_e32 v25, 0
	ds_read_b64 v[23:24], v23 offset:26496
	ds_read_b64 v[25:26], v25 offset:26520
	s_waitcnt lgkmcnt(0)
	v_fma_f64 v[10:11], v[23:24], v[25:26], v[10:11]
.LBB27_210:
	s_or_b64 exec, exec, s[14:15]
.LBB27_211:
	s_or_b64 exec, exec, s[0:1]
	s_and_saveexec_b64 s[0:1], s[30:31]
; %bb.212:
	v_xor_b32_e32 v24, 0x80000000, v11
	v_mov_b32_e32 v23, v10
	ds_write_b64 v14, v[23:24]
; %bb.213:
	s_or_b64 exec, exec, s[0:1]
	s_waitcnt lgkmcnt(0)
	s_barrier
	s_and_saveexec_b64 s[0:1], s[28:29]
	s_cbranch_execz .LBB27_215
; %bb.214:
	v_mov_b32_e32 v23, 0
	ds_read_b64 v[23:24], v23 offset:25472
	ds_read_b64 v[25:26], v14
	s_waitcnt lgkmcnt(0)
	v_fma_f64 v[10:11], -v[23:24], v[25:26], v[10:11]
.LBB27_215:
	s_or_b64 exec, exec, s[0:1]
	s_barrier
	s_and_saveexec_b64 s[0:1], s[28:29]
; %bb.216:
	v_xor_b32_e32 v24, 0x80000000, v11
	v_mov_b32_e32 v23, v10
	ds_write_b64 v14, v[23:24]
; %bb.217:
	s_or_b64 exec, exec, s[0:1]
	s_waitcnt lgkmcnt(0)
	s_barrier
	s_barrier
	s_and_saveexec_b64 s[0:1], s[2:3]
; %bb.218:
	v_lshlrev_b32_e32 v23, 3, v12
	v_lshl_or_b32 v23, v13, 9, v23
	ds_write_b64 v23, v[10:11] offset:25984
; %bb.219:
	s_or_b64 exec, exec, s[0:1]
	s_waitcnt lgkmcnt(0)
	s_barrier
	s_barrier
	s_and_saveexec_b64 s[0:1], s[34:35]
	s_cbranch_execz .LBB27_221
; %bb.220:
	v_lshlrev_b32_e32 v23, 3, v0
	s_movk_i32 s10, 0x1f8
	v_mad_u32_u24 v24, v0, s10, v23
	ds_read_b64 v[10:11], v24 offset:25984
	s_waitcnt lgkmcnt(0)
	ds_write_b64 v23, v[10:11] offset:24976
	ds_read_b64 v[10:11], v24 offset:25992
	s_waitcnt lgkmcnt(0)
	ds_write_b64 v23, v[10:11] offset:25488
.LBB27_221:
	s_or_b64 exec, exec, s[0:1]
	s_waitcnt lgkmcnt(0)
	s_barrier
	s_and_saveexec_b64 s[0:1], vcc
	s_cbranch_execz .LBB27_223
; %bb.222:
	v_mov_b32_e32 v23, 0
	ds_read_b64 v[25:26], v23 offset:25472
	v_mov_b32_e32 v24, 0x3ff00000
	ds_write_b64 v23, v[23:24] offset:25480
	s_waitcnt lgkmcnt(1)
	ds_write_b128 v23, v[23:26] offset:24960
.LBB27_223:
	s_or_b64 exec, exec, s[0:1]
	s_movk_i32 s0, 0xff
	v_lshrrev_b32_e32 v25, 4, v15
	v_cmp_lt_u32_e64 s[14:15], s0, v15
	s_movk_i32 s0, 0x100
	v_mov_b32_e32 v10, 0
	v_and_b32_e32 v23, 15, v0
	v_sub_u32_e32 v24, 15, v25
	v_mov_b32_e32 v11, 0
	v_cmp_gt_u32_e64 s[10:11], s0, v15
	s_waitcnt lgkmcnt(0)
	s_barrier
	buffer_wbinvl1_vol
	s_and_saveexec_b64 s[0:1], s[10:11]
	s_cbranch_execz .LBB27_251
; %bb.224:
	v_lshlrev_b32_e32 v27, 3, v23
	v_lshlrev_b32_e32 v26, 9, v24
	ds_read_b64 v[10:11], v27 offset:24832
	ds_read_b64 v[28:29], v26 offset:24960
	s_movk_i32 s16, 0xf0
	v_cmp_gt_u32_e64 s[16:17], s16, v15
	s_waitcnt lgkmcnt(0)
	v_fma_f64 v[10:11], v[10:11], v[28:29], 0
	s_and_saveexec_b64 s[20:21], s[16:17]
	s_cbranch_execz .LBB27_226
; %bb.225:
	ds_read_b64 v[28:29], v27 offset:25344
	ds_read_b64 v[30:31], v26 offset:24968
	s_waitcnt lgkmcnt(0)
	v_fma_f64 v[10:11], v[28:29], v[30:31], v[10:11]
.LBB27_226:
	s_or_b64 exec, exec, s[20:21]
	s_movk_i32 s16, 0xe0
	v_cmp_gt_u32_e64 s[16:17], s16, v15
	s_and_saveexec_b64 s[20:21], s[16:17]
	s_cbranch_execz .LBB27_228
; %bb.227:
	ds_read_b64 v[28:29], v27 offset:25856
	ds_read_b64 v[30:31], v26 offset:24976
	s_waitcnt lgkmcnt(0)
	v_fma_f64 v[10:11], v[28:29], v[30:31], v[10:11]
.LBB27_228:
	s_or_b64 exec, exec, s[20:21]
	s_movk_i32 s16, 0xd0
	v_cmp_gt_u32_e64 s[16:17], s16, v15
	;; [unrolled: 11-line block ×10, first 2 shown]
	s_and_saveexec_b64 s[20:21], s[16:17]
	s_cbranch_execnz .LBB27_1182
; %bb.245:
	s_or_b64 exec, exec, s[20:21]
	s_and_saveexec_b64 s[16:17], s[8:9]
	s_cbranch_execnz .LBB27_1183
.LBB27_246:
	s_or_b64 exec, exec, s[16:17]
	v_cmp_gt_u32_e64 s[16:17], 48, v15
	s_and_saveexec_b64 s[20:21], s[16:17]
	s_cbranch_execnz .LBB27_1184
.LBB27_247:
	s_or_b64 exec, exec, s[20:21]
	v_cmp_gt_u32_e64 s[16:17], 32, v15
	s_and_saveexec_b64 s[20:21], s[16:17]
	s_cbranch_execnz .LBB27_1185
.LBB27_248:
	s_or_b64 exec, exec, s[20:21]
	v_cmp_gt_u32_e64 s[16:17], 16, v15
	s_and_saveexec_b64 s[20:21], s[16:17]
	s_cbranch_execz .LBB27_250
.LBB27_249:
	v_lshlrev_b32_e32 v26, 3, v0
	v_mov_b32_e32 v28, 0
	ds_read_b64 v[26:27], v26 offset:32512
	ds_read_b64 v[28:29], v28 offset:32760
	s_waitcnt lgkmcnt(0)
	v_fma_f64 v[10:11], v[26:27], v[28:29], v[10:11]
.LBB27_250:
	s_or_b64 exec, exec, s[20:21]
.LBB27_251:
	s_or_b64 exec, exec, s[0:1]
	v_mov_b32_e32 v26, 0x8000
	v_lshl_add_u32 v25, v25, 3, v26
	v_cmp_eq_u32_e64 s[16:17], 15, v23
	s_xor_b64 s[20:21], s[14:15], -1
	s_and_b64 s[14:15], s[16:17], s[20:21]
	s_mov_b64 s[0:1], exec
	v_writelane_b32 v35, s14, 4
	v_writelane_b32 v35, s15, 5
	s_and_b64 s[14:15], s[0:1], s[14:15]
	s_mov_b64 exec, s[14:15]
; %bb.252:
	v_xor_b32_e32 v27, 0x80000000, v11
	v_mov_b32_e32 v26, v10
	ds_write_b64 v25, v[26:27]
; %bb.253:
	s_or_b64 exec, exec, s[0:1]
	v_cmp_ne_u32_e64 s[14:15], 15, v23
	s_waitcnt lgkmcnt(0)
	s_barrier
	s_and_b64 s[14:15], s[14:15], s[20:21]
	s_mov_b64 s[0:1], exec
	v_writelane_b32 v35, s14, 6
	v_writelane_b32 v35, s15, 7
	s_and_b64 s[14:15], s[0:1], s[14:15]
	s_mov_b64 exec, s[14:15]
	s_cbranch_execz .LBB27_255
; %bb.254:
	v_lshlrev_b32_e32 v26, 3, v23
	ds_read_b64 v[26:27], v26 offset:24320
	ds_read_b64 v[28:29], v25
	s_waitcnt lgkmcnt(0)
	v_fma_f64 v[10:11], -v[26:27], v[28:29], v[10:11]
.LBB27_255:
	s_or_b64 exec, exec, s[0:1]
	v_cmp_eq_u32_e64 s[14:15], 14, v23
	s_barrier
	s_and_b64 s[14:15], s[14:15], s[20:21]
	s_mov_b64 s[0:1], exec
	v_writelane_b32 v35, s14, 8
	v_writelane_b32 v35, s15, 9
	s_and_b64 s[14:15], s[0:1], s[14:15]
	s_mov_b64 exec, s[14:15]
; %bb.256:
	v_xor_b32_e32 v27, 0x80000000, v11
	v_mov_b32_e32 v26, v10
	ds_write_b64 v25, v[26:27]
; %bb.257:
	s_or_b64 exec, exec, s[0:1]
	v_cmp_gt_u32_e64 s[14:15], 14, v23
	s_waitcnt lgkmcnt(0)
	s_barrier
	s_and_b64 s[14:15], s[14:15], s[20:21]
	s_mov_b64 s[0:1], exec
	v_writelane_b32 v35, s14, 10
	v_writelane_b32 v35, s15, 11
	s_and_b64 s[14:15], s[0:1], s[14:15]
	s_mov_b64 exec, s[14:15]
	s_cbranch_execz .LBB27_259
; %bb.258:
	v_lshlrev_b32_e32 v26, 3, v23
	ds_read_b64 v[26:27], v26 offset:23808
	ds_read_b64 v[28:29], v25
	s_waitcnt lgkmcnt(0)
	v_fma_f64 v[10:11], -v[26:27], v[28:29], v[10:11]
.LBB27_259:
	s_or_b64 exec, exec, s[0:1]
	v_cmp_eq_u32_e64 s[14:15], 13, v23
	s_barrier
	s_and_b64 s[14:15], s[14:15], s[20:21]
	s_mov_b64 s[0:1], exec
	v_writelane_b32 v35, s14, 12
	v_writelane_b32 v35, s15, 13
	s_and_b64 s[14:15], s[0:1], s[14:15]
	s_mov_b64 exec, s[14:15]
; %bb.260:
	v_xor_b32_e32 v27, 0x80000000, v11
	v_mov_b32_e32 v26, v10
	ds_write_b64 v25, v[26:27]
; %bb.261:
	s_or_b64 exec, exec, s[0:1]
	v_cmp_gt_u32_e64 s[14:15], 13, v23
	;; [unrolled: 32-line block ×13, first 2 shown]
	s_and_b64 s[0:1], s[14:15], s[20:21]
	s_waitcnt lgkmcnt(0)
	s_barrier
	s_and_saveexec_b64 s[14:15], s[0:1]
	s_cbranch_execz .LBB27_307
; %bb.306:
	v_lshlrev_b32_e32 v26, 3, v23
	ds_read_b64 v[26:27], v26 offset:17664
	ds_read_b64 v[28:29], v25
	s_waitcnt lgkmcnt(0)
	v_fma_f64 v[10:11], -v[26:27], v[28:29], v[10:11]
.LBB27_307:
	s_or_b64 exec, exec, s[14:15]
	v_cmp_eq_u32_e64 s[14:15], 1, v23
	s_barrier
	s_and_b64 s[16:17], s[14:15], s[20:21]
	s_mov_b64 s[14:15], exec
	v_writelane_b32 v35, s16, 58
	v_writelane_b32 v35, s17, 59
	s_and_b64 s[16:17], s[14:15], s[16:17]
	s_mov_b64 exec, s[16:17]
; %bb.308:
	v_xor_b32_e32 v27, 0x80000000, v11
	v_mov_b32_e32 v26, v10
	ds_write_b64 v25, v[26:27]
; %bb.309:
	s_or_b64 exec, exec, s[14:15]
	v_cmp_eq_u32_e64 s[14:15], 0, v23
	s_and_b64 s[94:95], s[14:15], s[20:21]
	s_waitcnt lgkmcnt(0)
	s_barrier
	s_and_saveexec_b64 s[14:15], s[94:95]
	s_cbranch_execz .LBB27_311
; %bb.310:
	v_mov_b32_e32 v26, 0
	ds_read_b64 v[26:27], v26 offset:17152
	ds_read_b64 v[28:29], v25
	s_waitcnt lgkmcnt(0)
	v_fma_f64 v[10:11], -v[26:27], v[28:29], v[10:11]
.LBB27_311:
	s_or_b64 exec, exec, s[14:15]
	s_barrier
	s_and_saveexec_b64 s[14:15], s[94:95]
; %bb.312:
	v_xor_b32_e32 v27, 0x80000000, v11
	v_mov_b32_e32 v26, v10
	ds_write_b64 v25, v[26:27]
; %bb.313:
	s_or_b64 exec, exec, s[14:15]
	s_waitcnt lgkmcnt(0)
	s_barrier
	s_barrier
	s_and_saveexec_b64 s[14:15], s[10:11]
; %bb.314:
	v_lshlrev_b32_e32 v26, 3, v23
	v_lshl_or_b32 v26, v24, 9, v26
	ds_write_b64 v26, v[10:11] offset:24832
; %bb.315:
	s_or_b64 exec, exec, s[14:15]
	v_cmp_gt_u32_e64 s[14:15], 16, v0
	s_and_b64 s[90:91], s[12:13], s[14:15]
	s_waitcnt lgkmcnt(0)
	s_barrier
	s_barrier
	s_and_saveexec_b64 s[14:15], s[90:91]
	s_cbranch_execz .LBB27_317
; %bb.316:
	v_lshlrev_b32_e32 v26, 9, v0
	ds_read_b64 v[10:11], v26 offset:24832
	s_movk_i32 s16, 0xfe08
	v_mad_i32_i24 v27, v0, s16, v26
	s_waitcnt lgkmcnt(0)
	ds_write_b64 v27, v[10:11] offset:16768
	ds_read_b64 v[10:11], v26 offset:24840
	s_waitcnt lgkmcnt(0)
	ds_write_b64 v27, v[10:11] offset:17280
	ds_read_b64 v[10:11], v26 offset:24848
	;; [unrolled: 3-line block ×15, first 2 shown]
	s_waitcnt lgkmcnt(0)
	ds_write_b64 v27, v[10:11] offset:24448
.LBB27_317:
	s_or_b64 exec, exec, s[14:15]
	s_waitcnt lgkmcnt(0)
	s_barrier
	s_and_saveexec_b64 s[14:15], vcc
	s_cbranch_execz .LBB27_319
; %bb.318:
	v_mov_b32_e32 v26, 0
	ds_read_b64 v[28:29], v26 offset:24432
	v_mov_b32_e32 v27, 0x3ff00000
	ds_write_b64 v26, v[26:27] offset:24440
	s_waitcnt lgkmcnt(1)
	ds_write_b128 v26, v[26:29] offset:23920
.LBB27_319:
	s_or_b64 exec, exec, s[14:15]
	v_mov_b32_e32 v10, 0
	v_mov_b32_e32 v11, 0
	s_waitcnt lgkmcnt(0)
	s_barrier
	buffer_wbinvl1_vol
	s_and_saveexec_b64 s[16:17], s[2:3]
	s_cbranch_execz .LBB27_323
; %bb.320:
	v_lshlrev_b32_e32 v26, 9, v13
	v_lshlrev_b32_e32 v10, 3, v12
	ds_read_b64 v[10:11], v10 offset:23904
	ds_read_b64 v[26:27], v26 offset:23920
	v_cmp_gt_u32_e64 s[14:15], 2, v15
	s_waitcnt lgkmcnt(0)
	v_fma_f64 v[10:11], v[10:11], v[26:27], 0
	s_and_saveexec_b64 s[20:21], s[14:15]
	s_cbranch_execz .LBB27_322
; %bb.321:
	v_lshlrev_b32_e32 v26, 3, v0
	v_mov_b32_e32 v28, 0
	ds_read_b64 v[26:27], v26 offset:24416
	ds_read_b64 v[28:29], v28 offset:24440
	s_waitcnt lgkmcnt(0)
	v_fma_f64 v[10:11], v[26:27], v[28:29], v[10:11]
.LBB27_322:
	s_or_b64 exec, exec, s[20:21]
.LBB27_323:
	s_or_b64 exec, exec, s[16:17]
	s_and_saveexec_b64 s[14:15], s[30:31]
; %bb.324:
	v_xor_b32_e32 v27, 0x80000000, v11
	v_mov_b32_e32 v26, v10
	ds_write_b64 v14, v[26:27]
; %bb.325:
	s_or_b64 exec, exec, s[14:15]
	s_waitcnt lgkmcnt(0)
	s_barrier
	s_and_saveexec_b64 s[14:15], s[28:29]
	s_cbranch_execz .LBB27_327
; %bb.326:
	v_mov_b32_e32 v26, 0
	ds_read_b64 v[26:27], v26 offset:23392
	ds_read_b64 v[28:29], v14
	s_waitcnt lgkmcnt(0)
	v_fma_f64 v[10:11], -v[26:27], v[28:29], v[10:11]
.LBB27_327:
	s_or_b64 exec, exec, s[14:15]
	s_barrier
	s_and_saveexec_b64 s[14:15], s[28:29]
; %bb.328:
	v_xor_b32_e32 v27, 0x80000000, v11
	v_mov_b32_e32 v26, v10
	ds_write_b64 v14, v[26:27]
; %bb.329:
	s_or_b64 exec, exec, s[14:15]
	s_waitcnt lgkmcnt(0)
	s_barrier
	s_barrier
	s_and_saveexec_b64 s[14:15], s[2:3]
; %bb.330:
	v_lshlrev_b32_e32 v26, 3, v12
	v_lshl_or_b32 v26, v13, 9, v26
	ds_write_b64 v26, v[10:11] offset:23904
; %bb.331:
	s_or_b64 exec, exec, s[14:15]
	s_waitcnt lgkmcnt(0)
	s_barrier
	s_barrier
	s_and_saveexec_b64 s[14:15], s[34:35]
	s_cbranch_execz .LBB27_333
; %bb.332:
	v_lshlrev_b32_e32 v26, 3, v0
	s_movk_i32 s16, 0x1f8
	v_mad_u32_u24 v27, v0, s16, v26
	ds_read_b64 v[10:11], v27 offset:23904
	s_waitcnt lgkmcnt(0)
	ds_write_b64 v26, v[10:11] offset:22896
	ds_read_b64 v[10:11], v27 offset:23912
	s_waitcnt lgkmcnt(0)
	ds_write_b64 v26, v[10:11] offset:23408
.LBB27_333:
	s_or_b64 exec, exec, s[14:15]
	s_waitcnt lgkmcnt(0)
	s_barrier
	s_and_saveexec_b64 s[14:15], vcc
	s_cbranch_execz .LBB27_335
; %bb.334:
	v_mov_b32_e32 v26, 0
	ds_read_b64 v[28:29], v26 offset:23392
	v_mov_b32_e32 v27, 0x3ff00000
	ds_write_b64 v26, v[26:27] offset:23400
	s_waitcnt lgkmcnt(1)
	ds_write_b128 v26, v[26:29] offset:22880
.LBB27_335:
	s_or_b64 exec, exec, s[14:15]
	v_mov_b32_e32 v10, 0
	v_mov_b32_e32 v11, 0
	s_waitcnt lgkmcnt(0)
	s_barrier
	buffer_wbinvl1_vol
	s_and_saveexec_b64 s[16:17], s[18:19]
	s_cbranch_execz .LBB27_341
; %bb.336:
	v_lshlrev_b32_e32 v27, 3, v16
	v_lshlrev_b32_e32 v26, 9, v17
	ds_read_b64 v[10:11], v27 offset:22848
	ds_read_b64 v[28:29], v26 offset:22880
	v_cmp_gt_u32_e64 s[14:15], 12, v15
	s_waitcnt lgkmcnt(0)
	v_fma_f64 v[10:11], v[10:11], v[28:29], 0
	s_and_saveexec_b64 s[20:21], s[14:15]
	s_cbranch_execnz .LBB27_1186
; %bb.337:
	s_or_b64 exec, exec, s[20:21]
	v_cmp_gt_u32_e64 s[14:15], 8, v15
	s_and_saveexec_b64 s[20:21], s[14:15]
	s_cbranch_execnz .LBB27_1187
.LBB27_338:
	s_or_b64 exec, exec, s[20:21]
	v_cmp_gt_u32_e64 s[14:15], 4, v15
	s_and_saveexec_b64 s[20:21], s[14:15]
	s_cbranch_execz .LBB27_340
.LBB27_339:
	v_lshlrev_b32_e32 v26, 3, v0
	v_mov_b32_e32 v28, 0
	ds_read_b64 v[26:27], v26 offset:24384
	ds_read_b64 v[28:29], v28 offset:24440
	s_waitcnt lgkmcnt(0)
	v_fma_f64 v[10:11], v[26:27], v[28:29], v[10:11]
.LBB27_340:
	s_or_b64 exec, exec, s[20:21]
.LBB27_341:
	s_or_b64 exec, exec, s[16:17]
	s_and_saveexec_b64 s[14:15], s[38:39]
; %bb.342:
	v_xor_b32_e32 v27, 0x80000000, v11
	v_mov_b32_e32 v26, v10
	ds_write_b64 v19, v[26:27]
; %bb.343:
	s_or_b64 exec, exec, s[14:15]
	s_waitcnt lgkmcnt(0)
	s_barrier
	s_and_saveexec_b64 s[14:15], s[42:43]
	s_cbranch_execz .LBB27_345
; %bb.344:
	v_lshlrev_b32_e32 v26, 3, v16
	ds_read_b64 v[26:27], v26 offset:22336
	ds_read_b64 v[28:29], v19
	s_waitcnt lgkmcnt(0)
	v_fma_f64 v[10:11], -v[26:27], v[28:29], v[10:11]
.LBB27_345:
	s_or_b64 exec, exec, s[14:15]
	s_barrier
	s_and_saveexec_b64 s[14:15], s[44:45]
; %bb.346:
	v_xor_b32_e32 v27, 0x80000000, v11
	v_mov_b32_e32 v26, v10
	ds_write_b64 v19, v[26:27]
; %bb.347:
	s_or_b64 exec, exec, s[14:15]
	s_waitcnt lgkmcnt(0)
	s_barrier
	s_and_saveexec_b64 s[14:15], s[52:53]
	s_cbranch_execz .LBB27_349
; %bb.348:
	v_lshlrev_b32_e32 v26, 3, v16
	ds_read_b64 v[26:27], v26 offset:21824
	ds_read_b64 v[28:29], v19
	s_waitcnt lgkmcnt(0)
	v_fma_f64 v[10:11], -v[26:27], v[28:29], v[10:11]
.LBB27_349:
	s_or_b64 exec, exec, s[14:15]
	s_barrier
	s_and_saveexec_b64 s[14:15], s[54:55]
; %bb.350:
	v_xor_b32_e32 v27, 0x80000000, v11
	v_mov_b32_e32 v26, v10
	ds_write_b64 v19, v[26:27]
; %bb.351:
	s_or_b64 exec, exec, s[14:15]
	s_waitcnt lgkmcnt(0)
	s_barrier
	s_and_saveexec_b64 s[14:15], s[36:37]
	s_cbranch_execz .LBB27_353
; %bb.352:
	v_mov_b32_e32 v26, 0
	ds_read_b64 v[26:27], v26 offset:21312
	ds_read_b64 v[28:29], v19
	s_waitcnt lgkmcnt(0)
	v_fma_f64 v[10:11], -v[26:27], v[28:29], v[10:11]
.LBB27_353:
	s_or_b64 exec, exec, s[14:15]
	s_barrier
	s_and_saveexec_b64 s[14:15], s[36:37]
; %bb.354:
	v_xor_b32_e32 v27, 0x80000000, v11
	v_mov_b32_e32 v26, v10
	ds_write_b64 v19, v[26:27]
; %bb.355:
	s_or_b64 exec, exec, s[14:15]
	s_waitcnt lgkmcnt(0)
	s_barrier
	s_barrier
	s_and_saveexec_b64 s[14:15], s[18:19]
; %bb.356:
	v_lshlrev_b32_e32 v26, 3, v16
	v_lshl_or_b32 v26, v17, 9, v26
	ds_write_b64 v26, v[10:11] offset:22848
; %bb.357:
	s_or_b64 exec, exec, s[14:15]
	s_waitcnt lgkmcnt(0)
	s_barrier
	s_barrier
	s_and_saveexec_b64 s[14:15], s[56:57]
	s_cbranch_execz .LBB27_359
; %bb.358:
	v_lshlrev_b32_e32 v26, 9, v0
	ds_read_b64 v[10:11], v26 offset:22848
	s_movk_i32 s16, 0xfe08
	v_mad_i32_i24 v27, v0, s16, v26
	s_waitcnt lgkmcnt(0)
	ds_write_b64 v27, v[10:11] offset:20832
	ds_read_b64 v[10:11], v26 offset:22856
	s_waitcnt lgkmcnt(0)
	ds_write_b64 v27, v[10:11] offset:21344
	ds_read_b64 v[10:11], v26 offset:22864
	;; [unrolled: 3-line block ×3, first 2 shown]
	s_waitcnt lgkmcnt(0)
	ds_write_b64 v27, v[10:11] offset:22368
.LBB27_359:
	s_or_b64 exec, exec, s[14:15]
	s_waitcnt lgkmcnt(0)
	s_barrier
	s_and_saveexec_b64 s[14:15], vcc
	s_cbranch_execz .LBB27_361
; %bb.360:
	v_mov_b32_e32 v26, 0
	ds_read_b64 v[28:29], v26 offset:22352
	v_mov_b32_e32 v27, 0x3ff00000
	ds_write_b64 v26, v[26:27] offset:22360
	s_waitcnt lgkmcnt(1)
	ds_write_b128 v26, v[26:29] offset:21840
.LBB27_361:
	s_or_b64 exec, exec, s[14:15]
	v_mov_b32_e32 v10, 0
	v_mov_b32_e32 v11, 0
	s_waitcnt lgkmcnt(0)
	s_barrier
	buffer_wbinvl1_vol
	s_and_saveexec_b64 s[16:17], s[2:3]
	s_cbranch_execz .LBB27_365
; %bb.362:
	v_lshlrev_b32_e32 v26, 9, v13
	v_lshlrev_b32_e32 v10, 3, v12
	ds_read_b64 v[10:11], v10 offset:21824
	ds_read_b64 v[26:27], v26 offset:21840
	v_cmp_gt_u32_e64 s[14:15], 2, v15
	s_waitcnt lgkmcnt(0)
	v_fma_f64 v[10:11], v[10:11], v[26:27], 0
	s_and_saveexec_b64 s[20:21], s[14:15]
	s_cbranch_execz .LBB27_364
; %bb.363:
	v_lshlrev_b32_e32 v26, 3, v0
	v_mov_b32_e32 v28, 0
	ds_read_b64 v[26:27], v26 offset:22336
	ds_read_b64 v[28:29], v28 offset:22360
	s_waitcnt lgkmcnt(0)
	v_fma_f64 v[10:11], v[26:27], v[28:29], v[10:11]
.LBB27_364:
	s_or_b64 exec, exec, s[20:21]
.LBB27_365:
	s_or_b64 exec, exec, s[16:17]
	s_and_saveexec_b64 s[14:15], s[30:31]
; %bb.366:
	v_xor_b32_e32 v27, 0x80000000, v11
	v_mov_b32_e32 v26, v10
	ds_write_b64 v14, v[26:27]
; %bb.367:
	s_or_b64 exec, exec, s[14:15]
	s_waitcnt lgkmcnt(0)
	s_barrier
	s_and_saveexec_b64 s[14:15], s[28:29]
	s_cbranch_execz .LBB27_369
; %bb.368:
	v_mov_b32_e32 v26, 0
	ds_read_b64 v[26:27], v26 offset:21312
	ds_read_b64 v[28:29], v14
	s_waitcnt lgkmcnt(0)
	v_fma_f64 v[10:11], -v[26:27], v[28:29], v[10:11]
.LBB27_369:
	s_or_b64 exec, exec, s[14:15]
	s_barrier
	s_and_saveexec_b64 s[14:15], s[28:29]
; %bb.370:
	v_xor_b32_e32 v27, 0x80000000, v11
	v_mov_b32_e32 v26, v10
	ds_write_b64 v14, v[26:27]
; %bb.371:
	s_or_b64 exec, exec, s[14:15]
	s_waitcnt lgkmcnt(0)
	s_barrier
	s_barrier
	s_and_saveexec_b64 s[14:15], s[2:3]
; %bb.372:
	v_lshlrev_b32_e32 v26, 3, v12
	v_lshl_or_b32 v26, v13, 9, v26
	ds_write_b64 v26, v[10:11] offset:21824
; %bb.373:
	s_or_b64 exec, exec, s[14:15]
	s_waitcnt lgkmcnt(0)
	s_barrier
	s_barrier
	s_and_saveexec_b64 s[14:15], s[34:35]
	s_cbranch_execz .LBB27_375
; %bb.374:
	v_lshlrev_b32_e32 v26, 3, v0
	s_movk_i32 s16, 0x1f8
	v_mad_u32_u24 v27, v0, s16, v26
	ds_read_b64 v[10:11], v27 offset:21824
	s_waitcnt lgkmcnt(0)
	ds_write_b64 v26, v[10:11] offset:20816
	ds_read_b64 v[10:11], v27 offset:21832
	s_waitcnt lgkmcnt(0)
	ds_write_b64 v26, v[10:11] offset:21328
.LBB27_375:
	s_or_b64 exec, exec, s[14:15]
	s_waitcnt lgkmcnt(0)
	s_barrier
	s_and_saveexec_b64 s[14:15], vcc
	s_cbranch_execz .LBB27_377
; %bb.376:
	v_mov_b32_e32 v26, 0
	ds_read_b64 v[28:29], v26 offset:21312
	v_mov_b32_e32 v27, 0x3ff00000
	ds_write_b64 v26, v[26:27] offset:21320
	s_waitcnt lgkmcnt(1)
	ds_write_b128 v26, v[26:29] offset:20800
.LBB27_377:
	s_or_b64 exec, exec, s[14:15]
	v_mov_b32_e32 v10, 0
	v_mov_b32_e32 v11, 0
	s_waitcnt lgkmcnt(0)
	s_barrier
	buffer_wbinvl1_vol
	s_and_saveexec_b64 s[16:17], s[8:9]
	s_cbranch_execz .LBB27_387
; %bb.378:
	v_lshlrev_b32_e32 v27, 3, v20
	v_lshlrev_b32_e32 v26, 9, v21
	ds_read_b64 v[10:11], v27 offset:20736
	ds_read_b64 v[28:29], v26 offset:20800
	v_cmp_gt_u32_e64 s[14:15], 56, v15
	s_waitcnt lgkmcnt(0)
	v_fma_f64 v[10:11], v[10:11], v[28:29], 0
	s_and_saveexec_b64 s[20:21], s[14:15]
	s_cbranch_execnz .LBB27_1188
; %bb.379:
	s_or_b64 exec, exec, s[20:21]
	v_cmp_gt_u32_e64 s[14:15], 48, v15
	s_and_saveexec_b64 s[20:21], s[14:15]
	s_cbranch_execnz .LBB27_1189
.LBB27_380:
	s_or_b64 exec, exec, s[20:21]
	v_cmp_gt_u32_e64 s[14:15], 40, v15
	s_and_saveexec_b64 s[20:21], s[14:15]
	s_cbranch_execnz .LBB27_1190
.LBB27_381:
	s_or_b64 exec, exec, s[20:21]
	v_cmp_gt_u32_e64 s[14:15], 32, v15
	s_and_saveexec_b64 s[20:21], s[14:15]
	s_cbranch_execnz .LBB27_1191
.LBB27_382:
	s_or_b64 exec, exec, s[20:21]
	v_cmp_gt_u32_e64 s[14:15], 24, v15
	s_and_saveexec_b64 s[20:21], s[14:15]
	s_cbranch_execnz .LBB27_1192
.LBB27_383:
	s_or_b64 exec, exec, s[20:21]
	s_and_saveexec_b64 s[14:15], s[18:19]
	s_cbranch_execnz .LBB27_1193
.LBB27_384:
	s_or_b64 exec, exec, s[14:15]
	v_cmp_gt_u32_e64 s[14:15], 8, v15
	s_and_saveexec_b64 s[20:21], s[14:15]
	s_cbranch_execz .LBB27_386
.LBB27_385:
	v_lshlrev_b32_e32 v26, 3, v0
	v_mov_b32_e32 v28, 0
	ds_read_b64 v[26:27], v26 offset:24320
	ds_read_b64 v[28:29], v28 offset:24440
	s_waitcnt lgkmcnt(0)
	v_fma_f64 v[10:11], v[26:27], v[28:29], v[10:11]
.LBB27_386:
	s_or_b64 exec, exec, s[20:21]
.LBB27_387:
	s_or_b64 exec, exec, s[16:17]
	s_and_saveexec_b64 s[14:15], s[58:59]
; %bb.388:
	v_xor_b32_e32 v27, 0x80000000, v11
	v_mov_b32_e32 v26, v10
	ds_write_b64 v22, v[26:27]
; %bb.389:
	s_or_b64 exec, exec, s[14:15]
	s_waitcnt lgkmcnt(0)
	s_barrier
	s_and_saveexec_b64 s[14:15], s[60:61]
	s_cbranch_execz .LBB27_391
; %bb.390:
	v_lshlrev_b32_e32 v26, 3, v20
	ds_read_b64 v[26:27], v26 offset:20224
	ds_read_b64 v[28:29], v22
	s_waitcnt lgkmcnt(0)
	v_fma_f64 v[10:11], -v[26:27], v[28:29], v[10:11]
.LBB27_391:
	s_or_b64 exec, exec, s[14:15]
	s_barrier
	s_and_saveexec_b64 s[14:15], s[62:63]
; %bb.392:
	v_xor_b32_e32 v27, 0x80000000, v11
	v_mov_b32_e32 v26, v10
	ds_write_b64 v22, v[26:27]
; %bb.393:
	s_or_b64 exec, exec, s[14:15]
	s_waitcnt lgkmcnt(0)
	s_barrier
	s_and_saveexec_b64 s[14:15], s[64:65]
	s_cbranch_execz .LBB27_395
; %bb.394:
	v_lshlrev_b32_e32 v26, 3, v20
	ds_read_b64 v[26:27], v26 offset:19712
	ds_read_b64 v[28:29], v22
	s_waitcnt lgkmcnt(0)
	v_fma_f64 v[10:11], -v[26:27], v[28:29], v[10:11]
.LBB27_395:
	s_or_b64 exec, exec, s[14:15]
	s_barrier
	;; [unrolled: 20-line block ×6, first 2 shown]
	s_and_saveexec_b64 s[14:15], s[84:85]
; %bb.412:
	v_xor_b32_e32 v27, 0x80000000, v11
	v_mov_b32_e32 v26, v10
	ds_write_b64 v22, v[26:27]
; %bb.413:
	s_or_b64 exec, exec, s[14:15]
	s_waitcnt lgkmcnt(0)
	s_barrier
	s_and_saveexec_b64 s[14:15], s[68:69]
	s_cbranch_execz .LBB27_415
; %bb.414:
	v_mov_b32_e32 v26, 0
	ds_read_b64 v[26:27], v26 offset:17152
	ds_read_b64 v[28:29], v22
	s_waitcnt lgkmcnt(0)
	v_fma_f64 v[10:11], -v[26:27], v[28:29], v[10:11]
.LBB27_415:
	s_or_b64 exec, exec, s[14:15]
	s_barrier
	s_and_saveexec_b64 s[14:15], s[68:69]
; %bb.416:
	v_xor_b32_e32 v27, 0x80000000, v11
	v_mov_b32_e32 v26, v10
	ds_write_b64 v22, v[26:27]
; %bb.417:
	s_or_b64 exec, exec, s[14:15]
	s_waitcnt lgkmcnt(0)
	s_barrier
	s_barrier
	s_and_saveexec_b64 s[14:15], s[8:9]
; %bb.418:
	v_lshlrev_b32_e32 v26, 3, v20
	v_lshl_or_b32 v26, v21, 9, v26
	ds_write_b64 v26, v[10:11] offset:20736
; %bb.419:
	s_or_b64 exec, exec, s[14:15]
	s_waitcnt lgkmcnt(0)
	s_barrier
	s_barrier
	s_and_saveexec_b64 s[14:15], s[86:87]
	s_cbranch_execz .LBB27_421
; %bb.420:
	v_lshlrev_b32_e32 v26, 9, v0
	ds_read_b64 v[10:11], v26 offset:20736
	s_movk_i32 s16, 0xfe08
	v_mad_i32_i24 v27, v0, s16, v26
	s_waitcnt lgkmcnt(0)
	ds_write_b64 v27, v[10:11] offset:16704
	ds_read_b64 v[10:11], v26 offset:20744
	s_waitcnt lgkmcnt(0)
	ds_write_b64 v27, v[10:11] offset:17216
	ds_read_b64 v[10:11], v26 offset:20752
	;; [unrolled: 3-line block ×7, first 2 shown]
	s_waitcnt lgkmcnt(0)
	ds_write_b64 v27, v[10:11] offset:20288
.LBB27_421:
	s_or_b64 exec, exec, s[14:15]
	s_waitcnt lgkmcnt(0)
	s_barrier
	s_and_saveexec_b64 s[14:15], vcc
	s_cbranch_execz .LBB27_423
; %bb.422:
	v_mov_b32_e32 v26, 0
	ds_read_b64 v[28:29], v26 offset:20272
	v_mov_b32_e32 v27, 0x3ff00000
	ds_write_b64 v26, v[26:27] offset:20280
	s_waitcnt lgkmcnt(1)
	ds_write_b128 v26, v[26:29] offset:19760
.LBB27_423:
	s_or_b64 exec, exec, s[14:15]
	v_mov_b32_e32 v10, 0
	v_mov_b32_e32 v11, 0
	s_waitcnt lgkmcnt(0)
	s_barrier
	buffer_wbinvl1_vol
	s_and_saveexec_b64 s[16:17], s[2:3]
	s_cbranch_execz .LBB27_427
; %bb.424:
	v_lshlrev_b32_e32 v26, 9, v13
	v_lshlrev_b32_e32 v10, 3, v12
	ds_read_b64 v[10:11], v10 offset:19744
	ds_read_b64 v[26:27], v26 offset:19760
	v_cmp_gt_u32_e64 s[14:15], 2, v15
	s_waitcnt lgkmcnt(0)
	v_fma_f64 v[10:11], v[10:11], v[26:27], 0
	s_and_saveexec_b64 s[20:21], s[14:15]
	s_cbranch_execz .LBB27_426
; %bb.425:
	v_lshlrev_b32_e32 v26, 3, v0
	v_mov_b32_e32 v28, 0
	ds_read_b64 v[26:27], v26 offset:20256
	ds_read_b64 v[28:29], v28 offset:20280
	s_waitcnt lgkmcnt(0)
	v_fma_f64 v[10:11], v[26:27], v[28:29], v[10:11]
.LBB27_426:
	s_or_b64 exec, exec, s[20:21]
.LBB27_427:
	s_or_b64 exec, exec, s[16:17]
	s_and_saveexec_b64 s[14:15], s[30:31]
; %bb.428:
	v_xor_b32_e32 v27, 0x80000000, v11
	v_mov_b32_e32 v26, v10
	ds_write_b64 v14, v[26:27]
; %bb.429:
	s_or_b64 exec, exec, s[14:15]
	s_waitcnt lgkmcnt(0)
	s_barrier
	s_and_saveexec_b64 s[14:15], s[28:29]
	s_cbranch_execz .LBB27_431
; %bb.430:
	v_mov_b32_e32 v26, 0
	ds_read_b64 v[26:27], v26 offset:19232
	ds_read_b64 v[28:29], v14
	s_waitcnt lgkmcnt(0)
	v_fma_f64 v[10:11], -v[26:27], v[28:29], v[10:11]
.LBB27_431:
	s_or_b64 exec, exec, s[14:15]
	s_barrier
	s_and_saveexec_b64 s[14:15], s[28:29]
; %bb.432:
	v_xor_b32_e32 v27, 0x80000000, v11
	v_mov_b32_e32 v26, v10
	ds_write_b64 v14, v[26:27]
; %bb.433:
	s_or_b64 exec, exec, s[14:15]
	s_waitcnt lgkmcnt(0)
	s_barrier
	s_barrier
	s_and_saveexec_b64 s[14:15], s[2:3]
; %bb.434:
	v_lshlrev_b32_e32 v26, 3, v12
	v_lshl_or_b32 v26, v13, 9, v26
	ds_write_b64 v26, v[10:11] offset:19744
; %bb.435:
	s_or_b64 exec, exec, s[14:15]
	s_waitcnt lgkmcnt(0)
	s_barrier
	s_barrier
	s_and_saveexec_b64 s[14:15], s[34:35]
	s_cbranch_execz .LBB27_437
; %bb.436:
	v_lshlrev_b32_e32 v26, 3, v0
	s_movk_i32 s16, 0x1f8
	v_mad_u32_u24 v27, v0, s16, v26
	ds_read_b64 v[10:11], v27 offset:19744
	s_waitcnt lgkmcnt(0)
	ds_write_b64 v26, v[10:11] offset:18736
	ds_read_b64 v[10:11], v27 offset:19752
	s_waitcnt lgkmcnt(0)
	ds_write_b64 v26, v[10:11] offset:19248
.LBB27_437:
	s_or_b64 exec, exec, s[14:15]
	s_waitcnt lgkmcnt(0)
	s_barrier
	s_and_saveexec_b64 s[14:15], vcc
	s_cbranch_execz .LBB27_439
; %bb.438:
	v_mov_b32_e32 v26, 0
	ds_read_b64 v[28:29], v26 offset:19232
	v_mov_b32_e32 v27, 0x3ff00000
	ds_write_b64 v26, v[26:27] offset:19240
	s_waitcnt lgkmcnt(1)
	ds_write_b128 v26, v[26:29] offset:18720
.LBB27_439:
	s_or_b64 exec, exec, s[14:15]
	v_mov_b32_e32 v10, 0
	v_mov_b32_e32 v11, 0
	s_waitcnt lgkmcnt(0)
	s_barrier
	buffer_wbinvl1_vol
	s_and_saveexec_b64 s[16:17], s[18:19]
	s_cbranch_execz .LBB27_445
; %bb.440:
	v_lshlrev_b32_e32 v27, 3, v16
	v_lshlrev_b32_e32 v26, 9, v17
	ds_read_b64 v[10:11], v27 offset:18688
	ds_read_b64 v[28:29], v26 offset:18720
	v_cmp_gt_u32_e64 s[14:15], 12, v15
	s_waitcnt lgkmcnt(0)
	v_fma_f64 v[10:11], v[10:11], v[28:29], 0
	s_and_saveexec_b64 s[20:21], s[14:15]
	s_cbranch_execnz .LBB27_1194
; %bb.441:
	s_or_b64 exec, exec, s[20:21]
	v_cmp_gt_u32_e64 s[14:15], 8, v15
	s_and_saveexec_b64 s[20:21], s[14:15]
	s_cbranch_execnz .LBB27_1195
.LBB27_442:
	s_or_b64 exec, exec, s[20:21]
	v_cmp_gt_u32_e64 s[14:15], 4, v15
	s_and_saveexec_b64 s[20:21], s[14:15]
	s_cbranch_execz .LBB27_444
.LBB27_443:
	v_lshlrev_b32_e32 v26, 3, v0
	v_mov_b32_e32 v28, 0
	ds_read_b64 v[26:27], v26 offset:20224
	ds_read_b64 v[28:29], v28 offset:20280
	s_waitcnt lgkmcnt(0)
	v_fma_f64 v[10:11], v[26:27], v[28:29], v[10:11]
.LBB27_444:
	s_or_b64 exec, exec, s[20:21]
.LBB27_445:
	s_or_b64 exec, exec, s[16:17]
	s_and_saveexec_b64 s[14:15], s[38:39]
; %bb.446:
	v_xor_b32_e32 v27, 0x80000000, v11
	v_mov_b32_e32 v26, v10
	ds_write_b64 v19, v[26:27]
; %bb.447:
	s_or_b64 exec, exec, s[14:15]
	s_waitcnt lgkmcnt(0)
	s_barrier
	s_and_saveexec_b64 s[14:15], s[42:43]
	s_cbranch_execz .LBB27_449
; %bb.448:
	v_lshlrev_b32_e32 v26, 3, v16
	ds_read_b64 v[26:27], v26 offset:18176
	ds_read_b64 v[28:29], v19
	s_waitcnt lgkmcnt(0)
	v_fma_f64 v[10:11], -v[26:27], v[28:29], v[10:11]
.LBB27_449:
	s_or_b64 exec, exec, s[14:15]
	s_barrier
	s_and_saveexec_b64 s[14:15], s[44:45]
; %bb.450:
	v_xor_b32_e32 v27, 0x80000000, v11
	v_mov_b32_e32 v26, v10
	ds_write_b64 v19, v[26:27]
; %bb.451:
	s_or_b64 exec, exec, s[14:15]
	s_waitcnt lgkmcnt(0)
	s_barrier
	s_and_saveexec_b64 s[14:15], s[52:53]
	s_cbranch_execz .LBB27_453
; %bb.452:
	v_lshlrev_b32_e32 v26, 3, v16
	ds_read_b64 v[26:27], v26 offset:17664
	ds_read_b64 v[28:29], v19
	s_waitcnt lgkmcnt(0)
	v_fma_f64 v[10:11], -v[26:27], v[28:29], v[10:11]
.LBB27_453:
	s_or_b64 exec, exec, s[14:15]
	s_barrier
	s_and_saveexec_b64 s[14:15], s[54:55]
; %bb.454:
	v_xor_b32_e32 v27, 0x80000000, v11
	v_mov_b32_e32 v26, v10
	ds_write_b64 v19, v[26:27]
; %bb.455:
	s_or_b64 exec, exec, s[14:15]
	s_waitcnt lgkmcnt(0)
	s_barrier
	s_and_saveexec_b64 s[14:15], s[36:37]
	s_cbranch_execz .LBB27_457
; %bb.456:
	v_mov_b32_e32 v26, 0
	ds_read_b64 v[26:27], v26 offset:17152
	ds_read_b64 v[28:29], v19
	s_waitcnt lgkmcnt(0)
	v_fma_f64 v[10:11], -v[26:27], v[28:29], v[10:11]
.LBB27_457:
	s_or_b64 exec, exec, s[14:15]
	s_barrier
	s_and_saveexec_b64 s[14:15], s[36:37]
; %bb.458:
	v_xor_b32_e32 v27, 0x80000000, v11
	v_mov_b32_e32 v26, v10
	ds_write_b64 v19, v[26:27]
; %bb.459:
	s_or_b64 exec, exec, s[14:15]
	s_waitcnt lgkmcnt(0)
	s_barrier
	s_barrier
	s_and_saveexec_b64 s[14:15], s[18:19]
; %bb.460:
	v_lshlrev_b32_e32 v26, 3, v16
	v_lshl_or_b32 v26, v17, 9, v26
	ds_write_b64 v26, v[10:11] offset:18688
; %bb.461:
	s_or_b64 exec, exec, s[14:15]
	s_waitcnt lgkmcnt(0)
	s_barrier
	s_barrier
	s_and_saveexec_b64 s[14:15], s[56:57]
	s_cbranch_execz .LBB27_463
; %bb.462:
	v_lshlrev_b32_e32 v26, 9, v0
	ds_read_b64 v[10:11], v26 offset:18688
	s_movk_i32 s16, 0xfe08
	v_mad_i32_i24 v27, v0, s16, v26
	s_waitcnt lgkmcnt(0)
	ds_write_b64 v27, v[10:11] offset:16672
	ds_read_b64 v[10:11], v26 offset:18696
	s_waitcnt lgkmcnt(0)
	ds_write_b64 v27, v[10:11] offset:17184
	ds_read_b64 v[10:11], v26 offset:18704
	;; [unrolled: 3-line block ×3, first 2 shown]
	s_waitcnt lgkmcnt(0)
	ds_write_b64 v27, v[10:11] offset:18208
.LBB27_463:
	s_or_b64 exec, exec, s[14:15]
	s_waitcnt lgkmcnt(0)
	s_barrier
	s_and_saveexec_b64 s[14:15], vcc
	s_cbranch_execz .LBB27_465
; %bb.464:
	v_mov_b32_e32 v26, 0
	ds_read_b64 v[28:29], v26 offset:18192
	v_mov_b32_e32 v27, 0x3ff00000
	ds_write_b64 v26, v[26:27] offset:18200
	s_waitcnt lgkmcnt(1)
	ds_write_b128 v26, v[26:29] offset:17680
.LBB27_465:
	s_or_b64 exec, exec, s[14:15]
	v_mov_b32_e32 v10, 0
	v_mov_b32_e32 v11, 0
	s_waitcnt lgkmcnt(0)
	s_barrier
	buffer_wbinvl1_vol
	s_and_saveexec_b64 s[16:17], s[2:3]
	s_cbranch_execz .LBB27_469
; %bb.466:
	v_lshlrev_b32_e32 v26, 9, v13
	v_lshlrev_b32_e32 v10, 3, v12
	ds_read_b64 v[10:11], v10 offset:17664
	ds_read_b64 v[26:27], v26 offset:17680
	v_cmp_gt_u32_e64 s[14:15], 2, v15
	s_waitcnt lgkmcnt(0)
	v_fma_f64 v[10:11], v[10:11], v[26:27], 0
	s_and_saveexec_b64 s[20:21], s[14:15]
	s_cbranch_execz .LBB27_468
; %bb.467:
	v_lshlrev_b32_e32 v26, 3, v0
	v_mov_b32_e32 v28, 0
	ds_read_b64 v[26:27], v26 offset:18176
	ds_read_b64 v[28:29], v28 offset:18200
	s_waitcnt lgkmcnt(0)
	v_fma_f64 v[10:11], v[26:27], v[28:29], v[10:11]
.LBB27_468:
	s_or_b64 exec, exec, s[20:21]
.LBB27_469:
	s_or_b64 exec, exec, s[16:17]
	s_and_saveexec_b64 s[14:15], s[30:31]
; %bb.470:
	v_xor_b32_e32 v27, 0x80000000, v11
	v_mov_b32_e32 v26, v10
	ds_write_b64 v14, v[26:27]
; %bb.471:
	s_or_b64 exec, exec, s[14:15]
	s_waitcnt lgkmcnt(0)
	s_barrier
	s_and_saveexec_b64 s[14:15], s[28:29]
	s_cbranch_execz .LBB27_473
; %bb.472:
	v_mov_b32_e32 v26, 0
	ds_read_b64 v[26:27], v26 offset:17152
	ds_read_b64 v[28:29], v14
	s_waitcnt lgkmcnt(0)
	v_fma_f64 v[10:11], -v[26:27], v[28:29], v[10:11]
.LBB27_473:
	s_or_b64 exec, exec, s[14:15]
	s_barrier
	s_and_saveexec_b64 s[14:15], s[28:29]
; %bb.474:
	v_xor_b32_e32 v27, 0x80000000, v11
	v_mov_b32_e32 v26, v10
	ds_write_b64 v14, v[26:27]
; %bb.475:
	s_or_b64 exec, exec, s[14:15]
	s_waitcnt lgkmcnt(0)
	s_barrier
	s_barrier
	s_and_saveexec_b64 s[14:15], s[2:3]
; %bb.476:
	v_lshlrev_b32_e32 v26, 3, v12
	v_lshl_or_b32 v26, v13, 9, v26
	ds_write_b64 v26, v[10:11] offset:17664
; %bb.477:
	s_or_b64 exec, exec, s[14:15]
	s_waitcnt lgkmcnt(0)
	s_barrier
	s_barrier
	s_and_saveexec_b64 s[14:15], s[34:35]
	s_cbranch_execz .LBB27_479
; %bb.478:
	v_lshlrev_b32_e32 v26, 3, v0
	s_movk_i32 s16, 0x1f8
	v_mad_u32_u24 v27, v0, s16, v26
	ds_read_b64 v[10:11], v27 offset:17664
	s_waitcnt lgkmcnt(0)
	ds_write_b64 v26, v[10:11] offset:16656
	ds_read_b64 v[10:11], v27 offset:17672
	s_waitcnt lgkmcnt(0)
	ds_write_b64 v26, v[10:11] offset:17168
.LBB27_479:
	s_or_b64 exec, exec, s[14:15]
	s_waitcnt lgkmcnt(0)
	s_barrier
	s_and_saveexec_b64 s[14:15], vcc
	s_cbranch_execz .LBB27_481
; %bb.480:
	v_mov_b32_e32 v26, 0
	ds_read_b64 v[28:29], v26 offset:17152
	v_mov_b32_e32 v27, 0x3ff00000
	ds_write_b64 v26, v[26:27] offset:17160
	s_waitcnt lgkmcnt(1)
	ds_write_b128 v26, v[26:29] offset:16640
.LBB27_481:
	s_or_b64 exec, exec, s[14:15]
	s_movk_i32 s14, 0x3ff
	v_and_b32_e32 v28, 31, v0
	v_lshrrev_b32_e32 v29, 5, v15
	v_cmp_lt_u32_e64 s[16:17], s14, v15
	s_movk_i32 s14, 0x400
	v_mov_b32_e32 v10, 0
	v_sub_u32_e32 v26, 31, v29
	v_cmp_gt_u32_e64 s[14:15], s14, v15
	v_mov_b32_e32 v11, 0
	v_lshlrev_b32_e32 v27, 3, v28
	s_waitcnt lgkmcnt(0)
	s_barrier
	buffer_wbinvl1_vol
	s_and_saveexec_b64 s[92:93], s[14:15]
	s_cbranch_execz .LBB27_543
; %bb.482:
	v_lshlrev_b32_e32 v30, 9, v26
	ds_read_b64 v[10:11], v27 offset:16384
	ds_read_b64 v[31:32], v30 offset:16640
	s_movk_i32 s20, 0x3e0
	v_cmp_gt_u32_e64 s[20:21], s20, v15
	s_waitcnt lgkmcnt(0)
	v_fma_f64 v[10:11], v[10:11], v[31:32], 0
	s_and_saveexec_b64 s[26:27], s[20:21]
	s_cbranch_execz .LBB27_484
; %bb.483:
	ds_read_b64 v[31:32], v27 offset:16896
	ds_read_b64 v[33:34], v30 offset:16648
	s_waitcnt lgkmcnt(0)
	v_fma_f64 v[10:11], v[31:32], v[33:34], v[10:11]
.LBB27_484:
	s_or_b64 exec, exec, s[26:27]
	s_movk_i32 s20, 0x3c0
	v_cmp_gt_u32_e64 s[20:21], s20, v15
	s_and_saveexec_b64 s[26:27], s[20:21]
	s_cbranch_execz .LBB27_486
; %bb.485:
	ds_read_b64 v[31:32], v27 offset:17408
	ds_read_b64 v[33:34], v30 offset:16656
	s_waitcnt lgkmcnt(0)
	v_fma_f64 v[10:11], v[31:32], v[33:34], v[10:11]
.LBB27_486:
	s_or_b64 exec, exec, s[26:27]
	s_movk_i32 s20, 0x3a0
	v_cmp_gt_u32_e64 s[20:21], s20, v15
	;; [unrolled: 11-line block ×22, first 2 shown]
	s_and_saveexec_b64 s[26:27], s[20:21]
	s_cbranch_execz .LBB27_528
; %bb.527:
	ds_read_b64 v[31:32], v27 offset:28160
	ds_read_b64 v[33:34], v30 offset:16824
	s_waitcnt lgkmcnt(0)
	v_fma_f64 v[10:11], v[31:32], v[33:34], v[10:11]
.LBB27_528:
	s_or_b64 exec, exec, s[26:27]
	s_and_saveexec_b64 s[20:21], s[10:11]
	s_cbranch_execz .LBB27_530
; %bb.529:
	ds_read_b64 v[31:32], v27 offset:28672
	ds_read_b64 v[33:34], v30 offset:16832
	s_waitcnt lgkmcnt(0)
	v_fma_f64 v[10:11], v[31:32], v[33:34], v[10:11]
.LBB27_530:
	s_or_b64 exec, exec, s[20:21]
	s_movk_i32 s20, 0xe0
	v_cmp_gt_u32_e64 s[20:21], s20, v15
	s_and_saveexec_b64 s[26:27], s[20:21]
	s_cbranch_execz .LBB27_532
; %bb.531:
	ds_read_b64 v[31:32], v27 offset:29184
	ds_read_b64 v[33:34], v30 offset:16840
	s_waitcnt lgkmcnt(0)
	v_fma_f64 v[10:11], v[31:32], v[33:34], v[10:11]
.LBB27_532:
	s_or_b64 exec, exec, s[26:27]
	s_movk_i32 s20, 0xc0
	v_cmp_gt_u32_e64 s[20:21], s20, v15
	;; [unrolled: 11-line block ×5, first 2 shown]
	s_and_saveexec_b64 s[26:27], s[20:21]
	s_cbranch_execnz .LBB27_1196
; %bb.539:
	s_or_b64 exec, exec, s[26:27]
	s_and_saveexec_b64 s[20:21], s[8:9]
	s_cbranch_execnz .LBB27_1197
.LBB27_540:
	s_or_b64 exec, exec, s[20:21]
	v_cmp_gt_u32_e64 s[20:21], 32, v15
	s_and_saveexec_b64 s[26:27], s[20:21]
	s_cbranch_execz .LBB27_542
.LBB27_541:
	v_lshlrev_b32_e32 v30, 3, v0
	v_mov_b32_e32 v32, 0
	ds_read_b64 v[30:31], v30 offset:32256
	ds_read_b64 v[32:33], v32 offset:32760
	s_waitcnt lgkmcnt(0)
	v_fma_f64 v[10:11], v[30:31], v[32:33], v[10:11]
.LBB27_542:
	s_or_b64 exec, exec, s[26:27]
.LBB27_543:
	s_or_b64 exec, exec, s[92:93]
	v_mov_b32_e32 v30, 0x8000
	v_cmp_eq_u32_e64 s[20:21], 31, v28
	s_xor_b64 s[92:93], s[16:17], -1
	v_lshl_add_u32 v29, v29, 3, v30
	s_and_b64 s[20:21], s[92:93], s[20:21]
	s_and_saveexec_b64 s[16:17], s[20:21]
; %bb.544:
	v_xor_b32_e32 v31, 0x80000000, v11
	v_mov_b32_e32 v30, v10
	ds_write_b64 v29, v[30:31]
; %bb.545:
	s_or_b64 exec, exec, s[16:17]
	v_cmp_ne_u32_e64 s[16:17], 31, v28
	s_and_b64 s[20:21], s[92:93], s[16:17]
	s_waitcnt lgkmcnt(0)
	s_barrier
	s_and_saveexec_b64 s[16:17], s[20:21]
	s_cbranch_execz .LBB27_547
; %bb.546:
	ds_read_b64 v[30:31], v27 offset:15872
	ds_read_b64 v[32:33], v29
	s_waitcnt lgkmcnt(0)
	v_fma_f64 v[10:11], -v[30:31], v[32:33], v[10:11]
.LBB27_547:
	s_or_b64 exec, exec, s[16:17]
	v_cmp_eq_u32_e64 s[16:17], 30, v28
	s_and_b64 s[20:21], s[92:93], s[16:17]
	s_barrier
	s_and_saveexec_b64 s[16:17], s[20:21]
; %bb.548:
	v_xor_b32_e32 v31, 0x80000000, v11
	v_mov_b32_e32 v30, v10
	ds_write_b64 v29, v[30:31]
; %bb.549:
	s_or_b64 exec, exec, s[16:17]
	v_cmp_gt_u32_e64 s[16:17], 30, v28
	s_and_b64 s[20:21], s[92:93], s[16:17]
	s_waitcnt lgkmcnt(0)
	s_barrier
	s_and_saveexec_b64 s[16:17], s[20:21]
	s_cbranch_execz .LBB27_551
; %bb.550:
	ds_read_b64 v[30:31], v27 offset:15360
	ds_read_b64 v[32:33], v29
	s_waitcnt lgkmcnt(0)
	v_fma_f64 v[10:11], -v[30:31], v[32:33], v[10:11]
.LBB27_551:
	s_or_b64 exec, exec, s[16:17]
	v_cmp_eq_u32_e64 s[16:17], 29, v28
	s_and_b64 s[20:21], s[92:93], s[16:17]
	s_barrier
	s_and_saveexec_b64 s[16:17], s[20:21]
; %bb.552:
	v_xor_b32_e32 v31, 0x80000000, v11
	v_mov_b32_e32 v30, v10
	ds_write_b64 v29, v[30:31]
; %bb.553:
	s_or_b64 exec, exec, s[16:17]
	v_cmp_gt_u32_e64 s[16:17], 29, v28
	;; [unrolled: 23-line block ×29, first 2 shown]
	s_and_b64 s[20:21], s[92:93], s[16:17]
	s_waitcnt lgkmcnt(0)
	s_barrier
	s_and_saveexec_b64 s[16:17], s[20:21]
	s_cbranch_execz .LBB27_663
; %bb.662:
	ds_read_b64 v[30:31], v27 offset:1024
	ds_read_b64 v[32:33], v29
	s_waitcnt lgkmcnt(0)
	v_fma_f64 v[10:11], -v[30:31], v[32:33], v[10:11]
.LBB27_663:
	s_or_b64 exec, exec, s[16:17]
	v_cmp_eq_u32_e64 s[16:17], 1, v28
	s_and_b64 s[20:21], s[92:93], s[16:17]
	s_barrier
	s_and_saveexec_b64 s[16:17], s[20:21]
; %bb.664:
	v_xor_b32_e32 v31, 0x80000000, v11
	v_mov_b32_e32 v30, v10
	ds_write_b64 v29, v[30:31]
; %bb.665:
	s_or_b64 exec, exec, s[16:17]
	v_cmp_eq_u32_e64 s[16:17], 0, v28
	s_and_b64 s[16:17], s[92:93], s[16:17]
	s_waitcnt lgkmcnt(0)
	s_barrier
	s_and_saveexec_b64 s[20:21], s[16:17]
	s_cbranch_execz .LBB27_667
; %bb.666:
	ds_read_b64 v[30:31], v27 offset:512
	ds_read_b64 v[32:33], v29
	s_waitcnt lgkmcnt(0)
	v_fma_f64 v[10:11], -v[30:31], v[32:33], v[10:11]
.LBB27_667:
	s_or_b64 exec, exec, s[20:21]
	s_barrier
	s_and_saveexec_b64 s[20:21], s[16:17]
; %bb.668:
	v_xor_b32_e32 v31, 0x80000000, v11
	v_mov_b32_e32 v30, v10
	ds_write_b64 v29, v[30:31]
; %bb.669:
	s_or_b64 exec, exec, s[20:21]
	s_waitcnt lgkmcnt(0)
	s_barrier
	s_barrier
	s_and_saveexec_b64 s[16:17], s[14:15]
; %bb.670:
	v_lshl_or_b32 v26, v26, 9, v27
	ds_write_b64 v26, v[10:11] offset:16384
; %bb.671:
	s_or_b64 exec, exec, s[16:17]
	v_cmp_gt_u32_e64 s[14:15], 32, v0
	s_and_b64 s[14:15], s[12:13], s[14:15]
	s_waitcnt lgkmcnt(0)
	s_barrier
	s_barrier
	s_and_saveexec_b64 s[12:13], s[14:15]
	s_cbranch_execz .LBB27_673
; %bb.672:
	v_lshlrev_b32_e32 v26, 9, v0
	ds_read_b64 v[10:11], v26 offset:16384
	s_movk_i32 s14, 0xfe08
	v_mad_i32_i24 v27, v0, s14, v26
	s_waitcnt lgkmcnt(0)
	ds_write_b64 v27, v[10:11] offset:256
	ds_read_b64 v[10:11], v26 offset:16392
	s_waitcnt lgkmcnt(0)
	ds_write_b64 v27, v[10:11] offset:768
	ds_read_b64 v[10:11], v26 offset:16400
	;; [unrolled: 3-line block ×31, first 2 shown]
	s_waitcnt lgkmcnt(0)
	ds_write_b64 v27, v[10:11] offset:16128
.LBB27_673:
	s_or_b64 exec, exec, s[12:13]
	s_waitcnt lgkmcnt(0)
	s_barrier
	s_and_saveexec_b64 s[12:13], vcc
	s_cbranch_execz .LBB27_675
; %bb.674:
	v_mov_b32_e32 v26, 0
	ds_read_b64 v[28:29], v26 offset:16112
	v_mov_b32_e32 v27, 0x3ff00000
	ds_write_b64 v26, v[26:27] offset:16120
	s_waitcnt lgkmcnt(1)
	ds_write_b128 v26, v[26:29] offset:15600
.LBB27_675:
	s_or_b64 exec, exec, s[12:13]
	v_mov_b32_e32 v10, 0
	v_mov_b32_e32 v11, 0
	s_waitcnt lgkmcnt(0)
	s_barrier
	buffer_wbinvl1_vol
	s_and_saveexec_b64 s[14:15], s[2:3]
	s_cbranch_execz .LBB27_679
; %bb.676:
	v_lshlrev_b32_e32 v26, 9, v13
	v_lshlrev_b32_e32 v10, 3, v12
	ds_read_b64 v[10:11], v10 offset:15584
	ds_read_b64 v[26:27], v26 offset:15600
	v_cmp_gt_u32_e64 s[12:13], 2, v15
	s_waitcnt lgkmcnt(0)
	v_fma_f64 v[10:11], v[10:11], v[26:27], 0
	s_and_saveexec_b64 s[16:17], s[12:13]
	s_cbranch_execz .LBB27_678
; %bb.677:
	v_lshlrev_b32_e32 v26, 3, v0
	v_mov_b32_e32 v28, 0
	ds_read_b64 v[26:27], v26 offset:16096
	ds_read_b64 v[28:29], v28 offset:16120
	s_waitcnt lgkmcnt(0)
	v_fma_f64 v[10:11], v[26:27], v[28:29], v[10:11]
.LBB27_678:
	s_or_b64 exec, exec, s[16:17]
.LBB27_679:
	s_or_b64 exec, exec, s[14:15]
	s_and_saveexec_b64 s[12:13], s[30:31]
; %bb.680:
	v_xor_b32_e32 v27, 0x80000000, v11
	v_mov_b32_e32 v26, v10
	ds_write_b64 v14, v[26:27]
; %bb.681:
	s_or_b64 exec, exec, s[12:13]
	s_waitcnt lgkmcnt(0)
	s_barrier
	s_and_saveexec_b64 s[12:13], s[28:29]
	s_cbranch_execz .LBB27_683
; %bb.682:
	v_mov_b32_e32 v26, 0
	ds_read_b64 v[26:27], v26 offset:15072
	ds_read_b64 v[28:29], v14
	s_waitcnt lgkmcnt(0)
	v_fma_f64 v[10:11], -v[26:27], v[28:29], v[10:11]
.LBB27_683:
	s_or_b64 exec, exec, s[12:13]
	s_barrier
	s_and_saveexec_b64 s[12:13], s[28:29]
; %bb.684:
	v_xor_b32_e32 v27, 0x80000000, v11
	v_mov_b32_e32 v26, v10
	ds_write_b64 v14, v[26:27]
; %bb.685:
	s_or_b64 exec, exec, s[12:13]
	s_waitcnt lgkmcnt(0)
	s_barrier
	s_barrier
	s_and_saveexec_b64 s[12:13], s[2:3]
; %bb.686:
	v_lshlrev_b32_e32 v26, 3, v12
	v_lshl_or_b32 v26, v13, 9, v26
	ds_write_b64 v26, v[10:11] offset:15584
; %bb.687:
	s_or_b64 exec, exec, s[12:13]
	s_waitcnt lgkmcnt(0)
	s_barrier
	s_barrier
	s_and_saveexec_b64 s[12:13], s[34:35]
	s_cbranch_execz .LBB27_689
; %bb.688:
	v_lshlrev_b32_e32 v26, 3, v0
	s_movk_i32 s14, 0x1f8
	v_mad_u32_u24 v27, v0, s14, v26
	ds_read_b64 v[10:11], v27 offset:15584
	s_waitcnt lgkmcnt(0)
	ds_write_b64 v26, v[10:11] offset:14576
	ds_read_b64 v[10:11], v27 offset:15592
	s_waitcnt lgkmcnt(0)
	ds_write_b64 v26, v[10:11] offset:15088
.LBB27_689:
	s_or_b64 exec, exec, s[12:13]
	s_waitcnt lgkmcnt(0)
	s_barrier
	s_and_saveexec_b64 s[12:13], vcc
	s_cbranch_execz .LBB27_691
; %bb.690:
	v_mov_b32_e32 v26, 0
	ds_read_b64 v[28:29], v26 offset:15072
	v_mov_b32_e32 v27, 0x3ff00000
	ds_write_b64 v26, v[26:27] offset:15080
	s_waitcnt lgkmcnt(1)
	ds_write_b128 v26, v[26:29] offset:14560
.LBB27_691:
	s_or_b64 exec, exec, s[12:13]
	v_mov_b32_e32 v10, 0
	v_mov_b32_e32 v11, 0
	s_waitcnt lgkmcnt(0)
	s_barrier
	buffer_wbinvl1_vol
	s_and_saveexec_b64 s[14:15], s[18:19]
	s_cbranch_execz .LBB27_697
; %bb.692:
	v_lshlrev_b32_e32 v27, 3, v16
	v_lshlrev_b32_e32 v26, 9, v17
	ds_read_b64 v[10:11], v27 offset:14528
	ds_read_b64 v[28:29], v26 offset:14560
	v_cmp_gt_u32_e64 s[12:13], 12, v15
	s_waitcnt lgkmcnt(0)
	v_fma_f64 v[10:11], v[10:11], v[28:29], 0
	s_and_saveexec_b64 s[16:17], s[12:13]
	s_cbranch_execnz .LBB27_1198
; %bb.693:
	s_or_b64 exec, exec, s[16:17]
	v_cmp_gt_u32_e64 s[12:13], 8, v15
	s_and_saveexec_b64 s[16:17], s[12:13]
	s_cbranch_execnz .LBB27_1199
.LBB27_694:
	s_or_b64 exec, exec, s[16:17]
	v_cmp_gt_u32_e64 s[12:13], 4, v15
	s_and_saveexec_b64 s[16:17], s[12:13]
	s_cbranch_execz .LBB27_696
.LBB27_695:
	v_lshlrev_b32_e32 v26, 3, v0
	v_mov_b32_e32 v28, 0
	ds_read_b64 v[26:27], v26 offset:16064
	ds_read_b64 v[28:29], v28 offset:16120
	s_waitcnt lgkmcnt(0)
	v_fma_f64 v[10:11], v[26:27], v[28:29], v[10:11]
.LBB27_696:
	s_or_b64 exec, exec, s[16:17]
.LBB27_697:
	s_or_b64 exec, exec, s[14:15]
	s_and_saveexec_b64 s[12:13], s[38:39]
; %bb.698:
	v_xor_b32_e32 v27, 0x80000000, v11
	v_mov_b32_e32 v26, v10
	ds_write_b64 v19, v[26:27]
; %bb.699:
	s_or_b64 exec, exec, s[12:13]
	s_waitcnt lgkmcnt(0)
	s_barrier
	s_and_saveexec_b64 s[12:13], s[42:43]
	s_cbranch_execz .LBB27_701
; %bb.700:
	v_lshlrev_b32_e32 v26, 3, v16
	ds_read_b64 v[26:27], v26 offset:14016
	ds_read_b64 v[28:29], v19
	s_waitcnt lgkmcnt(0)
	v_fma_f64 v[10:11], -v[26:27], v[28:29], v[10:11]
.LBB27_701:
	s_or_b64 exec, exec, s[12:13]
	s_barrier
	s_and_saveexec_b64 s[12:13], s[44:45]
; %bb.702:
	v_xor_b32_e32 v27, 0x80000000, v11
	v_mov_b32_e32 v26, v10
	ds_write_b64 v19, v[26:27]
; %bb.703:
	s_or_b64 exec, exec, s[12:13]
	s_waitcnt lgkmcnt(0)
	s_barrier
	s_and_saveexec_b64 s[12:13], s[52:53]
	s_cbranch_execz .LBB27_705
; %bb.704:
	v_lshlrev_b32_e32 v26, 3, v16
	ds_read_b64 v[26:27], v26 offset:13504
	ds_read_b64 v[28:29], v19
	s_waitcnt lgkmcnt(0)
	v_fma_f64 v[10:11], -v[26:27], v[28:29], v[10:11]
.LBB27_705:
	s_or_b64 exec, exec, s[12:13]
	s_barrier
	s_and_saveexec_b64 s[12:13], s[54:55]
; %bb.706:
	v_xor_b32_e32 v27, 0x80000000, v11
	v_mov_b32_e32 v26, v10
	ds_write_b64 v19, v[26:27]
; %bb.707:
	s_or_b64 exec, exec, s[12:13]
	s_waitcnt lgkmcnt(0)
	s_barrier
	s_and_saveexec_b64 s[12:13], s[36:37]
	s_cbranch_execz .LBB27_709
; %bb.708:
	v_mov_b32_e32 v26, 0
	ds_read_b64 v[26:27], v26 offset:12992
	ds_read_b64 v[28:29], v19
	s_waitcnt lgkmcnt(0)
	v_fma_f64 v[10:11], -v[26:27], v[28:29], v[10:11]
.LBB27_709:
	s_or_b64 exec, exec, s[12:13]
	s_barrier
	s_and_saveexec_b64 s[12:13], s[36:37]
; %bb.710:
	v_xor_b32_e32 v27, 0x80000000, v11
	v_mov_b32_e32 v26, v10
	ds_write_b64 v19, v[26:27]
; %bb.711:
	s_or_b64 exec, exec, s[12:13]
	s_waitcnt lgkmcnt(0)
	s_barrier
	s_barrier
	s_and_saveexec_b64 s[12:13], s[18:19]
; %bb.712:
	v_lshlrev_b32_e32 v26, 3, v16
	v_lshl_or_b32 v26, v17, 9, v26
	ds_write_b64 v26, v[10:11] offset:14528
; %bb.713:
	s_or_b64 exec, exec, s[12:13]
	s_waitcnt lgkmcnt(0)
	s_barrier
	s_barrier
	s_and_saveexec_b64 s[12:13], s[56:57]
	s_cbranch_execz .LBB27_715
; %bb.714:
	v_lshlrev_b32_e32 v26, 9, v0
	ds_read_b64 v[10:11], v26 offset:14528
	s_movk_i32 s14, 0xfe08
	v_mad_i32_i24 v27, v0, s14, v26
	s_waitcnt lgkmcnt(0)
	ds_write_b64 v27, v[10:11] offset:12512
	ds_read_b64 v[10:11], v26 offset:14536
	s_waitcnt lgkmcnt(0)
	ds_write_b64 v27, v[10:11] offset:13024
	ds_read_b64 v[10:11], v26 offset:14544
	;; [unrolled: 3-line block ×3, first 2 shown]
	s_waitcnt lgkmcnt(0)
	ds_write_b64 v27, v[10:11] offset:14048
.LBB27_715:
	s_or_b64 exec, exec, s[12:13]
	s_waitcnt lgkmcnt(0)
	s_barrier
	s_and_saveexec_b64 s[12:13], vcc
	s_cbranch_execz .LBB27_717
; %bb.716:
	v_mov_b32_e32 v26, 0
	ds_read_b64 v[28:29], v26 offset:14032
	v_mov_b32_e32 v27, 0x3ff00000
	ds_write_b64 v26, v[26:27] offset:14040
	s_waitcnt lgkmcnt(1)
	ds_write_b128 v26, v[26:29] offset:13520
.LBB27_717:
	s_or_b64 exec, exec, s[12:13]
	v_mov_b32_e32 v10, 0
	v_mov_b32_e32 v11, 0
	s_waitcnt lgkmcnt(0)
	s_barrier
	buffer_wbinvl1_vol
	s_and_saveexec_b64 s[14:15], s[2:3]
	s_cbranch_execz .LBB27_721
; %bb.718:
	v_lshlrev_b32_e32 v26, 9, v13
	v_lshlrev_b32_e32 v10, 3, v12
	ds_read_b64 v[10:11], v10 offset:13504
	ds_read_b64 v[26:27], v26 offset:13520
	v_cmp_gt_u32_e64 s[12:13], 2, v15
	s_waitcnt lgkmcnt(0)
	v_fma_f64 v[10:11], v[10:11], v[26:27], 0
	s_and_saveexec_b64 s[16:17], s[12:13]
	s_cbranch_execz .LBB27_720
; %bb.719:
	v_lshlrev_b32_e32 v26, 3, v0
	v_mov_b32_e32 v28, 0
	ds_read_b64 v[26:27], v26 offset:14016
	ds_read_b64 v[28:29], v28 offset:14040
	s_waitcnt lgkmcnt(0)
	v_fma_f64 v[10:11], v[26:27], v[28:29], v[10:11]
.LBB27_720:
	s_or_b64 exec, exec, s[16:17]
.LBB27_721:
	s_or_b64 exec, exec, s[14:15]
	s_and_saveexec_b64 s[12:13], s[30:31]
; %bb.722:
	v_xor_b32_e32 v27, 0x80000000, v11
	v_mov_b32_e32 v26, v10
	ds_write_b64 v14, v[26:27]
; %bb.723:
	s_or_b64 exec, exec, s[12:13]
	s_waitcnt lgkmcnt(0)
	s_barrier
	s_and_saveexec_b64 s[12:13], s[28:29]
	s_cbranch_execz .LBB27_725
; %bb.724:
	v_mov_b32_e32 v26, 0
	ds_read_b64 v[26:27], v26 offset:12992
	ds_read_b64 v[28:29], v14
	s_waitcnt lgkmcnt(0)
	v_fma_f64 v[10:11], -v[26:27], v[28:29], v[10:11]
.LBB27_725:
	s_or_b64 exec, exec, s[12:13]
	s_barrier
	s_and_saveexec_b64 s[12:13], s[28:29]
; %bb.726:
	v_xor_b32_e32 v27, 0x80000000, v11
	v_mov_b32_e32 v26, v10
	ds_write_b64 v14, v[26:27]
; %bb.727:
	s_or_b64 exec, exec, s[12:13]
	s_waitcnt lgkmcnt(0)
	s_barrier
	s_barrier
	s_and_saveexec_b64 s[12:13], s[2:3]
; %bb.728:
	v_lshlrev_b32_e32 v26, 3, v12
	v_lshl_or_b32 v26, v13, 9, v26
	ds_write_b64 v26, v[10:11] offset:13504
; %bb.729:
	s_or_b64 exec, exec, s[12:13]
	s_waitcnt lgkmcnt(0)
	s_barrier
	s_barrier
	s_and_saveexec_b64 s[12:13], s[34:35]
	s_cbranch_execz .LBB27_731
; %bb.730:
	v_lshlrev_b32_e32 v26, 3, v0
	s_movk_i32 s14, 0x1f8
	v_mad_u32_u24 v27, v0, s14, v26
	ds_read_b64 v[10:11], v27 offset:13504
	s_waitcnt lgkmcnt(0)
	ds_write_b64 v26, v[10:11] offset:12496
	ds_read_b64 v[10:11], v27 offset:13512
	s_waitcnt lgkmcnt(0)
	ds_write_b64 v26, v[10:11] offset:13008
.LBB27_731:
	s_or_b64 exec, exec, s[12:13]
	s_waitcnt lgkmcnt(0)
	s_barrier
	s_and_saveexec_b64 s[12:13], vcc
	s_cbranch_execz .LBB27_733
; %bb.732:
	v_mov_b32_e32 v26, 0
	ds_read_b64 v[28:29], v26 offset:12992
	v_mov_b32_e32 v27, 0x3ff00000
	ds_write_b64 v26, v[26:27] offset:13000
	s_waitcnt lgkmcnt(1)
	ds_write_b128 v26, v[26:29] offset:12480
.LBB27_733:
	s_or_b64 exec, exec, s[12:13]
	v_mov_b32_e32 v10, 0
	v_mov_b32_e32 v11, 0
	s_waitcnt lgkmcnt(0)
	s_barrier
	buffer_wbinvl1_vol
	s_and_saveexec_b64 s[14:15], s[8:9]
	s_cbranch_execz .LBB27_743
; %bb.734:
	v_lshlrev_b32_e32 v27, 3, v20
	v_lshlrev_b32_e32 v26, 9, v21
	ds_read_b64 v[10:11], v27 offset:12416
	ds_read_b64 v[28:29], v26 offset:12480
	v_cmp_gt_u32_e64 s[12:13], 56, v15
	s_waitcnt lgkmcnt(0)
	v_fma_f64 v[10:11], v[10:11], v[28:29], 0
	s_and_saveexec_b64 s[16:17], s[12:13]
	s_cbranch_execnz .LBB27_1200
; %bb.735:
	s_or_b64 exec, exec, s[16:17]
	v_cmp_gt_u32_e64 s[12:13], 48, v15
	s_and_saveexec_b64 s[16:17], s[12:13]
	s_cbranch_execnz .LBB27_1201
.LBB27_736:
	s_or_b64 exec, exec, s[16:17]
	v_cmp_gt_u32_e64 s[12:13], 40, v15
	s_and_saveexec_b64 s[16:17], s[12:13]
	s_cbranch_execnz .LBB27_1202
.LBB27_737:
	s_or_b64 exec, exec, s[16:17]
	v_cmp_gt_u32_e64 s[12:13], 32, v15
	s_and_saveexec_b64 s[16:17], s[12:13]
	s_cbranch_execnz .LBB27_1203
.LBB27_738:
	s_or_b64 exec, exec, s[16:17]
	v_cmp_gt_u32_e64 s[12:13], 24, v15
	s_and_saveexec_b64 s[16:17], s[12:13]
	s_cbranch_execnz .LBB27_1204
.LBB27_739:
	s_or_b64 exec, exec, s[16:17]
	s_and_saveexec_b64 s[12:13], s[18:19]
	s_cbranch_execnz .LBB27_1205
.LBB27_740:
	s_or_b64 exec, exec, s[12:13]
	v_cmp_gt_u32_e64 s[12:13], 8, v15
	s_and_saveexec_b64 s[16:17], s[12:13]
	s_cbranch_execz .LBB27_742
.LBB27_741:
	v_lshlrev_b32_e32 v26, 3, v0
	v_mov_b32_e32 v28, 0
	ds_read_b64 v[26:27], v26 offset:16000
	ds_read_b64 v[28:29], v28 offset:16120
	s_waitcnt lgkmcnt(0)
	v_fma_f64 v[10:11], v[26:27], v[28:29], v[10:11]
.LBB27_742:
	s_or_b64 exec, exec, s[16:17]
.LBB27_743:
	s_or_b64 exec, exec, s[14:15]
	s_and_saveexec_b64 s[12:13], s[58:59]
; %bb.744:
	v_xor_b32_e32 v27, 0x80000000, v11
	v_mov_b32_e32 v26, v10
	ds_write_b64 v22, v[26:27]
; %bb.745:
	s_or_b64 exec, exec, s[12:13]
	s_waitcnt lgkmcnt(0)
	s_barrier
	s_and_saveexec_b64 s[12:13], s[60:61]
	s_cbranch_execz .LBB27_747
; %bb.746:
	v_lshlrev_b32_e32 v26, 3, v20
	ds_read_b64 v[26:27], v26 offset:11904
	ds_read_b64 v[28:29], v22
	s_waitcnt lgkmcnt(0)
	v_fma_f64 v[10:11], -v[26:27], v[28:29], v[10:11]
.LBB27_747:
	s_or_b64 exec, exec, s[12:13]
	s_barrier
	s_and_saveexec_b64 s[12:13], s[62:63]
; %bb.748:
	v_xor_b32_e32 v27, 0x80000000, v11
	v_mov_b32_e32 v26, v10
	ds_write_b64 v22, v[26:27]
; %bb.749:
	s_or_b64 exec, exec, s[12:13]
	s_waitcnt lgkmcnt(0)
	s_barrier
	s_and_saveexec_b64 s[12:13], s[64:65]
	s_cbranch_execz .LBB27_751
; %bb.750:
	v_lshlrev_b32_e32 v26, 3, v20
	ds_read_b64 v[26:27], v26 offset:11392
	ds_read_b64 v[28:29], v22
	s_waitcnt lgkmcnt(0)
	v_fma_f64 v[10:11], -v[26:27], v[28:29], v[10:11]
.LBB27_751:
	s_or_b64 exec, exec, s[12:13]
	s_barrier
	;; [unrolled: 20-line block ×6, first 2 shown]
	s_and_saveexec_b64 s[12:13], s[84:85]
; %bb.768:
	v_xor_b32_e32 v27, 0x80000000, v11
	v_mov_b32_e32 v26, v10
	ds_write_b64 v22, v[26:27]
; %bb.769:
	s_or_b64 exec, exec, s[12:13]
	s_waitcnt lgkmcnt(0)
	s_barrier
	s_and_saveexec_b64 s[12:13], s[68:69]
	s_cbranch_execz .LBB27_771
; %bb.770:
	v_mov_b32_e32 v26, 0
	ds_read_b64 v[26:27], v26 offset:8832
	ds_read_b64 v[28:29], v22
	s_waitcnt lgkmcnt(0)
	v_fma_f64 v[10:11], -v[26:27], v[28:29], v[10:11]
.LBB27_771:
	s_or_b64 exec, exec, s[12:13]
	s_barrier
	s_and_saveexec_b64 s[12:13], s[68:69]
; %bb.772:
	v_xor_b32_e32 v27, 0x80000000, v11
	v_mov_b32_e32 v26, v10
	ds_write_b64 v22, v[26:27]
; %bb.773:
	s_or_b64 exec, exec, s[12:13]
	s_waitcnt lgkmcnt(0)
	s_barrier
	s_barrier
	s_and_saveexec_b64 s[12:13], s[8:9]
; %bb.774:
	v_lshlrev_b32_e32 v26, 3, v20
	v_lshl_or_b32 v26, v21, 9, v26
	ds_write_b64 v26, v[10:11] offset:12416
; %bb.775:
	s_or_b64 exec, exec, s[12:13]
	s_waitcnt lgkmcnt(0)
	s_barrier
	s_barrier
	s_and_saveexec_b64 s[12:13], s[86:87]
	s_cbranch_execz .LBB27_777
; %bb.776:
	v_lshlrev_b32_e32 v26, 9, v0
	ds_read_b64 v[10:11], v26 offset:12416
	s_movk_i32 s14, 0xfe08
	v_mad_i32_i24 v27, v0, s14, v26
	s_waitcnt lgkmcnt(0)
	ds_write_b64 v27, v[10:11] offset:8384
	ds_read_b64 v[10:11], v26 offset:12424
	s_waitcnt lgkmcnt(0)
	ds_write_b64 v27, v[10:11] offset:8896
	ds_read_b64 v[10:11], v26 offset:12432
	;; [unrolled: 3-line block ×7, first 2 shown]
	s_waitcnt lgkmcnt(0)
	ds_write_b64 v27, v[10:11] offset:11968
.LBB27_777:
	s_or_b64 exec, exec, s[12:13]
	s_waitcnt lgkmcnt(0)
	s_barrier
	s_and_saveexec_b64 s[12:13], vcc
	s_cbranch_execz .LBB27_779
; %bb.778:
	v_mov_b32_e32 v26, 0
	ds_read_b64 v[28:29], v26 offset:11952
	v_mov_b32_e32 v27, 0x3ff00000
	ds_write_b64 v26, v[26:27] offset:11960
	s_waitcnt lgkmcnt(1)
	ds_write_b128 v26, v[26:29] offset:11440
.LBB27_779:
	s_or_b64 exec, exec, s[12:13]
	v_mov_b32_e32 v10, 0
	v_mov_b32_e32 v11, 0
	s_waitcnt lgkmcnt(0)
	s_barrier
	buffer_wbinvl1_vol
	s_and_saveexec_b64 s[14:15], s[2:3]
	s_cbranch_execz .LBB27_783
; %bb.780:
	v_lshlrev_b32_e32 v26, 9, v13
	v_lshlrev_b32_e32 v10, 3, v12
	ds_read_b64 v[10:11], v10 offset:11424
	ds_read_b64 v[26:27], v26 offset:11440
	v_cmp_gt_u32_e64 s[12:13], 2, v15
	s_waitcnt lgkmcnt(0)
	v_fma_f64 v[10:11], v[10:11], v[26:27], 0
	s_and_saveexec_b64 s[16:17], s[12:13]
	s_cbranch_execz .LBB27_782
; %bb.781:
	v_lshlrev_b32_e32 v26, 3, v0
	v_mov_b32_e32 v28, 0
	ds_read_b64 v[26:27], v26 offset:11936
	ds_read_b64 v[28:29], v28 offset:11960
	s_waitcnt lgkmcnt(0)
	v_fma_f64 v[10:11], v[26:27], v[28:29], v[10:11]
.LBB27_782:
	s_or_b64 exec, exec, s[16:17]
.LBB27_783:
	s_or_b64 exec, exec, s[14:15]
	s_and_saveexec_b64 s[12:13], s[30:31]
; %bb.784:
	v_xor_b32_e32 v27, 0x80000000, v11
	v_mov_b32_e32 v26, v10
	ds_write_b64 v14, v[26:27]
; %bb.785:
	s_or_b64 exec, exec, s[12:13]
	s_waitcnt lgkmcnt(0)
	s_barrier
	s_and_saveexec_b64 s[12:13], s[28:29]
	s_cbranch_execz .LBB27_787
; %bb.786:
	v_mov_b32_e32 v26, 0
	ds_read_b64 v[26:27], v26 offset:10912
	ds_read_b64 v[28:29], v14
	s_waitcnt lgkmcnt(0)
	v_fma_f64 v[10:11], -v[26:27], v[28:29], v[10:11]
.LBB27_787:
	s_or_b64 exec, exec, s[12:13]
	s_barrier
	s_and_saveexec_b64 s[12:13], s[28:29]
; %bb.788:
	v_xor_b32_e32 v27, 0x80000000, v11
	v_mov_b32_e32 v26, v10
	ds_write_b64 v14, v[26:27]
; %bb.789:
	s_or_b64 exec, exec, s[12:13]
	s_waitcnt lgkmcnt(0)
	s_barrier
	s_barrier
	s_and_saveexec_b64 s[12:13], s[2:3]
; %bb.790:
	v_lshlrev_b32_e32 v26, 3, v12
	v_lshl_or_b32 v26, v13, 9, v26
	ds_write_b64 v26, v[10:11] offset:11424
; %bb.791:
	s_or_b64 exec, exec, s[12:13]
	s_waitcnt lgkmcnt(0)
	s_barrier
	s_barrier
	s_and_saveexec_b64 s[12:13], s[34:35]
	s_cbranch_execz .LBB27_793
; %bb.792:
	v_lshlrev_b32_e32 v26, 3, v0
	s_movk_i32 s14, 0x1f8
	v_mad_u32_u24 v27, v0, s14, v26
	ds_read_b64 v[10:11], v27 offset:11424
	s_waitcnt lgkmcnt(0)
	ds_write_b64 v26, v[10:11] offset:10416
	ds_read_b64 v[10:11], v27 offset:11432
	s_waitcnt lgkmcnt(0)
	ds_write_b64 v26, v[10:11] offset:10928
.LBB27_793:
	s_or_b64 exec, exec, s[12:13]
	s_waitcnt lgkmcnt(0)
	s_barrier
	s_and_saveexec_b64 s[12:13], vcc
	s_cbranch_execz .LBB27_795
; %bb.794:
	v_mov_b32_e32 v26, 0
	ds_read_b64 v[28:29], v26 offset:10912
	v_mov_b32_e32 v27, 0x3ff00000
	ds_write_b64 v26, v[26:27] offset:10920
	s_waitcnt lgkmcnt(1)
	ds_write_b128 v26, v[26:29] offset:10400
.LBB27_795:
	s_or_b64 exec, exec, s[12:13]
	v_mov_b32_e32 v10, 0
	v_mov_b32_e32 v11, 0
	s_waitcnt lgkmcnt(0)
	s_barrier
	buffer_wbinvl1_vol
	s_and_saveexec_b64 s[14:15], s[18:19]
	s_cbranch_execz .LBB27_801
; %bb.796:
	v_lshlrev_b32_e32 v27, 3, v16
	v_lshlrev_b32_e32 v26, 9, v17
	ds_read_b64 v[10:11], v27 offset:10368
	ds_read_b64 v[28:29], v26 offset:10400
	v_cmp_gt_u32_e64 s[12:13], 12, v15
	s_waitcnt lgkmcnt(0)
	v_fma_f64 v[10:11], v[10:11], v[28:29], 0
	s_and_saveexec_b64 s[16:17], s[12:13]
	s_cbranch_execnz .LBB27_1206
; %bb.797:
	s_or_b64 exec, exec, s[16:17]
	v_cmp_gt_u32_e64 s[12:13], 8, v15
	s_and_saveexec_b64 s[16:17], s[12:13]
	s_cbranch_execnz .LBB27_1207
.LBB27_798:
	s_or_b64 exec, exec, s[16:17]
	v_cmp_gt_u32_e64 s[12:13], 4, v15
	s_and_saveexec_b64 s[16:17], s[12:13]
	s_cbranch_execz .LBB27_800
.LBB27_799:
	v_lshlrev_b32_e32 v26, 3, v0
	v_mov_b32_e32 v28, 0
	ds_read_b64 v[26:27], v26 offset:11904
	ds_read_b64 v[28:29], v28 offset:11960
	s_waitcnt lgkmcnt(0)
	v_fma_f64 v[10:11], v[26:27], v[28:29], v[10:11]
.LBB27_800:
	s_or_b64 exec, exec, s[16:17]
.LBB27_801:
	s_or_b64 exec, exec, s[14:15]
	s_and_saveexec_b64 s[12:13], s[38:39]
; %bb.802:
	v_xor_b32_e32 v27, 0x80000000, v11
	v_mov_b32_e32 v26, v10
	ds_write_b64 v19, v[26:27]
; %bb.803:
	s_or_b64 exec, exec, s[12:13]
	s_waitcnt lgkmcnt(0)
	s_barrier
	s_and_saveexec_b64 s[12:13], s[42:43]
	s_cbranch_execz .LBB27_805
; %bb.804:
	v_lshlrev_b32_e32 v26, 3, v16
	ds_read_b64 v[26:27], v26 offset:9856
	ds_read_b64 v[28:29], v19
	s_waitcnt lgkmcnt(0)
	v_fma_f64 v[10:11], -v[26:27], v[28:29], v[10:11]
.LBB27_805:
	s_or_b64 exec, exec, s[12:13]
	s_barrier
	s_and_saveexec_b64 s[12:13], s[44:45]
; %bb.806:
	v_xor_b32_e32 v27, 0x80000000, v11
	v_mov_b32_e32 v26, v10
	ds_write_b64 v19, v[26:27]
; %bb.807:
	s_or_b64 exec, exec, s[12:13]
	s_waitcnt lgkmcnt(0)
	s_barrier
	s_and_saveexec_b64 s[12:13], s[52:53]
	s_cbranch_execz .LBB27_809
; %bb.808:
	v_lshlrev_b32_e32 v26, 3, v16
	ds_read_b64 v[26:27], v26 offset:9344
	ds_read_b64 v[28:29], v19
	s_waitcnt lgkmcnt(0)
	v_fma_f64 v[10:11], -v[26:27], v[28:29], v[10:11]
.LBB27_809:
	s_or_b64 exec, exec, s[12:13]
	s_barrier
	s_and_saveexec_b64 s[12:13], s[54:55]
; %bb.810:
	v_xor_b32_e32 v27, 0x80000000, v11
	v_mov_b32_e32 v26, v10
	ds_write_b64 v19, v[26:27]
; %bb.811:
	s_or_b64 exec, exec, s[12:13]
	s_waitcnt lgkmcnt(0)
	s_barrier
	s_and_saveexec_b64 s[12:13], s[36:37]
	s_cbranch_execz .LBB27_813
; %bb.812:
	v_mov_b32_e32 v26, 0
	ds_read_b64 v[26:27], v26 offset:8832
	ds_read_b64 v[28:29], v19
	s_waitcnt lgkmcnt(0)
	v_fma_f64 v[10:11], -v[26:27], v[28:29], v[10:11]
.LBB27_813:
	s_or_b64 exec, exec, s[12:13]
	s_barrier
	s_and_saveexec_b64 s[12:13], s[36:37]
; %bb.814:
	v_xor_b32_e32 v27, 0x80000000, v11
	v_mov_b32_e32 v26, v10
	ds_write_b64 v19, v[26:27]
; %bb.815:
	s_or_b64 exec, exec, s[12:13]
	s_waitcnt lgkmcnt(0)
	s_barrier
	s_barrier
	s_and_saveexec_b64 s[12:13], s[18:19]
; %bb.816:
	v_lshlrev_b32_e32 v26, 3, v16
	v_lshl_or_b32 v26, v17, 9, v26
	ds_write_b64 v26, v[10:11] offset:10368
; %bb.817:
	s_or_b64 exec, exec, s[12:13]
	s_waitcnt lgkmcnt(0)
	s_barrier
	s_barrier
	s_and_saveexec_b64 s[12:13], s[56:57]
	s_cbranch_execz .LBB27_819
; %bb.818:
	v_lshlrev_b32_e32 v26, 9, v0
	ds_read_b64 v[10:11], v26 offset:10368
	s_movk_i32 s14, 0xfe08
	v_mad_i32_i24 v27, v0, s14, v26
	s_waitcnt lgkmcnt(0)
	ds_write_b64 v27, v[10:11] offset:8352
	ds_read_b64 v[10:11], v26 offset:10376
	s_waitcnt lgkmcnt(0)
	ds_write_b64 v27, v[10:11] offset:8864
	ds_read_b64 v[10:11], v26 offset:10384
	;; [unrolled: 3-line block ×3, first 2 shown]
	s_waitcnt lgkmcnt(0)
	ds_write_b64 v27, v[10:11] offset:9888
.LBB27_819:
	s_or_b64 exec, exec, s[12:13]
	s_waitcnt lgkmcnt(0)
	s_barrier
	s_and_saveexec_b64 s[12:13], vcc
	s_cbranch_execz .LBB27_821
; %bb.820:
	v_mov_b32_e32 v26, 0
	ds_read_b64 v[28:29], v26 offset:9872
	v_mov_b32_e32 v27, 0x3ff00000
	ds_write_b64 v26, v[26:27] offset:9880
	s_waitcnt lgkmcnt(1)
	ds_write_b128 v26, v[26:29] offset:9360
.LBB27_821:
	s_or_b64 exec, exec, s[12:13]
	v_mov_b32_e32 v10, 0
	v_mov_b32_e32 v11, 0
	s_waitcnt lgkmcnt(0)
	s_barrier
	buffer_wbinvl1_vol
	s_and_saveexec_b64 s[14:15], s[2:3]
	s_cbranch_execz .LBB27_825
; %bb.822:
	v_lshlrev_b32_e32 v26, 9, v13
	v_lshlrev_b32_e32 v10, 3, v12
	ds_read_b64 v[10:11], v10 offset:9344
	ds_read_b64 v[26:27], v26 offset:9360
	v_cmp_gt_u32_e64 s[12:13], 2, v15
	s_waitcnt lgkmcnt(0)
	v_fma_f64 v[10:11], v[10:11], v[26:27], 0
	s_and_saveexec_b64 s[16:17], s[12:13]
	s_cbranch_execz .LBB27_824
; %bb.823:
	v_lshlrev_b32_e32 v26, 3, v0
	v_mov_b32_e32 v28, 0
	ds_read_b64 v[26:27], v26 offset:9856
	ds_read_b64 v[28:29], v28 offset:9880
	s_waitcnt lgkmcnt(0)
	v_fma_f64 v[10:11], v[26:27], v[28:29], v[10:11]
.LBB27_824:
	s_or_b64 exec, exec, s[16:17]
.LBB27_825:
	s_or_b64 exec, exec, s[14:15]
	s_and_saveexec_b64 s[12:13], s[30:31]
; %bb.826:
	v_xor_b32_e32 v27, 0x80000000, v11
	v_mov_b32_e32 v26, v10
	ds_write_b64 v14, v[26:27]
; %bb.827:
	s_or_b64 exec, exec, s[12:13]
	s_waitcnt lgkmcnt(0)
	s_barrier
	s_and_saveexec_b64 s[12:13], s[28:29]
	s_cbranch_execz .LBB27_829
; %bb.828:
	v_mov_b32_e32 v26, 0
	ds_read_b64 v[26:27], v26 offset:8832
	ds_read_b64 v[28:29], v14
	s_waitcnt lgkmcnt(0)
	v_fma_f64 v[10:11], -v[26:27], v[28:29], v[10:11]
.LBB27_829:
	s_or_b64 exec, exec, s[12:13]
	s_barrier
	s_and_saveexec_b64 s[12:13], s[28:29]
; %bb.830:
	v_xor_b32_e32 v27, 0x80000000, v11
	v_mov_b32_e32 v26, v10
	ds_write_b64 v14, v[26:27]
; %bb.831:
	s_or_b64 exec, exec, s[12:13]
	s_waitcnt lgkmcnt(0)
	s_barrier
	s_barrier
	s_and_saveexec_b64 s[12:13], s[2:3]
; %bb.832:
	v_lshlrev_b32_e32 v26, 3, v12
	v_lshl_or_b32 v26, v13, 9, v26
	ds_write_b64 v26, v[10:11] offset:9344
; %bb.833:
	s_or_b64 exec, exec, s[12:13]
	s_waitcnt lgkmcnt(0)
	s_barrier
	s_barrier
	s_and_saveexec_b64 s[12:13], s[34:35]
	s_cbranch_execz .LBB27_835
; %bb.834:
	v_lshlrev_b32_e32 v26, 3, v0
	s_movk_i32 s14, 0x1f8
	v_mad_u32_u24 v27, v0, s14, v26
	ds_read_b64 v[10:11], v27 offset:9344
	s_waitcnt lgkmcnt(0)
	ds_write_b64 v26, v[10:11] offset:8336
	ds_read_b64 v[10:11], v27 offset:9352
	s_waitcnt lgkmcnt(0)
	ds_write_b64 v26, v[10:11] offset:8848
.LBB27_835:
	s_or_b64 exec, exec, s[12:13]
	s_waitcnt lgkmcnt(0)
	s_barrier
	s_and_saveexec_b64 s[12:13], vcc
	s_cbranch_execz .LBB27_837
; %bb.836:
	v_mov_b32_e32 v26, 0
	ds_read_b64 v[28:29], v26 offset:8832
	v_mov_b32_e32 v27, 0x3ff00000
	ds_write_b64 v26, v[26:27] offset:8840
	s_waitcnt lgkmcnt(1)
	ds_write_b128 v26, v[26:29] offset:8320
.LBB27_837:
	s_or_b64 exec, exec, s[12:13]
	v_mov_b32_e32 v10, 0
	v_mov_b32_e32 v11, 0
	s_waitcnt lgkmcnt(0)
	s_barrier
	buffer_wbinvl1_vol
	s_and_saveexec_b64 s[14:15], s[10:11]
	s_cbranch_execz .LBB27_865
; %bb.838:
	v_lshlrev_b32_e32 v27, 3, v23
	v_lshlrev_b32_e32 v26, 9, v24
	ds_read_b64 v[10:11], v27 offset:8192
	ds_read_b64 v[28:29], v26 offset:8320
	s_movk_i32 s12, 0xf0
	v_cmp_gt_u32_e64 s[12:13], s12, v15
	s_waitcnt lgkmcnt(0)
	v_fma_f64 v[10:11], v[10:11], v[28:29], 0
	s_and_saveexec_b64 s[16:17], s[12:13]
	s_cbranch_execz .LBB27_840
; %bb.839:
	ds_read_b64 v[28:29], v27 offset:8704
	ds_read_b64 v[30:31], v26 offset:8328
	s_waitcnt lgkmcnt(0)
	v_fma_f64 v[10:11], v[28:29], v[30:31], v[10:11]
.LBB27_840:
	s_or_b64 exec, exec, s[16:17]
	s_movk_i32 s12, 0xe0
	v_cmp_gt_u32_e64 s[12:13], s12, v15
	s_and_saveexec_b64 s[16:17], s[12:13]
	s_cbranch_execz .LBB27_842
; %bb.841:
	ds_read_b64 v[28:29], v27 offset:9216
	ds_read_b64 v[30:31], v26 offset:8336
	s_waitcnt lgkmcnt(0)
	v_fma_f64 v[10:11], v[28:29], v[30:31], v[10:11]
.LBB27_842:
	s_or_b64 exec, exec, s[16:17]
	s_movk_i32 s12, 0xd0
	v_cmp_gt_u32_e64 s[12:13], s12, v15
	;; [unrolled: 11-line block ×10, first 2 shown]
	s_and_saveexec_b64 s[16:17], s[12:13]
	s_cbranch_execnz .LBB27_1208
; %bb.859:
	s_or_b64 exec, exec, s[16:17]
	s_and_saveexec_b64 s[12:13], s[8:9]
	s_cbranch_execnz .LBB27_1209
.LBB27_860:
	s_or_b64 exec, exec, s[12:13]
	v_cmp_gt_u32_e64 s[12:13], 48, v15
	s_and_saveexec_b64 s[16:17], s[12:13]
	s_cbranch_execnz .LBB27_1210
.LBB27_861:
	s_or_b64 exec, exec, s[16:17]
	v_cmp_gt_u32_e64 s[12:13], 32, v15
	s_and_saveexec_b64 s[16:17], s[12:13]
	s_cbranch_execnz .LBB27_1211
.LBB27_862:
	s_or_b64 exec, exec, s[16:17]
	v_cmp_gt_u32_e64 s[12:13], 16, v15
	s_and_saveexec_b64 s[16:17], s[12:13]
	s_cbranch_execz .LBB27_864
.LBB27_863:
	v_lshlrev_b32_e32 v26, 3, v0
	v_mov_b32_e32 v28, 0
	ds_read_b64 v[26:27], v26 offset:15872
	ds_read_b64 v[28:29], v28 offset:16120
	s_waitcnt lgkmcnt(0)
	v_fma_f64 v[10:11], v[26:27], v[28:29], v[10:11]
.LBB27_864:
	s_or_b64 exec, exec, s[16:17]
.LBB27_865:
	s_or_b64 exec, exec, s[14:15]
	s_mov_b64 s[12:13], exec
	v_readlane_b32 s14, v35, 4
	v_readlane_b32 s15, v35, 5
	s_and_b64 s[14:15], s[12:13], s[14:15]
	s_mov_b64 exec, s[14:15]
; %bb.866:
	v_xor_b32_e32 v27, 0x80000000, v11
	v_mov_b32_e32 v26, v10
	ds_write_b64 v25, v[26:27]
; %bb.867:
	s_or_b64 exec, exec, s[12:13]
	s_waitcnt lgkmcnt(0)
	s_barrier
	s_mov_b64 s[12:13], exec
	v_readlane_b32 s14, v35, 6
	v_readlane_b32 s15, v35, 7
	s_and_b64 s[14:15], s[12:13], s[14:15]
	s_mov_b64 exec, s[14:15]
	s_cbranch_execz .LBB27_869
; %bb.868:
	v_lshlrev_b32_e32 v26, 3, v23
	ds_read_b64 v[26:27], v26 offset:7680
	ds_read_b64 v[28:29], v25
	s_waitcnt lgkmcnt(0)
	v_fma_f64 v[10:11], -v[26:27], v[28:29], v[10:11]
.LBB27_869:
	s_or_b64 exec, exec, s[12:13]
	s_barrier
	s_mov_b64 s[12:13], exec
	v_readlane_b32 s14, v35, 8
	v_readlane_b32 s15, v35, 9
	s_and_b64 s[14:15], s[12:13], s[14:15]
	s_mov_b64 exec, s[14:15]
; %bb.870:
	v_xor_b32_e32 v27, 0x80000000, v11
	v_mov_b32_e32 v26, v10
	ds_write_b64 v25, v[26:27]
; %bb.871:
	s_or_b64 exec, exec, s[12:13]
	s_waitcnt lgkmcnt(0)
	s_barrier
	s_mov_b64 s[12:13], exec
	v_readlane_b32 s14, v35, 10
	v_readlane_b32 s15, v35, 11
	s_and_b64 s[14:15], s[12:13], s[14:15]
	s_mov_b64 exec, s[14:15]
	s_cbranch_execz .LBB27_873
; %bb.872:
	v_lshlrev_b32_e32 v26, 3, v23
	ds_read_b64 v[26:27], v26 offset:7168
	ds_read_b64 v[28:29], v25
	s_waitcnt lgkmcnt(0)
	v_fma_f64 v[10:11], -v[26:27], v[28:29], v[10:11]
.LBB27_873:
	s_or_b64 exec, exec, s[12:13]
	s_barrier
	;; [unrolled: 28-line block ×13, first 2 shown]
	s_mov_b64 s[12:13], exec
	v_readlane_b32 s14, v35, 56
	v_readlane_b32 s15, v35, 57
	s_and_b64 s[14:15], s[12:13], s[14:15]
	s_mov_b64 exec, s[14:15]
; %bb.918:
	v_xor_b32_e32 v27, 0x80000000, v11
	v_mov_b32_e32 v26, v10
	ds_write_b64 v25, v[26:27]
; %bb.919:
	s_or_b64 exec, exec, s[12:13]
	s_waitcnt lgkmcnt(0)
	s_barrier
	s_and_saveexec_b64 s[12:13], s[0:1]
	s_cbranch_execz .LBB27_921
; %bb.920:
	v_lshlrev_b32_e32 v26, 3, v23
	ds_read_b64 v[26:27], v26 offset:1024
	ds_read_b64 v[28:29], v25
	s_waitcnt lgkmcnt(0)
	v_fma_f64 v[10:11], -v[26:27], v[28:29], v[10:11]
.LBB27_921:
	s_or_b64 exec, exec, s[12:13]
	s_barrier
	s_mov_b64 s[0:1], exec
	v_readlane_b32 s12, v35, 58
	v_readlane_b32 s13, v35, 59
	s_and_b64 s[12:13], s[0:1], s[12:13]
	s_mov_b64 exec, s[12:13]
; %bb.922:
	v_xor_b32_e32 v27, 0x80000000, v11
	v_mov_b32_e32 v26, v10
	ds_write_b64 v25, v[26:27]
; %bb.923:
	s_or_b64 exec, exec, s[0:1]
	s_waitcnt lgkmcnt(0)
	s_barrier
	s_and_saveexec_b64 s[0:1], s[94:95]
	s_cbranch_execz .LBB27_925
; %bb.924:
	v_mov_b32_e32 v26, 0
	ds_read_b64 v[26:27], v26 offset:512
	ds_read_b64 v[28:29], v25
	s_waitcnt lgkmcnt(0)
	v_fma_f64 v[10:11], -v[26:27], v[28:29], v[10:11]
.LBB27_925:
	s_or_b64 exec, exec, s[0:1]
	s_barrier
	s_and_saveexec_b64 s[0:1], s[94:95]
; %bb.926:
	v_xor_b32_e32 v27, 0x80000000, v11
	v_mov_b32_e32 v26, v10
	ds_write_b64 v25, v[26:27]
; %bb.927:
	s_or_b64 exec, exec, s[0:1]
	s_waitcnt lgkmcnt(0)
	s_barrier
	s_barrier
	s_and_saveexec_b64 s[0:1], s[10:11]
; %bb.928:
	v_lshlrev_b32_e32 v23, 3, v23
	v_lshl_or_b32 v23, v24, 9, v23
	ds_write_b64 v23, v[10:11] offset:8192
; %bb.929:
	s_or_b64 exec, exec, s[0:1]
	s_waitcnt lgkmcnt(0)
	s_barrier
	s_barrier
	s_and_saveexec_b64 s[0:1], s[90:91]
	s_cbranch_execz .LBB27_931
; %bb.930:
	v_lshlrev_b32_e32 v23, 9, v0
	ds_read_b64 v[10:11], v23 offset:8192
	s_movk_i32 s10, 0xfe08
	v_mad_i32_i24 v24, v0, s10, v23
	s_waitcnt lgkmcnt(0)
	ds_write_b64 v24, v[10:11] offset:128
	ds_read_b64 v[10:11], v23 offset:8200
	s_waitcnt lgkmcnt(0)
	ds_write_b64 v24, v[10:11] offset:640
	ds_read_b64 v[10:11], v23 offset:8208
	;; [unrolled: 3-line block ×15, first 2 shown]
	s_waitcnt lgkmcnt(0)
	ds_write_b64 v24, v[10:11] offset:7808
.LBB27_931:
	s_or_b64 exec, exec, s[0:1]
	s_waitcnt lgkmcnt(0)
	s_barrier
	s_and_saveexec_b64 s[0:1], vcc
	s_cbranch_execz .LBB27_933
; %bb.932:
	v_mov_b32_e32 v23, 0
	ds_read_b64 v[25:26], v23 offset:7792
	v_mov_b32_e32 v24, 0x3ff00000
	ds_write_b64 v23, v[23:24] offset:7800
	s_waitcnt lgkmcnt(1)
	ds_write_b128 v23, v[23:26] offset:7280
.LBB27_933:
	s_or_b64 exec, exec, s[0:1]
	v_mov_b32_e32 v10, 0
	v_mov_b32_e32 v11, 0
	s_waitcnt lgkmcnt(0)
	s_barrier
	buffer_wbinvl1_vol
	s_and_saveexec_b64 s[0:1], s[2:3]
	s_cbranch_execz .LBB27_937
; %bb.934:
	v_lshlrev_b32_e32 v23, 9, v13
	v_lshlrev_b32_e32 v10, 3, v12
	ds_read_b64 v[10:11], v10 offset:7264
	ds_read_b64 v[23:24], v23 offset:7280
	v_cmp_gt_u32_e64 s[10:11], 2, v15
	s_waitcnt lgkmcnt(0)
	v_fma_f64 v[10:11], v[10:11], v[23:24], 0
	s_and_saveexec_b64 s[12:13], s[10:11]
	s_cbranch_execz .LBB27_936
; %bb.935:
	v_lshlrev_b32_e32 v23, 3, v0
	v_mov_b32_e32 v25, 0
	ds_read_b64 v[23:24], v23 offset:7776
	ds_read_b64 v[25:26], v25 offset:7800
	s_waitcnt lgkmcnt(0)
	v_fma_f64 v[10:11], v[23:24], v[25:26], v[10:11]
.LBB27_936:
	s_or_b64 exec, exec, s[12:13]
.LBB27_937:
	s_or_b64 exec, exec, s[0:1]
	s_and_saveexec_b64 s[0:1], s[30:31]
; %bb.938:
	v_xor_b32_e32 v24, 0x80000000, v11
	v_mov_b32_e32 v23, v10
	ds_write_b64 v14, v[23:24]
; %bb.939:
	s_or_b64 exec, exec, s[0:1]
	s_waitcnt lgkmcnt(0)
	s_barrier
	s_and_saveexec_b64 s[0:1], s[28:29]
	s_cbranch_execz .LBB27_941
; %bb.940:
	v_mov_b32_e32 v23, 0
	ds_read_b64 v[23:24], v23 offset:6752
	ds_read_b64 v[25:26], v14
	s_waitcnt lgkmcnt(0)
	v_fma_f64 v[10:11], -v[23:24], v[25:26], v[10:11]
.LBB27_941:
	s_or_b64 exec, exec, s[0:1]
	s_barrier
	s_and_saveexec_b64 s[0:1], s[28:29]
; %bb.942:
	v_xor_b32_e32 v24, 0x80000000, v11
	v_mov_b32_e32 v23, v10
	ds_write_b64 v14, v[23:24]
; %bb.943:
	s_or_b64 exec, exec, s[0:1]
	s_waitcnt lgkmcnt(0)
	s_barrier
	s_barrier
	s_and_saveexec_b64 s[0:1], s[2:3]
; %bb.944:
	v_lshlrev_b32_e32 v23, 3, v12
	v_lshl_or_b32 v23, v13, 9, v23
	ds_write_b64 v23, v[10:11] offset:7264
; %bb.945:
	s_or_b64 exec, exec, s[0:1]
	s_waitcnt lgkmcnt(0)
	s_barrier
	s_barrier
	s_and_saveexec_b64 s[0:1], s[34:35]
	s_cbranch_execz .LBB27_947
; %bb.946:
	v_lshlrev_b32_e32 v23, 3, v0
	s_movk_i32 s10, 0x1f8
	v_mad_u32_u24 v24, v0, s10, v23
	ds_read_b64 v[10:11], v24 offset:7264
	s_waitcnt lgkmcnt(0)
	ds_write_b64 v23, v[10:11] offset:6256
	ds_read_b64 v[10:11], v24 offset:7272
	s_waitcnt lgkmcnt(0)
	ds_write_b64 v23, v[10:11] offset:6768
.LBB27_947:
	s_or_b64 exec, exec, s[0:1]
	s_waitcnt lgkmcnt(0)
	s_barrier
	s_and_saveexec_b64 s[0:1], vcc
	s_cbranch_execz .LBB27_949
; %bb.948:
	v_mov_b32_e32 v23, 0
	ds_read_b64 v[25:26], v23 offset:6752
	v_mov_b32_e32 v24, 0x3ff00000
	ds_write_b64 v23, v[23:24] offset:6760
	s_waitcnt lgkmcnt(1)
	ds_write_b128 v23, v[23:26] offset:6240
.LBB27_949:
	s_or_b64 exec, exec, s[0:1]
	v_mov_b32_e32 v10, 0
	v_mov_b32_e32 v11, 0
	s_waitcnt lgkmcnt(0)
	s_barrier
	buffer_wbinvl1_vol
	s_and_saveexec_b64 s[0:1], s[18:19]
	s_cbranch_execz .LBB27_955
; %bb.950:
	v_lshlrev_b32_e32 v24, 3, v16
	v_lshlrev_b32_e32 v23, 9, v17
	ds_read_b64 v[10:11], v24 offset:6208
	ds_read_b64 v[25:26], v23 offset:6240
	v_cmp_gt_u32_e64 s[10:11], 12, v15
	s_waitcnt lgkmcnt(0)
	v_fma_f64 v[10:11], v[10:11], v[25:26], 0
	s_and_saveexec_b64 s[12:13], s[10:11]
	s_cbranch_execnz .LBB27_1212
; %bb.951:
	s_or_b64 exec, exec, s[12:13]
	v_cmp_gt_u32_e64 s[10:11], 8, v15
	s_and_saveexec_b64 s[12:13], s[10:11]
	s_cbranch_execnz .LBB27_1213
.LBB27_952:
	s_or_b64 exec, exec, s[12:13]
	v_cmp_gt_u32_e64 s[10:11], 4, v15
	s_and_saveexec_b64 s[12:13], s[10:11]
	s_cbranch_execz .LBB27_954
.LBB27_953:
	v_lshlrev_b32_e32 v23, 3, v0
	v_mov_b32_e32 v25, 0
	ds_read_b64 v[23:24], v23 offset:7744
	ds_read_b64 v[25:26], v25 offset:7800
	s_waitcnt lgkmcnt(0)
	v_fma_f64 v[10:11], v[23:24], v[25:26], v[10:11]
.LBB27_954:
	s_or_b64 exec, exec, s[12:13]
.LBB27_955:
	s_or_b64 exec, exec, s[0:1]
	s_and_saveexec_b64 s[0:1], s[38:39]
; %bb.956:
	v_xor_b32_e32 v24, 0x80000000, v11
	v_mov_b32_e32 v23, v10
	ds_write_b64 v19, v[23:24]
; %bb.957:
	s_or_b64 exec, exec, s[0:1]
	s_waitcnt lgkmcnt(0)
	s_barrier
	s_and_saveexec_b64 s[0:1], s[42:43]
	s_cbranch_execz .LBB27_959
; %bb.958:
	v_lshlrev_b32_e32 v23, 3, v16
	ds_read_b64 v[23:24], v23 offset:5696
	ds_read_b64 v[25:26], v19
	s_waitcnt lgkmcnt(0)
	v_fma_f64 v[10:11], -v[23:24], v[25:26], v[10:11]
.LBB27_959:
	s_or_b64 exec, exec, s[0:1]
	s_barrier
	s_and_saveexec_b64 s[0:1], s[44:45]
; %bb.960:
	v_xor_b32_e32 v24, 0x80000000, v11
	v_mov_b32_e32 v23, v10
	ds_write_b64 v19, v[23:24]
; %bb.961:
	s_or_b64 exec, exec, s[0:1]
	s_waitcnt lgkmcnt(0)
	s_barrier
	s_and_saveexec_b64 s[0:1], s[52:53]
	s_cbranch_execz .LBB27_963
; %bb.962:
	v_lshlrev_b32_e32 v23, 3, v16
	ds_read_b64 v[23:24], v23 offset:5184
	ds_read_b64 v[25:26], v19
	s_waitcnt lgkmcnt(0)
	v_fma_f64 v[10:11], -v[23:24], v[25:26], v[10:11]
.LBB27_963:
	s_or_b64 exec, exec, s[0:1]
	s_barrier
	s_and_saveexec_b64 s[0:1], s[54:55]
; %bb.964:
	v_xor_b32_e32 v24, 0x80000000, v11
	v_mov_b32_e32 v23, v10
	ds_write_b64 v19, v[23:24]
; %bb.965:
	s_or_b64 exec, exec, s[0:1]
	s_waitcnt lgkmcnt(0)
	s_barrier
	s_and_saveexec_b64 s[0:1], s[36:37]
	s_cbranch_execz .LBB27_967
; %bb.966:
	v_mov_b32_e32 v23, 0
	ds_read_b64 v[23:24], v23 offset:4672
	ds_read_b64 v[25:26], v19
	s_waitcnt lgkmcnt(0)
	v_fma_f64 v[10:11], -v[23:24], v[25:26], v[10:11]
.LBB27_967:
	s_or_b64 exec, exec, s[0:1]
	s_barrier
	s_and_saveexec_b64 s[0:1], s[36:37]
; %bb.968:
	v_xor_b32_e32 v24, 0x80000000, v11
	v_mov_b32_e32 v23, v10
	ds_write_b64 v19, v[23:24]
; %bb.969:
	s_or_b64 exec, exec, s[0:1]
	s_waitcnt lgkmcnt(0)
	s_barrier
	s_barrier
	s_and_saveexec_b64 s[0:1], s[18:19]
; %bb.970:
	v_lshlrev_b32_e32 v23, 3, v16
	v_lshl_or_b32 v23, v17, 9, v23
	ds_write_b64 v23, v[10:11] offset:6208
; %bb.971:
	s_or_b64 exec, exec, s[0:1]
	s_waitcnt lgkmcnt(0)
	s_barrier
	s_barrier
	s_and_saveexec_b64 s[0:1], s[56:57]
	s_cbranch_execz .LBB27_973
; %bb.972:
	v_lshlrev_b32_e32 v23, 9, v0
	ds_read_b64 v[10:11], v23 offset:6208
	s_movk_i32 s10, 0xfe08
	v_mad_i32_i24 v24, v0, s10, v23
	s_waitcnt lgkmcnt(0)
	ds_write_b64 v24, v[10:11] offset:4192
	ds_read_b64 v[10:11], v23 offset:6216
	s_waitcnt lgkmcnt(0)
	ds_write_b64 v24, v[10:11] offset:4704
	ds_read_b64 v[10:11], v23 offset:6224
	s_waitcnt lgkmcnt(0)
	ds_write_b64 v24, v[10:11] offset:5216
	ds_read_b64 v[10:11], v23 offset:6232
	s_waitcnt lgkmcnt(0)
	ds_write_b64 v24, v[10:11] offset:5728
.LBB27_973:
	s_or_b64 exec, exec, s[0:1]
	s_waitcnt lgkmcnt(0)
	s_barrier
	s_and_saveexec_b64 s[0:1], vcc
	s_cbranch_execz .LBB27_975
; %bb.974:
	v_mov_b32_e32 v23, 0
	ds_read_b64 v[25:26], v23 offset:5712
	v_mov_b32_e32 v24, 0x3ff00000
	ds_write_b64 v23, v[23:24] offset:5720
	s_waitcnt lgkmcnt(1)
	ds_write_b128 v23, v[23:26] offset:5200
.LBB27_975:
	s_or_b64 exec, exec, s[0:1]
	v_mov_b32_e32 v10, 0
	v_mov_b32_e32 v11, 0
	s_waitcnt lgkmcnt(0)
	s_barrier
	buffer_wbinvl1_vol
	s_and_saveexec_b64 s[0:1], s[2:3]
	s_cbranch_execz .LBB27_979
; %bb.976:
	v_lshlrev_b32_e32 v23, 9, v13
	v_lshlrev_b32_e32 v10, 3, v12
	ds_read_b64 v[10:11], v10 offset:5184
	ds_read_b64 v[23:24], v23 offset:5200
	v_cmp_gt_u32_e64 s[10:11], 2, v15
	s_waitcnt lgkmcnt(0)
	v_fma_f64 v[10:11], v[10:11], v[23:24], 0
	s_and_saveexec_b64 s[12:13], s[10:11]
	s_cbranch_execz .LBB27_978
; %bb.977:
	v_lshlrev_b32_e32 v23, 3, v0
	v_mov_b32_e32 v25, 0
	ds_read_b64 v[23:24], v23 offset:5696
	ds_read_b64 v[25:26], v25 offset:5720
	s_waitcnt lgkmcnt(0)
	v_fma_f64 v[10:11], v[23:24], v[25:26], v[10:11]
.LBB27_978:
	s_or_b64 exec, exec, s[12:13]
.LBB27_979:
	s_or_b64 exec, exec, s[0:1]
	s_and_saveexec_b64 s[0:1], s[30:31]
; %bb.980:
	v_xor_b32_e32 v24, 0x80000000, v11
	v_mov_b32_e32 v23, v10
	ds_write_b64 v14, v[23:24]
; %bb.981:
	s_or_b64 exec, exec, s[0:1]
	s_waitcnt lgkmcnt(0)
	s_barrier
	s_and_saveexec_b64 s[0:1], s[28:29]
	s_cbranch_execz .LBB27_983
; %bb.982:
	v_mov_b32_e32 v23, 0
	ds_read_b64 v[23:24], v23 offset:4672
	ds_read_b64 v[25:26], v14
	s_waitcnt lgkmcnt(0)
	v_fma_f64 v[10:11], -v[23:24], v[25:26], v[10:11]
.LBB27_983:
	s_or_b64 exec, exec, s[0:1]
	s_barrier
	s_and_saveexec_b64 s[0:1], s[28:29]
; %bb.984:
	v_xor_b32_e32 v24, 0x80000000, v11
	v_mov_b32_e32 v23, v10
	ds_write_b64 v14, v[23:24]
; %bb.985:
	s_or_b64 exec, exec, s[0:1]
	s_waitcnt lgkmcnt(0)
	s_barrier
	s_barrier
	s_and_saveexec_b64 s[0:1], s[2:3]
; %bb.986:
	v_lshlrev_b32_e32 v23, 3, v12
	v_lshl_or_b32 v23, v13, 9, v23
	ds_write_b64 v23, v[10:11] offset:5184
; %bb.987:
	s_or_b64 exec, exec, s[0:1]
	s_waitcnt lgkmcnt(0)
	s_barrier
	s_barrier
	s_and_saveexec_b64 s[0:1], s[34:35]
	s_cbranch_execz .LBB27_989
; %bb.988:
	v_lshlrev_b32_e32 v23, 3, v0
	s_movk_i32 s10, 0x1f8
	v_mad_u32_u24 v24, v0, s10, v23
	ds_read_b64 v[10:11], v24 offset:5184
	s_waitcnt lgkmcnt(0)
	ds_write_b64 v23, v[10:11] offset:4176
	ds_read_b64 v[10:11], v24 offset:5192
	s_waitcnt lgkmcnt(0)
	ds_write_b64 v23, v[10:11] offset:4688
.LBB27_989:
	s_or_b64 exec, exec, s[0:1]
	s_waitcnt lgkmcnt(0)
	s_barrier
	s_and_saveexec_b64 s[0:1], vcc
	s_cbranch_execz .LBB27_991
; %bb.990:
	v_mov_b32_e32 v23, 0
	ds_read_b64 v[25:26], v23 offset:4672
	v_mov_b32_e32 v24, 0x3ff00000
	ds_write_b64 v23, v[23:24] offset:4680
	s_waitcnt lgkmcnt(1)
	ds_write_b128 v23, v[23:26] offset:4160
.LBB27_991:
	s_or_b64 exec, exec, s[0:1]
	v_mov_b32_e32 v10, 0
	v_mov_b32_e32 v11, 0
	s_waitcnt lgkmcnt(0)
	s_barrier
	buffer_wbinvl1_vol
	s_and_saveexec_b64 s[0:1], s[8:9]
	s_cbranch_execz .LBB27_1001
; %bb.992:
	v_lshlrev_b32_e32 v24, 3, v20
	v_lshlrev_b32_e32 v23, 9, v21
	ds_read_b64 v[10:11], v24 offset:4096
	ds_read_b64 v[25:26], v23 offset:4160
	v_cmp_gt_u32_e64 s[10:11], 56, v15
	s_waitcnt lgkmcnt(0)
	v_fma_f64 v[10:11], v[10:11], v[25:26], 0
	s_and_saveexec_b64 s[12:13], s[10:11]
	s_cbranch_execnz .LBB27_1214
; %bb.993:
	s_or_b64 exec, exec, s[12:13]
	v_cmp_gt_u32_e64 s[10:11], 48, v15
	s_and_saveexec_b64 s[12:13], s[10:11]
	s_cbranch_execnz .LBB27_1215
.LBB27_994:
	s_or_b64 exec, exec, s[12:13]
	v_cmp_gt_u32_e64 s[10:11], 40, v15
	s_and_saveexec_b64 s[12:13], s[10:11]
	s_cbranch_execnz .LBB27_1216
.LBB27_995:
	s_or_b64 exec, exec, s[12:13]
	v_cmp_gt_u32_e64 s[10:11], 32, v15
	s_and_saveexec_b64 s[12:13], s[10:11]
	s_cbranch_execnz .LBB27_1217
.LBB27_996:
	s_or_b64 exec, exec, s[12:13]
	v_cmp_gt_u32_e64 s[10:11], 24, v15
	s_and_saveexec_b64 s[12:13], s[10:11]
	s_cbranch_execnz .LBB27_1218
.LBB27_997:
	s_or_b64 exec, exec, s[12:13]
	s_and_saveexec_b64 s[10:11], s[18:19]
	s_cbranch_execnz .LBB27_1219
.LBB27_998:
	s_or_b64 exec, exec, s[10:11]
	v_cmp_gt_u32_e64 s[10:11], 8, v15
	s_and_saveexec_b64 s[12:13], s[10:11]
	s_cbranch_execz .LBB27_1000
.LBB27_999:
	v_lshlrev_b32_e32 v23, 3, v0
	v_mov_b32_e32 v25, 0
	ds_read_b64 v[23:24], v23 offset:7680
	ds_read_b64 v[25:26], v25 offset:7800
	s_waitcnt lgkmcnt(0)
	v_fma_f64 v[10:11], v[23:24], v[25:26], v[10:11]
.LBB27_1000:
	s_or_b64 exec, exec, s[12:13]
.LBB27_1001:
	s_or_b64 exec, exec, s[0:1]
	s_and_saveexec_b64 s[0:1], s[58:59]
; %bb.1002:
	v_xor_b32_e32 v24, 0x80000000, v11
	v_mov_b32_e32 v23, v10
	ds_write_b64 v22, v[23:24]
; %bb.1003:
	s_or_b64 exec, exec, s[0:1]
	s_waitcnt lgkmcnt(0)
	s_barrier
	s_and_saveexec_b64 s[0:1], s[60:61]
	v_readlane_b32 s58, v35, 2
	v_readlane_b32 s59, v35, 3
	s_cbranch_execz .LBB27_1005
; %bb.1004:
	v_lshlrev_b32_e32 v23, 3, v20
	ds_read_b64 v[23:24], v23 offset:3584
	ds_read_b64 v[25:26], v22
	s_waitcnt lgkmcnt(0)
	v_fma_f64 v[10:11], -v[23:24], v[25:26], v[10:11]
.LBB27_1005:
	s_or_b64 exec, exec, s[0:1]
	s_barrier
	s_and_saveexec_b64 s[0:1], s[62:63]
; %bb.1006:
	v_xor_b32_e32 v24, 0x80000000, v11
	v_mov_b32_e32 v23, v10
	ds_write_b64 v22, v[23:24]
; %bb.1007:
	s_or_b64 exec, exec, s[0:1]
	s_waitcnt lgkmcnt(0)
	s_barrier
	s_and_saveexec_b64 s[0:1], s[64:65]
	s_cbranch_execz .LBB27_1009
; %bb.1008:
	v_lshlrev_b32_e32 v23, 3, v20
	ds_read_b64 v[23:24], v23 offset:3072
	ds_read_b64 v[25:26], v22
	s_waitcnt lgkmcnt(0)
	v_fma_f64 v[10:11], -v[23:24], v[25:26], v[10:11]
.LBB27_1009:
	s_or_b64 exec, exec, s[0:1]
	s_barrier
	s_and_saveexec_b64 s[0:1], s[66:67]
; %bb.1010:
	v_xor_b32_e32 v24, 0x80000000, v11
	v_mov_b32_e32 v23, v10
	ds_write_b64 v22, v[23:24]
; %bb.1011:
	s_or_b64 exec, exec, s[0:1]
	s_waitcnt lgkmcnt(0)
	s_barrier
	s_and_saveexec_b64 s[0:1], s[70:71]
	;; [unrolled: 20-line block ×6, first 2 shown]
	s_cbranch_execz .LBB27_1029
; %bb.1028:
	v_mov_b32_e32 v23, 0
	ds_read_b64 v[23:24], v23 offset:512
	ds_read_b64 v[25:26], v22
	s_waitcnt lgkmcnt(0)
	v_fma_f64 v[10:11], -v[23:24], v[25:26], v[10:11]
.LBB27_1029:
	s_or_b64 exec, exec, s[0:1]
	s_barrier
	s_and_saveexec_b64 s[0:1], s[68:69]
; %bb.1030:
	v_xor_b32_e32 v24, 0x80000000, v11
	v_mov_b32_e32 v23, v10
	ds_write_b64 v22, v[23:24]
; %bb.1031:
	s_or_b64 exec, exec, s[0:1]
	s_waitcnt lgkmcnt(0)
	s_barrier
	s_barrier
	s_and_saveexec_b64 s[0:1], s[8:9]
; %bb.1032:
	v_lshlrev_b32_e32 v20, 3, v20
	v_lshl_or_b32 v20, v21, 9, v20
	ds_write_b64 v20, v[10:11] offset:4096
; %bb.1033:
	s_or_b64 exec, exec, s[0:1]
	s_waitcnt lgkmcnt(0)
	s_barrier
	s_barrier
	s_and_saveexec_b64 s[0:1], s[86:87]
	s_cbranch_execz .LBB27_1035
; %bb.1034:
	v_lshlrev_b32_e32 v20, 9, v0
	ds_read_b64 v[10:11], v20 offset:4096
	s_movk_i32 s8, 0xfe08
	v_mad_i32_i24 v21, v0, s8, v20
	s_waitcnt lgkmcnt(0)
	ds_write_b64 v21, v[10:11] offset:64
	ds_read_b64 v[10:11], v20 offset:4104
	s_waitcnt lgkmcnt(0)
	ds_write_b64 v21, v[10:11] offset:576
	ds_read_b64 v[10:11], v20 offset:4112
	;; [unrolled: 3-line block ×7, first 2 shown]
	s_waitcnt lgkmcnt(0)
	ds_write_b64 v21, v[10:11] offset:3648
.LBB27_1035:
	s_or_b64 exec, exec, s[0:1]
	s_waitcnt lgkmcnt(0)
	s_barrier
	s_and_saveexec_b64 s[0:1], vcc
	s_cbranch_execz .LBB27_1037
; %bb.1036:
	v_mov_b32_e32 v20, 0
	ds_read_b64 v[22:23], v20 offset:3632
	v_mov_b32_e32 v21, 0x3ff00000
	ds_write_b64 v20, v[20:21] offset:3640
	s_waitcnt lgkmcnt(1)
	ds_write_b128 v20, v[20:23] offset:3120
.LBB27_1037:
	s_or_b64 exec, exec, s[0:1]
	v_mov_b32_e32 v10, 0
	v_mov_b32_e32 v11, 0
	s_waitcnt lgkmcnt(0)
	s_barrier
	buffer_wbinvl1_vol
	s_and_saveexec_b64 s[0:1], s[2:3]
	s_cbranch_execz .LBB27_1041
; %bb.1038:
	v_lshlrev_b32_e32 v20, 9, v13
	v_lshlrev_b32_e32 v10, 3, v12
	ds_read_b64 v[10:11], v10 offset:3104
	ds_read_b64 v[20:21], v20 offset:3120
	v_cmp_gt_u32_e64 s[8:9], 2, v15
	s_waitcnt lgkmcnt(0)
	v_fma_f64 v[10:11], v[10:11], v[20:21], 0
	s_and_saveexec_b64 s[10:11], s[8:9]
	s_cbranch_execz .LBB27_1040
; %bb.1039:
	v_lshlrev_b32_e32 v20, 3, v0
	v_mov_b32_e32 v22, 0
	ds_read_b64 v[20:21], v20 offset:3616
	ds_read_b64 v[22:23], v22 offset:3640
	s_waitcnt lgkmcnt(0)
	v_fma_f64 v[10:11], v[20:21], v[22:23], v[10:11]
.LBB27_1040:
	s_or_b64 exec, exec, s[10:11]
.LBB27_1041:
	s_or_b64 exec, exec, s[0:1]
	s_and_saveexec_b64 s[0:1], s[30:31]
; %bb.1042:
	v_xor_b32_e32 v21, 0x80000000, v11
	v_mov_b32_e32 v20, v10
	ds_write_b64 v14, v[20:21]
; %bb.1043:
	s_or_b64 exec, exec, s[0:1]
	s_waitcnt lgkmcnt(0)
	s_barrier
	s_and_saveexec_b64 s[0:1], s[28:29]
	s_cbranch_execz .LBB27_1045
; %bb.1044:
	v_mov_b32_e32 v20, 0
	ds_read_b64 v[20:21], v20 offset:2592
	ds_read_b64 v[22:23], v14
	s_waitcnt lgkmcnt(0)
	v_fma_f64 v[10:11], -v[20:21], v[22:23], v[10:11]
.LBB27_1045:
	s_or_b64 exec, exec, s[0:1]
	s_barrier
	s_and_saveexec_b64 s[0:1], s[28:29]
; %bb.1046:
	v_xor_b32_e32 v21, 0x80000000, v11
	v_mov_b32_e32 v20, v10
	ds_write_b64 v14, v[20:21]
; %bb.1047:
	s_or_b64 exec, exec, s[0:1]
	s_waitcnt lgkmcnt(0)
	s_barrier
	s_barrier
	s_and_saveexec_b64 s[0:1], s[2:3]
; %bb.1048:
	v_lshlrev_b32_e32 v20, 3, v12
	v_lshl_or_b32 v20, v13, 9, v20
	ds_write_b64 v20, v[10:11] offset:3104
; %bb.1049:
	s_or_b64 exec, exec, s[0:1]
	s_waitcnt lgkmcnt(0)
	s_barrier
	s_barrier
	s_and_saveexec_b64 s[0:1], s[34:35]
	s_cbranch_execz .LBB27_1051
; %bb.1050:
	v_lshlrev_b32_e32 v20, 3, v0
	s_movk_i32 s8, 0x1f8
	v_mad_u32_u24 v21, v0, s8, v20
	ds_read_b64 v[10:11], v21 offset:3104
	s_waitcnt lgkmcnt(0)
	ds_write_b64 v20, v[10:11] offset:2096
	ds_read_b64 v[10:11], v21 offset:3112
	s_waitcnt lgkmcnt(0)
	ds_write_b64 v20, v[10:11] offset:2608
.LBB27_1051:
	s_or_b64 exec, exec, s[0:1]
	s_waitcnt lgkmcnt(0)
	s_barrier
	s_and_saveexec_b64 s[0:1], vcc
	s_cbranch_execz .LBB27_1053
; %bb.1052:
	v_mov_b32_e32 v20, 0
	ds_read_b64 v[22:23], v20 offset:2592
	v_mov_b32_e32 v21, 0x3ff00000
	ds_write_b64 v20, v[20:21] offset:2600
	s_waitcnt lgkmcnt(1)
	ds_write_b128 v20, v[20:23] offset:2080
.LBB27_1053:
	s_or_b64 exec, exec, s[0:1]
	v_mov_b32_e32 v10, 0
	v_mov_b32_e32 v11, 0
	s_waitcnt lgkmcnt(0)
	s_barrier
	buffer_wbinvl1_vol
	s_and_saveexec_b64 s[0:1], s[18:19]
	s_cbranch_execz .LBB27_1059
; %bb.1054:
	v_lshlrev_b32_e32 v21, 3, v16
	v_lshlrev_b32_e32 v20, 9, v17
	ds_read_b64 v[10:11], v21 offset:2048
	ds_read_b64 v[22:23], v20 offset:2080
	v_cmp_gt_u32_e64 s[8:9], 12, v15
	s_waitcnt lgkmcnt(0)
	v_fma_f64 v[10:11], v[10:11], v[22:23], 0
	s_and_saveexec_b64 s[10:11], s[8:9]
	s_cbranch_execnz .LBB27_1220
; %bb.1055:
	s_or_b64 exec, exec, s[10:11]
	v_cmp_gt_u32_e64 s[8:9], 8, v15
	s_and_saveexec_b64 s[10:11], s[8:9]
	s_cbranch_execnz .LBB27_1221
.LBB27_1056:
	s_or_b64 exec, exec, s[10:11]
	v_cmp_gt_u32_e64 s[8:9], 4, v15
	s_and_saveexec_b64 s[10:11], s[8:9]
	s_cbranch_execz .LBB27_1058
.LBB27_1057:
	v_lshlrev_b32_e32 v20, 3, v0
	v_mov_b32_e32 v22, 0
	ds_read_b64 v[20:21], v20 offset:3584
	ds_read_b64 v[22:23], v22 offset:3640
	s_waitcnt lgkmcnt(0)
	v_fma_f64 v[10:11], v[20:21], v[22:23], v[10:11]
.LBB27_1058:
	s_or_b64 exec, exec, s[10:11]
.LBB27_1059:
	s_or_b64 exec, exec, s[0:1]
	s_and_saveexec_b64 s[0:1], s[38:39]
; %bb.1060:
	v_xor_b32_e32 v21, 0x80000000, v11
	v_mov_b32_e32 v20, v10
	ds_write_b64 v19, v[20:21]
; %bb.1061:
	s_or_b64 exec, exec, s[0:1]
	s_waitcnt lgkmcnt(0)
	s_barrier
	s_and_saveexec_b64 s[0:1], s[42:43]
	s_load_dword s26, s[4:5], 0x6c
	v_readlane_b32 s38, v35, 0
	v_readlane_b32 s39, v35, 1
	s_cbranch_execz .LBB27_1063
; %bb.1062:
	v_lshlrev_b32_e32 v20, 3, v16
	ds_read_b64 v[20:21], v20 offset:1536
	ds_read_b64 v[22:23], v19
	s_waitcnt lgkmcnt(0)
	v_fma_f64 v[10:11], -v[20:21], v[22:23], v[10:11]
.LBB27_1063:
	s_or_b64 exec, exec, s[0:1]
	s_waitcnt lgkmcnt(0)
	s_barrier
	s_and_saveexec_b64 s[0:1], s[44:45]
; %bb.1064:
	v_xor_b32_e32 v21, 0x80000000, v11
	v_mov_b32_e32 v20, v10
	ds_write_b64 v19, v[20:21]
; %bb.1065:
	s_or_b64 exec, exec, s[0:1]
	s_waitcnt lgkmcnt(0)
	s_barrier
	s_and_saveexec_b64 s[0:1], s[52:53]
	s_cbranch_execz .LBB27_1067
; %bb.1066:
	v_lshlrev_b32_e32 v20, 3, v16
	ds_read_b64 v[20:21], v20 offset:1024
	ds_read_b64 v[22:23], v19
	s_waitcnt lgkmcnt(0)
	v_fma_f64 v[10:11], -v[20:21], v[22:23], v[10:11]
.LBB27_1067:
	s_or_b64 exec, exec, s[0:1]
	s_barrier
	s_and_saveexec_b64 s[0:1], s[54:55]
; %bb.1068:
	v_xor_b32_e32 v21, 0x80000000, v11
	v_mov_b32_e32 v20, v10
	ds_write_b64 v19, v[20:21]
; %bb.1069:
	s_or_b64 exec, exec, s[0:1]
	s_waitcnt lgkmcnt(0)
	s_barrier
	s_and_saveexec_b64 s[0:1], s[36:37]
	s_cbranch_execz .LBB27_1071
; %bb.1070:
	v_mov_b32_e32 v20, 0
	ds_read_b64 v[20:21], v20 offset:512
	ds_read_b64 v[22:23], v19
	s_waitcnt lgkmcnt(0)
	v_fma_f64 v[10:11], -v[20:21], v[22:23], v[10:11]
.LBB27_1071:
	s_or_b64 exec, exec, s[0:1]
	s_barrier
	s_and_saveexec_b64 s[0:1], s[36:37]
; %bb.1072:
	v_xor_b32_e32 v21, 0x80000000, v11
	v_mov_b32_e32 v20, v10
	ds_write_b64 v19, v[20:21]
; %bb.1073:
	s_or_b64 exec, exec, s[0:1]
	s_waitcnt lgkmcnt(0)
	s_barrier
	s_barrier
	s_and_saveexec_b64 s[0:1], s[18:19]
; %bb.1074:
	v_lshlrev_b32_e32 v16, 3, v16
	v_lshl_or_b32 v16, v17, 9, v16
	ds_write_b64 v16, v[10:11] offset:2048
; %bb.1075:
	s_or_b64 exec, exec, s[0:1]
	s_waitcnt lgkmcnt(0)
	s_barrier
	s_barrier
	s_and_saveexec_b64 s[0:1], s[56:57]
	s_cbranch_execz .LBB27_1077
; %bb.1076:
	v_lshlrev_b32_e32 v16, 9, v0
	ds_read_b64 v[10:11], v16 offset:2048
	s_movk_i32 s8, 0xfe08
	v_mad_i32_i24 v17, v0, s8, v16
	s_waitcnt lgkmcnt(0)
	ds_write_b64 v17, v[10:11] offset:32
	ds_read_b64 v[10:11], v16 offset:2056
	s_waitcnt lgkmcnt(0)
	ds_write_b64 v17, v[10:11] offset:544
	ds_read_b64 v[10:11], v16 offset:2064
	;; [unrolled: 3-line block ×3, first 2 shown]
	s_waitcnt lgkmcnt(0)
	ds_write_b64 v17, v[10:11] offset:1568
.LBB27_1077:
	s_or_b64 exec, exec, s[0:1]
	s_waitcnt lgkmcnt(0)
	s_barrier
	s_and_saveexec_b64 s[0:1], vcc
	s_cbranch_execz .LBB27_1079
; %bb.1078:
	v_mov_b32_e32 v19, 0
	ds_read_b64 v[21:22], v19 offset:1552
	v_mov_b32_e32 v20, 0x3ff00000
	ds_write_b64 v19, v[19:20] offset:1560
	s_waitcnt lgkmcnt(1)
	ds_write_b128 v19, v[19:22] offset:1040
.LBB27_1079:
	s_or_b64 exec, exec, s[0:1]
	v_mov_b32_e32 v10, 0
	v_mov_b32_e32 v11, 0
	s_waitcnt lgkmcnt(0)
	s_barrier
	buffer_wbinvl1_vol
	s_and_saveexec_b64 s[0:1], s[2:3]
	s_cbranch_execz .LBB27_1083
; %bb.1080:
	v_lshlrev_b32_e32 v16, 9, v13
	v_lshlrev_b32_e32 v10, 3, v12
	ds_read_b64 v[10:11], v10 offset:1024
	ds_read_b64 v[16:17], v16 offset:1040
	v_cmp_gt_u32_e64 s[8:9], 2, v15
	s_waitcnt lgkmcnt(0)
	v_fma_f64 v[10:11], v[10:11], v[16:17], 0
	s_and_saveexec_b64 s[10:11], s[8:9]
	s_cbranch_execz .LBB27_1082
; %bb.1081:
	v_lshlrev_b32_e32 v15, 3, v0
	v_mov_b32_e32 v17, 0
	ds_read_b64 v[15:16], v15 offset:1536
	ds_read_b64 v[19:20], v17 offset:1560
	s_waitcnt lgkmcnt(0)
	v_fma_f64 v[10:11], v[15:16], v[19:20], v[10:11]
.LBB27_1082:
	s_or_b64 exec, exec, s[10:11]
.LBB27_1083:
	s_or_b64 exec, exec, s[0:1]
	s_and_saveexec_b64 s[0:1], s[30:31]
; %bb.1084:
	v_xor_b32_e32 v16, 0x80000000, v11
	v_mov_b32_e32 v15, v10
	ds_write_b64 v14, v[15:16]
; %bb.1085:
	s_or_b64 exec, exec, s[0:1]
	s_waitcnt lgkmcnt(0)
	s_barrier
	s_and_saveexec_b64 s[0:1], s[28:29]
	s_cbranch_execz .LBB27_1087
; %bb.1086:
	v_mov_b32_e32 v15, 0
	ds_read_b64 v[15:16], v15 offset:512
	ds_read_b64 v[19:20], v14
	s_waitcnt lgkmcnt(0)
	v_fma_f64 v[10:11], -v[15:16], v[19:20], v[10:11]
.LBB27_1087:
	s_or_b64 exec, exec, s[0:1]
	s_barrier
	s_and_saveexec_b64 s[0:1], s[28:29]
; %bb.1088:
	v_xor_b32_e32 v16, 0x80000000, v11
	v_mov_b32_e32 v15, v10
	ds_write_b64 v14, v[15:16]
; %bb.1089:
	s_or_b64 exec, exec, s[0:1]
	s_waitcnt lgkmcnt(0)
	s_barrier
	s_barrier
	s_and_saveexec_b64 s[0:1], s[2:3]
; %bb.1090:
	v_lshlrev_b32_e32 v12, 3, v12
	v_lshl_or_b32 v12, v13, 9, v12
	ds_write_b64 v12, v[10:11] offset:1024
; %bb.1091:
	s_or_b64 exec, exec, s[0:1]
	s_waitcnt lgkmcnt(0)
	s_barrier
	s_barrier
	s_and_saveexec_b64 s[0:1], s[34:35]
	s_cbranch_execz .LBB27_1093
; %bb.1092:
	v_lshlrev_b32_e32 v12, 3, v0
	s_movk_i32 s2, 0x1f8
	v_mad_u32_u24 v13, v0, s2, v12
	ds_read_b64 v[10:11], v13 offset:1024
	s_waitcnt lgkmcnt(0)
	ds_write_b64 v12, v[10:11] offset:16
	ds_read_b64 v[10:11], v13 offset:1032
	s_waitcnt lgkmcnt(0)
	ds_write_b64 v12, v[10:11] offset:528
.LBB27_1093:
	s_or_b64 exec, exec, s[0:1]
	s_waitcnt lgkmcnt(0)
	s_barrier
	s_and_saveexec_b64 s[0:1], vcc
	s_cbranch_execz .LBB27_1095
; %bb.1094:
	v_mov_b32_e32 v10, 0
	ds_read_b64 v[12:13], v10 offset:512
	v_mov_b32_e32 v11, 0x3ff00000
	ds_write_b64 v10, v[10:11] offset:520
	s_waitcnt lgkmcnt(1)
	ds_write_b128 v10, v[10:13]
.LBB27_1095:
	s_or_b64 exec, exec, s[0:1]
.LBB27_1096:
	s_load_dwordx4 s[12:15], s[4:5], 0x48
	v_cmp_le_i32_e32 vcc, s7, v0
	v_mov_b32_e32 v10, 0
	v_mov_b32_e32 v11, 0
	v_lshl_add_u32 v12, s6, 6, v0
	s_waitcnt lgkmcnt(0)
	s_mul_i32 s1, s13, s22
	s_mul_hi_u32 s2, s12, s22
	s_mul_i32 s0, s12, s22
	s_add_i32 s1, s2, s1
	s_lshl_b64 s[0:1], s[0:1], 3
	s_add_u32 s2, s46, s0
	s_addc_u32 s3, s47, s1
	s_lshl_b64 s[0:1], s[48:49], 3
	s_add_u32 s20, s2, s0
	s_addc_u32 s21, s3, s1
	s_and_b64 s[16:17], vcc, s[24:25]
	v_cmp_eq_u32_e64 s[2:3], 0, v1
	s_xor_b64 s[0:1], s[16:17], -1
	s_and_b64 s[4:5], s[2:3], s[0:1]
	s_barrier
	s_and_saveexec_b64 s[0:1], s[4:5]
	s_cbranch_execz .LBB27_1098
; %bb.1097:
	v_ashrrev_i32_e32 v13, 31, v12
	v_mul_lo_u32 v14, s51, v12
	v_mad_u64_u32 v[10:11], s[4:5], s50, v12, 0
	v_mul_lo_u32 v13, s50, v13
	v_add3_u32 v11, v11, v13, v14
	v_lshlrev_b64 v[10:11], 3, v[10:11]
	v_mov_b32_e32 v13, s21
	v_add_co_u32_e32 v10, vcc, s20, v10
	v_addc_co_u32_e32 v11, vcc, v13, v11, vcc
	global_load_dwordx2 v[10:11], v[10:11], off
	s_waitcnt vmcnt(0)
	v_mul_f64 v[10:11], v[10:11], -s[38:39]
.LBB27_1098:
	s_or_b64 exec, exec, s[0:1]
	s_and_b32 s0, 0xffff, s26
	v_mad_u32_u24 v19, v1, s0, v0
	v_mov_b32_e32 v13, 0
	s_cmp_lt_i32 s6, 1
	v_cmp_eq_u32_e64 s[4:5], 0, v19
	s_cbranch_scc1 .LBB27_1124
; %bb.1099:
	v_mad_u64_u32 v[14:15], s[0:1], s40, v12, 0
	v_cmp_gt_i32_e64 s[8:9], s33, v12
	s_mov_b32 s26, 0
	v_mad_u64_u32 v[15:16], s[0:1], s41, v12, v[15:16]
	s_lshl_b64 s[0:1], s[22:23], 2
	s_add_u32 s0, s14, s0
	v_lshlrev_b64 v[14:15], 3, v[14:15]
	v_mov_b32_e32 v16, 0xa000
	v_mov_b32_e32 v12, s89
	v_add_co_u32_e32 v22, vcc, s88, v14
	s_addc_u32 s1, s15, s1
	v_cmp_gt_u32_e64 s[12:13], 64, v19
	v_lshl_add_u32 v20, v19, 3, v16
	v_lshl_or_b32 v21, v1, 3, v16
	s_add_i32 s27, s6, -1
	v_addc_co_u32_e32 v23, vcc, v12, v15, vcc
	v_mov_b32_e32 v24, -1
	s_branch .LBB27_1102
.LBB27_1100:                            ;   in Loop: Header=BB27_1102 Depth=1
	ds_read_b64 v[14:15], v21 offset:384
	s_waitcnt vmcnt(0) lgkmcnt(0)
	v_fma_f64 v[10:11], v[16:17], v[14:15], v[10:11]
.LBB27_1101:                            ;   in Loop: Header=BB27_1102 Depth=1
	s_or_b64 exec, exec, s[18:19]
	s_add_i32 s26, s26, 1
	s_cmp_eq_u32 s26, s6
	s_cbranch_scc1 .LBB27_1124
.LBB27_1102:                            ; =>This Loop Header: Depth=1
                                        ;     Child Loop BB27_1104 Depth 2
	v_cmp_gt_i32_e32 vcc, s26, v24
	s_and_b64 s[18:19], s[4:5], vcc
	s_and_saveexec_b64 s[10:11], s[18:19]
	s_cbranch_execz .LBB27_1105
; %bb.1103:                             ;   in Loop: Header=BB27_1102 Depth=1
	global_load_dword v24, v13, s[0:1]
	s_waitcnt vmcnt(0)
	v_cmp_le_i32_e32 vcc, s26, v24
	s_cbranch_vccnz .LBB27_1105
.LBB27_1104:                            ;   Parent Loop BB27_1102 Depth=1
                                        ; =>  This Inner Loop Header: Depth=2
	buffer_wbinvl1_vol
	global_load_dword v24, v13, s[0:1]
	s_waitcnt vmcnt(0)
	v_cmp_gt_i32_e32 vcc, s26, v24
	s_cbranch_vccnz .LBB27_1104
.LBB27_1105:                            ;   in Loop: Header=BB27_1102 Depth=1
	s_or_b64 exec, exec, s[10:11]
	s_lshl_b32 s28, s26, 6
	buffer_wbinvl1_vol
	s_barrier
	s_and_saveexec_b64 s[10:11], s[12:13]
	s_cbranch_execz .LBB27_1109
; %bb.1106:                             ;   in Loop: Header=BB27_1102 Depth=1
	v_or_b32_e32 v12, s28, v19
	v_mov_b32_e32 v14, 0
	v_mov_b32_e32 v15, 0
	v_cmp_gt_i32_e32 vcc, s33, v12
	s_and_saveexec_b64 s[18:19], vcc
	s_cbranch_execz .LBB27_1108
; %bb.1107:                             ;   in Loop: Header=BB27_1102 Depth=1
	v_mad_u64_u32 v[14:15], s[30:31], s50, v12, 0
	v_mad_u64_u32 v[15:16], s[30:31], s51, v12, v[15:16]
	v_mov_b32_e32 v12, s21
	v_lshlrev_b64 v[14:15], 3, v[14:15]
	v_add_co_u32_e32 v14, vcc, s20, v14
	v_addc_co_u32_e32 v15, vcc, v12, v15, vcc
	global_load_dwordx2 v[14:15], v[14:15], off
.LBB27_1108:                            ;   in Loop: Header=BB27_1102 Depth=1
	s_or_b64 exec, exec, s[18:19]
	s_waitcnt vmcnt(0)
	ds_write_b64 v20, v[14:15]
.LBB27_1109:                            ;   in Loop: Header=BB27_1102 Depth=1
	s_or_b64 exec, exec, s[10:11]
	v_add_u32_e32 v12, s28, v1
	v_lshlrev_b64 v[14:15], 3, v[12:13]
	s_cmp_lg_u32 s26, s27
	v_add_co_u32_e32 v14, vcc, v22, v14
	s_cselect_b64 s[10:11], -1, 0
	v_addc_co_u32_e32 v15, vcc, v23, v15, vcc
	v_cmp_gt_i32_e32 vcc, s33, v12
	v_cndmask_b32_e64 v16, 0, 1, s[10:11]
	s_and_b64 s[28:29], vcc, s[8:9]
	v_cmp_ne_u32_e64 s[10:11], 1, v16
	s_waitcnt lgkmcnt(0)
	s_barrier
	s_and_saveexec_b64 s[18:19], s[28:29]
	s_cbranch_execz .LBB27_1113
; %bb.1110:                             ;   in Loop: Header=BB27_1102 Depth=1
	v_mov_b32_e32 v17, v5
	s_and_b64 vcc, exec, s[10:11]
	v_mov_b32_e32 v16, v4
	s_cbranch_vccnz .LBB27_1112
; %bb.1111:                             ;   in Loop: Header=BB27_1102 Depth=1
	global_load_dwordx2 v[16:17], v[14:15], off
.LBB27_1112:                            ;   in Loop: Header=BB27_1102 Depth=1
	ds_read_b64 v[25:26], v21
	s_waitcnt vmcnt(0) lgkmcnt(0)
	v_fma_f64 v[10:11], v[16:17], v[25:26], v[10:11]
.LBB27_1113:                            ;   in Loop: Header=BB27_1102 Depth=1
	s_or_b64 exec, exec, s[18:19]
	v_add_u32_e32 v16, 16, v12
	v_cmp_gt_i32_e32 vcc, s33, v16
	s_and_b64 s[28:29], vcc, s[8:9]
	s_and_saveexec_b64 s[18:19], s[28:29]
	s_cbranch_execz .LBB27_1117
; %bb.1114:                             ;   in Loop: Header=BB27_1102 Depth=1
	v_mov_b32_e32 v17, v3
	s_and_b64 vcc, exec, s[10:11]
	v_mov_b32_e32 v16, v2
	s_cbranch_vccnz .LBB27_1116
; %bb.1115:                             ;   in Loop: Header=BB27_1102 Depth=1
	global_load_dwordx2 v[16:17], v[14:15], off offset:128
.LBB27_1116:                            ;   in Loop: Header=BB27_1102 Depth=1
	ds_read_b64 v[25:26], v21 offset:128
	s_waitcnt vmcnt(0) lgkmcnt(0)
	v_fma_f64 v[10:11], v[16:17], v[25:26], v[10:11]
.LBB27_1117:                            ;   in Loop: Header=BB27_1102 Depth=1
	s_or_b64 exec, exec, s[18:19]
	v_add_u32_e32 v16, 32, v12
	v_cmp_gt_i32_e32 vcc, s33, v16
	s_and_b64 s[28:29], vcc, s[8:9]
	s_and_saveexec_b64 s[18:19], s[28:29]
	s_cbranch_execz .LBB27_1121
; %bb.1118:                             ;   in Loop: Header=BB27_1102 Depth=1
	v_mov_b32_e32 v17, v9
	s_and_b64 vcc, exec, s[10:11]
	v_mov_b32_e32 v16, v8
	s_cbranch_vccnz .LBB27_1120
; %bb.1119:                             ;   in Loop: Header=BB27_1102 Depth=1
	global_load_dwordx2 v[16:17], v[14:15], off offset:256
.LBB27_1120:                            ;   in Loop: Header=BB27_1102 Depth=1
	ds_read_b64 v[25:26], v21 offset:256
	s_waitcnt vmcnt(0) lgkmcnt(0)
	v_fma_f64 v[10:11], v[16:17], v[25:26], v[10:11]
.LBB27_1121:                            ;   in Loop: Header=BB27_1102 Depth=1
	s_or_b64 exec, exec, s[18:19]
	v_add_u32_e32 v12, 48, v12
	v_cmp_gt_i32_e32 vcc, s33, v12
	s_and_b64 s[28:29], vcc, s[8:9]
	s_and_saveexec_b64 s[18:19], s[28:29]
	s_cbranch_execz .LBB27_1101
; %bb.1122:                             ;   in Loop: Header=BB27_1102 Depth=1
	v_mov_b32_e32 v17, v7
	s_and_b64 vcc, exec, s[10:11]
	v_mov_b32_e32 v16, v6
	s_cbranch_vccnz .LBB27_1100
; %bb.1123:                             ;   in Loop: Header=BB27_1102 Depth=1
	global_load_dwordx2 v[16:17], v[14:15], off offset:384
	s_branch .LBB27_1100
.LBB27_1124:
	v_lshl_add_u32 v2, v1, 6, v0
	s_xor_b64 s[0:1], s[24:25], -1
	v_lshlrev_b32_e32 v4, 3, v2
	ds_write_b64 v4, v[10:11] offset:32768
	s_waitcnt lgkmcnt(0)
	s_barrier
	s_and_saveexec_b64 s[4:5], s[2:3]
	s_cbranch_execz .LBB27_1126
; %bb.1125:
	v_lshlrev_b32_e32 v15, 3, v0
	ds_read2st64_b64 v[5:8], v15 offset0:65 offset1:66
	ds_read_b64 v[2:3], v15 offset:40448
	s_waitcnt lgkmcnt(1)
	v_add_f64 v[5:6], v[10:11], v[5:6]
	v_add_f64 v[13:14], v[5:6], v[7:8]
	ds_read2st64_b64 v[5:8], v15 offset0:67 offset1:68
	ds_read2st64_b64 v[9:12], v15 offset0:69 offset1:70
	s_waitcnt lgkmcnt(1)
	v_add_f64 v[5:6], v[13:14], v[5:6]
	v_add_f64 v[5:6], v[5:6], v[7:8]
	s_waitcnt lgkmcnt(0)
	v_add_f64 v[5:6], v[5:6], v[9:10]
	v_add_f64 v[13:14], v[5:6], v[11:12]
	ds_read2st64_b64 v[5:8], v15 offset0:71 offset1:72
	ds_read2st64_b64 v[9:12], v15 offset0:73 offset1:74
	s_waitcnt lgkmcnt(1)
	v_add_f64 v[5:6], v[13:14], v[5:6]
	v_add_f64 v[5:6], v[5:6], v[7:8]
	s_waitcnt lgkmcnt(0)
	v_add_f64 v[5:6], v[5:6], v[9:10]
	v_add_f64 v[13:14], v[5:6], v[11:12]
	ds_read2st64_b64 v[5:8], v15 offset0:75 offset1:76
	ds_read2st64_b64 v[9:12], v15 offset0:77 offset1:78
	s_waitcnt lgkmcnt(1)
	v_add_f64 v[5:6], v[13:14], v[5:6]
	v_add_f64 v[5:6], v[5:6], v[7:8]
	s_waitcnt lgkmcnt(0)
	v_add_f64 v[5:6], v[5:6], v[9:10]
	v_add_f64 v[5:6], v[5:6], v[11:12]
	;; [unrolled: 1-line block ×3, first 2 shown]
	v_xor_b32_e32 v3, 0x80000000, v3
	v_cndmask_b32_e64 v11, v3, 0, s[16:17]
	v_cndmask_b32_e64 v10, v2, 0, s[16:17]
.LBB27_1126:
	s_or_b64 exec, exec, s[4:5]
	s_and_b64 vcc, exec, s[58:59]
	s_cbranch_vccnz .LBB27_1140
; %bb.1127:
	v_mov_b32_e32 v2, 0xa000
	v_lshl_or_b32 v5, v1, 3, v2
	s_and_saveexec_b64 s[4:5], s[2:3]
; %bb.1128:
	v_lshl_add_u32 v2, v0, 3, v5
	ds_write_b64 v2, v[10:11]
; %bb.1129:
	s_or_b64 exec, exec, s[4:5]
	v_mov_b32_e32 v2, 0
	v_mov_b32_e32 v3, 0
	v_cmp_le_u32_e32 vcc, v1, v0
	s_waitcnt lgkmcnt(0)
	s_barrier
	s_and_saveexec_b64 s[4:5], vcc
	s_cbranch_execz .LBB27_1131
; %bb.1130:
	ds_read_b64 v[2:3], v4
	ds_read_b64 v[6:7], v5
	s_waitcnt lgkmcnt(0)
	v_fma_f64 v[2:3], v[2:3], v[6:7], 0
.LBB27_1131:
	s_or_b64 exec, exec, s[4:5]
	v_add_u32_e32 v6, 16, v1
	v_cmp_ge_u32_e32 vcc, v0, v6
	s_and_saveexec_b64 s[4:5], vcc
	s_cbranch_execz .LBB27_1133
; %bb.1132:
	ds_read_b64 v[6:7], v4 offset:8192
	ds_read_b64 v[8:9], v5 offset:128
	s_waitcnt lgkmcnt(0)
	v_fma_f64 v[2:3], v[6:7], v[8:9], v[2:3]
.LBB27_1133:
	s_or_b64 exec, exec, s[4:5]
	v_add_u32_e32 v6, 32, v1
	v_cmp_ge_u32_e32 vcc, v0, v6
	s_and_saveexec_b64 s[4:5], vcc
	s_cbranch_execz .LBB27_1135
; %bb.1134:
	ds_read_b64 v[6:7], v4 offset:16384
	ds_read_b64 v[8:9], v5 offset:256
	s_waitcnt lgkmcnt(0)
	v_fma_f64 v[2:3], v[6:7], v[8:9], v[2:3]
.LBB27_1135:
	s_or_b64 exec, exec, s[4:5]
	v_add_u32_e32 v1, 48, v1
	v_add_u32_e32 v6, 0x8000, v4
	v_cmp_ge_u32_e32 vcc, v0, v1
	s_and_saveexec_b64 s[4:5], vcc
	s_cbranch_execz .LBB27_1137
; %bb.1136:
	ds_read_b64 v[7:8], v4 offset:24576
	ds_read_b64 v[4:5], v5 offset:384
	s_waitcnt lgkmcnt(0)
	v_fma_f64 v[2:3], v[7:8], v[4:5], v[2:3]
.LBB27_1137:
	s_or_b64 exec, exec, s[4:5]
	s_mov_b64 s[8:9], 0
	s_mov_b64 s[4:5], 0
	ds_write_b64 v6, v[2:3]
	s_waitcnt lgkmcnt(0)
	s_barrier
                                        ; implicit-def: $vgpr6_vgpr7
                                        ; implicit-def: $vgpr4_vgpr5
	s_and_saveexec_b64 s[10:11], s[2:3]
	s_cbranch_execz .LBB27_1161
; %bb.1138:
	v_lshlrev_b32_e32 v9, 3, v0
	ds_read2st64_b64 v[4:7], v9 offset0:65 offset1:66
	ds_read_b64 v[12:13], v9 offset:40448
	s_mov_b64 s[4:5], exec
	s_waitcnt lgkmcnt(1)
	v_add_f64 v[1:2], v[2:3], v[4:5]
	v_add_f64 v[14:15], v[6:7], v[1:2]
	ds_read2st64_b64 v[1:4], v9 offset0:67 offset1:68
	ds_read2st64_b64 v[5:8], v9 offset0:69 offset1:70
	s_waitcnt lgkmcnt(1)
	v_add_f64 v[1:2], v[1:2], v[14:15]
	v_add_f64 v[1:2], v[3:4], v[1:2]
	s_waitcnt lgkmcnt(0)
	v_add_f64 v[1:2], v[5:6], v[1:2]
	v_add_f64 v[14:15], v[7:8], v[1:2]
	ds_read2st64_b64 v[1:4], v9 offset0:71 offset1:72
	ds_read2st64_b64 v[5:8], v9 offset0:73 offset1:74
	s_waitcnt lgkmcnt(1)
	v_add_f64 v[1:2], v[1:2], v[14:15]
	v_add_f64 v[1:2], v[3:4], v[1:2]
	;; [unrolled: 8-line block ×3, first 2 shown]
	v_lshl_add_u32 v3, s6, 6, v19
	s_waitcnt lgkmcnt(0)
	v_add_f64 v[1:2], v[5:6], v[1:2]
	v_mad_u64_u32 v[4:5], s[12:13], s50, v3, 0
	v_add_f64 v[1:2], v[7:8], v[1:2]
	v_add_f64 v[6:7], v[12:13], v[1:2]
	v_mov_b32_e32 v1, v5
	v_mad_u64_u32 v[1:2], s[12:13], s51, v3, v[1:2]
	v_mov_b32_e32 v5, v1
	s_or_b64 exec, exec, s[10:11]
	s_and_b64 vcc, exec, s[8:9]
	s_cbranch_vccnz .LBB27_1141
	s_branch .LBB27_1162
.LBB27_1139:
	v_mad_u64_u32 v[12:13], s[2:3], s40, v15, 0
	s_or_b64 s[10:11], s[10:11], exec
	v_mad_u64_u32 v[13:14], s[2:3], s41, v15, v[13:14]
	v_lshlrev_b64 v[12:13], 3, v[12:13]
	v_add_co_u32_e32 v10, vcc, v10, v12
	v_addc_co_u32_e32 v11, vcc, v11, v13, vcc
	global_load_dwordx2 v[12:13], v[10:11], off
	s_waitcnt vmcnt(0)
	v_xor_b32_e32 v13, 0x80000000, v13
	s_or_b64 exec, exec, s[8:9]
	s_xor_b64 s[0:1], s[0:1], -1
	s_and_saveexec_b64 s[2:3], s[10:11]
	s_cbranch_execnz .LBB27_57
	s_branch .LBB27_58
.LBB27_1140:
	s_mov_b64 s[4:5], 0
                                        ; implicit-def: $vgpr6_vgpr7
                                        ; implicit-def: $vgpr4_vgpr5
	s_cbranch_execz .LBB27_1162
.LBB27_1141:
	s_mov_b32 s10, 0
	v_mov_b32_e32 v1, 0
	v_mov_b32_e32 v2, v0
	s_branch .LBB27_1143
.LBB27_1142:                            ;   in Loop: Header=BB27_1143 Depth=1
	s_or_b64 exec, exec, s[8:9]
	s_add_i32 s10, s10, 4
	v_add_u32_e32 v18, 0x800, v18
	s_cmp_lg_u32 s10, 64
	v_add_u32_e32 v2, -4, v2
	s_barrier
	s_cbranch_scc0 .LBB27_1159
.LBB27_1143:                            ; =>This Inner Loop Header: Depth=1
	v_cmp_eq_u32_e32 vcc, 0, v2
	s_and_b64 s[12:13], s[2:3], vcc
	s_and_saveexec_b64 s[8:9], s[12:13]
; %bb.1144:                             ;   in Loop: Header=BB27_1143 Depth=1
	ds_write_b64 v1, v[10:11] offset:41472
; %bb.1145:                             ;   in Loop: Header=BB27_1143 Depth=1
	s_or_b64 exec, exec, s[8:9]
	v_cmp_lt_u32_e32 vcc, s10, v0
	s_and_b64 s[12:13], s[2:3], vcc
	s_waitcnt lgkmcnt(0)
	s_barrier
	s_and_saveexec_b64 s[8:9], s[12:13]
	s_cbranch_execz .LBB27_1147
; %bb.1146:                             ;   in Loop: Header=BB27_1143 Depth=1
	ds_read_b64 v[3:4], v18
	ds_read_b64 v[5:6], v1 offset:41472
	s_waitcnt lgkmcnt(0)
	v_fma_f64 v[10:11], v[3:4], v[5:6], v[10:11]
.LBB27_1147:                            ;   in Loop: Header=BB27_1143 Depth=1
	s_or_b64 exec, exec, s[8:9]
	s_or_b32 s11, s10, 1
	v_cmp_eq_u32_e32 vcc, s11, v0
	s_and_b64 s[12:13], s[2:3], vcc
	s_barrier
	s_and_saveexec_b64 s[8:9], s[12:13]
; %bb.1148:                             ;   in Loop: Header=BB27_1143 Depth=1
	ds_write_b64 v1, v[10:11] offset:41472
; %bb.1149:                             ;   in Loop: Header=BB27_1143 Depth=1
	s_or_b64 exec, exec, s[8:9]
	v_cmp_lt_u32_e32 vcc, s11, v0
	s_and_b64 s[12:13], s[2:3], vcc
	s_waitcnt lgkmcnt(0)
	s_barrier
	s_and_saveexec_b64 s[8:9], s[12:13]
	s_cbranch_execz .LBB27_1151
; %bb.1150:                             ;   in Loop: Header=BB27_1143 Depth=1
	ds_read_b64 v[3:4], v18 offset:512
	ds_read_b64 v[5:6], v1 offset:41472
	s_waitcnt lgkmcnt(0)
	v_fma_f64 v[10:11], v[3:4], v[5:6], v[10:11]
.LBB27_1151:                            ;   in Loop: Header=BB27_1143 Depth=1
	s_or_b64 exec, exec, s[8:9]
	s_or_b32 s11, s10, 2
	v_cmp_eq_u32_e32 vcc, s11, v0
	s_and_b64 s[12:13], s[2:3], vcc
	s_barrier
	s_and_saveexec_b64 s[8:9], s[12:13]
; %bb.1152:                             ;   in Loop: Header=BB27_1143 Depth=1
	ds_write_b64 v1, v[10:11] offset:41472
; %bb.1153:                             ;   in Loop: Header=BB27_1143 Depth=1
	s_or_b64 exec, exec, s[8:9]
	v_cmp_lt_u32_e32 vcc, s11, v0
	s_and_b64 s[12:13], s[2:3], vcc
	s_waitcnt lgkmcnt(0)
	s_barrier
	s_and_saveexec_b64 s[8:9], s[12:13]
	s_cbranch_execz .LBB27_1155
; %bb.1154:                             ;   in Loop: Header=BB27_1143 Depth=1
	ds_read_b64 v[3:4], v18 offset:1024
	ds_read_b64 v[5:6], v1 offset:41472
	s_waitcnt lgkmcnt(0)
	v_fma_f64 v[10:11], v[3:4], v[5:6], v[10:11]
.LBB27_1155:                            ;   in Loop: Header=BB27_1143 Depth=1
	s_or_b64 exec, exec, s[8:9]
	s_or_b32 s11, s10, 3
	v_cmp_eq_u32_e32 vcc, s11, v0
	s_and_b64 s[12:13], s[2:3], vcc
	s_barrier
	s_and_saveexec_b64 s[8:9], s[12:13]
; %bb.1156:                             ;   in Loop: Header=BB27_1143 Depth=1
	ds_write_b64 v1, v[10:11] offset:41472
; %bb.1157:                             ;   in Loop: Header=BB27_1143 Depth=1
	s_or_b64 exec, exec, s[8:9]
	v_cmp_lt_u32_e32 vcc, s11, v0
	s_and_b64 s[12:13], s[2:3], vcc
	s_waitcnt lgkmcnt(0)
	s_barrier
	s_and_saveexec_b64 s[8:9], s[12:13]
	s_cbranch_execz .LBB27_1142
; %bb.1158:                             ;   in Loop: Header=BB27_1143 Depth=1
	ds_read_b64 v[3:4], v18 offset:1536
	ds_read_b64 v[5:6], v1 offset:41472
	s_waitcnt lgkmcnt(0)
	v_fma_f64 v[10:11], v[3:4], v[5:6], v[10:11]
	s_branch .LBB27_1142
.LBB27_1159:
	s_and_b64 vcc, exec, s[0:1]
	s_cbranch_vccz .LBB27_1163
; %bb.1160:
	s_and_b64 s[0:1], s[2:3], exec
	s_cbranch_execz .LBB27_1164
	s_branch .LBB27_1165
.LBB27_1161:
	s_or_b64 exec, exec, s[10:11]
	s_and_b64 vcc, exec, s[8:9]
	s_cbranch_vccnz .LBB27_1141
.LBB27_1162:
	v_mov_b32_e32 v11, v7
	v_mov_b32_e32 v10, v6
	s_and_saveexec_b64 s[0:1], s[4:5]
	s_cbranch_execnz .LBB27_1168
	s_branch .LBB27_1169
.LBB27_1163:
	s_mov_b64 s[0:1], 0
.LBB27_1164:
	v_cmp_gt_i32_e32 vcc, s7, v0
	s_and_b64 s[2:3], s[2:3], vcc
	s_andn2_b64 s[0:1], s[0:1], exec
	s_and_b64 s[2:3], s[2:3], exec
	s_or_b64 s[0:1], s[0:1], s[2:3]
.LBB27_1165:
                                        ; implicit-def: $vgpr4_vgpr5
	s_and_saveexec_b64 s[2:3], s[0:1]
	s_cbranch_execz .LBB27_1167
; %bb.1166:
	s_lshl_b32 s0, s6, 6
	s_ashr_i32 s1, s0, 31
	v_mov_b32_e32 v0, s1
	v_add_co_u32_e32 v1, vcc, s0, v19
	v_addc_co_u32_e32 v0, vcc, 0, v0, vcc
	v_mul_lo_u32 v0, v0, s50
	v_mul_lo_u32 v2, v1, s51
	v_mad_u64_u32 v[4:5], s[0:1], v1, s50, 0
	s_or_b64 s[4:5], s[4:5], exec
	v_add3_u32 v5, v5, v2, v0
.LBB27_1167:
	s_or_b64 exec, exec, s[2:3]
	s_and_saveexec_b64 s[0:1], s[4:5]
	s_cbranch_execz .LBB27_1169
.LBB27_1168:
	v_lshlrev_b64 v[0:1], 3, v[4:5]
	v_mov_b32_e32 v2, s21
	v_add_co_u32_e32 v0, vcc, s20, v0
	v_addc_co_u32_e32 v1, vcc, v2, v1, vcc
	global_store_dwordx2 v[0:1], v[10:11], off
.LBB27_1169:
	s_or_b64 exec, exec, s[0:1]
	v_cmp_eq_u32_e32 vcc, 0, v19
	s_waitcnt vmcnt(0)
	buffer_wbinvl1_vol
	s_barrier
	s_and_saveexec_b64 s[0:1], vcc
	s_cbranch_execz .LBB27_1171
; %bb.1170:
	s_lshl_b64 s[2:3], s[22:23], 2
	s_add_u32 s2, s14, s2
	s_addc_u32 s3, s15, s3
	v_mov_b32_e32 v0, 0
	global_load_dword v1, v0, s[2:3]
	s_waitcnt vmcnt(0)
	v_add_u32_e32 v1, 1, v1
	global_store_dword v0, v1, s[2:3]
.LBB27_1171:
	s_or_b64 exec, exec, s[0:1]
	s_waitcnt vmcnt(0)
	buffer_wbinvl1_vol
	s_endpgm
.LBB27_1172:
	ds_read_b64 v[22:23], v21 offset:31680
	ds_read_b64 v[24:25], v20 offset:31208
	s_waitcnt lgkmcnt(0)
	v_fma_f64 v[10:11], v[22:23], v[24:25], v[10:11]
	s_or_b64 exec, exec, s[14:15]
	v_cmp_gt_u32_e64 s[10:11], 8, v15
	s_and_saveexec_b64 s[14:15], s[10:11]
	s_cbranch_execz .LBB27_80
.LBB27_1173:
	ds_read_b64 v[21:22], v21 offset:32192
	ds_read_b64 v[23:24], v20 offset:31216
	s_waitcnt lgkmcnt(0)
	v_fma_f64 v[10:11], v[21:22], v[23:24], v[10:11]
	s_or_b64 exec, exec, s[14:15]
	v_cmp_gt_u32_e64 s[10:11], 4, v15
	s_and_saveexec_b64 s[14:15], s[10:11]
	s_cbranch_execnz .LBB27_81
	s_branch .LBB27_82
.LBB27_1174:
	ds_read_b64 v[25:26], v24 offset:29568
	ds_read_b64 v[27:28], v23 offset:29128
	s_waitcnt lgkmcnt(0)
	v_fma_f64 v[10:11], v[25:26], v[27:28], v[10:11]
	s_or_b64 exec, exec, s[16:17]
	v_cmp_gt_u32_e64 s[14:15], 48, v15
	s_and_saveexec_b64 s[16:17], s[14:15]
	s_cbranch_execz .LBB27_122
.LBB27_1175:
	ds_read_b64 v[25:26], v24 offset:30080
	ds_read_b64 v[27:28], v23 offset:29136
	s_waitcnt lgkmcnt(0)
	v_fma_f64 v[10:11], v[25:26], v[27:28], v[10:11]
	s_or_b64 exec, exec, s[16:17]
	v_cmp_gt_u32_e64 s[14:15], 40, v15
	s_and_saveexec_b64 s[16:17], s[14:15]
	s_cbranch_execz .LBB27_123
.LBB27_1176:
	ds_read_b64 v[25:26], v24 offset:30592
	ds_read_b64 v[27:28], v23 offset:29144
	s_waitcnt lgkmcnt(0)
	v_fma_f64 v[10:11], v[25:26], v[27:28], v[10:11]
	s_or_b64 exec, exec, s[16:17]
	v_cmp_gt_u32_e64 s[14:15], 32, v15
	s_and_saveexec_b64 s[16:17], s[14:15]
	s_cbranch_execz .LBB27_124
.LBB27_1177:
	ds_read_b64 v[25:26], v24 offset:31104
	ds_read_b64 v[27:28], v23 offset:29152
	s_waitcnt lgkmcnt(0)
	v_fma_f64 v[10:11], v[25:26], v[27:28], v[10:11]
	s_or_b64 exec, exec, s[16:17]
	v_cmp_gt_u32_e64 s[14:15], 24, v15
	s_and_saveexec_b64 s[16:17], s[14:15]
	s_cbranch_execz .LBB27_125
.LBB27_1178:
	ds_read_b64 v[25:26], v24 offset:31616
	ds_read_b64 v[27:28], v23 offset:29160
	s_waitcnt lgkmcnt(0)
	v_fma_f64 v[10:11], v[25:26], v[27:28], v[10:11]
	s_or_b64 exec, exec, s[16:17]
	s_and_saveexec_b64 s[14:15], s[18:19]
	s_cbranch_execz .LBB27_126
.LBB27_1179:
	ds_read_b64 v[24:25], v24 offset:32128
	ds_read_b64 v[26:27], v23 offset:29168
	s_waitcnt lgkmcnt(0)
	v_fma_f64 v[10:11], v[24:25], v[26:27], v[10:11]
	s_or_b64 exec, exec, s[14:15]
	v_cmp_gt_u32_e64 s[14:15], 8, v15
	s_and_saveexec_b64 s[16:17], s[14:15]
	s_cbranch_execnz .LBB27_127
	s_branch .LBB27_128
.LBB27_1180:
	ds_read_b64 v[25:26], v24 offset:27520
	ds_read_b64 v[27:28], v23 offset:27048
	s_waitcnt lgkmcnt(0)
	v_fma_f64 v[10:11], v[25:26], v[27:28], v[10:11]
	s_or_b64 exec, exec, s[14:15]
	v_cmp_gt_u32_e64 s[10:11], 8, v15
	s_and_saveexec_b64 s[14:15], s[10:11]
	s_cbranch_execz .LBB27_184
.LBB27_1181:
	ds_read_b64 v[24:25], v24 offset:28032
	ds_read_b64 v[26:27], v23 offset:27056
	s_waitcnt lgkmcnt(0)
	v_fma_f64 v[10:11], v[24:25], v[26:27], v[10:11]
	s_or_b64 exec, exec, s[14:15]
	v_cmp_gt_u32_e64 s[10:11], 4, v15
	s_and_saveexec_b64 s[14:15], s[10:11]
	s_cbranch_execnz .LBB27_185
	s_branch .LBB27_186
.LBB27_1182:
	ds_read_b64 v[28:29], v27 offset:30464
	ds_read_b64 v[30:31], v26 offset:25048
	s_waitcnt lgkmcnt(0)
	v_fma_f64 v[10:11], v[28:29], v[30:31], v[10:11]
	s_or_b64 exec, exec, s[20:21]
	s_and_saveexec_b64 s[16:17], s[8:9]
	s_cbranch_execz .LBB27_246
.LBB27_1183:
	ds_read_b64 v[28:29], v27 offset:30976
	ds_read_b64 v[30:31], v26 offset:25056
	s_waitcnt lgkmcnt(0)
	v_fma_f64 v[10:11], v[28:29], v[30:31], v[10:11]
	s_or_b64 exec, exec, s[16:17]
	v_cmp_gt_u32_e64 s[16:17], 48, v15
	s_and_saveexec_b64 s[20:21], s[16:17]
	s_cbranch_execz .LBB27_247
.LBB27_1184:
	ds_read_b64 v[28:29], v27 offset:31488
	ds_read_b64 v[30:31], v26 offset:25064
	s_waitcnt lgkmcnt(0)
	v_fma_f64 v[10:11], v[28:29], v[30:31], v[10:11]
	s_or_b64 exec, exec, s[20:21]
	v_cmp_gt_u32_e64 s[16:17], 32, v15
	s_and_saveexec_b64 s[20:21], s[16:17]
	s_cbranch_execz .LBB27_248
.LBB27_1185:
	ds_read_b64 v[27:28], v27 offset:32000
	ds_read_b64 v[29:30], v26 offset:25072
	s_waitcnt lgkmcnt(0)
	v_fma_f64 v[10:11], v[27:28], v[29:30], v[10:11]
	s_or_b64 exec, exec, s[20:21]
	v_cmp_gt_u32_e64 s[16:17], 16, v15
	s_and_saveexec_b64 s[20:21], s[16:17]
	s_cbranch_execnz .LBB27_249
	s_branch .LBB27_250
.LBB27_1186:
	ds_read_b64 v[28:29], v27 offset:23360
	ds_read_b64 v[30:31], v26 offset:22888
	s_waitcnt lgkmcnt(0)
	v_fma_f64 v[10:11], v[28:29], v[30:31], v[10:11]
	s_or_b64 exec, exec, s[20:21]
	v_cmp_gt_u32_e64 s[14:15], 8, v15
	s_and_saveexec_b64 s[20:21], s[14:15]
	s_cbranch_execz .LBB27_338
.LBB27_1187:
	ds_read_b64 v[27:28], v27 offset:23872
	ds_read_b64 v[29:30], v26 offset:22896
	s_waitcnt lgkmcnt(0)
	v_fma_f64 v[10:11], v[27:28], v[29:30], v[10:11]
	s_or_b64 exec, exec, s[20:21]
	v_cmp_gt_u32_e64 s[14:15], 4, v15
	s_and_saveexec_b64 s[20:21], s[14:15]
	s_cbranch_execnz .LBB27_339
	s_branch .LBB27_340
.LBB27_1188:
	ds_read_b64 v[28:29], v27 offset:21248
	ds_read_b64 v[30:31], v26 offset:20808
	s_waitcnt lgkmcnt(0)
	v_fma_f64 v[10:11], v[28:29], v[30:31], v[10:11]
	s_or_b64 exec, exec, s[20:21]
	v_cmp_gt_u32_e64 s[14:15], 48, v15
	s_and_saveexec_b64 s[20:21], s[14:15]
	s_cbranch_execz .LBB27_380
.LBB27_1189:
	ds_read_b64 v[28:29], v27 offset:21760
	ds_read_b64 v[30:31], v26 offset:20816
	s_waitcnt lgkmcnt(0)
	v_fma_f64 v[10:11], v[28:29], v[30:31], v[10:11]
	s_or_b64 exec, exec, s[20:21]
	v_cmp_gt_u32_e64 s[14:15], 40, v15
	s_and_saveexec_b64 s[20:21], s[14:15]
	s_cbranch_execz .LBB27_381
.LBB27_1190:
	ds_read_b64 v[28:29], v27 offset:22272
	ds_read_b64 v[30:31], v26 offset:20824
	s_waitcnt lgkmcnt(0)
	v_fma_f64 v[10:11], v[28:29], v[30:31], v[10:11]
	s_or_b64 exec, exec, s[20:21]
	v_cmp_gt_u32_e64 s[14:15], 32, v15
	s_and_saveexec_b64 s[20:21], s[14:15]
	s_cbranch_execz .LBB27_382
.LBB27_1191:
	ds_read_b64 v[28:29], v27 offset:22784
	ds_read_b64 v[30:31], v26 offset:20832
	s_waitcnt lgkmcnt(0)
	v_fma_f64 v[10:11], v[28:29], v[30:31], v[10:11]
	s_or_b64 exec, exec, s[20:21]
	v_cmp_gt_u32_e64 s[14:15], 24, v15
	s_and_saveexec_b64 s[20:21], s[14:15]
	s_cbranch_execz .LBB27_383
.LBB27_1192:
	ds_read_b64 v[28:29], v27 offset:23296
	ds_read_b64 v[30:31], v26 offset:20840
	s_waitcnt lgkmcnt(0)
	v_fma_f64 v[10:11], v[28:29], v[30:31], v[10:11]
	s_or_b64 exec, exec, s[20:21]
	s_and_saveexec_b64 s[14:15], s[18:19]
	s_cbranch_execz .LBB27_384
.LBB27_1193:
	ds_read_b64 v[27:28], v27 offset:23808
	ds_read_b64 v[29:30], v26 offset:20848
	s_waitcnt lgkmcnt(0)
	v_fma_f64 v[10:11], v[27:28], v[29:30], v[10:11]
	s_or_b64 exec, exec, s[14:15]
	v_cmp_gt_u32_e64 s[14:15], 8, v15
	s_and_saveexec_b64 s[20:21], s[14:15]
	s_cbranch_execnz .LBB27_385
	s_branch .LBB27_386
.LBB27_1194:
	ds_read_b64 v[28:29], v27 offset:19200
	ds_read_b64 v[30:31], v26 offset:18728
	s_waitcnt lgkmcnt(0)
	v_fma_f64 v[10:11], v[28:29], v[30:31], v[10:11]
	s_or_b64 exec, exec, s[20:21]
	v_cmp_gt_u32_e64 s[14:15], 8, v15
	s_and_saveexec_b64 s[20:21], s[14:15]
	s_cbranch_execz .LBB27_442
.LBB27_1195:
	ds_read_b64 v[27:28], v27 offset:19712
	ds_read_b64 v[29:30], v26 offset:18736
	s_waitcnt lgkmcnt(0)
	v_fma_f64 v[10:11], v[27:28], v[29:30], v[10:11]
	s_or_b64 exec, exec, s[20:21]
	v_cmp_gt_u32_e64 s[14:15], 4, v15
	s_and_saveexec_b64 s[20:21], s[14:15]
	s_cbranch_execnz .LBB27_443
	s_branch .LBB27_444
.LBB27_1196:
	ds_read_b64 v[31:32], v27 offset:31232
	ds_read_b64 v[33:34], v30 offset:16872
	s_waitcnt lgkmcnt(0)
	v_fma_f64 v[10:11], v[31:32], v[33:34], v[10:11]
	s_or_b64 exec, exec, s[26:27]
	s_and_saveexec_b64 s[20:21], s[8:9]
	s_cbranch_execz .LBB27_540
.LBB27_1197:
	ds_read_b64 v[31:32], v27 offset:31744
	ds_read_b64 v[33:34], v30 offset:16880
	s_waitcnt lgkmcnt(0)
	v_fma_f64 v[10:11], v[31:32], v[33:34], v[10:11]
	s_or_b64 exec, exec, s[20:21]
	v_cmp_gt_u32_e64 s[20:21], 32, v15
	s_and_saveexec_b64 s[26:27], s[20:21]
	s_cbranch_execnz .LBB27_541
	s_branch .LBB27_542
.LBB27_1198:
	ds_read_b64 v[28:29], v27 offset:15040
	ds_read_b64 v[30:31], v26 offset:14568
	s_waitcnt lgkmcnt(0)
	v_fma_f64 v[10:11], v[28:29], v[30:31], v[10:11]
	s_or_b64 exec, exec, s[16:17]
	v_cmp_gt_u32_e64 s[12:13], 8, v15
	s_and_saveexec_b64 s[16:17], s[12:13]
	s_cbranch_execz .LBB27_694
.LBB27_1199:
	ds_read_b64 v[27:28], v27 offset:15552
	ds_read_b64 v[29:30], v26 offset:14576
	s_waitcnt lgkmcnt(0)
	v_fma_f64 v[10:11], v[27:28], v[29:30], v[10:11]
	s_or_b64 exec, exec, s[16:17]
	v_cmp_gt_u32_e64 s[12:13], 4, v15
	s_and_saveexec_b64 s[16:17], s[12:13]
	s_cbranch_execnz .LBB27_695
	s_branch .LBB27_696
.LBB27_1200:
	ds_read_b64 v[28:29], v27 offset:12928
	ds_read_b64 v[30:31], v26 offset:12488
	s_waitcnt lgkmcnt(0)
	v_fma_f64 v[10:11], v[28:29], v[30:31], v[10:11]
	s_or_b64 exec, exec, s[16:17]
	v_cmp_gt_u32_e64 s[12:13], 48, v15
	s_and_saveexec_b64 s[16:17], s[12:13]
	s_cbranch_execz .LBB27_736
.LBB27_1201:
	ds_read_b64 v[28:29], v27 offset:13440
	ds_read_b64 v[30:31], v26 offset:12496
	s_waitcnt lgkmcnt(0)
	v_fma_f64 v[10:11], v[28:29], v[30:31], v[10:11]
	s_or_b64 exec, exec, s[16:17]
	v_cmp_gt_u32_e64 s[12:13], 40, v15
	s_and_saveexec_b64 s[16:17], s[12:13]
	s_cbranch_execz .LBB27_737
.LBB27_1202:
	ds_read_b64 v[28:29], v27 offset:13952
	ds_read_b64 v[30:31], v26 offset:12504
	s_waitcnt lgkmcnt(0)
	v_fma_f64 v[10:11], v[28:29], v[30:31], v[10:11]
	s_or_b64 exec, exec, s[16:17]
	v_cmp_gt_u32_e64 s[12:13], 32, v15
	s_and_saveexec_b64 s[16:17], s[12:13]
	s_cbranch_execz .LBB27_738
.LBB27_1203:
	ds_read_b64 v[28:29], v27 offset:14464
	ds_read_b64 v[30:31], v26 offset:12512
	s_waitcnt lgkmcnt(0)
	v_fma_f64 v[10:11], v[28:29], v[30:31], v[10:11]
	s_or_b64 exec, exec, s[16:17]
	v_cmp_gt_u32_e64 s[12:13], 24, v15
	s_and_saveexec_b64 s[16:17], s[12:13]
	s_cbranch_execz .LBB27_739
.LBB27_1204:
	ds_read_b64 v[28:29], v27 offset:14976
	ds_read_b64 v[30:31], v26 offset:12520
	s_waitcnt lgkmcnt(0)
	v_fma_f64 v[10:11], v[28:29], v[30:31], v[10:11]
	s_or_b64 exec, exec, s[16:17]
	s_and_saveexec_b64 s[12:13], s[18:19]
	s_cbranch_execz .LBB27_740
.LBB27_1205:
	ds_read_b64 v[27:28], v27 offset:15488
	ds_read_b64 v[29:30], v26 offset:12528
	s_waitcnt lgkmcnt(0)
	v_fma_f64 v[10:11], v[27:28], v[29:30], v[10:11]
	s_or_b64 exec, exec, s[12:13]
	v_cmp_gt_u32_e64 s[12:13], 8, v15
	s_and_saveexec_b64 s[16:17], s[12:13]
	s_cbranch_execnz .LBB27_741
	s_branch .LBB27_742
.LBB27_1206:
	ds_read_b64 v[28:29], v27 offset:10880
	ds_read_b64 v[30:31], v26 offset:10408
	s_waitcnt lgkmcnt(0)
	v_fma_f64 v[10:11], v[28:29], v[30:31], v[10:11]
	s_or_b64 exec, exec, s[16:17]
	v_cmp_gt_u32_e64 s[12:13], 8, v15
	s_and_saveexec_b64 s[16:17], s[12:13]
	s_cbranch_execz .LBB27_798
.LBB27_1207:
	ds_read_b64 v[27:28], v27 offset:11392
	ds_read_b64 v[29:30], v26 offset:10416
	s_waitcnt lgkmcnt(0)
	v_fma_f64 v[10:11], v[27:28], v[29:30], v[10:11]
	s_or_b64 exec, exec, s[16:17]
	v_cmp_gt_u32_e64 s[12:13], 4, v15
	s_and_saveexec_b64 s[16:17], s[12:13]
	s_cbranch_execnz .LBB27_799
	s_branch .LBB27_800
.LBB27_1208:
	ds_read_b64 v[28:29], v27 offset:13824
	ds_read_b64 v[30:31], v26 offset:8408
	s_waitcnt lgkmcnt(0)
	v_fma_f64 v[10:11], v[28:29], v[30:31], v[10:11]
	s_or_b64 exec, exec, s[16:17]
	s_and_saveexec_b64 s[12:13], s[8:9]
	s_cbranch_execz .LBB27_860
.LBB27_1209:
	ds_read_b64 v[28:29], v27 offset:14336
	ds_read_b64 v[30:31], v26 offset:8416
	s_waitcnt lgkmcnt(0)
	v_fma_f64 v[10:11], v[28:29], v[30:31], v[10:11]
	s_or_b64 exec, exec, s[12:13]
	v_cmp_gt_u32_e64 s[12:13], 48, v15
	s_and_saveexec_b64 s[16:17], s[12:13]
	s_cbranch_execz .LBB27_861
.LBB27_1210:
	ds_read_b64 v[28:29], v27 offset:14848
	ds_read_b64 v[30:31], v26 offset:8424
	s_waitcnt lgkmcnt(0)
	v_fma_f64 v[10:11], v[28:29], v[30:31], v[10:11]
	s_or_b64 exec, exec, s[16:17]
	v_cmp_gt_u32_e64 s[12:13], 32, v15
	s_and_saveexec_b64 s[16:17], s[12:13]
	s_cbranch_execz .LBB27_862
.LBB27_1211:
	ds_read_b64 v[27:28], v27 offset:15360
	ds_read_b64 v[29:30], v26 offset:8432
	s_waitcnt lgkmcnt(0)
	v_fma_f64 v[10:11], v[27:28], v[29:30], v[10:11]
	s_or_b64 exec, exec, s[16:17]
	v_cmp_gt_u32_e64 s[12:13], 16, v15
	s_and_saveexec_b64 s[16:17], s[12:13]
	s_cbranch_execnz .LBB27_863
	s_branch .LBB27_864
.LBB27_1212:
	ds_read_b64 v[25:26], v24 offset:6720
	ds_read_b64 v[27:28], v23 offset:6248
	s_waitcnt lgkmcnt(0)
	v_fma_f64 v[10:11], v[25:26], v[27:28], v[10:11]
	s_or_b64 exec, exec, s[12:13]
	v_cmp_gt_u32_e64 s[10:11], 8, v15
	s_and_saveexec_b64 s[12:13], s[10:11]
	s_cbranch_execz .LBB27_952
.LBB27_1213:
	ds_read_b64 v[24:25], v24 offset:7232
	ds_read_b64 v[26:27], v23 offset:6256
	s_waitcnt lgkmcnt(0)
	v_fma_f64 v[10:11], v[24:25], v[26:27], v[10:11]
	s_or_b64 exec, exec, s[12:13]
	v_cmp_gt_u32_e64 s[10:11], 4, v15
	s_and_saveexec_b64 s[12:13], s[10:11]
	s_cbranch_execnz .LBB27_953
	s_branch .LBB27_954
.LBB27_1214:
	ds_read_b64 v[25:26], v24 offset:4608
	ds_read_b64 v[27:28], v23 offset:4168
	s_waitcnt lgkmcnt(0)
	v_fma_f64 v[10:11], v[25:26], v[27:28], v[10:11]
	s_or_b64 exec, exec, s[12:13]
	v_cmp_gt_u32_e64 s[10:11], 48, v15
	s_and_saveexec_b64 s[12:13], s[10:11]
	s_cbranch_execz .LBB27_994
.LBB27_1215:
	ds_read_b64 v[25:26], v24 offset:5120
	ds_read_b64 v[27:28], v23 offset:4176
	s_waitcnt lgkmcnt(0)
	v_fma_f64 v[10:11], v[25:26], v[27:28], v[10:11]
	s_or_b64 exec, exec, s[12:13]
	v_cmp_gt_u32_e64 s[10:11], 40, v15
	s_and_saveexec_b64 s[12:13], s[10:11]
	s_cbranch_execz .LBB27_995
.LBB27_1216:
	ds_read_b64 v[25:26], v24 offset:5632
	ds_read_b64 v[27:28], v23 offset:4184
	s_waitcnt lgkmcnt(0)
	v_fma_f64 v[10:11], v[25:26], v[27:28], v[10:11]
	s_or_b64 exec, exec, s[12:13]
	v_cmp_gt_u32_e64 s[10:11], 32, v15
	s_and_saveexec_b64 s[12:13], s[10:11]
	s_cbranch_execz .LBB27_996
.LBB27_1217:
	ds_read_b64 v[25:26], v24 offset:6144
	ds_read_b64 v[27:28], v23 offset:4192
	s_waitcnt lgkmcnt(0)
	v_fma_f64 v[10:11], v[25:26], v[27:28], v[10:11]
	s_or_b64 exec, exec, s[12:13]
	v_cmp_gt_u32_e64 s[10:11], 24, v15
	s_and_saveexec_b64 s[12:13], s[10:11]
	s_cbranch_execz .LBB27_997
.LBB27_1218:
	ds_read_b64 v[25:26], v24 offset:6656
	ds_read_b64 v[27:28], v23 offset:4200
	s_waitcnt lgkmcnt(0)
	v_fma_f64 v[10:11], v[25:26], v[27:28], v[10:11]
	s_or_b64 exec, exec, s[12:13]
	s_and_saveexec_b64 s[10:11], s[18:19]
	s_cbranch_execz .LBB27_998
.LBB27_1219:
	ds_read_b64 v[24:25], v24 offset:7168
	ds_read_b64 v[26:27], v23 offset:4208
	s_waitcnt lgkmcnt(0)
	v_fma_f64 v[10:11], v[24:25], v[26:27], v[10:11]
	s_or_b64 exec, exec, s[10:11]
	v_cmp_gt_u32_e64 s[10:11], 8, v15
	s_and_saveexec_b64 s[12:13], s[10:11]
	s_cbranch_execnz .LBB27_999
	s_branch .LBB27_1000
.LBB27_1220:
	ds_read_b64 v[22:23], v21 offset:2560
	ds_read_b64 v[24:25], v20 offset:2088
	s_waitcnt lgkmcnt(0)
	v_fma_f64 v[10:11], v[22:23], v[24:25], v[10:11]
	s_or_b64 exec, exec, s[10:11]
	v_cmp_gt_u32_e64 s[8:9], 8, v15
	s_and_saveexec_b64 s[10:11], s[8:9]
	s_cbranch_execz .LBB27_1056
.LBB27_1221:
	ds_read_b64 v[21:22], v21 offset:3072
	ds_read_b64 v[23:24], v20 offset:2096
	s_waitcnt lgkmcnt(0)
	v_fma_f64 v[10:11], v[21:22], v[23:24], v[10:11]
	s_or_b64 exec, exec, s[10:11]
	v_cmp_gt_u32_e64 s[8:9], 4, v15
	s_and_saveexec_b64 s[10:11], s[8:9]
	s_cbranch_execnz .LBB27_1057
	s_branch .LBB27_1058
	.section	.rodata,"a",@progbits
	.p2align	6, 0x0
	.amdhsa_kernel _ZL19rocblas_trsv_deviceILi64ELi16ELb0ELb1ELb1ELb1EdPKdS1_PdEviT7_lllT6_T8_lllPii
		.amdhsa_group_segment_fixed_size 41480
		.amdhsa_private_segment_fixed_size 0
		.amdhsa_kernarg_size 352
		.amdhsa_user_sgpr_count 6
		.amdhsa_user_sgpr_private_segment_buffer 1
		.amdhsa_user_sgpr_dispatch_ptr 0
		.amdhsa_user_sgpr_queue_ptr 0
		.amdhsa_user_sgpr_kernarg_segment_ptr 1
		.amdhsa_user_sgpr_dispatch_id 0
		.amdhsa_user_sgpr_flat_scratch_init 0
		.amdhsa_user_sgpr_private_segment_size 0
		.amdhsa_uses_dynamic_stack 0
		.amdhsa_system_sgpr_private_segment_wavefront_offset 0
		.amdhsa_system_sgpr_workgroup_id_x 1
		.amdhsa_system_sgpr_workgroup_id_y 0
		.amdhsa_system_sgpr_workgroup_id_z 1
		.amdhsa_system_sgpr_workgroup_info 0
		.amdhsa_system_vgpr_workitem_id 1
		.amdhsa_next_free_vgpr 49
		.amdhsa_next_free_sgpr 98
		.amdhsa_reserve_vcc 1
		.amdhsa_reserve_flat_scratch 0
		.amdhsa_float_round_mode_32 0
		.amdhsa_float_round_mode_16_64 0
		.amdhsa_float_denorm_mode_32 3
		.amdhsa_float_denorm_mode_16_64 3
		.amdhsa_dx10_clamp 1
		.amdhsa_ieee_mode 1
		.amdhsa_fp16_overflow 0
		.amdhsa_exception_fp_ieee_invalid_op 0
		.amdhsa_exception_fp_denorm_src 0
		.amdhsa_exception_fp_ieee_div_zero 0
		.amdhsa_exception_fp_ieee_overflow 0
		.amdhsa_exception_fp_ieee_underflow 0
		.amdhsa_exception_fp_ieee_inexact 0
		.amdhsa_exception_int_div_zero 0
	.end_amdhsa_kernel
	.section	.text._ZL19rocblas_trsv_deviceILi64ELi16ELb0ELb1ELb1ELb1EdPKdS1_PdEviT7_lllT6_T8_lllPii,"axG",@progbits,_ZL19rocblas_trsv_deviceILi64ELi16ELb0ELb1ELb1ELb1EdPKdS1_PdEviT7_lllT6_T8_lllPii,comdat
.Lfunc_end27:
	.size	_ZL19rocblas_trsv_deviceILi64ELi16ELb0ELb1ELb1ELb1EdPKdS1_PdEviT7_lllT6_T8_lllPii, .Lfunc_end27-_ZL19rocblas_trsv_deviceILi64ELi16ELb0ELb1ELb1ELb1EdPKdS1_PdEviT7_lllT6_T8_lllPii
                                        ; -- End function
	.set _ZL19rocblas_trsv_deviceILi64ELi16ELb0ELb1ELb1ELb1EdPKdS1_PdEviT7_lllT6_T8_lllPii.num_vgpr, 36
	.set _ZL19rocblas_trsv_deviceILi64ELi16ELb0ELb1ELb1ELb1EdPKdS1_PdEviT7_lllT6_T8_lllPii.num_agpr, 0
	.set _ZL19rocblas_trsv_deviceILi64ELi16ELb0ELb1ELb1ELb1EdPKdS1_PdEviT7_lllT6_T8_lllPii.numbered_sgpr, 96
	.set _ZL19rocblas_trsv_deviceILi64ELi16ELb0ELb1ELb1ELb1EdPKdS1_PdEviT7_lllT6_T8_lllPii.num_named_barrier, 0
	.set _ZL19rocblas_trsv_deviceILi64ELi16ELb0ELb1ELb1ELb1EdPKdS1_PdEviT7_lllT6_T8_lllPii.private_seg_size, 0
	.set _ZL19rocblas_trsv_deviceILi64ELi16ELb0ELb1ELb1ELb1EdPKdS1_PdEviT7_lllT6_T8_lllPii.uses_vcc, 1
	.set _ZL19rocblas_trsv_deviceILi64ELi16ELb0ELb1ELb1ELb1EdPKdS1_PdEviT7_lllT6_T8_lllPii.uses_flat_scratch, 0
	.set _ZL19rocblas_trsv_deviceILi64ELi16ELb0ELb1ELb1ELb1EdPKdS1_PdEviT7_lllT6_T8_lllPii.has_dyn_sized_stack, 0
	.set _ZL19rocblas_trsv_deviceILi64ELi16ELb0ELb1ELb1ELb1EdPKdS1_PdEviT7_lllT6_T8_lllPii.has_recursion, 0
	.set _ZL19rocblas_trsv_deviceILi64ELi16ELb0ELb1ELb1ELb1EdPKdS1_PdEviT7_lllT6_T8_lllPii.has_indirect_call, 0
	.section	.AMDGPU.csdata,"",@progbits
; Kernel info:
; codeLenInByte = 36488
; TotalNumSgprs: 100
; NumVgprs: 36
; ScratchSize: 0
; MemoryBound: 0
; FloatMode: 240
; IeeeMode: 1
; LDSByteSize: 41480 bytes/workgroup (compile time only)
; SGPRBlocks: 12
; VGPRBlocks: 12
; NumSGPRsForWavesPerEU: 102
; NumVGPRsForWavesPerEU: 49
; Occupancy: 4
; WaveLimiterHint : 0
; COMPUTE_PGM_RSRC2:SCRATCH_EN: 0
; COMPUTE_PGM_RSRC2:USER_SGPR: 6
; COMPUTE_PGM_RSRC2:TRAP_HANDLER: 0
; COMPUTE_PGM_RSRC2:TGID_X_EN: 1
; COMPUTE_PGM_RSRC2:TGID_Y_EN: 0
; COMPUTE_PGM_RSRC2:TGID_Z_EN: 1
; COMPUTE_PGM_RSRC2:TIDIG_COMP_CNT: 1
	.section	.text._ZL19rocblas_trsv_deviceILi64ELi16ELb0ELb0ELb0ELb0EdPKdS1_PdEviT7_lllT6_T8_lllPii,"axG",@progbits,_ZL19rocblas_trsv_deviceILi64ELi16ELb0ELb0ELb0ELb0EdPKdS1_PdEviT7_lllT6_T8_lllPii,comdat
	.globl	_ZL19rocblas_trsv_deviceILi64ELi16ELb0ELb0ELb0ELb0EdPKdS1_PdEviT7_lllT6_T8_lllPii ; -- Begin function _ZL19rocblas_trsv_deviceILi64ELi16ELb0ELb0ELb0ELb0EdPKdS1_PdEviT7_lllT6_T8_lllPii
	.p2align	8
	.type	_ZL19rocblas_trsv_deviceILi64ELi16ELb0ELb0ELb0ELb0EdPKdS1_PdEviT7_lllT6_T8_lllPii,@function
_ZL19rocblas_trsv_deviceILi64ELi16ELb0ELb0ELb0ELb0EdPKdS1_PdEviT7_lllT6_T8_lllPii: ; @_ZL19rocblas_trsv_deviceILi64ELi16ELb0ELb0ELb0ELb0EdPKdS1_PdEviT7_lllT6_T8_lllPii
; %bb.0:
	s_load_dwordx16 s[16:31], s[4:5], 0x8
	s_load_dword s36, s[4:5], 0x0
	s_mov_b32 s34, s7
	v_mov_b32_e32 v2, v1
	s_mov_b32 s35, 0
	s_waitcnt lgkmcnt(0)
	s_mul_i32 s0, s23, s7
	s_mul_hi_u32 s1, s22, s7
	s_add_i32 s1, s1, s0
	s_mul_i32 s0, s22, s7
	s_load_dword s7, s[4:5], 0x60
	s_lshl_b64 s[0:1], s[0:1], 3
	s_add_u32 s2, s16, s0
	s_addc_u32 s3, s17, s1
	s_lshl_b64 s[0:1], s[18:19], 3
	s_load_dwordx2 s[44:45], s[24:25], 0x0
	s_load_dword s22, s[4:5], 0x6c
	s_add_u32 s85, s2, s0
	s_addc_u32 s86, s3, s1
	s_waitcnt lgkmcnt(0)
	s_add_i32 s7, s7, -1
	s_sub_i32 s87, s7, s6
	s_cmp_lg_u32 s6, 0
	s_cbranch_scc0 .LBB28_994
; %bb.1:
	s_lshl_b32 s33, s87, 6
	v_add3_u32 v1, v2, s33, 64
	v_ashrrev_i32_e32 v3, 31, v1
	v_mul_lo_u32 v7, s20, v3
	v_mul_lo_u32 v8, s21, v1
	v_mad_u64_u32 v[3:4], s[0:1], s20, v1, 0
	v_add_u32_e32 v5, s33, v0
	v_ashrrev_i32_e32 v6, 31, v5
	v_add3_u32 v4, v4, v7, v8
	v_lshlrev_b64 v[3:4], 3, v[3:4]
	v_mov_b32_e32 v7, s86
	v_add_co_u32_e64 v8, s[0:1], s85, v3
	v_addc_co_u32_e64 v7, s[0:1], v7, v4, s[0:1]
	v_lshlrev_b64 v[3:4], 3, v[5:6]
	v_cmp_gt_i32_e32 vcc, s36, v5
	v_add_co_u32_e64 v11, s[0:1], v8, v3
	v_addc_co_u32_e64 v12, s[0:1], v7, v4, s[0:1]
	v_cmp_gt_i32_e64 s[0:1], s36, v1
	v_mov_b32_e32 v5, 0
	v_mov_b32_e32 v3, 0
	;; [unrolled: 1-line block ×4, first 2 shown]
	s_and_b64 s[2:3], vcc, s[0:1]
	s_barrier
	s_and_saveexec_b64 s[0:1], s[2:3]
	s_cbranch_execz .LBB28_3
; %bb.2:
	global_load_dwordx2 v[3:4], v[11:12], off
.LBB28_3:
	s_or_b64 exec, exec, s[0:1]
	v_add_u32_e32 v7, 16, v1
	v_cmp_gt_i32_e64 s[0:1], s36, v7
	s_and_b64 s[0:1], vcc, s[0:1]
	s_waitcnt vmcnt(0)
	s_barrier
	s_and_saveexec_b64 s[2:3], s[0:1]
	s_cbranch_execz .LBB28_5
; %bb.4:
	s_lshl_b64 s[0:1], s[20:21], 7
	v_mov_b32_e32 v6, s1
	v_add_co_u32_e64 v5, s[0:1], s0, v11
	v_addc_co_u32_e64 v6, s[0:1], v12, v6, s[0:1]
	global_load_dwordx2 v[5:6], v[5:6], off
.LBB28_5:
	s_or_b64 exec, exec, s[2:3]
	v_add_u32_e32 v7, 32, v1
	v_cmp_gt_i32_e64 s[0:1], s36, v7
	v_mov_b32_e32 v7, 0
	v_mov_b32_e32 v9, 0
	;; [unrolled: 1-line block ×4, first 2 shown]
	s_and_b64 s[0:1], vcc, s[0:1]
	s_waitcnt vmcnt(0)
	s_barrier
	s_and_saveexec_b64 s[2:3], s[0:1]
	s_cbranch_execz .LBB28_7
; %bb.6:
	s_lshl_b64 s[0:1], s[20:21], 8
	v_mov_b32_e32 v10, s1
	v_add_co_u32_e64 v9, s[0:1], s0, v11
	v_addc_co_u32_e64 v10, s[0:1], v12, v10, s[0:1]
	global_load_dwordx2 v[9:10], v[9:10], off
.LBB28_7:
	s_or_b64 exec, exec, s[2:3]
	v_add_u32_e32 v1, 48, v1
	v_cmp_gt_i32_e64 s[0:1], s36, v1
	s_and_b64 s[2:3], vcc, s[0:1]
	s_waitcnt vmcnt(0)
	s_barrier
	s_and_saveexec_b64 s[0:1], s[2:3]
	s_cbranch_execz .LBB28_9
; %bb.8:
	v_mov_b32_e32 v1, 0x180
	v_mad_u64_u32 v[7:8], s[2:3], s20, v1, v[11:12]
	s_mul_i32 s2, s21, 0x180
	v_add_u32_e32 v8, s2, v8
	global_load_dwordx2 v[7:8], v[7:8], off
.LBB28_9:
	s_or_b64 exec, exec, s[0:1]
	s_branch .LBB28_11
.LBB28_10:
	s_lshl_b32 s33, s87, 6
                                        ; implicit-def: $vgpr3_vgpr4
                                        ; implicit-def: $vgpr5_vgpr6
                                        ; implicit-def: $vgpr9_vgpr10
                                        ; implicit-def: $vgpr7_vgpr8
.LBB28_11:
	s_ashr_i32 s37, s36, 31
	s_lshr_b32 s0, s37, 26
	s_add_i32 s0, s36, s0
	s_andn2_b32 s0, s0, 63
	s_sub_i32 s84, s36, s0
	s_add_i32 s0, s36, -1
	s_ashr_i32 s1, s0, 31
	s_lshr_b32 s1, s1, 26
	s_add_i32 s0, s0, s1
	s_ashr_i32 s0, s0, 6
	s_cmp_eq_u32 s0, s87
	s_cselect_b64 s[0:1], -1, 0
	s_cmp_lg_u32 s84, 0
	s_cselect_b64 s[2:3], -1, 0
	s_and_b64 s[18:19], s[2:3], s[0:1]
	s_ashr_i32 s54, s33, 31
	s_add_u32 s8, s20, 1
	v_mov_b32_e32 v1, 0
	v_mov_b32_e32 v11, s33
	v_mad_u64_u32 v[11:12], s[0:1], s8, v11, v[0:1]
	s_addc_u32 s9, s21, 0
	s_mul_i32 s0, s8, s54
	s_mul_i32 s9, s9, s33
	s_add_i32 s0, s0, s9
	s_mov_b64 s[2:3], -1
	v_add_u32_e32 v12, s0, v12
	s_and_b64 vcc, exec, s[18:19]
	v_cmp_le_u32_e64 s[0:1], v2, v0
	s_cbranch_vccnz .LBB28_33
; %bb.12:
	v_mad_u64_u32 v[15:16], s[2:3], s20, v2, v[11:12]
	v_mov_b32_e32 v1, v16
	v_mad_u64_u32 v[13:14], s[2:3], s21, v2, v[1:2]
	s_mov_b64 s[2:3], 0
	v_mov_b32_e32 v16, v13
                                        ; implicit-def: $vgpr13_vgpr14
	s_and_saveexec_b64 s[8:9], s[0:1]
	s_xor_b64 s[0:1], exec, s[8:9]
	s_cbranch_execnz .LBB28_995
; %bb.13:
	s_andn2_saveexec_b64 s[0:1], s[0:1]
	s_cbranch_execnz .LBB28_1000
.LBB28_14:
	s_or_b64 exec, exec, s[0:1]
	s_and_saveexec_b64 s[0:1], s[2:3]
.LBB28_15:
	v_lshlrev_b32_e32 v1, 3, v0
	v_lshl_add_u32 v1, v2, 9, v1
	ds_write_b64 v1, v[13:14]
.LBB28_16:
	s_or_b64 exec, exec, s[0:1]
	v_add_u32_e32 v1, 16, v2
	v_mad_u64_u32 v[15:16], s[0:1], s20, v1, v[11:12]
	v_cmp_le_u32_e32 vcc, v1, v0
	s_mov_b64 s[2:3], 0
	v_mov_b32_e32 v13, v16
	v_mad_u64_u32 v[13:14], s[0:1], s21, v1, v[13:14]
	v_mov_b32_e32 v16, v13
                                        ; implicit-def: $vgpr13_vgpr14
	s_and_saveexec_b64 s[0:1], vcc
	s_xor_b64 s[0:1], exec, s[0:1]
	s_cbranch_execnz .LBB28_1001
; %bb.17:
	s_andn2_saveexec_b64 s[0:1], s[0:1]
	s_cbranch_execnz .LBB28_1006
.LBB28_18:
	s_or_b64 exec, exec, s[0:1]
	s_and_saveexec_b64 s[0:1], s[2:3]
.LBB28_19:
	v_lshlrev_b32_e32 v15, 3, v0
	v_lshl_add_u32 v1, v1, 9, v15
	ds_write_b64 v1, v[13:14]
.LBB28_20:
	s_or_b64 exec, exec, s[0:1]
	v_add_u32_e32 v1, 32, v2
	v_mad_u64_u32 v[15:16], s[0:1], s20, v1, v[11:12]
	v_cmp_le_u32_e32 vcc, v1, v0
	s_mov_b64 s[2:3], 0
	v_mov_b32_e32 v13, v16
	v_mad_u64_u32 v[13:14], s[0:1], s21, v1, v[13:14]
	v_mov_b32_e32 v16, v13
                                        ; implicit-def: $vgpr13_vgpr14
	s_and_saveexec_b64 s[0:1], vcc
	s_xor_b64 s[0:1], exec, s[0:1]
	s_cbranch_execnz .LBB28_1007
; %bb.21:
	s_andn2_saveexec_b64 s[0:1], s[0:1]
	s_cbranch_execnz .LBB28_1012
.LBB28_22:
	s_or_b64 exec, exec, s[0:1]
	s_and_saveexec_b64 s[0:1], s[2:3]
.LBB28_23:
	v_lshlrev_b32_e32 v15, 3, v0
	v_lshl_add_u32 v1, v1, 9, v15
	ds_write_b64 v1, v[13:14]
.LBB28_24:
	s_or_b64 exec, exec, s[0:1]
	v_add_u32_e32 v1, 48, v2
	v_mad_u64_u32 v[15:16], s[0:1], s20, v1, v[11:12]
	v_cmp_le_u32_e32 vcc, v1, v0
	s_mov_b64 s[8:9], 0
	v_mov_b32_e32 v13, v16
	v_mad_u64_u32 v[13:14], s[0:1], s21, v1, v[13:14]
	v_mov_b32_e32 v16, v13
                                        ; implicit-def: $vgpr13_vgpr14
	s_and_saveexec_b64 s[0:1], vcc
	s_xor_b64 s[0:1], exec, s[0:1]
	s_cbranch_execz .LBB28_30
; %bb.25:
	v_cmp_ne_u32_e32 vcc, v0, v1
	s_mov_b64 s[2:3], 0
	s_and_saveexec_b64 s[8:9], vcc
	s_xor_b64 s[8:9], exec, s[8:9]
; %bb.26:
	v_or_b32_e32 v13, v1, v0
	v_cmp_gt_u32_e32 vcc, 64, v13
	s_and_b64 s[2:3], vcc, exec
                                        ; implicit-def: $vgpr15_vgpr16
; %bb.27:
	s_or_saveexec_b64 s[8:9], s[8:9]
	v_mov_b32_e32 v13, 0
	v_mov_b32_e32 v14, 0
	s_xor_b64 exec, exec, s[8:9]
	s_cbranch_execz .LBB28_29
; %bb.28:
	v_lshlrev_b64 v[13:14], 3, v[15:16]
	v_mov_b32_e32 v1, s86
	v_add_co_u32_e32 v13, vcc, s85, v13
	v_addc_co_u32_e32 v14, vcc, v1, v14, vcc
	global_load_dwordx2 v[13:14], v[13:14], off
	s_or_b64 s[2:3], s[2:3], exec
	v_mov_b32_e32 v1, v0
	s_waitcnt vmcnt(0)
	v_div_scale_f64 v[15:16], s[10:11], v[13:14], v[13:14], 1.0
	v_div_scale_f64 v[21:22], vcc, 1.0, v[13:14], 1.0
	v_rcp_f64_e32 v[17:18], v[15:16]
	v_fma_f64 v[19:20], -v[15:16], v[17:18], 1.0
	v_fma_f64 v[17:18], v[17:18], v[19:20], v[17:18]
	v_fma_f64 v[19:20], -v[15:16], v[17:18], 1.0
	v_fma_f64 v[17:18], v[17:18], v[19:20], v[17:18]
	v_mul_f64 v[19:20], v[21:22], v[17:18]
	v_fma_f64 v[15:16], -v[15:16], v[19:20], v[21:22]
	v_div_fmas_f64 v[15:16], v[15:16], v[17:18], v[19:20]
	v_div_fixup_f64 v[13:14], v[15:16], v[13:14], 1.0
.LBB28_29:
	s_or_b64 exec, exec, s[8:9]
	s_and_b64 s[8:9], s[2:3], exec
                                        ; implicit-def: $vgpr15_vgpr16
.LBB28_30:
	s_andn2_saveexec_b64 s[0:1], s[0:1]
	s_cbranch_execz .LBB28_32
; %bb.31:
	v_lshlrev_b64 v[13:14], 3, v[15:16]
	v_mov_b32_e32 v15, s86
	v_add_co_u32_e32 v13, vcc, s85, v13
	v_addc_co_u32_e32 v14, vcc, v15, v14, vcc
	global_load_dwordx2 v[13:14], v[13:14], off
	s_or_b64 s[8:9], s[8:9], exec
	s_waitcnt vmcnt(0)
	v_xor_b32_e32 v14, 0x80000000, v14
.LBB28_32:
	s_or_b64 exec, exec, s[0:1]
	s_branch .LBB28_55
.LBB28_33:
	s_mov_b64 s[8:9], 0
                                        ; implicit-def: $vgpr13_vgpr14
                                        ; implicit-def: $vgpr1
	s_and_b64 vcc, exec, s[2:3]
	s_cbranch_vccz .LBB28_55
; %bb.34:
	v_mad_u64_u32 v[13:14], s[0:1], s20, v2, v[11:12]
	v_cmp_le_u32_e32 vcc, v2, v0
	v_cmp_gt_i32_e64 s[0:1], s84, v0
	v_mov_b32_e32 v1, v14
	v_mad_u64_u32 v[14:15], s[2:3], s21, v2, v[1:2]
	v_max_i32_e32 v1, v2, v0
	v_cmp_le_i32_e64 s[2:3], s84, v1
	s_or_b64 s[2:3], s[2:3], vcc
	s_mov_b64 s[10:11], 0
                                        ; implicit-def: $vgpr15_vgpr16
	s_and_saveexec_b64 s[12:13], s[2:3]
	s_xor_b64 s[2:3], exec, s[12:13]
	s_cbranch_execnz .LBB28_1013
; %bb.35:
	s_andn2_saveexec_b64 s[2:3], s[2:3]
	s_cbranch_execnz .LBB28_1018
.LBB28_36:
	s_or_b64 exec, exec, s[2:3]
	s_and_saveexec_b64 s[2:3], s[10:11]
.LBB28_37:
	v_lshlrev_b32_e32 v1, 3, v0
	v_lshl_add_u32 v1, v2, 9, v1
	ds_write_b64 v1, v[15:16]
.LBB28_38:
	s_or_b64 exec, exec, s[2:3]
	v_add_u32_e32 v1, 16, v2
	v_mad_u64_u32 v[13:14], s[2:3], s20, v1, v[11:12]
	v_cmp_gt_u32_e32 vcc, v1, v0
	s_mov_b64 s[10:11], 0
	v_mad_u64_u32 v[14:15], s[2:3], s21, v1, v[14:15]
	v_cmp_gt_i32_e64 s[2:3], s84, v1
	s_and_b64 s[2:3], vcc, s[2:3]
	s_and_b64 s[2:3], s[0:1], s[2:3]
	s_xor_b64 s[2:3], s[2:3], -1
                                        ; implicit-def: $vgpr15_vgpr16
	s_and_saveexec_b64 s[12:13], s[2:3]
	s_xor_b64 s[2:3], exec, s[12:13]
	s_cbranch_execnz .LBB28_1019
; %bb.39:
	s_andn2_saveexec_b64 s[2:3], s[2:3]
	s_cbranch_execnz .LBB28_1024
.LBB28_40:
	s_or_b64 exec, exec, s[2:3]
	s_and_saveexec_b64 s[2:3], s[10:11]
.LBB28_41:
	v_lshlrev_b32_e32 v13, 3, v0
	v_lshl_add_u32 v1, v1, 9, v13
	ds_write_b64 v1, v[15:16]
.LBB28_42:
	s_or_b64 exec, exec, s[2:3]
	v_add_u32_e32 v1, 32, v2
	v_mad_u64_u32 v[13:14], s[2:3], s20, v1, v[11:12]
	v_cmp_gt_u32_e32 vcc, v1, v0
	s_mov_b64 s[10:11], 0
	v_mad_u64_u32 v[14:15], s[2:3], s21, v1, v[14:15]
	v_cmp_gt_i32_e64 s[2:3], s84, v1
	s_and_b64 s[2:3], vcc, s[2:3]
	s_and_b64 s[2:3], s[0:1], s[2:3]
	s_xor_b64 s[2:3], s[2:3], -1
                                        ; implicit-def: $vgpr15_vgpr16
	s_and_saveexec_b64 s[12:13], s[2:3]
	s_xor_b64 s[2:3], exec, s[12:13]
	s_cbranch_execnz .LBB28_1025
; %bb.43:
	s_andn2_saveexec_b64 s[2:3], s[2:3]
	s_cbranch_execnz .LBB28_1030
.LBB28_44:
	s_or_b64 exec, exec, s[2:3]
	s_and_saveexec_b64 s[2:3], s[10:11]
.LBB28_45:
	v_lshlrev_b32_e32 v13, 3, v0
	v_lshl_add_u32 v1, v1, 9, v13
	ds_write_b64 v1, v[15:16]
.LBB28_46:
	s_or_b64 exec, exec, s[2:3]
	v_add_u32_e32 v1, 48, v2
	v_mad_u64_u32 v[11:12], s[2:3], s20, v1, v[11:12]
	v_cmp_gt_u32_e32 vcc, v1, v0
	v_mad_u64_u32 v[12:13], s[2:3], s21, v1, v[12:13]
	v_cmp_gt_i32_e64 s[2:3], s84, v1
	s_and_b64 s[2:3], vcc, s[2:3]
	s_and_b64 s[2:3], s[0:1], s[2:3]
	s_xor_b64 s[2:3], s[2:3], -1
                                        ; implicit-def: $vgpr13_vgpr14
	s_and_saveexec_b64 s[10:11], s[2:3]
	s_xor_b64 s[2:3], exec, s[10:11]
	s_cbranch_execz .LBB28_52
; %bb.47:
	v_cmp_ne_u32_e32 vcc, v0, v1
	s_xor_b64 s[0:1], s[0:1], -1
	s_or_b64 s[10:11], s[0:1], vcc
	s_mov_b64 s[0:1], s[8:9]
	s_and_saveexec_b64 s[12:13], s[10:11]
	s_xor_b64 s[10:11], exec, s[12:13]
; %bb.48:
	v_or_b32_e32 v11, v1, v0
	v_cmp_gt_u32_e32 vcc, 64, v11
	s_andn2_b64 s[0:1], s[8:9], exec
	s_and_b64 s[12:13], vcc, exec
	s_or_b64 s[0:1], s[0:1], s[12:13]
                                        ; implicit-def: $vgpr11_vgpr12
; %bb.49:
	s_or_saveexec_b64 s[10:11], s[10:11]
	v_mov_b32_e32 v13, 0
	v_mov_b32_e32 v14, 0
	s_xor_b64 exec, exec, s[10:11]
	s_cbranch_execz .LBB28_51
; %bb.50:
	v_lshlrev_b64 v[11:12], 3, v[11:12]
	v_mov_b32_e32 v1, s86
	v_add_co_u32_e32 v11, vcc, s85, v11
	v_addc_co_u32_e32 v12, vcc, v1, v12, vcc
	global_load_dwordx2 v[11:12], v[11:12], off
	s_or_b64 s[0:1], s[0:1], exec
	v_mov_b32_e32 v1, v0
	s_waitcnt vmcnt(0)
	v_div_scale_f64 v[13:14], s[12:13], v[11:12], v[11:12], 1.0
	v_div_scale_f64 v[19:20], vcc, 1.0, v[11:12], 1.0
	v_rcp_f64_e32 v[15:16], v[13:14]
	v_fma_f64 v[17:18], -v[13:14], v[15:16], 1.0
	v_fma_f64 v[15:16], v[15:16], v[17:18], v[15:16]
	v_fma_f64 v[17:18], -v[13:14], v[15:16], 1.0
	v_fma_f64 v[15:16], v[15:16], v[17:18], v[15:16]
	v_mul_f64 v[17:18], v[19:20], v[15:16]
	v_fma_f64 v[13:14], -v[13:14], v[17:18], v[19:20]
	v_div_fmas_f64 v[13:14], v[13:14], v[15:16], v[17:18]
	v_div_fixup_f64 v[13:14], v[13:14], v[11:12], 1.0
.LBB28_51:
	s_or_b64 exec, exec, s[10:11]
	s_andn2_b64 s[8:9], s[8:9], exec
	s_and_b64 s[0:1], s[0:1], exec
	s_or_b64 s[8:9], s[8:9], s[0:1]
                                        ; implicit-def: $vgpr11_vgpr12
.LBB28_52:
	s_andn2_saveexec_b64 s[0:1], s[2:3]
	s_cbranch_execz .LBB28_54
; %bb.53:
	v_lshlrev_b64 v[11:12], 3, v[11:12]
	v_mov_b32_e32 v13, s86
	v_add_co_u32_e32 v11, vcc, s85, v11
	v_addc_co_u32_e32 v12, vcc, v13, v12, vcc
	global_load_dwordx2 v[13:14], v[11:12], off
	s_or_b64 s[8:9], s[8:9], exec
	s_waitcnt vmcnt(0)
	v_xor_b32_e32 v14, 0x80000000, v14
.LBB28_54:
	s_or_b64 exec, exec, s[0:1]
.LBB28_55:
	s_and_saveexec_b64 s[0:1], s[8:9]
; %bb.56:
	v_lshlrev_b32_e32 v11, 3, v0
	v_lshl_add_u32 v1, v1, 9, v11
	ds_write_b64 v1, v[13:14]
; %bb.57:
	s_or_b64 exec, exec, s[0:1]
	s_cmp_lt_i32 s6, 5
	s_cselect_b64 s[0:1], -1, 0
	s_or_b64 s[24:25], s[0:1], s[18:19]
	s_and_b64 vcc, exec, s[24:25]
	s_waitcnt vmcnt(0) lgkmcnt(0)
	s_barrier
	s_cbranch_vccnz .LBB28_925
; %bb.58:
	v_or_b32_e32 v1, v0, v2
	v_cmp_eq_u32_e32 vcc, 0, v1
	s_and_saveexec_b64 s[0:1], vcc
	s_cbranch_execz .LBB28_60
; %bb.59:
	v_mov_b32_e32 v1, 0
	ds_read_b128 v[11:14], v1 offset:32752
	ds_read_b64 v[15:16], v1 offset:32240
	s_waitcnt lgkmcnt(0)
	v_mul_f64 v[13:14], v[15:16], v[13:14]
	v_mul_f64 v[11:12], v[11:12], v[13:14]
	ds_write_b64 v1, v[11:12] offset:32752
.LBB28_60:
	s_or_b64 exec, exec, s[0:1]
	v_lshlrev_b32_e32 v11, 6, v2
	v_add_u32_e32 v15, v11, v0
	v_and_b32_e32 v12, v11, v0
	v_xor_b32_e32 v11, v11, v0
	v_lshrrev_b16_e32 v11, 1, v11
	v_add_u16_e32 v14, v12, v11
	v_mov_b32_e32 v11, 0
	v_and_b32_e32 v1, 1, v0
	v_sub_u32_e32 v13, 1, v14
	v_cmp_lt_u32_e64 s[2:3], 3, v15
	v_mov_b32_e32 v12, 0
	v_cmp_gt_u32_e64 s[0:1], 4, v15
	s_waitcnt lgkmcnt(0)
	s_barrier
	buffer_wbinvl1_vol
	s_and_saveexec_b64 s[10:11], s[0:1]
	s_cbranch_execz .LBB28_64
; %bb.61:
	v_lshlrev_b32_e32 v16, 9, v13
	v_lshlrev_b32_e32 v11, 3, v1
	ds_read_b64 v[11:12], v11 offset:32224
	ds_read_b64 v[16:17], v16 offset:32240
	v_cmp_gt_u32_e64 s[8:9], 2, v15
	s_waitcnt lgkmcnt(0)
	v_fma_f64 v[11:12], v[11:12], v[16:17], 0
	s_and_saveexec_b64 s[12:13], s[8:9]
	s_cbranch_execz .LBB28_63
; %bb.62:
	v_lshlrev_b32_e32 v16, 3, v0
	v_mov_b32_e32 v18, 0
	ds_read_b64 v[16:17], v16 offset:32736
	ds_read_b64 v[18:19], v18 offset:32760
	s_waitcnt lgkmcnt(0)
	v_fma_f64 v[11:12], v[16:17], v[18:19], v[11:12]
.LBB28_63:
	s_or_b64 exec, exec, s[12:13]
.LBB28_64:
	s_or_b64 exec, exec, s[10:11]
	v_mov_b32_e32 v16, 0x8000
	v_cmp_ne_u32_e64 s[8:9], 0, v1
	s_xor_b64 s[10:11], s[2:3], -1
	v_lshl_add_u32 v14, v14, 3, v16
	s_and_b64 s[40:41], s[8:9], s[10:11]
	s_and_saveexec_b64 s[2:3], s[40:41]
	s_cbranch_execz .LBB28_66
; %bb.65:
	v_mov_b32_e32 v16, 0
	ds_read_b64 v[16:17], v16 offset:31720
	s_waitcnt lgkmcnt(0)
	v_mul_f64 v[11:12], v[11:12], v[16:17]
	v_xor_b32_e32 v17, 0x80000000, v12
	v_mov_b32_e32 v16, v11
	ds_write_b64 v14, v[16:17]
.LBB28_66:
	s_or_b64 exec, exec, s[2:3]
	v_cmp_eq_u32_e64 s[2:3], 0, v1
	s_and_b64 s[38:39], s[2:3], s[10:11]
	s_waitcnt lgkmcnt(0)
	s_barrier
	s_and_saveexec_b64 s[2:3], s[38:39]
	s_cbranch_execz .LBB28_68
; %bb.67:
	v_mov_b32_e32 v16, 0
	ds_read_b64 v[16:17], v16 offset:31712
	ds_read_b64 v[18:19], v14
	s_waitcnt lgkmcnt(0)
	v_fma_f64 v[11:12], -v[16:17], v[18:19], v[11:12]
.LBB28_68:
	s_or_b64 exec, exec, s[2:3]
	s_barrier
	s_and_saveexec_b64 s[2:3], s[38:39]
	s_cbranch_execz .LBB28_70
; %bb.69:
	v_mov_b32_e32 v16, 0
	ds_read_b64 v[16:17], v16 offset:31200
	s_waitcnt lgkmcnt(0)
	v_mul_f64 v[11:12], v[11:12], v[16:17]
	v_xor_b32_e32 v17, 0x80000000, v12
	v_mov_b32_e32 v16, v11
	ds_write_b64 v14, v[16:17]
.LBB28_70:
	s_or_b64 exec, exec, s[2:3]
	s_waitcnt lgkmcnt(0)
	s_barrier
	s_barrier
	s_and_saveexec_b64 s[2:3], s[0:1]
; %bb.71:
	v_lshlrev_b32_e32 v16, 3, v1
	v_lshl_or_b32 v16, v13, 9, v16
	ds_write_b64 v16, v[11:12] offset:32224
; %bb.72:
	s_or_b64 exec, exec, s[2:3]
	s_waitcnt lgkmcnt(0)
	s_barrier
	s_barrier
	s_and_saveexec_b64 s[2:3], vcc
	s_cbranch_execz .LBB28_74
; %bb.73:
	v_mov_b32_e32 v20, 0
	ds_read_b128 v[16:19], v20 offset:31712
	ds_read_b64 v[11:12], v20 offset:31200
	s_waitcnt lgkmcnt(0)
	v_mul_f64 v[11:12], v[11:12], v[18:19]
	v_mul_f64 v[11:12], v[16:17], v[11:12]
	ds_write_b64 v20, v[11:12] offset:31712
.LBB28_74:
	s_or_b64 exec, exec, s[2:3]
	v_lshrrev_b32_e32 v18, 2, v15
	v_mov_b32_e32 v11, 0
	v_and_b32_e32 v16, 3, v0
	v_sub_u32_e32 v17, 3, v18
	v_cmp_lt_u32_e64 s[8:9], 15, v15
	v_mov_b32_e32 v12, 0
	v_cmp_gt_u32_e64 s[2:3], 16, v15
	s_waitcnt lgkmcnt(0)
	s_barrier
	buffer_wbinvl1_vol
	s_and_saveexec_b64 s[12:13], s[2:3]
	s_cbranch_execz .LBB28_80
; %bb.75:
	v_lshlrev_b32_e32 v20, 3, v16
	v_lshlrev_b32_e32 v19, 9, v17
	ds_read_b64 v[11:12], v20 offset:31168
	ds_read_b64 v[21:22], v19 offset:31200
	v_cmp_gt_u32_e64 s[10:11], 12, v15
	s_waitcnt lgkmcnt(0)
	v_fma_f64 v[11:12], v[11:12], v[21:22], 0
	s_and_saveexec_b64 s[14:15], s[10:11]
	s_cbranch_execnz .LBB28_1035
; %bb.76:
	s_or_b64 exec, exec, s[14:15]
	v_cmp_gt_u32_e64 s[10:11], 8, v15
	s_and_saveexec_b64 s[14:15], s[10:11]
	s_cbranch_execnz .LBB28_1036
.LBB28_77:
	s_or_b64 exec, exec, s[14:15]
	v_cmp_gt_u32_e64 s[10:11], 4, v15
	s_and_saveexec_b64 s[14:15], s[10:11]
	s_cbranch_execz .LBB28_79
.LBB28_78:
	v_lshlrev_b32_e32 v19, 3, v0
	v_mov_b32_e32 v21, 0
	ds_read_b64 v[19:20], v19 offset:32704
	ds_read_b64 v[21:22], v21 offset:32760
	s_waitcnt lgkmcnt(0)
	v_fma_f64 v[11:12], v[19:20], v[21:22], v[11:12]
.LBB28_79:
	s_or_b64 exec, exec, s[14:15]
.LBB28_80:
                                        ; implicit-def: $vgpr36 : SGPR spill to VGPR lane
	v_writelane_b32 v36, s44, 0
	v_writelane_b32 v36, s45, 1
	s_or_b64 exec, exec, s[12:13]
	v_mov_b32_e32 v19, 0x8000
	v_cmp_eq_u32_e64 s[10:11], 3, v16
	s_xor_b64 s[12:13], s[8:9], -1
	v_lshl_add_u32 v18, v18, 3, v19
	s_and_b64 s[44:45], s[10:11], s[12:13]
	s_and_saveexec_b64 s[8:9], s[44:45]
	s_cbranch_execz .LBB28_82
; %bb.81:
	v_mov_b32_e32 v19, 0
	ds_read_b64 v[19:20], v19 offset:30680
	s_waitcnt lgkmcnt(0)
	v_mul_f64 v[11:12], v[11:12], v[19:20]
	v_xor_b32_e32 v20, 0x80000000, v12
	v_mov_b32_e32 v19, v11
	ds_write_b64 v18, v[19:20]
.LBB28_82:
	s_or_b64 exec, exec, s[8:9]
	v_cmp_ne_u32_e64 s[8:9], 3, v16
	s_and_b64 s[46:47], s[8:9], s[12:13]
	s_waitcnt lgkmcnt(0)
	s_barrier
	s_and_saveexec_b64 s[8:9], s[46:47]
	s_cbranch_execz .LBB28_84
; %bb.83:
	v_lshlrev_b32_e32 v19, 3, v16
	ds_read_b64 v[19:20], v19 offset:30656
	ds_read_b64 v[21:22], v18
	s_waitcnt lgkmcnt(0)
	v_fma_f64 v[11:12], -v[19:20], v[21:22], v[11:12]
.LBB28_84:
	s_or_b64 exec, exec, s[8:9]
	v_cmp_eq_u32_e64 s[8:9], 2, v16
	s_and_b64 s[48:49], s[8:9], s[12:13]
	s_barrier
	s_and_saveexec_b64 s[8:9], s[48:49]
	s_cbranch_execz .LBB28_86
; %bb.85:
	v_mov_b32_e32 v19, 0
	ds_read_b64 v[19:20], v19 offset:30160
	s_waitcnt lgkmcnt(0)
	v_mul_f64 v[11:12], v[11:12], v[19:20]
	v_xor_b32_e32 v20, 0x80000000, v12
	v_mov_b32_e32 v19, v11
	ds_write_b64 v18, v[19:20]
.LBB28_86:
	s_or_b64 exec, exec, s[8:9]
	v_cmp_gt_u32_e64 s[8:9], 2, v16
	s_and_b64 s[50:51], s[8:9], s[12:13]
	s_waitcnt lgkmcnt(0)
	s_barrier
	s_and_saveexec_b64 s[8:9], s[50:51]
	s_cbranch_execz .LBB28_88
; %bb.87:
	v_lshlrev_b32_e32 v19, 3, v16
	ds_read_b64 v[19:20], v19 offset:30144
	ds_read_b64 v[21:22], v18
	s_waitcnt lgkmcnt(0)
	v_fma_f64 v[11:12], -v[19:20], v[21:22], v[11:12]
.LBB28_88:
	s_or_b64 exec, exec, s[8:9]
	v_cmp_eq_u32_e64 s[8:9], 1, v16
	s_and_b64 s[52:53], s[8:9], s[12:13]
	s_barrier
	s_and_saveexec_b64 s[8:9], s[52:53]
	s_cbranch_execz .LBB28_90
; %bb.89:
	v_mov_b32_e32 v19, 0
	ds_read_b64 v[19:20], v19 offset:29640
	s_waitcnt lgkmcnt(0)
	v_mul_f64 v[11:12], v[11:12], v[19:20]
	v_xor_b32_e32 v20, 0x80000000, v12
	v_mov_b32_e32 v19, v11
	ds_write_b64 v18, v[19:20]
.LBB28_90:
	s_or_b64 exec, exec, s[8:9]
	v_cmp_eq_u32_e64 s[8:9], 0, v16
	s_and_b64 s[42:43], s[8:9], s[12:13]
	s_waitcnt lgkmcnt(0)
	s_barrier
	s_and_saveexec_b64 s[8:9], s[42:43]
	s_cbranch_execz .LBB28_92
; %bb.91:
	v_mov_b32_e32 v19, 0
	ds_read_b64 v[19:20], v19 offset:29632
	ds_read_b64 v[21:22], v18
	s_waitcnt lgkmcnt(0)
	v_fma_f64 v[11:12], -v[19:20], v[21:22], v[11:12]
.LBB28_92:
	s_or_b64 exec, exec, s[8:9]
	s_barrier
	s_and_saveexec_b64 s[8:9], s[42:43]
	s_cbranch_execz .LBB28_94
; %bb.93:
	v_mov_b32_e32 v19, 0
	ds_read_b64 v[19:20], v19 offset:29120
	s_waitcnt lgkmcnt(0)
	v_mul_f64 v[11:12], v[11:12], v[19:20]
	v_xor_b32_e32 v20, 0x80000000, v12
	v_mov_b32_e32 v19, v11
	ds_write_b64 v18, v[19:20]
.LBB28_94:
	s_or_b64 exec, exec, s[8:9]
	s_waitcnt lgkmcnt(0)
	s_barrier
	s_barrier
	s_and_saveexec_b64 s[8:9], s[2:3]
; %bb.95:
	v_lshlrev_b32_e32 v19, 3, v16
	v_lshl_or_b32 v19, v17, 9, v19
	ds_write_b64 v19, v[11:12] offset:31168
; %bb.96:
	s_or_b64 exec, exec, s[8:9]
	s_waitcnt lgkmcnt(0)
	s_barrier
	s_barrier
	s_and_saveexec_b64 s[8:9], vcc
	s_cbranch_execz .LBB28_98
; %bb.97:
	v_mov_b32_e32 v23, 0
	ds_read_b128 v[19:22], v23 offset:30672
	ds_read_b64 v[11:12], v23 offset:30160
	s_waitcnt lgkmcnt(0)
	v_mul_f64 v[11:12], v[11:12], v[21:22]
	v_mul_f64 v[11:12], v[19:20], v[11:12]
	ds_write_b64 v23, v[11:12] offset:30672
.LBB28_98:
	s_or_b64 exec, exec, s[8:9]
	v_mov_b32_e32 v11, 0
	v_mov_b32_e32 v12, 0
	s_waitcnt lgkmcnt(0)
	s_barrier
	buffer_wbinvl1_vol
	s_and_saveexec_b64 s[10:11], s[0:1]
	s_cbranch_execz .LBB28_102
; %bb.99:
	v_lshlrev_b32_e32 v19, 9, v13
	v_lshlrev_b32_e32 v11, 3, v1
	ds_read_b64 v[11:12], v11 offset:30144
	ds_read_b64 v[19:20], v19 offset:30160
	v_cmp_gt_u32_e64 s[8:9], 2, v15
	s_waitcnt lgkmcnt(0)
	v_fma_f64 v[11:12], v[11:12], v[19:20], 0
	s_and_saveexec_b64 s[12:13], s[8:9]
	s_cbranch_execz .LBB28_101
; %bb.100:
	v_lshlrev_b32_e32 v19, 3, v0
	v_mov_b32_e32 v21, 0
	ds_read_b64 v[19:20], v19 offset:30656
	ds_read_b64 v[21:22], v21 offset:30680
	s_waitcnt lgkmcnt(0)
	v_fma_f64 v[11:12], v[19:20], v[21:22], v[11:12]
.LBB28_101:
	s_or_b64 exec, exec, s[12:13]
.LBB28_102:
	s_or_b64 exec, exec, s[10:11]
	s_and_saveexec_b64 s[8:9], s[40:41]
	s_cbranch_execz .LBB28_104
; %bb.103:
	v_mov_b32_e32 v19, 0
	ds_read_b64 v[19:20], v19 offset:29640
	s_waitcnt lgkmcnt(0)
	v_mul_f64 v[11:12], v[11:12], v[19:20]
	v_xor_b32_e32 v20, 0x80000000, v12
	v_mov_b32_e32 v19, v11
	ds_write_b64 v14, v[19:20]
.LBB28_104:
	s_or_b64 exec, exec, s[8:9]
	s_waitcnt lgkmcnt(0)
	s_barrier
	s_and_saveexec_b64 s[8:9], s[38:39]
	s_cbranch_execz .LBB28_106
; %bb.105:
	v_mov_b32_e32 v19, 0
	ds_read_b64 v[19:20], v19 offset:29632
	ds_read_b64 v[21:22], v14
	s_waitcnt lgkmcnt(0)
	v_fma_f64 v[11:12], -v[19:20], v[21:22], v[11:12]
.LBB28_106:
	s_or_b64 exec, exec, s[8:9]
	s_barrier
	s_and_saveexec_b64 s[8:9], s[38:39]
	s_cbranch_execz .LBB28_108
; %bb.107:
	v_mov_b32_e32 v19, 0
	ds_read_b64 v[19:20], v19 offset:29120
	s_waitcnt lgkmcnt(0)
	v_mul_f64 v[11:12], v[11:12], v[19:20]
	v_xor_b32_e32 v20, 0x80000000, v12
	v_mov_b32_e32 v19, v11
	ds_write_b64 v14, v[19:20]
.LBB28_108:
	s_or_b64 exec, exec, s[8:9]
	s_waitcnt lgkmcnt(0)
	s_barrier
	s_barrier
	s_and_saveexec_b64 s[8:9], s[0:1]
; %bb.109:
	v_lshlrev_b32_e32 v19, 3, v1
	v_lshl_or_b32 v19, v13, 9, v19
	ds_write_b64 v19, v[11:12] offset:30144
; %bb.110:
	s_or_b64 exec, exec, s[8:9]
	s_waitcnt lgkmcnt(0)
	s_barrier
	s_barrier
	s_and_saveexec_b64 s[8:9], vcc
	s_cbranch_execz .LBB28_112
; %bb.111:
	v_mov_b32_e32 v23, 0
	ds_read_b128 v[19:22], v23 offset:29632
	ds_read_b64 v[11:12], v23 offset:29120
	s_waitcnt lgkmcnt(0)
	v_mul_f64 v[11:12], v[11:12], v[21:22]
	v_mul_f64 v[11:12], v[19:20], v[11:12]
	ds_write_b64 v23, v[11:12] offset:29632
.LBB28_112:
	s_or_b64 exec, exec, s[8:9]
	v_lshrrev_b32_e32 v21, 3, v15
	v_mov_b32_e32 v11, 0
	v_and_b32_e32 v19, 7, v0
	v_sub_u32_e32 v20, 7, v21
	v_cmp_lt_u32_e64 s[8:9], 63, v15
	v_mov_b32_e32 v12, 0
	v_cmp_gt_u32_e64 s[14:15], 64, v15
	s_waitcnt lgkmcnt(0)
	s_barrier
	buffer_wbinvl1_vol
	s_and_saveexec_b64 s[12:13], s[14:15]
	s_cbranch_execz .LBB28_122
; %bb.113:
	v_lshlrev_b32_e32 v23, 3, v19
	v_lshlrev_b32_e32 v22, 9, v20
	ds_read_b64 v[11:12], v23 offset:29056
	ds_read_b64 v[24:25], v22 offset:29120
	v_cmp_gt_u32_e64 s[10:11], 56, v15
	s_waitcnt lgkmcnt(0)
	v_fma_f64 v[11:12], v[11:12], v[24:25], 0
	s_and_saveexec_b64 s[16:17], s[10:11]
	s_cbranch_execnz .LBB28_1037
; %bb.114:
	s_or_b64 exec, exec, s[16:17]
	v_cmp_gt_u32_e64 s[10:11], 48, v15
	s_and_saveexec_b64 s[16:17], s[10:11]
	s_cbranch_execnz .LBB28_1038
.LBB28_115:
	s_or_b64 exec, exec, s[16:17]
	v_cmp_gt_u32_e64 s[10:11], 40, v15
	s_and_saveexec_b64 s[16:17], s[10:11]
	s_cbranch_execnz .LBB28_1039
.LBB28_116:
	s_or_b64 exec, exec, s[16:17]
	v_cmp_gt_u32_e64 s[10:11], 32, v15
	s_and_saveexec_b64 s[16:17], s[10:11]
	s_cbranch_execnz .LBB28_1040
.LBB28_117:
	s_or_b64 exec, exec, s[16:17]
	v_cmp_gt_u32_e64 s[10:11], 24, v15
	s_and_saveexec_b64 s[16:17], s[10:11]
	s_cbranch_execnz .LBB28_1041
.LBB28_118:
	s_or_b64 exec, exec, s[16:17]
	s_and_saveexec_b64 s[10:11], s[2:3]
	s_cbranch_execnz .LBB28_1042
.LBB28_119:
	s_or_b64 exec, exec, s[10:11]
	v_cmp_gt_u32_e64 s[10:11], 8, v15
	s_and_saveexec_b64 s[16:17], s[10:11]
	s_cbranch_execz .LBB28_121
.LBB28_120:
	v_lshlrev_b32_e32 v22, 3, v0
	v_mov_b32_e32 v24, 0
	ds_read_b64 v[22:23], v22 offset:32640
	ds_read_b64 v[24:25], v24 offset:32760
	s_waitcnt lgkmcnt(0)
	v_fma_f64 v[11:12], v[22:23], v[24:25], v[11:12]
.LBB28_121:
	s_or_b64 exec, exec, s[16:17]
.LBB28_122:
	v_writelane_b32 v36, s54, 2
	s_or_b64 exec, exec, s[12:13]
	v_mov_b32_e32 v22, 0x8000
	v_cmp_eq_u32_e64 s[10:11], 7, v19
	s_xor_b64 s[12:13], s[8:9], -1
	v_lshl_add_u32 v21, v21, 3, v22
	s_and_b64 s[54:55], s[10:11], s[12:13]
	s_and_saveexec_b64 s[8:9], s[54:55]
	s_cbranch_execz .LBB28_124
; %bb.123:
	v_mov_b32_e32 v22, 0
	ds_read_b64 v[22:23], v22 offset:28600
	s_waitcnt lgkmcnt(0)
	v_mul_f64 v[11:12], v[11:12], v[22:23]
	v_xor_b32_e32 v23, 0x80000000, v12
	v_mov_b32_e32 v22, v11
	ds_write_b64 v21, v[22:23]
.LBB28_124:
	s_or_b64 exec, exec, s[8:9]
	v_cmp_ne_u32_e64 s[8:9], 7, v19
	s_and_b64 s[56:57], s[8:9], s[12:13]
	s_waitcnt lgkmcnt(0)
	s_barrier
	s_and_saveexec_b64 s[8:9], s[56:57]
	s_cbranch_execz .LBB28_126
; %bb.125:
	v_lshlrev_b32_e32 v22, 3, v19
	ds_read_b64 v[22:23], v22 offset:28544
	ds_read_b64 v[24:25], v21
	s_waitcnt lgkmcnt(0)
	v_fma_f64 v[11:12], -v[22:23], v[24:25], v[11:12]
.LBB28_126:
	s_or_b64 exec, exec, s[8:9]
	v_cmp_eq_u32_e64 s[8:9], 6, v19
	s_and_b64 s[58:59], s[8:9], s[12:13]
	s_barrier
	s_and_saveexec_b64 s[8:9], s[58:59]
	s_cbranch_execz .LBB28_128
; %bb.127:
	v_mov_b32_e32 v22, 0
	ds_read_b64 v[22:23], v22 offset:28080
	s_waitcnt lgkmcnt(0)
	v_mul_f64 v[11:12], v[11:12], v[22:23]
	v_xor_b32_e32 v23, 0x80000000, v12
	v_mov_b32_e32 v22, v11
	ds_write_b64 v21, v[22:23]
.LBB28_128:
	s_or_b64 exec, exec, s[8:9]
	v_cmp_gt_u32_e64 s[8:9], 6, v19
	s_and_b64 s[60:61], s[8:9], s[12:13]
	s_waitcnt lgkmcnt(0)
	s_barrier
	s_and_saveexec_b64 s[8:9], s[60:61]
	s_cbranch_execz .LBB28_130
; %bb.129:
	v_lshlrev_b32_e32 v22, 3, v19
	ds_read_b64 v[22:23], v22 offset:28032
	ds_read_b64 v[24:25], v21
	s_waitcnt lgkmcnt(0)
	v_fma_f64 v[11:12], -v[22:23], v[24:25], v[11:12]
.LBB28_130:
	s_or_b64 exec, exec, s[8:9]
	v_cmp_eq_u32_e64 s[8:9], 5, v19
	s_and_b64 s[62:63], s[8:9], s[12:13]
	s_barrier
	s_and_saveexec_b64 s[8:9], s[62:63]
	s_cbranch_execz .LBB28_132
; %bb.131:
	v_mov_b32_e32 v22, 0
	ds_read_b64 v[22:23], v22 offset:27560
	s_waitcnt lgkmcnt(0)
	v_mul_f64 v[11:12], v[11:12], v[22:23]
	v_xor_b32_e32 v23, 0x80000000, v12
	v_mov_b32_e32 v22, v11
	ds_write_b64 v21, v[22:23]
.LBB28_132:
	s_or_b64 exec, exec, s[8:9]
	v_cmp_gt_u32_e64 s[8:9], 5, v19
	;; [unrolled: 29-line block ×5, first 2 shown]
	s_and_b64 s[78:79], s[8:9], s[12:13]
	s_waitcnt lgkmcnt(0)
	s_barrier
	s_and_saveexec_b64 s[8:9], s[78:79]
	s_cbranch_execz .LBB28_146
; %bb.145:
	v_lshlrev_b32_e32 v22, 3, v19
	ds_read_b64 v[22:23], v22 offset:25984
	ds_read_b64 v[24:25], v21
	s_waitcnt lgkmcnt(0)
	v_fma_f64 v[11:12], -v[22:23], v[24:25], v[11:12]
.LBB28_146:
	s_or_b64 exec, exec, s[8:9]
	v_cmp_eq_u32_e64 s[8:9], 1, v19
	s_and_b64 s[80:81], s[8:9], s[12:13]
	s_barrier
	s_and_saveexec_b64 s[8:9], s[80:81]
	s_cbranch_execz .LBB28_148
; %bb.147:
	v_mov_b32_e32 v22, 0
	ds_read_b64 v[22:23], v22 offset:25480
	s_waitcnt lgkmcnt(0)
	v_mul_f64 v[11:12], v[11:12], v[22:23]
	v_xor_b32_e32 v23, 0x80000000, v12
	v_mov_b32_e32 v22, v11
	ds_write_b64 v21, v[22:23]
.LBB28_148:
	s_or_b64 exec, exec, s[8:9]
	v_cmp_eq_u32_e64 s[8:9], 0, v19
	s_and_b64 s[64:65], s[8:9], s[12:13]
	s_waitcnt lgkmcnt(0)
	s_barrier
	s_and_saveexec_b64 s[8:9], s[64:65]
	s_cbranch_execz .LBB28_150
; %bb.149:
	v_mov_b32_e32 v22, 0
	ds_read_b64 v[22:23], v22 offset:25472
	ds_read_b64 v[24:25], v21
	s_waitcnt lgkmcnt(0)
	v_fma_f64 v[11:12], -v[22:23], v[24:25], v[11:12]
.LBB28_150:
	s_or_b64 exec, exec, s[8:9]
	s_barrier
	s_and_saveexec_b64 s[8:9], s[64:65]
	s_cbranch_execz .LBB28_152
; %bb.151:
	v_mov_b32_e32 v22, 0
	ds_read_b64 v[22:23], v22 offset:24960
	s_waitcnt lgkmcnt(0)
	v_mul_f64 v[11:12], v[11:12], v[22:23]
	v_xor_b32_e32 v23, 0x80000000, v12
	v_mov_b32_e32 v22, v11
	ds_write_b64 v21, v[22:23]
.LBB28_152:
	s_or_b64 exec, exec, s[8:9]
	s_waitcnt lgkmcnt(0)
	s_barrier
	s_barrier
	s_and_saveexec_b64 s[8:9], s[14:15]
; %bb.153:
	v_lshlrev_b32_e32 v22, 3, v19
	v_lshl_or_b32 v22, v20, 9, v22
	ds_write_b64 v22, v[11:12] offset:29056
; %bb.154:
	s_or_b64 exec, exec, s[8:9]
	s_waitcnt lgkmcnt(0)
	s_barrier
	s_barrier
	s_and_saveexec_b64 s[8:9], vcc
	s_cbranch_execz .LBB28_156
; %bb.155:
	v_mov_b32_e32 v26, 0
	ds_read_b128 v[22:25], v26 offset:28592
	ds_read_b64 v[11:12], v26 offset:28080
	s_waitcnt lgkmcnt(0)
	v_mul_f64 v[11:12], v[11:12], v[24:25]
	v_mul_f64 v[11:12], v[22:23], v[11:12]
	ds_write_b64 v26, v[11:12] offset:28592
.LBB28_156:
	s_or_b64 exec, exec, s[8:9]
	v_mov_b32_e32 v11, 0
	v_mov_b32_e32 v12, 0
	s_waitcnt lgkmcnt(0)
	s_barrier
	buffer_wbinvl1_vol
	s_and_saveexec_b64 s[10:11], s[0:1]
	s_cbranch_execz .LBB28_160
; %bb.157:
	v_lshlrev_b32_e32 v22, 9, v13
	v_lshlrev_b32_e32 v11, 3, v1
	ds_read_b64 v[11:12], v11 offset:28064
	ds_read_b64 v[22:23], v22 offset:28080
	v_cmp_gt_u32_e64 s[8:9], 2, v15
	s_waitcnt lgkmcnt(0)
	v_fma_f64 v[11:12], v[11:12], v[22:23], 0
	s_and_saveexec_b64 s[12:13], s[8:9]
	s_cbranch_execz .LBB28_159
; %bb.158:
	v_lshlrev_b32_e32 v22, 3, v0
	v_mov_b32_e32 v24, 0
	ds_read_b64 v[22:23], v22 offset:28576
	ds_read_b64 v[24:25], v24 offset:28600
	s_waitcnt lgkmcnt(0)
	v_fma_f64 v[11:12], v[22:23], v[24:25], v[11:12]
.LBB28_159:
	s_or_b64 exec, exec, s[12:13]
.LBB28_160:
	s_or_b64 exec, exec, s[10:11]
	s_and_saveexec_b64 s[8:9], s[40:41]
	s_cbranch_execz .LBB28_162
; %bb.161:
	v_mov_b32_e32 v22, 0
	ds_read_b64 v[22:23], v22 offset:27560
	s_waitcnt lgkmcnt(0)
	v_mul_f64 v[11:12], v[11:12], v[22:23]
	v_xor_b32_e32 v23, 0x80000000, v12
	v_mov_b32_e32 v22, v11
	ds_write_b64 v14, v[22:23]
.LBB28_162:
	s_or_b64 exec, exec, s[8:9]
	s_waitcnt lgkmcnt(0)
	s_barrier
	s_and_saveexec_b64 s[8:9], s[38:39]
	s_cbranch_execz .LBB28_164
; %bb.163:
	v_mov_b32_e32 v22, 0
	ds_read_b64 v[22:23], v22 offset:27552
	ds_read_b64 v[24:25], v14
	s_waitcnt lgkmcnt(0)
	v_fma_f64 v[11:12], -v[22:23], v[24:25], v[11:12]
.LBB28_164:
	s_or_b64 exec, exec, s[8:9]
	s_barrier
	s_and_saveexec_b64 s[8:9], s[38:39]
	s_cbranch_execz .LBB28_166
; %bb.165:
	v_mov_b32_e32 v22, 0
	ds_read_b64 v[22:23], v22 offset:27040
	s_waitcnt lgkmcnt(0)
	v_mul_f64 v[11:12], v[11:12], v[22:23]
	v_xor_b32_e32 v23, 0x80000000, v12
	v_mov_b32_e32 v22, v11
	ds_write_b64 v14, v[22:23]
.LBB28_166:
	s_or_b64 exec, exec, s[8:9]
	s_waitcnt lgkmcnt(0)
	s_barrier
	s_barrier
	s_and_saveexec_b64 s[8:9], s[0:1]
; %bb.167:
	v_lshlrev_b32_e32 v22, 3, v1
	v_lshl_or_b32 v22, v13, 9, v22
	ds_write_b64 v22, v[11:12] offset:28064
; %bb.168:
	s_or_b64 exec, exec, s[8:9]
	s_waitcnt lgkmcnt(0)
	s_barrier
	s_barrier
	s_and_saveexec_b64 s[8:9], vcc
	s_cbranch_execz .LBB28_170
; %bb.169:
	v_mov_b32_e32 v26, 0
	ds_read_b128 v[22:25], v26 offset:27552
	ds_read_b64 v[11:12], v26 offset:27040
	s_waitcnt lgkmcnt(0)
	v_mul_f64 v[11:12], v[11:12], v[24:25]
	v_mul_f64 v[11:12], v[22:23], v[11:12]
	ds_write_b64 v26, v[11:12] offset:27552
.LBB28_170:
	s_or_b64 exec, exec, s[8:9]
	v_mov_b32_e32 v11, 0
	v_mov_b32_e32 v12, 0
	s_waitcnt lgkmcnt(0)
	s_barrier
	buffer_wbinvl1_vol
	s_and_saveexec_b64 s[10:11], s[2:3]
	s_cbranch_execz .LBB28_176
; %bb.171:
	v_lshlrev_b32_e32 v23, 3, v16
	v_lshlrev_b32_e32 v22, 9, v17
	ds_read_b64 v[11:12], v23 offset:27008
	ds_read_b64 v[24:25], v22 offset:27040
	v_cmp_gt_u32_e64 s[8:9], 12, v15
	s_waitcnt lgkmcnt(0)
	v_fma_f64 v[11:12], v[11:12], v[24:25], 0
	s_and_saveexec_b64 s[12:13], s[8:9]
	s_cbranch_execnz .LBB28_1043
; %bb.172:
	s_or_b64 exec, exec, s[12:13]
	v_cmp_gt_u32_e64 s[8:9], 8, v15
	s_and_saveexec_b64 s[12:13], s[8:9]
	s_cbranch_execnz .LBB28_1044
.LBB28_173:
	s_or_b64 exec, exec, s[12:13]
	v_cmp_gt_u32_e64 s[8:9], 4, v15
	s_and_saveexec_b64 s[12:13], s[8:9]
	s_cbranch_execz .LBB28_175
.LBB28_174:
	v_lshlrev_b32_e32 v22, 3, v0
	v_mov_b32_e32 v24, 0
	ds_read_b64 v[22:23], v22 offset:28544
	ds_read_b64 v[24:25], v24 offset:28600
	s_waitcnt lgkmcnt(0)
	v_fma_f64 v[11:12], v[22:23], v[24:25], v[11:12]
.LBB28_175:
	s_or_b64 exec, exec, s[12:13]
.LBB28_176:
	s_or_b64 exec, exec, s[10:11]
	s_and_saveexec_b64 s[8:9], s[44:45]
	s_cbranch_execz .LBB28_178
; %bb.177:
	v_mov_b32_e32 v22, 0
	ds_read_b64 v[22:23], v22 offset:26520
	s_waitcnt lgkmcnt(0)
	v_mul_f64 v[11:12], v[11:12], v[22:23]
	v_xor_b32_e32 v23, 0x80000000, v12
	v_mov_b32_e32 v22, v11
	ds_write_b64 v18, v[22:23]
.LBB28_178:
	s_or_b64 exec, exec, s[8:9]
	s_waitcnt lgkmcnt(0)
	s_barrier
	s_and_saveexec_b64 s[8:9], s[46:47]
	s_cbranch_execz .LBB28_180
; %bb.179:
	v_lshlrev_b32_e32 v22, 3, v16
	ds_read_b64 v[22:23], v22 offset:26496
	ds_read_b64 v[24:25], v18
	s_waitcnt lgkmcnt(0)
	v_fma_f64 v[11:12], -v[22:23], v[24:25], v[11:12]
.LBB28_180:
	s_or_b64 exec, exec, s[8:9]
	s_barrier
	s_and_saveexec_b64 s[8:9], s[48:49]
	s_cbranch_execz .LBB28_182
; %bb.181:
	v_mov_b32_e32 v22, 0
	ds_read_b64 v[22:23], v22 offset:26000
	s_waitcnt lgkmcnt(0)
	v_mul_f64 v[11:12], v[11:12], v[22:23]
	v_xor_b32_e32 v23, 0x80000000, v12
	v_mov_b32_e32 v22, v11
	ds_write_b64 v18, v[22:23]
.LBB28_182:
	s_or_b64 exec, exec, s[8:9]
	s_waitcnt lgkmcnt(0)
	s_barrier
	s_and_saveexec_b64 s[8:9], s[50:51]
	s_cbranch_execz .LBB28_184
; %bb.183:
	v_lshlrev_b32_e32 v22, 3, v16
	ds_read_b64 v[22:23], v22 offset:25984
	ds_read_b64 v[24:25], v18
	s_waitcnt lgkmcnt(0)
	v_fma_f64 v[11:12], -v[22:23], v[24:25], v[11:12]
.LBB28_184:
	s_or_b64 exec, exec, s[8:9]
	s_barrier
	s_and_saveexec_b64 s[8:9], s[52:53]
	s_cbranch_execz .LBB28_186
; %bb.185:
	v_mov_b32_e32 v22, 0
	ds_read_b64 v[22:23], v22 offset:25480
	s_waitcnt lgkmcnt(0)
	v_mul_f64 v[11:12], v[11:12], v[22:23]
	v_xor_b32_e32 v23, 0x80000000, v12
	v_mov_b32_e32 v22, v11
	ds_write_b64 v18, v[22:23]
.LBB28_186:
	s_or_b64 exec, exec, s[8:9]
	s_waitcnt lgkmcnt(0)
	s_barrier
	s_and_saveexec_b64 s[8:9], s[42:43]
	s_cbranch_execz .LBB28_188
; %bb.187:
	v_mov_b32_e32 v22, 0
	ds_read_b64 v[22:23], v22 offset:25472
	ds_read_b64 v[24:25], v18
	s_waitcnt lgkmcnt(0)
	v_fma_f64 v[11:12], -v[22:23], v[24:25], v[11:12]
.LBB28_188:
	s_or_b64 exec, exec, s[8:9]
	s_barrier
	s_and_saveexec_b64 s[8:9], s[42:43]
	s_cbranch_execz .LBB28_190
; %bb.189:
	v_mov_b32_e32 v22, 0
	ds_read_b64 v[22:23], v22 offset:24960
	s_waitcnt lgkmcnt(0)
	v_mul_f64 v[11:12], v[11:12], v[22:23]
	v_xor_b32_e32 v23, 0x80000000, v12
	v_mov_b32_e32 v22, v11
	ds_write_b64 v18, v[22:23]
.LBB28_190:
	s_or_b64 exec, exec, s[8:9]
	s_waitcnt lgkmcnt(0)
	s_barrier
	s_barrier
	s_and_saveexec_b64 s[8:9], s[2:3]
; %bb.191:
	v_lshlrev_b32_e32 v22, 3, v16
	v_lshl_or_b32 v22, v17, 9, v22
	ds_write_b64 v22, v[11:12] offset:27008
; %bb.192:
	s_or_b64 exec, exec, s[8:9]
	s_waitcnt lgkmcnt(0)
	s_barrier
	s_barrier
	s_and_saveexec_b64 s[8:9], vcc
	s_cbranch_execz .LBB28_194
; %bb.193:
	v_mov_b32_e32 v26, 0
	ds_read_b128 v[22:25], v26 offset:26512
	ds_read_b64 v[11:12], v26 offset:26000
	s_waitcnt lgkmcnt(0)
	v_mul_f64 v[11:12], v[11:12], v[24:25]
	v_mul_f64 v[11:12], v[22:23], v[11:12]
	ds_write_b64 v26, v[11:12] offset:26512
.LBB28_194:
	s_or_b64 exec, exec, s[8:9]
	v_mov_b32_e32 v11, 0
	v_mov_b32_e32 v12, 0
	s_waitcnt lgkmcnt(0)
	s_barrier
	buffer_wbinvl1_vol
	s_and_saveexec_b64 s[10:11], s[0:1]
	s_cbranch_execz .LBB28_198
; %bb.195:
	v_lshlrev_b32_e32 v22, 9, v13
	v_lshlrev_b32_e32 v11, 3, v1
	ds_read_b64 v[11:12], v11 offset:25984
	ds_read_b64 v[22:23], v22 offset:26000
	v_cmp_gt_u32_e64 s[8:9], 2, v15
	s_waitcnt lgkmcnt(0)
	v_fma_f64 v[11:12], v[11:12], v[22:23], 0
	s_and_saveexec_b64 s[12:13], s[8:9]
	s_cbranch_execz .LBB28_197
; %bb.196:
	v_lshlrev_b32_e32 v22, 3, v0
	v_mov_b32_e32 v24, 0
	ds_read_b64 v[22:23], v22 offset:26496
	ds_read_b64 v[24:25], v24 offset:26520
	s_waitcnt lgkmcnt(0)
	v_fma_f64 v[11:12], v[22:23], v[24:25], v[11:12]
.LBB28_197:
	s_or_b64 exec, exec, s[12:13]
.LBB28_198:
	s_or_b64 exec, exec, s[10:11]
	s_and_saveexec_b64 s[8:9], s[40:41]
	s_cbranch_execz .LBB28_200
; %bb.199:
	v_mov_b32_e32 v22, 0
	ds_read_b64 v[22:23], v22 offset:25480
	s_waitcnt lgkmcnt(0)
	v_mul_f64 v[11:12], v[11:12], v[22:23]
	v_xor_b32_e32 v23, 0x80000000, v12
	v_mov_b32_e32 v22, v11
	ds_write_b64 v14, v[22:23]
.LBB28_200:
	s_or_b64 exec, exec, s[8:9]
	s_waitcnt lgkmcnt(0)
	s_barrier
	s_and_saveexec_b64 s[8:9], s[38:39]
	s_cbranch_execz .LBB28_202
; %bb.201:
	v_mov_b32_e32 v22, 0
	ds_read_b64 v[22:23], v22 offset:25472
	ds_read_b64 v[24:25], v14
	s_waitcnt lgkmcnt(0)
	v_fma_f64 v[11:12], -v[22:23], v[24:25], v[11:12]
.LBB28_202:
	s_or_b64 exec, exec, s[8:9]
	s_barrier
	s_and_saveexec_b64 s[8:9], s[38:39]
	s_cbranch_execz .LBB28_204
; %bb.203:
	v_mov_b32_e32 v22, 0
	ds_read_b64 v[22:23], v22 offset:24960
	s_waitcnt lgkmcnt(0)
	v_mul_f64 v[11:12], v[11:12], v[22:23]
	v_xor_b32_e32 v23, 0x80000000, v12
	v_mov_b32_e32 v22, v11
	ds_write_b64 v14, v[22:23]
.LBB28_204:
	s_or_b64 exec, exec, s[8:9]
	s_waitcnt lgkmcnt(0)
	s_barrier
	s_barrier
	s_and_saveexec_b64 s[8:9], s[0:1]
; %bb.205:
	v_lshlrev_b32_e32 v22, 3, v1
	v_lshl_or_b32 v22, v13, 9, v22
	ds_write_b64 v22, v[11:12] offset:25984
; %bb.206:
	s_or_b64 exec, exec, s[8:9]
	s_waitcnt lgkmcnt(0)
	s_barrier
	s_barrier
	s_and_saveexec_b64 s[8:9], vcc
	s_cbranch_execz .LBB28_208
; %bb.207:
	v_mov_b32_e32 v26, 0
	ds_read_b128 v[22:25], v26 offset:25472
	ds_read_b64 v[11:12], v26 offset:24960
	s_waitcnt lgkmcnt(0)
	v_mul_f64 v[11:12], v[11:12], v[24:25]
	v_mul_f64 v[11:12], v[22:23], v[11:12]
	ds_write_b64 v26, v[11:12] offset:25472
.LBB28_208:
	s_or_b64 exec, exec, s[8:9]
	s_movk_i32 s8, 0xff
	v_lshrrev_b32_e32 v24, 4, v15
	v_cmp_lt_u32_e64 s[10:11], s8, v15
	s_movk_i32 s8, 0x100
	v_mov_b32_e32 v11, 0
	v_and_b32_e32 v22, 15, v0
	v_sub_u32_e32 v23, 15, v24
	v_mov_b32_e32 v12, 0
	v_cmp_gt_u32_e64 s[8:9], s8, v15
	s_waitcnt lgkmcnt(0)
	s_barrier
	buffer_wbinvl1_vol
	s_and_saveexec_b64 s[16:17], s[8:9]
	s_cbranch_execz .LBB28_236
; %bb.209:
	v_lshlrev_b32_e32 v26, 3, v22
	v_lshlrev_b32_e32 v25, 9, v23
	ds_read_b64 v[11:12], v26 offset:24832
	ds_read_b64 v[27:28], v25 offset:24960
	s_movk_i32 s12, 0xf0
	v_cmp_gt_u32_e64 s[12:13], s12, v15
	s_waitcnt lgkmcnt(0)
	v_fma_f64 v[11:12], v[11:12], v[27:28], 0
	s_and_saveexec_b64 s[22:23], s[12:13]
	s_cbranch_execz .LBB28_211
; %bb.210:
	ds_read_b64 v[27:28], v26 offset:25344
	ds_read_b64 v[29:30], v25 offset:24968
	s_waitcnt lgkmcnt(0)
	v_fma_f64 v[11:12], v[27:28], v[29:30], v[11:12]
.LBB28_211:
	s_or_b64 exec, exec, s[22:23]
	s_movk_i32 s12, 0xe0
	v_cmp_gt_u32_e64 s[12:13], s12, v15
	s_and_saveexec_b64 s[22:23], s[12:13]
	s_cbranch_execz .LBB28_213
; %bb.212:
	ds_read_b64 v[27:28], v26 offset:25856
	ds_read_b64 v[29:30], v25 offset:24976
	s_waitcnt lgkmcnt(0)
	v_fma_f64 v[11:12], v[27:28], v[29:30], v[11:12]
.LBB28_213:
	s_or_b64 exec, exec, s[22:23]
	s_movk_i32 s12, 0xd0
	v_cmp_gt_u32_e64 s[12:13], s12, v15
	;; [unrolled: 11-line block ×10, first 2 shown]
	s_and_saveexec_b64 s[22:23], s[12:13]
	s_cbranch_execnz .LBB28_1045
; %bb.230:
	s_or_b64 exec, exec, s[22:23]
	s_and_saveexec_b64 s[12:13], s[14:15]
	s_cbranch_execnz .LBB28_1046
.LBB28_231:
	s_or_b64 exec, exec, s[12:13]
	v_cmp_gt_u32_e64 s[12:13], 48, v15
	s_and_saveexec_b64 s[22:23], s[12:13]
	s_cbranch_execnz .LBB28_1047
.LBB28_232:
	s_or_b64 exec, exec, s[22:23]
	v_cmp_gt_u32_e64 s[12:13], 32, v15
	s_and_saveexec_b64 s[22:23], s[12:13]
	s_cbranch_execnz .LBB28_1048
.LBB28_233:
	s_or_b64 exec, exec, s[22:23]
	v_cmp_gt_u32_e64 s[12:13], 16, v15
	s_and_saveexec_b64 s[22:23], s[12:13]
	s_cbranch_execz .LBB28_235
.LBB28_234:
	v_lshlrev_b32_e32 v25, 3, v0
	v_mov_b32_e32 v27, 0
	ds_read_b64 v[25:26], v25 offset:32512
	ds_read_b64 v[27:28], v27 offset:32760
	s_waitcnt lgkmcnt(0)
	v_fma_f64 v[11:12], v[25:26], v[27:28], v[11:12]
.LBB28_235:
	s_or_b64 exec, exec, s[22:23]
.LBB28_236:
	s_or_b64 exec, exec, s[16:17]
	v_mov_b32_e32 v25, 0x8000
	v_lshl_add_u32 v24, v24, 3, v25
	v_cmp_eq_u32_e64 s[12:13], 15, v22
	s_xor_b64 s[16:17], s[10:11], -1
	s_and_b64 s[12:13], s[12:13], s[16:17]
	s_mov_b64 s[10:11], exec
	v_writelane_b32 v36, s12, 3
	v_writelane_b32 v36, s13, 4
	s_and_b64 s[12:13], s[10:11], s[12:13]
	s_mov_b64 exec, s[12:13]
	s_cbranch_execz .LBB28_238
; %bb.237:
	v_mov_b32_e32 v25, 0
	ds_read_b64 v[25:26], v25 offset:24440
	s_waitcnt lgkmcnt(0)
	v_mul_f64 v[11:12], v[11:12], v[25:26]
	v_xor_b32_e32 v26, 0x80000000, v12
	v_mov_b32_e32 v25, v11
	ds_write_b64 v24, v[25:26]
.LBB28_238:
	s_or_b64 exec, exec, s[10:11]
	v_cmp_ne_u32_e64 s[10:11], 15, v22
	s_waitcnt lgkmcnt(0)
	s_barrier
	s_and_b64 s[12:13], s[10:11], s[16:17]
	s_mov_b64 s[10:11], exec
	v_writelane_b32 v36, s12, 5
	v_writelane_b32 v36, s13, 6
	s_and_b64 s[12:13], s[10:11], s[12:13]
	s_mov_b64 exec, s[12:13]
	s_cbranch_execz .LBB28_240
; %bb.239:
	v_lshlrev_b32_e32 v25, 3, v22
	ds_read_b64 v[25:26], v25 offset:24320
	ds_read_b64 v[27:28], v24
	s_waitcnt lgkmcnt(0)
	v_fma_f64 v[11:12], -v[25:26], v[27:28], v[11:12]
.LBB28_240:
	s_or_b64 exec, exec, s[10:11]
	v_cmp_eq_u32_e64 s[10:11], 14, v22
	s_barrier
	s_and_b64 s[12:13], s[10:11], s[16:17]
	s_mov_b64 s[10:11], exec
	v_writelane_b32 v36, s12, 7
	v_writelane_b32 v36, s13, 8
	s_and_b64 s[12:13], s[10:11], s[12:13]
	s_mov_b64 exec, s[12:13]
	s_cbranch_execz .LBB28_242
; %bb.241:
	v_mov_b32_e32 v25, 0
	ds_read_b64 v[25:26], v25 offset:23920
	s_waitcnt lgkmcnt(0)
	v_mul_f64 v[11:12], v[11:12], v[25:26]
	v_xor_b32_e32 v26, 0x80000000, v12
	v_mov_b32_e32 v25, v11
	ds_write_b64 v24, v[25:26]
.LBB28_242:
	s_or_b64 exec, exec, s[10:11]
	v_cmp_gt_u32_e64 s[10:11], 14, v22
	s_waitcnt lgkmcnt(0)
	s_barrier
	s_and_b64 s[12:13], s[10:11], s[16:17]
	s_mov_b64 s[10:11], exec
	v_writelane_b32 v36, s12, 9
	v_writelane_b32 v36, s13, 10
	s_and_b64 s[12:13], s[10:11], s[12:13]
	s_mov_b64 exec, s[12:13]
	s_cbranch_execz .LBB28_244
; %bb.243:
	v_lshlrev_b32_e32 v25, 3, v22
	ds_read_b64 v[25:26], v25 offset:23808
	ds_read_b64 v[27:28], v24
	s_waitcnt lgkmcnt(0)
	v_fma_f64 v[11:12], -v[25:26], v[27:28], v[11:12]
.LBB28_244:
	s_or_b64 exec, exec, s[10:11]
	v_cmp_eq_u32_e64 s[10:11], 13, v22
	s_barrier
	s_and_b64 s[12:13], s[10:11], s[16:17]
	s_mov_b64 s[10:11], exec
	v_writelane_b32 v36, s12, 11
	v_writelane_b32 v36, s13, 12
	s_and_b64 s[12:13], s[10:11], s[12:13]
	s_mov_b64 exec, s[12:13]
	s_cbranch_execz .LBB28_246
; %bb.245:
	v_mov_b32_e32 v25, 0
	ds_read_b64 v[25:26], v25 offset:23400
	s_waitcnt lgkmcnt(0)
	v_mul_f64 v[11:12], v[11:12], v[25:26]
	v_xor_b32_e32 v26, 0x80000000, v12
	v_mov_b32_e32 v25, v11
	ds_write_b64 v24, v[25:26]
.LBB28_246:
	s_or_b64 exec, exec, s[10:11]
	v_cmp_gt_u32_e64 s[10:11], 13, v22
	;; [unrolled: 37-line block ×12, first 2 shown]
	s_waitcnt lgkmcnt(0)
	s_barrier
	s_and_b64 s[12:13], s[10:11], s[16:17]
	s_mov_b64 s[10:11], exec
	v_writelane_b32 v36, s12, 53
	v_writelane_b32 v36, s13, 54
	s_and_b64 s[12:13], s[10:11], s[12:13]
	s_mov_b64 exec, s[12:13]
	s_cbranch_execz .LBB28_288
; %bb.287:
	v_lshlrev_b32_e32 v25, 3, v22
	ds_read_b64 v[25:26], v25 offset:18176
	ds_read_b64 v[27:28], v24
	s_waitcnt lgkmcnt(0)
	v_fma_f64 v[11:12], -v[25:26], v[27:28], v[11:12]
.LBB28_288:
	s_or_b64 exec, exec, s[10:11]
	v_cmp_eq_u32_e64 s[10:11], 2, v22
	s_and_b64 s[88:89], s[10:11], s[16:17]
	s_barrier
	s_and_saveexec_b64 s[10:11], s[88:89]
	s_cbranch_execz .LBB28_290
; %bb.289:
	v_mov_b32_e32 v25, 0
	ds_read_b64 v[25:26], v25 offset:17680
	s_waitcnt lgkmcnt(0)
	v_mul_f64 v[11:12], v[11:12], v[25:26]
	v_xor_b32_e32 v26, 0x80000000, v12
	v_mov_b32_e32 v25, v11
	ds_write_b64 v24, v[25:26]
.LBB28_290:
	s_or_b64 exec, exec, s[10:11]
	v_cmp_gt_u32_e64 s[10:11], 2, v22
	s_and_b64 s[90:91], s[10:11], s[16:17]
	s_waitcnt lgkmcnt(0)
	s_barrier
	s_and_saveexec_b64 s[10:11], s[90:91]
	s_cbranch_execz .LBB28_292
; %bb.291:
	v_lshlrev_b32_e32 v25, 3, v22
	ds_read_b64 v[25:26], v25 offset:17664
	ds_read_b64 v[27:28], v24
	s_waitcnt lgkmcnt(0)
	v_fma_f64 v[11:12], -v[25:26], v[27:28], v[11:12]
.LBB28_292:
	s_or_b64 exec, exec, s[10:11]
	v_cmp_eq_u32_e64 s[10:11], 1, v22
	s_and_b64 s[94:95], s[10:11], s[16:17]
	s_barrier
	s_and_saveexec_b64 s[10:11], s[94:95]
	s_cbranch_execz .LBB28_294
; %bb.293:
	v_mov_b32_e32 v25, 0
	ds_read_b64 v[25:26], v25 offset:17160
	s_waitcnt lgkmcnt(0)
	v_mul_f64 v[11:12], v[11:12], v[25:26]
	v_xor_b32_e32 v26, 0x80000000, v12
	v_mov_b32_e32 v25, v11
	ds_write_b64 v24, v[25:26]
.LBB28_294:
	s_or_b64 exec, exec, s[10:11]
	v_cmp_eq_u32_e64 s[10:11], 0, v22
	s_and_b64 s[92:93], s[10:11], s[16:17]
	s_waitcnt lgkmcnt(0)
	s_barrier
	s_and_saveexec_b64 s[10:11], s[92:93]
	s_cbranch_execz .LBB28_296
; %bb.295:
	v_mov_b32_e32 v25, 0
	ds_read_b64 v[25:26], v25 offset:17152
	ds_read_b64 v[27:28], v24
	s_waitcnt lgkmcnt(0)
	v_fma_f64 v[11:12], -v[25:26], v[27:28], v[11:12]
.LBB28_296:
	s_or_b64 exec, exec, s[10:11]
	s_barrier
	s_and_saveexec_b64 s[10:11], s[92:93]
	s_cbranch_execz .LBB28_298
; %bb.297:
	v_mov_b32_e32 v25, 0
	ds_read_b64 v[25:26], v25 offset:16640
	s_waitcnt lgkmcnt(0)
	v_mul_f64 v[11:12], v[11:12], v[25:26]
	v_xor_b32_e32 v26, 0x80000000, v12
	v_mov_b32_e32 v25, v11
	ds_write_b64 v24, v[25:26]
.LBB28_298:
	s_or_b64 exec, exec, s[10:11]
	s_waitcnt lgkmcnt(0)
	s_barrier
	s_barrier
	s_and_saveexec_b64 s[10:11], s[8:9]
; %bb.299:
	v_lshlrev_b32_e32 v25, 3, v22
	v_lshl_or_b32 v25, v23, 9, v25
	ds_write_b64 v25, v[11:12] offset:24832
; %bb.300:
	s_or_b64 exec, exec, s[10:11]
	s_waitcnt lgkmcnt(0)
	s_barrier
	s_barrier
	s_and_saveexec_b64 s[10:11], vcc
	s_cbranch_execz .LBB28_302
; %bb.301:
	v_mov_b32_e32 v29, 0
	ds_read_b128 v[25:28], v29 offset:24432
	ds_read_b64 v[11:12], v29 offset:23920
	s_waitcnt lgkmcnt(0)
	v_mul_f64 v[11:12], v[11:12], v[27:28]
	v_mul_f64 v[11:12], v[25:26], v[11:12]
	ds_write_b64 v29, v[11:12] offset:24432
.LBB28_302:
	s_or_b64 exec, exec, s[10:11]
	v_mov_b32_e32 v11, 0
	v_mov_b32_e32 v12, 0
	s_waitcnt lgkmcnt(0)
	s_barrier
	buffer_wbinvl1_vol
	s_and_saveexec_b64 s[12:13], s[0:1]
	s_cbranch_execz .LBB28_306
; %bb.303:
	v_lshlrev_b32_e32 v25, 9, v13
	v_lshlrev_b32_e32 v11, 3, v1
	ds_read_b64 v[11:12], v11 offset:23904
	ds_read_b64 v[25:26], v25 offset:23920
	v_cmp_gt_u32_e64 s[10:11], 2, v15
	s_waitcnt lgkmcnt(0)
	v_fma_f64 v[11:12], v[11:12], v[25:26], 0
	s_and_saveexec_b64 s[16:17], s[10:11]
	s_cbranch_execz .LBB28_305
; %bb.304:
	v_lshlrev_b32_e32 v25, 3, v0
	v_mov_b32_e32 v27, 0
	ds_read_b64 v[25:26], v25 offset:24416
	ds_read_b64 v[27:28], v27 offset:24440
	s_waitcnt lgkmcnt(0)
	v_fma_f64 v[11:12], v[25:26], v[27:28], v[11:12]
.LBB28_305:
	s_or_b64 exec, exec, s[16:17]
.LBB28_306:
	s_or_b64 exec, exec, s[12:13]
	s_and_saveexec_b64 s[10:11], s[40:41]
	s_cbranch_execz .LBB28_308
; %bb.307:
	v_mov_b32_e32 v25, 0
	ds_read_b64 v[25:26], v25 offset:23400
	s_waitcnt lgkmcnt(0)
	v_mul_f64 v[11:12], v[11:12], v[25:26]
	v_xor_b32_e32 v26, 0x80000000, v12
	v_mov_b32_e32 v25, v11
	ds_write_b64 v14, v[25:26]
.LBB28_308:
	s_or_b64 exec, exec, s[10:11]
	s_waitcnt lgkmcnt(0)
	s_barrier
	s_and_saveexec_b64 s[10:11], s[38:39]
	s_cbranch_execz .LBB28_310
; %bb.309:
	v_mov_b32_e32 v25, 0
	ds_read_b64 v[25:26], v25 offset:23392
	ds_read_b64 v[27:28], v14
	s_waitcnt lgkmcnt(0)
	v_fma_f64 v[11:12], -v[25:26], v[27:28], v[11:12]
.LBB28_310:
	s_or_b64 exec, exec, s[10:11]
	s_barrier
	s_and_saveexec_b64 s[10:11], s[38:39]
	s_cbranch_execz .LBB28_312
; %bb.311:
	v_mov_b32_e32 v25, 0
	ds_read_b64 v[25:26], v25 offset:22880
	s_waitcnt lgkmcnt(0)
	v_mul_f64 v[11:12], v[11:12], v[25:26]
	v_xor_b32_e32 v26, 0x80000000, v12
	v_mov_b32_e32 v25, v11
	ds_write_b64 v14, v[25:26]
.LBB28_312:
	s_or_b64 exec, exec, s[10:11]
	s_waitcnt lgkmcnt(0)
	s_barrier
	s_barrier
	s_and_saveexec_b64 s[10:11], s[0:1]
; %bb.313:
	v_lshlrev_b32_e32 v25, 3, v1
	v_lshl_or_b32 v25, v13, 9, v25
	ds_write_b64 v25, v[11:12] offset:23904
; %bb.314:
	s_or_b64 exec, exec, s[10:11]
	s_waitcnt lgkmcnt(0)
	s_barrier
	s_barrier
	s_and_saveexec_b64 s[10:11], vcc
	s_cbranch_execz .LBB28_316
; %bb.315:
	v_mov_b32_e32 v29, 0
	ds_read_b128 v[25:28], v29 offset:23392
	ds_read_b64 v[11:12], v29 offset:22880
	s_waitcnt lgkmcnt(0)
	v_mul_f64 v[11:12], v[11:12], v[27:28]
	v_mul_f64 v[11:12], v[25:26], v[11:12]
	ds_write_b64 v29, v[11:12] offset:23392
.LBB28_316:
	s_or_b64 exec, exec, s[10:11]
	v_mov_b32_e32 v11, 0
	v_mov_b32_e32 v12, 0
	s_waitcnt lgkmcnt(0)
	s_barrier
	buffer_wbinvl1_vol
	s_and_saveexec_b64 s[12:13], s[2:3]
	s_cbranch_execz .LBB28_322
; %bb.317:
	v_lshlrev_b32_e32 v26, 3, v16
	v_lshlrev_b32_e32 v25, 9, v17
	ds_read_b64 v[11:12], v26 offset:22848
	ds_read_b64 v[27:28], v25 offset:22880
	v_cmp_gt_u32_e64 s[10:11], 12, v15
	s_waitcnt lgkmcnt(0)
	v_fma_f64 v[11:12], v[11:12], v[27:28], 0
	s_and_saveexec_b64 s[16:17], s[10:11]
	s_cbranch_execnz .LBB28_1049
; %bb.318:
	s_or_b64 exec, exec, s[16:17]
	v_cmp_gt_u32_e64 s[10:11], 8, v15
	s_and_saveexec_b64 s[16:17], s[10:11]
	s_cbranch_execnz .LBB28_1050
.LBB28_319:
	s_or_b64 exec, exec, s[16:17]
	v_cmp_gt_u32_e64 s[10:11], 4, v15
	s_and_saveexec_b64 s[16:17], s[10:11]
	s_cbranch_execz .LBB28_321
.LBB28_320:
	v_lshlrev_b32_e32 v25, 3, v0
	v_mov_b32_e32 v27, 0
	ds_read_b64 v[25:26], v25 offset:24384
	ds_read_b64 v[27:28], v27 offset:24440
	s_waitcnt lgkmcnt(0)
	v_fma_f64 v[11:12], v[25:26], v[27:28], v[11:12]
.LBB28_321:
	s_or_b64 exec, exec, s[16:17]
.LBB28_322:
	s_or_b64 exec, exec, s[12:13]
	s_and_saveexec_b64 s[10:11], s[44:45]
	s_cbranch_execz .LBB28_324
; %bb.323:
	v_mov_b32_e32 v25, 0
	ds_read_b64 v[25:26], v25 offset:22360
	s_waitcnt lgkmcnt(0)
	v_mul_f64 v[11:12], v[11:12], v[25:26]
	v_xor_b32_e32 v26, 0x80000000, v12
	v_mov_b32_e32 v25, v11
	ds_write_b64 v18, v[25:26]
.LBB28_324:
	s_or_b64 exec, exec, s[10:11]
	s_waitcnt lgkmcnt(0)
	s_barrier
	s_and_saveexec_b64 s[10:11], s[46:47]
	s_cbranch_execz .LBB28_326
; %bb.325:
	v_lshlrev_b32_e32 v25, 3, v16
	ds_read_b64 v[25:26], v25 offset:22336
	ds_read_b64 v[27:28], v18
	s_waitcnt lgkmcnt(0)
	v_fma_f64 v[11:12], -v[25:26], v[27:28], v[11:12]
.LBB28_326:
	s_or_b64 exec, exec, s[10:11]
	s_barrier
	s_and_saveexec_b64 s[10:11], s[48:49]
	s_cbranch_execz .LBB28_328
; %bb.327:
	v_mov_b32_e32 v25, 0
	ds_read_b64 v[25:26], v25 offset:21840
	s_waitcnt lgkmcnt(0)
	v_mul_f64 v[11:12], v[11:12], v[25:26]
	v_xor_b32_e32 v26, 0x80000000, v12
	v_mov_b32_e32 v25, v11
	ds_write_b64 v18, v[25:26]
.LBB28_328:
	s_or_b64 exec, exec, s[10:11]
	s_waitcnt lgkmcnt(0)
	s_barrier
	s_and_saveexec_b64 s[10:11], s[50:51]
	s_cbranch_execz .LBB28_330
; %bb.329:
	v_lshlrev_b32_e32 v25, 3, v16
	ds_read_b64 v[25:26], v25 offset:21824
	ds_read_b64 v[27:28], v18
	s_waitcnt lgkmcnt(0)
	v_fma_f64 v[11:12], -v[25:26], v[27:28], v[11:12]
.LBB28_330:
	s_or_b64 exec, exec, s[10:11]
	s_barrier
	s_and_saveexec_b64 s[10:11], s[52:53]
	s_cbranch_execz .LBB28_332
; %bb.331:
	v_mov_b32_e32 v25, 0
	ds_read_b64 v[25:26], v25 offset:21320
	s_waitcnt lgkmcnt(0)
	v_mul_f64 v[11:12], v[11:12], v[25:26]
	v_xor_b32_e32 v26, 0x80000000, v12
	v_mov_b32_e32 v25, v11
	ds_write_b64 v18, v[25:26]
.LBB28_332:
	s_or_b64 exec, exec, s[10:11]
	s_waitcnt lgkmcnt(0)
	s_barrier
	s_and_saveexec_b64 s[10:11], s[42:43]
	s_cbranch_execz .LBB28_334
; %bb.333:
	v_mov_b32_e32 v25, 0
	ds_read_b64 v[25:26], v25 offset:21312
	ds_read_b64 v[27:28], v18
	s_waitcnt lgkmcnt(0)
	v_fma_f64 v[11:12], -v[25:26], v[27:28], v[11:12]
.LBB28_334:
	s_or_b64 exec, exec, s[10:11]
	s_barrier
	s_and_saveexec_b64 s[10:11], s[42:43]
	s_cbranch_execz .LBB28_336
; %bb.335:
	v_mov_b32_e32 v25, 0
	ds_read_b64 v[25:26], v25 offset:20800
	s_waitcnt lgkmcnt(0)
	v_mul_f64 v[11:12], v[11:12], v[25:26]
	v_xor_b32_e32 v26, 0x80000000, v12
	v_mov_b32_e32 v25, v11
	ds_write_b64 v18, v[25:26]
.LBB28_336:
	s_or_b64 exec, exec, s[10:11]
	s_waitcnt lgkmcnt(0)
	s_barrier
	s_barrier
	s_and_saveexec_b64 s[10:11], s[2:3]
; %bb.337:
	v_lshlrev_b32_e32 v25, 3, v16
	v_lshl_or_b32 v25, v17, 9, v25
	ds_write_b64 v25, v[11:12] offset:22848
; %bb.338:
	s_or_b64 exec, exec, s[10:11]
	s_waitcnt lgkmcnt(0)
	s_barrier
	s_barrier
	s_and_saveexec_b64 s[10:11], vcc
	s_cbranch_execz .LBB28_340
; %bb.339:
	v_mov_b32_e32 v29, 0
	ds_read_b128 v[25:28], v29 offset:22352
	ds_read_b64 v[11:12], v29 offset:21840
	s_waitcnt lgkmcnt(0)
	v_mul_f64 v[11:12], v[11:12], v[27:28]
	v_mul_f64 v[11:12], v[25:26], v[11:12]
	ds_write_b64 v29, v[11:12] offset:22352
.LBB28_340:
	s_or_b64 exec, exec, s[10:11]
	v_mov_b32_e32 v11, 0
	v_mov_b32_e32 v12, 0
	s_waitcnt lgkmcnt(0)
	s_barrier
	buffer_wbinvl1_vol
	s_and_saveexec_b64 s[12:13], s[0:1]
	s_cbranch_execz .LBB28_344
; %bb.341:
	v_lshlrev_b32_e32 v25, 9, v13
	v_lshlrev_b32_e32 v11, 3, v1
	ds_read_b64 v[11:12], v11 offset:21824
	ds_read_b64 v[25:26], v25 offset:21840
	v_cmp_gt_u32_e64 s[10:11], 2, v15
	s_waitcnt lgkmcnt(0)
	v_fma_f64 v[11:12], v[11:12], v[25:26], 0
	s_and_saveexec_b64 s[16:17], s[10:11]
	s_cbranch_execz .LBB28_343
; %bb.342:
	v_lshlrev_b32_e32 v25, 3, v0
	v_mov_b32_e32 v27, 0
	ds_read_b64 v[25:26], v25 offset:22336
	ds_read_b64 v[27:28], v27 offset:22360
	s_waitcnt lgkmcnt(0)
	v_fma_f64 v[11:12], v[25:26], v[27:28], v[11:12]
.LBB28_343:
	s_or_b64 exec, exec, s[16:17]
.LBB28_344:
	s_or_b64 exec, exec, s[12:13]
	s_and_saveexec_b64 s[10:11], s[40:41]
	s_cbranch_execz .LBB28_346
; %bb.345:
	v_mov_b32_e32 v25, 0
	ds_read_b64 v[25:26], v25 offset:21320
	s_waitcnt lgkmcnt(0)
	v_mul_f64 v[11:12], v[11:12], v[25:26]
	v_xor_b32_e32 v26, 0x80000000, v12
	v_mov_b32_e32 v25, v11
	ds_write_b64 v14, v[25:26]
.LBB28_346:
	s_or_b64 exec, exec, s[10:11]
	s_waitcnt lgkmcnt(0)
	s_barrier
	s_and_saveexec_b64 s[10:11], s[38:39]
	s_cbranch_execz .LBB28_348
; %bb.347:
	v_mov_b32_e32 v25, 0
	ds_read_b64 v[25:26], v25 offset:21312
	ds_read_b64 v[27:28], v14
	s_waitcnt lgkmcnt(0)
	v_fma_f64 v[11:12], -v[25:26], v[27:28], v[11:12]
.LBB28_348:
	s_or_b64 exec, exec, s[10:11]
	s_barrier
	s_and_saveexec_b64 s[10:11], s[38:39]
	s_cbranch_execz .LBB28_350
; %bb.349:
	v_mov_b32_e32 v25, 0
	ds_read_b64 v[25:26], v25 offset:20800
	s_waitcnt lgkmcnt(0)
	v_mul_f64 v[11:12], v[11:12], v[25:26]
	v_xor_b32_e32 v26, 0x80000000, v12
	v_mov_b32_e32 v25, v11
	ds_write_b64 v14, v[25:26]
.LBB28_350:
	s_or_b64 exec, exec, s[10:11]
	s_waitcnt lgkmcnt(0)
	s_barrier
	s_barrier
	s_and_saveexec_b64 s[10:11], s[0:1]
; %bb.351:
	v_lshlrev_b32_e32 v25, 3, v1
	v_lshl_or_b32 v25, v13, 9, v25
	ds_write_b64 v25, v[11:12] offset:21824
; %bb.352:
	s_or_b64 exec, exec, s[10:11]
	s_waitcnt lgkmcnt(0)
	s_barrier
	s_barrier
	s_and_saveexec_b64 s[10:11], vcc
	s_cbranch_execz .LBB28_354
; %bb.353:
	v_mov_b32_e32 v29, 0
	ds_read_b128 v[25:28], v29 offset:21312
	ds_read_b64 v[11:12], v29 offset:20800
	s_waitcnt lgkmcnt(0)
	v_mul_f64 v[11:12], v[11:12], v[27:28]
	v_mul_f64 v[11:12], v[25:26], v[11:12]
	ds_write_b64 v29, v[11:12] offset:21312
.LBB28_354:
	s_or_b64 exec, exec, s[10:11]
	v_mov_b32_e32 v11, 0
	v_mov_b32_e32 v12, 0
	s_waitcnt lgkmcnt(0)
	s_barrier
	buffer_wbinvl1_vol
	s_and_saveexec_b64 s[12:13], s[14:15]
	s_cbranch_execz .LBB28_364
; %bb.355:
	v_lshlrev_b32_e32 v26, 3, v19
	v_lshlrev_b32_e32 v25, 9, v20
	ds_read_b64 v[11:12], v26 offset:20736
	ds_read_b64 v[27:28], v25 offset:20800
	v_cmp_gt_u32_e64 s[10:11], 56, v15
	s_waitcnt lgkmcnt(0)
	v_fma_f64 v[11:12], v[11:12], v[27:28], 0
	s_and_saveexec_b64 s[16:17], s[10:11]
	s_cbranch_execnz .LBB28_1051
; %bb.356:
	s_or_b64 exec, exec, s[16:17]
	v_cmp_gt_u32_e64 s[10:11], 48, v15
	s_and_saveexec_b64 s[16:17], s[10:11]
	s_cbranch_execnz .LBB28_1052
.LBB28_357:
	s_or_b64 exec, exec, s[16:17]
	v_cmp_gt_u32_e64 s[10:11], 40, v15
	s_and_saveexec_b64 s[16:17], s[10:11]
	s_cbranch_execnz .LBB28_1053
.LBB28_358:
	s_or_b64 exec, exec, s[16:17]
	v_cmp_gt_u32_e64 s[10:11], 32, v15
	s_and_saveexec_b64 s[16:17], s[10:11]
	s_cbranch_execnz .LBB28_1054
.LBB28_359:
	s_or_b64 exec, exec, s[16:17]
	v_cmp_gt_u32_e64 s[10:11], 24, v15
	s_and_saveexec_b64 s[16:17], s[10:11]
	s_cbranch_execnz .LBB28_1055
.LBB28_360:
	s_or_b64 exec, exec, s[16:17]
	s_and_saveexec_b64 s[10:11], s[2:3]
	s_cbranch_execnz .LBB28_1056
.LBB28_361:
	s_or_b64 exec, exec, s[10:11]
	v_cmp_gt_u32_e64 s[10:11], 8, v15
	s_and_saveexec_b64 s[16:17], s[10:11]
	s_cbranch_execz .LBB28_363
.LBB28_362:
	v_lshlrev_b32_e32 v25, 3, v0
	v_mov_b32_e32 v27, 0
	ds_read_b64 v[25:26], v25 offset:24320
	ds_read_b64 v[27:28], v27 offset:24440
	s_waitcnt lgkmcnt(0)
	v_fma_f64 v[11:12], v[25:26], v[27:28], v[11:12]
.LBB28_363:
	s_or_b64 exec, exec, s[16:17]
.LBB28_364:
	s_or_b64 exec, exec, s[12:13]
	s_and_saveexec_b64 s[10:11], s[54:55]
	s_cbranch_execz .LBB28_366
; %bb.365:
	v_mov_b32_e32 v25, 0
	ds_read_b64 v[25:26], v25 offset:20280
	s_waitcnt lgkmcnt(0)
	v_mul_f64 v[11:12], v[11:12], v[25:26]
	v_xor_b32_e32 v26, 0x80000000, v12
	v_mov_b32_e32 v25, v11
	ds_write_b64 v21, v[25:26]
.LBB28_366:
	s_or_b64 exec, exec, s[10:11]
	s_waitcnt lgkmcnt(0)
	s_barrier
	s_and_saveexec_b64 s[10:11], s[56:57]
	s_cbranch_execz .LBB28_368
; %bb.367:
	v_lshlrev_b32_e32 v25, 3, v19
	ds_read_b64 v[25:26], v25 offset:20224
	ds_read_b64 v[27:28], v21
	s_waitcnt lgkmcnt(0)
	v_fma_f64 v[11:12], -v[25:26], v[27:28], v[11:12]
.LBB28_368:
	s_or_b64 exec, exec, s[10:11]
	s_barrier
	s_and_saveexec_b64 s[10:11], s[58:59]
	s_cbranch_execz .LBB28_370
; %bb.369:
	v_mov_b32_e32 v25, 0
	ds_read_b64 v[25:26], v25 offset:19760
	s_waitcnt lgkmcnt(0)
	v_mul_f64 v[11:12], v[11:12], v[25:26]
	v_xor_b32_e32 v26, 0x80000000, v12
	v_mov_b32_e32 v25, v11
	ds_write_b64 v21, v[25:26]
.LBB28_370:
	s_or_b64 exec, exec, s[10:11]
	s_waitcnt lgkmcnt(0)
	s_barrier
	s_and_saveexec_b64 s[10:11], s[60:61]
	s_cbranch_execz .LBB28_372
; %bb.371:
	v_lshlrev_b32_e32 v25, 3, v19
	ds_read_b64 v[25:26], v25 offset:19712
	ds_read_b64 v[27:28], v21
	s_waitcnt lgkmcnt(0)
	v_fma_f64 v[11:12], -v[25:26], v[27:28], v[11:12]
.LBB28_372:
	s_or_b64 exec, exec, s[10:11]
	s_barrier
	;; [unrolled: 25-line block ×6, first 2 shown]
	s_and_saveexec_b64 s[10:11], s[80:81]
	s_cbranch_execz .LBB28_390
; %bb.389:
	v_mov_b32_e32 v25, 0
	ds_read_b64 v[25:26], v25 offset:17160
	s_waitcnt lgkmcnt(0)
	v_mul_f64 v[11:12], v[11:12], v[25:26]
	v_xor_b32_e32 v26, 0x80000000, v12
	v_mov_b32_e32 v25, v11
	ds_write_b64 v21, v[25:26]
.LBB28_390:
	s_or_b64 exec, exec, s[10:11]
	s_waitcnt lgkmcnt(0)
	s_barrier
	s_and_saveexec_b64 s[10:11], s[64:65]
	s_cbranch_execz .LBB28_392
; %bb.391:
	v_mov_b32_e32 v25, 0
	ds_read_b64 v[25:26], v25 offset:17152
	ds_read_b64 v[27:28], v21
	s_waitcnt lgkmcnt(0)
	v_fma_f64 v[11:12], -v[25:26], v[27:28], v[11:12]
.LBB28_392:
	s_or_b64 exec, exec, s[10:11]
	s_barrier
	s_and_saveexec_b64 s[10:11], s[64:65]
	s_cbranch_execz .LBB28_394
; %bb.393:
	v_mov_b32_e32 v25, 0
	ds_read_b64 v[25:26], v25 offset:16640
	s_waitcnt lgkmcnt(0)
	v_mul_f64 v[11:12], v[11:12], v[25:26]
	v_xor_b32_e32 v26, 0x80000000, v12
	v_mov_b32_e32 v25, v11
	ds_write_b64 v21, v[25:26]
.LBB28_394:
	s_or_b64 exec, exec, s[10:11]
	s_waitcnt lgkmcnt(0)
	s_barrier
	s_barrier
	s_and_saveexec_b64 s[10:11], s[14:15]
; %bb.395:
	v_lshlrev_b32_e32 v25, 3, v19
	v_lshl_or_b32 v25, v20, 9, v25
	ds_write_b64 v25, v[11:12] offset:20736
; %bb.396:
	s_or_b64 exec, exec, s[10:11]
	s_waitcnt lgkmcnt(0)
	s_barrier
	s_barrier
	s_and_saveexec_b64 s[10:11], vcc
	s_cbranch_execz .LBB28_398
; %bb.397:
	v_mov_b32_e32 v29, 0
	ds_read_b128 v[25:28], v29 offset:20272
	ds_read_b64 v[11:12], v29 offset:19760
	s_waitcnt lgkmcnt(0)
	v_mul_f64 v[11:12], v[11:12], v[27:28]
	v_mul_f64 v[11:12], v[25:26], v[11:12]
	ds_write_b64 v29, v[11:12] offset:20272
.LBB28_398:
	s_or_b64 exec, exec, s[10:11]
	v_mov_b32_e32 v11, 0
	v_mov_b32_e32 v12, 0
	s_waitcnt lgkmcnt(0)
	s_barrier
	buffer_wbinvl1_vol
	s_and_saveexec_b64 s[12:13], s[0:1]
	s_cbranch_execz .LBB28_402
; %bb.399:
	v_lshlrev_b32_e32 v25, 9, v13
	v_lshlrev_b32_e32 v11, 3, v1
	ds_read_b64 v[11:12], v11 offset:19744
	ds_read_b64 v[25:26], v25 offset:19760
	v_cmp_gt_u32_e64 s[10:11], 2, v15
	s_waitcnt lgkmcnt(0)
	v_fma_f64 v[11:12], v[11:12], v[25:26], 0
	s_and_saveexec_b64 s[16:17], s[10:11]
	s_cbranch_execz .LBB28_401
; %bb.400:
	v_lshlrev_b32_e32 v25, 3, v0
	v_mov_b32_e32 v27, 0
	ds_read_b64 v[25:26], v25 offset:20256
	ds_read_b64 v[27:28], v27 offset:20280
	s_waitcnt lgkmcnt(0)
	v_fma_f64 v[11:12], v[25:26], v[27:28], v[11:12]
.LBB28_401:
	s_or_b64 exec, exec, s[16:17]
.LBB28_402:
	s_or_b64 exec, exec, s[12:13]
	s_and_saveexec_b64 s[10:11], s[40:41]
	s_cbranch_execz .LBB28_404
; %bb.403:
	v_mov_b32_e32 v25, 0
	ds_read_b64 v[25:26], v25 offset:19240
	s_waitcnt lgkmcnt(0)
	v_mul_f64 v[11:12], v[11:12], v[25:26]
	v_xor_b32_e32 v26, 0x80000000, v12
	v_mov_b32_e32 v25, v11
	ds_write_b64 v14, v[25:26]
.LBB28_404:
	s_or_b64 exec, exec, s[10:11]
	s_waitcnt lgkmcnt(0)
	s_barrier
	s_and_saveexec_b64 s[10:11], s[38:39]
	s_cbranch_execz .LBB28_406
; %bb.405:
	v_mov_b32_e32 v25, 0
	ds_read_b64 v[25:26], v25 offset:19232
	ds_read_b64 v[27:28], v14
	s_waitcnt lgkmcnt(0)
	v_fma_f64 v[11:12], -v[25:26], v[27:28], v[11:12]
.LBB28_406:
	s_or_b64 exec, exec, s[10:11]
	s_barrier
	s_and_saveexec_b64 s[10:11], s[38:39]
	s_cbranch_execz .LBB28_408
; %bb.407:
	v_mov_b32_e32 v25, 0
	ds_read_b64 v[25:26], v25 offset:18720
	s_waitcnt lgkmcnt(0)
	v_mul_f64 v[11:12], v[11:12], v[25:26]
	v_xor_b32_e32 v26, 0x80000000, v12
	v_mov_b32_e32 v25, v11
	ds_write_b64 v14, v[25:26]
.LBB28_408:
	s_or_b64 exec, exec, s[10:11]
	s_waitcnt lgkmcnt(0)
	s_barrier
	s_barrier
	s_and_saveexec_b64 s[10:11], s[0:1]
; %bb.409:
	v_lshlrev_b32_e32 v25, 3, v1
	v_lshl_or_b32 v25, v13, 9, v25
	ds_write_b64 v25, v[11:12] offset:19744
; %bb.410:
	s_or_b64 exec, exec, s[10:11]
	s_waitcnt lgkmcnt(0)
	s_barrier
	s_barrier
	s_and_saveexec_b64 s[10:11], vcc
	s_cbranch_execz .LBB28_412
; %bb.411:
	v_mov_b32_e32 v29, 0
	ds_read_b128 v[25:28], v29 offset:19232
	ds_read_b64 v[11:12], v29 offset:18720
	s_waitcnt lgkmcnt(0)
	v_mul_f64 v[11:12], v[11:12], v[27:28]
	v_mul_f64 v[11:12], v[25:26], v[11:12]
	ds_write_b64 v29, v[11:12] offset:19232
.LBB28_412:
	s_or_b64 exec, exec, s[10:11]
	v_mov_b32_e32 v11, 0
	v_mov_b32_e32 v12, 0
	s_waitcnt lgkmcnt(0)
	s_barrier
	buffer_wbinvl1_vol
	s_and_saveexec_b64 s[12:13], s[2:3]
	s_cbranch_execz .LBB28_418
; %bb.413:
	v_lshlrev_b32_e32 v26, 3, v16
	v_lshlrev_b32_e32 v25, 9, v17
	ds_read_b64 v[11:12], v26 offset:18688
	ds_read_b64 v[27:28], v25 offset:18720
	v_cmp_gt_u32_e64 s[10:11], 12, v15
	s_waitcnt lgkmcnt(0)
	v_fma_f64 v[11:12], v[11:12], v[27:28], 0
	s_and_saveexec_b64 s[16:17], s[10:11]
	s_cbranch_execnz .LBB28_1057
; %bb.414:
	s_or_b64 exec, exec, s[16:17]
	v_cmp_gt_u32_e64 s[10:11], 8, v15
	s_and_saveexec_b64 s[16:17], s[10:11]
	s_cbranch_execnz .LBB28_1058
.LBB28_415:
	s_or_b64 exec, exec, s[16:17]
	v_cmp_gt_u32_e64 s[10:11], 4, v15
	s_and_saveexec_b64 s[16:17], s[10:11]
	s_cbranch_execz .LBB28_417
.LBB28_416:
	v_lshlrev_b32_e32 v25, 3, v0
	v_mov_b32_e32 v27, 0
	ds_read_b64 v[25:26], v25 offset:20224
	ds_read_b64 v[27:28], v27 offset:20280
	s_waitcnt lgkmcnt(0)
	v_fma_f64 v[11:12], v[25:26], v[27:28], v[11:12]
.LBB28_417:
	s_or_b64 exec, exec, s[16:17]
.LBB28_418:
	s_or_b64 exec, exec, s[12:13]
	s_and_saveexec_b64 s[10:11], s[44:45]
	s_cbranch_execz .LBB28_420
; %bb.419:
	v_mov_b32_e32 v25, 0
	ds_read_b64 v[25:26], v25 offset:18200
	s_waitcnt lgkmcnt(0)
	v_mul_f64 v[11:12], v[11:12], v[25:26]
	v_xor_b32_e32 v26, 0x80000000, v12
	v_mov_b32_e32 v25, v11
	ds_write_b64 v18, v[25:26]
.LBB28_420:
	s_or_b64 exec, exec, s[10:11]
	s_waitcnt lgkmcnt(0)
	s_barrier
	s_and_saveexec_b64 s[10:11], s[46:47]
	s_cbranch_execz .LBB28_422
; %bb.421:
	v_lshlrev_b32_e32 v25, 3, v16
	ds_read_b64 v[25:26], v25 offset:18176
	ds_read_b64 v[27:28], v18
	s_waitcnt lgkmcnt(0)
	v_fma_f64 v[11:12], -v[25:26], v[27:28], v[11:12]
.LBB28_422:
	s_or_b64 exec, exec, s[10:11]
	s_barrier
	s_and_saveexec_b64 s[10:11], s[48:49]
	s_cbranch_execz .LBB28_424
; %bb.423:
	v_mov_b32_e32 v25, 0
	ds_read_b64 v[25:26], v25 offset:17680
	s_waitcnt lgkmcnt(0)
	v_mul_f64 v[11:12], v[11:12], v[25:26]
	v_xor_b32_e32 v26, 0x80000000, v12
	v_mov_b32_e32 v25, v11
	ds_write_b64 v18, v[25:26]
.LBB28_424:
	s_or_b64 exec, exec, s[10:11]
	s_waitcnt lgkmcnt(0)
	s_barrier
	s_and_saveexec_b64 s[10:11], s[50:51]
	s_cbranch_execz .LBB28_426
; %bb.425:
	v_lshlrev_b32_e32 v25, 3, v16
	ds_read_b64 v[25:26], v25 offset:17664
	ds_read_b64 v[27:28], v18
	s_waitcnt lgkmcnt(0)
	v_fma_f64 v[11:12], -v[25:26], v[27:28], v[11:12]
.LBB28_426:
	s_or_b64 exec, exec, s[10:11]
	s_barrier
	s_and_saveexec_b64 s[10:11], s[52:53]
	s_cbranch_execz .LBB28_428
; %bb.427:
	v_mov_b32_e32 v25, 0
	ds_read_b64 v[25:26], v25 offset:17160
	s_waitcnt lgkmcnt(0)
	v_mul_f64 v[11:12], v[11:12], v[25:26]
	v_xor_b32_e32 v26, 0x80000000, v12
	v_mov_b32_e32 v25, v11
	ds_write_b64 v18, v[25:26]
.LBB28_428:
	s_or_b64 exec, exec, s[10:11]
	s_waitcnt lgkmcnt(0)
	s_barrier
	s_and_saveexec_b64 s[10:11], s[42:43]
	s_cbranch_execz .LBB28_430
; %bb.429:
	v_mov_b32_e32 v25, 0
	ds_read_b64 v[25:26], v25 offset:17152
	ds_read_b64 v[27:28], v18
	s_waitcnt lgkmcnt(0)
	v_fma_f64 v[11:12], -v[25:26], v[27:28], v[11:12]
.LBB28_430:
	s_or_b64 exec, exec, s[10:11]
	s_barrier
	s_and_saveexec_b64 s[10:11], s[42:43]
	s_cbranch_execz .LBB28_432
; %bb.431:
	v_mov_b32_e32 v25, 0
	ds_read_b64 v[25:26], v25 offset:16640
	s_waitcnt lgkmcnt(0)
	v_mul_f64 v[11:12], v[11:12], v[25:26]
	v_xor_b32_e32 v26, 0x80000000, v12
	v_mov_b32_e32 v25, v11
	ds_write_b64 v18, v[25:26]
.LBB28_432:
	s_or_b64 exec, exec, s[10:11]
	s_waitcnt lgkmcnt(0)
	s_barrier
	s_barrier
	s_and_saveexec_b64 s[10:11], s[2:3]
; %bb.433:
	v_lshlrev_b32_e32 v25, 3, v16
	v_lshl_or_b32 v25, v17, 9, v25
	ds_write_b64 v25, v[11:12] offset:18688
; %bb.434:
	s_or_b64 exec, exec, s[10:11]
	s_waitcnt lgkmcnt(0)
	s_barrier
	s_barrier
	s_and_saveexec_b64 s[10:11], vcc
	s_cbranch_execz .LBB28_436
; %bb.435:
	v_mov_b32_e32 v29, 0
	ds_read_b128 v[25:28], v29 offset:18192
	ds_read_b64 v[11:12], v29 offset:17680
	s_waitcnt lgkmcnt(0)
	v_mul_f64 v[11:12], v[11:12], v[27:28]
	v_mul_f64 v[11:12], v[25:26], v[11:12]
	ds_write_b64 v29, v[11:12] offset:18192
.LBB28_436:
	s_or_b64 exec, exec, s[10:11]
	v_mov_b32_e32 v11, 0
	v_mov_b32_e32 v12, 0
	s_waitcnt lgkmcnt(0)
	s_barrier
	buffer_wbinvl1_vol
	s_and_saveexec_b64 s[12:13], s[0:1]
	s_cbranch_execz .LBB28_440
; %bb.437:
	v_lshlrev_b32_e32 v25, 9, v13
	v_lshlrev_b32_e32 v11, 3, v1
	ds_read_b64 v[11:12], v11 offset:17664
	ds_read_b64 v[25:26], v25 offset:17680
	v_cmp_gt_u32_e64 s[10:11], 2, v15
	s_waitcnt lgkmcnt(0)
	v_fma_f64 v[11:12], v[11:12], v[25:26], 0
	s_and_saveexec_b64 s[16:17], s[10:11]
	s_cbranch_execz .LBB28_439
; %bb.438:
	v_lshlrev_b32_e32 v25, 3, v0
	v_mov_b32_e32 v27, 0
	ds_read_b64 v[25:26], v25 offset:18176
	ds_read_b64 v[27:28], v27 offset:18200
	s_waitcnt lgkmcnt(0)
	v_fma_f64 v[11:12], v[25:26], v[27:28], v[11:12]
.LBB28_439:
	s_or_b64 exec, exec, s[16:17]
.LBB28_440:
	s_or_b64 exec, exec, s[12:13]
	s_and_saveexec_b64 s[10:11], s[40:41]
	s_cbranch_execz .LBB28_442
; %bb.441:
	v_mov_b32_e32 v25, 0
	ds_read_b64 v[25:26], v25 offset:17160
	s_waitcnt lgkmcnt(0)
	v_mul_f64 v[11:12], v[11:12], v[25:26]
	v_xor_b32_e32 v26, 0x80000000, v12
	v_mov_b32_e32 v25, v11
	ds_write_b64 v14, v[25:26]
.LBB28_442:
	s_or_b64 exec, exec, s[10:11]
	s_waitcnt lgkmcnt(0)
	s_barrier
	s_and_saveexec_b64 s[10:11], s[38:39]
	s_cbranch_execz .LBB28_444
; %bb.443:
	v_mov_b32_e32 v25, 0
	ds_read_b64 v[25:26], v25 offset:17152
	ds_read_b64 v[27:28], v14
	s_waitcnt lgkmcnt(0)
	v_fma_f64 v[11:12], -v[25:26], v[27:28], v[11:12]
.LBB28_444:
	s_or_b64 exec, exec, s[10:11]
	s_barrier
	s_and_saveexec_b64 s[10:11], s[38:39]
	s_cbranch_execz .LBB28_446
; %bb.445:
	v_mov_b32_e32 v25, 0
	ds_read_b64 v[25:26], v25 offset:16640
	s_waitcnt lgkmcnt(0)
	v_mul_f64 v[11:12], v[11:12], v[25:26]
	v_xor_b32_e32 v26, 0x80000000, v12
	v_mov_b32_e32 v25, v11
	ds_write_b64 v14, v[25:26]
.LBB28_446:
	s_or_b64 exec, exec, s[10:11]
	s_waitcnt lgkmcnt(0)
	s_barrier
	s_barrier
	s_and_saveexec_b64 s[10:11], s[0:1]
; %bb.447:
	v_lshlrev_b32_e32 v25, 3, v1
	v_lshl_or_b32 v25, v13, 9, v25
	ds_write_b64 v25, v[11:12] offset:17664
; %bb.448:
	s_or_b64 exec, exec, s[10:11]
	s_waitcnt lgkmcnt(0)
	s_barrier
	s_barrier
	s_and_saveexec_b64 s[10:11], vcc
	s_cbranch_execz .LBB28_450
; %bb.449:
	v_mov_b32_e32 v29, 0
	ds_read_b128 v[25:28], v29 offset:17152
	ds_read_b64 v[11:12], v29 offset:16640
	s_waitcnt lgkmcnt(0)
	v_mul_f64 v[11:12], v[11:12], v[27:28]
	v_mul_f64 v[11:12], v[25:26], v[11:12]
	ds_write_b64 v29, v[11:12] offset:17152
.LBB28_450:
	s_or_b64 exec, exec, s[10:11]
	s_movk_i32 s10, 0x3ff
	v_lshrrev_b32_e32 v27, 5, v15
	v_cmp_lt_u32_e64 s[12:13], s10, v15
	s_movk_i32 s10, 0x400
	v_mov_b32_e32 v11, 0
	v_and_b32_e32 v25, 31, v0
	v_sub_u32_e32 v26, 31, v27
	v_mov_b32_e32 v12, 0
	v_cmp_gt_u32_e64 s[10:11], s10, v15
	s_waitcnt lgkmcnt(0)
	s_barrier
	buffer_wbinvl1_vol
	s_and_saveexec_b64 s[22:23], s[10:11]
	s_cbranch_execz .LBB28_512
; %bb.451:
	v_lshlrev_b32_e32 v29, 3, v25
	v_lshlrev_b32_e32 v28, 9, v26
	ds_read_b64 v[11:12], v29 offset:16384
	ds_read_b64 v[30:31], v28 offset:16640
	s_movk_i32 s16, 0x3e0
	v_cmp_gt_u32_e64 s[16:17], s16, v15
	s_waitcnt lgkmcnt(0)
	v_fma_f64 v[11:12], v[11:12], v[30:31], 0
	s_and_saveexec_b64 s[82:83], s[16:17]
	s_cbranch_execz .LBB28_453
; %bb.452:
	ds_read_b64 v[30:31], v29 offset:16896
	ds_read_b64 v[32:33], v28 offset:16648
	s_waitcnt lgkmcnt(0)
	v_fma_f64 v[11:12], v[30:31], v[32:33], v[11:12]
.LBB28_453:
	s_or_b64 exec, exec, s[82:83]
	s_movk_i32 s16, 0x3c0
	v_cmp_gt_u32_e64 s[16:17], s16, v15
	s_and_saveexec_b64 s[82:83], s[16:17]
	s_cbranch_execz .LBB28_455
; %bb.454:
	ds_read_b64 v[30:31], v29 offset:17408
	ds_read_b64 v[32:33], v28 offset:16656
	s_waitcnt lgkmcnt(0)
	v_fma_f64 v[11:12], v[30:31], v[32:33], v[11:12]
.LBB28_455:
	s_or_b64 exec, exec, s[82:83]
	s_movk_i32 s16, 0x3a0
	v_cmp_gt_u32_e64 s[16:17], s16, v15
	;; [unrolled: 11-line block ×22, first 2 shown]
	s_and_saveexec_b64 s[82:83], s[16:17]
	s_cbranch_execz .LBB28_497
; %bb.496:
	ds_read_b64 v[30:31], v29 offset:28160
	ds_read_b64 v[32:33], v28 offset:16824
	s_waitcnt lgkmcnt(0)
	v_fma_f64 v[11:12], v[30:31], v[32:33], v[11:12]
.LBB28_497:
	s_or_b64 exec, exec, s[82:83]
	s_and_saveexec_b64 s[16:17], s[8:9]
	s_cbranch_execz .LBB28_499
; %bb.498:
	ds_read_b64 v[30:31], v29 offset:28672
	ds_read_b64 v[32:33], v28 offset:16832
	s_waitcnt lgkmcnt(0)
	v_fma_f64 v[11:12], v[30:31], v[32:33], v[11:12]
.LBB28_499:
	s_or_b64 exec, exec, s[16:17]
	s_movk_i32 s16, 0xe0
	v_cmp_gt_u32_e64 s[16:17], s16, v15
	s_and_saveexec_b64 s[82:83], s[16:17]
	s_cbranch_execz .LBB28_501
; %bb.500:
	ds_read_b64 v[30:31], v29 offset:29184
	ds_read_b64 v[32:33], v28 offset:16840
	s_waitcnt lgkmcnt(0)
	v_fma_f64 v[11:12], v[30:31], v[32:33], v[11:12]
.LBB28_501:
	s_or_b64 exec, exec, s[82:83]
	s_movk_i32 s16, 0xc0
	v_cmp_gt_u32_e64 s[16:17], s16, v15
	;; [unrolled: 11-line block ×5, first 2 shown]
	s_and_saveexec_b64 s[82:83], s[16:17]
	s_cbranch_execnz .LBB28_1059
; %bb.508:
	s_or_b64 exec, exec, s[82:83]
	s_and_saveexec_b64 s[16:17], s[14:15]
	s_cbranch_execnz .LBB28_1060
.LBB28_509:
	s_or_b64 exec, exec, s[16:17]
	v_cmp_gt_u32_e64 s[16:17], 32, v15
	s_and_saveexec_b64 s[82:83], s[16:17]
	s_cbranch_execz .LBB28_511
.LBB28_510:
	v_lshlrev_b32_e32 v28, 3, v0
	v_mov_b32_e32 v30, 0
	ds_read_b64 v[28:29], v28 offset:32256
	ds_read_b64 v[30:31], v30 offset:32760
	s_waitcnt lgkmcnt(0)
	v_fma_f64 v[11:12], v[28:29], v[30:31], v[11:12]
.LBB28_511:
	s_or_b64 exec, exec, s[82:83]
.LBB28_512:
	s_or_b64 exec, exec, s[22:23]
	v_mov_b32_e32 v28, 0x8000
	s_movk_i32 s16, 0x208
	v_lshlrev_b32_e32 v29, 9, v25
	v_mov_b32_e32 v30, 0x3800
	v_lshl_add_u32 v27, v27, 3, v28
	v_mul_u32_u24_e32 v28, 0x208, v25
	v_sub_u32_e32 v29, 0, v29
	v_mad_u32_u24 v30, v25, s16, v30
	s_mov_b32 s22, 31
	s_xor_b64 s[16:17], s[12:13], -1
	s_branch .LBB28_514
.LBB28_513:                             ;   in Loop: Header=BB28_514 Depth=1
	s_or_b64 exec, exec, s[12:13]
	s_add_i32 s22, s22, -4
	s_cmp_eq_u32 s23, 0
	v_add_u32_e32 v29, 0xfffff800, v29
	s_barrier
	s_cbranch_scc1 .LBB28_530
.LBB28_514:                             ; =>This Inner Loop Header: Depth=1
	s_movk_i32 s12, 0xc200
	v_cmp_eq_u32_e64 s[12:13], s12, v29
	s_and_b64 s[82:83], s[16:17], s[12:13]
	s_and_saveexec_b64 s[12:13], s[82:83]
	s_cbranch_execz .LBB28_516
; %bb.515:                              ;   in Loop: Header=BB28_514 Depth=1
	ds_read_b64 v[31:32], v28
	s_waitcnt lgkmcnt(0)
	v_mul_f64 v[11:12], v[11:12], v[31:32]
	v_xor_b32_e32 v32, 0x80000000, v12
	v_mov_b32_e32 v31, v11
	ds_write_b64 v27, v[31:32]
.LBB28_516:                             ;   in Loop: Header=BB28_514 Depth=1
	s_or_b64 exec, exec, s[12:13]
	v_cmp_gt_u32_e64 s[12:13], s22, v25
	s_and_b64 s[82:83], s[16:17], s[12:13]
	v_add_u32_e32 v31, v30, v29
	s_waitcnt lgkmcnt(0)
	s_barrier
	s_and_saveexec_b64 s[12:13], s[82:83]
	s_cbranch_execz .LBB28_518
; %bb.517:                              ;   in Loop: Header=BB28_514 Depth=1
	ds_read_b64 v[32:33], v31 offset:1536
	ds_read_b64 v[34:35], v27
	s_waitcnt lgkmcnt(0)
	v_fma_f64 v[11:12], -v[32:33], v[34:35], v[11:12]
.LBB28_518:                             ;   in Loop: Header=BB28_514 Depth=1
	s_or_b64 exec, exec, s[12:13]
	s_add_i32 s23, s22, -1
	v_cmp_eq_u32_e64 s[12:13], s23, v25
	s_and_b64 s[82:83], s[16:17], s[12:13]
	s_barrier
	s_and_saveexec_b64 s[12:13], s[82:83]
	s_cbranch_execz .LBB28_520
; %bb.519:                              ;   in Loop: Header=BB28_514 Depth=1
	ds_read_b64 v[32:33], v28
	s_waitcnt lgkmcnt(0)
	v_mul_f64 v[11:12], v[11:12], v[32:33]
	v_xor_b32_e32 v33, 0x80000000, v12
	v_mov_b32_e32 v32, v11
	ds_write_b64 v27, v[32:33]
.LBB28_520:                             ;   in Loop: Header=BB28_514 Depth=1
	s_or_b64 exec, exec, s[12:13]
	v_cmp_gt_u32_e64 s[12:13], s23, v25
	s_and_b64 s[82:83], s[16:17], s[12:13]
	s_waitcnt lgkmcnt(0)
	s_barrier
	s_and_saveexec_b64 s[12:13], s[82:83]
	s_cbranch_execz .LBB28_522
; %bb.521:                              ;   in Loop: Header=BB28_514 Depth=1
	ds_read_b64 v[32:33], v31 offset:1024
	ds_read_b64 v[34:35], v27
	s_waitcnt lgkmcnt(0)
	v_fma_f64 v[11:12], -v[32:33], v[34:35], v[11:12]
.LBB28_522:                             ;   in Loop: Header=BB28_514 Depth=1
	s_or_b64 exec, exec, s[12:13]
	s_add_i32 s23, s22, -2
	v_cmp_eq_u32_e64 s[12:13], s23, v25
	s_and_b64 s[82:83], s[16:17], s[12:13]
	s_barrier
	s_and_saveexec_b64 s[12:13], s[82:83]
	s_cbranch_execz .LBB28_524
; %bb.523:                              ;   in Loop: Header=BB28_514 Depth=1
	ds_read_b64 v[32:33], v28
	s_waitcnt lgkmcnt(0)
	v_mul_f64 v[11:12], v[11:12], v[32:33]
	v_xor_b32_e32 v33, 0x80000000, v12
	v_mov_b32_e32 v32, v11
	ds_write_b64 v27, v[32:33]
.LBB28_524:                             ;   in Loop: Header=BB28_514 Depth=1
	s_or_b64 exec, exec, s[12:13]
	v_cmp_gt_u32_e64 s[12:13], s23, v25
	s_and_b64 s[82:83], s[16:17], s[12:13]
	s_waitcnt lgkmcnt(0)
	s_barrier
	s_and_saveexec_b64 s[12:13], s[82:83]
	s_cbranch_execz .LBB28_526
; %bb.525:                              ;   in Loop: Header=BB28_514 Depth=1
	ds_read_b64 v[32:33], v31 offset:512
	ds_read_b64 v[34:35], v27
	s_waitcnt lgkmcnt(0)
	v_fma_f64 v[11:12], -v[32:33], v[34:35], v[11:12]
.LBB28_526:                             ;   in Loop: Header=BB28_514 Depth=1
	s_or_b64 exec, exec, s[12:13]
	s_add_i32 s23, s22, -3
	v_cmp_eq_u32_e64 s[12:13], s23, v25
	s_and_b64 s[82:83], s[16:17], s[12:13]
	s_barrier
	s_and_saveexec_b64 s[12:13], s[82:83]
	s_cbranch_execz .LBB28_528
; %bb.527:                              ;   in Loop: Header=BB28_514 Depth=1
	ds_read_b64 v[32:33], v28
	s_waitcnt lgkmcnt(0)
	v_mul_f64 v[11:12], v[11:12], v[32:33]
	v_xor_b32_e32 v33, 0x80000000, v12
	v_mov_b32_e32 v32, v11
	ds_write_b64 v27, v[32:33]
.LBB28_528:                             ;   in Loop: Header=BB28_514 Depth=1
	s_or_b64 exec, exec, s[12:13]
	v_cmp_gt_u32_e64 s[12:13], s23, v25
	s_and_b64 s[82:83], s[16:17], s[12:13]
	s_waitcnt lgkmcnt(0)
	s_barrier
	s_and_saveexec_b64 s[12:13], s[82:83]
	s_cbranch_execz .LBB28_513
; %bb.529:                              ;   in Loop: Header=BB28_514 Depth=1
	ds_read_b64 v[31:32], v31
	ds_read_b64 v[33:34], v27
	s_waitcnt lgkmcnt(0)
	v_fma_f64 v[11:12], -v[31:32], v[33:34], v[11:12]
	s_branch .LBB28_513
.LBB28_530:
	s_and_saveexec_b64 s[12:13], s[10:11]
; %bb.531:
	v_lshlrev_b32_e32 v25, 3, v25
	v_lshl_or_b32 v25, v26, 9, v25
	ds_write_b64 v25, v[11:12] offset:16384
; %bb.532:
	s_or_b64 exec, exec, s[12:13]
	s_waitcnt lgkmcnt(0)
	s_barrier
	s_barrier
	s_and_saveexec_b64 s[10:11], vcc
	s_cbranch_execz .LBB28_534
; %bb.533:
	v_mov_b32_e32 v29, 0
	ds_read_b128 v[25:28], v29 offset:16112
	ds_read_b64 v[11:12], v29 offset:15600
	s_waitcnt lgkmcnt(0)
	v_mul_f64 v[11:12], v[11:12], v[27:28]
	v_mul_f64 v[11:12], v[25:26], v[11:12]
	ds_write_b64 v29, v[11:12] offset:16112
.LBB28_534:
	s_or_b64 exec, exec, s[10:11]
	v_mov_b32_e32 v11, 0
	v_mov_b32_e32 v12, 0
	s_waitcnt lgkmcnt(0)
	s_barrier
	buffer_wbinvl1_vol
	s_and_saveexec_b64 s[12:13], s[0:1]
	s_cbranch_execz .LBB28_538
; %bb.535:
	v_lshlrev_b32_e32 v25, 9, v13
	v_lshlrev_b32_e32 v11, 3, v1
	ds_read_b64 v[11:12], v11 offset:15584
	ds_read_b64 v[25:26], v25 offset:15600
	v_cmp_gt_u32_e64 s[10:11], 2, v15
	s_waitcnt lgkmcnt(0)
	v_fma_f64 v[11:12], v[11:12], v[25:26], 0
	s_and_saveexec_b64 s[16:17], s[10:11]
	s_cbranch_execz .LBB28_537
; %bb.536:
	v_lshlrev_b32_e32 v25, 3, v0
	v_mov_b32_e32 v27, 0
	ds_read_b64 v[25:26], v25 offset:16096
	ds_read_b64 v[27:28], v27 offset:16120
	s_waitcnt lgkmcnt(0)
	v_fma_f64 v[11:12], v[25:26], v[27:28], v[11:12]
.LBB28_537:
	s_or_b64 exec, exec, s[16:17]
.LBB28_538:
	s_or_b64 exec, exec, s[12:13]
	s_and_saveexec_b64 s[10:11], s[40:41]
	s_cbranch_execz .LBB28_540
; %bb.539:
	v_mov_b32_e32 v25, 0
	ds_read_b64 v[25:26], v25 offset:15080
	s_waitcnt lgkmcnt(0)
	v_mul_f64 v[11:12], v[11:12], v[25:26]
	v_xor_b32_e32 v26, 0x80000000, v12
	v_mov_b32_e32 v25, v11
	ds_write_b64 v14, v[25:26]
.LBB28_540:
	s_or_b64 exec, exec, s[10:11]
	s_waitcnt lgkmcnt(0)
	s_barrier
	s_and_saveexec_b64 s[10:11], s[38:39]
	s_cbranch_execz .LBB28_542
; %bb.541:
	v_mov_b32_e32 v25, 0
	ds_read_b64 v[25:26], v25 offset:15072
	ds_read_b64 v[27:28], v14
	s_waitcnt lgkmcnt(0)
	v_fma_f64 v[11:12], -v[25:26], v[27:28], v[11:12]
.LBB28_542:
	s_or_b64 exec, exec, s[10:11]
	s_barrier
	s_and_saveexec_b64 s[10:11], s[38:39]
	s_cbranch_execz .LBB28_544
; %bb.543:
	v_mov_b32_e32 v25, 0
	ds_read_b64 v[25:26], v25 offset:14560
	s_waitcnt lgkmcnt(0)
	v_mul_f64 v[11:12], v[11:12], v[25:26]
	v_xor_b32_e32 v26, 0x80000000, v12
	v_mov_b32_e32 v25, v11
	ds_write_b64 v14, v[25:26]
.LBB28_544:
	s_or_b64 exec, exec, s[10:11]
	s_waitcnt lgkmcnt(0)
	s_barrier
	s_barrier
	s_and_saveexec_b64 s[10:11], s[0:1]
; %bb.545:
	v_lshlrev_b32_e32 v25, 3, v1
	v_lshl_or_b32 v25, v13, 9, v25
	ds_write_b64 v25, v[11:12] offset:15584
; %bb.546:
	s_or_b64 exec, exec, s[10:11]
	s_waitcnt lgkmcnt(0)
	s_barrier
	s_barrier
	s_and_saveexec_b64 s[10:11], vcc
	s_cbranch_execz .LBB28_548
; %bb.547:
	v_mov_b32_e32 v29, 0
	ds_read_b128 v[25:28], v29 offset:15072
	ds_read_b64 v[11:12], v29 offset:14560
	s_waitcnt lgkmcnt(0)
	v_mul_f64 v[11:12], v[11:12], v[27:28]
	v_mul_f64 v[11:12], v[25:26], v[11:12]
	ds_write_b64 v29, v[11:12] offset:15072
.LBB28_548:
	s_or_b64 exec, exec, s[10:11]
	v_mov_b32_e32 v11, 0
	v_mov_b32_e32 v12, 0
	s_waitcnt lgkmcnt(0)
	s_barrier
	buffer_wbinvl1_vol
	s_and_saveexec_b64 s[12:13], s[2:3]
	s_cbranch_execz .LBB28_554
; %bb.549:
	v_lshlrev_b32_e32 v26, 3, v16
	v_lshlrev_b32_e32 v25, 9, v17
	ds_read_b64 v[11:12], v26 offset:14528
	ds_read_b64 v[27:28], v25 offset:14560
	v_cmp_gt_u32_e64 s[10:11], 12, v15
	s_waitcnt lgkmcnt(0)
	v_fma_f64 v[11:12], v[11:12], v[27:28], 0
	s_and_saveexec_b64 s[16:17], s[10:11]
	s_cbranch_execnz .LBB28_1061
; %bb.550:
	s_or_b64 exec, exec, s[16:17]
	v_cmp_gt_u32_e64 s[10:11], 8, v15
	s_and_saveexec_b64 s[16:17], s[10:11]
	s_cbranch_execnz .LBB28_1062
.LBB28_551:
	s_or_b64 exec, exec, s[16:17]
	v_cmp_gt_u32_e64 s[10:11], 4, v15
	s_and_saveexec_b64 s[16:17], s[10:11]
	s_cbranch_execz .LBB28_553
.LBB28_552:
	v_lshlrev_b32_e32 v25, 3, v0
	v_mov_b32_e32 v27, 0
	ds_read_b64 v[25:26], v25 offset:16064
	ds_read_b64 v[27:28], v27 offset:16120
	s_waitcnt lgkmcnt(0)
	v_fma_f64 v[11:12], v[25:26], v[27:28], v[11:12]
.LBB28_553:
	s_or_b64 exec, exec, s[16:17]
.LBB28_554:
	s_or_b64 exec, exec, s[12:13]
	s_and_saveexec_b64 s[10:11], s[44:45]
	s_cbranch_execz .LBB28_556
; %bb.555:
	v_mov_b32_e32 v25, 0
	ds_read_b64 v[25:26], v25 offset:14040
	s_waitcnt lgkmcnt(0)
	v_mul_f64 v[11:12], v[11:12], v[25:26]
	v_xor_b32_e32 v26, 0x80000000, v12
	v_mov_b32_e32 v25, v11
	ds_write_b64 v18, v[25:26]
.LBB28_556:
	s_or_b64 exec, exec, s[10:11]
	s_waitcnt lgkmcnt(0)
	s_barrier
	s_and_saveexec_b64 s[10:11], s[46:47]
	s_cbranch_execz .LBB28_558
; %bb.557:
	v_lshlrev_b32_e32 v25, 3, v16
	ds_read_b64 v[25:26], v25 offset:14016
	ds_read_b64 v[27:28], v18
	s_waitcnt lgkmcnt(0)
	v_fma_f64 v[11:12], -v[25:26], v[27:28], v[11:12]
.LBB28_558:
	s_or_b64 exec, exec, s[10:11]
	s_barrier
	s_and_saveexec_b64 s[10:11], s[48:49]
	s_cbranch_execz .LBB28_560
; %bb.559:
	v_mov_b32_e32 v25, 0
	ds_read_b64 v[25:26], v25 offset:13520
	s_waitcnt lgkmcnt(0)
	v_mul_f64 v[11:12], v[11:12], v[25:26]
	v_xor_b32_e32 v26, 0x80000000, v12
	v_mov_b32_e32 v25, v11
	ds_write_b64 v18, v[25:26]
.LBB28_560:
	s_or_b64 exec, exec, s[10:11]
	s_waitcnt lgkmcnt(0)
	s_barrier
	s_and_saveexec_b64 s[10:11], s[50:51]
	s_cbranch_execz .LBB28_562
; %bb.561:
	v_lshlrev_b32_e32 v25, 3, v16
	ds_read_b64 v[25:26], v25 offset:13504
	ds_read_b64 v[27:28], v18
	s_waitcnt lgkmcnt(0)
	v_fma_f64 v[11:12], -v[25:26], v[27:28], v[11:12]
.LBB28_562:
	s_or_b64 exec, exec, s[10:11]
	s_barrier
	s_and_saveexec_b64 s[10:11], s[52:53]
	s_cbranch_execz .LBB28_564
; %bb.563:
	v_mov_b32_e32 v25, 0
	ds_read_b64 v[25:26], v25 offset:13000
	s_waitcnt lgkmcnt(0)
	v_mul_f64 v[11:12], v[11:12], v[25:26]
	v_xor_b32_e32 v26, 0x80000000, v12
	v_mov_b32_e32 v25, v11
	ds_write_b64 v18, v[25:26]
.LBB28_564:
	s_or_b64 exec, exec, s[10:11]
	s_waitcnt lgkmcnt(0)
	s_barrier
	s_and_saveexec_b64 s[10:11], s[42:43]
	s_cbranch_execz .LBB28_566
; %bb.565:
	v_mov_b32_e32 v25, 0
	ds_read_b64 v[25:26], v25 offset:12992
	ds_read_b64 v[27:28], v18
	s_waitcnt lgkmcnt(0)
	v_fma_f64 v[11:12], -v[25:26], v[27:28], v[11:12]
.LBB28_566:
	s_or_b64 exec, exec, s[10:11]
	s_barrier
	s_and_saveexec_b64 s[10:11], s[42:43]
	s_cbranch_execz .LBB28_568
; %bb.567:
	v_mov_b32_e32 v25, 0
	ds_read_b64 v[25:26], v25 offset:12480
	s_waitcnt lgkmcnt(0)
	v_mul_f64 v[11:12], v[11:12], v[25:26]
	v_xor_b32_e32 v26, 0x80000000, v12
	v_mov_b32_e32 v25, v11
	ds_write_b64 v18, v[25:26]
.LBB28_568:
	s_or_b64 exec, exec, s[10:11]
	s_waitcnt lgkmcnt(0)
	s_barrier
	s_barrier
	s_and_saveexec_b64 s[10:11], s[2:3]
; %bb.569:
	v_lshlrev_b32_e32 v25, 3, v16
	v_lshl_or_b32 v25, v17, 9, v25
	ds_write_b64 v25, v[11:12] offset:14528
; %bb.570:
	s_or_b64 exec, exec, s[10:11]
	s_waitcnt lgkmcnt(0)
	s_barrier
	s_barrier
	s_and_saveexec_b64 s[10:11], vcc
	s_cbranch_execz .LBB28_572
; %bb.571:
	v_mov_b32_e32 v29, 0
	ds_read_b128 v[25:28], v29 offset:14032
	ds_read_b64 v[11:12], v29 offset:13520
	s_waitcnt lgkmcnt(0)
	v_mul_f64 v[11:12], v[11:12], v[27:28]
	v_mul_f64 v[11:12], v[25:26], v[11:12]
	ds_write_b64 v29, v[11:12] offset:14032
.LBB28_572:
	s_or_b64 exec, exec, s[10:11]
	v_mov_b32_e32 v11, 0
	v_mov_b32_e32 v12, 0
	s_waitcnt lgkmcnt(0)
	s_barrier
	buffer_wbinvl1_vol
	s_and_saveexec_b64 s[12:13], s[0:1]
	s_cbranch_execz .LBB28_576
; %bb.573:
	v_lshlrev_b32_e32 v25, 9, v13
	v_lshlrev_b32_e32 v11, 3, v1
	ds_read_b64 v[11:12], v11 offset:13504
	ds_read_b64 v[25:26], v25 offset:13520
	v_cmp_gt_u32_e64 s[10:11], 2, v15
	s_waitcnt lgkmcnt(0)
	v_fma_f64 v[11:12], v[11:12], v[25:26], 0
	s_and_saveexec_b64 s[16:17], s[10:11]
	s_cbranch_execz .LBB28_575
; %bb.574:
	v_lshlrev_b32_e32 v25, 3, v0
	v_mov_b32_e32 v27, 0
	ds_read_b64 v[25:26], v25 offset:14016
	ds_read_b64 v[27:28], v27 offset:14040
	s_waitcnt lgkmcnt(0)
	v_fma_f64 v[11:12], v[25:26], v[27:28], v[11:12]
.LBB28_575:
	s_or_b64 exec, exec, s[16:17]
.LBB28_576:
	s_or_b64 exec, exec, s[12:13]
	s_and_saveexec_b64 s[10:11], s[40:41]
	s_cbranch_execz .LBB28_578
; %bb.577:
	v_mov_b32_e32 v25, 0
	ds_read_b64 v[25:26], v25 offset:13000
	s_waitcnt lgkmcnt(0)
	v_mul_f64 v[11:12], v[11:12], v[25:26]
	v_xor_b32_e32 v26, 0x80000000, v12
	v_mov_b32_e32 v25, v11
	ds_write_b64 v14, v[25:26]
.LBB28_578:
	s_or_b64 exec, exec, s[10:11]
	s_waitcnt lgkmcnt(0)
	s_barrier
	s_and_saveexec_b64 s[10:11], s[38:39]
	s_cbranch_execz .LBB28_580
; %bb.579:
	v_mov_b32_e32 v25, 0
	ds_read_b64 v[25:26], v25 offset:12992
	ds_read_b64 v[27:28], v14
	s_waitcnt lgkmcnt(0)
	v_fma_f64 v[11:12], -v[25:26], v[27:28], v[11:12]
.LBB28_580:
	s_or_b64 exec, exec, s[10:11]
	s_barrier
	s_and_saveexec_b64 s[10:11], s[38:39]
	s_cbranch_execz .LBB28_582
; %bb.581:
	v_mov_b32_e32 v25, 0
	ds_read_b64 v[25:26], v25 offset:12480
	s_waitcnt lgkmcnt(0)
	v_mul_f64 v[11:12], v[11:12], v[25:26]
	v_xor_b32_e32 v26, 0x80000000, v12
	v_mov_b32_e32 v25, v11
	ds_write_b64 v14, v[25:26]
.LBB28_582:
	s_or_b64 exec, exec, s[10:11]
	s_waitcnt lgkmcnt(0)
	s_barrier
	s_barrier
	s_and_saveexec_b64 s[10:11], s[0:1]
; %bb.583:
	v_lshlrev_b32_e32 v25, 3, v1
	v_lshl_or_b32 v25, v13, 9, v25
	ds_write_b64 v25, v[11:12] offset:13504
; %bb.584:
	s_or_b64 exec, exec, s[10:11]
	s_waitcnt lgkmcnt(0)
	s_barrier
	s_barrier
	s_and_saveexec_b64 s[10:11], vcc
	s_cbranch_execz .LBB28_586
; %bb.585:
	v_mov_b32_e32 v29, 0
	ds_read_b128 v[25:28], v29 offset:12992
	ds_read_b64 v[11:12], v29 offset:12480
	s_waitcnt lgkmcnt(0)
	v_mul_f64 v[11:12], v[11:12], v[27:28]
	v_mul_f64 v[11:12], v[25:26], v[11:12]
	ds_write_b64 v29, v[11:12] offset:12992
.LBB28_586:
	s_or_b64 exec, exec, s[10:11]
	v_mov_b32_e32 v11, 0
	v_mov_b32_e32 v12, 0
	s_waitcnt lgkmcnt(0)
	s_barrier
	buffer_wbinvl1_vol
	s_and_saveexec_b64 s[12:13], s[14:15]
	s_cbranch_execz .LBB28_596
; %bb.587:
	v_lshlrev_b32_e32 v26, 3, v19
	v_lshlrev_b32_e32 v25, 9, v20
	ds_read_b64 v[11:12], v26 offset:12416
	ds_read_b64 v[27:28], v25 offset:12480
	v_cmp_gt_u32_e64 s[10:11], 56, v15
	s_waitcnt lgkmcnt(0)
	v_fma_f64 v[11:12], v[11:12], v[27:28], 0
	s_and_saveexec_b64 s[16:17], s[10:11]
	s_cbranch_execnz .LBB28_1063
; %bb.588:
	s_or_b64 exec, exec, s[16:17]
	v_cmp_gt_u32_e64 s[10:11], 48, v15
	s_and_saveexec_b64 s[16:17], s[10:11]
	s_cbranch_execnz .LBB28_1064
.LBB28_589:
	s_or_b64 exec, exec, s[16:17]
	v_cmp_gt_u32_e64 s[10:11], 40, v15
	s_and_saveexec_b64 s[16:17], s[10:11]
	s_cbranch_execnz .LBB28_1065
.LBB28_590:
	s_or_b64 exec, exec, s[16:17]
	v_cmp_gt_u32_e64 s[10:11], 32, v15
	s_and_saveexec_b64 s[16:17], s[10:11]
	s_cbranch_execnz .LBB28_1066
.LBB28_591:
	s_or_b64 exec, exec, s[16:17]
	v_cmp_gt_u32_e64 s[10:11], 24, v15
	s_and_saveexec_b64 s[16:17], s[10:11]
	s_cbranch_execnz .LBB28_1067
.LBB28_592:
	s_or_b64 exec, exec, s[16:17]
	s_and_saveexec_b64 s[10:11], s[2:3]
	s_cbranch_execnz .LBB28_1068
.LBB28_593:
	s_or_b64 exec, exec, s[10:11]
	v_cmp_gt_u32_e64 s[10:11], 8, v15
	s_and_saveexec_b64 s[16:17], s[10:11]
	s_cbranch_execz .LBB28_595
.LBB28_594:
	v_lshlrev_b32_e32 v25, 3, v0
	v_mov_b32_e32 v27, 0
	ds_read_b64 v[25:26], v25 offset:16000
	ds_read_b64 v[27:28], v27 offset:16120
	s_waitcnt lgkmcnt(0)
	v_fma_f64 v[11:12], v[25:26], v[27:28], v[11:12]
.LBB28_595:
	s_or_b64 exec, exec, s[16:17]
.LBB28_596:
	s_or_b64 exec, exec, s[12:13]
	s_and_saveexec_b64 s[10:11], s[54:55]
	s_cbranch_execz .LBB28_598
; %bb.597:
	v_mov_b32_e32 v25, 0
	ds_read_b64 v[25:26], v25 offset:11960
	s_waitcnt lgkmcnt(0)
	v_mul_f64 v[11:12], v[11:12], v[25:26]
	v_xor_b32_e32 v26, 0x80000000, v12
	v_mov_b32_e32 v25, v11
	ds_write_b64 v21, v[25:26]
.LBB28_598:
	s_or_b64 exec, exec, s[10:11]
	s_waitcnt lgkmcnt(0)
	s_barrier
	s_and_saveexec_b64 s[10:11], s[56:57]
	s_cbranch_execz .LBB28_600
; %bb.599:
	v_lshlrev_b32_e32 v25, 3, v19
	ds_read_b64 v[25:26], v25 offset:11904
	ds_read_b64 v[27:28], v21
	s_waitcnt lgkmcnt(0)
	v_fma_f64 v[11:12], -v[25:26], v[27:28], v[11:12]
.LBB28_600:
	s_or_b64 exec, exec, s[10:11]
	s_barrier
	s_and_saveexec_b64 s[10:11], s[58:59]
	s_cbranch_execz .LBB28_602
; %bb.601:
	v_mov_b32_e32 v25, 0
	ds_read_b64 v[25:26], v25 offset:11440
	s_waitcnt lgkmcnt(0)
	v_mul_f64 v[11:12], v[11:12], v[25:26]
	v_xor_b32_e32 v26, 0x80000000, v12
	v_mov_b32_e32 v25, v11
	ds_write_b64 v21, v[25:26]
.LBB28_602:
	s_or_b64 exec, exec, s[10:11]
	s_waitcnt lgkmcnt(0)
	s_barrier
	s_and_saveexec_b64 s[10:11], s[60:61]
	s_cbranch_execz .LBB28_604
; %bb.603:
	v_lshlrev_b32_e32 v25, 3, v19
	ds_read_b64 v[25:26], v25 offset:11392
	ds_read_b64 v[27:28], v21
	s_waitcnt lgkmcnt(0)
	v_fma_f64 v[11:12], -v[25:26], v[27:28], v[11:12]
.LBB28_604:
	s_or_b64 exec, exec, s[10:11]
	s_barrier
	;; [unrolled: 25-line block ×6, first 2 shown]
	s_and_saveexec_b64 s[10:11], s[80:81]
	s_cbranch_execz .LBB28_622
; %bb.621:
	v_mov_b32_e32 v25, 0
	ds_read_b64 v[25:26], v25 offset:8840
	s_waitcnt lgkmcnt(0)
	v_mul_f64 v[11:12], v[11:12], v[25:26]
	v_xor_b32_e32 v26, 0x80000000, v12
	v_mov_b32_e32 v25, v11
	ds_write_b64 v21, v[25:26]
.LBB28_622:
	s_or_b64 exec, exec, s[10:11]
	s_waitcnt lgkmcnt(0)
	s_barrier
	s_and_saveexec_b64 s[10:11], s[64:65]
	s_cbranch_execz .LBB28_624
; %bb.623:
	v_mov_b32_e32 v25, 0
	ds_read_b64 v[25:26], v25 offset:8832
	ds_read_b64 v[27:28], v21
	s_waitcnt lgkmcnt(0)
	v_fma_f64 v[11:12], -v[25:26], v[27:28], v[11:12]
.LBB28_624:
	s_or_b64 exec, exec, s[10:11]
	s_barrier
	s_and_saveexec_b64 s[10:11], s[64:65]
	s_cbranch_execz .LBB28_626
; %bb.625:
	v_mov_b32_e32 v25, 0
	ds_read_b64 v[25:26], v25 offset:8320
	s_waitcnt lgkmcnt(0)
	v_mul_f64 v[11:12], v[11:12], v[25:26]
	v_xor_b32_e32 v26, 0x80000000, v12
	v_mov_b32_e32 v25, v11
	ds_write_b64 v21, v[25:26]
.LBB28_626:
	s_or_b64 exec, exec, s[10:11]
	s_waitcnt lgkmcnt(0)
	s_barrier
	s_barrier
	s_and_saveexec_b64 s[10:11], s[14:15]
; %bb.627:
	v_lshlrev_b32_e32 v25, 3, v19
	v_lshl_or_b32 v25, v20, 9, v25
	ds_write_b64 v25, v[11:12] offset:12416
; %bb.628:
	s_or_b64 exec, exec, s[10:11]
	s_waitcnt lgkmcnt(0)
	s_barrier
	s_barrier
	s_and_saveexec_b64 s[10:11], vcc
	s_cbranch_execz .LBB28_630
; %bb.629:
	v_mov_b32_e32 v29, 0
	ds_read_b128 v[25:28], v29 offset:11952
	ds_read_b64 v[11:12], v29 offset:11440
	s_waitcnt lgkmcnt(0)
	v_mul_f64 v[11:12], v[11:12], v[27:28]
	v_mul_f64 v[11:12], v[25:26], v[11:12]
	ds_write_b64 v29, v[11:12] offset:11952
.LBB28_630:
	s_or_b64 exec, exec, s[10:11]
	v_mov_b32_e32 v11, 0
	v_mov_b32_e32 v12, 0
	s_waitcnt lgkmcnt(0)
	s_barrier
	buffer_wbinvl1_vol
	s_and_saveexec_b64 s[12:13], s[0:1]
	s_cbranch_execz .LBB28_634
; %bb.631:
	v_lshlrev_b32_e32 v25, 9, v13
	v_lshlrev_b32_e32 v11, 3, v1
	ds_read_b64 v[11:12], v11 offset:11424
	ds_read_b64 v[25:26], v25 offset:11440
	v_cmp_gt_u32_e64 s[10:11], 2, v15
	s_waitcnt lgkmcnt(0)
	v_fma_f64 v[11:12], v[11:12], v[25:26], 0
	s_and_saveexec_b64 s[16:17], s[10:11]
	s_cbranch_execz .LBB28_633
; %bb.632:
	v_lshlrev_b32_e32 v25, 3, v0
	v_mov_b32_e32 v27, 0
	ds_read_b64 v[25:26], v25 offset:11936
	ds_read_b64 v[27:28], v27 offset:11960
	s_waitcnt lgkmcnt(0)
	v_fma_f64 v[11:12], v[25:26], v[27:28], v[11:12]
.LBB28_633:
	s_or_b64 exec, exec, s[16:17]
.LBB28_634:
	s_or_b64 exec, exec, s[12:13]
	s_and_saveexec_b64 s[10:11], s[40:41]
	s_cbranch_execz .LBB28_636
; %bb.635:
	v_mov_b32_e32 v25, 0
	ds_read_b64 v[25:26], v25 offset:10920
	s_waitcnt lgkmcnt(0)
	v_mul_f64 v[11:12], v[11:12], v[25:26]
	v_xor_b32_e32 v26, 0x80000000, v12
	v_mov_b32_e32 v25, v11
	ds_write_b64 v14, v[25:26]
.LBB28_636:
	s_or_b64 exec, exec, s[10:11]
	s_waitcnt lgkmcnt(0)
	s_barrier
	s_and_saveexec_b64 s[10:11], s[38:39]
	s_cbranch_execz .LBB28_638
; %bb.637:
	v_mov_b32_e32 v25, 0
	ds_read_b64 v[25:26], v25 offset:10912
	ds_read_b64 v[27:28], v14
	s_waitcnt lgkmcnt(0)
	v_fma_f64 v[11:12], -v[25:26], v[27:28], v[11:12]
.LBB28_638:
	s_or_b64 exec, exec, s[10:11]
	s_barrier
	s_and_saveexec_b64 s[10:11], s[38:39]
	s_cbranch_execz .LBB28_640
; %bb.639:
	v_mov_b32_e32 v25, 0
	ds_read_b64 v[25:26], v25 offset:10400
	s_waitcnt lgkmcnt(0)
	v_mul_f64 v[11:12], v[11:12], v[25:26]
	v_xor_b32_e32 v26, 0x80000000, v12
	v_mov_b32_e32 v25, v11
	ds_write_b64 v14, v[25:26]
.LBB28_640:
	s_or_b64 exec, exec, s[10:11]
	s_waitcnt lgkmcnt(0)
	s_barrier
	s_barrier
	s_and_saveexec_b64 s[10:11], s[0:1]
; %bb.641:
	v_lshlrev_b32_e32 v25, 3, v1
	v_lshl_or_b32 v25, v13, 9, v25
	ds_write_b64 v25, v[11:12] offset:11424
; %bb.642:
	s_or_b64 exec, exec, s[10:11]
	s_waitcnt lgkmcnt(0)
	s_barrier
	s_barrier
	s_and_saveexec_b64 s[10:11], vcc
	s_cbranch_execz .LBB28_644
; %bb.643:
	v_mov_b32_e32 v29, 0
	ds_read_b128 v[25:28], v29 offset:10912
	ds_read_b64 v[11:12], v29 offset:10400
	s_waitcnt lgkmcnt(0)
	v_mul_f64 v[11:12], v[11:12], v[27:28]
	v_mul_f64 v[11:12], v[25:26], v[11:12]
	ds_write_b64 v29, v[11:12] offset:10912
.LBB28_644:
	s_or_b64 exec, exec, s[10:11]
	v_mov_b32_e32 v11, 0
	v_mov_b32_e32 v12, 0
	s_waitcnt lgkmcnt(0)
	s_barrier
	buffer_wbinvl1_vol
	s_and_saveexec_b64 s[12:13], s[2:3]
	s_cbranch_execz .LBB28_650
; %bb.645:
	v_lshlrev_b32_e32 v26, 3, v16
	v_lshlrev_b32_e32 v25, 9, v17
	ds_read_b64 v[11:12], v26 offset:10368
	ds_read_b64 v[27:28], v25 offset:10400
	v_cmp_gt_u32_e64 s[10:11], 12, v15
	s_waitcnt lgkmcnt(0)
	v_fma_f64 v[11:12], v[11:12], v[27:28], 0
	s_and_saveexec_b64 s[16:17], s[10:11]
	s_cbranch_execnz .LBB28_1069
; %bb.646:
	s_or_b64 exec, exec, s[16:17]
	v_cmp_gt_u32_e64 s[10:11], 8, v15
	s_and_saveexec_b64 s[16:17], s[10:11]
	s_cbranch_execnz .LBB28_1070
.LBB28_647:
	s_or_b64 exec, exec, s[16:17]
	v_cmp_gt_u32_e64 s[10:11], 4, v15
	s_and_saveexec_b64 s[16:17], s[10:11]
	s_cbranch_execz .LBB28_649
.LBB28_648:
	v_lshlrev_b32_e32 v25, 3, v0
	v_mov_b32_e32 v27, 0
	ds_read_b64 v[25:26], v25 offset:11904
	ds_read_b64 v[27:28], v27 offset:11960
	s_waitcnt lgkmcnt(0)
	v_fma_f64 v[11:12], v[25:26], v[27:28], v[11:12]
.LBB28_649:
	s_or_b64 exec, exec, s[16:17]
.LBB28_650:
	s_or_b64 exec, exec, s[12:13]
	s_and_saveexec_b64 s[10:11], s[44:45]
	s_cbranch_execz .LBB28_652
; %bb.651:
	v_mov_b32_e32 v25, 0
	ds_read_b64 v[25:26], v25 offset:9880
	s_waitcnt lgkmcnt(0)
	v_mul_f64 v[11:12], v[11:12], v[25:26]
	v_xor_b32_e32 v26, 0x80000000, v12
	v_mov_b32_e32 v25, v11
	ds_write_b64 v18, v[25:26]
.LBB28_652:
	s_or_b64 exec, exec, s[10:11]
	s_waitcnt lgkmcnt(0)
	s_barrier
	s_and_saveexec_b64 s[10:11], s[46:47]
	s_cbranch_execz .LBB28_654
; %bb.653:
	v_lshlrev_b32_e32 v25, 3, v16
	ds_read_b64 v[25:26], v25 offset:9856
	ds_read_b64 v[27:28], v18
	s_waitcnt lgkmcnt(0)
	v_fma_f64 v[11:12], -v[25:26], v[27:28], v[11:12]
.LBB28_654:
	s_or_b64 exec, exec, s[10:11]
	s_barrier
	s_and_saveexec_b64 s[10:11], s[48:49]
	s_cbranch_execz .LBB28_656
; %bb.655:
	v_mov_b32_e32 v25, 0
	ds_read_b64 v[25:26], v25 offset:9360
	s_waitcnt lgkmcnt(0)
	v_mul_f64 v[11:12], v[11:12], v[25:26]
	v_xor_b32_e32 v26, 0x80000000, v12
	v_mov_b32_e32 v25, v11
	ds_write_b64 v18, v[25:26]
.LBB28_656:
	s_or_b64 exec, exec, s[10:11]
	s_waitcnt lgkmcnt(0)
	s_barrier
	s_and_saveexec_b64 s[10:11], s[50:51]
	s_cbranch_execz .LBB28_658
; %bb.657:
	v_lshlrev_b32_e32 v25, 3, v16
	ds_read_b64 v[25:26], v25 offset:9344
	ds_read_b64 v[27:28], v18
	s_waitcnt lgkmcnt(0)
	v_fma_f64 v[11:12], -v[25:26], v[27:28], v[11:12]
.LBB28_658:
	s_or_b64 exec, exec, s[10:11]
	s_barrier
	s_and_saveexec_b64 s[10:11], s[52:53]
	s_cbranch_execz .LBB28_660
; %bb.659:
	v_mov_b32_e32 v25, 0
	ds_read_b64 v[25:26], v25 offset:8840
	s_waitcnt lgkmcnt(0)
	v_mul_f64 v[11:12], v[11:12], v[25:26]
	v_xor_b32_e32 v26, 0x80000000, v12
	v_mov_b32_e32 v25, v11
	ds_write_b64 v18, v[25:26]
.LBB28_660:
	s_or_b64 exec, exec, s[10:11]
	s_waitcnt lgkmcnt(0)
	s_barrier
	s_and_saveexec_b64 s[10:11], s[42:43]
	s_cbranch_execz .LBB28_662
; %bb.661:
	v_mov_b32_e32 v25, 0
	ds_read_b64 v[25:26], v25 offset:8832
	ds_read_b64 v[27:28], v18
	s_waitcnt lgkmcnt(0)
	v_fma_f64 v[11:12], -v[25:26], v[27:28], v[11:12]
.LBB28_662:
	s_or_b64 exec, exec, s[10:11]
	s_barrier
	s_and_saveexec_b64 s[10:11], s[42:43]
	s_cbranch_execz .LBB28_664
; %bb.663:
	v_mov_b32_e32 v25, 0
	ds_read_b64 v[25:26], v25 offset:8320
	s_waitcnt lgkmcnt(0)
	v_mul_f64 v[11:12], v[11:12], v[25:26]
	v_xor_b32_e32 v26, 0x80000000, v12
	v_mov_b32_e32 v25, v11
	ds_write_b64 v18, v[25:26]
.LBB28_664:
	s_or_b64 exec, exec, s[10:11]
	s_waitcnt lgkmcnt(0)
	s_barrier
	s_barrier
	s_and_saveexec_b64 s[10:11], s[2:3]
; %bb.665:
	v_lshlrev_b32_e32 v25, 3, v16
	v_lshl_or_b32 v25, v17, 9, v25
	ds_write_b64 v25, v[11:12] offset:10368
; %bb.666:
	s_or_b64 exec, exec, s[10:11]
	s_waitcnt lgkmcnt(0)
	s_barrier
	s_barrier
	s_and_saveexec_b64 s[10:11], vcc
	s_cbranch_execz .LBB28_668
; %bb.667:
	v_mov_b32_e32 v29, 0
	ds_read_b128 v[25:28], v29 offset:9872
	ds_read_b64 v[11:12], v29 offset:9360
	s_waitcnt lgkmcnt(0)
	v_mul_f64 v[11:12], v[11:12], v[27:28]
	v_mul_f64 v[11:12], v[25:26], v[11:12]
	ds_write_b64 v29, v[11:12] offset:9872
.LBB28_668:
	s_or_b64 exec, exec, s[10:11]
	v_mov_b32_e32 v11, 0
	v_mov_b32_e32 v12, 0
	s_waitcnt lgkmcnt(0)
	s_barrier
	buffer_wbinvl1_vol
	s_and_saveexec_b64 s[12:13], s[0:1]
	s_cbranch_execz .LBB28_672
; %bb.669:
	v_lshlrev_b32_e32 v25, 9, v13
	v_lshlrev_b32_e32 v11, 3, v1
	ds_read_b64 v[11:12], v11 offset:9344
	ds_read_b64 v[25:26], v25 offset:9360
	v_cmp_gt_u32_e64 s[10:11], 2, v15
	s_waitcnt lgkmcnt(0)
	v_fma_f64 v[11:12], v[11:12], v[25:26], 0
	s_and_saveexec_b64 s[16:17], s[10:11]
	s_cbranch_execz .LBB28_671
; %bb.670:
	v_lshlrev_b32_e32 v25, 3, v0
	v_mov_b32_e32 v27, 0
	ds_read_b64 v[25:26], v25 offset:9856
	ds_read_b64 v[27:28], v27 offset:9880
	s_waitcnt lgkmcnt(0)
	v_fma_f64 v[11:12], v[25:26], v[27:28], v[11:12]
.LBB28_671:
	s_or_b64 exec, exec, s[16:17]
.LBB28_672:
	s_or_b64 exec, exec, s[12:13]
	s_and_saveexec_b64 s[10:11], s[40:41]
	s_cbranch_execz .LBB28_674
; %bb.673:
	v_mov_b32_e32 v25, 0
	ds_read_b64 v[25:26], v25 offset:8840
	s_waitcnt lgkmcnt(0)
	v_mul_f64 v[11:12], v[11:12], v[25:26]
	v_xor_b32_e32 v26, 0x80000000, v12
	v_mov_b32_e32 v25, v11
	ds_write_b64 v14, v[25:26]
.LBB28_674:
	s_or_b64 exec, exec, s[10:11]
	s_waitcnt lgkmcnt(0)
	s_barrier
	s_and_saveexec_b64 s[10:11], s[38:39]
	s_cbranch_execz .LBB28_676
; %bb.675:
	v_mov_b32_e32 v25, 0
	ds_read_b64 v[25:26], v25 offset:8832
	ds_read_b64 v[27:28], v14
	s_waitcnt lgkmcnt(0)
	v_fma_f64 v[11:12], -v[25:26], v[27:28], v[11:12]
.LBB28_676:
	s_or_b64 exec, exec, s[10:11]
	s_barrier
	s_and_saveexec_b64 s[10:11], s[38:39]
	s_cbranch_execz .LBB28_678
; %bb.677:
	v_mov_b32_e32 v25, 0
	ds_read_b64 v[25:26], v25 offset:8320
	s_waitcnt lgkmcnt(0)
	v_mul_f64 v[11:12], v[11:12], v[25:26]
	v_xor_b32_e32 v26, 0x80000000, v12
	v_mov_b32_e32 v25, v11
	ds_write_b64 v14, v[25:26]
.LBB28_678:
	s_or_b64 exec, exec, s[10:11]
	s_waitcnt lgkmcnt(0)
	s_barrier
	s_barrier
	s_and_saveexec_b64 s[10:11], s[0:1]
; %bb.679:
	v_lshlrev_b32_e32 v25, 3, v1
	v_lshl_or_b32 v25, v13, 9, v25
	ds_write_b64 v25, v[11:12] offset:9344
; %bb.680:
	s_or_b64 exec, exec, s[10:11]
	s_waitcnt lgkmcnt(0)
	s_barrier
	s_barrier
	s_and_saveexec_b64 s[10:11], vcc
	s_cbranch_execz .LBB28_682
; %bb.681:
	v_mov_b32_e32 v29, 0
	ds_read_b128 v[25:28], v29 offset:8832
	ds_read_b64 v[11:12], v29 offset:8320
	s_waitcnt lgkmcnt(0)
	v_mul_f64 v[11:12], v[11:12], v[27:28]
	v_mul_f64 v[11:12], v[25:26], v[11:12]
	ds_write_b64 v29, v[11:12] offset:8832
.LBB28_682:
	s_or_b64 exec, exec, s[10:11]
	v_mov_b32_e32 v11, 0
	v_mov_b32_e32 v12, 0
	s_waitcnt lgkmcnt(0)
	s_barrier
	buffer_wbinvl1_vol
	s_and_saveexec_b64 s[12:13], s[8:9]
	s_cbranch_execz .LBB28_710
; %bb.683:
	v_lshlrev_b32_e32 v26, 3, v22
	v_lshlrev_b32_e32 v25, 9, v23
	ds_read_b64 v[11:12], v26 offset:8192
	ds_read_b64 v[27:28], v25 offset:8320
	s_movk_i32 s10, 0xf0
	v_cmp_gt_u32_e64 s[10:11], s10, v15
	s_waitcnt lgkmcnt(0)
	v_fma_f64 v[11:12], v[11:12], v[27:28], 0
	s_and_saveexec_b64 s[16:17], s[10:11]
	s_cbranch_execz .LBB28_685
; %bb.684:
	ds_read_b64 v[27:28], v26 offset:8704
	ds_read_b64 v[29:30], v25 offset:8328
	s_waitcnt lgkmcnt(0)
	v_fma_f64 v[11:12], v[27:28], v[29:30], v[11:12]
.LBB28_685:
	s_or_b64 exec, exec, s[16:17]
	s_movk_i32 s10, 0xe0
	v_cmp_gt_u32_e64 s[10:11], s10, v15
	s_and_saveexec_b64 s[16:17], s[10:11]
	s_cbranch_execz .LBB28_687
; %bb.686:
	ds_read_b64 v[27:28], v26 offset:9216
	ds_read_b64 v[29:30], v25 offset:8336
	s_waitcnt lgkmcnt(0)
	v_fma_f64 v[11:12], v[27:28], v[29:30], v[11:12]
.LBB28_687:
	s_or_b64 exec, exec, s[16:17]
	s_movk_i32 s10, 0xd0
	v_cmp_gt_u32_e64 s[10:11], s10, v15
	;; [unrolled: 11-line block ×10, first 2 shown]
	s_and_saveexec_b64 s[16:17], s[10:11]
	s_cbranch_execnz .LBB28_1071
; %bb.704:
	s_or_b64 exec, exec, s[16:17]
	s_and_saveexec_b64 s[10:11], s[14:15]
	s_cbranch_execnz .LBB28_1072
.LBB28_705:
	s_or_b64 exec, exec, s[10:11]
	v_cmp_gt_u32_e64 s[10:11], 48, v15
	s_and_saveexec_b64 s[16:17], s[10:11]
	s_cbranch_execnz .LBB28_1073
.LBB28_706:
	s_or_b64 exec, exec, s[16:17]
	v_cmp_gt_u32_e64 s[10:11], 32, v15
	s_and_saveexec_b64 s[16:17], s[10:11]
	s_cbranch_execnz .LBB28_1074
.LBB28_707:
	s_or_b64 exec, exec, s[16:17]
	v_cmp_gt_u32_e64 s[10:11], 16, v15
	s_and_saveexec_b64 s[16:17], s[10:11]
	s_cbranch_execz .LBB28_709
.LBB28_708:
	v_lshlrev_b32_e32 v25, 3, v0
	v_mov_b32_e32 v27, 0
	ds_read_b64 v[25:26], v25 offset:15872
	ds_read_b64 v[27:28], v27 offset:16120
	s_waitcnt lgkmcnt(0)
	v_fma_f64 v[11:12], v[25:26], v[27:28], v[11:12]
.LBB28_709:
	s_or_b64 exec, exec, s[16:17]
.LBB28_710:
	s_or_b64 exec, exec, s[12:13]
	s_mov_b64 s[10:11], exec
	v_readlane_b32 s12, v36, 3
	v_readlane_b32 s13, v36, 4
	s_and_b64 s[12:13], s[10:11], s[12:13]
	s_mov_b64 exec, s[12:13]
	s_cbranch_execz .LBB28_712
; %bb.711:
	v_mov_b32_e32 v25, 0
	ds_read_b64 v[25:26], v25 offset:7800
	s_waitcnt lgkmcnt(0)
	v_mul_f64 v[11:12], v[11:12], v[25:26]
	v_xor_b32_e32 v26, 0x80000000, v12
	v_mov_b32_e32 v25, v11
	ds_write_b64 v24, v[25:26]
.LBB28_712:
	s_or_b64 exec, exec, s[10:11]
	s_waitcnt lgkmcnt(0)
	s_barrier
	s_mov_b64 s[10:11], exec
	v_readlane_b32 s12, v36, 5
	v_readlane_b32 s13, v36, 6
	s_and_b64 s[12:13], s[10:11], s[12:13]
	s_mov_b64 exec, s[12:13]
	s_cbranch_execz .LBB28_714
; %bb.713:
	v_lshlrev_b32_e32 v25, 3, v22
	ds_read_b64 v[25:26], v25 offset:7680
	ds_read_b64 v[27:28], v24
	s_waitcnt lgkmcnt(0)
	v_fma_f64 v[11:12], -v[25:26], v[27:28], v[11:12]
.LBB28_714:
	s_or_b64 exec, exec, s[10:11]
	s_barrier
	s_mov_b64 s[10:11], exec
	v_readlane_b32 s12, v36, 7
	v_readlane_b32 s13, v36, 8
	s_and_b64 s[12:13], s[10:11], s[12:13]
	s_mov_b64 exec, s[12:13]
	s_cbranch_execz .LBB28_716
; %bb.715:
	v_mov_b32_e32 v25, 0
	ds_read_b64 v[25:26], v25 offset:7280
	s_waitcnt lgkmcnt(0)
	v_mul_f64 v[11:12], v[11:12], v[25:26]
	v_xor_b32_e32 v26, 0x80000000, v12
	v_mov_b32_e32 v25, v11
	ds_write_b64 v24, v[25:26]
.LBB28_716:
	s_or_b64 exec, exec, s[10:11]
	s_waitcnt lgkmcnt(0)
	s_barrier
	s_mov_b64 s[10:11], exec
	v_readlane_b32 s12, v36, 9
	v_readlane_b32 s13, v36, 10
	s_and_b64 s[12:13], s[10:11], s[12:13]
	s_mov_b64 exec, s[12:13]
	s_cbranch_execz .LBB28_718
; %bb.717:
	v_lshlrev_b32_e32 v25, 3, v22
	ds_read_b64 v[25:26], v25 offset:7168
	ds_read_b64 v[27:28], v24
	s_waitcnt lgkmcnt(0)
	v_fma_f64 v[11:12], -v[25:26], v[27:28], v[11:12]
.LBB28_718:
	s_or_b64 exec, exec, s[10:11]
	s_barrier
	;; [unrolled: 33-line block ×13, first 2 shown]
	s_and_saveexec_b64 s[10:11], s[88:89]
	s_cbranch_execz .LBB28_764
; %bb.763:
	v_mov_b32_e32 v25, 0
	ds_read_b64 v[25:26], v25 offset:1040
	s_waitcnt lgkmcnt(0)
	v_mul_f64 v[11:12], v[11:12], v[25:26]
	v_xor_b32_e32 v26, 0x80000000, v12
	v_mov_b32_e32 v25, v11
	ds_write_b64 v24, v[25:26]
.LBB28_764:
	s_or_b64 exec, exec, s[10:11]
	s_waitcnt lgkmcnt(0)
	s_barrier
	s_and_saveexec_b64 s[10:11], s[90:91]
	s_cbranch_execz .LBB28_766
; %bb.765:
	v_lshlrev_b32_e32 v25, 3, v22
	ds_read_b64 v[25:26], v25 offset:1024
	ds_read_b64 v[27:28], v24
	s_waitcnt lgkmcnt(0)
	v_fma_f64 v[11:12], -v[25:26], v[27:28], v[11:12]
.LBB28_766:
	s_or_b64 exec, exec, s[10:11]
	s_barrier
	s_and_saveexec_b64 s[10:11], s[94:95]
	s_cbranch_execz .LBB28_768
; %bb.767:
	v_mov_b32_e32 v25, 0
	ds_read_b64 v[25:26], v25 offset:520
	s_waitcnt lgkmcnt(0)
	v_mul_f64 v[11:12], v[11:12], v[25:26]
	v_xor_b32_e32 v26, 0x80000000, v12
	v_mov_b32_e32 v25, v11
	ds_write_b64 v24, v[25:26]
.LBB28_768:
	s_or_b64 exec, exec, s[10:11]
	s_waitcnt lgkmcnt(0)
	s_barrier
	s_and_saveexec_b64 s[10:11], s[92:93]
	s_cbranch_execz .LBB28_770
; %bb.769:
	v_mov_b32_e32 v25, 0
	ds_read_b64 v[25:26], v25 offset:512
	ds_read_b64 v[27:28], v24
	s_waitcnt lgkmcnt(0)
	v_fma_f64 v[11:12], -v[25:26], v[27:28], v[11:12]
.LBB28_770:
	s_or_b64 exec, exec, s[10:11]
	s_barrier
	s_and_saveexec_b64 s[10:11], s[92:93]
	s_cbranch_execz .LBB28_772
; %bb.771:
	v_mov_b32_e32 v25, 0
	ds_read_b64 v[25:26], v25
	s_waitcnt lgkmcnt(0)
	v_mul_f64 v[11:12], v[11:12], v[25:26]
	v_xor_b32_e32 v26, 0x80000000, v12
	v_mov_b32_e32 v25, v11
	ds_write_b64 v24, v[25:26]
.LBB28_772:
	s_or_b64 exec, exec, s[10:11]
	s_waitcnt lgkmcnt(0)
	s_barrier
	s_barrier
	s_and_saveexec_b64 s[10:11], s[8:9]
; %bb.773:
	v_lshlrev_b32_e32 v22, 3, v22
	v_lshl_or_b32 v22, v23, 9, v22
	ds_write_b64 v22, v[11:12] offset:8192
; %bb.774:
	s_or_b64 exec, exec, s[10:11]
	s_waitcnt lgkmcnt(0)
	s_barrier
	s_barrier
	s_and_saveexec_b64 s[8:9], vcc
	s_cbranch_execz .LBB28_776
; %bb.775:
	v_mov_b32_e32 v26, 0
	ds_read_b128 v[22:25], v26 offset:7792
	ds_read_b64 v[11:12], v26 offset:7280
	s_waitcnt lgkmcnt(0)
	v_mul_f64 v[11:12], v[11:12], v[24:25]
	v_mul_f64 v[11:12], v[22:23], v[11:12]
	ds_write_b64 v26, v[11:12] offset:7792
.LBB28_776:
	s_or_b64 exec, exec, s[8:9]
	v_mov_b32_e32 v11, 0
	v_mov_b32_e32 v12, 0
	s_waitcnt lgkmcnt(0)
	s_barrier
	buffer_wbinvl1_vol
	s_and_saveexec_b64 s[10:11], s[0:1]
	s_cbranch_execz .LBB28_780
; %bb.777:
	v_lshlrev_b32_e32 v22, 9, v13
	v_lshlrev_b32_e32 v11, 3, v1
	ds_read_b64 v[11:12], v11 offset:7264
	ds_read_b64 v[22:23], v22 offset:7280
	v_cmp_gt_u32_e64 s[8:9], 2, v15
	s_waitcnt lgkmcnt(0)
	v_fma_f64 v[11:12], v[11:12], v[22:23], 0
	s_and_saveexec_b64 s[12:13], s[8:9]
	s_cbranch_execz .LBB28_779
; %bb.778:
	v_lshlrev_b32_e32 v22, 3, v0
	v_mov_b32_e32 v24, 0
	ds_read_b64 v[22:23], v22 offset:7776
	ds_read_b64 v[24:25], v24 offset:7800
	s_waitcnt lgkmcnt(0)
	v_fma_f64 v[11:12], v[22:23], v[24:25], v[11:12]
.LBB28_779:
	s_or_b64 exec, exec, s[12:13]
.LBB28_780:
	s_or_b64 exec, exec, s[10:11]
	s_and_saveexec_b64 s[8:9], s[40:41]
	s_cbranch_execz .LBB28_782
; %bb.781:
	v_mov_b32_e32 v22, 0
	ds_read_b64 v[22:23], v22 offset:6760
	s_waitcnt lgkmcnt(0)
	v_mul_f64 v[11:12], v[11:12], v[22:23]
	v_xor_b32_e32 v23, 0x80000000, v12
	v_mov_b32_e32 v22, v11
	ds_write_b64 v14, v[22:23]
.LBB28_782:
	s_or_b64 exec, exec, s[8:9]
	s_waitcnt lgkmcnt(0)
	s_barrier
	s_and_saveexec_b64 s[8:9], s[38:39]
	s_cbranch_execz .LBB28_784
; %bb.783:
	v_mov_b32_e32 v22, 0
	ds_read_b64 v[22:23], v22 offset:6752
	ds_read_b64 v[24:25], v14
	s_waitcnt lgkmcnt(0)
	v_fma_f64 v[11:12], -v[22:23], v[24:25], v[11:12]
.LBB28_784:
	s_or_b64 exec, exec, s[8:9]
	s_barrier
	s_and_saveexec_b64 s[8:9], s[38:39]
	s_cbranch_execz .LBB28_786
; %bb.785:
	v_mov_b32_e32 v22, 0
	ds_read_b64 v[22:23], v22 offset:6240
	s_waitcnt lgkmcnt(0)
	v_mul_f64 v[11:12], v[11:12], v[22:23]
	v_xor_b32_e32 v23, 0x80000000, v12
	v_mov_b32_e32 v22, v11
	ds_write_b64 v14, v[22:23]
.LBB28_786:
	s_or_b64 exec, exec, s[8:9]
	s_waitcnt lgkmcnt(0)
	s_barrier
	s_barrier
	s_and_saveexec_b64 s[8:9], s[0:1]
; %bb.787:
	v_lshlrev_b32_e32 v22, 3, v1
	v_lshl_or_b32 v22, v13, 9, v22
	ds_write_b64 v22, v[11:12] offset:7264
; %bb.788:
	s_or_b64 exec, exec, s[8:9]
	s_waitcnt lgkmcnt(0)
	s_barrier
	s_barrier
	s_and_saveexec_b64 s[8:9], vcc
	s_cbranch_execz .LBB28_790
; %bb.789:
	v_mov_b32_e32 v26, 0
	ds_read_b128 v[22:25], v26 offset:6752
	ds_read_b64 v[11:12], v26 offset:6240
	s_waitcnt lgkmcnt(0)
	v_mul_f64 v[11:12], v[11:12], v[24:25]
	v_mul_f64 v[11:12], v[22:23], v[11:12]
	ds_write_b64 v26, v[11:12] offset:6752
.LBB28_790:
	s_or_b64 exec, exec, s[8:9]
	v_mov_b32_e32 v11, 0
	v_mov_b32_e32 v12, 0
	s_waitcnt lgkmcnt(0)
	s_barrier
	buffer_wbinvl1_vol
	s_and_saveexec_b64 s[10:11], s[2:3]
	s_cbranch_execz .LBB28_796
; %bb.791:
	v_lshlrev_b32_e32 v23, 3, v16
	v_lshlrev_b32_e32 v22, 9, v17
	ds_read_b64 v[11:12], v23 offset:6208
	ds_read_b64 v[24:25], v22 offset:6240
	v_cmp_gt_u32_e64 s[8:9], 12, v15
	s_waitcnt lgkmcnt(0)
	v_fma_f64 v[11:12], v[11:12], v[24:25], 0
	s_and_saveexec_b64 s[12:13], s[8:9]
	s_cbranch_execnz .LBB28_1075
; %bb.792:
	s_or_b64 exec, exec, s[12:13]
	v_cmp_gt_u32_e64 s[8:9], 8, v15
	s_and_saveexec_b64 s[12:13], s[8:9]
	s_cbranch_execnz .LBB28_1076
.LBB28_793:
	s_or_b64 exec, exec, s[12:13]
	v_cmp_gt_u32_e64 s[8:9], 4, v15
	s_and_saveexec_b64 s[12:13], s[8:9]
	s_cbranch_execz .LBB28_795
.LBB28_794:
	v_lshlrev_b32_e32 v22, 3, v0
	v_mov_b32_e32 v24, 0
	ds_read_b64 v[22:23], v22 offset:7744
	ds_read_b64 v[24:25], v24 offset:7800
	s_waitcnt lgkmcnt(0)
	v_fma_f64 v[11:12], v[22:23], v[24:25], v[11:12]
.LBB28_795:
	s_or_b64 exec, exec, s[12:13]
.LBB28_796:
	s_or_b64 exec, exec, s[10:11]
	s_and_saveexec_b64 s[8:9], s[44:45]
	s_cbranch_execz .LBB28_798
; %bb.797:
	v_mov_b32_e32 v22, 0
	ds_read_b64 v[22:23], v22 offset:5720
	s_waitcnt lgkmcnt(0)
	v_mul_f64 v[11:12], v[11:12], v[22:23]
	v_xor_b32_e32 v23, 0x80000000, v12
	v_mov_b32_e32 v22, v11
	ds_write_b64 v18, v[22:23]
.LBB28_798:
	s_or_b64 exec, exec, s[8:9]
	s_waitcnt lgkmcnt(0)
	s_barrier
	s_and_saveexec_b64 s[8:9], s[46:47]
	s_cbranch_execz .LBB28_800
; %bb.799:
	v_lshlrev_b32_e32 v22, 3, v16
	ds_read_b64 v[22:23], v22 offset:5696
	ds_read_b64 v[24:25], v18
	s_waitcnt lgkmcnt(0)
	v_fma_f64 v[11:12], -v[22:23], v[24:25], v[11:12]
.LBB28_800:
	s_or_b64 exec, exec, s[8:9]
	s_barrier
	s_and_saveexec_b64 s[8:9], s[48:49]
	s_cbranch_execz .LBB28_802
; %bb.801:
	v_mov_b32_e32 v22, 0
	ds_read_b64 v[22:23], v22 offset:5200
	s_waitcnt lgkmcnt(0)
	v_mul_f64 v[11:12], v[11:12], v[22:23]
	v_xor_b32_e32 v23, 0x80000000, v12
	v_mov_b32_e32 v22, v11
	ds_write_b64 v18, v[22:23]
.LBB28_802:
	s_or_b64 exec, exec, s[8:9]
	s_waitcnt lgkmcnt(0)
	s_barrier
	s_and_saveexec_b64 s[8:9], s[50:51]
	s_cbranch_execz .LBB28_804
; %bb.803:
	v_lshlrev_b32_e32 v22, 3, v16
	ds_read_b64 v[22:23], v22 offset:5184
	ds_read_b64 v[24:25], v18
	s_waitcnt lgkmcnt(0)
	v_fma_f64 v[11:12], -v[22:23], v[24:25], v[11:12]
.LBB28_804:
	s_or_b64 exec, exec, s[8:9]
	s_barrier
	s_and_saveexec_b64 s[8:9], s[52:53]
	s_cbranch_execz .LBB28_806
; %bb.805:
	v_mov_b32_e32 v22, 0
	ds_read_b64 v[22:23], v22 offset:4680
	s_waitcnt lgkmcnt(0)
	v_mul_f64 v[11:12], v[11:12], v[22:23]
	v_xor_b32_e32 v23, 0x80000000, v12
	v_mov_b32_e32 v22, v11
	ds_write_b64 v18, v[22:23]
.LBB28_806:
	s_or_b64 exec, exec, s[8:9]
	s_waitcnt lgkmcnt(0)
	s_barrier
	s_and_saveexec_b64 s[8:9], s[42:43]
	s_cbranch_execz .LBB28_808
; %bb.807:
	v_mov_b32_e32 v22, 0
	ds_read_b64 v[22:23], v22 offset:4672
	ds_read_b64 v[24:25], v18
	s_waitcnt lgkmcnt(0)
	v_fma_f64 v[11:12], -v[22:23], v[24:25], v[11:12]
.LBB28_808:
	s_or_b64 exec, exec, s[8:9]
	s_barrier
	s_and_saveexec_b64 s[8:9], s[42:43]
	s_cbranch_execz .LBB28_810
; %bb.809:
	v_mov_b32_e32 v22, 0
	ds_read_b64 v[22:23], v22 offset:4160
	s_waitcnt lgkmcnt(0)
	v_mul_f64 v[11:12], v[11:12], v[22:23]
	v_xor_b32_e32 v23, 0x80000000, v12
	v_mov_b32_e32 v22, v11
	ds_write_b64 v18, v[22:23]
.LBB28_810:
	s_or_b64 exec, exec, s[8:9]
	s_waitcnt lgkmcnt(0)
	s_barrier
	s_barrier
	s_and_saveexec_b64 s[8:9], s[2:3]
; %bb.811:
	v_lshlrev_b32_e32 v22, 3, v16
	v_lshl_or_b32 v22, v17, 9, v22
	ds_write_b64 v22, v[11:12] offset:6208
; %bb.812:
	s_or_b64 exec, exec, s[8:9]
	s_waitcnt lgkmcnt(0)
	s_barrier
	s_barrier
	s_and_saveexec_b64 s[8:9], vcc
	s_cbranch_execz .LBB28_814
; %bb.813:
	v_mov_b32_e32 v26, 0
	ds_read_b128 v[22:25], v26 offset:5712
	ds_read_b64 v[11:12], v26 offset:5200
	s_waitcnt lgkmcnt(0)
	v_mul_f64 v[11:12], v[11:12], v[24:25]
	v_mul_f64 v[11:12], v[22:23], v[11:12]
	ds_write_b64 v26, v[11:12] offset:5712
.LBB28_814:
	s_or_b64 exec, exec, s[8:9]
	v_mov_b32_e32 v11, 0
	v_mov_b32_e32 v12, 0
	s_waitcnt lgkmcnt(0)
	s_barrier
	buffer_wbinvl1_vol
	s_and_saveexec_b64 s[10:11], s[0:1]
	s_cbranch_execz .LBB28_818
; %bb.815:
	v_lshlrev_b32_e32 v22, 9, v13
	v_lshlrev_b32_e32 v11, 3, v1
	ds_read_b64 v[11:12], v11 offset:5184
	ds_read_b64 v[22:23], v22 offset:5200
	v_cmp_gt_u32_e64 s[8:9], 2, v15
	s_waitcnt lgkmcnt(0)
	v_fma_f64 v[11:12], v[11:12], v[22:23], 0
	s_and_saveexec_b64 s[12:13], s[8:9]
	s_cbranch_execz .LBB28_817
; %bb.816:
	v_lshlrev_b32_e32 v22, 3, v0
	v_mov_b32_e32 v24, 0
	ds_read_b64 v[22:23], v22 offset:5696
	ds_read_b64 v[24:25], v24 offset:5720
	s_waitcnt lgkmcnt(0)
	v_fma_f64 v[11:12], v[22:23], v[24:25], v[11:12]
.LBB28_817:
	s_or_b64 exec, exec, s[12:13]
.LBB28_818:
	s_or_b64 exec, exec, s[10:11]
	s_and_saveexec_b64 s[8:9], s[40:41]
	s_cbranch_execz .LBB28_820
; %bb.819:
	v_mov_b32_e32 v22, 0
	ds_read_b64 v[22:23], v22 offset:4680
	s_waitcnt lgkmcnt(0)
	v_mul_f64 v[11:12], v[11:12], v[22:23]
	v_xor_b32_e32 v23, 0x80000000, v12
	v_mov_b32_e32 v22, v11
	ds_write_b64 v14, v[22:23]
.LBB28_820:
	s_or_b64 exec, exec, s[8:9]
	s_waitcnt lgkmcnt(0)
	s_barrier
	s_and_saveexec_b64 s[8:9], s[38:39]
	s_cbranch_execz .LBB28_822
; %bb.821:
	v_mov_b32_e32 v22, 0
	ds_read_b64 v[22:23], v22 offset:4672
	ds_read_b64 v[24:25], v14
	s_waitcnt lgkmcnt(0)
	v_fma_f64 v[11:12], -v[22:23], v[24:25], v[11:12]
.LBB28_822:
	s_or_b64 exec, exec, s[8:9]
	s_barrier
	s_and_saveexec_b64 s[8:9], s[38:39]
	s_cbranch_execz .LBB28_824
; %bb.823:
	v_mov_b32_e32 v22, 0
	ds_read_b64 v[22:23], v22 offset:4160
	s_waitcnt lgkmcnt(0)
	v_mul_f64 v[11:12], v[11:12], v[22:23]
	v_xor_b32_e32 v23, 0x80000000, v12
	v_mov_b32_e32 v22, v11
	ds_write_b64 v14, v[22:23]
.LBB28_824:
	s_or_b64 exec, exec, s[8:9]
	s_waitcnt lgkmcnt(0)
	s_barrier
	s_barrier
	s_and_saveexec_b64 s[8:9], s[0:1]
; %bb.825:
	v_lshlrev_b32_e32 v22, 3, v1
	v_lshl_or_b32 v22, v13, 9, v22
	ds_write_b64 v22, v[11:12] offset:5184
; %bb.826:
	s_or_b64 exec, exec, s[8:9]
	s_waitcnt lgkmcnt(0)
	s_barrier
	s_barrier
	s_and_saveexec_b64 s[8:9], vcc
	s_cbranch_execz .LBB28_828
; %bb.827:
	v_mov_b32_e32 v26, 0
	ds_read_b128 v[22:25], v26 offset:4672
	ds_read_b64 v[11:12], v26 offset:4160
	s_waitcnt lgkmcnt(0)
	v_mul_f64 v[11:12], v[11:12], v[24:25]
	v_mul_f64 v[11:12], v[22:23], v[11:12]
	ds_write_b64 v26, v[11:12] offset:4672
.LBB28_828:
	s_or_b64 exec, exec, s[8:9]
	v_mov_b32_e32 v11, 0
	v_mov_b32_e32 v12, 0
	s_waitcnt lgkmcnt(0)
	s_barrier
	buffer_wbinvl1_vol
	s_and_saveexec_b64 s[10:11], s[14:15]
	s_cbranch_execz .LBB28_838
; %bb.829:
	v_lshlrev_b32_e32 v23, 3, v19
	v_lshlrev_b32_e32 v22, 9, v20
	ds_read_b64 v[11:12], v23 offset:4096
	ds_read_b64 v[24:25], v22 offset:4160
	v_cmp_gt_u32_e64 s[8:9], 56, v15
	s_waitcnt lgkmcnt(0)
	v_fma_f64 v[11:12], v[11:12], v[24:25], 0
	s_and_saveexec_b64 s[12:13], s[8:9]
	s_cbranch_execnz .LBB28_1077
; %bb.830:
	s_or_b64 exec, exec, s[12:13]
	v_cmp_gt_u32_e64 s[8:9], 48, v15
	s_and_saveexec_b64 s[12:13], s[8:9]
	s_cbranch_execnz .LBB28_1078
.LBB28_831:
	s_or_b64 exec, exec, s[12:13]
	v_cmp_gt_u32_e64 s[8:9], 40, v15
	s_and_saveexec_b64 s[12:13], s[8:9]
	s_cbranch_execnz .LBB28_1079
.LBB28_832:
	s_or_b64 exec, exec, s[12:13]
	v_cmp_gt_u32_e64 s[8:9], 32, v15
	s_and_saveexec_b64 s[12:13], s[8:9]
	s_cbranch_execnz .LBB28_1080
.LBB28_833:
	s_or_b64 exec, exec, s[12:13]
	v_cmp_gt_u32_e64 s[8:9], 24, v15
	s_and_saveexec_b64 s[12:13], s[8:9]
	s_cbranch_execnz .LBB28_1081
.LBB28_834:
	s_or_b64 exec, exec, s[12:13]
	s_and_saveexec_b64 s[8:9], s[2:3]
	s_cbranch_execnz .LBB28_1082
.LBB28_835:
	s_or_b64 exec, exec, s[8:9]
	v_cmp_gt_u32_e64 s[8:9], 8, v15
	s_and_saveexec_b64 s[12:13], s[8:9]
	s_cbranch_execz .LBB28_837
.LBB28_836:
	v_lshlrev_b32_e32 v22, 3, v0
	v_mov_b32_e32 v24, 0
	ds_read_b64 v[22:23], v22 offset:7680
	ds_read_b64 v[24:25], v24 offset:7800
	s_waitcnt lgkmcnt(0)
	v_fma_f64 v[11:12], v[22:23], v[24:25], v[11:12]
.LBB28_837:
	s_or_b64 exec, exec, s[12:13]
.LBB28_838:
	s_or_b64 exec, exec, s[10:11]
	s_and_saveexec_b64 s[8:9], s[54:55]
	s_cbranch_execz .LBB28_840
; %bb.839:
	v_mov_b32_e32 v22, 0
	ds_read_b64 v[22:23], v22 offset:3640
	s_waitcnt lgkmcnt(0)
	v_mul_f64 v[11:12], v[11:12], v[22:23]
	v_xor_b32_e32 v23, 0x80000000, v12
	v_mov_b32_e32 v22, v11
	ds_write_b64 v21, v[22:23]
.LBB28_840:
	s_or_b64 exec, exec, s[8:9]
	s_waitcnt lgkmcnt(0)
	s_barrier
	s_and_saveexec_b64 s[8:9], s[56:57]
	v_readlane_b32 s54, v36, 2
	s_cbranch_execz .LBB28_842
; %bb.841:
	v_lshlrev_b32_e32 v22, 3, v19
	ds_read_b64 v[22:23], v22 offset:3584
	ds_read_b64 v[24:25], v21
	s_waitcnt lgkmcnt(0)
	v_fma_f64 v[11:12], -v[22:23], v[24:25], v[11:12]
.LBB28_842:
	s_or_b64 exec, exec, s[8:9]
	s_barrier
	s_and_saveexec_b64 s[8:9], s[58:59]
	s_cbranch_execz .LBB28_844
; %bb.843:
	v_mov_b32_e32 v22, 0
	ds_read_b64 v[22:23], v22 offset:3120
	s_waitcnt lgkmcnt(0)
	v_mul_f64 v[11:12], v[11:12], v[22:23]
	v_xor_b32_e32 v23, 0x80000000, v12
	v_mov_b32_e32 v22, v11
	ds_write_b64 v21, v[22:23]
.LBB28_844:
	s_or_b64 exec, exec, s[8:9]
	s_waitcnt lgkmcnt(0)
	s_barrier
	s_and_saveexec_b64 s[8:9], s[60:61]
	s_cbranch_execz .LBB28_846
; %bb.845:
	v_lshlrev_b32_e32 v22, 3, v19
	ds_read_b64 v[22:23], v22 offset:3072
	ds_read_b64 v[24:25], v21
	s_waitcnt lgkmcnt(0)
	v_fma_f64 v[11:12], -v[22:23], v[24:25], v[11:12]
.LBB28_846:
	s_or_b64 exec, exec, s[8:9]
	s_barrier
	s_and_saveexec_b64 s[8:9], s[62:63]
	s_cbranch_execz .LBB28_848
; %bb.847:
	v_mov_b32_e32 v22, 0
	ds_read_b64 v[22:23], v22 offset:2600
	s_waitcnt lgkmcnt(0)
	v_mul_f64 v[11:12], v[11:12], v[22:23]
	v_xor_b32_e32 v23, 0x80000000, v12
	v_mov_b32_e32 v22, v11
	ds_write_b64 v21, v[22:23]
.LBB28_848:
	s_or_b64 exec, exec, s[8:9]
	s_waitcnt lgkmcnt(0)
	s_barrier
	s_and_saveexec_b64 s[8:9], s[66:67]
	;; [unrolled: 25-line block ×6, first 2 shown]
	s_cbranch_execz .LBB28_866
; %bb.865:
	v_mov_b32_e32 v22, 0
	ds_read_b64 v[22:23], v22 offset:512
	ds_read_b64 v[24:25], v21
	s_waitcnt lgkmcnt(0)
	v_fma_f64 v[11:12], -v[22:23], v[24:25], v[11:12]
.LBB28_866:
	s_or_b64 exec, exec, s[8:9]
	s_barrier
	s_and_saveexec_b64 s[8:9], s[64:65]
	s_cbranch_execz .LBB28_868
; %bb.867:
	v_mov_b32_e32 v22, 0
	ds_read_b64 v[22:23], v22
	s_waitcnt lgkmcnt(0)
	v_mul_f64 v[11:12], v[11:12], v[22:23]
	v_xor_b32_e32 v23, 0x80000000, v12
	v_mov_b32_e32 v22, v11
	ds_write_b64 v21, v[22:23]
.LBB28_868:
	s_or_b64 exec, exec, s[8:9]
	s_waitcnt lgkmcnt(0)
	s_barrier
	s_barrier
	s_and_saveexec_b64 s[8:9], s[14:15]
; %bb.869:
	v_lshlrev_b32_e32 v19, 3, v19
	v_lshl_or_b32 v19, v20, 9, v19
	ds_write_b64 v19, v[11:12] offset:4096
; %bb.870:
	s_or_b64 exec, exec, s[8:9]
	s_waitcnt lgkmcnt(0)
	s_barrier
	s_barrier
	s_and_saveexec_b64 s[8:9], vcc
	s_cbranch_execz .LBB28_872
; %bb.871:
	v_mov_b32_e32 v23, 0
	ds_read_b128 v[19:22], v23 offset:3632
	ds_read_b64 v[11:12], v23 offset:3120
	s_waitcnt lgkmcnt(0)
	v_mul_f64 v[11:12], v[11:12], v[21:22]
	v_mul_f64 v[11:12], v[19:20], v[11:12]
	ds_write_b64 v23, v[11:12] offset:3632
.LBB28_872:
	s_or_b64 exec, exec, s[8:9]
	v_mov_b32_e32 v11, 0
	v_mov_b32_e32 v12, 0
	s_waitcnt lgkmcnt(0)
	s_barrier
	buffer_wbinvl1_vol
	s_and_saveexec_b64 s[10:11], s[0:1]
	s_cbranch_execz .LBB28_876
; %bb.873:
	v_lshlrev_b32_e32 v19, 9, v13
	v_lshlrev_b32_e32 v11, 3, v1
	ds_read_b64 v[11:12], v11 offset:3104
	ds_read_b64 v[19:20], v19 offset:3120
	v_cmp_gt_u32_e64 s[8:9], 2, v15
	s_waitcnt lgkmcnt(0)
	v_fma_f64 v[11:12], v[11:12], v[19:20], 0
	s_and_saveexec_b64 s[12:13], s[8:9]
	s_cbranch_execz .LBB28_875
; %bb.874:
	v_lshlrev_b32_e32 v19, 3, v0
	v_mov_b32_e32 v21, 0
	ds_read_b64 v[19:20], v19 offset:3616
	ds_read_b64 v[21:22], v21 offset:3640
	s_waitcnt lgkmcnt(0)
	v_fma_f64 v[11:12], v[19:20], v[21:22], v[11:12]
.LBB28_875:
	s_or_b64 exec, exec, s[12:13]
.LBB28_876:
	s_or_b64 exec, exec, s[10:11]
	s_and_saveexec_b64 s[8:9], s[40:41]
	s_cbranch_execz .LBB28_878
; %bb.877:
	v_mov_b32_e32 v19, 0
	ds_read_b64 v[19:20], v19 offset:2600
	s_waitcnt lgkmcnt(0)
	v_mul_f64 v[11:12], v[11:12], v[19:20]
	v_xor_b32_e32 v20, 0x80000000, v12
	v_mov_b32_e32 v19, v11
	ds_write_b64 v14, v[19:20]
.LBB28_878:
	s_or_b64 exec, exec, s[8:9]
	s_waitcnt lgkmcnt(0)
	s_barrier
	s_and_saveexec_b64 s[8:9], s[38:39]
	s_cbranch_execz .LBB28_880
; %bb.879:
	v_mov_b32_e32 v19, 0
	ds_read_b64 v[19:20], v19 offset:2592
	ds_read_b64 v[21:22], v14
	s_waitcnt lgkmcnt(0)
	v_fma_f64 v[11:12], -v[19:20], v[21:22], v[11:12]
.LBB28_880:
	s_or_b64 exec, exec, s[8:9]
	s_barrier
	s_and_saveexec_b64 s[8:9], s[38:39]
	s_cbranch_execz .LBB28_882
; %bb.881:
	v_mov_b32_e32 v19, 0
	ds_read_b64 v[19:20], v19 offset:2080
	s_waitcnt lgkmcnt(0)
	v_mul_f64 v[11:12], v[11:12], v[19:20]
	v_xor_b32_e32 v20, 0x80000000, v12
	v_mov_b32_e32 v19, v11
	ds_write_b64 v14, v[19:20]
.LBB28_882:
	s_or_b64 exec, exec, s[8:9]
	s_waitcnt lgkmcnt(0)
	s_barrier
	s_barrier
	s_and_saveexec_b64 s[8:9], s[0:1]
; %bb.883:
	v_lshlrev_b32_e32 v19, 3, v1
	v_lshl_or_b32 v19, v13, 9, v19
	ds_write_b64 v19, v[11:12] offset:3104
; %bb.884:
	s_or_b64 exec, exec, s[8:9]
	s_waitcnt lgkmcnt(0)
	s_barrier
	s_barrier
	s_and_saveexec_b64 s[8:9], vcc
	s_cbranch_execz .LBB28_886
; %bb.885:
	v_mov_b32_e32 v23, 0
	ds_read_b128 v[19:22], v23 offset:2592
	ds_read_b64 v[11:12], v23 offset:2080
	s_waitcnt lgkmcnt(0)
	v_mul_f64 v[11:12], v[11:12], v[21:22]
	v_mul_f64 v[11:12], v[19:20], v[11:12]
	ds_write_b64 v23, v[11:12] offset:2592
.LBB28_886:
	s_or_b64 exec, exec, s[8:9]
	v_mov_b32_e32 v11, 0
	v_mov_b32_e32 v12, 0
	s_waitcnt lgkmcnt(0)
	s_barrier
	buffer_wbinvl1_vol
	s_and_saveexec_b64 s[10:11], s[2:3]
	s_cbranch_execz .LBB28_892
; %bb.887:
	v_lshlrev_b32_e32 v20, 3, v16
	v_lshlrev_b32_e32 v19, 9, v17
	ds_read_b64 v[11:12], v20 offset:2048
	ds_read_b64 v[21:22], v19 offset:2080
	v_cmp_gt_u32_e64 s[8:9], 12, v15
	s_waitcnt lgkmcnt(0)
	v_fma_f64 v[11:12], v[11:12], v[21:22], 0
	s_and_saveexec_b64 s[12:13], s[8:9]
	s_cbranch_execnz .LBB28_1083
; %bb.888:
	s_or_b64 exec, exec, s[12:13]
	v_cmp_gt_u32_e64 s[8:9], 8, v15
	s_and_saveexec_b64 s[12:13], s[8:9]
	s_cbranch_execnz .LBB28_1084
.LBB28_889:
	s_or_b64 exec, exec, s[12:13]
	v_cmp_gt_u32_e64 s[8:9], 4, v15
	s_and_saveexec_b64 s[12:13], s[8:9]
	s_cbranch_execz .LBB28_891
.LBB28_890:
	v_lshlrev_b32_e32 v19, 3, v0
	v_mov_b32_e32 v21, 0
	ds_read_b64 v[19:20], v19 offset:3584
	ds_read_b64 v[21:22], v21 offset:3640
	s_waitcnt lgkmcnt(0)
	v_fma_f64 v[11:12], v[19:20], v[21:22], v[11:12]
.LBB28_891:
	s_or_b64 exec, exec, s[12:13]
.LBB28_892:
	s_or_b64 exec, exec, s[10:11]
	s_and_saveexec_b64 s[8:9], s[44:45]
	s_cbranch_execz .LBB28_894
; %bb.893:
	v_mov_b32_e32 v19, 0
	ds_read_b64 v[19:20], v19 offset:1560
	s_waitcnt lgkmcnt(0)
	v_mul_f64 v[11:12], v[11:12], v[19:20]
	v_xor_b32_e32 v20, 0x80000000, v12
	v_mov_b32_e32 v19, v11
	ds_write_b64 v18, v[19:20]
.LBB28_894:
	s_or_b64 exec, exec, s[8:9]
	s_waitcnt lgkmcnt(0)
	s_barrier
	s_and_saveexec_b64 s[8:9], s[46:47]
	s_load_dword s22, s[4:5], 0x6c
	v_readlane_b32 s44, v36, 0
	v_readlane_b32 s45, v36, 1
	s_cbranch_execz .LBB28_896
; %bb.895:
	v_lshlrev_b32_e32 v19, 3, v16
	ds_read_b64 v[19:20], v19 offset:1536
	ds_read_b64 v[21:22], v18
	s_waitcnt lgkmcnt(0)
	v_fma_f64 v[11:12], -v[19:20], v[21:22], v[11:12]
.LBB28_896:
	s_or_b64 exec, exec, s[8:9]
	s_waitcnt lgkmcnt(0)
	s_barrier
	s_and_saveexec_b64 s[8:9], s[48:49]
	s_cbranch_execz .LBB28_898
; %bb.897:
	v_mov_b32_e32 v19, 0
	ds_read_b64 v[19:20], v19 offset:1040
	s_waitcnt lgkmcnt(0)
	v_mul_f64 v[11:12], v[11:12], v[19:20]
	v_xor_b32_e32 v20, 0x80000000, v12
	v_mov_b32_e32 v19, v11
	ds_write_b64 v18, v[19:20]
.LBB28_898:
	s_or_b64 exec, exec, s[8:9]
	s_waitcnt lgkmcnt(0)
	s_barrier
	s_and_saveexec_b64 s[8:9], s[50:51]
	s_cbranch_execz .LBB28_900
; %bb.899:
	v_lshlrev_b32_e32 v19, 3, v16
	ds_read_b64 v[19:20], v19 offset:1024
	ds_read_b64 v[21:22], v18
	s_waitcnt lgkmcnt(0)
	v_fma_f64 v[11:12], -v[19:20], v[21:22], v[11:12]
.LBB28_900:
	s_or_b64 exec, exec, s[8:9]
	s_barrier
	s_and_saveexec_b64 s[8:9], s[52:53]
	s_cbranch_execz .LBB28_902
; %bb.901:
	v_mov_b32_e32 v19, 0
	ds_read_b64 v[19:20], v19 offset:520
	s_waitcnt lgkmcnt(0)
	v_mul_f64 v[11:12], v[11:12], v[19:20]
	v_xor_b32_e32 v20, 0x80000000, v12
	v_mov_b32_e32 v19, v11
	ds_write_b64 v18, v[19:20]
.LBB28_902:
	s_or_b64 exec, exec, s[8:9]
	s_waitcnt lgkmcnt(0)
	s_barrier
	s_and_saveexec_b64 s[8:9], s[42:43]
	s_cbranch_execz .LBB28_904
; %bb.903:
	v_mov_b32_e32 v19, 0
	ds_read_b64 v[19:20], v19 offset:512
	ds_read_b64 v[21:22], v18
	s_waitcnt lgkmcnt(0)
	v_fma_f64 v[11:12], -v[19:20], v[21:22], v[11:12]
.LBB28_904:
	s_or_b64 exec, exec, s[8:9]
	s_barrier
	s_and_saveexec_b64 s[8:9], s[42:43]
	s_cbranch_execz .LBB28_906
; %bb.905:
	v_mov_b32_e32 v19, 0
	ds_read_b64 v[19:20], v19
	s_waitcnt lgkmcnt(0)
	v_mul_f64 v[11:12], v[11:12], v[19:20]
	v_xor_b32_e32 v20, 0x80000000, v12
	v_mov_b32_e32 v19, v11
	ds_write_b64 v18, v[19:20]
.LBB28_906:
	s_or_b64 exec, exec, s[8:9]
	s_waitcnt lgkmcnt(0)
	s_barrier
	s_barrier
	s_and_saveexec_b64 s[8:9], s[2:3]
; %bb.907:
	v_lshlrev_b32_e32 v16, 3, v16
	v_lshl_or_b32 v16, v17, 9, v16
	ds_write_b64 v16, v[11:12] offset:2048
; %bb.908:
	s_or_b64 exec, exec, s[8:9]
	s_waitcnt lgkmcnt(0)
	s_barrier
	s_barrier
	s_and_saveexec_b64 s[2:3], vcc
	s_cbranch_execz .LBB28_910
; %bb.909:
	v_mov_b32_e32 v20, 0
	ds_read_b128 v[16:19], v20 offset:1552
	ds_read_b64 v[11:12], v20 offset:1040
	s_waitcnt lgkmcnt(0)
	v_mul_f64 v[11:12], v[11:12], v[18:19]
	v_mul_f64 v[11:12], v[16:17], v[11:12]
	ds_write_b64 v20, v[11:12] offset:1552
.LBB28_910:
	s_or_b64 exec, exec, s[2:3]
	v_mov_b32_e32 v11, 0
	v_mov_b32_e32 v12, 0
	s_waitcnt lgkmcnt(0)
	s_barrier
	buffer_wbinvl1_vol
	s_and_saveexec_b64 s[8:9], s[0:1]
	s_cbranch_execz .LBB28_914
; %bb.911:
	v_lshlrev_b32_e32 v16, 9, v13
	v_lshlrev_b32_e32 v11, 3, v1
	ds_read_b64 v[11:12], v11 offset:1024
	ds_read_b64 v[16:17], v16 offset:1040
	v_cmp_gt_u32_e64 s[2:3], 2, v15
	s_waitcnt lgkmcnt(0)
	v_fma_f64 v[11:12], v[11:12], v[16:17], 0
	s_and_saveexec_b64 s[10:11], s[2:3]
	s_cbranch_execz .LBB28_913
; %bb.912:
	v_lshlrev_b32_e32 v15, 3, v0
	v_mov_b32_e32 v17, 0
	ds_read_b64 v[15:16], v15 offset:1536
	ds_read_b64 v[17:18], v17 offset:1560
	s_waitcnt lgkmcnt(0)
	v_fma_f64 v[11:12], v[15:16], v[17:18], v[11:12]
.LBB28_913:
	s_or_b64 exec, exec, s[10:11]
.LBB28_914:
	s_or_b64 exec, exec, s[8:9]
	s_and_saveexec_b64 s[2:3], s[40:41]
	s_cbranch_execz .LBB28_916
; %bb.915:
	v_mov_b32_e32 v15, 0
	ds_read_b64 v[15:16], v15 offset:520
	s_waitcnt lgkmcnt(0)
	v_mul_f64 v[11:12], v[11:12], v[15:16]
	v_xor_b32_e32 v16, 0x80000000, v12
	v_mov_b32_e32 v15, v11
	ds_write_b64 v14, v[15:16]
.LBB28_916:
	s_or_b64 exec, exec, s[2:3]
	s_waitcnt lgkmcnt(0)
	s_barrier
	s_and_saveexec_b64 s[2:3], s[38:39]
	s_cbranch_execz .LBB28_918
; %bb.917:
	v_mov_b32_e32 v15, 0
	ds_read_b64 v[15:16], v15 offset:512
	ds_read_b64 v[17:18], v14
	s_waitcnt lgkmcnt(0)
	v_fma_f64 v[11:12], -v[15:16], v[17:18], v[11:12]
.LBB28_918:
	s_or_b64 exec, exec, s[2:3]
	s_barrier
	s_and_saveexec_b64 s[2:3], s[38:39]
	s_cbranch_execz .LBB28_920
; %bb.919:
	v_mov_b32_e32 v15, 0
	ds_read_b64 v[15:16], v15
	s_waitcnt lgkmcnt(0)
	v_mul_f64 v[11:12], v[11:12], v[15:16]
	v_xor_b32_e32 v16, 0x80000000, v12
	v_mov_b32_e32 v15, v11
	ds_write_b64 v14, v[15:16]
.LBB28_920:
	s_or_b64 exec, exec, s[2:3]
	s_waitcnt lgkmcnt(0)
	s_barrier
	s_barrier
	s_and_saveexec_b64 s[2:3], s[0:1]
; %bb.921:
	v_lshlrev_b32_e32 v1, 3, v1
	v_lshl_or_b32 v1, v13, 9, v1
	ds_write_b64 v1, v[11:12] offset:1024
; %bb.922:
	s_or_b64 exec, exec, s[2:3]
	s_waitcnt lgkmcnt(0)
	s_barrier
	s_barrier
	s_and_saveexec_b64 s[0:1], vcc
	s_cbranch_execz .LBB28_924
; %bb.923:
	v_mov_b32_e32 v1, 0
	ds_read_b128 v[11:14], v1 offset:512
	ds_read_b64 v[15:16], v1
	s_waitcnt lgkmcnt(0)
	v_mul_f64 v[13:14], v[15:16], v[13:14]
	v_mul_f64 v[11:12], v[11:12], v[13:14]
	ds_write_b64 v1, v[11:12] offset:512
.LBB28_924:
	s_or_b64 exec, exec, s[0:1]
.LBB28_925:
	s_load_dwordx4 s[12:15], s[4:5], 0x48
	v_cmp_le_i32_e32 vcc, s84, v0
	v_mov_b32_e32 v11, 0
	v_mov_b32_e32 v12, 0
	v_add_u32_e32 v13, s33, v0
	s_waitcnt lgkmcnt(0)
	s_mul_i32 s1, s13, s34
	s_mul_hi_u32 s2, s12, s34
	s_mul_i32 s0, s12, s34
	s_add_i32 s1, s2, s1
	s_lshl_b64 s[0:1], s[0:1], 3
	s_add_u32 s2, s26, s0
	s_addc_u32 s3, s27, s1
	s_lshl_b64 s[0:1], s[28:29], 3
	s_add_u32 s38, s2, s0
	s_addc_u32 s39, s3, s1
	s_and_b64 s[12:13], vcc, s[18:19]
	v_cmp_eq_u32_e64 s[0:1], 0, v2
	s_xor_b64 s[2:3], s[12:13], -1
	s_and_b64 s[4:5], s[0:1], s[2:3]
	s_barrier
	s_and_saveexec_b64 s[2:3], s[4:5]
	s_cbranch_execz .LBB28_927
; %bb.926:
	v_ashrrev_i32_e32 v1, 31, v13
	v_mul_lo_u32 v14, s31, v13
	v_mad_u64_u32 v[11:12], s[4:5], s30, v13, 0
	v_mul_lo_u32 v1, s30, v1
	v_add3_u32 v12, v12, v1, v14
	v_lshlrev_b64 v[11:12], 3, v[11:12]
	v_mov_b32_e32 v1, s39
	v_add_co_u32_e32 v11, vcc, s38, v11
	v_addc_co_u32_e32 v12, vcc, v1, v12, vcc
	global_load_dwordx2 v[11:12], v[11:12], off
	s_waitcnt vmcnt(0)
	v_mul_f64 v[11:12], v[11:12], -s[44:45]
.LBB28_927:
	s_or_b64 exec, exec, s[2:3]
	s_and_b32 s2, 0xffff, s22
	v_mad_u32_u24 v17, v2, s2, v0
	v_mov_b32_e32 v1, 0
	s_cmp_lt_i32 s6, 1
	v_cmp_eq_u32_e64 s[2:3], 0, v17
	s_cbranch_scc1 .LBB28_953
; %bb.928:
	v_ashrrev_i32_e32 v14, 31, v13
	v_cmp_gt_i32_e64 s[10:11], s36, v13
	v_lshlrev_b64 v[13:14], 3, v[13:14]
	s_lshl_b64 s[4:5], s[34:35], 2
	v_mov_b32_e32 v15, 0xa000
	s_add_u32 s16, s14, s4
	v_lshl_add_u32 v18, v17, 3, v15
	v_lshl_or_b32 v19, v2, 3, v15
	v_mov_b32_e32 v15, s86
	v_add_co_u32_e32 v20, vcc, s85, v13
	s_mul_i32 s8, s21, 0x180
	s_mul_hi_u32 s9, s20, 0x180
	s_mov_b32 s40, 0
	s_addc_u32 s17, s15, s5
	v_cmp_gt_u32_e64 s[4:5], 64, v17
	s_add_i32 s87, s87, 1
	v_addc_co_u32_e32 v21, vcc, v15, v14, vcc
	s_lshl_b64 s[22:23], s[20:21], 7
	s_lshl_b64 s[26:27], s[20:21], 8
	s_add_i32 s41, s9, s8
	s_mul_i32 s42, s20, 0x180
	v_mov_b32_e32 v22, -1
	s_branch .LBB28_931
.LBB28_929:                             ;   in Loop: Header=BB28_931 Depth=1
	ds_read_b64 v[13:14], v19 offset:384
	s_waitcnt vmcnt(0) lgkmcnt(0)
	v_fma_f64 v[11:12], v[15:16], v[13:14], v[11:12]
.LBB28_930:                             ;   in Loop: Header=BB28_931 Depth=1
	s_or_b64 exec, exec, s[28:29]
	s_add_i32 s40, s40, 1
	s_cmp_eq_u32 s40, s6
	s_cbranch_scc1 .LBB28_953
.LBB28_931:                             ; =>This Loop Header: Depth=1
                                        ;     Child Loop BB28_933 Depth 2
	v_cmp_gt_i32_e32 vcc, s40, v22
	s_and_b64 s[28:29], s[2:3], vcc
	s_and_saveexec_b64 s[8:9], s[28:29]
	s_cbranch_execz .LBB28_934
; %bb.932:                              ;   in Loop: Header=BB28_931 Depth=1
	global_load_dword v22, v1, s[16:17]
	s_waitcnt vmcnt(0)
	v_cmp_le_i32_e32 vcc, s40, v22
	s_cbranch_vccnz .LBB28_934
.LBB28_933:                             ;   Parent Loop BB28_931 Depth=1
                                        ; =>  This Inner Loop Header: Depth=2
	buffer_wbinvl1_vol
	global_load_dword v22, v1, s[16:17]
	s_waitcnt vmcnt(0)
	v_cmp_gt_i32_e32 vcc, s40, v22
	s_cbranch_vccnz .LBB28_933
.LBB28_934:                             ;   in Loop: Header=BB28_931 Depth=1
	s_or_b64 exec, exec, s[8:9]
	s_sub_i32 s43, s7, s40
	s_lshl_b32 s44, s43, 6
	buffer_wbinvl1_vol
	s_barrier
	s_and_saveexec_b64 s[8:9], s[4:5]
	s_cbranch_execz .LBB28_938
; %bb.935:                              ;   in Loop: Header=BB28_931 Depth=1
	s_ashr_i32 s28, s44, 31
	v_mov_b32_e32 v14, s28
	v_or_b32_e32 v13, s44, v17
	v_cmp_gt_i64_e32 vcc, s[36:37], v[13:14]
	v_mov_b32_e32 v15, 0
	v_mov_b32_e32 v16, 0
	s_and_saveexec_b64 s[28:29], vcc
	s_cbranch_execz .LBB28_937
; %bb.936:                              ;   in Loop: Header=BB28_931 Depth=1
	v_mul_lo_u32 v15, v14, s30
	v_mul_lo_u32 v16, v13, s31
	v_mad_u64_u32 v[13:14], s[46:47], v13, s30, 0
	v_add3_u32 v14, v14, v16, v15
	v_lshlrev_b64 v[13:14], 3, v[13:14]
	v_mov_b32_e32 v15, s39
	v_add_co_u32_e32 v13, vcc, s38, v13
	v_addc_co_u32_e32 v14, vcc, v15, v14, vcc
	global_load_dwordx2 v[15:16], v[13:14], off
.LBB28_937:                             ;   in Loop: Header=BB28_931 Depth=1
	s_or_b64 exec, exec, s[28:29]
	s_waitcnt vmcnt(0)
	ds_write_b64 v18, v[15:16]
.LBB28_938:                             ;   in Loop: Header=BB28_931 Depth=1
	s_or_b64 exec, exec, s[8:9]
	v_add_u32_e32 v23, s44, v2
	v_ashrrev_i32_e32 v15, 31, v23
	v_mul_lo_u32 v16, s21, v23
	v_mad_u64_u32 v[13:14], s[8:9], s20, v23, 0
	v_mul_lo_u32 v15, s20, v15
	s_cmp_lg_u32 s43, s87
	s_cselect_b64 s[8:9], -1, 0
	s_waitcnt lgkmcnt(0)
	v_add3_u32 v14, v14, v15, v16
	v_lshlrev_b64 v[13:14], 3, v[13:14]
	v_cndmask_b32_e64 v15, 0, 1, s[8:9]
	v_add_co_u32_e32 v13, vcc, v20, v13
	v_addc_co_u32_e32 v14, vcc, v21, v14, vcc
	v_cmp_gt_i32_e32 vcc, s36, v23
	s_and_b64 s[44:45], s[10:11], vcc
	v_cmp_ne_u32_e64 s[8:9], 1, v15
	s_barrier
	s_and_saveexec_b64 s[28:29], s[44:45]
	s_cbranch_execz .LBB28_942
; %bb.939:                              ;   in Loop: Header=BB28_931 Depth=1
	v_mov_b32_e32 v16, v4
	s_and_b64 vcc, exec, s[8:9]
	v_mov_b32_e32 v15, v3
	s_cbranch_vccnz .LBB28_941
; %bb.940:                              ;   in Loop: Header=BB28_931 Depth=1
	global_load_dwordx2 v[15:16], v[13:14], off
.LBB28_941:                             ;   in Loop: Header=BB28_931 Depth=1
	ds_read_b64 v[24:25], v19
	s_waitcnt vmcnt(0) lgkmcnt(0)
	v_fma_f64 v[11:12], v[15:16], v[24:25], v[11:12]
.LBB28_942:                             ;   in Loop: Header=BB28_931 Depth=1
	s_or_b64 exec, exec, s[28:29]
	v_add_u32_e32 v15, 16, v23
	v_cmp_gt_i32_e32 vcc, s36, v15
	s_and_b64 s[44:45], s[10:11], vcc
	s_and_saveexec_b64 s[28:29], s[44:45]
	s_cbranch_execz .LBB28_946
; %bb.943:                              ;   in Loop: Header=BB28_931 Depth=1
	v_mov_b32_e32 v16, v6
	s_and_b64 vcc, exec, s[8:9]
	v_mov_b32_e32 v15, v5
	s_cbranch_vccnz .LBB28_945
; %bb.944:                              ;   in Loop: Header=BB28_931 Depth=1
	v_mov_b32_e32 v16, s23
	v_add_co_u32_e32 v15, vcc, s22, v13
	v_addc_co_u32_e32 v16, vcc, v14, v16, vcc
	global_load_dwordx2 v[15:16], v[15:16], off
.LBB28_945:                             ;   in Loop: Header=BB28_931 Depth=1
	ds_read_b64 v[24:25], v19 offset:128
	s_waitcnt vmcnt(0) lgkmcnt(0)
	v_fma_f64 v[11:12], v[15:16], v[24:25], v[11:12]
.LBB28_946:                             ;   in Loop: Header=BB28_931 Depth=1
	s_or_b64 exec, exec, s[28:29]
	v_add_u32_e32 v15, 32, v23
	v_cmp_gt_i32_e32 vcc, s36, v15
	s_and_b64 s[44:45], s[10:11], vcc
	s_and_saveexec_b64 s[28:29], s[44:45]
	s_cbranch_execz .LBB28_950
; %bb.947:                              ;   in Loop: Header=BB28_931 Depth=1
	v_mov_b32_e32 v16, v10
	s_and_b64 vcc, exec, s[8:9]
	v_mov_b32_e32 v15, v9
	s_cbranch_vccnz .LBB28_949
; %bb.948:                              ;   in Loop: Header=BB28_931 Depth=1
	v_mov_b32_e32 v16, s27
	v_add_co_u32_e32 v15, vcc, s26, v13
	v_addc_co_u32_e32 v16, vcc, v14, v16, vcc
	global_load_dwordx2 v[15:16], v[15:16], off
.LBB28_949:                             ;   in Loop: Header=BB28_931 Depth=1
	ds_read_b64 v[24:25], v19 offset:256
	s_waitcnt vmcnt(0) lgkmcnt(0)
	v_fma_f64 v[11:12], v[15:16], v[24:25], v[11:12]
.LBB28_950:                             ;   in Loop: Header=BB28_931 Depth=1
	s_or_b64 exec, exec, s[28:29]
	v_add_u32_e32 v15, 48, v23
	v_cmp_gt_i32_e32 vcc, s36, v15
	s_and_b64 s[44:45], s[10:11], vcc
	s_and_saveexec_b64 s[28:29], s[44:45]
	s_cbranch_execz .LBB28_930
; %bb.951:                              ;   in Loop: Header=BB28_931 Depth=1
	v_mov_b32_e32 v16, v8
	s_and_b64 vcc, exec, s[8:9]
	v_mov_b32_e32 v15, v7
	s_cbranch_vccnz .LBB28_929
; %bb.952:                              ;   in Loop: Header=BB28_931 Depth=1
	v_mov_b32_e32 v15, s41
	v_add_co_u32_e32 v13, vcc, s42, v13
	v_addc_co_u32_e32 v14, vcc, v14, v15, vcc
	global_load_dwordx2 v[15:16], v[13:14], off
	s_branch .LBB28_929
.LBB28_953:
	v_lshl_add_u32 v1, v2, 6, v0
	s_xor_b64 s[2:3], s[18:19], -1
	s_xor_b64 s[4:5], s[24:25], -1
	v_lshlrev_b32_e32 v1, 3, v1
	ds_write_b64 v1, v[11:12] offset:32768
	s_waitcnt lgkmcnt(0)
	s_barrier
	s_and_saveexec_b64 s[6:7], s[0:1]
	s_cbranch_execz .LBB28_955
; %bb.954:
	v_lshlrev_b32_e32 v15, 3, v0
	ds_read2st64_b64 v[3:6], v15 offset0:65 offset1:66
	ds_read_b64 v[13:14], v15 offset:40448
	s_waitcnt lgkmcnt(1)
	v_add_f64 v[3:4], v[11:12], v[3:4]
	v_add_f64 v[11:12], v[3:4], v[5:6]
	ds_read2st64_b64 v[3:6], v15 offset0:67 offset1:68
	ds_read2st64_b64 v[7:10], v15 offset0:69 offset1:70
	s_waitcnt lgkmcnt(1)
	v_add_f64 v[3:4], v[11:12], v[3:4]
	v_add_f64 v[3:4], v[3:4], v[5:6]
	s_waitcnt lgkmcnt(0)
	v_add_f64 v[3:4], v[3:4], v[7:8]
	v_add_f64 v[11:12], v[3:4], v[9:10]
	ds_read2st64_b64 v[3:6], v15 offset0:71 offset1:72
	ds_read2st64_b64 v[7:10], v15 offset0:73 offset1:74
	s_waitcnt lgkmcnt(1)
	v_add_f64 v[3:4], v[11:12], v[3:4]
	v_add_f64 v[3:4], v[3:4], v[5:6]
	;; [unrolled: 8-line block ×3, first 2 shown]
	s_waitcnt lgkmcnt(0)
	v_add_f64 v[3:4], v[3:4], v[7:8]
	v_add_f64 v[3:4], v[3:4], v[9:10]
	;; [unrolled: 1-line block ×3, first 2 shown]
	v_xor_b32_e32 v4, 0x80000000, v4
	v_cndmask_b32_e64 v12, v4, 0, s[12:13]
	v_cndmask_b32_e64 v11, v3, 0, s[12:13]
.LBB28_955:
	s_or_b64 exec, exec, s[6:7]
	s_andn2_b64 vcc, exec, s[4:5]
	s_cbranch_vccnz .LBB28_968
; %bb.956:
	v_mov_b32_e32 v3, 0xa000
	v_lshl_or_b32 v5, v2, 3, v3
	s_and_saveexec_b64 s[4:5], s[0:1]
; %bb.957:
	v_lshl_add_u32 v3, v0, 3, v5
	ds_write_b64 v3, v[11:12]
; %bb.958:
	s_or_b64 exec, exec, s[4:5]
	v_mov_b32_e32 v3, 0
	v_mov_b32_e32 v4, 0
	v_cmp_le_u32_e32 vcc, v0, v2
	s_waitcnt lgkmcnt(0)
	s_barrier
	s_and_saveexec_b64 s[4:5], vcc
	s_cbranch_execz .LBB28_960
; %bb.959:
	ds_read_b64 v[3:4], v1
	ds_read_b64 v[6:7], v5
	s_waitcnt lgkmcnt(0)
	v_fma_f64 v[3:4], v[3:4], v[6:7], 0
.LBB28_960:
	s_or_b64 exec, exec, s[4:5]
	v_add_u32_e32 v6, 16, v2
	v_cmp_le_u32_e32 vcc, v0, v6
	s_and_saveexec_b64 s[4:5], vcc
	s_cbranch_execz .LBB28_962
; %bb.961:
	ds_read_b64 v[6:7], v1 offset:8192
	ds_read_b64 v[8:9], v5 offset:128
	s_waitcnt lgkmcnt(0)
	v_fma_f64 v[3:4], v[6:7], v[8:9], v[3:4]
.LBB28_962:
	s_or_b64 exec, exec, s[4:5]
	v_add_u32_e32 v6, 32, v2
	v_cmp_le_u32_e32 vcc, v0, v6
	s_and_saveexec_b64 s[4:5], vcc
	s_cbranch_execz .LBB28_964
; %bb.963:
	ds_read_b64 v[6:7], v1 offset:16384
	ds_read_b64 v[8:9], v5 offset:256
	s_waitcnt lgkmcnt(0)
	v_fma_f64 v[3:4], v[6:7], v[8:9], v[3:4]
.LBB28_964:
	s_or_b64 exec, exec, s[4:5]
	v_add_u32_e32 v2, 48, v2
	v_add_u32_e32 v6, 0x8000, v1
	v_cmp_le_u32_e32 vcc, v0, v2
	s_and_saveexec_b64 s[4:5], vcc
	s_cbranch_execz .LBB28_966
; %bb.965:
	ds_read_b64 v[1:2], v1 offset:24576
	ds_read_b64 v[7:8], v5 offset:384
	s_waitcnt lgkmcnt(0)
	v_fma_f64 v[3:4], v[1:2], v[7:8], v[3:4]
.LBB28_966:
	s_or_b64 exec, exec, s[4:5]
	s_mov_b64 s[6:7], 0
	s_mov_b64 s[4:5], 0
	ds_write_b64 v6, v[3:4]
	s_waitcnt lgkmcnt(0)
	s_barrier
                                        ; implicit-def: $vgpr1_vgpr2
	s_and_saveexec_b64 s[8:9], s[0:1]
	s_cbranch_execz .LBB28_1031
; %bb.967:
	v_lshlrev_b32_e32 v15, 3, v0
	ds_read2st64_b64 v[5:8], v15 offset0:65 offset1:66
	ds_read_b64 v[9:10], v15 offset:40448
	s_mov_b64 s[4:5], exec
	s_waitcnt lgkmcnt(1)
	v_add_f64 v[1:2], v[3:4], v[5:6]
	v_add_f64 v[13:14], v[7:8], v[1:2]
	ds_read2st64_b64 v[1:4], v15 offset0:67 offset1:68
	ds_read2st64_b64 v[5:8], v15 offset0:69 offset1:70
	s_waitcnt lgkmcnt(1)
	v_add_f64 v[1:2], v[1:2], v[13:14]
	v_add_f64 v[1:2], v[3:4], v[1:2]
	s_waitcnt lgkmcnt(0)
	v_add_f64 v[1:2], v[5:6], v[1:2]
	v_add_f64 v[13:14], v[7:8], v[1:2]
	ds_read2st64_b64 v[1:4], v15 offset0:71 offset1:72
	ds_read2st64_b64 v[5:8], v15 offset0:73 offset1:74
	s_waitcnt lgkmcnt(1)
	v_add_f64 v[1:2], v[1:2], v[13:14]
	v_add_f64 v[1:2], v[3:4], v[1:2]
	s_waitcnt lgkmcnt(0)
	v_add_f64 v[1:2], v[5:6], v[1:2]
	v_add_f64 v[13:14], v[7:8], v[1:2]
	ds_read2st64_b64 v[1:4], v15 offset0:75 offset1:76
	ds_read2st64_b64 v[5:8], v15 offset0:77 offset1:78
	s_waitcnt lgkmcnt(1)
	v_add_f64 v[1:2], v[1:2], v[13:14]
	v_add_f64 v[1:2], v[3:4], v[1:2]
	s_waitcnt lgkmcnt(0)
	v_add_f64 v[1:2], v[5:6], v[1:2]
	v_add_f64 v[1:2], v[7:8], v[1:2]
	;; [unrolled: 1-line block ×3, first 2 shown]
	s_or_b64 exec, exec, s[8:9]
	s_and_b64 vcc, exec, s[6:7]
	s_cbranch_vccnz .LBB28_969
	s_branch .LBB28_1032
.LBB28_968:
	s_mov_b64 s[4:5], 0
                                        ; implicit-def: $vgpr1_vgpr2
	s_cbranch_execz .LBB28_1032
.LBB28_969:
	s_movk_i32 s6, 0x208
	v_lshlrev_b32_e32 v2, 9, v0
	v_mov_b32_e32 v3, 0x7800
	v_mul_u32_u24_e32 v1, 0x208, v0
	v_sub_u32_e32 v2, 0, v2
	v_mad_u32_u24 v3, v0, s6, v3
	s_mov_b32 s8, 63
	s_movk_i32 s9, 0x8200
	v_mov_b32_e32 v4, 0
	s_branch .LBB28_971
.LBB28_970:                             ;   in Loop: Header=BB28_971 Depth=1
	s_or_b64 exec, exec, s[6:7]
	s_add_i32 s8, s8, -4
	s_cmp_lg_u32 s10, 0
	v_add_u32_e32 v2, 0xfffff800, v2
	s_barrier
	s_cbranch_scc0 .LBB28_987
.LBB28_971:                             ; =>This Inner Loop Header: Depth=1
	v_cmp_eq_u32_e32 vcc, s9, v2
	s_and_b64 s[10:11], s[0:1], vcc
	s_and_saveexec_b64 s[6:7], s[10:11]
	s_cbranch_execz .LBB28_973
; %bb.972:                              ;   in Loop: Header=BB28_971 Depth=1
	ds_read_b64 v[5:6], v1
	s_waitcnt lgkmcnt(0)
	v_mul_f64 v[11:12], v[11:12], v[5:6]
	ds_write_b64 v4, v[11:12] offset:41472
.LBB28_973:                             ;   in Loop: Header=BB28_971 Depth=1
	s_or_b64 exec, exec, s[6:7]
	v_cmp_gt_u32_e32 vcc, s8, v0
	s_and_b64 s[10:11], s[0:1], vcc
	v_add_u32_e32 v5, v3, v2
	s_waitcnt lgkmcnt(0)
	s_barrier
	s_and_saveexec_b64 s[6:7], s[10:11]
	s_cbranch_execz .LBB28_975
; %bb.974:                              ;   in Loop: Header=BB28_971 Depth=1
	ds_read_b64 v[6:7], v5 offset:1536
	ds_read_b64 v[8:9], v4 offset:41472
	s_waitcnt lgkmcnt(0)
	v_fma_f64 v[11:12], v[6:7], v[8:9], v[11:12]
.LBB28_975:                             ;   in Loop: Header=BB28_971 Depth=1
	s_or_b64 exec, exec, s[6:7]
	s_add_i32 s10, s8, -1
	v_cmp_eq_u32_e32 vcc, s10, v0
	s_and_b64 s[12:13], s[0:1], vcc
	s_barrier
	s_and_saveexec_b64 s[6:7], s[12:13]
	s_cbranch_execz .LBB28_977
; %bb.976:                              ;   in Loop: Header=BB28_971 Depth=1
	ds_read_b64 v[6:7], v1
	s_waitcnt lgkmcnt(0)
	v_mul_f64 v[11:12], v[11:12], v[6:7]
	ds_write_b64 v4, v[11:12] offset:41472
.LBB28_977:                             ;   in Loop: Header=BB28_971 Depth=1
	s_or_b64 exec, exec, s[6:7]
	v_cmp_gt_u32_e32 vcc, s10, v0
	s_and_b64 s[10:11], s[0:1], vcc
	s_waitcnt lgkmcnt(0)
	s_barrier
	s_and_saveexec_b64 s[6:7], s[10:11]
	s_cbranch_execz .LBB28_979
; %bb.978:                              ;   in Loop: Header=BB28_971 Depth=1
	ds_read_b64 v[6:7], v5 offset:1024
	ds_read_b64 v[8:9], v4 offset:41472
	s_waitcnt lgkmcnt(0)
	v_fma_f64 v[11:12], v[6:7], v[8:9], v[11:12]
.LBB28_979:                             ;   in Loop: Header=BB28_971 Depth=1
	s_or_b64 exec, exec, s[6:7]
	s_add_i32 s10, s8, -2
	v_cmp_eq_u32_e32 vcc, s10, v0
	s_and_b64 s[12:13], s[0:1], vcc
	s_barrier
	s_and_saveexec_b64 s[6:7], s[12:13]
	s_cbranch_execz .LBB28_981
; %bb.980:                              ;   in Loop: Header=BB28_971 Depth=1
	ds_read_b64 v[6:7], v1
	s_waitcnt lgkmcnt(0)
	v_mul_f64 v[11:12], v[11:12], v[6:7]
	ds_write_b64 v4, v[11:12] offset:41472
.LBB28_981:                             ;   in Loop: Header=BB28_971 Depth=1
	s_or_b64 exec, exec, s[6:7]
	v_cmp_gt_u32_e32 vcc, s10, v0
	s_and_b64 s[10:11], s[0:1], vcc
	;; [unrolled: 26-line block ×3, first 2 shown]
	s_waitcnt lgkmcnt(0)
	s_barrier
	s_and_saveexec_b64 s[6:7], s[12:13]
	s_cbranch_execz .LBB28_970
; %bb.986:                              ;   in Loop: Header=BB28_971 Depth=1
	ds_read_b64 v[5:6], v5
	ds_read_b64 v[7:8], v4 offset:41472
	s_waitcnt lgkmcnt(0)
	v_fma_f64 v[11:12], v[5:6], v[7:8], v[11:12]
	s_branch .LBB28_970
.LBB28_987:
	s_mov_b64 s[6:7], -1
	s_and_b64 vcc, exec, s[2:3]
	s_cbranch_vccnz .LBB28_1033
; %bb.988:
	s_andn2_b64 vcc, exec, s[6:7]
	s_cbranch_vccz .LBB28_1034
.LBB28_989:
	s_and_saveexec_b64 s[0:1], s[4:5]
	s_cbranch_execz .LBB28_991
.LBB28_990:
	v_mov_b32_e32 v0, s54
	v_add_co_u32_e32 v1, vcc, s33, v17
	v_addc_co_u32_e32 v0, vcc, 0, v0, vcc
	v_mul_lo_u32 v2, v0, s30
	v_mul_lo_u32 v3, v1, s31
	v_mad_u64_u32 v[0:1], s[2:3], v1, s30, 0
	v_add3_u32 v1, v1, v3, v2
	v_lshlrev_b64 v[0:1], 3, v[0:1]
	v_mov_b32_e32 v2, s39
	v_add_co_u32_e32 v0, vcc, s38, v0
	v_addc_co_u32_e32 v1, vcc, v2, v1, vcc
	global_store_dwordx2 v[0:1], v[11:12], off
.LBB28_991:
	s_or_b64 exec, exec, s[0:1]
	v_cmp_eq_u32_e32 vcc, 0, v17
	s_waitcnt vmcnt(0)
	buffer_wbinvl1_vol
	s_barrier
	s_and_saveexec_b64 s[0:1], vcc
	s_cbranch_execz .LBB28_993
; %bb.992:
	s_lshl_b64 s[2:3], s[34:35], 2
	s_add_u32 s2, s14, s2
	s_addc_u32 s3, s15, s3
	v_mov_b32_e32 v0, 0
	global_load_dword v1, v0, s[2:3]
	s_waitcnt vmcnt(0)
	v_add_u32_e32 v1, 1, v1
	global_store_dword v0, v1, s[2:3]
.LBB28_993:
	s_or_b64 exec, exec, s[0:1]
	s_waitcnt vmcnt(0)
	buffer_wbinvl1_vol
	s_endpgm
.LBB28_994:
                                        ; implicit-def: $vgpr7_vgpr8
                                        ; implicit-def: $vgpr9_vgpr10
                                        ; implicit-def: $vgpr5_vgpr6
                                        ; implicit-def: $vgpr3_vgpr4
                                        ; implicit-def: $sgpr33
	s_cbranch_execnz .LBB28_10
	s_branch .LBB28_11
.LBB28_995:
	v_cmp_ne_u32_e32 vcc, v0, v2
	s_and_saveexec_b64 s[8:9], vcc
	s_xor_b64 s[8:9], exec, s[8:9]
; %bb.996:
	v_or_b32_e32 v1, v2, v0
	v_cmp_gt_u32_e32 vcc, 64, v1
	s_and_b64 s[2:3], vcc, exec
                                        ; implicit-def: $vgpr15_vgpr16
; %bb.997:
	s_or_saveexec_b64 s[8:9], s[8:9]
	v_mov_b32_e32 v13, 0
	v_mov_b32_e32 v14, 0
	s_xor_b64 exec, exec, s[8:9]
	s_cbranch_execz .LBB28_999
; %bb.998:
	v_lshlrev_b64 v[13:14], 3, v[15:16]
	v_mov_b32_e32 v1, s86
	v_add_co_u32_e32 v13, vcc, s85, v13
	v_addc_co_u32_e32 v14, vcc, v1, v14, vcc
	global_load_dwordx2 v[13:14], v[13:14], off
	s_or_b64 s[2:3], s[2:3], exec
	s_waitcnt vmcnt(0)
	v_div_scale_f64 v[15:16], s[10:11], v[13:14], v[13:14], 1.0
	v_div_scale_f64 v[21:22], vcc, 1.0, v[13:14], 1.0
	v_rcp_f64_e32 v[17:18], v[15:16]
	v_fma_f64 v[19:20], -v[15:16], v[17:18], 1.0
	v_fma_f64 v[17:18], v[17:18], v[19:20], v[17:18]
	v_fma_f64 v[19:20], -v[15:16], v[17:18], 1.0
	v_fma_f64 v[17:18], v[17:18], v[19:20], v[17:18]
	v_mul_f64 v[19:20], v[21:22], v[17:18]
	v_fma_f64 v[15:16], -v[15:16], v[19:20], v[21:22]
	v_div_fmas_f64 v[15:16], v[15:16], v[17:18], v[19:20]
	v_div_fixup_f64 v[13:14], v[15:16], v[13:14], 1.0
.LBB28_999:
	s_or_b64 exec, exec, s[8:9]
	s_and_b64 s[2:3], s[2:3], exec
                                        ; implicit-def: $vgpr15_vgpr16
	s_andn2_saveexec_b64 s[0:1], s[0:1]
	s_cbranch_execz .LBB28_14
.LBB28_1000:
	v_lshlrev_b64 v[13:14], 3, v[15:16]
	v_mov_b32_e32 v1, s86
	v_add_co_u32_e32 v13, vcc, s85, v13
	v_addc_co_u32_e32 v14, vcc, v1, v14, vcc
	global_load_dwordx2 v[13:14], v[13:14], off
	s_or_b64 s[2:3], s[2:3], exec
	s_waitcnt vmcnt(0)
	v_xor_b32_e32 v14, 0x80000000, v14
	s_or_b64 exec, exec, s[0:1]
	s_and_saveexec_b64 s[0:1], s[2:3]
	s_cbranch_execnz .LBB28_15
	s_branch .LBB28_16
.LBB28_1001:
	v_cmp_ne_u32_e32 vcc, v0, v1
	s_and_saveexec_b64 s[8:9], vcc
	s_xor_b64 s[8:9], exec, s[8:9]
; %bb.1002:
	v_or_b32_e32 v13, v1, v0
	v_cmp_gt_u32_e32 vcc, 64, v13
	s_and_b64 s[2:3], vcc, exec
                                        ; implicit-def: $vgpr15_vgpr16
; %bb.1003:
	s_or_saveexec_b64 s[8:9], s[8:9]
	v_mov_b32_e32 v13, 0
	v_mov_b32_e32 v14, 0
	s_xor_b64 exec, exec, s[8:9]
	s_cbranch_execz .LBB28_1005
; %bb.1004:
	v_lshlrev_b64 v[13:14], 3, v[15:16]
	v_mov_b32_e32 v15, s86
	v_add_co_u32_e32 v13, vcc, s85, v13
	v_addc_co_u32_e32 v14, vcc, v15, v14, vcc
	global_load_dwordx2 v[13:14], v[13:14], off
	s_or_b64 s[2:3], s[2:3], exec
	s_waitcnt vmcnt(0)
	v_div_scale_f64 v[15:16], s[10:11], v[13:14], v[13:14], 1.0
	v_div_scale_f64 v[21:22], vcc, 1.0, v[13:14], 1.0
	v_rcp_f64_e32 v[17:18], v[15:16]
	v_fma_f64 v[19:20], -v[15:16], v[17:18], 1.0
	v_fma_f64 v[17:18], v[17:18], v[19:20], v[17:18]
	v_fma_f64 v[19:20], -v[15:16], v[17:18], 1.0
	v_fma_f64 v[17:18], v[17:18], v[19:20], v[17:18]
	v_mul_f64 v[19:20], v[21:22], v[17:18]
	v_fma_f64 v[15:16], -v[15:16], v[19:20], v[21:22]
	v_div_fmas_f64 v[15:16], v[15:16], v[17:18], v[19:20]
	v_div_fixup_f64 v[13:14], v[15:16], v[13:14], 1.0
.LBB28_1005:
	s_or_b64 exec, exec, s[8:9]
	s_and_b64 s[2:3], s[2:3], exec
                                        ; implicit-def: $vgpr15_vgpr16
	s_andn2_saveexec_b64 s[0:1], s[0:1]
	s_cbranch_execz .LBB28_18
.LBB28_1006:
	v_lshlrev_b64 v[13:14], 3, v[15:16]
	v_mov_b32_e32 v15, s86
	v_add_co_u32_e32 v13, vcc, s85, v13
	v_addc_co_u32_e32 v14, vcc, v15, v14, vcc
	global_load_dwordx2 v[13:14], v[13:14], off
	s_or_b64 s[2:3], s[2:3], exec
	s_waitcnt vmcnt(0)
	v_xor_b32_e32 v14, 0x80000000, v14
	s_or_b64 exec, exec, s[0:1]
	s_and_saveexec_b64 s[0:1], s[2:3]
	s_cbranch_execnz .LBB28_19
	s_branch .LBB28_20
.LBB28_1007:
	v_cmp_ne_u32_e32 vcc, v0, v1
	s_and_saveexec_b64 s[8:9], vcc
	s_xor_b64 s[8:9], exec, s[8:9]
; %bb.1008:
	v_or_b32_e32 v13, v1, v0
	v_cmp_gt_u32_e32 vcc, 64, v13
	s_and_b64 s[2:3], vcc, exec
                                        ; implicit-def: $vgpr15_vgpr16
; %bb.1009:
	s_or_saveexec_b64 s[8:9], s[8:9]
	v_mov_b32_e32 v13, 0
	v_mov_b32_e32 v14, 0
	s_xor_b64 exec, exec, s[8:9]
	s_cbranch_execz .LBB28_1011
; %bb.1010:
	v_lshlrev_b64 v[13:14], 3, v[15:16]
	v_mov_b32_e32 v15, s86
	v_add_co_u32_e32 v13, vcc, s85, v13
	v_addc_co_u32_e32 v14, vcc, v15, v14, vcc
	global_load_dwordx2 v[13:14], v[13:14], off
	s_or_b64 s[2:3], s[2:3], exec
	s_waitcnt vmcnt(0)
	v_div_scale_f64 v[15:16], s[10:11], v[13:14], v[13:14], 1.0
	v_div_scale_f64 v[21:22], vcc, 1.0, v[13:14], 1.0
	v_rcp_f64_e32 v[17:18], v[15:16]
	v_fma_f64 v[19:20], -v[15:16], v[17:18], 1.0
	v_fma_f64 v[17:18], v[17:18], v[19:20], v[17:18]
	v_fma_f64 v[19:20], -v[15:16], v[17:18], 1.0
	v_fma_f64 v[17:18], v[17:18], v[19:20], v[17:18]
	v_mul_f64 v[19:20], v[21:22], v[17:18]
	v_fma_f64 v[15:16], -v[15:16], v[19:20], v[21:22]
	v_div_fmas_f64 v[15:16], v[15:16], v[17:18], v[19:20]
	v_div_fixup_f64 v[13:14], v[15:16], v[13:14], 1.0
.LBB28_1011:
	s_or_b64 exec, exec, s[8:9]
	s_and_b64 s[2:3], s[2:3], exec
                                        ; implicit-def: $vgpr15_vgpr16
	s_andn2_saveexec_b64 s[0:1], s[0:1]
	s_cbranch_execz .LBB28_22
.LBB28_1012:
	v_lshlrev_b64 v[13:14], 3, v[15:16]
	v_mov_b32_e32 v15, s86
	v_add_co_u32_e32 v13, vcc, s85, v13
	v_addc_co_u32_e32 v14, vcc, v15, v14, vcc
	global_load_dwordx2 v[13:14], v[13:14], off
	s_or_b64 s[2:3], s[2:3], exec
	s_waitcnt vmcnt(0)
	v_xor_b32_e32 v14, 0x80000000, v14
	s_or_b64 exec, exec, s[0:1]
	s_and_saveexec_b64 s[0:1], s[2:3]
	s_cbranch_execnz .LBB28_23
	s_branch .LBB28_24
.LBB28_1013:
	v_cmp_ne_u32_e32 vcc, v0, v2
	s_xor_b64 s[10:11], s[0:1], -1
	s_or_b64 s[12:13], s[10:11], vcc
	s_mov_b64 s[10:11], 0
	s_and_saveexec_b64 s[14:15], s[12:13]
	s_xor_b64 s[12:13], exec, s[14:15]
; %bb.1014:
	v_or_b32_e32 v1, v2, v0
	v_cmp_gt_u32_e32 vcc, 64, v1
	s_and_b64 s[10:11], vcc, exec
                                        ; implicit-def: $vgpr13_vgpr14
; %bb.1015:
	s_or_saveexec_b64 s[12:13], s[12:13]
	v_mov_b32_e32 v15, 0
	v_mov_b32_e32 v16, 0
	s_xor_b64 exec, exec, s[12:13]
	s_cbranch_execz .LBB28_1017
; %bb.1016:
	v_lshlrev_b64 v[13:14], 3, v[13:14]
	v_mov_b32_e32 v1, s86
	v_add_co_u32_e32 v13, vcc, s85, v13
	v_addc_co_u32_e32 v14, vcc, v1, v14, vcc
	global_load_dwordx2 v[13:14], v[13:14], off
	s_or_b64 s[10:11], s[10:11], exec
	s_waitcnt vmcnt(0)
	v_div_scale_f64 v[15:16], s[14:15], v[13:14], v[13:14], 1.0
	v_div_scale_f64 v[21:22], vcc, 1.0, v[13:14], 1.0
	v_rcp_f64_e32 v[17:18], v[15:16]
	v_fma_f64 v[19:20], -v[15:16], v[17:18], 1.0
	v_fma_f64 v[17:18], v[17:18], v[19:20], v[17:18]
	v_fma_f64 v[19:20], -v[15:16], v[17:18], 1.0
	v_fma_f64 v[17:18], v[17:18], v[19:20], v[17:18]
	v_mul_f64 v[19:20], v[21:22], v[17:18]
	v_fma_f64 v[15:16], -v[15:16], v[19:20], v[21:22]
	v_div_fmas_f64 v[15:16], v[15:16], v[17:18], v[19:20]
	v_div_fixup_f64 v[15:16], v[15:16], v[13:14], 1.0
.LBB28_1017:
	s_or_b64 exec, exec, s[12:13]
	s_and_b64 s[10:11], s[10:11], exec
                                        ; implicit-def: $vgpr13_vgpr14
	s_andn2_saveexec_b64 s[2:3], s[2:3]
	s_cbranch_execz .LBB28_36
.LBB28_1018:
	v_lshlrev_b64 v[13:14], 3, v[13:14]
	v_mov_b32_e32 v1, s86
	v_add_co_u32_e32 v13, vcc, s85, v13
	v_addc_co_u32_e32 v14, vcc, v1, v14, vcc
	global_load_dwordx2 v[15:16], v[13:14], off
	s_or_b64 s[10:11], s[10:11], exec
	s_waitcnt vmcnt(0)
	v_xor_b32_e32 v16, 0x80000000, v16
	s_or_b64 exec, exec, s[2:3]
	s_and_saveexec_b64 s[2:3], s[10:11]
	s_cbranch_execnz .LBB28_37
	s_branch .LBB28_38
.LBB28_1019:
	v_cmp_ne_u32_e32 vcc, v0, v1
	s_xor_b64 s[10:11], s[0:1], -1
	s_or_b64 s[12:13], s[10:11], vcc
	s_mov_b64 s[10:11], 0
	s_and_saveexec_b64 s[14:15], s[12:13]
	s_xor_b64 s[12:13], exec, s[14:15]
; %bb.1020:
	v_or_b32_e32 v13, v1, v0
	v_cmp_gt_u32_e32 vcc, 64, v13
	s_and_b64 s[10:11], vcc, exec
                                        ; implicit-def: $vgpr13_vgpr14
; %bb.1021:
	s_or_saveexec_b64 s[12:13], s[12:13]
	v_mov_b32_e32 v15, 0
	v_mov_b32_e32 v16, 0
	s_xor_b64 exec, exec, s[12:13]
	s_cbranch_execz .LBB28_1023
; %bb.1022:
	v_lshlrev_b64 v[13:14], 3, v[13:14]
	v_mov_b32_e32 v15, s86
	v_add_co_u32_e32 v13, vcc, s85, v13
	v_addc_co_u32_e32 v14, vcc, v15, v14, vcc
	global_load_dwordx2 v[13:14], v[13:14], off
	s_or_b64 s[10:11], s[10:11], exec
	s_waitcnt vmcnt(0)
	v_div_scale_f64 v[15:16], s[14:15], v[13:14], v[13:14], 1.0
	v_div_scale_f64 v[21:22], vcc, 1.0, v[13:14], 1.0
	v_rcp_f64_e32 v[17:18], v[15:16]
	v_fma_f64 v[19:20], -v[15:16], v[17:18], 1.0
	v_fma_f64 v[17:18], v[17:18], v[19:20], v[17:18]
	v_fma_f64 v[19:20], -v[15:16], v[17:18], 1.0
	v_fma_f64 v[17:18], v[17:18], v[19:20], v[17:18]
	v_mul_f64 v[19:20], v[21:22], v[17:18]
	v_fma_f64 v[15:16], -v[15:16], v[19:20], v[21:22]
	v_div_fmas_f64 v[15:16], v[15:16], v[17:18], v[19:20]
	v_div_fixup_f64 v[15:16], v[15:16], v[13:14], 1.0
.LBB28_1023:
	s_or_b64 exec, exec, s[12:13]
	s_and_b64 s[10:11], s[10:11], exec
                                        ; implicit-def: $vgpr13_vgpr14
	s_andn2_saveexec_b64 s[2:3], s[2:3]
	s_cbranch_execz .LBB28_40
.LBB28_1024:
	v_lshlrev_b64 v[13:14], 3, v[13:14]
	v_mov_b32_e32 v15, s86
	v_add_co_u32_e32 v13, vcc, s85, v13
	v_addc_co_u32_e32 v14, vcc, v15, v14, vcc
	global_load_dwordx2 v[15:16], v[13:14], off
	s_or_b64 s[10:11], s[10:11], exec
	s_waitcnt vmcnt(0)
	v_xor_b32_e32 v16, 0x80000000, v16
	s_or_b64 exec, exec, s[2:3]
	s_and_saveexec_b64 s[2:3], s[10:11]
	s_cbranch_execnz .LBB28_41
	s_branch .LBB28_42
.LBB28_1025:
	v_cmp_ne_u32_e32 vcc, v0, v1
	s_xor_b64 s[10:11], s[0:1], -1
	s_or_b64 s[12:13], s[10:11], vcc
	s_mov_b64 s[10:11], 0
	s_and_saveexec_b64 s[14:15], s[12:13]
	s_xor_b64 s[12:13], exec, s[14:15]
; %bb.1026:
	v_or_b32_e32 v13, v1, v0
	v_cmp_gt_u32_e32 vcc, 64, v13
	s_and_b64 s[10:11], vcc, exec
                                        ; implicit-def: $vgpr13_vgpr14
; %bb.1027:
	s_or_saveexec_b64 s[12:13], s[12:13]
	v_mov_b32_e32 v15, 0
	v_mov_b32_e32 v16, 0
	s_xor_b64 exec, exec, s[12:13]
	s_cbranch_execz .LBB28_1029
; %bb.1028:
	v_lshlrev_b64 v[13:14], 3, v[13:14]
	v_mov_b32_e32 v15, s86
	v_add_co_u32_e32 v13, vcc, s85, v13
	v_addc_co_u32_e32 v14, vcc, v15, v14, vcc
	global_load_dwordx2 v[13:14], v[13:14], off
	s_or_b64 s[10:11], s[10:11], exec
	s_waitcnt vmcnt(0)
	v_div_scale_f64 v[15:16], s[14:15], v[13:14], v[13:14], 1.0
	v_div_scale_f64 v[21:22], vcc, 1.0, v[13:14], 1.0
	v_rcp_f64_e32 v[17:18], v[15:16]
	v_fma_f64 v[19:20], -v[15:16], v[17:18], 1.0
	v_fma_f64 v[17:18], v[17:18], v[19:20], v[17:18]
	v_fma_f64 v[19:20], -v[15:16], v[17:18], 1.0
	v_fma_f64 v[17:18], v[17:18], v[19:20], v[17:18]
	v_mul_f64 v[19:20], v[21:22], v[17:18]
	v_fma_f64 v[15:16], -v[15:16], v[19:20], v[21:22]
	v_div_fmas_f64 v[15:16], v[15:16], v[17:18], v[19:20]
	v_div_fixup_f64 v[15:16], v[15:16], v[13:14], 1.0
.LBB28_1029:
	s_or_b64 exec, exec, s[12:13]
	s_and_b64 s[10:11], s[10:11], exec
                                        ; implicit-def: $vgpr13_vgpr14
	s_andn2_saveexec_b64 s[2:3], s[2:3]
	s_cbranch_execz .LBB28_44
.LBB28_1030:
	v_lshlrev_b64 v[13:14], 3, v[13:14]
	v_mov_b32_e32 v15, s86
	v_add_co_u32_e32 v13, vcc, s85, v13
	v_addc_co_u32_e32 v14, vcc, v15, v14, vcc
	global_load_dwordx2 v[15:16], v[13:14], off
	s_or_b64 s[10:11], s[10:11], exec
	s_waitcnt vmcnt(0)
	v_xor_b32_e32 v16, 0x80000000, v16
	s_or_b64 exec, exec, s[2:3]
	s_and_saveexec_b64 s[2:3], s[10:11]
	s_cbranch_execnz .LBB28_45
	s_branch .LBB28_46
.LBB28_1031:
	s_or_b64 exec, exec, s[8:9]
	s_and_b64 vcc, exec, s[6:7]
	s_cbranch_vccnz .LBB28_969
.LBB28_1032:
	v_mov_b32_e32 v12, v2
	v_mov_b32_e32 v11, v1
	s_and_saveexec_b64 s[0:1], s[4:5]
	s_cbranch_execnz .LBB28_990
	s_branch .LBB28_991
.LBB28_1033:
	s_andn2_b64 s[2:3], s[4:5], exec
	s_and_b64 s[4:5], s[0:1], exec
	s_or_b64 s[4:5], s[2:3], s[4:5]
	s_cbranch_execnz .LBB28_989
.LBB28_1034:
	v_cmp_gt_i32_e32 vcc, s84, v0
	s_and_b64 s[0:1], s[0:1], vcc
	s_andn2_b64 s[2:3], s[4:5], exec
	s_and_b64 s[0:1], s[0:1], exec
	s_or_b64 s[4:5], s[2:3], s[0:1]
	s_and_saveexec_b64 s[0:1], s[4:5]
	s_cbranch_execnz .LBB28_990
	s_branch .LBB28_991
.LBB28_1035:
	ds_read_b64 v[21:22], v20 offset:31680
	ds_read_b64 v[23:24], v19 offset:31208
	s_waitcnt lgkmcnt(0)
	v_fma_f64 v[11:12], v[21:22], v[23:24], v[11:12]
	s_or_b64 exec, exec, s[14:15]
	v_cmp_gt_u32_e64 s[10:11], 8, v15
	s_and_saveexec_b64 s[14:15], s[10:11]
	s_cbranch_execz .LBB28_77
.LBB28_1036:
	ds_read_b64 v[20:21], v20 offset:32192
	ds_read_b64 v[22:23], v19 offset:31216
	s_waitcnt lgkmcnt(0)
	v_fma_f64 v[11:12], v[20:21], v[22:23], v[11:12]
	s_or_b64 exec, exec, s[14:15]
	v_cmp_gt_u32_e64 s[10:11], 4, v15
	s_and_saveexec_b64 s[14:15], s[10:11]
	s_cbranch_execnz .LBB28_78
	s_branch .LBB28_79
.LBB28_1037:
	ds_read_b64 v[24:25], v23 offset:29568
	ds_read_b64 v[26:27], v22 offset:29128
	s_waitcnt lgkmcnt(0)
	v_fma_f64 v[11:12], v[24:25], v[26:27], v[11:12]
	s_or_b64 exec, exec, s[16:17]
	v_cmp_gt_u32_e64 s[10:11], 48, v15
	s_and_saveexec_b64 s[16:17], s[10:11]
	s_cbranch_execz .LBB28_115
.LBB28_1038:
	ds_read_b64 v[24:25], v23 offset:30080
	ds_read_b64 v[26:27], v22 offset:29136
	s_waitcnt lgkmcnt(0)
	v_fma_f64 v[11:12], v[24:25], v[26:27], v[11:12]
	s_or_b64 exec, exec, s[16:17]
	v_cmp_gt_u32_e64 s[10:11], 40, v15
	s_and_saveexec_b64 s[16:17], s[10:11]
	s_cbranch_execz .LBB28_116
.LBB28_1039:
	ds_read_b64 v[24:25], v23 offset:30592
	ds_read_b64 v[26:27], v22 offset:29144
	s_waitcnt lgkmcnt(0)
	v_fma_f64 v[11:12], v[24:25], v[26:27], v[11:12]
	s_or_b64 exec, exec, s[16:17]
	v_cmp_gt_u32_e64 s[10:11], 32, v15
	s_and_saveexec_b64 s[16:17], s[10:11]
	s_cbranch_execz .LBB28_117
.LBB28_1040:
	ds_read_b64 v[24:25], v23 offset:31104
	ds_read_b64 v[26:27], v22 offset:29152
	s_waitcnt lgkmcnt(0)
	v_fma_f64 v[11:12], v[24:25], v[26:27], v[11:12]
	s_or_b64 exec, exec, s[16:17]
	v_cmp_gt_u32_e64 s[10:11], 24, v15
	s_and_saveexec_b64 s[16:17], s[10:11]
	s_cbranch_execz .LBB28_118
.LBB28_1041:
	ds_read_b64 v[24:25], v23 offset:31616
	ds_read_b64 v[26:27], v22 offset:29160
	s_waitcnt lgkmcnt(0)
	v_fma_f64 v[11:12], v[24:25], v[26:27], v[11:12]
	s_or_b64 exec, exec, s[16:17]
	s_and_saveexec_b64 s[10:11], s[2:3]
	s_cbranch_execz .LBB28_119
.LBB28_1042:
	ds_read_b64 v[23:24], v23 offset:32128
	ds_read_b64 v[25:26], v22 offset:29168
	s_waitcnt lgkmcnt(0)
	v_fma_f64 v[11:12], v[23:24], v[25:26], v[11:12]
	s_or_b64 exec, exec, s[10:11]
	v_cmp_gt_u32_e64 s[10:11], 8, v15
	s_and_saveexec_b64 s[16:17], s[10:11]
	s_cbranch_execnz .LBB28_120
	s_branch .LBB28_121
.LBB28_1043:
	ds_read_b64 v[24:25], v23 offset:27520
	ds_read_b64 v[26:27], v22 offset:27048
	s_waitcnt lgkmcnt(0)
	v_fma_f64 v[11:12], v[24:25], v[26:27], v[11:12]
	s_or_b64 exec, exec, s[12:13]
	v_cmp_gt_u32_e64 s[8:9], 8, v15
	s_and_saveexec_b64 s[12:13], s[8:9]
	s_cbranch_execz .LBB28_173
.LBB28_1044:
	ds_read_b64 v[23:24], v23 offset:28032
	ds_read_b64 v[25:26], v22 offset:27056
	s_waitcnt lgkmcnt(0)
	v_fma_f64 v[11:12], v[23:24], v[25:26], v[11:12]
	s_or_b64 exec, exec, s[12:13]
	v_cmp_gt_u32_e64 s[8:9], 4, v15
	s_and_saveexec_b64 s[12:13], s[8:9]
	s_cbranch_execnz .LBB28_174
	s_branch .LBB28_175
.LBB28_1045:
	ds_read_b64 v[27:28], v26 offset:30464
	ds_read_b64 v[29:30], v25 offset:25048
	s_waitcnt lgkmcnt(0)
	v_fma_f64 v[11:12], v[27:28], v[29:30], v[11:12]
	s_or_b64 exec, exec, s[22:23]
	s_and_saveexec_b64 s[12:13], s[14:15]
	s_cbranch_execz .LBB28_231
.LBB28_1046:
	ds_read_b64 v[27:28], v26 offset:30976
	ds_read_b64 v[29:30], v25 offset:25056
	s_waitcnt lgkmcnt(0)
	v_fma_f64 v[11:12], v[27:28], v[29:30], v[11:12]
	s_or_b64 exec, exec, s[12:13]
	v_cmp_gt_u32_e64 s[12:13], 48, v15
	s_and_saveexec_b64 s[22:23], s[12:13]
	s_cbranch_execz .LBB28_232
.LBB28_1047:
	ds_read_b64 v[27:28], v26 offset:31488
	ds_read_b64 v[29:30], v25 offset:25064
	s_waitcnt lgkmcnt(0)
	v_fma_f64 v[11:12], v[27:28], v[29:30], v[11:12]
	s_or_b64 exec, exec, s[22:23]
	v_cmp_gt_u32_e64 s[12:13], 32, v15
	s_and_saveexec_b64 s[22:23], s[12:13]
	s_cbranch_execz .LBB28_233
.LBB28_1048:
	ds_read_b64 v[26:27], v26 offset:32000
	ds_read_b64 v[28:29], v25 offset:25072
	s_waitcnt lgkmcnt(0)
	v_fma_f64 v[11:12], v[26:27], v[28:29], v[11:12]
	s_or_b64 exec, exec, s[22:23]
	v_cmp_gt_u32_e64 s[12:13], 16, v15
	s_and_saveexec_b64 s[22:23], s[12:13]
	s_cbranch_execnz .LBB28_234
	s_branch .LBB28_235
.LBB28_1049:
	ds_read_b64 v[27:28], v26 offset:23360
	ds_read_b64 v[29:30], v25 offset:22888
	s_waitcnt lgkmcnt(0)
	v_fma_f64 v[11:12], v[27:28], v[29:30], v[11:12]
	s_or_b64 exec, exec, s[16:17]
	v_cmp_gt_u32_e64 s[10:11], 8, v15
	s_and_saveexec_b64 s[16:17], s[10:11]
	s_cbranch_execz .LBB28_319
.LBB28_1050:
	ds_read_b64 v[26:27], v26 offset:23872
	ds_read_b64 v[28:29], v25 offset:22896
	s_waitcnt lgkmcnt(0)
	v_fma_f64 v[11:12], v[26:27], v[28:29], v[11:12]
	s_or_b64 exec, exec, s[16:17]
	v_cmp_gt_u32_e64 s[10:11], 4, v15
	s_and_saveexec_b64 s[16:17], s[10:11]
	s_cbranch_execnz .LBB28_320
	s_branch .LBB28_321
.LBB28_1051:
	ds_read_b64 v[27:28], v26 offset:21248
	ds_read_b64 v[29:30], v25 offset:20808
	s_waitcnt lgkmcnt(0)
	v_fma_f64 v[11:12], v[27:28], v[29:30], v[11:12]
	s_or_b64 exec, exec, s[16:17]
	v_cmp_gt_u32_e64 s[10:11], 48, v15
	s_and_saveexec_b64 s[16:17], s[10:11]
	s_cbranch_execz .LBB28_357
.LBB28_1052:
	ds_read_b64 v[27:28], v26 offset:21760
	ds_read_b64 v[29:30], v25 offset:20816
	s_waitcnt lgkmcnt(0)
	v_fma_f64 v[11:12], v[27:28], v[29:30], v[11:12]
	s_or_b64 exec, exec, s[16:17]
	v_cmp_gt_u32_e64 s[10:11], 40, v15
	s_and_saveexec_b64 s[16:17], s[10:11]
	s_cbranch_execz .LBB28_358
.LBB28_1053:
	ds_read_b64 v[27:28], v26 offset:22272
	ds_read_b64 v[29:30], v25 offset:20824
	s_waitcnt lgkmcnt(0)
	v_fma_f64 v[11:12], v[27:28], v[29:30], v[11:12]
	s_or_b64 exec, exec, s[16:17]
	v_cmp_gt_u32_e64 s[10:11], 32, v15
	s_and_saveexec_b64 s[16:17], s[10:11]
	s_cbranch_execz .LBB28_359
.LBB28_1054:
	ds_read_b64 v[27:28], v26 offset:22784
	ds_read_b64 v[29:30], v25 offset:20832
	s_waitcnt lgkmcnt(0)
	v_fma_f64 v[11:12], v[27:28], v[29:30], v[11:12]
	s_or_b64 exec, exec, s[16:17]
	v_cmp_gt_u32_e64 s[10:11], 24, v15
	s_and_saveexec_b64 s[16:17], s[10:11]
	s_cbranch_execz .LBB28_360
.LBB28_1055:
	ds_read_b64 v[27:28], v26 offset:23296
	ds_read_b64 v[29:30], v25 offset:20840
	s_waitcnt lgkmcnt(0)
	v_fma_f64 v[11:12], v[27:28], v[29:30], v[11:12]
	s_or_b64 exec, exec, s[16:17]
	s_and_saveexec_b64 s[10:11], s[2:3]
	s_cbranch_execz .LBB28_361
.LBB28_1056:
	ds_read_b64 v[26:27], v26 offset:23808
	ds_read_b64 v[28:29], v25 offset:20848
	s_waitcnt lgkmcnt(0)
	v_fma_f64 v[11:12], v[26:27], v[28:29], v[11:12]
	s_or_b64 exec, exec, s[10:11]
	v_cmp_gt_u32_e64 s[10:11], 8, v15
	s_and_saveexec_b64 s[16:17], s[10:11]
	s_cbranch_execnz .LBB28_362
	s_branch .LBB28_363
.LBB28_1057:
	ds_read_b64 v[27:28], v26 offset:19200
	ds_read_b64 v[29:30], v25 offset:18728
	s_waitcnt lgkmcnt(0)
	v_fma_f64 v[11:12], v[27:28], v[29:30], v[11:12]
	s_or_b64 exec, exec, s[16:17]
	v_cmp_gt_u32_e64 s[10:11], 8, v15
	s_and_saveexec_b64 s[16:17], s[10:11]
	s_cbranch_execz .LBB28_415
.LBB28_1058:
	ds_read_b64 v[26:27], v26 offset:19712
	ds_read_b64 v[28:29], v25 offset:18736
	s_waitcnt lgkmcnt(0)
	v_fma_f64 v[11:12], v[26:27], v[28:29], v[11:12]
	s_or_b64 exec, exec, s[16:17]
	v_cmp_gt_u32_e64 s[10:11], 4, v15
	s_and_saveexec_b64 s[16:17], s[10:11]
	s_cbranch_execnz .LBB28_416
	s_branch .LBB28_417
.LBB28_1059:
	ds_read_b64 v[30:31], v29 offset:31232
	ds_read_b64 v[32:33], v28 offset:16872
	s_waitcnt lgkmcnt(0)
	v_fma_f64 v[11:12], v[30:31], v[32:33], v[11:12]
	s_or_b64 exec, exec, s[82:83]
	s_and_saveexec_b64 s[16:17], s[14:15]
	s_cbranch_execz .LBB28_509
.LBB28_1060:
	ds_read_b64 v[29:30], v29 offset:31744
	ds_read_b64 v[31:32], v28 offset:16880
	s_waitcnt lgkmcnt(0)
	v_fma_f64 v[11:12], v[29:30], v[31:32], v[11:12]
	s_or_b64 exec, exec, s[16:17]
	v_cmp_gt_u32_e64 s[16:17], 32, v15
	s_and_saveexec_b64 s[82:83], s[16:17]
	s_cbranch_execnz .LBB28_510
	s_branch .LBB28_511
.LBB28_1061:
	ds_read_b64 v[27:28], v26 offset:15040
	ds_read_b64 v[29:30], v25 offset:14568
	s_waitcnt lgkmcnt(0)
	v_fma_f64 v[11:12], v[27:28], v[29:30], v[11:12]
	s_or_b64 exec, exec, s[16:17]
	v_cmp_gt_u32_e64 s[10:11], 8, v15
	s_and_saveexec_b64 s[16:17], s[10:11]
	s_cbranch_execz .LBB28_551
.LBB28_1062:
	ds_read_b64 v[26:27], v26 offset:15552
	ds_read_b64 v[28:29], v25 offset:14576
	s_waitcnt lgkmcnt(0)
	v_fma_f64 v[11:12], v[26:27], v[28:29], v[11:12]
	s_or_b64 exec, exec, s[16:17]
	v_cmp_gt_u32_e64 s[10:11], 4, v15
	s_and_saveexec_b64 s[16:17], s[10:11]
	s_cbranch_execnz .LBB28_552
	s_branch .LBB28_553
.LBB28_1063:
	ds_read_b64 v[27:28], v26 offset:12928
	ds_read_b64 v[29:30], v25 offset:12488
	s_waitcnt lgkmcnt(0)
	v_fma_f64 v[11:12], v[27:28], v[29:30], v[11:12]
	s_or_b64 exec, exec, s[16:17]
	v_cmp_gt_u32_e64 s[10:11], 48, v15
	s_and_saveexec_b64 s[16:17], s[10:11]
	s_cbranch_execz .LBB28_589
.LBB28_1064:
	ds_read_b64 v[27:28], v26 offset:13440
	ds_read_b64 v[29:30], v25 offset:12496
	s_waitcnt lgkmcnt(0)
	v_fma_f64 v[11:12], v[27:28], v[29:30], v[11:12]
	s_or_b64 exec, exec, s[16:17]
	v_cmp_gt_u32_e64 s[10:11], 40, v15
	s_and_saveexec_b64 s[16:17], s[10:11]
	s_cbranch_execz .LBB28_590
.LBB28_1065:
	ds_read_b64 v[27:28], v26 offset:13952
	ds_read_b64 v[29:30], v25 offset:12504
	s_waitcnt lgkmcnt(0)
	v_fma_f64 v[11:12], v[27:28], v[29:30], v[11:12]
	s_or_b64 exec, exec, s[16:17]
	v_cmp_gt_u32_e64 s[10:11], 32, v15
	s_and_saveexec_b64 s[16:17], s[10:11]
	s_cbranch_execz .LBB28_591
.LBB28_1066:
	ds_read_b64 v[27:28], v26 offset:14464
	ds_read_b64 v[29:30], v25 offset:12512
	s_waitcnt lgkmcnt(0)
	v_fma_f64 v[11:12], v[27:28], v[29:30], v[11:12]
	s_or_b64 exec, exec, s[16:17]
	v_cmp_gt_u32_e64 s[10:11], 24, v15
	s_and_saveexec_b64 s[16:17], s[10:11]
	s_cbranch_execz .LBB28_592
.LBB28_1067:
	ds_read_b64 v[27:28], v26 offset:14976
	ds_read_b64 v[29:30], v25 offset:12520
	s_waitcnt lgkmcnt(0)
	v_fma_f64 v[11:12], v[27:28], v[29:30], v[11:12]
	s_or_b64 exec, exec, s[16:17]
	s_and_saveexec_b64 s[10:11], s[2:3]
	s_cbranch_execz .LBB28_593
.LBB28_1068:
	ds_read_b64 v[26:27], v26 offset:15488
	ds_read_b64 v[28:29], v25 offset:12528
	s_waitcnt lgkmcnt(0)
	v_fma_f64 v[11:12], v[26:27], v[28:29], v[11:12]
	s_or_b64 exec, exec, s[10:11]
	v_cmp_gt_u32_e64 s[10:11], 8, v15
	s_and_saveexec_b64 s[16:17], s[10:11]
	s_cbranch_execnz .LBB28_594
	s_branch .LBB28_595
.LBB28_1069:
	ds_read_b64 v[27:28], v26 offset:10880
	ds_read_b64 v[29:30], v25 offset:10408
	s_waitcnt lgkmcnt(0)
	v_fma_f64 v[11:12], v[27:28], v[29:30], v[11:12]
	s_or_b64 exec, exec, s[16:17]
	v_cmp_gt_u32_e64 s[10:11], 8, v15
	s_and_saveexec_b64 s[16:17], s[10:11]
	s_cbranch_execz .LBB28_647
.LBB28_1070:
	ds_read_b64 v[26:27], v26 offset:11392
	ds_read_b64 v[28:29], v25 offset:10416
	s_waitcnt lgkmcnt(0)
	v_fma_f64 v[11:12], v[26:27], v[28:29], v[11:12]
	s_or_b64 exec, exec, s[16:17]
	v_cmp_gt_u32_e64 s[10:11], 4, v15
	s_and_saveexec_b64 s[16:17], s[10:11]
	s_cbranch_execnz .LBB28_648
	s_branch .LBB28_649
.LBB28_1071:
	ds_read_b64 v[27:28], v26 offset:13824
	ds_read_b64 v[29:30], v25 offset:8408
	s_waitcnt lgkmcnt(0)
	v_fma_f64 v[11:12], v[27:28], v[29:30], v[11:12]
	s_or_b64 exec, exec, s[16:17]
	s_and_saveexec_b64 s[10:11], s[14:15]
	s_cbranch_execz .LBB28_705
.LBB28_1072:
	ds_read_b64 v[27:28], v26 offset:14336
	ds_read_b64 v[29:30], v25 offset:8416
	s_waitcnt lgkmcnt(0)
	v_fma_f64 v[11:12], v[27:28], v[29:30], v[11:12]
	s_or_b64 exec, exec, s[10:11]
	v_cmp_gt_u32_e64 s[10:11], 48, v15
	s_and_saveexec_b64 s[16:17], s[10:11]
	s_cbranch_execz .LBB28_706
.LBB28_1073:
	ds_read_b64 v[27:28], v26 offset:14848
	ds_read_b64 v[29:30], v25 offset:8424
	s_waitcnt lgkmcnt(0)
	v_fma_f64 v[11:12], v[27:28], v[29:30], v[11:12]
	s_or_b64 exec, exec, s[16:17]
	v_cmp_gt_u32_e64 s[10:11], 32, v15
	s_and_saveexec_b64 s[16:17], s[10:11]
	s_cbranch_execz .LBB28_707
.LBB28_1074:
	ds_read_b64 v[26:27], v26 offset:15360
	ds_read_b64 v[28:29], v25 offset:8432
	s_waitcnt lgkmcnt(0)
	v_fma_f64 v[11:12], v[26:27], v[28:29], v[11:12]
	s_or_b64 exec, exec, s[16:17]
	v_cmp_gt_u32_e64 s[10:11], 16, v15
	s_and_saveexec_b64 s[16:17], s[10:11]
	s_cbranch_execnz .LBB28_708
	s_branch .LBB28_709
.LBB28_1075:
	ds_read_b64 v[24:25], v23 offset:6720
	ds_read_b64 v[26:27], v22 offset:6248
	s_waitcnt lgkmcnt(0)
	v_fma_f64 v[11:12], v[24:25], v[26:27], v[11:12]
	s_or_b64 exec, exec, s[12:13]
	v_cmp_gt_u32_e64 s[8:9], 8, v15
	s_and_saveexec_b64 s[12:13], s[8:9]
	s_cbranch_execz .LBB28_793
.LBB28_1076:
	ds_read_b64 v[23:24], v23 offset:7232
	ds_read_b64 v[25:26], v22 offset:6256
	s_waitcnt lgkmcnt(0)
	v_fma_f64 v[11:12], v[23:24], v[25:26], v[11:12]
	s_or_b64 exec, exec, s[12:13]
	v_cmp_gt_u32_e64 s[8:9], 4, v15
	s_and_saveexec_b64 s[12:13], s[8:9]
	s_cbranch_execnz .LBB28_794
	s_branch .LBB28_795
.LBB28_1077:
	ds_read_b64 v[24:25], v23 offset:4608
	ds_read_b64 v[26:27], v22 offset:4168
	s_waitcnt lgkmcnt(0)
	v_fma_f64 v[11:12], v[24:25], v[26:27], v[11:12]
	s_or_b64 exec, exec, s[12:13]
	v_cmp_gt_u32_e64 s[8:9], 48, v15
	s_and_saveexec_b64 s[12:13], s[8:9]
	s_cbranch_execz .LBB28_831
.LBB28_1078:
	ds_read_b64 v[24:25], v23 offset:5120
	ds_read_b64 v[26:27], v22 offset:4176
	s_waitcnt lgkmcnt(0)
	v_fma_f64 v[11:12], v[24:25], v[26:27], v[11:12]
	s_or_b64 exec, exec, s[12:13]
	v_cmp_gt_u32_e64 s[8:9], 40, v15
	s_and_saveexec_b64 s[12:13], s[8:9]
	s_cbranch_execz .LBB28_832
.LBB28_1079:
	ds_read_b64 v[24:25], v23 offset:5632
	ds_read_b64 v[26:27], v22 offset:4184
	s_waitcnt lgkmcnt(0)
	v_fma_f64 v[11:12], v[24:25], v[26:27], v[11:12]
	s_or_b64 exec, exec, s[12:13]
	v_cmp_gt_u32_e64 s[8:9], 32, v15
	s_and_saveexec_b64 s[12:13], s[8:9]
	s_cbranch_execz .LBB28_833
.LBB28_1080:
	ds_read_b64 v[24:25], v23 offset:6144
	ds_read_b64 v[26:27], v22 offset:4192
	s_waitcnt lgkmcnt(0)
	v_fma_f64 v[11:12], v[24:25], v[26:27], v[11:12]
	s_or_b64 exec, exec, s[12:13]
	v_cmp_gt_u32_e64 s[8:9], 24, v15
	s_and_saveexec_b64 s[12:13], s[8:9]
	s_cbranch_execz .LBB28_834
.LBB28_1081:
	ds_read_b64 v[24:25], v23 offset:6656
	ds_read_b64 v[26:27], v22 offset:4200
	s_waitcnt lgkmcnt(0)
	v_fma_f64 v[11:12], v[24:25], v[26:27], v[11:12]
	s_or_b64 exec, exec, s[12:13]
	s_and_saveexec_b64 s[8:9], s[2:3]
	s_cbranch_execz .LBB28_835
.LBB28_1082:
	ds_read_b64 v[23:24], v23 offset:7168
	ds_read_b64 v[25:26], v22 offset:4208
	s_waitcnt lgkmcnt(0)
	v_fma_f64 v[11:12], v[23:24], v[25:26], v[11:12]
	s_or_b64 exec, exec, s[8:9]
	v_cmp_gt_u32_e64 s[8:9], 8, v15
	s_and_saveexec_b64 s[12:13], s[8:9]
	s_cbranch_execnz .LBB28_836
	s_branch .LBB28_837
.LBB28_1083:
	ds_read_b64 v[21:22], v20 offset:2560
	ds_read_b64 v[23:24], v19 offset:2088
	s_waitcnt lgkmcnt(0)
	v_fma_f64 v[11:12], v[21:22], v[23:24], v[11:12]
	s_or_b64 exec, exec, s[12:13]
	v_cmp_gt_u32_e64 s[8:9], 8, v15
	s_and_saveexec_b64 s[12:13], s[8:9]
	s_cbranch_execz .LBB28_889
.LBB28_1084:
	ds_read_b64 v[20:21], v20 offset:3072
	ds_read_b64 v[22:23], v19 offset:2096
	s_waitcnt lgkmcnt(0)
	v_fma_f64 v[11:12], v[20:21], v[22:23], v[11:12]
	s_or_b64 exec, exec, s[12:13]
	v_cmp_gt_u32_e64 s[8:9], 4, v15
	s_and_saveexec_b64 s[12:13], s[8:9]
	s_cbranch_execnz .LBB28_890
	s_branch .LBB28_891
	.section	.rodata,"a",@progbits
	.p2align	6, 0x0
	.amdhsa_kernel _ZL19rocblas_trsv_deviceILi64ELi16ELb0ELb0ELb0ELb0EdPKdS1_PdEviT7_lllT6_T8_lllPii
		.amdhsa_group_segment_fixed_size 41480
		.amdhsa_private_segment_fixed_size 0
		.amdhsa_kernarg_size 352
		.amdhsa_user_sgpr_count 6
		.amdhsa_user_sgpr_private_segment_buffer 1
		.amdhsa_user_sgpr_dispatch_ptr 0
		.amdhsa_user_sgpr_queue_ptr 0
		.amdhsa_user_sgpr_kernarg_segment_ptr 1
		.amdhsa_user_sgpr_dispatch_id 0
		.amdhsa_user_sgpr_flat_scratch_init 0
		.amdhsa_user_sgpr_private_segment_size 0
		.amdhsa_uses_dynamic_stack 0
		.amdhsa_system_sgpr_private_segment_wavefront_offset 0
		.amdhsa_system_sgpr_workgroup_id_x 1
		.amdhsa_system_sgpr_workgroup_id_y 0
		.amdhsa_system_sgpr_workgroup_id_z 1
		.amdhsa_system_sgpr_workgroup_info 0
		.amdhsa_system_vgpr_workitem_id 1
		.amdhsa_next_free_vgpr 49
		.amdhsa_next_free_sgpr 98
		.amdhsa_reserve_vcc 1
		.amdhsa_reserve_flat_scratch 0
		.amdhsa_float_round_mode_32 0
		.amdhsa_float_round_mode_16_64 0
		.amdhsa_float_denorm_mode_32 3
		.amdhsa_float_denorm_mode_16_64 3
		.amdhsa_dx10_clamp 1
		.amdhsa_ieee_mode 1
		.amdhsa_fp16_overflow 0
		.amdhsa_exception_fp_ieee_invalid_op 0
		.amdhsa_exception_fp_denorm_src 0
		.amdhsa_exception_fp_ieee_div_zero 0
		.amdhsa_exception_fp_ieee_overflow 0
		.amdhsa_exception_fp_ieee_underflow 0
		.amdhsa_exception_fp_ieee_inexact 0
		.amdhsa_exception_int_div_zero 0
	.end_amdhsa_kernel
	.section	.text._ZL19rocblas_trsv_deviceILi64ELi16ELb0ELb0ELb0ELb0EdPKdS1_PdEviT7_lllT6_T8_lllPii,"axG",@progbits,_ZL19rocblas_trsv_deviceILi64ELi16ELb0ELb0ELb0ELb0EdPKdS1_PdEviT7_lllT6_T8_lllPii,comdat
.Lfunc_end28:
	.size	_ZL19rocblas_trsv_deviceILi64ELi16ELb0ELb0ELb0ELb0EdPKdS1_PdEviT7_lllT6_T8_lllPii, .Lfunc_end28-_ZL19rocblas_trsv_deviceILi64ELi16ELb0ELb0ELb0ELb0EdPKdS1_PdEviT7_lllT6_T8_lllPii
                                        ; -- End function
	.set _ZL19rocblas_trsv_deviceILi64ELi16ELb0ELb0ELb0ELb0EdPKdS1_PdEviT7_lllT6_T8_lllPii.num_vgpr, 37
	.set _ZL19rocblas_trsv_deviceILi64ELi16ELb0ELb0ELb0ELb0EdPKdS1_PdEviT7_lllT6_T8_lllPii.num_agpr, 0
	.set _ZL19rocblas_trsv_deviceILi64ELi16ELb0ELb0ELb0ELb0EdPKdS1_PdEviT7_lllT6_T8_lllPii.numbered_sgpr, 96
	.set _ZL19rocblas_trsv_deviceILi64ELi16ELb0ELb0ELb0ELb0EdPKdS1_PdEviT7_lllT6_T8_lllPii.num_named_barrier, 0
	.set _ZL19rocblas_trsv_deviceILi64ELi16ELb0ELb0ELb0ELb0EdPKdS1_PdEviT7_lllT6_T8_lllPii.private_seg_size, 0
	.set _ZL19rocblas_trsv_deviceILi64ELi16ELb0ELb0ELb0ELb0EdPKdS1_PdEviT7_lllT6_T8_lllPii.uses_vcc, 1
	.set _ZL19rocblas_trsv_deviceILi64ELi16ELb0ELb0ELb0ELb0EdPKdS1_PdEviT7_lllT6_T8_lllPii.uses_flat_scratch, 0
	.set _ZL19rocblas_trsv_deviceILi64ELi16ELb0ELb0ELb0ELb0EdPKdS1_PdEviT7_lllT6_T8_lllPii.has_dyn_sized_stack, 0
	.set _ZL19rocblas_trsv_deviceILi64ELi16ELb0ELb0ELb0ELb0EdPKdS1_PdEviT7_lllT6_T8_lllPii.has_recursion, 0
	.set _ZL19rocblas_trsv_deviceILi64ELi16ELb0ELb0ELb0ELb0EdPKdS1_PdEviT7_lllT6_T8_lllPii.has_indirect_call, 0
	.section	.AMDGPU.csdata,"",@progbits
; Kernel info:
; codeLenInByte = 34736
; TotalNumSgprs: 100
; NumVgprs: 37
; ScratchSize: 0
; MemoryBound: 0
; FloatMode: 240
; IeeeMode: 1
; LDSByteSize: 41480 bytes/workgroup (compile time only)
; SGPRBlocks: 12
; VGPRBlocks: 12
; NumSGPRsForWavesPerEU: 102
; NumVGPRsForWavesPerEU: 49
; Occupancy: 4
; WaveLimiterHint : 0
; COMPUTE_PGM_RSRC2:SCRATCH_EN: 0
; COMPUTE_PGM_RSRC2:USER_SGPR: 6
; COMPUTE_PGM_RSRC2:TRAP_HANDLER: 0
; COMPUTE_PGM_RSRC2:TGID_X_EN: 1
; COMPUTE_PGM_RSRC2:TGID_Y_EN: 0
; COMPUTE_PGM_RSRC2:TGID_Z_EN: 1
; COMPUTE_PGM_RSRC2:TIDIG_COMP_CNT: 1
	.section	.text._ZL19rocblas_trsv_deviceILi64ELi16ELb0ELb1ELb0ELb0EdPKdS1_PdEviT7_lllT6_T8_lllPii,"axG",@progbits,_ZL19rocblas_trsv_deviceILi64ELi16ELb0ELb1ELb0ELb0EdPKdS1_PdEviT7_lllT6_T8_lllPii,comdat
	.globl	_ZL19rocblas_trsv_deviceILi64ELi16ELb0ELb1ELb0ELb0EdPKdS1_PdEviT7_lllT6_T8_lllPii ; -- Begin function _ZL19rocblas_trsv_deviceILi64ELi16ELb0ELb1ELb0ELb0EdPKdS1_PdEviT7_lllT6_T8_lllPii
	.p2align	8
	.type	_ZL19rocblas_trsv_deviceILi64ELi16ELb0ELb1ELb0ELb0EdPKdS1_PdEviT7_lllT6_T8_lllPii,@function
_ZL19rocblas_trsv_deviceILi64ELi16ELb0ELb1ELb0ELb0EdPKdS1_PdEviT7_lllT6_T8_lllPii: ; @_ZL19rocblas_trsv_deviceILi64ELi16ELb0ELb1ELb0ELb0EdPKdS1_PdEviT7_lllT6_T8_lllPii
; %bb.0:
	s_mov_b32 s22, s7
	s_load_dwordx16 s[36:51], s[4:5], 0x8
	s_load_dword s7, s[4:5], 0x0
	v_mov_b32_e32 v2, v1
	s_mov_b32 s23, 0
	s_waitcnt lgkmcnt(0)
	s_load_dwordx2 s[26:27], s[44:45], 0x0
	s_load_dword s91, s[4:5], 0x6c
	s_mul_i32 s0, s43, s22
	s_mul_hi_u32 s1, s42, s22
	s_add_i32 s1, s1, s0
	s_mul_i32 s0, s42, s22
	s_lshl_b64 s[0:1], s[0:1], 3
	s_add_u32 s2, s36, s0
	s_addc_u32 s3, s37, s1
	s_lshl_b64 s[0:1], s[38:39], 3
	s_add_u32 s89, s2, s0
	s_addc_u32 s90, s3, s1
	s_cmp_eq_u32 s6, 0
	s_cbranch_scc1 .LBB29_10
; %bb.1:
	s_lshl_b32 s33, s6, 6
	v_add_u32_e32 v1, s33, v0
	v_ashrrev_i32_e32 v3, 31, v1
	v_mul_lo_u32 v5, s40, v3
	v_mul_lo_u32 v6, s41, v1
	v_mad_u64_u32 v[3:4], s[0:1], s40, v1, 0
	v_add_u32_e32 v7, s33, v2
	v_subrev_u32_e32 v11, 64, v7
	v_add3_u32 v4, v4, v5, v6
	v_lshlrev_b64 v[3:4], 3, v[3:4]
	v_ashrrev_i32_e32 v12, 31, v11
	v_cmp_gt_i32_e32 vcc, s7, v1
	v_mov_b32_e32 v1, s90
	v_add_co_u32_e64 v5, s[0:1], s89, v3
	v_addc_co_u32_e64 v1, s[0:1], v1, v4, s[0:1]
	v_lshlrev_b64 v[3:4], 3, v[11:12]
	s_waitcnt lgkmcnt(0)
	v_add_co_u32_e64 v12, s[0:1], v5, v3
	v_addc_co_u32_e64 v13, s[0:1], v1, v4, s[0:1]
	v_cmp_gt_i32_e64 s[0:1], s7, v11
	v_mov_b32_e32 v3, 0
	v_mov_b32_e32 v5, 0
	;; [unrolled: 1-line block ×4, first 2 shown]
	s_and_b64 s[2:3], s[0:1], vcc
	s_barrier
	s_and_saveexec_b64 s[0:1], s[2:3]
	s_cbranch_execz .LBB29_3
; %bb.2:
	global_load_dwordx2 v[5:6], v[12:13], off
.LBB29_3:
	s_or_b64 exec, exec, s[0:1]
	v_add_u32_e32 v1, 16, v11
	v_cmp_gt_i32_e64 s[0:1], s7, v1
	s_and_b64 s[2:3], s[0:1], vcc
	s_waitcnt vmcnt(0)
	s_barrier
	s_and_saveexec_b64 s[0:1], s[2:3]
	s_cbranch_execz .LBB29_5
; %bb.4:
	global_load_dwordx2 v[3:4], v[12:13], off offset:128
.LBB29_5:
	s_or_b64 exec, exec, s[0:1]
	v_add_u32_e32 v1, 32, v11
	v_cmp_gt_i32_e64 s[0:1], s7, v1
	v_mov_b32_e32 v7, 0
	v_mov_b32_e32 v9, 0
	v_mov_b32_e32 v8, 0
	v_mov_b32_e32 v10, 0
	s_and_b64 s[2:3], s[0:1], vcc
	s_waitcnt vmcnt(0)
	s_barrier
	s_and_saveexec_b64 s[0:1], s[2:3]
	s_cbranch_execz .LBB29_7
; %bb.6:
	global_load_dwordx2 v[9:10], v[12:13], off offset:256
.LBB29_7:
	s_or_b64 exec, exec, s[0:1]
	v_add_u32_e32 v1, 48, v11
	v_cmp_gt_i32_e64 s[0:1], s7, v1
	s_and_b64 s[2:3], s[0:1], vcc
	s_waitcnt vmcnt(0)
	s_barrier
	s_and_saveexec_b64 s[0:1], s[2:3]
	s_cbranch_execz .LBB29_9
; %bb.8:
	global_load_dwordx2 v[7:8], v[12:13], off offset:384
.LBB29_9:
	s_or_b64 exec, exec, s[0:1]
	s_branch .LBB29_11
.LBB29_10:
                                        ; implicit-def: $vgpr7_vgpr8
                                        ; implicit-def: $vgpr9_vgpr10
                                        ; implicit-def: $vgpr3_vgpr4
                                        ; implicit-def: $vgpr5_vgpr6
	s_mov_b32 s33, s23
.LBB29_11:
	s_ashr_i32 s0, s7, 31
	s_lshr_b32 s0, s0, 26
	s_add_i32 s0, s7, s0
	s_andn2_b32 s0, s0, 63
	s_sub_i32 s88, s7, s0
	s_add_i32 s0, s7, -1
	s_ashr_i32 s1, s0, 31
	s_lshr_b32 s1, s1, 26
	s_add_i32 s0, s0, s1
	s_ashr_i32 s0, s0, 6
	s_cmp_eq_u32 s0, s6
	s_cselect_b64 s[0:1], -1, 0
	s_cmp_lg_u32 s88, 0
	s_cselect_b64 s[2:3], -1, 0
	s_and_b64 s[24:25], s[2:3], s[0:1]
	s_cmp_lt_i32 s6, 5
	s_cselect_b64 s[2:3], -1, 0
	s_or_b64 s[0:1], s[2:3], s[24:25]
	s_ashr_i32 s38, s33, 31
	s_add_u32 s10, s40, 1
	v_mov_b32_e32 v1, 0
	v_mov_b32_e32 v11, s33
	v_mad_u64_u32 v[11:12], s[8:9], s10, v11, v[0:1]
	s_addc_u32 s11, s41, 0
	s_mul_i32 s8, s10, s38
	s_mul_i32 s11, s11, s33
	s_add_i32 s8, s8, s11
	s_mov_b64 s[12:13], -1
	v_lshlrev_b32_e32 v17, 6, v0
	v_add_u32_e32 v12, s8, v12
	s_and_b64 vcc, exec, s[24:25]
	v_cmp_le_u32_e64 s[8:9], v2, v0
	s_cbranch_vccnz .LBB29_33
; %bb.12:
	v_mad_u64_u32 v[15:16], s[10:11], s40, v2, v[11:12]
	v_mov_b32_e32 v1, v16
	v_mad_u64_u32 v[13:14], s[10:11], s41, v2, v[1:2]
	s_mov_b64 s[10:11], 0
	v_mov_b32_e32 v16, v13
                                        ; implicit-def: $vgpr13_vgpr14
	s_and_saveexec_b64 s[12:13], s[8:9]
	s_xor_b64 s[8:9], exec, s[12:13]
	s_cbranch_execnz .LBB29_1051
; %bb.13:
	s_andn2_saveexec_b64 s[8:9], s[8:9]
	s_cbranch_execnz .LBB29_1056
.LBB29_14:
	s_or_b64 exec, exec, s[8:9]
	s_and_saveexec_b64 s[8:9], s[10:11]
.LBB29_15:
	v_add_u32_e32 v1, v2, v17
	v_lshl_add_u32 v15, v2, 6, v0
	v_cndmask_b32_e64 v1, v15, v1, s[2:3]
	v_lshlrev_b32_e32 v1, 3, v1
	ds_write_b64 v1, v[13:14]
.LBB29_16:
	s_or_b64 exec, exec, s[8:9]
	v_add_u32_e32 v1, 16, v2
	v_mad_u64_u32 v[15:16], s[2:3], s40, v1, v[11:12]
	v_cmp_le_u32_e32 vcc, v1, v0
	s_mov_b64 s[8:9], 0
	v_mov_b32_e32 v13, v16
	v_mad_u64_u32 v[13:14], s[2:3], s41, v1, v[13:14]
	v_mov_b32_e32 v16, v13
                                        ; implicit-def: $vgpr13_vgpr14
	s_and_saveexec_b64 s[2:3], vcc
	s_xor_b64 s[2:3], exec, s[2:3]
	s_cbranch_execnz .LBB29_1057
; %bb.17:
	s_andn2_saveexec_b64 s[2:3], s[2:3]
	s_cbranch_execnz .LBB29_1062
.LBB29_18:
	s_or_b64 exec, exec, s[2:3]
	s_and_saveexec_b64 s[2:3], s[8:9]
.LBB29_19:
	v_add_u32_e32 v15, v1, v17
	v_lshl_add_u32 v1, v1, 6, v0
	v_cndmask_b32_e64 v1, v1, v15, s[0:1]
	v_lshlrev_b32_e32 v1, 3, v1
	ds_write_b64 v1, v[13:14]
.LBB29_20:
	s_or_b64 exec, exec, s[2:3]
	v_add_u32_e32 v1, 32, v2
	v_mad_u64_u32 v[15:16], s[2:3], s40, v1, v[11:12]
	v_cmp_le_u32_e32 vcc, v1, v0
	s_mov_b64 s[8:9], 0
	v_mov_b32_e32 v13, v16
	v_mad_u64_u32 v[13:14], s[2:3], s41, v1, v[13:14]
	v_mov_b32_e32 v16, v13
                                        ; implicit-def: $vgpr13_vgpr14
	s_and_saveexec_b64 s[2:3], vcc
	s_xor_b64 s[2:3], exec, s[2:3]
	s_cbranch_execnz .LBB29_1063
; %bb.21:
	s_andn2_saveexec_b64 s[2:3], s[2:3]
	s_cbranch_execnz .LBB29_1068
.LBB29_22:
	s_or_b64 exec, exec, s[2:3]
	s_and_saveexec_b64 s[2:3], s[8:9]
.LBB29_23:
	v_add_u32_e32 v15, v1, v17
	v_lshl_add_u32 v1, v1, 6, v0
	v_cndmask_b32_e64 v1, v1, v15, s[0:1]
	v_lshlrev_b32_e32 v1, 3, v1
	ds_write_b64 v1, v[13:14]
.LBB29_24:
	s_or_b64 exec, exec, s[2:3]
	v_add_u32_e32 v1, 48, v2
	v_mad_u64_u32 v[15:16], s[2:3], s40, v1, v[11:12]
	v_cmp_le_u32_e32 vcc, v1, v0
	s_mov_b64 s[10:11], 0
	v_mov_b32_e32 v13, v16
	v_mad_u64_u32 v[13:14], s[2:3], s41, v1, v[13:14]
	v_mov_b32_e32 v16, v13
                                        ; implicit-def: $vgpr13_vgpr14
	s_and_saveexec_b64 s[2:3], vcc
	s_xor_b64 s[2:3], exec, s[2:3]
	s_cbranch_execz .LBB29_30
; %bb.25:
	v_cmp_ne_u32_e32 vcc, v0, v1
	s_mov_b64 s[8:9], 0
	s_and_saveexec_b64 s[10:11], vcc
	s_xor_b64 s[10:11], exec, s[10:11]
; %bb.26:
	v_or_b32_e32 v13, v1, v0
	v_cmp_gt_u32_e32 vcc, 64, v13
	s_and_b64 s[8:9], vcc, exec
                                        ; implicit-def: $vgpr15_vgpr16
; %bb.27:
	s_or_saveexec_b64 s[10:11], s[10:11]
	v_mov_b32_e32 v13, 0
	v_mov_b32_e32 v14, 0
	s_xor_b64 exec, exec, s[10:11]
	s_cbranch_execz .LBB29_29
; %bb.28:
	v_lshlrev_b64 v[13:14], 3, v[15:16]
	v_mov_b32_e32 v15, s90
	v_add_co_u32_e32 v13, vcc, s89, v13
	v_addc_co_u32_e32 v14, vcc, v15, v14, vcc
	global_load_dwordx2 v[13:14], v[13:14], off
	s_or_b64 s[8:9], s[8:9], exec
	s_waitcnt vmcnt(0)
	v_div_scale_f64 v[15:16], s[12:13], v[13:14], v[13:14], 1.0
	v_div_scale_f64 v[22:23], vcc, 1.0, v[13:14], 1.0
	v_rcp_f64_e32 v[18:19], v[15:16]
	v_fma_f64 v[20:21], -v[15:16], v[18:19], 1.0
	v_fma_f64 v[18:19], v[18:19], v[20:21], v[18:19]
	v_fma_f64 v[20:21], -v[15:16], v[18:19], 1.0
	v_fma_f64 v[18:19], v[18:19], v[20:21], v[18:19]
	v_mul_f64 v[20:21], v[22:23], v[18:19]
	v_fma_f64 v[15:16], -v[15:16], v[20:21], v[22:23]
	v_div_fmas_f64 v[15:16], v[15:16], v[18:19], v[20:21]
	v_div_fixup_f64 v[13:14], v[15:16], v[13:14], 1.0
.LBB29_29:
	s_or_b64 exec, exec, s[10:11]
	s_and_b64 s[10:11], s[8:9], exec
                                        ; implicit-def: $vgpr15_vgpr16
.LBB29_30:
	s_or_saveexec_b64 s[2:3], s[2:3]
	v_add_u32_e32 v18, v1, v17
	v_lshl_add_u32 v1, v1, 6, v0
	s_xor_b64 exec, exec, s[2:3]
	s_cbranch_execz .LBB29_32
; %bb.31:
	v_lshlrev_b64 v[13:14], 3, v[15:16]
	v_mov_b32_e32 v15, s90
	v_add_co_u32_e32 v13, vcc, s89, v13
	v_addc_co_u32_e32 v14, vcc, v15, v14, vcc
	global_load_dwordx2 v[13:14], v[13:14], off
	s_or_b64 s[10:11], s[10:11], exec
	s_waitcnt vmcnt(0)
	v_xor_b32_e32 v14, 0x80000000, v14
.LBB29_32:
	s_or_b64 exec, exec, s[2:3]
	v_cndmask_b32_e64 v1, v1, v18, s[0:1]
	s_branch .LBB29_55
.LBB29_33:
	s_mov_b64 s[10:11], 0
                                        ; implicit-def: $vgpr13_vgpr14
                                        ; implicit-def: $vgpr1
	s_and_b64 vcc, exec, s[12:13]
	s_cbranch_vccz .LBB29_55
; %bb.34:
	v_mad_u64_u32 v[13:14], s[2:3], s40, v2, v[11:12]
	v_cmp_le_u32_e32 vcc, v2, v0
	v_cmp_gt_i32_e64 s[2:3], s88, v0
	v_mov_b32_e32 v1, v14
	v_mad_u64_u32 v[14:15], s[8:9], s41, v2, v[1:2]
	v_max_i32_e32 v1, v2, v0
	v_cmp_le_i32_e64 s[8:9], s88, v1
	s_or_b64 s[8:9], s[8:9], vcc
	s_mov_b64 s[12:13], 0
                                        ; implicit-def: $vgpr15_vgpr16
	s_and_saveexec_b64 s[14:15], s[8:9]
	s_xor_b64 s[8:9], exec, s[14:15]
	s_cbranch_execnz .LBB29_1069
; %bb.35:
	s_andn2_saveexec_b64 s[8:9], s[8:9]
	s_cbranch_execnz .LBB29_1074
.LBB29_36:
	s_or_b64 exec, exec, s[8:9]
	s_and_saveexec_b64 s[8:9], s[12:13]
.LBB29_37:
	v_lshlrev_b32_e32 v1, 3, v17
	v_lshl_add_u32 v1, v2, 3, v1
	ds_write_b64 v1, v[15:16]
.LBB29_38:
	s_or_b64 exec, exec, s[8:9]
	v_add_u32_e32 v1, 16, v2
	v_mad_u64_u32 v[13:14], s[8:9], s40, v1, v[11:12]
	v_cmp_gt_u32_e32 vcc, v1, v0
	s_mov_b64 s[12:13], 0
	v_mad_u64_u32 v[14:15], s[8:9], s41, v1, v[14:15]
	v_cmp_gt_i32_e64 s[8:9], s88, v1
	s_and_b64 s[8:9], vcc, s[8:9]
	s_and_b64 s[8:9], s[2:3], s[8:9]
	s_xor_b64 s[8:9], s[8:9], -1
                                        ; implicit-def: $vgpr15_vgpr16
	s_and_saveexec_b64 s[14:15], s[8:9]
	s_xor_b64 s[8:9], exec, s[14:15]
	s_cbranch_execnz .LBB29_1075
; %bb.39:
	s_andn2_saveexec_b64 s[8:9], s[8:9]
	s_cbranch_execnz .LBB29_1080
.LBB29_40:
	s_or_b64 exec, exec, s[8:9]
	s_and_saveexec_b64 s[8:9], s[12:13]
.LBB29_41:
	v_add_u32_e32 v13, v1, v17
	v_lshl_add_u32 v1, v1, 6, v0
	v_cndmask_b32_e64 v1, v1, v13, s[0:1]
	v_lshlrev_b32_e32 v1, 3, v1
	ds_write_b64 v1, v[15:16]
.LBB29_42:
	s_or_b64 exec, exec, s[8:9]
	v_add_u32_e32 v1, 32, v2
	v_mad_u64_u32 v[13:14], s[8:9], s40, v1, v[11:12]
	v_cmp_gt_u32_e32 vcc, v1, v0
	s_mov_b64 s[12:13], 0
	v_mad_u64_u32 v[14:15], s[8:9], s41, v1, v[14:15]
	v_cmp_gt_i32_e64 s[8:9], s88, v1
	s_and_b64 s[8:9], vcc, s[8:9]
	s_and_b64 s[8:9], s[2:3], s[8:9]
	s_xor_b64 s[8:9], s[8:9], -1
                                        ; implicit-def: $vgpr15_vgpr16
	s_and_saveexec_b64 s[14:15], s[8:9]
	s_xor_b64 s[8:9], exec, s[14:15]
	s_cbranch_execnz .LBB29_1081
; %bb.43:
	s_andn2_saveexec_b64 s[8:9], s[8:9]
	s_cbranch_execnz .LBB29_1086
.LBB29_44:
	s_or_b64 exec, exec, s[8:9]
	s_and_saveexec_b64 s[8:9], s[12:13]
.LBB29_45:
	v_add_u32_e32 v13, v1, v17
	v_lshl_add_u32 v1, v1, 6, v0
	v_cndmask_b32_e64 v1, v1, v13, s[0:1]
	v_lshlrev_b32_e32 v1, 3, v1
	ds_write_b64 v1, v[15:16]
.LBB29_46:
	s_or_b64 exec, exec, s[8:9]
	v_add_u32_e32 v1, 48, v2
	v_mad_u64_u32 v[11:12], s[8:9], s40, v1, v[11:12]
	v_cmp_gt_u32_e32 vcc, v1, v0
	v_mad_u64_u32 v[12:13], s[8:9], s41, v1, v[12:13]
	v_cmp_gt_i32_e64 s[8:9], s88, v1
	s_and_b64 s[8:9], vcc, s[8:9]
	s_and_b64 s[8:9], s[2:3], s[8:9]
	s_xor_b64 s[8:9], s[8:9], -1
                                        ; implicit-def: $vgpr13_vgpr14
	s_and_saveexec_b64 s[12:13], s[8:9]
	s_xor_b64 s[8:9], exec, s[12:13]
	s_cbranch_execz .LBB29_52
; %bb.47:
	v_cmp_ne_u32_e32 vcc, v0, v1
	s_xor_b64 s[2:3], s[2:3], -1
	s_or_b64 s[12:13], s[2:3], vcc
	s_mov_b64 s[2:3], s[10:11]
	s_and_saveexec_b64 s[14:15], s[12:13]
	s_xor_b64 s[12:13], exec, s[14:15]
; %bb.48:
	v_or_b32_e32 v11, v1, v0
	v_cmp_gt_u32_e32 vcc, 64, v11
	s_andn2_b64 s[2:3], s[10:11], exec
	s_and_b64 s[14:15], vcc, exec
	s_or_b64 s[2:3], s[2:3], s[14:15]
                                        ; implicit-def: $vgpr11_vgpr12
; %bb.49:
	s_or_saveexec_b64 s[12:13], s[12:13]
	v_mov_b32_e32 v13, 0
	v_mov_b32_e32 v14, 0
	s_xor_b64 exec, exec, s[12:13]
	s_cbranch_execz .LBB29_51
; %bb.50:
	v_lshlrev_b64 v[11:12], 3, v[11:12]
	v_mov_b32_e32 v13, s90
	v_add_co_u32_e32 v11, vcc, s89, v11
	v_addc_co_u32_e32 v12, vcc, v13, v12, vcc
	global_load_dwordx2 v[11:12], v[11:12], off
	s_or_b64 s[2:3], s[2:3], exec
	s_waitcnt vmcnt(0)
	v_div_scale_f64 v[13:14], s[14:15], v[11:12], v[11:12], 1.0
	v_div_scale_f64 v[20:21], vcc, 1.0, v[11:12], 1.0
	v_rcp_f64_e32 v[15:16], v[13:14]
	v_fma_f64 v[18:19], -v[13:14], v[15:16], 1.0
	v_fma_f64 v[15:16], v[15:16], v[18:19], v[15:16]
	v_fma_f64 v[18:19], -v[13:14], v[15:16], 1.0
	v_fma_f64 v[15:16], v[15:16], v[18:19], v[15:16]
	v_mul_f64 v[18:19], v[20:21], v[15:16]
	v_fma_f64 v[13:14], -v[13:14], v[18:19], v[20:21]
	v_div_fmas_f64 v[13:14], v[13:14], v[15:16], v[18:19]
	v_div_fixup_f64 v[13:14], v[13:14], v[11:12], 1.0
.LBB29_51:
	s_or_b64 exec, exec, s[12:13]
	s_andn2_b64 s[10:11], s[10:11], exec
	s_and_b64 s[2:3], s[2:3], exec
	s_or_b64 s[10:11], s[10:11], s[2:3]
                                        ; implicit-def: $vgpr11_vgpr12
.LBB29_52:
	s_or_saveexec_b64 s[2:3], s[8:9]
	v_add_u32_e32 v15, v1, v17
	v_lshl_add_u32 v1, v1, 6, v0
	s_xor_b64 exec, exec, s[2:3]
	s_cbranch_execz .LBB29_54
; %bb.53:
	v_lshlrev_b64 v[11:12], 3, v[11:12]
	v_mov_b32_e32 v13, s90
	v_add_co_u32_e32 v11, vcc, s89, v11
	v_addc_co_u32_e32 v12, vcc, v13, v12, vcc
	global_load_dwordx2 v[13:14], v[11:12], off
	s_or_b64 s[10:11], s[10:11], exec
	s_waitcnt vmcnt(0)
	v_xor_b32_e32 v14, 0x80000000, v14
.LBB29_54:
	s_or_b64 exec, exec, s[2:3]
	v_cndmask_b32_e64 v1, v1, v15, s[0:1]
.LBB29_55:
	s_xor_b64 s[0:1], s[0:1], -1
	s_and_saveexec_b64 s[2:3], s[10:11]
; %bb.56:
	v_lshlrev_b32_e32 v1, 3, v1
	ds_write_b64 v1, v[13:14]
; %bb.57:
	s_or_b64 exec, exec, s[2:3]
	v_cndmask_b32_e64 v1, 0, 1, s[0:1]
	v_cmp_ne_u32_e64 s[58:59], 1, v1
	s_andn2_b64 vcc, exec, s[0:1]
	s_waitcnt vmcnt(0) lgkmcnt(0)
	s_barrier
	s_cbranch_vccnz .LBB29_987
; %bb.58:
	v_or_b32_e32 v1, v0, v2
	v_cmp_eq_u32_e32 vcc, 0, v1
	s_and_saveexec_b64 s[0:1], vcc
	s_cbranch_execz .LBB29_60
; %bb.59:
	v_mov_b32_e32 v1, 0
	ds_read_b128 v[11:14], v1 offset:32752
	ds_read_b64 v[15:16], v1 offset:32240
	s_movk_i32 s2, 0x7800
	v_add_u32_e64 v1, s2, 0
	s_waitcnt lgkmcnt(0)
	v_mul_f64 v[13:14], v[15:16], v[13:14]
	v_mul_f64 v[11:12], v[11:12], v[13:14]
	ds_write2_b64 v1, v[11:12], v[11:12] offset0:191 offset1:254
.LBB29_60:
	s_or_b64 exec, exec, s[0:1]
	v_lshlrev_b32_e32 v11, 6, v2
	v_add_u32_e32 v15, v11, v0
	v_and_b32_e32 v12, v11, v0
	v_xor_b32_e32 v11, v11, v0
	v_lshrrev_b16_e32 v11, 1, v11
	v_add_u16_e32 v14, v12, v11
	v_mov_b32_e32 v11, 0
	v_and_b32_e32 v1, 1, v0
	v_sub_u32_e32 v13, 1, v14
	v_cmp_lt_u32_e64 s[8:9], 3, v15
	v_mov_b32_e32 v12, 0
	v_cmp_gt_u32_e64 s[2:3], 4, v15
	s_waitcnt lgkmcnt(0)
	s_barrier
	buffer_wbinvl1_vol
	s_and_saveexec_b64 s[0:1], s[2:3]
	s_cbranch_execz .LBB29_64
; %bb.61:
	v_lshlrev_b32_e32 v16, 9, v13
	v_lshlrev_b32_e32 v11, 3, v1
	ds_read_b64 v[11:12], v11 offset:32224
	ds_read_b64 v[16:17], v16 offset:32240
	v_cmp_gt_u32_e64 s[10:11], 2, v15
	s_waitcnt lgkmcnt(0)
	v_fma_f64 v[11:12], v[11:12], v[16:17], 0
	s_and_saveexec_b64 s[12:13], s[10:11]
	s_cbranch_execz .LBB29_63
; %bb.62:
	v_lshlrev_b32_e32 v16, 3, v0
	v_mov_b32_e32 v18, 0
	ds_read_b64 v[16:17], v16 offset:32736
	ds_read_b64 v[18:19], v18 offset:32760
	s_waitcnt lgkmcnt(0)
	v_fma_f64 v[11:12], v[16:17], v[18:19], v[11:12]
.LBB29_63:
	s_or_b64 exec, exec, s[12:13]
.LBB29_64:
	s_or_b64 exec, exec, s[0:1]
	v_mov_b32_e32 v16, 0x8000
	v_cmp_ne_u32_e64 s[10:11], 0, v1
	s_xor_b64 s[0:1], s[8:9], -1
	v_lshl_add_u32 v14, v14, 3, v16
	s_and_b64 s[30:31], s[10:11], s[0:1]
	s_and_saveexec_b64 s[8:9], s[30:31]
	s_cbranch_execz .LBB29_66
; %bb.65:
	v_mov_b32_e32 v16, 0
	ds_read_b64 v[16:17], v16 offset:31720
	s_waitcnt lgkmcnt(0)
	v_mul_f64 v[11:12], v[11:12], v[16:17]
	v_xor_b32_e32 v17, 0x80000000, v12
	v_mov_b32_e32 v16, v11
	ds_write_b64 v14, v[16:17]
.LBB29_66:
	s_or_b64 exec, exec, s[8:9]
	v_cmp_eq_u32_e64 s[8:9], 0, v1
	s_and_b64 s[28:29], s[8:9], s[0:1]
	s_waitcnt lgkmcnt(0)
	s_barrier
	s_and_saveexec_b64 s[0:1], s[28:29]
	s_cbranch_execz .LBB29_68
; %bb.67:
	v_mov_b32_e32 v16, 0
	ds_read_b64 v[16:17], v16 offset:31712
	ds_read_b64 v[18:19], v14
	s_waitcnt lgkmcnt(0)
	v_fma_f64 v[11:12], -v[16:17], v[18:19], v[11:12]
.LBB29_68:
	s_or_b64 exec, exec, s[0:1]
	s_barrier
	s_and_saveexec_b64 s[0:1], s[28:29]
	s_cbranch_execz .LBB29_70
; %bb.69:
	v_mov_b32_e32 v16, 0
	ds_read_b64 v[16:17], v16 offset:31200
	s_waitcnt lgkmcnt(0)
	v_mul_f64 v[11:12], v[11:12], v[16:17]
	v_xor_b32_e32 v17, 0x80000000, v12
	v_mov_b32_e32 v16, v11
	ds_write_b64 v14, v[16:17]
.LBB29_70:
	s_or_b64 exec, exec, s[0:1]
	s_waitcnt lgkmcnt(0)
	s_barrier
	s_barrier
	s_and_saveexec_b64 s[0:1], s[2:3]
; %bb.71:
	v_lshlrev_b32_e32 v16, 3, v1
	v_lshl_or_b32 v16, v13, 9, v16
	ds_write_b64 v16, v[11:12] offset:32224
; %bb.72:
	s_or_b64 exec, exec, s[0:1]
	v_cmp_eq_u32_e64 s[12:13], 0, v2
	v_cmp_gt_u32_e64 s[8:9], 2, v0
	s_and_b64 s[34:35], s[12:13], s[8:9]
	s_waitcnt lgkmcnt(0)
	s_barrier
	s_barrier
	s_and_saveexec_b64 s[0:1], s[34:35]
	s_cbranch_execz .LBB29_74
; %bb.73:
	v_lshlrev_b32_e32 v16, 3, v0
	s_movk_i32 s8, 0x1f8
	v_mad_u32_u24 v17, v0, s8, v16
	ds_read_b64 v[11:12], v17 offset:32224
	s_waitcnt lgkmcnt(0)
	ds_write_b64 v16, v[11:12] offset:31216
	ds_read_b64 v[11:12], v17 offset:32232
	s_waitcnt lgkmcnt(0)
	ds_write_b64 v16, v[11:12] offset:31728
.LBB29_74:
	s_or_b64 exec, exec, s[0:1]
	s_waitcnt lgkmcnt(0)
	s_barrier
	s_and_saveexec_b64 s[0:1], vcc
	s_cbranch_execz .LBB29_76
; %bb.75:
	v_mov_b32_e32 v11, 0
	ds_read_b128 v[16:19], v11 offset:31712
	ds_read_b64 v[11:12], v11 offset:31200
	s_movk_i32 s8, 0x7800
	s_waitcnt lgkmcnt(0)
	v_mul_f64 v[11:12], v[11:12], v[18:19]
	v_mul_f64 v[11:12], v[16:17], v[11:12]
	v_add_u32_e64 v16, s8, 0
	ds_write2_b64 v16, v[11:12], v[11:12] offset0:61 offset1:124
.LBB29_76:
	s_or_b64 exec, exec, s[0:1]
	v_lshrrev_b32_e32 v18, 2, v15
	v_mov_b32_e32 v11, 0
	v_and_b32_e32 v16, 3, v0
	v_sub_u32_e32 v17, 3, v18
	v_cmp_lt_u32_e64 s[8:9], 15, v15
	v_mov_b32_e32 v12, 0
	v_cmp_gt_u32_e64 s[18:19], 16, v15
	s_waitcnt lgkmcnt(0)
	s_barrier
	buffer_wbinvl1_vol
	s_and_saveexec_b64 s[0:1], s[18:19]
	s_cbranch_execz .LBB29_82
; %bb.77:
	v_lshlrev_b32_e32 v20, 3, v16
	v_lshlrev_b32_e32 v19, 9, v17
	ds_read_b64 v[11:12], v20 offset:31168
	ds_read_b64 v[21:22], v19 offset:31200
	v_cmp_gt_u32_e64 s[10:11], 12, v15
	s_waitcnt lgkmcnt(0)
	v_fma_f64 v[11:12], v[11:12], v[21:22], 0
	s_and_saveexec_b64 s[14:15], s[10:11]
	s_cbranch_execnz .LBB29_1098
; %bb.78:
	s_or_b64 exec, exec, s[14:15]
	v_cmp_gt_u32_e64 s[10:11], 8, v15
	s_and_saveexec_b64 s[14:15], s[10:11]
	s_cbranch_execnz .LBB29_1099
.LBB29_79:
	s_or_b64 exec, exec, s[14:15]
	v_cmp_gt_u32_e64 s[10:11], 4, v15
	s_and_saveexec_b64 s[14:15], s[10:11]
	s_cbranch_execz .LBB29_81
.LBB29_80:
	v_lshlrev_b32_e32 v19, 3, v0
	v_mov_b32_e32 v21, 0
	ds_read_b64 v[19:20], v19 offset:32704
	ds_read_b64 v[21:22], v21 offset:32760
	s_waitcnt lgkmcnt(0)
	v_fma_f64 v[11:12], v[19:20], v[21:22], v[11:12]
.LBB29_81:
	s_or_b64 exec, exec, s[14:15]
.LBB29_82:
                                        ; implicit-def: $vgpr36 : SGPR spill to VGPR lane
	v_writelane_b32 v36, s38, 0
	s_or_b64 exec, exec, s[0:1]
	v_mov_b32_e32 v19, 0x8000
	v_cmp_eq_u32_e64 s[10:11], 3, v16
	s_xor_b64 s[0:1], s[8:9], -1
	v_lshl_add_u32 v18, v18, 3, v19
	s_and_b64 s[38:39], s[10:11], s[0:1]
	s_and_saveexec_b64 s[8:9], s[38:39]
	s_cbranch_execz .LBB29_84
; %bb.83:
	v_mov_b32_e32 v19, 0
	ds_read_b64 v[19:20], v19 offset:30680
	s_waitcnt lgkmcnt(0)
	v_mul_f64 v[11:12], v[11:12], v[19:20]
	v_xor_b32_e32 v20, 0x80000000, v12
	v_mov_b32_e32 v19, v11
	ds_write_b64 v18, v[19:20]
.LBB29_84:
	s_or_b64 exec, exec, s[8:9]
	v_cmp_ne_u32_e64 s[8:9], 3, v16
	s_and_b64 s[42:43], s[8:9], s[0:1]
	s_waitcnt lgkmcnt(0)
	s_barrier
	s_and_saveexec_b64 s[8:9], s[42:43]
	s_cbranch_execz .LBB29_86
; %bb.85:
	v_lshlrev_b32_e32 v19, 3, v16
	ds_read_b64 v[19:20], v19 offset:30656
	ds_read_b64 v[21:22], v18
	s_waitcnt lgkmcnt(0)
	v_fma_f64 v[11:12], -v[19:20], v[21:22], v[11:12]
.LBB29_86:
	s_or_b64 exec, exec, s[8:9]
	v_cmp_eq_u32_e64 s[8:9], 2, v16
	s_and_b64 s[44:45], s[8:9], s[0:1]
	s_barrier
	s_and_saveexec_b64 s[8:9], s[44:45]
	s_cbranch_execz .LBB29_88
; %bb.87:
	v_mov_b32_e32 v19, 0
	ds_read_b64 v[19:20], v19 offset:30160
	s_waitcnt lgkmcnt(0)
	v_mul_f64 v[11:12], v[11:12], v[19:20]
	v_xor_b32_e32 v20, 0x80000000, v12
	v_mov_b32_e32 v19, v11
	ds_write_b64 v18, v[19:20]
.LBB29_88:
	s_or_b64 exec, exec, s[8:9]
	v_cmp_gt_u32_e64 s[8:9], 2, v16
	s_and_b64 s[52:53], s[8:9], s[0:1]
	s_waitcnt lgkmcnt(0)
	s_barrier
	s_and_saveexec_b64 s[8:9], s[52:53]
	s_cbranch_execz .LBB29_90
; %bb.89:
	v_lshlrev_b32_e32 v19, 3, v16
	ds_read_b64 v[19:20], v19 offset:30144
	ds_read_b64 v[21:22], v18
	s_waitcnt lgkmcnt(0)
	v_fma_f64 v[11:12], -v[19:20], v[21:22], v[11:12]
.LBB29_90:
	s_or_b64 exec, exec, s[8:9]
	v_cmp_eq_u32_e64 s[8:9], 1, v16
	s_and_b64 s[54:55], s[8:9], s[0:1]
	s_barrier
	s_and_saveexec_b64 s[8:9], s[54:55]
	s_cbranch_execz .LBB29_92
; %bb.91:
	v_mov_b32_e32 v19, 0
	ds_read_b64 v[19:20], v19 offset:29640
	s_waitcnt lgkmcnt(0)
	v_mul_f64 v[11:12], v[11:12], v[19:20]
	v_xor_b32_e32 v20, 0x80000000, v12
	v_mov_b32_e32 v19, v11
	ds_write_b64 v18, v[19:20]
.LBB29_92:
	s_or_b64 exec, exec, s[8:9]
	v_cmp_eq_u32_e64 s[8:9], 0, v16
	s_and_b64 s[36:37], s[8:9], s[0:1]
	s_waitcnt lgkmcnt(0)
	s_barrier
	s_and_saveexec_b64 s[0:1], s[36:37]
	s_cbranch_execz .LBB29_94
; %bb.93:
	v_mov_b32_e32 v19, 0
	ds_read_b64 v[19:20], v19 offset:29632
	ds_read_b64 v[21:22], v18
	s_waitcnt lgkmcnt(0)
	v_fma_f64 v[11:12], -v[19:20], v[21:22], v[11:12]
.LBB29_94:
	s_or_b64 exec, exec, s[0:1]
	s_barrier
	s_and_saveexec_b64 s[0:1], s[36:37]
	s_cbranch_execz .LBB29_96
; %bb.95:
	v_mov_b32_e32 v19, 0
	ds_read_b64 v[19:20], v19 offset:29120
	s_waitcnt lgkmcnt(0)
	v_mul_f64 v[11:12], v[11:12], v[19:20]
	v_xor_b32_e32 v20, 0x80000000, v12
	v_mov_b32_e32 v19, v11
	ds_write_b64 v18, v[19:20]
.LBB29_96:
	s_or_b64 exec, exec, s[0:1]
	s_waitcnt lgkmcnt(0)
	s_barrier
	s_barrier
	s_and_saveexec_b64 s[0:1], s[18:19]
; %bb.97:
	v_lshlrev_b32_e32 v19, 3, v16
	v_lshl_or_b32 v19, v17, 9, v19
	ds_write_b64 v19, v[11:12] offset:31168
; %bb.98:
	s_or_b64 exec, exec, s[0:1]
	v_cmp_gt_u32_e64 s[8:9], 4, v0
	s_and_b64 s[56:57], s[12:13], s[8:9]
	s_waitcnt lgkmcnt(0)
	s_barrier
	s_barrier
	s_and_saveexec_b64 s[0:1], s[56:57]
	s_cbranch_execz .LBB29_100
; %bb.99:
	v_lshlrev_b32_e32 v19, 9, v0
	ds_read_b64 v[11:12], v19 offset:31168
	s_movk_i32 s8, 0xfe08
	v_mad_i32_i24 v20, v0, s8, v19
	s_waitcnt lgkmcnt(0)
	ds_write_b64 v20, v[11:12] offset:29152
	ds_read_b64 v[11:12], v19 offset:31176
	s_waitcnt lgkmcnt(0)
	ds_write_b64 v20, v[11:12] offset:29664
	ds_read_b64 v[11:12], v19 offset:31184
	;; [unrolled: 3-line block ×3, first 2 shown]
	s_waitcnt lgkmcnt(0)
	ds_write_b64 v20, v[11:12] offset:30688
.LBB29_100:
	s_or_b64 exec, exec, s[0:1]
	s_waitcnt lgkmcnt(0)
	s_barrier
	s_and_saveexec_b64 s[0:1], vcc
	s_cbranch_execz .LBB29_102
; %bb.101:
	v_mov_b32_e32 v11, 0
	ds_read_b128 v[19:22], v11 offset:30672
	ds_read_b64 v[11:12], v11 offset:30160
	s_movk_i32 s8, 0x7000
	s_waitcnt lgkmcnt(0)
	v_mul_f64 v[11:12], v[11:12], v[21:22]
	v_mul_f64 v[11:12], v[19:20], v[11:12]
	v_add_u32_e64 v19, s8, 0
	ds_write2_b64 v19, v[11:12], v[11:12] offset0:187 offset1:250
.LBB29_102:
	s_or_b64 exec, exec, s[0:1]
	v_mov_b32_e32 v11, 0
	v_mov_b32_e32 v12, 0
	s_waitcnt lgkmcnt(0)
	s_barrier
	buffer_wbinvl1_vol
	s_and_saveexec_b64 s[0:1], s[2:3]
	s_cbranch_execz .LBB29_106
; %bb.103:
	v_lshlrev_b32_e32 v19, 9, v13
	v_lshlrev_b32_e32 v11, 3, v1
	ds_read_b64 v[11:12], v11 offset:30144
	ds_read_b64 v[19:20], v19 offset:30160
	v_cmp_gt_u32_e64 s[8:9], 2, v15
	s_waitcnt lgkmcnt(0)
	v_fma_f64 v[11:12], v[11:12], v[19:20], 0
	s_and_saveexec_b64 s[10:11], s[8:9]
	s_cbranch_execz .LBB29_105
; %bb.104:
	v_lshlrev_b32_e32 v19, 3, v0
	v_mov_b32_e32 v21, 0
	ds_read_b64 v[19:20], v19 offset:30656
	ds_read_b64 v[21:22], v21 offset:30680
	s_waitcnt lgkmcnt(0)
	v_fma_f64 v[11:12], v[19:20], v[21:22], v[11:12]
.LBB29_105:
	s_or_b64 exec, exec, s[10:11]
.LBB29_106:
	s_or_b64 exec, exec, s[0:1]
	s_and_saveexec_b64 s[0:1], s[30:31]
	s_cbranch_execz .LBB29_108
; %bb.107:
	v_mov_b32_e32 v19, 0
	ds_read_b64 v[19:20], v19 offset:29640
	s_waitcnt lgkmcnt(0)
	v_mul_f64 v[11:12], v[11:12], v[19:20]
	v_xor_b32_e32 v20, 0x80000000, v12
	v_mov_b32_e32 v19, v11
	ds_write_b64 v14, v[19:20]
.LBB29_108:
	s_or_b64 exec, exec, s[0:1]
	s_waitcnt lgkmcnt(0)
	s_barrier
	s_and_saveexec_b64 s[0:1], s[28:29]
	s_cbranch_execz .LBB29_110
; %bb.109:
	v_mov_b32_e32 v19, 0
	ds_read_b64 v[19:20], v19 offset:29632
	ds_read_b64 v[21:22], v14
	s_waitcnt lgkmcnt(0)
	v_fma_f64 v[11:12], -v[19:20], v[21:22], v[11:12]
.LBB29_110:
	s_or_b64 exec, exec, s[0:1]
	s_barrier
	s_and_saveexec_b64 s[0:1], s[28:29]
	s_cbranch_execz .LBB29_112
; %bb.111:
	v_mov_b32_e32 v19, 0
	ds_read_b64 v[19:20], v19 offset:29120
	s_waitcnt lgkmcnt(0)
	v_mul_f64 v[11:12], v[11:12], v[19:20]
	v_xor_b32_e32 v20, 0x80000000, v12
	v_mov_b32_e32 v19, v11
	ds_write_b64 v14, v[19:20]
.LBB29_112:
	s_or_b64 exec, exec, s[0:1]
	s_waitcnt lgkmcnt(0)
	s_barrier
	s_barrier
	s_and_saveexec_b64 s[0:1], s[2:3]
; %bb.113:
	v_lshlrev_b32_e32 v19, 3, v1
	v_lshl_or_b32 v19, v13, 9, v19
	ds_write_b64 v19, v[11:12] offset:30144
; %bb.114:
	s_or_b64 exec, exec, s[0:1]
	s_waitcnt lgkmcnt(0)
	s_barrier
	s_barrier
	s_and_saveexec_b64 s[0:1], s[34:35]
	s_cbranch_execz .LBB29_116
; %bb.115:
	v_lshlrev_b32_e32 v19, 3, v0
	s_movk_i32 s8, 0x1f8
	v_mad_u32_u24 v20, v0, s8, v19
	ds_read_b64 v[11:12], v20 offset:30144
	s_waitcnt lgkmcnt(0)
	ds_write_b64 v19, v[11:12] offset:29136
	ds_read_b64 v[11:12], v20 offset:30152
	s_waitcnt lgkmcnt(0)
	ds_write_b64 v19, v[11:12] offset:29648
.LBB29_116:
	s_or_b64 exec, exec, s[0:1]
	s_waitcnt lgkmcnt(0)
	s_barrier
	s_and_saveexec_b64 s[0:1], vcc
	s_cbranch_execz .LBB29_118
; %bb.117:
	v_mov_b32_e32 v11, 0
	ds_read_b128 v[19:22], v11 offset:29632
	ds_read_b64 v[11:12], v11 offset:29120
	s_movk_i32 s8, 0x7000
	s_waitcnt lgkmcnt(0)
	v_mul_f64 v[11:12], v[11:12], v[21:22]
	v_mul_f64 v[11:12], v[19:20], v[11:12]
	v_add_u32_e64 v19, s8, 0
	ds_write2_b64 v19, v[11:12], v[11:12] offset0:57 offset1:120
.LBB29_118:
	s_or_b64 exec, exec, s[0:1]
	v_lshrrev_b32_e32 v21, 3, v15
	v_mov_b32_e32 v11, 0
	v_and_b32_e32 v19, 7, v0
	v_sub_u32_e32 v20, 7, v21
	v_cmp_lt_u32_e64 s[10:11], 63, v15
	v_mov_b32_e32 v12, 0
	v_cmp_gt_u32_e64 s[8:9], 64, v15
	s_waitcnt lgkmcnt(0)
	s_barrier
	buffer_wbinvl1_vol
	s_and_saveexec_b64 s[0:1], s[8:9]
	s_cbranch_execz .LBB29_128
; %bb.119:
	v_lshlrev_b32_e32 v23, 3, v19
	v_lshlrev_b32_e32 v22, 9, v20
	ds_read_b64 v[11:12], v23 offset:29056
	ds_read_b64 v[24:25], v22 offset:29120
	v_cmp_gt_u32_e64 s[14:15], 56, v15
	s_waitcnt lgkmcnt(0)
	v_fma_f64 v[11:12], v[11:12], v[24:25], 0
	s_and_saveexec_b64 s[16:17], s[14:15]
	s_cbranch_execnz .LBB29_1100
; %bb.120:
	s_or_b64 exec, exec, s[16:17]
	v_cmp_gt_u32_e64 s[14:15], 48, v15
	s_and_saveexec_b64 s[16:17], s[14:15]
	s_cbranch_execnz .LBB29_1101
.LBB29_121:
	s_or_b64 exec, exec, s[16:17]
	v_cmp_gt_u32_e64 s[14:15], 40, v15
	s_and_saveexec_b64 s[16:17], s[14:15]
	s_cbranch_execnz .LBB29_1102
.LBB29_122:
	s_or_b64 exec, exec, s[16:17]
	v_cmp_gt_u32_e64 s[14:15], 32, v15
	s_and_saveexec_b64 s[16:17], s[14:15]
	s_cbranch_execnz .LBB29_1103
.LBB29_123:
	s_or_b64 exec, exec, s[16:17]
	v_cmp_gt_u32_e64 s[14:15], 24, v15
	s_and_saveexec_b64 s[16:17], s[14:15]
	s_cbranch_execnz .LBB29_1104
.LBB29_124:
	s_or_b64 exec, exec, s[16:17]
	s_and_saveexec_b64 s[14:15], s[18:19]
	s_cbranch_execnz .LBB29_1105
.LBB29_125:
	s_or_b64 exec, exec, s[14:15]
	v_cmp_gt_u32_e64 s[14:15], 8, v15
	s_and_saveexec_b64 s[16:17], s[14:15]
	s_cbranch_execz .LBB29_127
.LBB29_126:
	v_lshlrev_b32_e32 v22, 3, v0
	v_mov_b32_e32 v24, 0
	ds_read_b64 v[22:23], v22 offset:32640
	ds_read_b64 v[24:25], v24 offset:32760
	s_waitcnt lgkmcnt(0)
	v_fma_f64 v[11:12], v[22:23], v[24:25], v[11:12]
.LBB29_127:
	s_or_b64 exec, exec, s[16:17]
.LBB29_128:
	v_writelane_b32 v36, s58, 1
	v_writelane_b32 v36, s59, 2
	;; [unrolled: 1-line block ×4, first 2 shown]
	s_or_b64 exec, exec, s[0:1]
	v_mov_b32_e32 v22, 0x8000
	v_cmp_eq_u32_e64 s[14:15], 7, v19
	s_xor_b64 s[0:1], s[10:11], -1
	v_lshl_add_u32 v21, v21, 3, v22
	s_and_b64 s[58:59], s[14:15], s[0:1]
	s_and_saveexec_b64 s[10:11], s[58:59]
	s_cbranch_execz .LBB29_130
; %bb.129:
	v_mov_b32_e32 v22, 0
	ds_read_b64 v[22:23], v22 offset:28600
	s_waitcnt lgkmcnt(0)
	v_mul_f64 v[11:12], v[11:12], v[22:23]
	v_xor_b32_e32 v23, 0x80000000, v12
	v_mov_b32_e32 v22, v11
	ds_write_b64 v21, v[22:23]
.LBB29_130:
	s_or_b64 exec, exec, s[10:11]
	v_cmp_ne_u32_e64 s[10:11], 7, v19
	s_and_b64 s[60:61], s[10:11], s[0:1]
	s_waitcnt lgkmcnt(0)
	s_barrier
	s_and_saveexec_b64 s[10:11], s[60:61]
	s_cbranch_execz .LBB29_132
; %bb.131:
	v_lshlrev_b32_e32 v22, 3, v19
	ds_read_b64 v[22:23], v22 offset:28544
	ds_read_b64 v[24:25], v21
	s_waitcnt lgkmcnt(0)
	v_fma_f64 v[11:12], -v[22:23], v[24:25], v[11:12]
.LBB29_132:
	s_or_b64 exec, exec, s[10:11]
	v_cmp_eq_u32_e64 s[10:11], 6, v19
	s_and_b64 s[62:63], s[10:11], s[0:1]
	s_barrier
	s_and_saveexec_b64 s[10:11], s[62:63]
	s_cbranch_execz .LBB29_134
; %bb.133:
	v_mov_b32_e32 v22, 0
	ds_read_b64 v[22:23], v22 offset:28080
	s_waitcnt lgkmcnt(0)
	v_mul_f64 v[11:12], v[11:12], v[22:23]
	v_xor_b32_e32 v23, 0x80000000, v12
	v_mov_b32_e32 v22, v11
	ds_write_b64 v21, v[22:23]
.LBB29_134:
	s_or_b64 exec, exec, s[10:11]
	v_cmp_gt_u32_e64 s[10:11], 6, v19
	s_and_b64 s[64:65], s[10:11], s[0:1]
	s_waitcnt lgkmcnt(0)
	s_barrier
	s_and_saveexec_b64 s[10:11], s[64:65]
	s_cbranch_execz .LBB29_136
; %bb.135:
	v_lshlrev_b32_e32 v22, 3, v19
	ds_read_b64 v[22:23], v22 offset:28032
	ds_read_b64 v[24:25], v21
	s_waitcnt lgkmcnt(0)
	v_fma_f64 v[11:12], -v[22:23], v[24:25], v[11:12]
.LBB29_136:
	s_or_b64 exec, exec, s[10:11]
	v_cmp_eq_u32_e64 s[10:11], 5, v19
	s_and_b64 s[66:67], s[10:11], s[0:1]
	s_barrier
	s_and_saveexec_b64 s[10:11], s[66:67]
	s_cbranch_execz .LBB29_138
; %bb.137:
	v_mov_b32_e32 v22, 0
	ds_read_b64 v[22:23], v22 offset:27560
	s_waitcnt lgkmcnt(0)
	v_mul_f64 v[11:12], v[11:12], v[22:23]
	v_xor_b32_e32 v23, 0x80000000, v12
	v_mov_b32_e32 v22, v11
	ds_write_b64 v21, v[22:23]
.LBB29_138:
	s_or_b64 exec, exec, s[10:11]
	v_cmp_gt_u32_e64 s[10:11], 5, v19
	;; [unrolled: 29-line block ×5, first 2 shown]
	s_and_b64 s[82:83], s[10:11], s[0:1]
	s_waitcnt lgkmcnt(0)
	s_barrier
	s_and_saveexec_b64 s[10:11], s[82:83]
	s_cbranch_execz .LBB29_152
; %bb.151:
	v_lshlrev_b32_e32 v22, 3, v19
	ds_read_b64 v[22:23], v22 offset:25984
	ds_read_b64 v[24:25], v21
	s_waitcnt lgkmcnt(0)
	v_fma_f64 v[11:12], -v[22:23], v[24:25], v[11:12]
.LBB29_152:
	s_or_b64 exec, exec, s[10:11]
	v_cmp_eq_u32_e64 s[10:11], 1, v19
	s_and_b64 s[84:85], s[10:11], s[0:1]
	s_barrier
	s_and_saveexec_b64 s[10:11], s[84:85]
	s_cbranch_execz .LBB29_154
; %bb.153:
	v_mov_b32_e32 v22, 0
	ds_read_b64 v[22:23], v22 offset:25480
	s_waitcnt lgkmcnt(0)
	v_mul_f64 v[11:12], v[11:12], v[22:23]
	v_xor_b32_e32 v23, 0x80000000, v12
	v_mov_b32_e32 v22, v11
	ds_write_b64 v21, v[22:23]
.LBB29_154:
	s_or_b64 exec, exec, s[10:11]
	v_cmp_eq_u32_e64 s[10:11], 0, v19
	s_and_b64 s[68:69], s[10:11], s[0:1]
	s_waitcnt lgkmcnt(0)
	s_barrier
	s_and_saveexec_b64 s[0:1], s[68:69]
	s_cbranch_execz .LBB29_156
; %bb.155:
	v_mov_b32_e32 v22, 0
	ds_read_b64 v[22:23], v22 offset:25472
	ds_read_b64 v[24:25], v21
	s_waitcnt lgkmcnt(0)
	v_fma_f64 v[11:12], -v[22:23], v[24:25], v[11:12]
.LBB29_156:
	s_or_b64 exec, exec, s[0:1]
	s_barrier
	s_and_saveexec_b64 s[0:1], s[68:69]
	s_cbranch_execz .LBB29_158
; %bb.157:
	v_mov_b32_e32 v22, 0
	ds_read_b64 v[22:23], v22 offset:24960
	s_waitcnt lgkmcnt(0)
	v_mul_f64 v[11:12], v[11:12], v[22:23]
	v_xor_b32_e32 v23, 0x80000000, v12
	v_mov_b32_e32 v22, v11
	ds_write_b64 v21, v[22:23]
.LBB29_158:
	s_or_b64 exec, exec, s[0:1]
	s_waitcnt lgkmcnt(0)
	s_barrier
	s_barrier
	s_and_saveexec_b64 s[0:1], s[8:9]
; %bb.159:
	v_lshlrev_b32_e32 v22, 3, v19
	v_lshl_or_b32 v22, v20, 9, v22
	ds_write_b64 v22, v[11:12] offset:29056
; %bb.160:
	s_or_b64 exec, exec, s[0:1]
	v_cmp_gt_u32_e64 s[10:11], 8, v0
	s_and_b64 s[86:87], s[12:13], s[10:11]
	s_waitcnt lgkmcnt(0)
	s_barrier
	s_barrier
	s_and_saveexec_b64 s[0:1], s[86:87]
	s_cbranch_execz .LBB29_162
; %bb.161:
	v_lshlrev_b32_e32 v22, 9, v0
	ds_read_b64 v[11:12], v22 offset:29056
	s_movk_i32 s10, 0xfe08
	v_mad_i32_i24 v23, v0, s10, v22
	s_waitcnt lgkmcnt(0)
	ds_write_b64 v23, v[11:12] offset:25024
	ds_read_b64 v[11:12], v22 offset:29064
	s_waitcnt lgkmcnt(0)
	ds_write_b64 v23, v[11:12] offset:25536
	ds_read_b64 v[11:12], v22 offset:29072
	;; [unrolled: 3-line block ×7, first 2 shown]
	s_waitcnt lgkmcnt(0)
	ds_write_b64 v23, v[11:12] offset:28608
.LBB29_162:
	s_or_b64 exec, exec, s[0:1]
	s_waitcnt lgkmcnt(0)
	s_barrier
	s_and_saveexec_b64 s[0:1], vcc
	s_cbranch_execz .LBB29_164
; %bb.163:
	v_mov_b32_e32 v11, 0
	ds_read_b128 v[22:25], v11 offset:28592
	ds_read_b64 v[11:12], v11 offset:28080
	s_movk_i32 s10, 0x6800
	s_waitcnt lgkmcnt(0)
	v_mul_f64 v[11:12], v[11:12], v[24:25]
	v_mul_f64 v[11:12], v[22:23], v[11:12]
	v_add_u32_e64 v22, s10, 0
	ds_write2_b64 v22, v[11:12], v[11:12] offset0:183 offset1:246
.LBB29_164:
	s_or_b64 exec, exec, s[0:1]
	v_mov_b32_e32 v11, 0
	v_mov_b32_e32 v12, 0
	s_waitcnt lgkmcnt(0)
	s_barrier
	buffer_wbinvl1_vol
	s_and_saveexec_b64 s[0:1], s[2:3]
	s_cbranch_execz .LBB29_168
; %bb.165:
	v_lshlrev_b32_e32 v22, 9, v13
	v_lshlrev_b32_e32 v11, 3, v1
	ds_read_b64 v[11:12], v11 offset:28064
	ds_read_b64 v[22:23], v22 offset:28080
	v_cmp_gt_u32_e64 s[10:11], 2, v15
	s_waitcnt lgkmcnt(0)
	v_fma_f64 v[11:12], v[11:12], v[22:23], 0
	s_and_saveexec_b64 s[14:15], s[10:11]
	s_cbranch_execz .LBB29_167
; %bb.166:
	v_lshlrev_b32_e32 v22, 3, v0
	v_mov_b32_e32 v24, 0
	ds_read_b64 v[22:23], v22 offset:28576
	ds_read_b64 v[24:25], v24 offset:28600
	s_waitcnt lgkmcnt(0)
	v_fma_f64 v[11:12], v[22:23], v[24:25], v[11:12]
.LBB29_167:
	s_or_b64 exec, exec, s[14:15]
.LBB29_168:
	s_or_b64 exec, exec, s[0:1]
	s_and_saveexec_b64 s[0:1], s[30:31]
	s_cbranch_execz .LBB29_170
; %bb.169:
	v_mov_b32_e32 v22, 0
	ds_read_b64 v[22:23], v22 offset:27560
	s_waitcnt lgkmcnt(0)
	v_mul_f64 v[11:12], v[11:12], v[22:23]
	v_xor_b32_e32 v23, 0x80000000, v12
	v_mov_b32_e32 v22, v11
	ds_write_b64 v14, v[22:23]
.LBB29_170:
	s_or_b64 exec, exec, s[0:1]
	s_waitcnt lgkmcnt(0)
	s_barrier
	s_and_saveexec_b64 s[0:1], s[28:29]
	s_cbranch_execz .LBB29_172
; %bb.171:
	v_mov_b32_e32 v22, 0
	ds_read_b64 v[22:23], v22 offset:27552
	ds_read_b64 v[24:25], v14
	s_waitcnt lgkmcnt(0)
	v_fma_f64 v[11:12], -v[22:23], v[24:25], v[11:12]
.LBB29_172:
	s_or_b64 exec, exec, s[0:1]
	s_barrier
	s_and_saveexec_b64 s[0:1], s[28:29]
	s_cbranch_execz .LBB29_174
; %bb.173:
	v_mov_b32_e32 v22, 0
	ds_read_b64 v[22:23], v22 offset:27040
	s_waitcnt lgkmcnt(0)
	v_mul_f64 v[11:12], v[11:12], v[22:23]
	v_xor_b32_e32 v23, 0x80000000, v12
	v_mov_b32_e32 v22, v11
	ds_write_b64 v14, v[22:23]
.LBB29_174:
	s_or_b64 exec, exec, s[0:1]
	s_waitcnt lgkmcnt(0)
	s_barrier
	s_barrier
	s_and_saveexec_b64 s[0:1], s[2:3]
; %bb.175:
	v_lshlrev_b32_e32 v22, 3, v1
	v_lshl_or_b32 v22, v13, 9, v22
	ds_write_b64 v22, v[11:12] offset:28064
; %bb.176:
	s_or_b64 exec, exec, s[0:1]
	s_waitcnt lgkmcnt(0)
	s_barrier
	s_barrier
	s_and_saveexec_b64 s[0:1], s[34:35]
	s_cbranch_execz .LBB29_178
; %bb.177:
	v_lshlrev_b32_e32 v22, 3, v0
	s_movk_i32 s10, 0x1f8
	v_mad_u32_u24 v23, v0, s10, v22
	ds_read_b64 v[11:12], v23 offset:28064
	s_waitcnt lgkmcnt(0)
	ds_write_b64 v22, v[11:12] offset:27056
	ds_read_b64 v[11:12], v23 offset:28072
	s_waitcnt lgkmcnt(0)
	ds_write_b64 v22, v[11:12] offset:27568
.LBB29_178:
	s_or_b64 exec, exec, s[0:1]
	s_waitcnt lgkmcnt(0)
	s_barrier
	s_and_saveexec_b64 s[0:1], vcc
	s_cbranch_execz .LBB29_180
; %bb.179:
	v_mov_b32_e32 v11, 0
	ds_read_b128 v[22:25], v11 offset:27552
	ds_read_b64 v[11:12], v11 offset:27040
	s_movk_i32 s10, 0x6800
	s_waitcnt lgkmcnt(0)
	v_mul_f64 v[11:12], v[11:12], v[24:25]
	v_mul_f64 v[11:12], v[22:23], v[11:12]
	v_add_u32_e64 v22, s10, 0
	ds_write2_b64 v22, v[11:12], v[11:12] offset0:53 offset1:116
.LBB29_180:
	s_or_b64 exec, exec, s[0:1]
	v_mov_b32_e32 v11, 0
	v_mov_b32_e32 v12, 0
	s_waitcnt lgkmcnt(0)
	s_barrier
	buffer_wbinvl1_vol
	s_and_saveexec_b64 s[0:1], s[18:19]
	s_cbranch_execz .LBB29_186
; %bb.181:
	v_lshlrev_b32_e32 v23, 3, v16
	v_lshlrev_b32_e32 v22, 9, v17
	ds_read_b64 v[11:12], v23 offset:27008
	ds_read_b64 v[24:25], v22 offset:27040
	v_cmp_gt_u32_e64 s[10:11], 12, v15
	s_waitcnt lgkmcnt(0)
	v_fma_f64 v[11:12], v[11:12], v[24:25], 0
	s_and_saveexec_b64 s[14:15], s[10:11]
	s_cbranch_execnz .LBB29_1106
; %bb.182:
	s_or_b64 exec, exec, s[14:15]
	v_cmp_gt_u32_e64 s[10:11], 8, v15
	s_and_saveexec_b64 s[14:15], s[10:11]
	s_cbranch_execnz .LBB29_1107
.LBB29_183:
	s_or_b64 exec, exec, s[14:15]
	v_cmp_gt_u32_e64 s[10:11], 4, v15
	s_and_saveexec_b64 s[14:15], s[10:11]
	s_cbranch_execz .LBB29_185
.LBB29_184:
	v_lshlrev_b32_e32 v22, 3, v0
	v_mov_b32_e32 v24, 0
	ds_read_b64 v[22:23], v22 offset:28544
	ds_read_b64 v[24:25], v24 offset:28600
	s_waitcnt lgkmcnt(0)
	v_fma_f64 v[11:12], v[22:23], v[24:25], v[11:12]
.LBB29_185:
	s_or_b64 exec, exec, s[14:15]
.LBB29_186:
	s_or_b64 exec, exec, s[0:1]
	s_and_saveexec_b64 s[0:1], s[38:39]
	s_cbranch_execz .LBB29_188
; %bb.187:
	v_mov_b32_e32 v22, 0
	ds_read_b64 v[22:23], v22 offset:26520
	s_waitcnt lgkmcnt(0)
	v_mul_f64 v[11:12], v[11:12], v[22:23]
	v_xor_b32_e32 v23, 0x80000000, v12
	v_mov_b32_e32 v22, v11
	ds_write_b64 v18, v[22:23]
.LBB29_188:
	s_or_b64 exec, exec, s[0:1]
	s_waitcnt lgkmcnt(0)
	s_barrier
	s_and_saveexec_b64 s[0:1], s[42:43]
	s_cbranch_execz .LBB29_190
; %bb.189:
	v_lshlrev_b32_e32 v22, 3, v16
	ds_read_b64 v[22:23], v22 offset:26496
	ds_read_b64 v[24:25], v18
	s_waitcnt lgkmcnt(0)
	v_fma_f64 v[11:12], -v[22:23], v[24:25], v[11:12]
.LBB29_190:
	s_or_b64 exec, exec, s[0:1]
	s_barrier
	s_and_saveexec_b64 s[0:1], s[44:45]
	s_cbranch_execz .LBB29_192
; %bb.191:
	v_mov_b32_e32 v22, 0
	ds_read_b64 v[22:23], v22 offset:26000
	s_waitcnt lgkmcnt(0)
	v_mul_f64 v[11:12], v[11:12], v[22:23]
	v_xor_b32_e32 v23, 0x80000000, v12
	v_mov_b32_e32 v22, v11
	ds_write_b64 v18, v[22:23]
.LBB29_192:
	s_or_b64 exec, exec, s[0:1]
	s_waitcnt lgkmcnt(0)
	s_barrier
	s_and_saveexec_b64 s[0:1], s[52:53]
	s_cbranch_execz .LBB29_194
; %bb.193:
	v_lshlrev_b32_e32 v22, 3, v16
	ds_read_b64 v[22:23], v22 offset:25984
	ds_read_b64 v[24:25], v18
	s_waitcnt lgkmcnt(0)
	v_fma_f64 v[11:12], -v[22:23], v[24:25], v[11:12]
.LBB29_194:
	s_or_b64 exec, exec, s[0:1]
	s_barrier
	s_and_saveexec_b64 s[0:1], s[54:55]
	s_cbranch_execz .LBB29_196
; %bb.195:
	v_mov_b32_e32 v22, 0
	ds_read_b64 v[22:23], v22 offset:25480
	s_waitcnt lgkmcnt(0)
	v_mul_f64 v[11:12], v[11:12], v[22:23]
	v_xor_b32_e32 v23, 0x80000000, v12
	v_mov_b32_e32 v22, v11
	ds_write_b64 v18, v[22:23]
.LBB29_196:
	s_or_b64 exec, exec, s[0:1]
	s_waitcnt lgkmcnt(0)
	s_barrier
	s_and_saveexec_b64 s[0:1], s[36:37]
	s_cbranch_execz .LBB29_198
; %bb.197:
	v_mov_b32_e32 v22, 0
	ds_read_b64 v[22:23], v22 offset:25472
	ds_read_b64 v[24:25], v18
	s_waitcnt lgkmcnt(0)
	v_fma_f64 v[11:12], -v[22:23], v[24:25], v[11:12]
.LBB29_198:
	s_or_b64 exec, exec, s[0:1]
	s_barrier
	s_and_saveexec_b64 s[0:1], s[36:37]
	s_cbranch_execz .LBB29_200
; %bb.199:
	v_mov_b32_e32 v22, 0
	ds_read_b64 v[22:23], v22 offset:24960
	s_waitcnt lgkmcnt(0)
	v_mul_f64 v[11:12], v[11:12], v[22:23]
	v_xor_b32_e32 v23, 0x80000000, v12
	v_mov_b32_e32 v22, v11
	ds_write_b64 v18, v[22:23]
.LBB29_200:
	s_or_b64 exec, exec, s[0:1]
	s_waitcnt lgkmcnt(0)
	s_barrier
	s_barrier
	s_and_saveexec_b64 s[0:1], s[18:19]
; %bb.201:
	v_lshlrev_b32_e32 v22, 3, v16
	v_lshl_or_b32 v22, v17, 9, v22
	ds_write_b64 v22, v[11:12] offset:27008
; %bb.202:
	s_or_b64 exec, exec, s[0:1]
	s_waitcnt lgkmcnt(0)
	s_barrier
	s_barrier
	s_and_saveexec_b64 s[0:1], s[56:57]
	s_cbranch_execz .LBB29_204
; %bb.203:
	v_lshlrev_b32_e32 v22, 9, v0
	ds_read_b64 v[11:12], v22 offset:27008
	s_movk_i32 s10, 0xfe08
	v_mad_i32_i24 v23, v0, s10, v22
	s_waitcnt lgkmcnt(0)
	ds_write_b64 v23, v[11:12] offset:24992
	ds_read_b64 v[11:12], v22 offset:27016
	s_waitcnt lgkmcnt(0)
	ds_write_b64 v23, v[11:12] offset:25504
	ds_read_b64 v[11:12], v22 offset:27024
	;; [unrolled: 3-line block ×3, first 2 shown]
	s_waitcnt lgkmcnt(0)
	ds_write_b64 v23, v[11:12] offset:26528
.LBB29_204:
	s_or_b64 exec, exec, s[0:1]
	s_waitcnt lgkmcnt(0)
	s_barrier
	s_and_saveexec_b64 s[0:1], vcc
	s_cbranch_execz .LBB29_206
; %bb.205:
	v_mov_b32_e32 v11, 0
	ds_read_b128 v[22:25], v11 offset:26512
	ds_read_b64 v[11:12], v11 offset:26000
	s_movk_i32 s10, 0x6000
	s_waitcnt lgkmcnt(0)
	v_mul_f64 v[11:12], v[11:12], v[24:25]
	v_mul_f64 v[11:12], v[22:23], v[11:12]
	v_add_u32_e64 v22, s10, 0
	ds_write2_b64 v22, v[11:12], v[11:12] offset0:179 offset1:242
.LBB29_206:
	s_or_b64 exec, exec, s[0:1]
	v_mov_b32_e32 v11, 0
	v_mov_b32_e32 v12, 0
	s_waitcnt lgkmcnt(0)
	s_barrier
	buffer_wbinvl1_vol
	s_and_saveexec_b64 s[0:1], s[2:3]
	s_cbranch_execz .LBB29_210
; %bb.207:
	v_lshlrev_b32_e32 v22, 9, v13
	v_lshlrev_b32_e32 v11, 3, v1
	ds_read_b64 v[11:12], v11 offset:25984
	ds_read_b64 v[22:23], v22 offset:26000
	v_cmp_gt_u32_e64 s[10:11], 2, v15
	s_waitcnt lgkmcnt(0)
	v_fma_f64 v[11:12], v[11:12], v[22:23], 0
	s_and_saveexec_b64 s[14:15], s[10:11]
	s_cbranch_execz .LBB29_209
; %bb.208:
	v_lshlrev_b32_e32 v22, 3, v0
	v_mov_b32_e32 v24, 0
	ds_read_b64 v[22:23], v22 offset:26496
	ds_read_b64 v[24:25], v24 offset:26520
	s_waitcnt lgkmcnt(0)
	v_fma_f64 v[11:12], v[22:23], v[24:25], v[11:12]
.LBB29_209:
	s_or_b64 exec, exec, s[14:15]
.LBB29_210:
	s_or_b64 exec, exec, s[0:1]
	s_and_saveexec_b64 s[0:1], s[30:31]
	s_cbranch_execz .LBB29_212
; %bb.211:
	v_mov_b32_e32 v22, 0
	ds_read_b64 v[22:23], v22 offset:25480
	s_waitcnt lgkmcnt(0)
	v_mul_f64 v[11:12], v[11:12], v[22:23]
	v_xor_b32_e32 v23, 0x80000000, v12
	v_mov_b32_e32 v22, v11
	ds_write_b64 v14, v[22:23]
.LBB29_212:
	s_or_b64 exec, exec, s[0:1]
	s_waitcnt lgkmcnt(0)
	s_barrier
	s_and_saveexec_b64 s[0:1], s[28:29]
	s_cbranch_execz .LBB29_214
; %bb.213:
	v_mov_b32_e32 v22, 0
	ds_read_b64 v[22:23], v22 offset:25472
	ds_read_b64 v[24:25], v14
	s_waitcnt lgkmcnt(0)
	v_fma_f64 v[11:12], -v[22:23], v[24:25], v[11:12]
.LBB29_214:
	s_or_b64 exec, exec, s[0:1]
	s_barrier
	s_and_saveexec_b64 s[0:1], s[28:29]
	s_cbranch_execz .LBB29_216
; %bb.215:
	v_mov_b32_e32 v22, 0
	ds_read_b64 v[22:23], v22 offset:24960
	s_waitcnt lgkmcnt(0)
	v_mul_f64 v[11:12], v[11:12], v[22:23]
	v_xor_b32_e32 v23, 0x80000000, v12
	v_mov_b32_e32 v22, v11
	ds_write_b64 v14, v[22:23]
.LBB29_216:
	s_or_b64 exec, exec, s[0:1]
	s_waitcnt lgkmcnt(0)
	s_barrier
	s_barrier
	s_and_saveexec_b64 s[0:1], s[2:3]
; %bb.217:
	v_lshlrev_b32_e32 v22, 3, v1
	v_lshl_or_b32 v22, v13, 9, v22
	ds_write_b64 v22, v[11:12] offset:25984
; %bb.218:
	s_or_b64 exec, exec, s[0:1]
	s_waitcnt lgkmcnt(0)
	s_barrier
	s_barrier
	s_and_saveexec_b64 s[0:1], s[34:35]
	s_cbranch_execz .LBB29_220
; %bb.219:
	v_lshlrev_b32_e32 v22, 3, v0
	s_movk_i32 s10, 0x1f8
	v_mad_u32_u24 v23, v0, s10, v22
	ds_read_b64 v[11:12], v23 offset:25984
	s_waitcnt lgkmcnt(0)
	ds_write_b64 v22, v[11:12] offset:24976
	ds_read_b64 v[11:12], v23 offset:25992
	s_waitcnt lgkmcnt(0)
	ds_write_b64 v22, v[11:12] offset:25488
.LBB29_220:
	s_or_b64 exec, exec, s[0:1]
	s_waitcnt lgkmcnt(0)
	s_barrier
	s_and_saveexec_b64 s[0:1], vcc
	s_cbranch_execz .LBB29_222
; %bb.221:
	v_mov_b32_e32 v11, 0
	ds_read_b128 v[22:25], v11 offset:25472
	ds_read_b64 v[11:12], v11 offset:24960
	s_movk_i32 s10, 0x6000
	s_waitcnt lgkmcnt(0)
	v_mul_f64 v[11:12], v[11:12], v[24:25]
	v_mul_f64 v[11:12], v[22:23], v[11:12]
	v_add_u32_e64 v22, s10, 0
	ds_write2_b64 v22, v[11:12], v[11:12] offset0:49 offset1:112
.LBB29_222:
	s_or_b64 exec, exec, s[0:1]
	s_movk_i32 s0, 0xff
	v_lshrrev_b32_e32 v24, 4, v15
	v_cmp_lt_u32_e64 s[14:15], s0, v15
	s_movk_i32 s0, 0x100
	v_mov_b32_e32 v11, 0
	v_and_b32_e32 v22, 15, v0
	v_sub_u32_e32 v23, 15, v24
	v_mov_b32_e32 v12, 0
	v_cmp_gt_u32_e64 s[10:11], s0, v15
	s_waitcnt lgkmcnt(0)
	s_barrier
	buffer_wbinvl1_vol
	s_and_saveexec_b64 s[0:1], s[10:11]
	s_cbranch_execz .LBB29_250
; %bb.223:
	v_lshlrev_b32_e32 v26, 3, v22
	v_lshlrev_b32_e32 v25, 9, v23
	ds_read_b64 v[11:12], v26 offset:24832
	ds_read_b64 v[27:28], v25 offset:24960
	s_movk_i32 s16, 0xf0
	v_cmp_gt_u32_e64 s[16:17], s16, v15
	s_waitcnt lgkmcnt(0)
	v_fma_f64 v[11:12], v[11:12], v[27:28], 0
	s_and_saveexec_b64 s[20:21], s[16:17]
	s_cbranch_execz .LBB29_225
; %bb.224:
	ds_read_b64 v[27:28], v26 offset:25344
	ds_read_b64 v[29:30], v25 offset:24968
	s_waitcnt lgkmcnt(0)
	v_fma_f64 v[11:12], v[27:28], v[29:30], v[11:12]
.LBB29_225:
	s_or_b64 exec, exec, s[20:21]
	s_movk_i32 s16, 0xe0
	v_cmp_gt_u32_e64 s[16:17], s16, v15
	s_and_saveexec_b64 s[20:21], s[16:17]
	s_cbranch_execz .LBB29_227
; %bb.226:
	ds_read_b64 v[27:28], v26 offset:25856
	ds_read_b64 v[29:30], v25 offset:24976
	s_waitcnt lgkmcnt(0)
	v_fma_f64 v[11:12], v[27:28], v[29:30], v[11:12]
.LBB29_227:
	s_or_b64 exec, exec, s[20:21]
	s_movk_i32 s16, 0xd0
	v_cmp_gt_u32_e64 s[16:17], s16, v15
	;; [unrolled: 11-line block ×10, first 2 shown]
	s_and_saveexec_b64 s[20:21], s[16:17]
	s_cbranch_execnz .LBB29_1108
; %bb.244:
	s_or_b64 exec, exec, s[20:21]
	s_and_saveexec_b64 s[16:17], s[8:9]
	s_cbranch_execnz .LBB29_1109
.LBB29_245:
	s_or_b64 exec, exec, s[16:17]
	v_cmp_gt_u32_e64 s[16:17], 48, v15
	s_and_saveexec_b64 s[20:21], s[16:17]
	s_cbranch_execnz .LBB29_1110
.LBB29_246:
	s_or_b64 exec, exec, s[20:21]
	v_cmp_gt_u32_e64 s[16:17], 32, v15
	s_and_saveexec_b64 s[20:21], s[16:17]
	s_cbranch_execnz .LBB29_1111
.LBB29_247:
	s_or_b64 exec, exec, s[20:21]
	v_cmp_gt_u32_e64 s[16:17], 16, v15
	s_and_saveexec_b64 s[20:21], s[16:17]
	s_cbranch_execz .LBB29_249
.LBB29_248:
	v_lshlrev_b32_e32 v25, 3, v0
	v_mov_b32_e32 v27, 0
	ds_read_b64 v[25:26], v25 offset:32512
	ds_read_b64 v[27:28], v27 offset:32760
	s_waitcnt lgkmcnt(0)
	v_fma_f64 v[11:12], v[25:26], v[27:28], v[11:12]
.LBB29_249:
	s_or_b64 exec, exec, s[20:21]
.LBB29_250:
	s_or_b64 exec, exec, s[0:1]
	v_mov_b32_e32 v25, 0x8000
	v_lshl_add_u32 v24, v24, 3, v25
	v_cmp_eq_u32_e64 s[16:17], 15, v22
	s_xor_b64 s[20:21], s[14:15], -1
	s_and_b64 s[14:15], s[16:17], s[20:21]
	s_mov_b64 s[0:1], exec
	v_writelane_b32 v36, s14, 5
	v_writelane_b32 v36, s15, 6
	s_and_b64 s[14:15], s[0:1], s[14:15]
	s_mov_b64 exec, s[14:15]
	s_cbranch_execz .LBB29_252
; %bb.251:
	v_mov_b32_e32 v25, 0
	ds_read_b64 v[25:26], v25 offset:24440
	s_waitcnt lgkmcnt(0)
	v_mul_f64 v[11:12], v[11:12], v[25:26]
	v_xor_b32_e32 v26, 0x80000000, v12
	v_mov_b32_e32 v25, v11
	ds_write_b64 v24, v[25:26]
.LBB29_252:
	s_or_b64 exec, exec, s[0:1]
	v_cmp_ne_u32_e64 s[14:15], 15, v22
	s_waitcnt lgkmcnt(0)
	s_barrier
	s_and_b64 s[14:15], s[14:15], s[20:21]
	s_mov_b64 s[0:1], exec
	v_writelane_b32 v36, s14, 7
	v_writelane_b32 v36, s15, 8
	s_and_b64 s[14:15], s[0:1], s[14:15]
	s_mov_b64 exec, s[14:15]
	s_cbranch_execz .LBB29_254
; %bb.253:
	v_lshlrev_b32_e32 v25, 3, v22
	ds_read_b64 v[25:26], v25 offset:24320
	ds_read_b64 v[27:28], v24
	s_waitcnt lgkmcnt(0)
	v_fma_f64 v[11:12], -v[25:26], v[27:28], v[11:12]
.LBB29_254:
	s_or_b64 exec, exec, s[0:1]
	v_cmp_eq_u32_e64 s[14:15], 14, v22
	s_barrier
	s_and_b64 s[14:15], s[14:15], s[20:21]
	s_mov_b64 s[0:1], exec
	v_writelane_b32 v36, s14, 9
	v_writelane_b32 v36, s15, 10
	s_and_b64 s[14:15], s[0:1], s[14:15]
	s_mov_b64 exec, s[14:15]
	s_cbranch_execz .LBB29_256
; %bb.255:
	v_mov_b32_e32 v25, 0
	ds_read_b64 v[25:26], v25 offset:23920
	s_waitcnt lgkmcnt(0)
	v_mul_f64 v[11:12], v[11:12], v[25:26]
	v_xor_b32_e32 v26, 0x80000000, v12
	v_mov_b32_e32 v25, v11
	ds_write_b64 v24, v[25:26]
.LBB29_256:
	s_or_b64 exec, exec, s[0:1]
	v_cmp_gt_u32_e64 s[14:15], 14, v22
	s_waitcnt lgkmcnt(0)
	s_barrier
	s_and_b64 s[14:15], s[14:15], s[20:21]
	s_mov_b64 s[0:1], exec
	v_writelane_b32 v36, s14, 11
	v_writelane_b32 v36, s15, 12
	s_and_b64 s[14:15], s[0:1], s[14:15]
	s_mov_b64 exec, s[14:15]
	s_cbranch_execz .LBB29_258
; %bb.257:
	v_lshlrev_b32_e32 v25, 3, v22
	ds_read_b64 v[25:26], v25 offset:23808
	ds_read_b64 v[27:28], v24
	s_waitcnt lgkmcnt(0)
	v_fma_f64 v[11:12], -v[25:26], v[27:28], v[11:12]
.LBB29_258:
	s_or_b64 exec, exec, s[0:1]
	v_cmp_eq_u32_e64 s[14:15], 13, v22
	s_barrier
	s_and_b64 s[14:15], s[14:15], s[20:21]
	s_mov_b64 s[0:1], exec
	v_writelane_b32 v36, s14, 13
	v_writelane_b32 v36, s15, 14
	s_and_b64 s[14:15], s[0:1], s[14:15]
	s_mov_b64 exec, s[14:15]
	s_cbranch_execz .LBB29_260
; %bb.259:
	v_mov_b32_e32 v25, 0
	ds_read_b64 v[25:26], v25 offset:23400
	s_waitcnt lgkmcnt(0)
	v_mul_f64 v[11:12], v[11:12], v[25:26]
	v_xor_b32_e32 v26, 0x80000000, v12
	v_mov_b32_e32 v25, v11
	ds_write_b64 v24, v[25:26]
.LBB29_260:
	s_or_b64 exec, exec, s[0:1]
	v_cmp_gt_u32_e64 s[14:15], 13, v22
	;; [unrolled: 37-line block ×13, first 2 shown]
	s_and_b64 s[0:1], s[14:15], s[20:21]
	s_waitcnt lgkmcnt(0)
	s_barrier
	s_and_saveexec_b64 s[14:15], s[0:1]
	s_cbranch_execz .LBB29_306
; %bb.305:
	v_lshlrev_b32_e32 v25, 3, v22
	ds_read_b64 v[25:26], v25 offset:17664
	ds_read_b64 v[27:28], v24
	s_waitcnt lgkmcnt(0)
	v_fma_f64 v[11:12], -v[25:26], v[27:28], v[11:12]
.LBB29_306:
	s_or_b64 exec, exec, s[14:15]
	v_cmp_eq_u32_e64 s[14:15], 1, v22
	s_barrier
	s_and_b64 s[16:17], s[14:15], s[20:21]
	s_mov_b64 s[14:15], exec
	v_writelane_b32 v36, s16, 59
	v_writelane_b32 v36, s17, 60
	s_and_b64 s[16:17], s[14:15], s[16:17]
	s_mov_b64 exec, s[16:17]
	s_cbranch_execz .LBB29_308
; %bb.307:
	v_mov_b32_e32 v25, 0
	ds_read_b64 v[25:26], v25 offset:17160
	s_waitcnt lgkmcnt(0)
	v_mul_f64 v[11:12], v[11:12], v[25:26]
	v_xor_b32_e32 v26, 0x80000000, v12
	v_mov_b32_e32 v25, v11
	ds_write_b64 v24, v[25:26]
.LBB29_308:
	s_or_b64 exec, exec, s[14:15]
	v_cmp_eq_u32_e64 s[14:15], 0, v22
	s_and_b64 s[94:95], s[14:15], s[20:21]
	s_waitcnt lgkmcnt(0)
	s_barrier
	s_and_saveexec_b64 s[14:15], s[94:95]
	s_cbranch_execz .LBB29_310
; %bb.309:
	v_mov_b32_e32 v25, 0
	ds_read_b64 v[25:26], v25 offset:17152
	ds_read_b64 v[27:28], v24
	s_waitcnt lgkmcnt(0)
	v_fma_f64 v[11:12], -v[25:26], v[27:28], v[11:12]
.LBB29_310:
	s_or_b64 exec, exec, s[14:15]
	s_barrier
	s_and_saveexec_b64 s[14:15], s[94:95]
	s_cbranch_execz .LBB29_312
; %bb.311:
	v_mov_b32_e32 v25, 0
	ds_read_b64 v[25:26], v25 offset:16640
	s_waitcnt lgkmcnt(0)
	v_mul_f64 v[11:12], v[11:12], v[25:26]
	v_xor_b32_e32 v26, 0x80000000, v12
	v_mov_b32_e32 v25, v11
	ds_write_b64 v24, v[25:26]
.LBB29_312:
	s_or_b64 exec, exec, s[14:15]
	s_waitcnt lgkmcnt(0)
	s_barrier
	s_barrier
	s_and_saveexec_b64 s[14:15], s[10:11]
; %bb.313:
	v_lshlrev_b32_e32 v25, 3, v22
	v_lshl_or_b32 v25, v23, 9, v25
	ds_write_b64 v25, v[11:12] offset:24832
; %bb.314:
	s_or_b64 exec, exec, s[14:15]
	v_cmp_gt_u32_e64 s[14:15], 16, v0
	s_waitcnt lgkmcnt(0)
	s_barrier
	s_barrier
	s_and_b64 s[16:17], s[12:13], s[14:15]
	s_mov_b64 s[14:15], exec
	v_writelane_b32 v36, s16, 61
	v_writelane_b32 v36, s17, 62
	s_and_b64 s[16:17], s[14:15], s[16:17]
	s_mov_b64 exec, s[16:17]
	s_cbranch_execz .LBB29_316
; %bb.315:
	v_lshlrev_b32_e32 v25, 9, v0
	ds_read_b64 v[11:12], v25 offset:24832
	s_movk_i32 s16, 0xfe08
	v_mad_i32_i24 v26, v0, s16, v25
	s_waitcnt lgkmcnt(0)
	ds_write_b64 v26, v[11:12] offset:16768
	ds_read_b64 v[11:12], v25 offset:24840
	s_waitcnt lgkmcnt(0)
	ds_write_b64 v26, v[11:12] offset:17280
	ds_read_b64 v[11:12], v25 offset:24848
	;; [unrolled: 3-line block ×15, first 2 shown]
	s_waitcnt lgkmcnt(0)
	ds_write_b64 v26, v[11:12] offset:24448
.LBB29_316:
	s_or_b64 exec, exec, s[14:15]
	s_waitcnt lgkmcnt(0)
	s_barrier
	s_and_saveexec_b64 s[14:15], vcc
	s_cbranch_execz .LBB29_318
; %bb.317:
	v_mov_b32_e32 v11, 0
	ds_read_b128 v[25:28], v11 offset:24432
	ds_read_b64 v[11:12], v11 offset:23920
	s_movk_i32 s16, 0x5800
	s_waitcnt lgkmcnt(0)
	v_mul_f64 v[11:12], v[11:12], v[27:28]
	v_mul_f64 v[11:12], v[25:26], v[11:12]
	v_add_u32_e64 v25, s16, 0
	ds_write2_b64 v25, v[11:12], v[11:12] offset0:175 offset1:238
.LBB29_318:
	s_or_b64 exec, exec, s[14:15]
	v_mov_b32_e32 v11, 0
	v_mov_b32_e32 v12, 0
	s_waitcnt lgkmcnt(0)
	s_barrier
	buffer_wbinvl1_vol
	s_and_saveexec_b64 s[16:17], s[2:3]
	s_cbranch_execz .LBB29_322
; %bb.319:
	v_lshlrev_b32_e32 v25, 9, v13
	v_lshlrev_b32_e32 v11, 3, v1
	ds_read_b64 v[11:12], v11 offset:23904
	ds_read_b64 v[25:26], v25 offset:23920
	v_cmp_gt_u32_e64 s[14:15], 2, v15
	s_waitcnt lgkmcnt(0)
	v_fma_f64 v[11:12], v[11:12], v[25:26], 0
	s_and_saveexec_b64 s[20:21], s[14:15]
	s_cbranch_execz .LBB29_321
; %bb.320:
	v_lshlrev_b32_e32 v25, 3, v0
	v_mov_b32_e32 v27, 0
	ds_read_b64 v[25:26], v25 offset:24416
	ds_read_b64 v[27:28], v27 offset:24440
	s_waitcnt lgkmcnt(0)
	v_fma_f64 v[11:12], v[25:26], v[27:28], v[11:12]
.LBB29_321:
	s_or_b64 exec, exec, s[20:21]
.LBB29_322:
	s_or_b64 exec, exec, s[16:17]
	s_and_saveexec_b64 s[14:15], s[30:31]
	s_cbranch_execz .LBB29_324
; %bb.323:
	v_mov_b32_e32 v25, 0
	ds_read_b64 v[25:26], v25 offset:23400
	s_waitcnt lgkmcnt(0)
	v_mul_f64 v[11:12], v[11:12], v[25:26]
	v_xor_b32_e32 v26, 0x80000000, v12
	v_mov_b32_e32 v25, v11
	ds_write_b64 v14, v[25:26]
.LBB29_324:
	s_or_b64 exec, exec, s[14:15]
	s_waitcnt lgkmcnt(0)
	s_barrier
	s_and_saveexec_b64 s[14:15], s[28:29]
	s_cbranch_execz .LBB29_326
; %bb.325:
	v_mov_b32_e32 v25, 0
	ds_read_b64 v[25:26], v25 offset:23392
	ds_read_b64 v[27:28], v14
	s_waitcnt lgkmcnt(0)
	v_fma_f64 v[11:12], -v[25:26], v[27:28], v[11:12]
.LBB29_326:
	s_or_b64 exec, exec, s[14:15]
	s_barrier
	s_and_saveexec_b64 s[14:15], s[28:29]
	s_cbranch_execz .LBB29_328
; %bb.327:
	v_mov_b32_e32 v25, 0
	ds_read_b64 v[25:26], v25 offset:22880
	s_waitcnt lgkmcnt(0)
	v_mul_f64 v[11:12], v[11:12], v[25:26]
	v_xor_b32_e32 v26, 0x80000000, v12
	v_mov_b32_e32 v25, v11
	ds_write_b64 v14, v[25:26]
.LBB29_328:
	s_or_b64 exec, exec, s[14:15]
	s_waitcnt lgkmcnt(0)
	s_barrier
	s_barrier
	s_and_saveexec_b64 s[14:15], s[2:3]
; %bb.329:
	v_lshlrev_b32_e32 v25, 3, v1
	v_lshl_or_b32 v25, v13, 9, v25
	ds_write_b64 v25, v[11:12] offset:23904
; %bb.330:
	s_or_b64 exec, exec, s[14:15]
	s_waitcnt lgkmcnt(0)
	s_barrier
	s_barrier
	s_and_saveexec_b64 s[14:15], s[34:35]
	s_cbranch_execz .LBB29_332
; %bb.331:
	v_lshlrev_b32_e32 v25, 3, v0
	s_movk_i32 s16, 0x1f8
	v_mad_u32_u24 v26, v0, s16, v25
	ds_read_b64 v[11:12], v26 offset:23904
	s_waitcnt lgkmcnt(0)
	ds_write_b64 v25, v[11:12] offset:22896
	ds_read_b64 v[11:12], v26 offset:23912
	s_waitcnt lgkmcnt(0)
	ds_write_b64 v25, v[11:12] offset:23408
.LBB29_332:
	s_or_b64 exec, exec, s[14:15]
	s_waitcnt lgkmcnt(0)
	s_barrier
	s_and_saveexec_b64 s[14:15], vcc
	s_cbranch_execz .LBB29_334
; %bb.333:
	v_mov_b32_e32 v11, 0
	ds_read_b128 v[25:28], v11 offset:23392
	ds_read_b64 v[11:12], v11 offset:22880
	s_movk_i32 s16, 0x5800
	s_waitcnt lgkmcnt(0)
	v_mul_f64 v[11:12], v[11:12], v[27:28]
	v_mul_f64 v[11:12], v[25:26], v[11:12]
	v_add_u32_e64 v25, s16, 0
	ds_write2_b64 v25, v[11:12], v[11:12] offset0:45 offset1:108
.LBB29_334:
	s_or_b64 exec, exec, s[14:15]
	v_mov_b32_e32 v11, 0
	v_mov_b32_e32 v12, 0
	s_waitcnt lgkmcnt(0)
	s_barrier
	buffer_wbinvl1_vol
	s_and_saveexec_b64 s[16:17], s[18:19]
	s_cbranch_execz .LBB29_340
; %bb.335:
	v_lshlrev_b32_e32 v26, 3, v16
	v_lshlrev_b32_e32 v25, 9, v17
	ds_read_b64 v[11:12], v26 offset:22848
	ds_read_b64 v[27:28], v25 offset:22880
	v_cmp_gt_u32_e64 s[14:15], 12, v15
	s_waitcnt lgkmcnt(0)
	v_fma_f64 v[11:12], v[11:12], v[27:28], 0
	s_and_saveexec_b64 s[20:21], s[14:15]
	s_cbranch_execnz .LBB29_1112
; %bb.336:
	s_or_b64 exec, exec, s[20:21]
	v_cmp_gt_u32_e64 s[14:15], 8, v15
	s_and_saveexec_b64 s[20:21], s[14:15]
	s_cbranch_execnz .LBB29_1113
.LBB29_337:
	s_or_b64 exec, exec, s[20:21]
	v_cmp_gt_u32_e64 s[14:15], 4, v15
	s_and_saveexec_b64 s[20:21], s[14:15]
	s_cbranch_execz .LBB29_339
.LBB29_338:
	v_lshlrev_b32_e32 v25, 3, v0
	v_mov_b32_e32 v27, 0
	ds_read_b64 v[25:26], v25 offset:24384
	ds_read_b64 v[27:28], v27 offset:24440
	s_waitcnt lgkmcnt(0)
	v_fma_f64 v[11:12], v[25:26], v[27:28], v[11:12]
.LBB29_339:
	s_or_b64 exec, exec, s[20:21]
.LBB29_340:
	s_or_b64 exec, exec, s[16:17]
	s_and_saveexec_b64 s[14:15], s[38:39]
	s_cbranch_execz .LBB29_342
; %bb.341:
	v_mov_b32_e32 v25, 0
	ds_read_b64 v[25:26], v25 offset:22360
	s_waitcnt lgkmcnt(0)
	v_mul_f64 v[11:12], v[11:12], v[25:26]
	v_xor_b32_e32 v26, 0x80000000, v12
	v_mov_b32_e32 v25, v11
	ds_write_b64 v18, v[25:26]
.LBB29_342:
	s_or_b64 exec, exec, s[14:15]
	s_waitcnt lgkmcnt(0)
	s_barrier
	s_and_saveexec_b64 s[14:15], s[42:43]
	s_cbranch_execz .LBB29_344
; %bb.343:
	v_lshlrev_b32_e32 v25, 3, v16
	ds_read_b64 v[25:26], v25 offset:22336
	ds_read_b64 v[27:28], v18
	s_waitcnt lgkmcnt(0)
	v_fma_f64 v[11:12], -v[25:26], v[27:28], v[11:12]
.LBB29_344:
	s_or_b64 exec, exec, s[14:15]
	s_barrier
	s_and_saveexec_b64 s[14:15], s[44:45]
	s_cbranch_execz .LBB29_346
; %bb.345:
	v_mov_b32_e32 v25, 0
	ds_read_b64 v[25:26], v25 offset:21840
	s_waitcnt lgkmcnt(0)
	v_mul_f64 v[11:12], v[11:12], v[25:26]
	v_xor_b32_e32 v26, 0x80000000, v12
	v_mov_b32_e32 v25, v11
	ds_write_b64 v18, v[25:26]
.LBB29_346:
	s_or_b64 exec, exec, s[14:15]
	s_waitcnt lgkmcnt(0)
	s_barrier
	s_and_saveexec_b64 s[14:15], s[52:53]
	s_cbranch_execz .LBB29_348
; %bb.347:
	v_lshlrev_b32_e32 v25, 3, v16
	ds_read_b64 v[25:26], v25 offset:21824
	ds_read_b64 v[27:28], v18
	s_waitcnt lgkmcnt(0)
	v_fma_f64 v[11:12], -v[25:26], v[27:28], v[11:12]
.LBB29_348:
	s_or_b64 exec, exec, s[14:15]
	s_barrier
	s_and_saveexec_b64 s[14:15], s[54:55]
	s_cbranch_execz .LBB29_350
; %bb.349:
	v_mov_b32_e32 v25, 0
	ds_read_b64 v[25:26], v25 offset:21320
	s_waitcnt lgkmcnt(0)
	v_mul_f64 v[11:12], v[11:12], v[25:26]
	v_xor_b32_e32 v26, 0x80000000, v12
	v_mov_b32_e32 v25, v11
	ds_write_b64 v18, v[25:26]
.LBB29_350:
	s_or_b64 exec, exec, s[14:15]
	s_waitcnt lgkmcnt(0)
	s_barrier
	s_and_saveexec_b64 s[14:15], s[36:37]
	s_cbranch_execz .LBB29_352
; %bb.351:
	v_mov_b32_e32 v25, 0
	ds_read_b64 v[25:26], v25 offset:21312
	ds_read_b64 v[27:28], v18
	s_waitcnt lgkmcnt(0)
	v_fma_f64 v[11:12], -v[25:26], v[27:28], v[11:12]
.LBB29_352:
	s_or_b64 exec, exec, s[14:15]
	s_barrier
	s_and_saveexec_b64 s[14:15], s[36:37]
	s_cbranch_execz .LBB29_354
; %bb.353:
	v_mov_b32_e32 v25, 0
	ds_read_b64 v[25:26], v25 offset:20800
	s_waitcnt lgkmcnt(0)
	v_mul_f64 v[11:12], v[11:12], v[25:26]
	v_xor_b32_e32 v26, 0x80000000, v12
	v_mov_b32_e32 v25, v11
	ds_write_b64 v18, v[25:26]
.LBB29_354:
	s_or_b64 exec, exec, s[14:15]
	s_waitcnt lgkmcnt(0)
	s_barrier
	s_barrier
	s_and_saveexec_b64 s[14:15], s[18:19]
; %bb.355:
	v_lshlrev_b32_e32 v25, 3, v16
	v_lshl_or_b32 v25, v17, 9, v25
	ds_write_b64 v25, v[11:12] offset:22848
; %bb.356:
	s_or_b64 exec, exec, s[14:15]
	s_waitcnt lgkmcnt(0)
	s_barrier
	s_barrier
	s_and_saveexec_b64 s[14:15], s[56:57]
	s_cbranch_execz .LBB29_358
; %bb.357:
	v_lshlrev_b32_e32 v25, 9, v0
	ds_read_b64 v[11:12], v25 offset:22848
	s_movk_i32 s16, 0xfe08
	v_mad_i32_i24 v26, v0, s16, v25
	s_waitcnt lgkmcnt(0)
	ds_write_b64 v26, v[11:12] offset:20832
	ds_read_b64 v[11:12], v25 offset:22856
	s_waitcnt lgkmcnt(0)
	ds_write_b64 v26, v[11:12] offset:21344
	ds_read_b64 v[11:12], v25 offset:22864
	;; [unrolled: 3-line block ×3, first 2 shown]
	s_waitcnt lgkmcnt(0)
	ds_write_b64 v26, v[11:12] offset:22368
.LBB29_358:
	s_or_b64 exec, exec, s[14:15]
	s_waitcnt lgkmcnt(0)
	s_barrier
	s_and_saveexec_b64 s[14:15], vcc
	s_cbranch_execz .LBB29_360
; %bb.359:
	v_mov_b32_e32 v11, 0
	ds_read_b128 v[25:28], v11 offset:22352
	ds_read_b64 v[11:12], v11 offset:21840
	s_movk_i32 s16, 0x5000
	s_waitcnt lgkmcnt(0)
	v_mul_f64 v[11:12], v[11:12], v[27:28]
	v_mul_f64 v[11:12], v[25:26], v[11:12]
	v_add_u32_e64 v25, s16, 0
	ds_write2_b64 v25, v[11:12], v[11:12] offset0:171 offset1:234
.LBB29_360:
	s_or_b64 exec, exec, s[14:15]
	v_mov_b32_e32 v11, 0
	v_mov_b32_e32 v12, 0
	s_waitcnt lgkmcnt(0)
	s_barrier
	buffer_wbinvl1_vol
	s_and_saveexec_b64 s[16:17], s[2:3]
	s_cbranch_execz .LBB29_364
; %bb.361:
	v_lshlrev_b32_e32 v25, 9, v13
	v_lshlrev_b32_e32 v11, 3, v1
	ds_read_b64 v[11:12], v11 offset:21824
	ds_read_b64 v[25:26], v25 offset:21840
	v_cmp_gt_u32_e64 s[14:15], 2, v15
	s_waitcnt lgkmcnt(0)
	v_fma_f64 v[11:12], v[11:12], v[25:26], 0
	s_and_saveexec_b64 s[20:21], s[14:15]
	s_cbranch_execz .LBB29_363
; %bb.362:
	v_lshlrev_b32_e32 v25, 3, v0
	v_mov_b32_e32 v27, 0
	ds_read_b64 v[25:26], v25 offset:22336
	ds_read_b64 v[27:28], v27 offset:22360
	s_waitcnt lgkmcnt(0)
	v_fma_f64 v[11:12], v[25:26], v[27:28], v[11:12]
.LBB29_363:
	s_or_b64 exec, exec, s[20:21]
.LBB29_364:
	s_or_b64 exec, exec, s[16:17]
	s_and_saveexec_b64 s[14:15], s[30:31]
	s_cbranch_execz .LBB29_366
; %bb.365:
	v_mov_b32_e32 v25, 0
	ds_read_b64 v[25:26], v25 offset:21320
	s_waitcnt lgkmcnt(0)
	v_mul_f64 v[11:12], v[11:12], v[25:26]
	v_xor_b32_e32 v26, 0x80000000, v12
	v_mov_b32_e32 v25, v11
	ds_write_b64 v14, v[25:26]
.LBB29_366:
	s_or_b64 exec, exec, s[14:15]
	s_waitcnt lgkmcnt(0)
	s_barrier
	s_and_saveexec_b64 s[14:15], s[28:29]
	s_cbranch_execz .LBB29_368
; %bb.367:
	v_mov_b32_e32 v25, 0
	ds_read_b64 v[25:26], v25 offset:21312
	ds_read_b64 v[27:28], v14
	s_waitcnt lgkmcnt(0)
	v_fma_f64 v[11:12], -v[25:26], v[27:28], v[11:12]
.LBB29_368:
	s_or_b64 exec, exec, s[14:15]
	s_barrier
	s_and_saveexec_b64 s[14:15], s[28:29]
	s_cbranch_execz .LBB29_370
; %bb.369:
	v_mov_b32_e32 v25, 0
	ds_read_b64 v[25:26], v25 offset:20800
	s_waitcnt lgkmcnt(0)
	v_mul_f64 v[11:12], v[11:12], v[25:26]
	v_xor_b32_e32 v26, 0x80000000, v12
	v_mov_b32_e32 v25, v11
	ds_write_b64 v14, v[25:26]
.LBB29_370:
	s_or_b64 exec, exec, s[14:15]
	s_waitcnt lgkmcnt(0)
	s_barrier
	s_barrier
	s_and_saveexec_b64 s[14:15], s[2:3]
; %bb.371:
	v_lshlrev_b32_e32 v25, 3, v1
	v_lshl_or_b32 v25, v13, 9, v25
	ds_write_b64 v25, v[11:12] offset:21824
; %bb.372:
	s_or_b64 exec, exec, s[14:15]
	s_waitcnt lgkmcnt(0)
	s_barrier
	s_barrier
	s_and_saveexec_b64 s[14:15], s[34:35]
	s_cbranch_execz .LBB29_374
; %bb.373:
	v_lshlrev_b32_e32 v25, 3, v0
	s_movk_i32 s16, 0x1f8
	v_mad_u32_u24 v26, v0, s16, v25
	ds_read_b64 v[11:12], v26 offset:21824
	s_waitcnt lgkmcnt(0)
	ds_write_b64 v25, v[11:12] offset:20816
	ds_read_b64 v[11:12], v26 offset:21832
	s_waitcnt lgkmcnt(0)
	ds_write_b64 v25, v[11:12] offset:21328
.LBB29_374:
	s_or_b64 exec, exec, s[14:15]
	s_waitcnt lgkmcnt(0)
	s_barrier
	s_and_saveexec_b64 s[14:15], vcc
	s_cbranch_execz .LBB29_376
; %bb.375:
	v_mov_b32_e32 v11, 0
	ds_read_b128 v[25:28], v11 offset:21312
	ds_read_b64 v[11:12], v11 offset:20800
	s_movk_i32 s16, 0x5000
	s_waitcnt lgkmcnt(0)
	v_mul_f64 v[11:12], v[11:12], v[27:28]
	v_mul_f64 v[11:12], v[25:26], v[11:12]
	v_add_u32_e64 v25, s16, 0
	ds_write2_b64 v25, v[11:12], v[11:12] offset0:41 offset1:104
.LBB29_376:
	s_or_b64 exec, exec, s[14:15]
	v_mov_b32_e32 v11, 0
	v_mov_b32_e32 v12, 0
	s_waitcnt lgkmcnt(0)
	s_barrier
	buffer_wbinvl1_vol
	s_and_saveexec_b64 s[16:17], s[8:9]
	s_cbranch_execz .LBB29_386
; %bb.377:
	v_lshlrev_b32_e32 v26, 3, v19
	v_lshlrev_b32_e32 v25, 9, v20
	ds_read_b64 v[11:12], v26 offset:20736
	ds_read_b64 v[27:28], v25 offset:20800
	v_cmp_gt_u32_e64 s[14:15], 56, v15
	s_waitcnt lgkmcnt(0)
	v_fma_f64 v[11:12], v[11:12], v[27:28], 0
	s_and_saveexec_b64 s[20:21], s[14:15]
	s_cbranch_execnz .LBB29_1114
; %bb.378:
	s_or_b64 exec, exec, s[20:21]
	v_cmp_gt_u32_e64 s[14:15], 48, v15
	s_and_saveexec_b64 s[20:21], s[14:15]
	s_cbranch_execnz .LBB29_1115
.LBB29_379:
	s_or_b64 exec, exec, s[20:21]
	v_cmp_gt_u32_e64 s[14:15], 40, v15
	s_and_saveexec_b64 s[20:21], s[14:15]
	s_cbranch_execnz .LBB29_1116
.LBB29_380:
	s_or_b64 exec, exec, s[20:21]
	v_cmp_gt_u32_e64 s[14:15], 32, v15
	s_and_saveexec_b64 s[20:21], s[14:15]
	s_cbranch_execnz .LBB29_1117
.LBB29_381:
	s_or_b64 exec, exec, s[20:21]
	v_cmp_gt_u32_e64 s[14:15], 24, v15
	s_and_saveexec_b64 s[20:21], s[14:15]
	s_cbranch_execnz .LBB29_1118
.LBB29_382:
	s_or_b64 exec, exec, s[20:21]
	s_and_saveexec_b64 s[14:15], s[18:19]
	s_cbranch_execnz .LBB29_1119
.LBB29_383:
	s_or_b64 exec, exec, s[14:15]
	v_cmp_gt_u32_e64 s[14:15], 8, v15
	s_and_saveexec_b64 s[20:21], s[14:15]
	s_cbranch_execz .LBB29_385
.LBB29_384:
	v_lshlrev_b32_e32 v25, 3, v0
	v_mov_b32_e32 v27, 0
	ds_read_b64 v[25:26], v25 offset:24320
	ds_read_b64 v[27:28], v27 offset:24440
	s_waitcnt lgkmcnt(0)
	v_fma_f64 v[11:12], v[25:26], v[27:28], v[11:12]
.LBB29_385:
	s_or_b64 exec, exec, s[20:21]
.LBB29_386:
	s_or_b64 exec, exec, s[16:17]
	s_and_saveexec_b64 s[14:15], s[58:59]
	s_cbranch_execz .LBB29_388
; %bb.387:
	v_mov_b32_e32 v25, 0
	ds_read_b64 v[25:26], v25 offset:20280
	s_waitcnt lgkmcnt(0)
	v_mul_f64 v[11:12], v[11:12], v[25:26]
	v_xor_b32_e32 v26, 0x80000000, v12
	v_mov_b32_e32 v25, v11
	ds_write_b64 v21, v[25:26]
.LBB29_388:
	s_or_b64 exec, exec, s[14:15]
	s_waitcnt lgkmcnt(0)
	s_barrier
	s_and_saveexec_b64 s[14:15], s[60:61]
	s_cbranch_execz .LBB29_390
; %bb.389:
	v_lshlrev_b32_e32 v25, 3, v19
	ds_read_b64 v[25:26], v25 offset:20224
	ds_read_b64 v[27:28], v21
	s_waitcnt lgkmcnt(0)
	v_fma_f64 v[11:12], -v[25:26], v[27:28], v[11:12]
.LBB29_390:
	s_or_b64 exec, exec, s[14:15]
	s_barrier
	s_and_saveexec_b64 s[14:15], s[62:63]
	s_cbranch_execz .LBB29_392
; %bb.391:
	v_mov_b32_e32 v25, 0
	ds_read_b64 v[25:26], v25 offset:19760
	s_waitcnt lgkmcnt(0)
	v_mul_f64 v[11:12], v[11:12], v[25:26]
	v_xor_b32_e32 v26, 0x80000000, v12
	v_mov_b32_e32 v25, v11
	ds_write_b64 v21, v[25:26]
.LBB29_392:
	s_or_b64 exec, exec, s[14:15]
	s_waitcnt lgkmcnt(0)
	s_barrier
	s_and_saveexec_b64 s[14:15], s[64:65]
	s_cbranch_execz .LBB29_394
; %bb.393:
	v_lshlrev_b32_e32 v25, 3, v19
	ds_read_b64 v[25:26], v25 offset:19712
	ds_read_b64 v[27:28], v21
	s_waitcnt lgkmcnt(0)
	v_fma_f64 v[11:12], -v[25:26], v[27:28], v[11:12]
.LBB29_394:
	s_or_b64 exec, exec, s[14:15]
	s_barrier
	;; [unrolled: 25-line block ×6, first 2 shown]
	s_and_saveexec_b64 s[14:15], s[84:85]
	s_cbranch_execz .LBB29_412
; %bb.411:
	v_mov_b32_e32 v25, 0
	ds_read_b64 v[25:26], v25 offset:17160
	s_waitcnt lgkmcnt(0)
	v_mul_f64 v[11:12], v[11:12], v[25:26]
	v_xor_b32_e32 v26, 0x80000000, v12
	v_mov_b32_e32 v25, v11
	ds_write_b64 v21, v[25:26]
.LBB29_412:
	s_or_b64 exec, exec, s[14:15]
	s_waitcnt lgkmcnt(0)
	s_barrier
	s_and_saveexec_b64 s[14:15], s[68:69]
	s_cbranch_execz .LBB29_414
; %bb.413:
	v_mov_b32_e32 v25, 0
	ds_read_b64 v[25:26], v25 offset:17152
	ds_read_b64 v[27:28], v21
	s_waitcnt lgkmcnt(0)
	v_fma_f64 v[11:12], -v[25:26], v[27:28], v[11:12]
.LBB29_414:
	s_or_b64 exec, exec, s[14:15]
	s_barrier
	s_and_saveexec_b64 s[14:15], s[68:69]
	s_cbranch_execz .LBB29_416
; %bb.415:
	v_mov_b32_e32 v25, 0
	ds_read_b64 v[25:26], v25 offset:16640
	s_waitcnt lgkmcnt(0)
	v_mul_f64 v[11:12], v[11:12], v[25:26]
	v_xor_b32_e32 v26, 0x80000000, v12
	v_mov_b32_e32 v25, v11
	ds_write_b64 v21, v[25:26]
.LBB29_416:
	s_or_b64 exec, exec, s[14:15]
	s_waitcnt lgkmcnt(0)
	s_barrier
	s_barrier
	s_and_saveexec_b64 s[14:15], s[8:9]
; %bb.417:
	v_lshlrev_b32_e32 v25, 3, v19
	v_lshl_or_b32 v25, v20, 9, v25
	ds_write_b64 v25, v[11:12] offset:20736
; %bb.418:
	s_or_b64 exec, exec, s[14:15]
	s_waitcnt lgkmcnt(0)
	s_barrier
	s_barrier
	s_and_saveexec_b64 s[14:15], s[86:87]
	s_cbranch_execz .LBB29_420
; %bb.419:
	v_lshlrev_b32_e32 v25, 9, v0
	ds_read_b64 v[11:12], v25 offset:20736
	s_movk_i32 s16, 0xfe08
	v_mad_i32_i24 v26, v0, s16, v25
	s_waitcnt lgkmcnt(0)
	ds_write_b64 v26, v[11:12] offset:16704
	ds_read_b64 v[11:12], v25 offset:20744
	s_waitcnt lgkmcnt(0)
	ds_write_b64 v26, v[11:12] offset:17216
	ds_read_b64 v[11:12], v25 offset:20752
	;; [unrolled: 3-line block ×7, first 2 shown]
	s_waitcnt lgkmcnt(0)
	ds_write_b64 v26, v[11:12] offset:20288
.LBB29_420:
	s_or_b64 exec, exec, s[14:15]
	s_waitcnt lgkmcnt(0)
	s_barrier
	s_and_saveexec_b64 s[14:15], vcc
	s_cbranch_execz .LBB29_422
; %bb.421:
	v_mov_b32_e32 v11, 0
	ds_read_b128 v[25:28], v11 offset:20272
	ds_read_b64 v[11:12], v11 offset:19760
	s_movk_i32 s16, 0x4800
	s_waitcnt lgkmcnt(0)
	v_mul_f64 v[11:12], v[11:12], v[27:28]
	v_mul_f64 v[11:12], v[25:26], v[11:12]
	v_add_u32_e64 v25, s16, 0
	ds_write2_b64 v25, v[11:12], v[11:12] offset0:167 offset1:230
.LBB29_422:
	s_or_b64 exec, exec, s[14:15]
	v_mov_b32_e32 v11, 0
	v_mov_b32_e32 v12, 0
	s_waitcnt lgkmcnt(0)
	s_barrier
	buffer_wbinvl1_vol
	s_and_saveexec_b64 s[16:17], s[2:3]
	s_cbranch_execz .LBB29_426
; %bb.423:
	v_lshlrev_b32_e32 v25, 9, v13
	v_lshlrev_b32_e32 v11, 3, v1
	ds_read_b64 v[11:12], v11 offset:19744
	ds_read_b64 v[25:26], v25 offset:19760
	v_cmp_gt_u32_e64 s[14:15], 2, v15
	s_waitcnt lgkmcnt(0)
	v_fma_f64 v[11:12], v[11:12], v[25:26], 0
	s_and_saveexec_b64 s[20:21], s[14:15]
	s_cbranch_execz .LBB29_425
; %bb.424:
	v_lshlrev_b32_e32 v25, 3, v0
	v_mov_b32_e32 v27, 0
	ds_read_b64 v[25:26], v25 offset:20256
	ds_read_b64 v[27:28], v27 offset:20280
	s_waitcnt lgkmcnt(0)
	v_fma_f64 v[11:12], v[25:26], v[27:28], v[11:12]
.LBB29_425:
	s_or_b64 exec, exec, s[20:21]
.LBB29_426:
	s_or_b64 exec, exec, s[16:17]
	s_and_saveexec_b64 s[14:15], s[30:31]
	s_cbranch_execz .LBB29_428
; %bb.427:
	v_mov_b32_e32 v25, 0
	ds_read_b64 v[25:26], v25 offset:19240
	s_waitcnt lgkmcnt(0)
	v_mul_f64 v[11:12], v[11:12], v[25:26]
	v_xor_b32_e32 v26, 0x80000000, v12
	v_mov_b32_e32 v25, v11
	ds_write_b64 v14, v[25:26]
.LBB29_428:
	s_or_b64 exec, exec, s[14:15]
	s_waitcnt lgkmcnt(0)
	s_barrier
	s_and_saveexec_b64 s[14:15], s[28:29]
	s_cbranch_execz .LBB29_430
; %bb.429:
	v_mov_b32_e32 v25, 0
	ds_read_b64 v[25:26], v25 offset:19232
	ds_read_b64 v[27:28], v14
	s_waitcnt lgkmcnt(0)
	v_fma_f64 v[11:12], -v[25:26], v[27:28], v[11:12]
.LBB29_430:
	s_or_b64 exec, exec, s[14:15]
	s_barrier
	s_and_saveexec_b64 s[14:15], s[28:29]
	s_cbranch_execz .LBB29_432
; %bb.431:
	v_mov_b32_e32 v25, 0
	ds_read_b64 v[25:26], v25 offset:18720
	s_waitcnt lgkmcnt(0)
	v_mul_f64 v[11:12], v[11:12], v[25:26]
	v_xor_b32_e32 v26, 0x80000000, v12
	v_mov_b32_e32 v25, v11
	ds_write_b64 v14, v[25:26]
.LBB29_432:
	s_or_b64 exec, exec, s[14:15]
	s_waitcnt lgkmcnt(0)
	s_barrier
	s_barrier
	s_and_saveexec_b64 s[14:15], s[2:3]
; %bb.433:
	v_lshlrev_b32_e32 v25, 3, v1
	v_lshl_or_b32 v25, v13, 9, v25
	ds_write_b64 v25, v[11:12] offset:19744
; %bb.434:
	s_or_b64 exec, exec, s[14:15]
	s_waitcnt lgkmcnt(0)
	s_barrier
	s_barrier
	s_and_saveexec_b64 s[14:15], s[34:35]
	s_cbranch_execz .LBB29_436
; %bb.435:
	v_lshlrev_b32_e32 v25, 3, v0
	s_movk_i32 s16, 0x1f8
	v_mad_u32_u24 v26, v0, s16, v25
	ds_read_b64 v[11:12], v26 offset:19744
	s_waitcnt lgkmcnt(0)
	ds_write_b64 v25, v[11:12] offset:18736
	ds_read_b64 v[11:12], v26 offset:19752
	s_waitcnt lgkmcnt(0)
	ds_write_b64 v25, v[11:12] offset:19248
.LBB29_436:
	s_or_b64 exec, exec, s[14:15]
	s_waitcnt lgkmcnt(0)
	s_barrier
	s_and_saveexec_b64 s[14:15], vcc
	s_cbranch_execz .LBB29_438
; %bb.437:
	v_mov_b32_e32 v11, 0
	ds_read_b128 v[25:28], v11 offset:19232
	ds_read_b64 v[11:12], v11 offset:18720
	s_movk_i32 s16, 0x4800
	s_waitcnt lgkmcnt(0)
	v_mul_f64 v[11:12], v[11:12], v[27:28]
	v_mul_f64 v[11:12], v[25:26], v[11:12]
	v_add_u32_e64 v25, s16, 0
	ds_write2_b64 v25, v[11:12], v[11:12] offset0:37 offset1:100
.LBB29_438:
	s_or_b64 exec, exec, s[14:15]
	v_mov_b32_e32 v11, 0
	v_mov_b32_e32 v12, 0
	s_waitcnt lgkmcnt(0)
	s_barrier
	buffer_wbinvl1_vol
	s_and_saveexec_b64 s[16:17], s[18:19]
	s_cbranch_execz .LBB29_444
; %bb.439:
	v_lshlrev_b32_e32 v26, 3, v16
	v_lshlrev_b32_e32 v25, 9, v17
	ds_read_b64 v[11:12], v26 offset:18688
	ds_read_b64 v[27:28], v25 offset:18720
	v_cmp_gt_u32_e64 s[14:15], 12, v15
	s_waitcnt lgkmcnt(0)
	v_fma_f64 v[11:12], v[11:12], v[27:28], 0
	s_and_saveexec_b64 s[20:21], s[14:15]
	s_cbranch_execnz .LBB29_1120
; %bb.440:
	s_or_b64 exec, exec, s[20:21]
	v_cmp_gt_u32_e64 s[14:15], 8, v15
	s_and_saveexec_b64 s[20:21], s[14:15]
	s_cbranch_execnz .LBB29_1121
.LBB29_441:
	s_or_b64 exec, exec, s[20:21]
	v_cmp_gt_u32_e64 s[14:15], 4, v15
	s_and_saveexec_b64 s[20:21], s[14:15]
	s_cbranch_execz .LBB29_443
.LBB29_442:
	v_lshlrev_b32_e32 v25, 3, v0
	v_mov_b32_e32 v27, 0
	ds_read_b64 v[25:26], v25 offset:20224
	ds_read_b64 v[27:28], v27 offset:20280
	s_waitcnt lgkmcnt(0)
	v_fma_f64 v[11:12], v[25:26], v[27:28], v[11:12]
.LBB29_443:
	s_or_b64 exec, exec, s[20:21]
.LBB29_444:
	s_or_b64 exec, exec, s[16:17]
	s_and_saveexec_b64 s[14:15], s[38:39]
	s_cbranch_execz .LBB29_446
; %bb.445:
	v_mov_b32_e32 v25, 0
	ds_read_b64 v[25:26], v25 offset:18200
	s_waitcnt lgkmcnt(0)
	v_mul_f64 v[11:12], v[11:12], v[25:26]
	v_xor_b32_e32 v26, 0x80000000, v12
	v_mov_b32_e32 v25, v11
	ds_write_b64 v18, v[25:26]
.LBB29_446:
	s_or_b64 exec, exec, s[14:15]
	s_waitcnt lgkmcnt(0)
	s_barrier
	s_and_saveexec_b64 s[14:15], s[42:43]
	s_cbranch_execz .LBB29_448
; %bb.447:
	v_lshlrev_b32_e32 v25, 3, v16
	ds_read_b64 v[25:26], v25 offset:18176
	ds_read_b64 v[27:28], v18
	s_waitcnt lgkmcnt(0)
	v_fma_f64 v[11:12], -v[25:26], v[27:28], v[11:12]
.LBB29_448:
	s_or_b64 exec, exec, s[14:15]
	s_barrier
	s_and_saveexec_b64 s[14:15], s[44:45]
	s_cbranch_execz .LBB29_450
; %bb.449:
	v_mov_b32_e32 v25, 0
	ds_read_b64 v[25:26], v25 offset:17680
	s_waitcnt lgkmcnt(0)
	v_mul_f64 v[11:12], v[11:12], v[25:26]
	v_xor_b32_e32 v26, 0x80000000, v12
	v_mov_b32_e32 v25, v11
	ds_write_b64 v18, v[25:26]
.LBB29_450:
	s_or_b64 exec, exec, s[14:15]
	s_waitcnt lgkmcnt(0)
	s_barrier
	s_and_saveexec_b64 s[14:15], s[52:53]
	s_cbranch_execz .LBB29_452
; %bb.451:
	v_lshlrev_b32_e32 v25, 3, v16
	ds_read_b64 v[25:26], v25 offset:17664
	ds_read_b64 v[27:28], v18
	s_waitcnt lgkmcnt(0)
	v_fma_f64 v[11:12], -v[25:26], v[27:28], v[11:12]
.LBB29_452:
	s_or_b64 exec, exec, s[14:15]
	s_barrier
	s_and_saveexec_b64 s[14:15], s[54:55]
	s_cbranch_execz .LBB29_454
; %bb.453:
	v_mov_b32_e32 v25, 0
	ds_read_b64 v[25:26], v25 offset:17160
	s_waitcnt lgkmcnt(0)
	v_mul_f64 v[11:12], v[11:12], v[25:26]
	v_xor_b32_e32 v26, 0x80000000, v12
	v_mov_b32_e32 v25, v11
	ds_write_b64 v18, v[25:26]
.LBB29_454:
	s_or_b64 exec, exec, s[14:15]
	s_waitcnt lgkmcnt(0)
	s_barrier
	s_and_saveexec_b64 s[14:15], s[36:37]
	s_cbranch_execz .LBB29_456
; %bb.455:
	v_mov_b32_e32 v25, 0
	ds_read_b64 v[25:26], v25 offset:17152
	ds_read_b64 v[27:28], v18
	s_waitcnt lgkmcnt(0)
	v_fma_f64 v[11:12], -v[25:26], v[27:28], v[11:12]
.LBB29_456:
	s_or_b64 exec, exec, s[14:15]
	s_barrier
	s_and_saveexec_b64 s[14:15], s[36:37]
	s_cbranch_execz .LBB29_458
; %bb.457:
	v_mov_b32_e32 v25, 0
	ds_read_b64 v[25:26], v25 offset:16640
	s_waitcnt lgkmcnt(0)
	v_mul_f64 v[11:12], v[11:12], v[25:26]
	v_xor_b32_e32 v26, 0x80000000, v12
	v_mov_b32_e32 v25, v11
	ds_write_b64 v18, v[25:26]
.LBB29_458:
	s_or_b64 exec, exec, s[14:15]
	s_waitcnt lgkmcnt(0)
	s_barrier
	s_barrier
	s_and_saveexec_b64 s[14:15], s[18:19]
; %bb.459:
	v_lshlrev_b32_e32 v25, 3, v16
	v_lshl_or_b32 v25, v17, 9, v25
	ds_write_b64 v25, v[11:12] offset:18688
; %bb.460:
	s_or_b64 exec, exec, s[14:15]
	s_waitcnt lgkmcnt(0)
	s_barrier
	s_barrier
	s_and_saveexec_b64 s[14:15], s[56:57]
	s_cbranch_execz .LBB29_462
; %bb.461:
	v_lshlrev_b32_e32 v25, 9, v0
	ds_read_b64 v[11:12], v25 offset:18688
	s_movk_i32 s16, 0xfe08
	v_mad_i32_i24 v26, v0, s16, v25
	s_waitcnt lgkmcnt(0)
	ds_write_b64 v26, v[11:12] offset:16672
	ds_read_b64 v[11:12], v25 offset:18696
	s_waitcnt lgkmcnt(0)
	ds_write_b64 v26, v[11:12] offset:17184
	ds_read_b64 v[11:12], v25 offset:18704
	s_waitcnt lgkmcnt(0)
	ds_write_b64 v26, v[11:12] offset:17696
	ds_read_b64 v[11:12], v25 offset:18712
	s_waitcnt lgkmcnt(0)
	ds_write_b64 v26, v[11:12] offset:18208
.LBB29_462:
	s_or_b64 exec, exec, s[14:15]
	s_waitcnt lgkmcnt(0)
	s_barrier
	s_and_saveexec_b64 s[14:15], vcc
	s_cbranch_execz .LBB29_464
; %bb.463:
	v_mov_b32_e32 v11, 0
	ds_read_b128 v[25:28], v11 offset:18192
	ds_read_b64 v[11:12], v11 offset:17680
	s_movk_i32 s16, 0x4000
	s_waitcnt lgkmcnt(0)
	v_mul_f64 v[11:12], v[11:12], v[27:28]
	v_mul_f64 v[11:12], v[25:26], v[11:12]
	v_add_u32_e64 v25, s16, 0
	ds_write2_b64 v25, v[11:12], v[11:12] offset0:163 offset1:226
.LBB29_464:
	s_or_b64 exec, exec, s[14:15]
	v_mov_b32_e32 v11, 0
	v_mov_b32_e32 v12, 0
	s_waitcnt lgkmcnt(0)
	s_barrier
	buffer_wbinvl1_vol
	s_and_saveexec_b64 s[16:17], s[2:3]
	s_cbranch_execz .LBB29_468
; %bb.465:
	v_lshlrev_b32_e32 v25, 9, v13
	v_lshlrev_b32_e32 v11, 3, v1
	ds_read_b64 v[11:12], v11 offset:17664
	ds_read_b64 v[25:26], v25 offset:17680
	v_cmp_gt_u32_e64 s[14:15], 2, v15
	s_waitcnt lgkmcnt(0)
	v_fma_f64 v[11:12], v[11:12], v[25:26], 0
	s_and_saveexec_b64 s[20:21], s[14:15]
	s_cbranch_execz .LBB29_467
; %bb.466:
	v_lshlrev_b32_e32 v25, 3, v0
	v_mov_b32_e32 v27, 0
	ds_read_b64 v[25:26], v25 offset:18176
	ds_read_b64 v[27:28], v27 offset:18200
	s_waitcnt lgkmcnt(0)
	v_fma_f64 v[11:12], v[25:26], v[27:28], v[11:12]
.LBB29_467:
	s_or_b64 exec, exec, s[20:21]
.LBB29_468:
	s_or_b64 exec, exec, s[16:17]
	s_and_saveexec_b64 s[14:15], s[30:31]
	s_cbranch_execz .LBB29_470
; %bb.469:
	v_mov_b32_e32 v25, 0
	ds_read_b64 v[25:26], v25 offset:17160
	s_waitcnt lgkmcnt(0)
	v_mul_f64 v[11:12], v[11:12], v[25:26]
	v_xor_b32_e32 v26, 0x80000000, v12
	v_mov_b32_e32 v25, v11
	ds_write_b64 v14, v[25:26]
.LBB29_470:
	s_or_b64 exec, exec, s[14:15]
	s_waitcnt lgkmcnt(0)
	s_barrier
	s_and_saveexec_b64 s[14:15], s[28:29]
	s_cbranch_execz .LBB29_472
; %bb.471:
	v_mov_b32_e32 v25, 0
	ds_read_b64 v[25:26], v25 offset:17152
	ds_read_b64 v[27:28], v14
	s_waitcnt lgkmcnt(0)
	v_fma_f64 v[11:12], -v[25:26], v[27:28], v[11:12]
.LBB29_472:
	s_or_b64 exec, exec, s[14:15]
	s_barrier
	s_and_saveexec_b64 s[14:15], s[28:29]
	s_cbranch_execz .LBB29_474
; %bb.473:
	v_mov_b32_e32 v25, 0
	ds_read_b64 v[25:26], v25 offset:16640
	s_waitcnt lgkmcnt(0)
	v_mul_f64 v[11:12], v[11:12], v[25:26]
	v_xor_b32_e32 v26, 0x80000000, v12
	v_mov_b32_e32 v25, v11
	ds_write_b64 v14, v[25:26]
.LBB29_474:
	s_or_b64 exec, exec, s[14:15]
	s_waitcnt lgkmcnt(0)
	s_barrier
	s_barrier
	s_and_saveexec_b64 s[14:15], s[2:3]
; %bb.475:
	v_lshlrev_b32_e32 v25, 3, v1
	v_lshl_or_b32 v25, v13, 9, v25
	ds_write_b64 v25, v[11:12] offset:17664
; %bb.476:
	s_or_b64 exec, exec, s[14:15]
	s_waitcnt lgkmcnt(0)
	s_barrier
	s_barrier
	s_and_saveexec_b64 s[14:15], s[34:35]
	s_cbranch_execz .LBB29_478
; %bb.477:
	v_lshlrev_b32_e32 v25, 3, v0
	s_movk_i32 s16, 0x1f8
	v_mad_u32_u24 v26, v0, s16, v25
	ds_read_b64 v[11:12], v26 offset:17664
	s_waitcnt lgkmcnt(0)
	ds_write_b64 v25, v[11:12] offset:16656
	ds_read_b64 v[11:12], v26 offset:17672
	s_waitcnt lgkmcnt(0)
	ds_write_b64 v25, v[11:12] offset:17168
.LBB29_478:
	s_or_b64 exec, exec, s[14:15]
	s_waitcnt lgkmcnt(0)
	s_barrier
	s_and_saveexec_b64 s[14:15], vcc
	s_cbranch_execz .LBB29_480
; %bb.479:
	v_mov_b32_e32 v11, 0
	ds_read_b128 v[25:28], v11 offset:17152
	ds_read_b64 v[11:12], v11 offset:16640
	s_movk_i32 s16, 0x4000
	s_waitcnt lgkmcnt(0)
	v_mul_f64 v[11:12], v[11:12], v[27:28]
	v_mul_f64 v[11:12], v[25:26], v[11:12]
	v_add_u32_e64 v25, s16, 0
	ds_write2_b64 v25, v[11:12], v[11:12] offset0:33 offset1:96
.LBB29_480:
	s_or_b64 exec, exec, s[14:15]
	s_movk_i32 s14, 0x3ff
	v_lshrrev_b32_e32 v27, 5, v15
	v_cmp_lt_u32_e64 s[16:17], s14, v15
	s_movk_i32 s14, 0x400
	v_mov_b32_e32 v11, 0
	v_and_b32_e32 v25, 31, v0
	v_sub_u32_e32 v26, 31, v27
	v_mov_b32_e32 v12, 0
	v_cmp_gt_u32_e64 s[14:15], s14, v15
	s_waitcnt lgkmcnt(0)
	s_barrier
	buffer_wbinvl1_vol
	s_and_saveexec_b64 s[92:93], s[14:15]
	s_cbranch_execz .LBB29_542
; %bb.481:
	v_lshlrev_b32_e32 v29, 3, v25
	v_lshlrev_b32_e32 v28, 9, v26
	ds_read_b64 v[11:12], v29 offset:16384
	ds_read_b64 v[30:31], v28 offset:16640
	s_movk_i32 s20, 0x3e0
	v_cmp_gt_u32_e64 s[20:21], s20, v15
	s_waitcnt lgkmcnt(0)
	v_fma_f64 v[11:12], v[11:12], v[30:31], 0
	s_and_saveexec_b64 s[26:27], s[20:21]
	s_cbranch_execz .LBB29_483
; %bb.482:
	ds_read_b64 v[30:31], v29 offset:16896
	ds_read_b64 v[32:33], v28 offset:16648
	s_waitcnt lgkmcnt(0)
	v_fma_f64 v[11:12], v[30:31], v[32:33], v[11:12]
.LBB29_483:
	s_or_b64 exec, exec, s[26:27]
	s_movk_i32 s20, 0x3c0
	v_cmp_gt_u32_e64 s[20:21], s20, v15
	s_and_saveexec_b64 s[26:27], s[20:21]
	s_cbranch_execz .LBB29_485
; %bb.484:
	ds_read_b64 v[30:31], v29 offset:17408
	ds_read_b64 v[32:33], v28 offset:16656
	s_waitcnt lgkmcnt(0)
	v_fma_f64 v[11:12], v[30:31], v[32:33], v[11:12]
.LBB29_485:
	s_or_b64 exec, exec, s[26:27]
	s_movk_i32 s20, 0x3a0
	v_cmp_gt_u32_e64 s[20:21], s20, v15
	s_and_saveexec_b64 s[26:27], s[20:21]
	s_cbranch_execz .LBB29_487
; %bb.486:
	ds_read_b64 v[30:31], v29 offset:17920
	ds_read_b64 v[32:33], v28 offset:16664
	s_waitcnt lgkmcnt(0)
	v_fma_f64 v[11:12], v[30:31], v[32:33], v[11:12]
.LBB29_487:
	s_or_b64 exec, exec, s[26:27]
	s_movk_i32 s20, 0x380
	v_cmp_gt_u32_e64 s[20:21], s20, v15
	s_and_saveexec_b64 s[26:27], s[20:21]
	s_cbranch_execz .LBB29_489
; %bb.488:
	ds_read_b64 v[30:31], v29 offset:18432
	ds_read_b64 v[32:33], v28 offset:16672
	s_waitcnt lgkmcnt(0)
	v_fma_f64 v[11:12], v[30:31], v[32:33], v[11:12]
.LBB29_489:
	s_or_b64 exec, exec, s[26:27]
	s_movk_i32 s20, 0x360
	v_cmp_gt_u32_e64 s[20:21], s20, v15
	s_and_saveexec_b64 s[26:27], s[20:21]
	s_cbranch_execz .LBB29_491
; %bb.490:
	ds_read_b64 v[30:31], v29 offset:18944
	ds_read_b64 v[32:33], v28 offset:16680
	s_waitcnt lgkmcnt(0)
	v_fma_f64 v[11:12], v[30:31], v[32:33], v[11:12]
.LBB29_491:
	s_or_b64 exec, exec, s[26:27]
	s_movk_i32 s20, 0x340
	v_cmp_gt_u32_e64 s[20:21], s20, v15
	s_and_saveexec_b64 s[26:27], s[20:21]
	s_cbranch_execz .LBB29_493
; %bb.492:
	ds_read_b64 v[30:31], v29 offset:19456
	ds_read_b64 v[32:33], v28 offset:16688
	s_waitcnt lgkmcnt(0)
	v_fma_f64 v[11:12], v[30:31], v[32:33], v[11:12]
.LBB29_493:
	s_or_b64 exec, exec, s[26:27]
	s_movk_i32 s20, 0x320
	v_cmp_gt_u32_e64 s[20:21], s20, v15
	s_and_saveexec_b64 s[26:27], s[20:21]
	s_cbranch_execz .LBB29_495
; %bb.494:
	ds_read_b64 v[30:31], v29 offset:19968
	ds_read_b64 v[32:33], v28 offset:16696
	s_waitcnt lgkmcnt(0)
	v_fma_f64 v[11:12], v[30:31], v[32:33], v[11:12]
.LBB29_495:
	s_or_b64 exec, exec, s[26:27]
	s_movk_i32 s20, 0x300
	v_cmp_gt_u32_e64 s[20:21], s20, v15
	s_and_saveexec_b64 s[26:27], s[20:21]
	s_cbranch_execz .LBB29_497
; %bb.496:
	ds_read_b64 v[30:31], v29 offset:20480
	ds_read_b64 v[32:33], v28 offset:16704
	s_waitcnt lgkmcnt(0)
	v_fma_f64 v[11:12], v[30:31], v[32:33], v[11:12]
.LBB29_497:
	s_or_b64 exec, exec, s[26:27]
	s_movk_i32 s20, 0x2e0
	v_cmp_gt_u32_e64 s[20:21], s20, v15
	s_and_saveexec_b64 s[26:27], s[20:21]
	s_cbranch_execz .LBB29_499
; %bb.498:
	ds_read_b64 v[30:31], v29 offset:20992
	ds_read_b64 v[32:33], v28 offset:16712
	s_waitcnt lgkmcnt(0)
	v_fma_f64 v[11:12], v[30:31], v[32:33], v[11:12]
.LBB29_499:
	s_or_b64 exec, exec, s[26:27]
	s_movk_i32 s20, 0x2c0
	v_cmp_gt_u32_e64 s[20:21], s20, v15
	s_and_saveexec_b64 s[26:27], s[20:21]
	s_cbranch_execz .LBB29_501
; %bb.500:
	ds_read_b64 v[30:31], v29 offset:21504
	ds_read_b64 v[32:33], v28 offset:16720
	s_waitcnt lgkmcnt(0)
	v_fma_f64 v[11:12], v[30:31], v[32:33], v[11:12]
.LBB29_501:
	s_or_b64 exec, exec, s[26:27]
	s_movk_i32 s20, 0x2a0
	v_cmp_gt_u32_e64 s[20:21], s20, v15
	s_and_saveexec_b64 s[26:27], s[20:21]
	s_cbranch_execz .LBB29_503
; %bb.502:
	ds_read_b64 v[30:31], v29 offset:22016
	ds_read_b64 v[32:33], v28 offset:16728
	s_waitcnt lgkmcnt(0)
	v_fma_f64 v[11:12], v[30:31], v[32:33], v[11:12]
.LBB29_503:
	s_or_b64 exec, exec, s[26:27]
	s_movk_i32 s20, 0x280
	v_cmp_gt_u32_e64 s[20:21], s20, v15
	s_and_saveexec_b64 s[26:27], s[20:21]
	s_cbranch_execz .LBB29_505
; %bb.504:
	ds_read_b64 v[30:31], v29 offset:22528
	ds_read_b64 v[32:33], v28 offset:16736
	s_waitcnt lgkmcnt(0)
	v_fma_f64 v[11:12], v[30:31], v[32:33], v[11:12]
.LBB29_505:
	s_or_b64 exec, exec, s[26:27]
	s_movk_i32 s20, 0x260
	v_cmp_gt_u32_e64 s[20:21], s20, v15
	s_and_saveexec_b64 s[26:27], s[20:21]
	s_cbranch_execz .LBB29_507
; %bb.506:
	ds_read_b64 v[30:31], v29 offset:23040
	ds_read_b64 v[32:33], v28 offset:16744
	s_waitcnt lgkmcnt(0)
	v_fma_f64 v[11:12], v[30:31], v[32:33], v[11:12]
.LBB29_507:
	s_or_b64 exec, exec, s[26:27]
	s_movk_i32 s20, 0x240
	v_cmp_gt_u32_e64 s[20:21], s20, v15
	s_and_saveexec_b64 s[26:27], s[20:21]
	s_cbranch_execz .LBB29_509
; %bb.508:
	ds_read_b64 v[30:31], v29 offset:23552
	ds_read_b64 v[32:33], v28 offset:16752
	s_waitcnt lgkmcnt(0)
	v_fma_f64 v[11:12], v[30:31], v[32:33], v[11:12]
.LBB29_509:
	s_or_b64 exec, exec, s[26:27]
	s_movk_i32 s20, 0x220
	v_cmp_gt_u32_e64 s[20:21], s20, v15
	s_and_saveexec_b64 s[26:27], s[20:21]
	s_cbranch_execz .LBB29_511
; %bb.510:
	ds_read_b64 v[30:31], v29 offset:24064
	ds_read_b64 v[32:33], v28 offset:16760
	s_waitcnt lgkmcnt(0)
	v_fma_f64 v[11:12], v[30:31], v[32:33], v[11:12]
.LBB29_511:
	s_or_b64 exec, exec, s[26:27]
	s_movk_i32 s20, 0x200
	v_cmp_gt_u32_e64 s[20:21], s20, v15
	s_and_saveexec_b64 s[26:27], s[20:21]
	s_cbranch_execz .LBB29_513
; %bb.512:
	ds_read_b64 v[30:31], v29 offset:24576
	ds_read_b64 v[32:33], v28 offset:16768
	s_waitcnt lgkmcnt(0)
	v_fma_f64 v[11:12], v[30:31], v[32:33], v[11:12]
.LBB29_513:
	s_or_b64 exec, exec, s[26:27]
	s_movk_i32 s20, 0x1e0
	v_cmp_gt_u32_e64 s[20:21], s20, v15
	s_and_saveexec_b64 s[26:27], s[20:21]
	s_cbranch_execz .LBB29_515
; %bb.514:
	ds_read_b64 v[30:31], v29 offset:25088
	ds_read_b64 v[32:33], v28 offset:16776
	s_waitcnt lgkmcnt(0)
	v_fma_f64 v[11:12], v[30:31], v[32:33], v[11:12]
.LBB29_515:
	s_or_b64 exec, exec, s[26:27]
	s_movk_i32 s20, 0x1c0
	v_cmp_gt_u32_e64 s[20:21], s20, v15
	s_and_saveexec_b64 s[26:27], s[20:21]
	s_cbranch_execz .LBB29_517
; %bb.516:
	ds_read_b64 v[30:31], v29 offset:25600
	ds_read_b64 v[32:33], v28 offset:16784
	s_waitcnt lgkmcnt(0)
	v_fma_f64 v[11:12], v[30:31], v[32:33], v[11:12]
.LBB29_517:
	s_or_b64 exec, exec, s[26:27]
	s_movk_i32 s20, 0x1a0
	v_cmp_gt_u32_e64 s[20:21], s20, v15
	s_and_saveexec_b64 s[26:27], s[20:21]
	s_cbranch_execz .LBB29_519
; %bb.518:
	ds_read_b64 v[30:31], v29 offset:26112
	ds_read_b64 v[32:33], v28 offset:16792
	s_waitcnt lgkmcnt(0)
	v_fma_f64 v[11:12], v[30:31], v[32:33], v[11:12]
.LBB29_519:
	s_or_b64 exec, exec, s[26:27]
	s_movk_i32 s20, 0x180
	v_cmp_gt_u32_e64 s[20:21], s20, v15
	s_and_saveexec_b64 s[26:27], s[20:21]
	s_cbranch_execz .LBB29_521
; %bb.520:
	ds_read_b64 v[30:31], v29 offset:26624
	ds_read_b64 v[32:33], v28 offset:16800
	s_waitcnt lgkmcnt(0)
	v_fma_f64 v[11:12], v[30:31], v[32:33], v[11:12]
.LBB29_521:
	s_or_b64 exec, exec, s[26:27]
	s_movk_i32 s20, 0x160
	v_cmp_gt_u32_e64 s[20:21], s20, v15
	s_and_saveexec_b64 s[26:27], s[20:21]
	s_cbranch_execz .LBB29_523
; %bb.522:
	ds_read_b64 v[30:31], v29 offset:27136
	ds_read_b64 v[32:33], v28 offset:16808
	s_waitcnt lgkmcnt(0)
	v_fma_f64 v[11:12], v[30:31], v[32:33], v[11:12]
.LBB29_523:
	s_or_b64 exec, exec, s[26:27]
	s_movk_i32 s20, 0x140
	v_cmp_gt_u32_e64 s[20:21], s20, v15
	s_and_saveexec_b64 s[26:27], s[20:21]
	s_cbranch_execz .LBB29_525
; %bb.524:
	ds_read_b64 v[30:31], v29 offset:27648
	ds_read_b64 v[32:33], v28 offset:16816
	s_waitcnt lgkmcnt(0)
	v_fma_f64 v[11:12], v[30:31], v[32:33], v[11:12]
.LBB29_525:
	s_or_b64 exec, exec, s[26:27]
	s_movk_i32 s20, 0x120
	v_cmp_gt_u32_e64 s[20:21], s20, v15
	s_and_saveexec_b64 s[26:27], s[20:21]
	s_cbranch_execz .LBB29_527
; %bb.526:
	ds_read_b64 v[30:31], v29 offset:28160
	ds_read_b64 v[32:33], v28 offset:16824
	s_waitcnt lgkmcnt(0)
	v_fma_f64 v[11:12], v[30:31], v[32:33], v[11:12]
.LBB29_527:
	s_or_b64 exec, exec, s[26:27]
	s_and_saveexec_b64 s[20:21], s[10:11]
	s_cbranch_execz .LBB29_529
; %bb.528:
	ds_read_b64 v[30:31], v29 offset:28672
	ds_read_b64 v[32:33], v28 offset:16832
	s_waitcnt lgkmcnt(0)
	v_fma_f64 v[11:12], v[30:31], v[32:33], v[11:12]
.LBB29_529:
	s_or_b64 exec, exec, s[20:21]
	s_movk_i32 s20, 0xe0
	v_cmp_gt_u32_e64 s[20:21], s20, v15
	s_and_saveexec_b64 s[26:27], s[20:21]
	s_cbranch_execz .LBB29_531
; %bb.530:
	ds_read_b64 v[30:31], v29 offset:29184
	ds_read_b64 v[32:33], v28 offset:16840
	s_waitcnt lgkmcnt(0)
	v_fma_f64 v[11:12], v[30:31], v[32:33], v[11:12]
.LBB29_531:
	s_or_b64 exec, exec, s[26:27]
	s_movk_i32 s20, 0xc0
	v_cmp_gt_u32_e64 s[20:21], s20, v15
	;; [unrolled: 11-line block ×5, first 2 shown]
	s_and_saveexec_b64 s[26:27], s[20:21]
	s_cbranch_execnz .LBB29_1122
; %bb.538:
	s_or_b64 exec, exec, s[26:27]
	s_and_saveexec_b64 s[20:21], s[8:9]
	s_cbranch_execnz .LBB29_1123
.LBB29_539:
	s_or_b64 exec, exec, s[20:21]
	v_cmp_gt_u32_e64 s[20:21], 32, v15
	s_and_saveexec_b64 s[26:27], s[20:21]
	s_cbranch_execz .LBB29_541
.LBB29_540:
	v_lshlrev_b32_e32 v28, 3, v0
	v_mov_b32_e32 v30, 0
	ds_read_b64 v[28:29], v28 offset:32256
	ds_read_b64 v[30:31], v30 offset:32760
	s_waitcnt lgkmcnt(0)
	v_fma_f64 v[11:12], v[28:29], v[30:31], v[11:12]
.LBB29_541:
	s_or_b64 exec, exec, s[26:27]
.LBB29_542:
	s_or_b64 exec, exec, s[92:93]
	v_mov_b32_e32 v28, 0x8000
	s_movk_i32 s20, 0x208
	v_lshlrev_b32_e32 v29, 9, v25
	v_mov_b32_e32 v30, 0x3800
	v_lshl_add_u32 v27, v27, 3, v28
	v_mul_u32_u24_e32 v28, 0x208, v25
	v_sub_u32_e32 v29, 0, v29
	v_mad_u32_u24 v30, v25, s20, v30
	s_mov_b32 s26, 31
	s_xor_b64 s[20:21], s[16:17], -1
	s_branch .LBB29_544
.LBB29_543:                             ;   in Loop: Header=BB29_544 Depth=1
	s_or_b64 exec, exec, s[16:17]
	s_add_i32 s26, s26, -4
	s_cmp_eq_u32 s27, 0
	v_add_u32_e32 v29, 0xfffff800, v29
	s_barrier
	s_cbranch_scc1 .LBB29_560
.LBB29_544:                             ; =>This Inner Loop Header: Depth=1
	s_movk_i32 s16, 0xc200
	v_cmp_eq_u32_e64 s[16:17], s16, v29
	s_and_b64 s[92:93], s[20:21], s[16:17]
	s_and_saveexec_b64 s[16:17], s[92:93]
	s_cbranch_execz .LBB29_546
; %bb.545:                              ;   in Loop: Header=BB29_544 Depth=1
	ds_read_b64 v[31:32], v28
	s_waitcnt lgkmcnt(0)
	v_mul_f64 v[11:12], v[11:12], v[31:32]
	v_xor_b32_e32 v32, 0x80000000, v12
	v_mov_b32_e32 v31, v11
	ds_write_b64 v27, v[31:32]
.LBB29_546:                             ;   in Loop: Header=BB29_544 Depth=1
	s_or_b64 exec, exec, s[16:17]
	v_cmp_gt_u32_e64 s[16:17], s26, v25
	s_and_b64 s[92:93], s[20:21], s[16:17]
	v_add_u32_e32 v31, v30, v29
	s_waitcnt lgkmcnt(0)
	s_barrier
	s_and_saveexec_b64 s[16:17], s[92:93]
	s_cbranch_execz .LBB29_548
; %bb.547:                              ;   in Loop: Header=BB29_544 Depth=1
	ds_read_b64 v[32:33], v31 offset:1536
	ds_read_b64 v[34:35], v27
	s_waitcnt lgkmcnt(0)
	v_fma_f64 v[11:12], -v[32:33], v[34:35], v[11:12]
.LBB29_548:                             ;   in Loop: Header=BB29_544 Depth=1
	s_or_b64 exec, exec, s[16:17]
	s_add_i32 s27, s26, -1
	v_cmp_eq_u32_e64 s[16:17], s27, v25
	s_and_b64 s[92:93], s[20:21], s[16:17]
	s_barrier
	s_and_saveexec_b64 s[16:17], s[92:93]
	s_cbranch_execz .LBB29_550
; %bb.549:                              ;   in Loop: Header=BB29_544 Depth=1
	ds_read_b64 v[32:33], v28
	s_waitcnt lgkmcnt(0)
	v_mul_f64 v[11:12], v[11:12], v[32:33]
	v_xor_b32_e32 v33, 0x80000000, v12
	v_mov_b32_e32 v32, v11
	ds_write_b64 v27, v[32:33]
.LBB29_550:                             ;   in Loop: Header=BB29_544 Depth=1
	s_or_b64 exec, exec, s[16:17]
	v_cmp_gt_u32_e64 s[16:17], s27, v25
	s_and_b64 s[92:93], s[20:21], s[16:17]
	s_waitcnt lgkmcnt(0)
	s_barrier
	s_and_saveexec_b64 s[16:17], s[92:93]
	s_cbranch_execz .LBB29_552
; %bb.551:                              ;   in Loop: Header=BB29_544 Depth=1
	ds_read_b64 v[32:33], v31 offset:1024
	ds_read_b64 v[34:35], v27
	s_waitcnt lgkmcnt(0)
	v_fma_f64 v[11:12], -v[32:33], v[34:35], v[11:12]
.LBB29_552:                             ;   in Loop: Header=BB29_544 Depth=1
	s_or_b64 exec, exec, s[16:17]
	s_add_i32 s27, s26, -2
	v_cmp_eq_u32_e64 s[16:17], s27, v25
	s_and_b64 s[92:93], s[20:21], s[16:17]
	s_barrier
	s_and_saveexec_b64 s[16:17], s[92:93]
	s_cbranch_execz .LBB29_554
; %bb.553:                              ;   in Loop: Header=BB29_544 Depth=1
	ds_read_b64 v[32:33], v28
	s_waitcnt lgkmcnt(0)
	v_mul_f64 v[11:12], v[11:12], v[32:33]
	v_xor_b32_e32 v33, 0x80000000, v12
	v_mov_b32_e32 v32, v11
	ds_write_b64 v27, v[32:33]
.LBB29_554:                             ;   in Loop: Header=BB29_544 Depth=1
	s_or_b64 exec, exec, s[16:17]
	v_cmp_gt_u32_e64 s[16:17], s27, v25
	s_and_b64 s[92:93], s[20:21], s[16:17]
	;; [unrolled: 28-line block ×3, first 2 shown]
	s_waitcnt lgkmcnt(0)
	s_barrier
	s_and_saveexec_b64 s[16:17], s[92:93]
	s_cbranch_execz .LBB29_543
; %bb.559:                              ;   in Loop: Header=BB29_544 Depth=1
	ds_read_b64 v[31:32], v31
	ds_read_b64 v[33:34], v27
	s_waitcnt lgkmcnt(0)
	v_fma_f64 v[11:12], -v[31:32], v[33:34], v[11:12]
	s_branch .LBB29_543
.LBB29_560:
	s_and_saveexec_b64 s[16:17], s[14:15]
; %bb.561:
	v_lshlrev_b32_e32 v25, 3, v25
	v_lshl_or_b32 v25, v26, 9, v25
	ds_write_b64 v25, v[11:12] offset:16384
; %bb.562:
	s_or_b64 exec, exec, s[16:17]
	v_cmp_gt_u32_e64 s[14:15], 32, v0
	s_and_b64 s[14:15], s[12:13], s[14:15]
	s_waitcnt lgkmcnt(0)
	s_barrier
	s_barrier
	s_and_saveexec_b64 s[12:13], s[14:15]
	s_cbranch_execz .LBB29_564
; %bb.563:
	v_lshlrev_b32_e32 v25, 9, v0
	ds_read_b64 v[11:12], v25 offset:16384
	s_movk_i32 s14, 0xfe08
	v_mad_i32_i24 v26, v0, s14, v25
	s_waitcnt lgkmcnt(0)
	ds_write_b64 v26, v[11:12] offset:256
	ds_read_b64 v[11:12], v25 offset:16392
	s_waitcnt lgkmcnt(0)
	ds_write_b64 v26, v[11:12] offset:768
	ds_read_b64 v[11:12], v25 offset:16400
	;; [unrolled: 3-line block ×31, first 2 shown]
	s_waitcnt lgkmcnt(0)
	ds_write_b64 v26, v[11:12] offset:16128
.LBB29_564:
	s_or_b64 exec, exec, s[12:13]
	s_waitcnt lgkmcnt(0)
	s_barrier
	s_and_saveexec_b64 s[12:13], vcc
	s_cbranch_execz .LBB29_566
; %bb.565:
	v_mov_b32_e32 v11, 0
	ds_read_b128 v[25:28], v11 offset:16112
	ds_read_b64 v[11:12], v11 offset:15600
	s_movk_i32 s14, 0x3800
	s_waitcnt lgkmcnt(0)
	v_mul_f64 v[11:12], v[11:12], v[27:28]
	v_mul_f64 v[11:12], v[25:26], v[11:12]
	v_add_u32_e64 v25, s14, 0
	ds_write2_b64 v25, v[11:12], v[11:12] offset0:159 offset1:222
.LBB29_566:
	s_or_b64 exec, exec, s[12:13]
	v_mov_b32_e32 v11, 0
	v_mov_b32_e32 v12, 0
	s_waitcnt lgkmcnt(0)
	s_barrier
	buffer_wbinvl1_vol
	s_and_saveexec_b64 s[14:15], s[2:3]
	s_cbranch_execz .LBB29_570
; %bb.567:
	v_lshlrev_b32_e32 v25, 9, v13
	v_lshlrev_b32_e32 v11, 3, v1
	ds_read_b64 v[11:12], v11 offset:15584
	ds_read_b64 v[25:26], v25 offset:15600
	v_cmp_gt_u32_e64 s[12:13], 2, v15
	s_waitcnt lgkmcnt(0)
	v_fma_f64 v[11:12], v[11:12], v[25:26], 0
	s_and_saveexec_b64 s[16:17], s[12:13]
	s_cbranch_execz .LBB29_569
; %bb.568:
	v_lshlrev_b32_e32 v25, 3, v0
	v_mov_b32_e32 v27, 0
	ds_read_b64 v[25:26], v25 offset:16096
	ds_read_b64 v[27:28], v27 offset:16120
	s_waitcnt lgkmcnt(0)
	v_fma_f64 v[11:12], v[25:26], v[27:28], v[11:12]
.LBB29_569:
	s_or_b64 exec, exec, s[16:17]
.LBB29_570:
	s_or_b64 exec, exec, s[14:15]
	s_and_saveexec_b64 s[12:13], s[30:31]
	s_cbranch_execz .LBB29_572
; %bb.571:
	v_mov_b32_e32 v25, 0
	ds_read_b64 v[25:26], v25 offset:15080
	s_waitcnt lgkmcnt(0)
	v_mul_f64 v[11:12], v[11:12], v[25:26]
	v_xor_b32_e32 v26, 0x80000000, v12
	v_mov_b32_e32 v25, v11
	ds_write_b64 v14, v[25:26]
.LBB29_572:
	s_or_b64 exec, exec, s[12:13]
	s_waitcnt lgkmcnt(0)
	s_barrier
	s_and_saveexec_b64 s[12:13], s[28:29]
	s_cbranch_execz .LBB29_574
; %bb.573:
	v_mov_b32_e32 v25, 0
	ds_read_b64 v[25:26], v25 offset:15072
	ds_read_b64 v[27:28], v14
	s_waitcnt lgkmcnt(0)
	v_fma_f64 v[11:12], -v[25:26], v[27:28], v[11:12]
.LBB29_574:
	s_or_b64 exec, exec, s[12:13]
	s_barrier
	s_and_saveexec_b64 s[12:13], s[28:29]
	s_cbranch_execz .LBB29_576
; %bb.575:
	v_mov_b32_e32 v25, 0
	ds_read_b64 v[25:26], v25 offset:14560
	s_waitcnt lgkmcnt(0)
	v_mul_f64 v[11:12], v[11:12], v[25:26]
	v_xor_b32_e32 v26, 0x80000000, v12
	v_mov_b32_e32 v25, v11
	ds_write_b64 v14, v[25:26]
.LBB29_576:
	s_or_b64 exec, exec, s[12:13]
	s_waitcnt lgkmcnt(0)
	s_barrier
	s_barrier
	s_and_saveexec_b64 s[12:13], s[2:3]
; %bb.577:
	v_lshlrev_b32_e32 v25, 3, v1
	v_lshl_or_b32 v25, v13, 9, v25
	ds_write_b64 v25, v[11:12] offset:15584
; %bb.578:
	s_or_b64 exec, exec, s[12:13]
	s_waitcnt lgkmcnt(0)
	s_barrier
	s_barrier
	s_and_saveexec_b64 s[12:13], s[34:35]
	s_cbranch_execz .LBB29_580
; %bb.579:
	v_lshlrev_b32_e32 v25, 3, v0
	s_movk_i32 s14, 0x1f8
	v_mad_u32_u24 v26, v0, s14, v25
	ds_read_b64 v[11:12], v26 offset:15584
	s_waitcnt lgkmcnt(0)
	ds_write_b64 v25, v[11:12] offset:14576
	ds_read_b64 v[11:12], v26 offset:15592
	s_waitcnt lgkmcnt(0)
	ds_write_b64 v25, v[11:12] offset:15088
.LBB29_580:
	s_or_b64 exec, exec, s[12:13]
	s_waitcnt lgkmcnt(0)
	s_barrier
	s_and_saveexec_b64 s[12:13], vcc
	s_cbranch_execz .LBB29_582
; %bb.581:
	v_mov_b32_e32 v11, 0
	ds_read_b128 v[25:28], v11 offset:15072
	ds_read_b64 v[11:12], v11 offset:14560
	s_movk_i32 s14, 0x3800
	s_waitcnt lgkmcnt(0)
	v_mul_f64 v[11:12], v[11:12], v[27:28]
	v_mul_f64 v[11:12], v[25:26], v[11:12]
	v_add_u32_e64 v25, s14, 0
	ds_write2_b64 v25, v[11:12], v[11:12] offset0:29 offset1:92
.LBB29_582:
	s_or_b64 exec, exec, s[12:13]
	v_mov_b32_e32 v11, 0
	v_mov_b32_e32 v12, 0
	s_waitcnt lgkmcnt(0)
	s_barrier
	buffer_wbinvl1_vol
	s_and_saveexec_b64 s[14:15], s[18:19]
	s_cbranch_execz .LBB29_588
; %bb.583:
	v_lshlrev_b32_e32 v26, 3, v16
	v_lshlrev_b32_e32 v25, 9, v17
	ds_read_b64 v[11:12], v26 offset:14528
	ds_read_b64 v[27:28], v25 offset:14560
	v_cmp_gt_u32_e64 s[12:13], 12, v15
	s_waitcnt lgkmcnt(0)
	v_fma_f64 v[11:12], v[11:12], v[27:28], 0
	s_and_saveexec_b64 s[16:17], s[12:13]
	s_cbranch_execnz .LBB29_1124
; %bb.584:
	s_or_b64 exec, exec, s[16:17]
	v_cmp_gt_u32_e64 s[12:13], 8, v15
	s_and_saveexec_b64 s[16:17], s[12:13]
	s_cbranch_execnz .LBB29_1125
.LBB29_585:
	s_or_b64 exec, exec, s[16:17]
	v_cmp_gt_u32_e64 s[12:13], 4, v15
	s_and_saveexec_b64 s[16:17], s[12:13]
	s_cbranch_execz .LBB29_587
.LBB29_586:
	v_lshlrev_b32_e32 v25, 3, v0
	v_mov_b32_e32 v27, 0
	ds_read_b64 v[25:26], v25 offset:16064
	ds_read_b64 v[27:28], v27 offset:16120
	s_waitcnt lgkmcnt(0)
	v_fma_f64 v[11:12], v[25:26], v[27:28], v[11:12]
.LBB29_587:
	s_or_b64 exec, exec, s[16:17]
.LBB29_588:
	s_or_b64 exec, exec, s[14:15]
	s_and_saveexec_b64 s[12:13], s[38:39]
	s_cbranch_execz .LBB29_590
; %bb.589:
	v_mov_b32_e32 v25, 0
	ds_read_b64 v[25:26], v25 offset:14040
	s_waitcnt lgkmcnt(0)
	v_mul_f64 v[11:12], v[11:12], v[25:26]
	v_xor_b32_e32 v26, 0x80000000, v12
	v_mov_b32_e32 v25, v11
	ds_write_b64 v18, v[25:26]
.LBB29_590:
	s_or_b64 exec, exec, s[12:13]
	s_waitcnt lgkmcnt(0)
	s_barrier
	s_and_saveexec_b64 s[12:13], s[42:43]
	s_cbranch_execz .LBB29_592
; %bb.591:
	v_lshlrev_b32_e32 v25, 3, v16
	ds_read_b64 v[25:26], v25 offset:14016
	ds_read_b64 v[27:28], v18
	s_waitcnt lgkmcnt(0)
	v_fma_f64 v[11:12], -v[25:26], v[27:28], v[11:12]
.LBB29_592:
	s_or_b64 exec, exec, s[12:13]
	s_barrier
	s_and_saveexec_b64 s[12:13], s[44:45]
	s_cbranch_execz .LBB29_594
; %bb.593:
	v_mov_b32_e32 v25, 0
	ds_read_b64 v[25:26], v25 offset:13520
	s_waitcnt lgkmcnt(0)
	v_mul_f64 v[11:12], v[11:12], v[25:26]
	v_xor_b32_e32 v26, 0x80000000, v12
	v_mov_b32_e32 v25, v11
	ds_write_b64 v18, v[25:26]
.LBB29_594:
	s_or_b64 exec, exec, s[12:13]
	s_waitcnt lgkmcnt(0)
	s_barrier
	s_and_saveexec_b64 s[12:13], s[52:53]
	s_cbranch_execz .LBB29_596
; %bb.595:
	v_lshlrev_b32_e32 v25, 3, v16
	ds_read_b64 v[25:26], v25 offset:13504
	ds_read_b64 v[27:28], v18
	s_waitcnt lgkmcnt(0)
	v_fma_f64 v[11:12], -v[25:26], v[27:28], v[11:12]
.LBB29_596:
	s_or_b64 exec, exec, s[12:13]
	s_barrier
	s_and_saveexec_b64 s[12:13], s[54:55]
	s_cbranch_execz .LBB29_598
; %bb.597:
	v_mov_b32_e32 v25, 0
	ds_read_b64 v[25:26], v25 offset:13000
	s_waitcnt lgkmcnt(0)
	v_mul_f64 v[11:12], v[11:12], v[25:26]
	v_xor_b32_e32 v26, 0x80000000, v12
	v_mov_b32_e32 v25, v11
	ds_write_b64 v18, v[25:26]
.LBB29_598:
	s_or_b64 exec, exec, s[12:13]
	s_waitcnt lgkmcnt(0)
	s_barrier
	s_and_saveexec_b64 s[12:13], s[36:37]
	s_cbranch_execz .LBB29_600
; %bb.599:
	v_mov_b32_e32 v25, 0
	ds_read_b64 v[25:26], v25 offset:12992
	ds_read_b64 v[27:28], v18
	s_waitcnt lgkmcnt(0)
	v_fma_f64 v[11:12], -v[25:26], v[27:28], v[11:12]
.LBB29_600:
	s_or_b64 exec, exec, s[12:13]
	s_barrier
	s_and_saveexec_b64 s[12:13], s[36:37]
	s_cbranch_execz .LBB29_602
; %bb.601:
	v_mov_b32_e32 v25, 0
	ds_read_b64 v[25:26], v25 offset:12480
	s_waitcnt lgkmcnt(0)
	v_mul_f64 v[11:12], v[11:12], v[25:26]
	v_xor_b32_e32 v26, 0x80000000, v12
	v_mov_b32_e32 v25, v11
	ds_write_b64 v18, v[25:26]
.LBB29_602:
	s_or_b64 exec, exec, s[12:13]
	s_waitcnt lgkmcnt(0)
	s_barrier
	s_barrier
	s_and_saveexec_b64 s[12:13], s[18:19]
; %bb.603:
	v_lshlrev_b32_e32 v25, 3, v16
	v_lshl_or_b32 v25, v17, 9, v25
	ds_write_b64 v25, v[11:12] offset:14528
; %bb.604:
	s_or_b64 exec, exec, s[12:13]
	s_waitcnt lgkmcnt(0)
	s_barrier
	s_barrier
	s_and_saveexec_b64 s[12:13], s[56:57]
	s_cbranch_execz .LBB29_606
; %bb.605:
	v_lshlrev_b32_e32 v25, 9, v0
	ds_read_b64 v[11:12], v25 offset:14528
	s_movk_i32 s14, 0xfe08
	v_mad_i32_i24 v26, v0, s14, v25
	s_waitcnt lgkmcnt(0)
	ds_write_b64 v26, v[11:12] offset:12512
	ds_read_b64 v[11:12], v25 offset:14536
	s_waitcnt lgkmcnt(0)
	ds_write_b64 v26, v[11:12] offset:13024
	ds_read_b64 v[11:12], v25 offset:14544
	;; [unrolled: 3-line block ×3, first 2 shown]
	s_waitcnt lgkmcnt(0)
	ds_write_b64 v26, v[11:12] offset:14048
.LBB29_606:
	s_or_b64 exec, exec, s[12:13]
	s_waitcnt lgkmcnt(0)
	s_barrier
	s_and_saveexec_b64 s[12:13], vcc
	s_cbranch_execz .LBB29_608
; %bb.607:
	v_mov_b32_e32 v11, 0
	ds_read_b128 v[25:28], v11 offset:14032
	ds_read_b64 v[11:12], v11 offset:13520
	s_movk_i32 s14, 0x3000
	s_waitcnt lgkmcnt(0)
	v_mul_f64 v[11:12], v[11:12], v[27:28]
	v_mul_f64 v[11:12], v[25:26], v[11:12]
	v_add_u32_e64 v25, s14, 0
	ds_write2_b64 v25, v[11:12], v[11:12] offset0:155 offset1:218
.LBB29_608:
	s_or_b64 exec, exec, s[12:13]
	v_mov_b32_e32 v11, 0
	v_mov_b32_e32 v12, 0
	s_waitcnt lgkmcnt(0)
	s_barrier
	buffer_wbinvl1_vol
	s_and_saveexec_b64 s[14:15], s[2:3]
	s_cbranch_execz .LBB29_612
; %bb.609:
	v_lshlrev_b32_e32 v25, 9, v13
	v_lshlrev_b32_e32 v11, 3, v1
	ds_read_b64 v[11:12], v11 offset:13504
	ds_read_b64 v[25:26], v25 offset:13520
	v_cmp_gt_u32_e64 s[12:13], 2, v15
	s_waitcnt lgkmcnt(0)
	v_fma_f64 v[11:12], v[11:12], v[25:26], 0
	s_and_saveexec_b64 s[16:17], s[12:13]
	s_cbranch_execz .LBB29_611
; %bb.610:
	v_lshlrev_b32_e32 v25, 3, v0
	v_mov_b32_e32 v27, 0
	ds_read_b64 v[25:26], v25 offset:14016
	ds_read_b64 v[27:28], v27 offset:14040
	s_waitcnt lgkmcnt(0)
	v_fma_f64 v[11:12], v[25:26], v[27:28], v[11:12]
.LBB29_611:
	s_or_b64 exec, exec, s[16:17]
.LBB29_612:
	s_or_b64 exec, exec, s[14:15]
	s_and_saveexec_b64 s[12:13], s[30:31]
	s_cbranch_execz .LBB29_614
; %bb.613:
	v_mov_b32_e32 v25, 0
	ds_read_b64 v[25:26], v25 offset:13000
	s_waitcnt lgkmcnt(0)
	v_mul_f64 v[11:12], v[11:12], v[25:26]
	v_xor_b32_e32 v26, 0x80000000, v12
	v_mov_b32_e32 v25, v11
	ds_write_b64 v14, v[25:26]
.LBB29_614:
	s_or_b64 exec, exec, s[12:13]
	s_waitcnt lgkmcnt(0)
	s_barrier
	s_and_saveexec_b64 s[12:13], s[28:29]
	s_cbranch_execz .LBB29_616
; %bb.615:
	v_mov_b32_e32 v25, 0
	ds_read_b64 v[25:26], v25 offset:12992
	ds_read_b64 v[27:28], v14
	s_waitcnt lgkmcnt(0)
	v_fma_f64 v[11:12], -v[25:26], v[27:28], v[11:12]
.LBB29_616:
	s_or_b64 exec, exec, s[12:13]
	s_barrier
	s_and_saveexec_b64 s[12:13], s[28:29]
	s_cbranch_execz .LBB29_618
; %bb.617:
	v_mov_b32_e32 v25, 0
	ds_read_b64 v[25:26], v25 offset:12480
	s_waitcnt lgkmcnt(0)
	v_mul_f64 v[11:12], v[11:12], v[25:26]
	v_xor_b32_e32 v26, 0x80000000, v12
	v_mov_b32_e32 v25, v11
	ds_write_b64 v14, v[25:26]
.LBB29_618:
	s_or_b64 exec, exec, s[12:13]
	s_waitcnt lgkmcnt(0)
	s_barrier
	s_barrier
	s_and_saveexec_b64 s[12:13], s[2:3]
; %bb.619:
	v_lshlrev_b32_e32 v25, 3, v1
	v_lshl_or_b32 v25, v13, 9, v25
	ds_write_b64 v25, v[11:12] offset:13504
; %bb.620:
	s_or_b64 exec, exec, s[12:13]
	s_waitcnt lgkmcnt(0)
	s_barrier
	s_barrier
	s_and_saveexec_b64 s[12:13], s[34:35]
	s_cbranch_execz .LBB29_622
; %bb.621:
	v_lshlrev_b32_e32 v25, 3, v0
	s_movk_i32 s14, 0x1f8
	v_mad_u32_u24 v26, v0, s14, v25
	ds_read_b64 v[11:12], v26 offset:13504
	s_waitcnt lgkmcnt(0)
	ds_write_b64 v25, v[11:12] offset:12496
	ds_read_b64 v[11:12], v26 offset:13512
	s_waitcnt lgkmcnt(0)
	ds_write_b64 v25, v[11:12] offset:13008
.LBB29_622:
	s_or_b64 exec, exec, s[12:13]
	s_waitcnt lgkmcnt(0)
	s_barrier
	s_and_saveexec_b64 s[12:13], vcc
	s_cbranch_execz .LBB29_624
; %bb.623:
	v_mov_b32_e32 v11, 0
	ds_read_b128 v[25:28], v11 offset:12992
	ds_read_b64 v[11:12], v11 offset:12480
	s_movk_i32 s14, 0x3000
	s_waitcnt lgkmcnt(0)
	v_mul_f64 v[11:12], v[11:12], v[27:28]
	v_mul_f64 v[11:12], v[25:26], v[11:12]
	v_add_u32_e64 v25, s14, 0
	ds_write2_b64 v25, v[11:12], v[11:12] offset0:25 offset1:88
.LBB29_624:
	s_or_b64 exec, exec, s[12:13]
	v_mov_b32_e32 v11, 0
	v_mov_b32_e32 v12, 0
	s_waitcnt lgkmcnt(0)
	s_barrier
	buffer_wbinvl1_vol
	s_and_saveexec_b64 s[14:15], s[8:9]
	s_cbranch_execz .LBB29_634
; %bb.625:
	v_lshlrev_b32_e32 v26, 3, v19
	v_lshlrev_b32_e32 v25, 9, v20
	ds_read_b64 v[11:12], v26 offset:12416
	ds_read_b64 v[27:28], v25 offset:12480
	v_cmp_gt_u32_e64 s[12:13], 56, v15
	s_waitcnt lgkmcnt(0)
	v_fma_f64 v[11:12], v[11:12], v[27:28], 0
	s_and_saveexec_b64 s[16:17], s[12:13]
	s_cbranch_execnz .LBB29_1126
; %bb.626:
	s_or_b64 exec, exec, s[16:17]
	v_cmp_gt_u32_e64 s[12:13], 48, v15
	s_and_saveexec_b64 s[16:17], s[12:13]
	s_cbranch_execnz .LBB29_1127
.LBB29_627:
	s_or_b64 exec, exec, s[16:17]
	v_cmp_gt_u32_e64 s[12:13], 40, v15
	s_and_saveexec_b64 s[16:17], s[12:13]
	s_cbranch_execnz .LBB29_1128
.LBB29_628:
	s_or_b64 exec, exec, s[16:17]
	v_cmp_gt_u32_e64 s[12:13], 32, v15
	s_and_saveexec_b64 s[16:17], s[12:13]
	s_cbranch_execnz .LBB29_1129
.LBB29_629:
	s_or_b64 exec, exec, s[16:17]
	v_cmp_gt_u32_e64 s[12:13], 24, v15
	s_and_saveexec_b64 s[16:17], s[12:13]
	s_cbranch_execnz .LBB29_1130
.LBB29_630:
	s_or_b64 exec, exec, s[16:17]
	s_and_saveexec_b64 s[12:13], s[18:19]
	s_cbranch_execnz .LBB29_1131
.LBB29_631:
	s_or_b64 exec, exec, s[12:13]
	v_cmp_gt_u32_e64 s[12:13], 8, v15
	s_and_saveexec_b64 s[16:17], s[12:13]
	s_cbranch_execz .LBB29_633
.LBB29_632:
	v_lshlrev_b32_e32 v25, 3, v0
	v_mov_b32_e32 v27, 0
	ds_read_b64 v[25:26], v25 offset:16000
	ds_read_b64 v[27:28], v27 offset:16120
	s_waitcnt lgkmcnt(0)
	v_fma_f64 v[11:12], v[25:26], v[27:28], v[11:12]
.LBB29_633:
	s_or_b64 exec, exec, s[16:17]
.LBB29_634:
	s_or_b64 exec, exec, s[14:15]
	s_and_saveexec_b64 s[12:13], s[58:59]
	s_cbranch_execz .LBB29_636
; %bb.635:
	v_mov_b32_e32 v25, 0
	ds_read_b64 v[25:26], v25 offset:11960
	s_waitcnt lgkmcnt(0)
	v_mul_f64 v[11:12], v[11:12], v[25:26]
	v_xor_b32_e32 v26, 0x80000000, v12
	v_mov_b32_e32 v25, v11
	ds_write_b64 v21, v[25:26]
.LBB29_636:
	s_or_b64 exec, exec, s[12:13]
	s_waitcnt lgkmcnt(0)
	s_barrier
	s_and_saveexec_b64 s[12:13], s[60:61]
	s_cbranch_execz .LBB29_638
; %bb.637:
	v_lshlrev_b32_e32 v25, 3, v19
	ds_read_b64 v[25:26], v25 offset:11904
	ds_read_b64 v[27:28], v21
	s_waitcnt lgkmcnt(0)
	v_fma_f64 v[11:12], -v[25:26], v[27:28], v[11:12]
.LBB29_638:
	s_or_b64 exec, exec, s[12:13]
	s_barrier
	s_and_saveexec_b64 s[12:13], s[62:63]
	s_cbranch_execz .LBB29_640
; %bb.639:
	v_mov_b32_e32 v25, 0
	ds_read_b64 v[25:26], v25 offset:11440
	s_waitcnt lgkmcnt(0)
	v_mul_f64 v[11:12], v[11:12], v[25:26]
	v_xor_b32_e32 v26, 0x80000000, v12
	v_mov_b32_e32 v25, v11
	ds_write_b64 v21, v[25:26]
.LBB29_640:
	s_or_b64 exec, exec, s[12:13]
	s_waitcnt lgkmcnt(0)
	s_barrier
	s_and_saveexec_b64 s[12:13], s[64:65]
	s_cbranch_execz .LBB29_642
; %bb.641:
	v_lshlrev_b32_e32 v25, 3, v19
	ds_read_b64 v[25:26], v25 offset:11392
	ds_read_b64 v[27:28], v21
	s_waitcnt lgkmcnt(0)
	v_fma_f64 v[11:12], -v[25:26], v[27:28], v[11:12]
.LBB29_642:
	s_or_b64 exec, exec, s[12:13]
	s_barrier
	;; [unrolled: 25-line block ×6, first 2 shown]
	s_and_saveexec_b64 s[12:13], s[84:85]
	s_cbranch_execz .LBB29_660
; %bb.659:
	v_mov_b32_e32 v25, 0
	ds_read_b64 v[25:26], v25 offset:8840
	s_waitcnt lgkmcnt(0)
	v_mul_f64 v[11:12], v[11:12], v[25:26]
	v_xor_b32_e32 v26, 0x80000000, v12
	v_mov_b32_e32 v25, v11
	ds_write_b64 v21, v[25:26]
.LBB29_660:
	s_or_b64 exec, exec, s[12:13]
	s_waitcnt lgkmcnt(0)
	s_barrier
	s_and_saveexec_b64 s[12:13], s[68:69]
	s_cbranch_execz .LBB29_662
; %bb.661:
	v_mov_b32_e32 v25, 0
	ds_read_b64 v[25:26], v25 offset:8832
	ds_read_b64 v[27:28], v21
	s_waitcnt lgkmcnt(0)
	v_fma_f64 v[11:12], -v[25:26], v[27:28], v[11:12]
.LBB29_662:
	s_or_b64 exec, exec, s[12:13]
	s_barrier
	s_and_saveexec_b64 s[12:13], s[68:69]
	s_cbranch_execz .LBB29_664
; %bb.663:
	v_mov_b32_e32 v25, 0
	ds_read_b64 v[25:26], v25 offset:8320
	s_waitcnt lgkmcnt(0)
	v_mul_f64 v[11:12], v[11:12], v[25:26]
	v_xor_b32_e32 v26, 0x80000000, v12
	v_mov_b32_e32 v25, v11
	ds_write_b64 v21, v[25:26]
.LBB29_664:
	s_or_b64 exec, exec, s[12:13]
	s_waitcnt lgkmcnt(0)
	s_barrier
	s_barrier
	s_and_saveexec_b64 s[12:13], s[8:9]
; %bb.665:
	v_lshlrev_b32_e32 v25, 3, v19
	v_lshl_or_b32 v25, v20, 9, v25
	ds_write_b64 v25, v[11:12] offset:12416
; %bb.666:
	s_or_b64 exec, exec, s[12:13]
	s_waitcnt lgkmcnt(0)
	s_barrier
	s_barrier
	s_and_saveexec_b64 s[12:13], s[86:87]
	s_cbranch_execz .LBB29_668
; %bb.667:
	v_lshlrev_b32_e32 v25, 9, v0
	ds_read_b64 v[11:12], v25 offset:12416
	s_movk_i32 s14, 0xfe08
	v_mad_i32_i24 v26, v0, s14, v25
	s_waitcnt lgkmcnt(0)
	ds_write_b64 v26, v[11:12] offset:8384
	ds_read_b64 v[11:12], v25 offset:12424
	s_waitcnt lgkmcnt(0)
	ds_write_b64 v26, v[11:12] offset:8896
	ds_read_b64 v[11:12], v25 offset:12432
	;; [unrolled: 3-line block ×7, first 2 shown]
	s_waitcnt lgkmcnt(0)
	ds_write_b64 v26, v[11:12] offset:11968
.LBB29_668:
	s_or_b64 exec, exec, s[12:13]
	s_waitcnt lgkmcnt(0)
	s_barrier
	s_and_saveexec_b64 s[12:13], vcc
	s_cbranch_execz .LBB29_670
; %bb.669:
	v_mov_b32_e32 v11, 0
	ds_read_b128 v[25:28], v11 offset:11952
	ds_read_b64 v[11:12], v11 offset:11440
	s_movk_i32 s14, 0x2800
	s_waitcnt lgkmcnt(0)
	v_mul_f64 v[11:12], v[11:12], v[27:28]
	v_mul_f64 v[11:12], v[25:26], v[11:12]
	v_add_u32_e64 v25, s14, 0
	ds_write2_b64 v25, v[11:12], v[11:12] offset0:151 offset1:214
.LBB29_670:
	s_or_b64 exec, exec, s[12:13]
	v_mov_b32_e32 v11, 0
	v_mov_b32_e32 v12, 0
	s_waitcnt lgkmcnt(0)
	s_barrier
	buffer_wbinvl1_vol
	s_and_saveexec_b64 s[14:15], s[2:3]
	s_cbranch_execz .LBB29_674
; %bb.671:
	v_lshlrev_b32_e32 v25, 9, v13
	v_lshlrev_b32_e32 v11, 3, v1
	ds_read_b64 v[11:12], v11 offset:11424
	ds_read_b64 v[25:26], v25 offset:11440
	v_cmp_gt_u32_e64 s[12:13], 2, v15
	s_waitcnt lgkmcnt(0)
	v_fma_f64 v[11:12], v[11:12], v[25:26], 0
	s_and_saveexec_b64 s[16:17], s[12:13]
	s_cbranch_execz .LBB29_673
; %bb.672:
	v_lshlrev_b32_e32 v25, 3, v0
	v_mov_b32_e32 v27, 0
	ds_read_b64 v[25:26], v25 offset:11936
	ds_read_b64 v[27:28], v27 offset:11960
	s_waitcnt lgkmcnt(0)
	v_fma_f64 v[11:12], v[25:26], v[27:28], v[11:12]
.LBB29_673:
	s_or_b64 exec, exec, s[16:17]
.LBB29_674:
	s_or_b64 exec, exec, s[14:15]
	s_and_saveexec_b64 s[12:13], s[30:31]
	s_cbranch_execz .LBB29_676
; %bb.675:
	v_mov_b32_e32 v25, 0
	ds_read_b64 v[25:26], v25 offset:10920
	s_waitcnt lgkmcnt(0)
	v_mul_f64 v[11:12], v[11:12], v[25:26]
	v_xor_b32_e32 v26, 0x80000000, v12
	v_mov_b32_e32 v25, v11
	ds_write_b64 v14, v[25:26]
.LBB29_676:
	s_or_b64 exec, exec, s[12:13]
	s_waitcnt lgkmcnt(0)
	s_barrier
	s_and_saveexec_b64 s[12:13], s[28:29]
	s_cbranch_execz .LBB29_678
; %bb.677:
	v_mov_b32_e32 v25, 0
	ds_read_b64 v[25:26], v25 offset:10912
	ds_read_b64 v[27:28], v14
	s_waitcnt lgkmcnt(0)
	v_fma_f64 v[11:12], -v[25:26], v[27:28], v[11:12]
.LBB29_678:
	s_or_b64 exec, exec, s[12:13]
	s_barrier
	s_and_saveexec_b64 s[12:13], s[28:29]
	s_cbranch_execz .LBB29_680
; %bb.679:
	v_mov_b32_e32 v25, 0
	ds_read_b64 v[25:26], v25 offset:10400
	s_waitcnt lgkmcnt(0)
	v_mul_f64 v[11:12], v[11:12], v[25:26]
	v_xor_b32_e32 v26, 0x80000000, v12
	v_mov_b32_e32 v25, v11
	ds_write_b64 v14, v[25:26]
.LBB29_680:
	s_or_b64 exec, exec, s[12:13]
	s_waitcnt lgkmcnt(0)
	s_barrier
	s_barrier
	s_and_saveexec_b64 s[12:13], s[2:3]
; %bb.681:
	v_lshlrev_b32_e32 v25, 3, v1
	v_lshl_or_b32 v25, v13, 9, v25
	ds_write_b64 v25, v[11:12] offset:11424
; %bb.682:
	s_or_b64 exec, exec, s[12:13]
	s_waitcnt lgkmcnt(0)
	s_barrier
	s_barrier
	s_and_saveexec_b64 s[12:13], s[34:35]
	s_cbranch_execz .LBB29_684
; %bb.683:
	v_lshlrev_b32_e32 v25, 3, v0
	s_movk_i32 s14, 0x1f8
	v_mad_u32_u24 v26, v0, s14, v25
	ds_read_b64 v[11:12], v26 offset:11424
	s_waitcnt lgkmcnt(0)
	ds_write_b64 v25, v[11:12] offset:10416
	ds_read_b64 v[11:12], v26 offset:11432
	s_waitcnt lgkmcnt(0)
	ds_write_b64 v25, v[11:12] offset:10928
.LBB29_684:
	s_or_b64 exec, exec, s[12:13]
	s_waitcnt lgkmcnt(0)
	s_barrier
	s_and_saveexec_b64 s[12:13], vcc
	s_cbranch_execz .LBB29_686
; %bb.685:
	v_mov_b32_e32 v11, 0
	ds_read_b128 v[25:28], v11 offset:10912
	ds_read_b64 v[11:12], v11 offset:10400
	s_movk_i32 s14, 0x2800
	s_waitcnt lgkmcnt(0)
	v_mul_f64 v[11:12], v[11:12], v[27:28]
	v_mul_f64 v[11:12], v[25:26], v[11:12]
	v_add_u32_e64 v25, s14, 0
	ds_write2_b64 v25, v[11:12], v[11:12] offset0:21 offset1:84
.LBB29_686:
	s_or_b64 exec, exec, s[12:13]
	v_mov_b32_e32 v11, 0
	v_mov_b32_e32 v12, 0
	s_waitcnt lgkmcnt(0)
	s_barrier
	buffer_wbinvl1_vol
	s_and_saveexec_b64 s[14:15], s[18:19]
	s_cbranch_execz .LBB29_692
; %bb.687:
	v_lshlrev_b32_e32 v26, 3, v16
	v_lshlrev_b32_e32 v25, 9, v17
	ds_read_b64 v[11:12], v26 offset:10368
	ds_read_b64 v[27:28], v25 offset:10400
	v_cmp_gt_u32_e64 s[12:13], 12, v15
	s_waitcnt lgkmcnt(0)
	v_fma_f64 v[11:12], v[11:12], v[27:28], 0
	s_and_saveexec_b64 s[16:17], s[12:13]
	s_cbranch_execnz .LBB29_1132
; %bb.688:
	s_or_b64 exec, exec, s[16:17]
	v_cmp_gt_u32_e64 s[12:13], 8, v15
	s_and_saveexec_b64 s[16:17], s[12:13]
	s_cbranch_execnz .LBB29_1133
.LBB29_689:
	s_or_b64 exec, exec, s[16:17]
	v_cmp_gt_u32_e64 s[12:13], 4, v15
	s_and_saveexec_b64 s[16:17], s[12:13]
	s_cbranch_execz .LBB29_691
.LBB29_690:
	v_lshlrev_b32_e32 v25, 3, v0
	v_mov_b32_e32 v27, 0
	ds_read_b64 v[25:26], v25 offset:11904
	ds_read_b64 v[27:28], v27 offset:11960
	s_waitcnt lgkmcnt(0)
	v_fma_f64 v[11:12], v[25:26], v[27:28], v[11:12]
.LBB29_691:
	s_or_b64 exec, exec, s[16:17]
.LBB29_692:
	s_or_b64 exec, exec, s[14:15]
	s_and_saveexec_b64 s[12:13], s[38:39]
	s_cbranch_execz .LBB29_694
; %bb.693:
	v_mov_b32_e32 v25, 0
	ds_read_b64 v[25:26], v25 offset:9880
	s_waitcnt lgkmcnt(0)
	v_mul_f64 v[11:12], v[11:12], v[25:26]
	v_xor_b32_e32 v26, 0x80000000, v12
	v_mov_b32_e32 v25, v11
	ds_write_b64 v18, v[25:26]
.LBB29_694:
	s_or_b64 exec, exec, s[12:13]
	s_waitcnt lgkmcnt(0)
	s_barrier
	s_and_saveexec_b64 s[12:13], s[42:43]
	s_cbranch_execz .LBB29_696
; %bb.695:
	v_lshlrev_b32_e32 v25, 3, v16
	ds_read_b64 v[25:26], v25 offset:9856
	ds_read_b64 v[27:28], v18
	s_waitcnt lgkmcnt(0)
	v_fma_f64 v[11:12], -v[25:26], v[27:28], v[11:12]
.LBB29_696:
	s_or_b64 exec, exec, s[12:13]
	s_barrier
	s_and_saveexec_b64 s[12:13], s[44:45]
	s_cbranch_execz .LBB29_698
; %bb.697:
	v_mov_b32_e32 v25, 0
	ds_read_b64 v[25:26], v25 offset:9360
	s_waitcnt lgkmcnt(0)
	v_mul_f64 v[11:12], v[11:12], v[25:26]
	v_xor_b32_e32 v26, 0x80000000, v12
	v_mov_b32_e32 v25, v11
	ds_write_b64 v18, v[25:26]
.LBB29_698:
	s_or_b64 exec, exec, s[12:13]
	s_waitcnt lgkmcnt(0)
	s_barrier
	s_and_saveexec_b64 s[12:13], s[52:53]
	s_cbranch_execz .LBB29_700
; %bb.699:
	v_lshlrev_b32_e32 v25, 3, v16
	ds_read_b64 v[25:26], v25 offset:9344
	ds_read_b64 v[27:28], v18
	s_waitcnt lgkmcnt(0)
	v_fma_f64 v[11:12], -v[25:26], v[27:28], v[11:12]
.LBB29_700:
	s_or_b64 exec, exec, s[12:13]
	s_barrier
	s_and_saveexec_b64 s[12:13], s[54:55]
	s_cbranch_execz .LBB29_702
; %bb.701:
	v_mov_b32_e32 v25, 0
	ds_read_b64 v[25:26], v25 offset:8840
	s_waitcnt lgkmcnt(0)
	v_mul_f64 v[11:12], v[11:12], v[25:26]
	v_xor_b32_e32 v26, 0x80000000, v12
	v_mov_b32_e32 v25, v11
	ds_write_b64 v18, v[25:26]
.LBB29_702:
	s_or_b64 exec, exec, s[12:13]
	s_waitcnt lgkmcnt(0)
	s_barrier
	s_and_saveexec_b64 s[12:13], s[36:37]
	s_cbranch_execz .LBB29_704
; %bb.703:
	v_mov_b32_e32 v25, 0
	ds_read_b64 v[25:26], v25 offset:8832
	ds_read_b64 v[27:28], v18
	s_waitcnt lgkmcnt(0)
	v_fma_f64 v[11:12], -v[25:26], v[27:28], v[11:12]
.LBB29_704:
	s_or_b64 exec, exec, s[12:13]
	s_barrier
	s_and_saveexec_b64 s[12:13], s[36:37]
	s_cbranch_execz .LBB29_706
; %bb.705:
	v_mov_b32_e32 v25, 0
	ds_read_b64 v[25:26], v25 offset:8320
	s_waitcnt lgkmcnt(0)
	v_mul_f64 v[11:12], v[11:12], v[25:26]
	v_xor_b32_e32 v26, 0x80000000, v12
	v_mov_b32_e32 v25, v11
	ds_write_b64 v18, v[25:26]
.LBB29_706:
	s_or_b64 exec, exec, s[12:13]
	s_waitcnt lgkmcnt(0)
	s_barrier
	s_barrier
	s_and_saveexec_b64 s[12:13], s[18:19]
; %bb.707:
	v_lshlrev_b32_e32 v25, 3, v16
	v_lshl_or_b32 v25, v17, 9, v25
	ds_write_b64 v25, v[11:12] offset:10368
; %bb.708:
	s_or_b64 exec, exec, s[12:13]
	s_waitcnt lgkmcnt(0)
	s_barrier
	s_barrier
	s_and_saveexec_b64 s[12:13], s[56:57]
	s_cbranch_execz .LBB29_710
; %bb.709:
	v_lshlrev_b32_e32 v25, 9, v0
	ds_read_b64 v[11:12], v25 offset:10368
	s_movk_i32 s14, 0xfe08
	v_mad_i32_i24 v26, v0, s14, v25
	s_waitcnt lgkmcnt(0)
	ds_write_b64 v26, v[11:12] offset:8352
	ds_read_b64 v[11:12], v25 offset:10376
	s_waitcnt lgkmcnt(0)
	ds_write_b64 v26, v[11:12] offset:8864
	ds_read_b64 v[11:12], v25 offset:10384
	;; [unrolled: 3-line block ×3, first 2 shown]
	s_waitcnt lgkmcnt(0)
	ds_write_b64 v26, v[11:12] offset:9888
.LBB29_710:
	s_or_b64 exec, exec, s[12:13]
	s_waitcnt lgkmcnt(0)
	s_barrier
	s_and_saveexec_b64 s[12:13], vcc
	s_cbranch_execz .LBB29_712
; %bb.711:
	v_mov_b32_e32 v11, 0
	ds_read_b128 v[25:28], v11 offset:9872
	ds_read_b64 v[11:12], v11 offset:9360
	s_movk_i32 s14, 0x2000
	s_waitcnt lgkmcnt(0)
	v_mul_f64 v[11:12], v[11:12], v[27:28]
	v_mul_f64 v[11:12], v[25:26], v[11:12]
	v_add_u32_e64 v25, s14, 0
	ds_write2_b64 v25, v[11:12], v[11:12] offset0:147 offset1:210
.LBB29_712:
	s_or_b64 exec, exec, s[12:13]
	v_mov_b32_e32 v11, 0
	v_mov_b32_e32 v12, 0
	s_waitcnt lgkmcnt(0)
	s_barrier
	buffer_wbinvl1_vol
	s_and_saveexec_b64 s[14:15], s[2:3]
	s_cbranch_execz .LBB29_716
; %bb.713:
	v_lshlrev_b32_e32 v25, 9, v13
	v_lshlrev_b32_e32 v11, 3, v1
	ds_read_b64 v[11:12], v11 offset:9344
	ds_read_b64 v[25:26], v25 offset:9360
	v_cmp_gt_u32_e64 s[12:13], 2, v15
	s_waitcnt lgkmcnt(0)
	v_fma_f64 v[11:12], v[11:12], v[25:26], 0
	s_and_saveexec_b64 s[16:17], s[12:13]
	s_cbranch_execz .LBB29_715
; %bb.714:
	v_lshlrev_b32_e32 v25, 3, v0
	v_mov_b32_e32 v27, 0
	ds_read_b64 v[25:26], v25 offset:9856
	ds_read_b64 v[27:28], v27 offset:9880
	s_waitcnt lgkmcnt(0)
	v_fma_f64 v[11:12], v[25:26], v[27:28], v[11:12]
.LBB29_715:
	s_or_b64 exec, exec, s[16:17]
.LBB29_716:
	s_or_b64 exec, exec, s[14:15]
	s_and_saveexec_b64 s[12:13], s[30:31]
	s_cbranch_execz .LBB29_718
; %bb.717:
	v_mov_b32_e32 v25, 0
	ds_read_b64 v[25:26], v25 offset:8840
	s_waitcnt lgkmcnt(0)
	v_mul_f64 v[11:12], v[11:12], v[25:26]
	v_xor_b32_e32 v26, 0x80000000, v12
	v_mov_b32_e32 v25, v11
	ds_write_b64 v14, v[25:26]
.LBB29_718:
	s_or_b64 exec, exec, s[12:13]
	s_waitcnt lgkmcnt(0)
	s_barrier
	s_and_saveexec_b64 s[12:13], s[28:29]
	s_cbranch_execz .LBB29_720
; %bb.719:
	v_mov_b32_e32 v25, 0
	ds_read_b64 v[25:26], v25 offset:8832
	ds_read_b64 v[27:28], v14
	s_waitcnt lgkmcnt(0)
	v_fma_f64 v[11:12], -v[25:26], v[27:28], v[11:12]
.LBB29_720:
	s_or_b64 exec, exec, s[12:13]
	s_barrier
	s_and_saveexec_b64 s[12:13], s[28:29]
	s_cbranch_execz .LBB29_722
; %bb.721:
	v_mov_b32_e32 v25, 0
	ds_read_b64 v[25:26], v25 offset:8320
	s_waitcnt lgkmcnt(0)
	v_mul_f64 v[11:12], v[11:12], v[25:26]
	v_xor_b32_e32 v26, 0x80000000, v12
	v_mov_b32_e32 v25, v11
	ds_write_b64 v14, v[25:26]
.LBB29_722:
	s_or_b64 exec, exec, s[12:13]
	s_waitcnt lgkmcnt(0)
	s_barrier
	s_barrier
	s_and_saveexec_b64 s[12:13], s[2:3]
; %bb.723:
	v_lshlrev_b32_e32 v25, 3, v1
	v_lshl_or_b32 v25, v13, 9, v25
	ds_write_b64 v25, v[11:12] offset:9344
; %bb.724:
	s_or_b64 exec, exec, s[12:13]
	s_waitcnt lgkmcnt(0)
	s_barrier
	s_barrier
	s_and_saveexec_b64 s[12:13], s[34:35]
	s_cbranch_execz .LBB29_726
; %bb.725:
	v_lshlrev_b32_e32 v25, 3, v0
	s_movk_i32 s14, 0x1f8
	v_mad_u32_u24 v26, v0, s14, v25
	ds_read_b64 v[11:12], v26 offset:9344
	s_waitcnt lgkmcnt(0)
	ds_write_b64 v25, v[11:12] offset:8336
	ds_read_b64 v[11:12], v26 offset:9352
	s_waitcnt lgkmcnt(0)
	ds_write_b64 v25, v[11:12] offset:8848
.LBB29_726:
	s_or_b64 exec, exec, s[12:13]
	s_waitcnt lgkmcnt(0)
	s_barrier
	s_and_saveexec_b64 s[12:13], vcc
	s_cbranch_execz .LBB29_728
; %bb.727:
	v_mov_b32_e32 v11, 0
	ds_read_b128 v[25:28], v11 offset:8832
	ds_read_b64 v[11:12], v11 offset:8320
	s_movk_i32 s14, 0x2000
	s_waitcnt lgkmcnt(0)
	v_mul_f64 v[11:12], v[11:12], v[27:28]
	v_mul_f64 v[11:12], v[25:26], v[11:12]
	v_add_u32_e64 v25, s14, 0
	ds_write2_b64 v25, v[11:12], v[11:12] offset0:17 offset1:80
.LBB29_728:
	s_or_b64 exec, exec, s[12:13]
	v_mov_b32_e32 v11, 0
	v_mov_b32_e32 v12, 0
	s_waitcnt lgkmcnt(0)
	s_barrier
	buffer_wbinvl1_vol
	s_and_saveexec_b64 s[14:15], s[10:11]
	s_cbranch_execz .LBB29_756
; %bb.729:
	v_lshlrev_b32_e32 v26, 3, v22
	v_lshlrev_b32_e32 v25, 9, v23
	ds_read_b64 v[11:12], v26 offset:8192
	ds_read_b64 v[27:28], v25 offset:8320
	s_movk_i32 s12, 0xf0
	v_cmp_gt_u32_e64 s[12:13], s12, v15
	s_waitcnt lgkmcnt(0)
	v_fma_f64 v[11:12], v[11:12], v[27:28], 0
	s_and_saveexec_b64 s[16:17], s[12:13]
	s_cbranch_execz .LBB29_731
; %bb.730:
	ds_read_b64 v[27:28], v26 offset:8704
	ds_read_b64 v[29:30], v25 offset:8328
	s_waitcnt lgkmcnt(0)
	v_fma_f64 v[11:12], v[27:28], v[29:30], v[11:12]
.LBB29_731:
	s_or_b64 exec, exec, s[16:17]
	s_movk_i32 s12, 0xe0
	v_cmp_gt_u32_e64 s[12:13], s12, v15
	s_and_saveexec_b64 s[16:17], s[12:13]
	s_cbranch_execz .LBB29_733
; %bb.732:
	ds_read_b64 v[27:28], v26 offset:9216
	ds_read_b64 v[29:30], v25 offset:8336
	s_waitcnt lgkmcnt(0)
	v_fma_f64 v[11:12], v[27:28], v[29:30], v[11:12]
.LBB29_733:
	s_or_b64 exec, exec, s[16:17]
	s_movk_i32 s12, 0xd0
	v_cmp_gt_u32_e64 s[12:13], s12, v15
	;; [unrolled: 11-line block ×10, first 2 shown]
	s_and_saveexec_b64 s[16:17], s[12:13]
	s_cbranch_execnz .LBB29_1134
; %bb.750:
	s_or_b64 exec, exec, s[16:17]
	s_and_saveexec_b64 s[12:13], s[8:9]
	s_cbranch_execnz .LBB29_1135
.LBB29_751:
	s_or_b64 exec, exec, s[12:13]
	v_cmp_gt_u32_e64 s[12:13], 48, v15
	s_and_saveexec_b64 s[16:17], s[12:13]
	s_cbranch_execnz .LBB29_1136
.LBB29_752:
	s_or_b64 exec, exec, s[16:17]
	v_cmp_gt_u32_e64 s[12:13], 32, v15
	s_and_saveexec_b64 s[16:17], s[12:13]
	s_cbranch_execnz .LBB29_1137
.LBB29_753:
	s_or_b64 exec, exec, s[16:17]
	v_cmp_gt_u32_e64 s[12:13], 16, v15
	s_and_saveexec_b64 s[16:17], s[12:13]
	s_cbranch_execz .LBB29_755
.LBB29_754:
	v_lshlrev_b32_e32 v25, 3, v0
	v_mov_b32_e32 v27, 0
	ds_read_b64 v[25:26], v25 offset:15872
	ds_read_b64 v[27:28], v27 offset:16120
	s_waitcnt lgkmcnt(0)
	v_fma_f64 v[11:12], v[25:26], v[27:28], v[11:12]
.LBB29_755:
	s_or_b64 exec, exec, s[16:17]
.LBB29_756:
	s_or_b64 exec, exec, s[14:15]
	s_mov_b64 s[12:13], exec
	v_readlane_b32 s14, v36, 5
	v_readlane_b32 s15, v36, 6
	s_and_b64 s[14:15], s[12:13], s[14:15]
	s_mov_b64 exec, s[14:15]
	s_cbranch_execz .LBB29_758
; %bb.757:
	v_mov_b32_e32 v25, 0
	ds_read_b64 v[25:26], v25 offset:7800
	s_waitcnt lgkmcnt(0)
	v_mul_f64 v[11:12], v[11:12], v[25:26]
	v_xor_b32_e32 v26, 0x80000000, v12
	v_mov_b32_e32 v25, v11
	ds_write_b64 v24, v[25:26]
.LBB29_758:
	s_or_b64 exec, exec, s[12:13]
	s_waitcnt lgkmcnt(0)
	s_barrier
	s_mov_b64 s[12:13], exec
	v_readlane_b32 s14, v36, 7
	v_readlane_b32 s15, v36, 8
	s_and_b64 s[14:15], s[12:13], s[14:15]
	s_mov_b64 exec, s[14:15]
	s_cbranch_execz .LBB29_760
; %bb.759:
	v_lshlrev_b32_e32 v25, 3, v22
	ds_read_b64 v[25:26], v25 offset:7680
	ds_read_b64 v[27:28], v24
	s_waitcnt lgkmcnt(0)
	v_fma_f64 v[11:12], -v[25:26], v[27:28], v[11:12]
.LBB29_760:
	s_or_b64 exec, exec, s[12:13]
	s_barrier
	s_mov_b64 s[12:13], exec
	v_readlane_b32 s14, v36, 9
	v_readlane_b32 s15, v36, 10
	s_and_b64 s[14:15], s[12:13], s[14:15]
	s_mov_b64 exec, s[14:15]
	s_cbranch_execz .LBB29_762
; %bb.761:
	v_mov_b32_e32 v25, 0
	ds_read_b64 v[25:26], v25 offset:7280
	s_waitcnt lgkmcnt(0)
	v_mul_f64 v[11:12], v[11:12], v[25:26]
	v_xor_b32_e32 v26, 0x80000000, v12
	v_mov_b32_e32 v25, v11
	ds_write_b64 v24, v[25:26]
.LBB29_762:
	s_or_b64 exec, exec, s[12:13]
	s_waitcnt lgkmcnt(0)
	s_barrier
	s_mov_b64 s[12:13], exec
	v_readlane_b32 s14, v36, 11
	v_readlane_b32 s15, v36, 12
	s_and_b64 s[14:15], s[12:13], s[14:15]
	s_mov_b64 exec, s[14:15]
	s_cbranch_execz .LBB29_764
; %bb.763:
	v_lshlrev_b32_e32 v25, 3, v22
	ds_read_b64 v[25:26], v25 offset:7168
	ds_read_b64 v[27:28], v24
	s_waitcnt lgkmcnt(0)
	v_fma_f64 v[11:12], -v[25:26], v[27:28], v[11:12]
.LBB29_764:
	s_or_b64 exec, exec, s[12:13]
	s_barrier
	;; [unrolled: 33-line block ×13, first 2 shown]
	s_mov_b64 s[12:13], exec
	v_readlane_b32 s14, v36, 57
	v_readlane_b32 s15, v36, 58
	s_and_b64 s[14:15], s[12:13], s[14:15]
	s_mov_b64 exec, s[14:15]
	s_cbranch_execz .LBB29_810
; %bb.809:
	v_mov_b32_e32 v25, 0
	ds_read_b64 v[25:26], v25 offset:1040
	s_waitcnt lgkmcnt(0)
	v_mul_f64 v[11:12], v[11:12], v[25:26]
	v_xor_b32_e32 v26, 0x80000000, v12
	v_mov_b32_e32 v25, v11
	ds_write_b64 v24, v[25:26]
.LBB29_810:
	s_or_b64 exec, exec, s[12:13]
	s_waitcnt lgkmcnt(0)
	s_barrier
	s_and_saveexec_b64 s[12:13], s[0:1]
	s_cbranch_execz .LBB29_812
; %bb.811:
	v_lshlrev_b32_e32 v25, 3, v22
	ds_read_b64 v[25:26], v25 offset:1024
	ds_read_b64 v[27:28], v24
	s_waitcnt lgkmcnt(0)
	v_fma_f64 v[11:12], -v[25:26], v[27:28], v[11:12]
.LBB29_812:
	s_or_b64 exec, exec, s[12:13]
	s_barrier
	s_mov_b64 s[0:1], exec
	v_readlane_b32 s12, v36, 59
	v_readlane_b32 s13, v36, 60
	s_and_b64 s[12:13], s[0:1], s[12:13]
	s_mov_b64 exec, s[12:13]
	s_cbranch_execz .LBB29_814
; %bb.813:
	v_mov_b32_e32 v25, 0
	ds_read_b64 v[25:26], v25 offset:520
	s_waitcnt lgkmcnt(0)
	v_mul_f64 v[11:12], v[11:12], v[25:26]
	v_xor_b32_e32 v26, 0x80000000, v12
	v_mov_b32_e32 v25, v11
	ds_write_b64 v24, v[25:26]
.LBB29_814:
	s_or_b64 exec, exec, s[0:1]
	s_waitcnt lgkmcnt(0)
	s_barrier
	s_and_saveexec_b64 s[0:1], s[94:95]
	s_cbranch_execz .LBB29_816
; %bb.815:
	v_mov_b32_e32 v25, 0
	ds_read_b64 v[25:26], v25 offset:512
	ds_read_b64 v[27:28], v24
	s_waitcnt lgkmcnt(0)
	v_fma_f64 v[11:12], -v[25:26], v[27:28], v[11:12]
.LBB29_816:
	s_or_b64 exec, exec, s[0:1]
	s_barrier
	s_and_saveexec_b64 s[0:1], s[94:95]
	s_cbranch_execz .LBB29_818
; %bb.817:
	v_mov_b32_e32 v25, 0
	ds_read_b64 v[25:26], v25
	s_waitcnt lgkmcnt(0)
	v_mul_f64 v[11:12], v[11:12], v[25:26]
	v_xor_b32_e32 v26, 0x80000000, v12
	v_mov_b32_e32 v25, v11
	ds_write_b64 v24, v[25:26]
.LBB29_818:
	s_or_b64 exec, exec, s[0:1]
	s_waitcnt lgkmcnt(0)
	s_barrier
	s_barrier
	s_and_saveexec_b64 s[0:1], s[10:11]
; %bb.819:
	v_lshlrev_b32_e32 v22, 3, v22
	v_lshl_or_b32 v22, v23, 9, v22
	ds_write_b64 v22, v[11:12] offset:8192
; %bb.820:
	s_or_b64 exec, exec, s[0:1]
	s_waitcnt lgkmcnt(0)
	s_barrier
	s_barrier
	s_mov_b64 s[0:1], exec
	v_readlane_b32 s10, v36, 61
	v_readlane_b32 s11, v36, 62
	s_and_b64 s[10:11], s[0:1], s[10:11]
	s_mov_b64 exec, s[10:11]
	s_cbranch_execz .LBB29_822
; %bb.821:
	v_lshlrev_b32_e32 v22, 9, v0
	ds_read_b64 v[11:12], v22 offset:8192
	s_movk_i32 s10, 0xfe08
	v_mad_i32_i24 v23, v0, s10, v22
	s_waitcnt lgkmcnt(0)
	ds_write_b64 v23, v[11:12] offset:128
	ds_read_b64 v[11:12], v22 offset:8200
	s_waitcnt lgkmcnt(0)
	ds_write_b64 v23, v[11:12] offset:640
	ds_read_b64 v[11:12], v22 offset:8208
	;; [unrolled: 3-line block ×15, first 2 shown]
	s_waitcnt lgkmcnt(0)
	ds_write_b64 v23, v[11:12] offset:7808
.LBB29_822:
	s_or_b64 exec, exec, s[0:1]
	s_waitcnt lgkmcnt(0)
	s_barrier
	s_and_saveexec_b64 s[0:1], vcc
	s_cbranch_execz .LBB29_824
; %bb.823:
	v_mov_b32_e32 v11, 0
	ds_read_b128 v[22:25], v11 offset:7792
	ds_read_b64 v[11:12], v11 offset:7280
	s_movk_i32 s10, 0x1800
	s_waitcnt lgkmcnt(0)
	v_mul_f64 v[11:12], v[11:12], v[24:25]
	v_mul_f64 v[11:12], v[22:23], v[11:12]
	v_add_u32_e64 v22, s10, 0
	ds_write2_b64 v22, v[11:12], v[11:12] offset0:143 offset1:206
.LBB29_824:
	s_or_b64 exec, exec, s[0:1]
	v_mov_b32_e32 v11, 0
	v_mov_b32_e32 v12, 0
	s_waitcnt lgkmcnt(0)
	s_barrier
	buffer_wbinvl1_vol
	s_and_saveexec_b64 s[0:1], s[2:3]
	s_cbranch_execz .LBB29_828
; %bb.825:
	v_lshlrev_b32_e32 v22, 9, v13
	v_lshlrev_b32_e32 v11, 3, v1
	ds_read_b64 v[11:12], v11 offset:7264
	ds_read_b64 v[22:23], v22 offset:7280
	v_cmp_gt_u32_e64 s[10:11], 2, v15
	s_waitcnt lgkmcnt(0)
	v_fma_f64 v[11:12], v[11:12], v[22:23], 0
	s_and_saveexec_b64 s[12:13], s[10:11]
	s_cbranch_execz .LBB29_827
; %bb.826:
	v_lshlrev_b32_e32 v22, 3, v0
	v_mov_b32_e32 v24, 0
	ds_read_b64 v[22:23], v22 offset:7776
	ds_read_b64 v[24:25], v24 offset:7800
	s_waitcnt lgkmcnt(0)
	v_fma_f64 v[11:12], v[22:23], v[24:25], v[11:12]
.LBB29_827:
	s_or_b64 exec, exec, s[12:13]
.LBB29_828:
	s_or_b64 exec, exec, s[0:1]
	s_and_saveexec_b64 s[0:1], s[30:31]
	s_cbranch_execz .LBB29_830
; %bb.829:
	v_mov_b32_e32 v22, 0
	ds_read_b64 v[22:23], v22 offset:6760
	s_waitcnt lgkmcnt(0)
	v_mul_f64 v[11:12], v[11:12], v[22:23]
	v_xor_b32_e32 v23, 0x80000000, v12
	v_mov_b32_e32 v22, v11
	ds_write_b64 v14, v[22:23]
.LBB29_830:
	s_or_b64 exec, exec, s[0:1]
	s_waitcnt lgkmcnt(0)
	s_barrier
	s_and_saveexec_b64 s[0:1], s[28:29]
	s_cbranch_execz .LBB29_832
; %bb.831:
	v_mov_b32_e32 v22, 0
	ds_read_b64 v[22:23], v22 offset:6752
	ds_read_b64 v[24:25], v14
	s_waitcnt lgkmcnt(0)
	v_fma_f64 v[11:12], -v[22:23], v[24:25], v[11:12]
.LBB29_832:
	s_or_b64 exec, exec, s[0:1]
	s_barrier
	s_and_saveexec_b64 s[0:1], s[28:29]
	s_cbranch_execz .LBB29_834
; %bb.833:
	v_mov_b32_e32 v22, 0
	ds_read_b64 v[22:23], v22 offset:6240
	s_waitcnt lgkmcnt(0)
	v_mul_f64 v[11:12], v[11:12], v[22:23]
	v_xor_b32_e32 v23, 0x80000000, v12
	v_mov_b32_e32 v22, v11
	ds_write_b64 v14, v[22:23]
.LBB29_834:
	s_or_b64 exec, exec, s[0:1]
	s_waitcnt lgkmcnt(0)
	s_barrier
	s_barrier
	s_and_saveexec_b64 s[0:1], s[2:3]
; %bb.835:
	v_lshlrev_b32_e32 v22, 3, v1
	v_lshl_or_b32 v22, v13, 9, v22
	ds_write_b64 v22, v[11:12] offset:7264
; %bb.836:
	s_or_b64 exec, exec, s[0:1]
	s_waitcnt lgkmcnt(0)
	s_barrier
	s_barrier
	s_and_saveexec_b64 s[0:1], s[34:35]
	s_cbranch_execz .LBB29_838
; %bb.837:
	v_lshlrev_b32_e32 v22, 3, v0
	s_movk_i32 s10, 0x1f8
	v_mad_u32_u24 v23, v0, s10, v22
	ds_read_b64 v[11:12], v23 offset:7264
	s_waitcnt lgkmcnt(0)
	ds_write_b64 v22, v[11:12] offset:6256
	ds_read_b64 v[11:12], v23 offset:7272
	s_waitcnt lgkmcnt(0)
	ds_write_b64 v22, v[11:12] offset:6768
.LBB29_838:
	s_or_b64 exec, exec, s[0:1]
	s_waitcnt lgkmcnt(0)
	s_barrier
	s_and_saveexec_b64 s[0:1], vcc
	s_cbranch_execz .LBB29_840
; %bb.839:
	v_mov_b32_e32 v11, 0
	ds_read_b128 v[22:25], v11 offset:6752
	ds_read_b64 v[11:12], v11 offset:6240
	s_movk_i32 s10, 0x1800
	s_waitcnt lgkmcnt(0)
	v_mul_f64 v[11:12], v[11:12], v[24:25]
	v_mul_f64 v[11:12], v[22:23], v[11:12]
	v_add_u32_e64 v22, s10, 0
	ds_write2_b64 v22, v[11:12], v[11:12] offset0:13 offset1:76
.LBB29_840:
	s_or_b64 exec, exec, s[0:1]
	v_mov_b32_e32 v11, 0
	v_mov_b32_e32 v12, 0
	s_waitcnt lgkmcnt(0)
	s_barrier
	buffer_wbinvl1_vol
	s_and_saveexec_b64 s[0:1], s[18:19]
	s_cbranch_execz .LBB29_846
; %bb.841:
	v_lshlrev_b32_e32 v23, 3, v16
	v_lshlrev_b32_e32 v22, 9, v17
	ds_read_b64 v[11:12], v23 offset:6208
	ds_read_b64 v[24:25], v22 offset:6240
	v_cmp_gt_u32_e64 s[10:11], 12, v15
	s_waitcnt lgkmcnt(0)
	v_fma_f64 v[11:12], v[11:12], v[24:25], 0
	s_and_saveexec_b64 s[12:13], s[10:11]
	s_cbranch_execnz .LBB29_1138
; %bb.842:
	s_or_b64 exec, exec, s[12:13]
	v_cmp_gt_u32_e64 s[10:11], 8, v15
	s_and_saveexec_b64 s[12:13], s[10:11]
	s_cbranch_execnz .LBB29_1139
.LBB29_843:
	s_or_b64 exec, exec, s[12:13]
	v_cmp_gt_u32_e64 s[10:11], 4, v15
	s_and_saveexec_b64 s[12:13], s[10:11]
	s_cbranch_execz .LBB29_845
.LBB29_844:
	v_lshlrev_b32_e32 v22, 3, v0
	v_mov_b32_e32 v24, 0
	ds_read_b64 v[22:23], v22 offset:7744
	ds_read_b64 v[24:25], v24 offset:7800
	s_waitcnt lgkmcnt(0)
	v_fma_f64 v[11:12], v[22:23], v[24:25], v[11:12]
.LBB29_845:
	s_or_b64 exec, exec, s[12:13]
.LBB29_846:
	s_or_b64 exec, exec, s[0:1]
	s_and_saveexec_b64 s[0:1], s[38:39]
	s_cbranch_execz .LBB29_848
; %bb.847:
	v_mov_b32_e32 v22, 0
	ds_read_b64 v[22:23], v22 offset:5720
	s_waitcnt lgkmcnt(0)
	v_mul_f64 v[11:12], v[11:12], v[22:23]
	v_xor_b32_e32 v23, 0x80000000, v12
	v_mov_b32_e32 v22, v11
	ds_write_b64 v18, v[22:23]
.LBB29_848:
	s_or_b64 exec, exec, s[0:1]
	s_waitcnt lgkmcnt(0)
	s_barrier
	s_and_saveexec_b64 s[0:1], s[42:43]
	s_cbranch_execz .LBB29_850
; %bb.849:
	v_lshlrev_b32_e32 v22, 3, v16
	ds_read_b64 v[22:23], v22 offset:5696
	ds_read_b64 v[24:25], v18
	s_waitcnt lgkmcnt(0)
	v_fma_f64 v[11:12], -v[22:23], v[24:25], v[11:12]
.LBB29_850:
	s_or_b64 exec, exec, s[0:1]
	s_barrier
	s_and_saveexec_b64 s[0:1], s[44:45]
	s_cbranch_execz .LBB29_852
; %bb.851:
	v_mov_b32_e32 v22, 0
	ds_read_b64 v[22:23], v22 offset:5200
	s_waitcnt lgkmcnt(0)
	v_mul_f64 v[11:12], v[11:12], v[22:23]
	v_xor_b32_e32 v23, 0x80000000, v12
	v_mov_b32_e32 v22, v11
	ds_write_b64 v18, v[22:23]
.LBB29_852:
	s_or_b64 exec, exec, s[0:1]
	s_waitcnt lgkmcnt(0)
	s_barrier
	s_and_saveexec_b64 s[0:1], s[52:53]
	s_cbranch_execz .LBB29_854
; %bb.853:
	v_lshlrev_b32_e32 v22, 3, v16
	ds_read_b64 v[22:23], v22 offset:5184
	ds_read_b64 v[24:25], v18
	s_waitcnt lgkmcnt(0)
	v_fma_f64 v[11:12], -v[22:23], v[24:25], v[11:12]
.LBB29_854:
	s_or_b64 exec, exec, s[0:1]
	s_barrier
	s_and_saveexec_b64 s[0:1], s[54:55]
	s_cbranch_execz .LBB29_856
; %bb.855:
	v_mov_b32_e32 v22, 0
	ds_read_b64 v[22:23], v22 offset:4680
	s_waitcnt lgkmcnt(0)
	v_mul_f64 v[11:12], v[11:12], v[22:23]
	v_xor_b32_e32 v23, 0x80000000, v12
	v_mov_b32_e32 v22, v11
	ds_write_b64 v18, v[22:23]
.LBB29_856:
	s_or_b64 exec, exec, s[0:1]
	s_waitcnt lgkmcnt(0)
	s_barrier
	s_and_saveexec_b64 s[0:1], s[36:37]
	s_cbranch_execz .LBB29_858
; %bb.857:
	v_mov_b32_e32 v22, 0
	ds_read_b64 v[22:23], v22 offset:4672
	ds_read_b64 v[24:25], v18
	s_waitcnt lgkmcnt(0)
	v_fma_f64 v[11:12], -v[22:23], v[24:25], v[11:12]
.LBB29_858:
	s_or_b64 exec, exec, s[0:1]
	s_barrier
	s_and_saveexec_b64 s[0:1], s[36:37]
	s_cbranch_execz .LBB29_860
; %bb.859:
	v_mov_b32_e32 v22, 0
	ds_read_b64 v[22:23], v22 offset:4160
	s_waitcnt lgkmcnt(0)
	v_mul_f64 v[11:12], v[11:12], v[22:23]
	v_xor_b32_e32 v23, 0x80000000, v12
	v_mov_b32_e32 v22, v11
	ds_write_b64 v18, v[22:23]
.LBB29_860:
	s_or_b64 exec, exec, s[0:1]
	s_waitcnt lgkmcnt(0)
	s_barrier
	s_barrier
	s_and_saveexec_b64 s[0:1], s[18:19]
; %bb.861:
	v_lshlrev_b32_e32 v22, 3, v16
	v_lshl_or_b32 v22, v17, 9, v22
	ds_write_b64 v22, v[11:12] offset:6208
; %bb.862:
	s_or_b64 exec, exec, s[0:1]
	s_waitcnt lgkmcnt(0)
	s_barrier
	s_barrier
	s_and_saveexec_b64 s[0:1], s[56:57]
	s_cbranch_execz .LBB29_864
; %bb.863:
	v_lshlrev_b32_e32 v22, 9, v0
	ds_read_b64 v[11:12], v22 offset:6208
	s_movk_i32 s10, 0xfe08
	v_mad_i32_i24 v23, v0, s10, v22
	s_waitcnt lgkmcnt(0)
	ds_write_b64 v23, v[11:12] offset:4192
	ds_read_b64 v[11:12], v22 offset:6216
	s_waitcnt lgkmcnt(0)
	ds_write_b64 v23, v[11:12] offset:4704
	ds_read_b64 v[11:12], v22 offset:6224
	;; [unrolled: 3-line block ×3, first 2 shown]
	s_waitcnt lgkmcnt(0)
	ds_write_b64 v23, v[11:12] offset:5728
.LBB29_864:
	s_or_b64 exec, exec, s[0:1]
	s_waitcnt lgkmcnt(0)
	s_barrier
	s_and_saveexec_b64 s[0:1], vcc
	s_cbranch_execz .LBB29_866
; %bb.865:
	v_mov_b32_e32 v11, 0
	ds_read_b128 v[22:25], v11 offset:5712
	ds_read_b64 v[11:12], v11 offset:5200
	s_movk_i32 s10, 0x1000
	s_waitcnt lgkmcnt(0)
	v_mul_f64 v[11:12], v[11:12], v[24:25]
	v_mul_f64 v[11:12], v[22:23], v[11:12]
	v_add_u32_e64 v22, s10, 0
	ds_write2_b64 v22, v[11:12], v[11:12] offset0:139 offset1:202
.LBB29_866:
	s_or_b64 exec, exec, s[0:1]
	v_mov_b32_e32 v11, 0
	v_mov_b32_e32 v12, 0
	s_waitcnt lgkmcnt(0)
	s_barrier
	buffer_wbinvl1_vol
	s_and_saveexec_b64 s[0:1], s[2:3]
	s_cbranch_execz .LBB29_870
; %bb.867:
	v_lshlrev_b32_e32 v22, 9, v13
	v_lshlrev_b32_e32 v11, 3, v1
	ds_read_b64 v[11:12], v11 offset:5184
	ds_read_b64 v[22:23], v22 offset:5200
	v_cmp_gt_u32_e64 s[10:11], 2, v15
	s_waitcnt lgkmcnt(0)
	v_fma_f64 v[11:12], v[11:12], v[22:23], 0
	s_and_saveexec_b64 s[12:13], s[10:11]
	s_cbranch_execz .LBB29_869
; %bb.868:
	v_lshlrev_b32_e32 v22, 3, v0
	v_mov_b32_e32 v24, 0
	ds_read_b64 v[22:23], v22 offset:5696
	ds_read_b64 v[24:25], v24 offset:5720
	s_waitcnt lgkmcnt(0)
	v_fma_f64 v[11:12], v[22:23], v[24:25], v[11:12]
.LBB29_869:
	s_or_b64 exec, exec, s[12:13]
.LBB29_870:
	s_or_b64 exec, exec, s[0:1]
	s_and_saveexec_b64 s[0:1], s[30:31]
	s_cbranch_execz .LBB29_872
; %bb.871:
	v_mov_b32_e32 v22, 0
	ds_read_b64 v[22:23], v22 offset:4680
	s_waitcnt lgkmcnt(0)
	v_mul_f64 v[11:12], v[11:12], v[22:23]
	v_xor_b32_e32 v23, 0x80000000, v12
	v_mov_b32_e32 v22, v11
	ds_write_b64 v14, v[22:23]
.LBB29_872:
	s_or_b64 exec, exec, s[0:1]
	s_waitcnt lgkmcnt(0)
	s_barrier
	s_and_saveexec_b64 s[0:1], s[28:29]
	s_cbranch_execz .LBB29_874
; %bb.873:
	v_mov_b32_e32 v22, 0
	ds_read_b64 v[22:23], v22 offset:4672
	ds_read_b64 v[24:25], v14
	s_waitcnt lgkmcnt(0)
	v_fma_f64 v[11:12], -v[22:23], v[24:25], v[11:12]
.LBB29_874:
	s_or_b64 exec, exec, s[0:1]
	s_barrier
	s_and_saveexec_b64 s[0:1], s[28:29]
	s_cbranch_execz .LBB29_876
; %bb.875:
	v_mov_b32_e32 v22, 0
	ds_read_b64 v[22:23], v22 offset:4160
	s_waitcnt lgkmcnt(0)
	v_mul_f64 v[11:12], v[11:12], v[22:23]
	v_xor_b32_e32 v23, 0x80000000, v12
	v_mov_b32_e32 v22, v11
	ds_write_b64 v14, v[22:23]
.LBB29_876:
	s_or_b64 exec, exec, s[0:1]
	s_waitcnt lgkmcnt(0)
	s_barrier
	s_barrier
	s_and_saveexec_b64 s[0:1], s[2:3]
; %bb.877:
	v_lshlrev_b32_e32 v22, 3, v1
	v_lshl_or_b32 v22, v13, 9, v22
	ds_write_b64 v22, v[11:12] offset:5184
; %bb.878:
	s_or_b64 exec, exec, s[0:1]
	s_waitcnt lgkmcnt(0)
	s_barrier
	s_barrier
	s_and_saveexec_b64 s[0:1], s[34:35]
	s_cbranch_execz .LBB29_880
; %bb.879:
	v_lshlrev_b32_e32 v22, 3, v0
	s_movk_i32 s10, 0x1f8
	v_mad_u32_u24 v23, v0, s10, v22
	ds_read_b64 v[11:12], v23 offset:5184
	s_waitcnt lgkmcnt(0)
	ds_write_b64 v22, v[11:12] offset:4176
	ds_read_b64 v[11:12], v23 offset:5192
	s_waitcnt lgkmcnt(0)
	ds_write_b64 v22, v[11:12] offset:4688
.LBB29_880:
	s_or_b64 exec, exec, s[0:1]
	s_waitcnt lgkmcnt(0)
	s_barrier
	s_and_saveexec_b64 s[0:1], vcc
	s_cbranch_execz .LBB29_882
; %bb.881:
	v_mov_b32_e32 v11, 0
	ds_read_b128 v[22:25], v11 offset:4672
	ds_read_b64 v[11:12], v11 offset:4160
	s_movk_i32 s10, 0x1000
	s_waitcnt lgkmcnt(0)
	v_mul_f64 v[11:12], v[11:12], v[24:25]
	v_mul_f64 v[11:12], v[22:23], v[11:12]
	v_add_u32_e64 v22, s10, 0
	ds_write2_b64 v22, v[11:12], v[11:12] offset0:9 offset1:72
.LBB29_882:
	s_or_b64 exec, exec, s[0:1]
	v_mov_b32_e32 v11, 0
	v_mov_b32_e32 v12, 0
	s_waitcnt lgkmcnt(0)
	s_barrier
	buffer_wbinvl1_vol
	s_and_saveexec_b64 s[0:1], s[8:9]
	s_cbranch_execz .LBB29_892
; %bb.883:
	v_lshlrev_b32_e32 v23, 3, v19
	v_lshlrev_b32_e32 v22, 9, v20
	ds_read_b64 v[11:12], v23 offset:4096
	ds_read_b64 v[24:25], v22 offset:4160
	v_cmp_gt_u32_e64 s[10:11], 56, v15
	s_waitcnt lgkmcnt(0)
	v_fma_f64 v[11:12], v[11:12], v[24:25], 0
	s_and_saveexec_b64 s[12:13], s[10:11]
	s_cbranch_execnz .LBB29_1140
; %bb.884:
	s_or_b64 exec, exec, s[12:13]
	v_cmp_gt_u32_e64 s[10:11], 48, v15
	s_and_saveexec_b64 s[12:13], s[10:11]
	s_cbranch_execnz .LBB29_1141
.LBB29_885:
	s_or_b64 exec, exec, s[12:13]
	v_cmp_gt_u32_e64 s[10:11], 40, v15
	s_and_saveexec_b64 s[12:13], s[10:11]
	s_cbranch_execnz .LBB29_1142
.LBB29_886:
	s_or_b64 exec, exec, s[12:13]
	v_cmp_gt_u32_e64 s[10:11], 32, v15
	s_and_saveexec_b64 s[12:13], s[10:11]
	s_cbranch_execnz .LBB29_1143
.LBB29_887:
	s_or_b64 exec, exec, s[12:13]
	v_cmp_gt_u32_e64 s[10:11], 24, v15
	s_and_saveexec_b64 s[12:13], s[10:11]
	s_cbranch_execnz .LBB29_1144
.LBB29_888:
	s_or_b64 exec, exec, s[12:13]
	s_and_saveexec_b64 s[10:11], s[18:19]
	s_cbranch_execnz .LBB29_1145
.LBB29_889:
	s_or_b64 exec, exec, s[10:11]
	v_cmp_gt_u32_e64 s[10:11], 8, v15
	s_and_saveexec_b64 s[12:13], s[10:11]
	s_cbranch_execz .LBB29_891
.LBB29_890:
	v_lshlrev_b32_e32 v22, 3, v0
	v_mov_b32_e32 v24, 0
	ds_read_b64 v[22:23], v22 offset:7680
	ds_read_b64 v[24:25], v24 offset:7800
	s_waitcnt lgkmcnt(0)
	v_fma_f64 v[11:12], v[22:23], v[24:25], v[11:12]
.LBB29_891:
	s_or_b64 exec, exec, s[12:13]
.LBB29_892:
	s_or_b64 exec, exec, s[0:1]
	s_and_saveexec_b64 s[0:1], s[58:59]
	s_cbranch_execz .LBB29_894
; %bb.893:
	v_mov_b32_e32 v22, 0
	ds_read_b64 v[22:23], v22 offset:3640
	s_waitcnt lgkmcnt(0)
	v_mul_f64 v[11:12], v[11:12], v[22:23]
	v_xor_b32_e32 v23, 0x80000000, v12
	v_mov_b32_e32 v22, v11
	ds_write_b64 v21, v[22:23]
.LBB29_894:
	s_or_b64 exec, exec, s[0:1]
	s_waitcnt lgkmcnt(0)
	s_barrier
	s_and_saveexec_b64 s[0:1], s[60:61]
	v_readlane_b32 s26, v36, 3
	v_readlane_b32 s58, v36, 1
	;; [unrolled: 1-line block ×4, first 2 shown]
	s_cbranch_execz .LBB29_896
; %bb.895:
	v_lshlrev_b32_e32 v22, 3, v19
	ds_read_b64 v[22:23], v22 offset:3584
	ds_read_b64 v[24:25], v21
	s_waitcnt lgkmcnt(0)
	v_fma_f64 v[11:12], -v[22:23], v[24:25], v[11:12]
.LBB29_896:
	s_or_b64 exec, exec, s[0:1]
	s_barrier
	s_and_saveexec_b64 s[0:1], s[62:63]
	s_cbranch_execz .LBB29_898
; %bb.897:
	v_mov_b32_e32 v22, 0
	ds_read_b64 v[22:23], v22 offset:3120
	s_waitcnt lgkmcnt(0)
	v_mul_f64 v[11:12], v[11:12], v[22:23]
	v_xor_b32_e32 v23, 0x80000000, v12
	v_mov_b32_e32 v22, v11
	ds_write_b64 v21, v[22:23]
.LBB29_898:
	s_or_b64 exec, exec, s[0:1]
	s_waitcnt lgkmcnt(0)
	s_barrier
	s_and_saveexec_b64 s[0:1], s[64:65]
	s_cbranch_execz .LBB29_900
; %bb.899:
	v_lshlrev_b32_e32 v22, 3, v19
	ds_read_b64 v[22:23], v22 offset:3072
	ds_read_b64 v[24:25], v21
	s_waitcnt lgkmcnt(0)
	v_fma_f64 v[11:12], -v[22:23], v[24:25], v[11:12]
.LBB29_900:
	s_or_b64 exec, exec, s[0:1]
	s_barrier
	s_and_saveexec_b64 s[0:1], s[66:67]
	s_cbranch_execz .LBB29_902
; %bb.901:
	v_mov_b32_e32 v22, 0
	ds_read_b64 v[22:23], v22 offset:2600
	s_waitcnt lgkmcnt(0)
	v_mul_f64 v[11:12], v[11:12], v[22:23]
	v_xor_b32_e32 v23, 0x80000000, v12
	v_mov_b32_e32 v22, v11
	ds_write_b64 v21, v[22:23]
.LBB29_902:
	s_or_b64 exec, exec, s[0:1]
	s_waitcnt lgkmcnt(0)
	s_barrier
	s_and_saveexec_b64 s[0:1], s[70:71]
	;; [unrolled: 25-line block ×6, first 2 shown]
	s_cbranch_execz .LBB29_920
; %bb.919:
	v_mov_b32_e32 v22, 0
	ds_read_b64 v[22:23], v22 offset:512
	ds_read_b64 v[24:25], v21
	s_waitcnt lgkmcnt(0)
	v_fma_f64 v[11:12], -v[22:23], v[24:25], v[11:12]
.LBB29_920:
	s_or_b64 exec, exec, s[0:1]
	s_barrier
	s_and_saveexec_b64 s[0:1], s[68:69]
	s_cbranch_execz .LBB29_922
; %bb.921:
	v_mov_b32_e32 v22, 0
	ds_read_b64 v[22:23], v22
	s_waitcnt lgkmcnt(0)
	v_mul_f64 v[11:12], v[11:12], v[22:23]
	v_xor_b32_e32 v23, 0x80000000, v12
	v_mov_b32_e32 v22, v11
	ds_write_b64 v21, v[22:23]
.LBB29_922:
	s_or_b64 exec, exec, s[0:1]
	s_waitcnt lgkmcnt(0)
	s_barrier
	s_barrier
	s_and_saveexec_b64 s[0:1], s[8:9]
; %bb.923:
	v_lshlrev_b32_e32 v19, 3, v19
	v_lshl_or_b32 v19, v20, 9, v19
	ds_write_b64 v19, v[11:12] offset:4096
; %bb.924:
	s_or_b64 exec, exec, s[0:1]
	s_waitcnt lgkmcnt(0)
	s_barrier
	s_barrier
	s_and_saveexec_b64 s[0:1], s[86:87]
	s_cbranch_execz .LBB29_926
; %bb.925:
	v_lshlrev_b32_e32 v19, 9, v0
	ds_read_b64 v[11:12], v19 offset:4096
	s_movk_i32 s8, 0xfe08
	v_mad_i32_i24 v20, v0, s8, v19
	s_waitcnt lgkmcnt(0)
	ds_write_b64 v20, v[11:12] offset:64
	ds_read_b64 v[11:12], v19 offset:4104
	s_waitcnt lgkmcnt(0)
	ds_write_b64 v20, v[11:12] offset:576
	ds_read_b64 v[11:12], v19 offset:4112
	;; [unrolled: 3-line block ×7, first 2 shown]
	s_waitcnt lgkmcnt(0)
	ds_write_b64 v20, v[11:12] offset:3648
.LBB29_926:
	s_or_b64 exec, exec, s[0:1]
	s_waitcnt lgkmcnt(0)
	s_barrier
	s_and_saveexec_b64 s[0:1], vcc
	s_cbranch_execz .LBB29_928
; %bb.927:
	v_mov_b32_e32 v11, 0
	ds_read_b128 v[19:22], v11 offset:3632
	ds_read_b64 v[11:12], v11 offset:3120
	s_movk_i32 s8, 0x800
	s_waitcnt lgkmcnt(0)
	v_mul_f64 v[11:12], v[11:12], v[21:22]
	v_mul_f64 v[11:12], v[19:20], v[11:12]
	v_add_u32_e64 v19, s8, 0
	ds_write2_b64 v19, v[11:12], v[11:12] offset0:135 offset1:198
.LBB29_928:
	s_or_b64 exec, exec, s[0:1]
	v_mov_b32_e32 v11, 0
	v_mov_b32_e32 v12, 0
	s_waitcnt lgkmcnt(0)
	s_barrier
	buffer_wbinvl1_vol
	s_and_saveexec_b64 s[0:1], s[2:3]
	s_cbranch_execz .LBB29_932
; %bb.929:
	v_lshlrev_b32_e32 v19, 9, v13
	v_lshlrev_b32_e32 v11, 3, v1
	ds_read_b64 v[11:12], v11 offset:3104
	ds_read_b64 v[19:20], v19 offset:3120
	v_cmp_gt_u32_e64 s[8:9], 2, v15
	s_waitcnt lgkmcnt(0)
	v_fma_f64 v[11:12], v[11:12], v[19:20], 0
	s_and_saveexec_b64 s[10:11], s[8:9]
	s_cbranch_execz .LBB29_931
; %bb.930:
	v_lshlrev_b32_e32 v19, 3, v0
	v_mov_b32_e32 v21, 0
	ds_read_b64 v[19:20], v19 offset:3616
	ds_read_b64 v[21:22], v21 offset:3640
	s_waitcnt lgkmcnt(0)
	v_fma_f64 v[11:12], v[19:20], v[21:22], v[11:12]
.LBB29_931:
	s_or_b64 exec, exec, s[10:11]
.LBB29_932:
	s_or_b64 exec, exec, s[0:1]
	s_and_saveexec_b64 s[0:1], s[30:31]
	s_cbranch_execz .LBB29_934
; %bb.933:
	v_mov_b32_e32 v19, 0
	ds_read_b64 v[19:20], v19 offset:2600
	s_waitcnt lgkmcnt(0)
	v_mul_f64 v[11:12], v[11:12], v[19:20]
	v_xor_b32_e32 v20, 0x80000000, v12
	v_mov_b32_e32 v19, v11
	ds_write_b64 v14, v[19:20]
.LBB29_934:
	s_or_b64 exec, exec, s[0:1]
	s_waitcnt lgkmcnt(0)
	s_barrier
	s_and_saveexec_b64 s[0:1], s[28:29]
	s_cbranch_execz .LBB29_936
; %bb.935:
	v_mov_b32_e32 v19, 0
	ds_read_b64 v[19:20], v19 offset:2592
	ds_read_b64 v[21:22], v14
	s_waitcnt lgkmcnt(0)
	v_fma_f64 v[11:12], -v[19:20], v[21:22], v[11:12]
.LBB29_936:
	s_or_b64 exec, exec, s[0:1]
	s_barrier
	s_and_saveexec_b64 s[0:1], s[28:29]
	s_cbranch_execz .LBB29_938
; %bb.937:
	v_mov_b32_e32 v19, 0
	ds_read_b64 v[19:20], v19 offset:2080
	s_waitcnt lgkmcnt(0)
	v_mul_f64 v[11:12], v[11:12], v[19:20]
	v_xor_b32_e32 v20, 0x80000000, v12
	v_mov_b32_e32 v19, v11
	ds_write_b64 v14, v[19:20]
.LBB29_938:
	s_or_b64 exec, exec, s[0:1]
	s_waitcnt lgkmcnt(0)
	s_barrier
	s_barrier
	s_and_saveexec_b64 s[0:1], s[2:3]
; %bb.939:
	v_lshlrev_b32_e32 v19, 3, v1
	v_lshl_or_b32 v19, v13, 9, v19
	ds_write_b64 v19, v[11:12] offset:3104
; %bb.940:
	s_or_b64 exec, exec, s[0:1]
	s_waitcnt lgkmcnt(0)
	s_barrier
	s_barrier
	s_and_saveexec_b64 s[0:1], s[34:35]
	s_cbranch_execz .LBB29_942
; %bb.941:
	v_lshlrev_b32_e32 v19, 3, v0
	s_movk_i32 s8, 0x1f8
	v_mad_u32_u24 v20, v0, s8, v19
	ds_read_b64 v[11:12], v20 offset:3104
	s_waitcnt lgkmcnt(0)
	ds_write_b64 v19, v[11:12] offset:2096
	ds_read_b64 v[11:12], v20 offset:3112
	s_waitcnt lgkmcnt(0)
	ds_write_b64 v19, v[11:12] offset:2608
.LBB29_942:
	s_or_b64 exec, exec, s[0:1]
	s_waitcnt lgkmcnt(0)
	s_barrier
	s_and_saveexec_b64 s[0:1], vcc
	s_cbranch_execz .LBB29_944
; %bb.943:
	v_mov_b32_e32 v11, 0
	ds_read_b128 v[19:22], v11 offset:2592
	ds_read_b64 v[11:12], v11 offset:2080
	s_movk_i32 s8, 0x800
	s_waitcnt lgkmcnt(0)
	v_mul_f64 v[11:12], v[11:12], v[21:22]
	v_mul_f64 v[11:12], v[19:20], v[11:12]
	v_add_u32_e64 v19, s8, 0
	ds_write2_b64 v19, v[11:12], v[11:12] offset0:5 offset1:68
.LBB29_944:
	s_or_b64 exec, exec, s[0:1]
	v_mov_b32_e32 v11, 0
	v_mov_b32_e32 v12, 0
	s_waitcnt lgkmcnt(0)
	s_barrier
	buffer_wbinvl1_vol
	s_and_saveexec_b64 s[0:1], s[18:19]
	s_cbranch_execz .LBB29_950
; %bb.945:
	v_lshlrev_b32_e32 v20, 3, v16
	v_lshlrev_b32_e32 v19, 9, v17
	ds_read_b64 v[11:12], v20 offset:2048
	ds_read_b64 v[21:22], v19 offset:2080
	v_cmp_gt_u32_e64 s[8:9], 12, v15
	s_waitcnt lgkmcnt(0)
	v_fma_f64 v[11:12], v[11:12], v[21:22], 0
	s_and_saveexec_b64 s[10:11], s[8:9]
	s_cbranch_execnz .LBB29_1146
; %bb.946:
	s_or_b64 exec, exec, s[10:11]
	v_cmp_gt_u32_e64 s[8:9], 8, v15
	s_and_saveexec_b64 s[10:11], s[8:9]
	s_cbranch_execnz .LBB29_1147
.LBB29_947:
	s_or_b64 exec, exec, s[10:11]
	v_cmp_gt_u32_e64 s[8:9], 4, v15
	s_and_saveexec_b64 s[10:11], s[8:9]
	s_cbranch_execz .LBB29_949
.LBB29_948:
	v_lshlrev_b32_e32 v19, 3, v0
	v_mov_b32_e32 v21, 0
	ds_read_b64 v[19:20], v19 offset:3584
	ds_read_b64 v[21:22], v21 offset:3640
	s_waitcnt lgkmcnt(0)
	v_fma_f64 v[11:12], v[19:20], v[21:22], v[11:12]
.LBB29_949:
	s_or_b64 exec, exec, s[10:11]
.LBB29_950:
	s_or_b64 exec, exec, s[0:1]
	s_and_saveexec_b64 s[0:1], s[38:39]
	s_cbranch_execz .LBB29_952
; %bb.951:
	v_mov_b32_e32 v19, 0
	ds_read_b64 v[19:20], v19 offset:1560
	s_waitcnt lgkmcnt(0)
	v_mul_f64 v[11:12], v[11:12], v[19:20]
	v_xor_b32_e32 v20, 0x80000000, v12
	v_mov_b32_e32 v19, v11
	ds_write_b64 v18, v[19:20]
.LBB29_952:
	s_or_b64 exec, exec, s[0:1]
	s_waitcnt lgkmcnt(0)
	s_barrier
	s_and_saveexec_b64 s[0:1], s[42:43]
	v_readlane_b32 s38, v36, 0
	s_cbranch_execz .LBB29_954
; %bb.953:
	v_lshlrev_b32_e32 v19, 3, v16
	ds_read_b64 v[19:20], v19 offset:1536
	ds_read_b64 v[21:22], v18
	s_waitcnt lgkmcnt(0)
	v_fma_f64 v[11:12], -v[19:20], v[21:22], v[11:12]
.LBB29_954:
	s_or_b64 exec, exec, s[0:1]
	s_barrier
	s_and_saveexec_b64 s[0:1], s[44:45]
	s_cbranch_execz .LBB29_956
; %bb.955:
	v_mov_b32_e32 v19, 0
	ds_read_b64 v[19:20], v19 offset:1040
	s_waitcnt lgkmcnt(0)
	v_mul_f64 v[11:12], v[11:12], v[19:20]
	v_xor_b32_e32 v20, 0x80000000, v12
	v_mov_b32_e32 v19, v11
	ds_write_b64 v18, v[19:20]
.LBB29_956:
	s_or_b64 exec, exec, s[0:1]
	s_waitcnt lgkmcnt(0)
	s_barrier
	s_and_saveexec_b64 s[0:1], s[52:53]
	s_cbranch_execz .LBB29_958
; %bb.957:
	v_lshlrev_b32_e32 v19, 3, v16
	ds_read_b64 v[19:20], v19 offset:1024
	ds_read_b64 v[21:22], v18
	s_waitcnt lgkmcnt(0)
	v_fma_f64 v[11:12], -v[19:20], v[21:22], v[11:12]
.LBB29_958:
	s_or_b64 exec, exec, s[0:1]
	s_barrier
	s_and_saveexec_b64 s[0:1], s[54:55]
	s_cbranch_execz .LBB29_960
; %bb.959:
	v_mov_b32_e32 v19, 0
	ds_read_b64 v[19:20], v19 offset:520
	s_waitcnt lgkmcnt(0)
	v_mul_f64 v[11:12], v[11:12], v[19:20]
	v_xor_b32_e32 v20, 0x80000000, v12
	v_mov_b32_e32 v19, v11
	ds_write_b64 v18, v[19:20]
.LBB29_960:
	s_or_b64 exec, exec, s[0:1]
	s_waitcnt lgkmcnt(0)
	s_barrier
	s_and_saveexec_b64 s[0:1], s[36:37]
	s_cbranch_execz .LBB29_962
; %bb.961:
	v_mov_b32_e32 v19, 0
	ds_read_b64 v[19:20], v19 offset:512
	ds_read_b64 v[21:22], v18
	s_waitcnt lgkmcnt(0)
	v_fma_f64 v[11:12], -v[19:20], v[21:22], v[11:12]
.LBB29_962:
	s_or_b64 exec, exec, s[0:1]
	s_barrier
	s_and_saveexec_b64 s[0:1], s[36:37]
	s_cbranch_execz .LBB29_964
; %bb.963:
	v_mov_b32_e32 v19, 0
	ds_read_b64 v[19:20], v19
	s_waitcnt lgkmcnt(0)
	v_mul_f64 v[11:12], v[11:12], v[19:20]
	v_xor_b32_e32 v20, 0x80000000, v12
	v_mov_b32_e32 v19, v11
	ds_write_b64 v18, v[19:20]
.LBB29_964:
	s_or_b64 exec, exec, s[0:1]
	s_waitcnt lgkmcnt(0)
	s_barrier
	s_barrier
	s_and_saveexec_b64 s[0:1], s[18:19]
; %bb.965:
	v_lshlrev_b32_e32 v16, 3, v16
	v_lshl_or_b32 v16, v17, 9, v16
	ds_write_b64 v16, v[11:12] offset:2048
; %bb.966:
	s_or_b64 exec, exec, s[0:1]
	s_waitcnt lgkmcnt(0)
	s_barrier
	s_barrier
	s_and_saveexec_b64 s[0:1], s[56:57]
	s_cbranch_execz .LBB29_968
; %bb.967:
	v_lshlrev_b32_e32 v16, 9, v0
	ds_read_b64 v[11:12], v16 offset:2048
	s_movk_i32 s8, 0xfe08
	v_mad_i32_i24 v17, v0, s8, v16
	s_waitcnt lgkmcnt(0)
	ds_write_b64 v17, v[11:12] offset:32
	ds_read_b64 v[11:12], v16 offset:2056
	s_waitcnt lgkmcnt(0)
	ds_write_b64 v17, v[11:12] offset:544
	ds_read_b64 v[11:12], v16 offset:2064
	;; [unrolled: 3-line block ×3, first 2 shown]
	s_waitcnt lgkmcnt(0)
	ds_write_b64 v17, v[11:12] offset:1568
.LBB29_968:
	s_or_b64 exec, exec, s[0:1]
	s_waitcnt lgkmcnt(0)
	s_barrier
	s_and_saveexec_b64 s[0:1], vcc
	s_cbranch_execz .LBB29_970
; %bb.969:
	v_mov_b32_e32 v20, 0
	ds_read_b128 v[16:19], v20 offset:1552
	ds_read_b64 v[11:12], v20 offset:1040
	s_waitcnt lgkmcnt(0)
	v_mul_f64 v[11:12], v[11:12], v[18:19]
	v_mul_f64 v[11:12], v[16:17], v[11:12]
	ds_write2_b64 v20, v[11:12], v[11:12] offset0:131 offset1:194
.LBB29_970:
	s_or_b64 exec, exec, s[0:1]
	v_mov_b32_e32 v11, 0
	v_mov_b32_e32 v12, 0
	s_waitcnt lgkmcnt(0)
	s_barrier
	buffer_wbinvl1_vol
	s_and_saveexec_b64 s[0:1], s[2:3]
	s_cbranch_execz .LBB29_974
; %bb.971:
	v_lshlrev_b32_e32 v16, 9, v13
	v_lshlrev_b32_e32 v11, 3, v1
	ds_read_b64 v[11:12], v11 offset:1024
	ds_read_b64 v[16:17], v16 offset:1040
	v_cmp_gt_u32_e64 s[8:9], 2, v15
	s_waitcnt lgkmcnt(0)
	v_fma_f64 v[11:12], v[11:12], v[16:17], 0
	s_and_saveexec_b64 s[10:11], s[8:9]
	s_cbranch_execz .LBB29_973
; %bb.972:
	v_lshlrev_b32_e32 v15, 3, v0
	v_mov_b32_e32 v17, 0
	ds_read_b64 v[15:16], v15 offset:1536
	ds_read_b64 v[17:18], v17 offset:1560
	s_waitcnt lgkmcnt(0)
	v_fma_f64 v[11:12], v[15:16], v[17:18], v[11:12]
.LBB29_973:
	s_or_b64 exec, exec, s[10:11]
.LBB29_974:
	s_or_b64 exec, exec, s[0:1]
	s_and_saveexec_b64 s[0:1], s[30:31]
	s_cbranch_execz .LBB29_976
; %bb.975:
	v_mov_b32_e32 v15, 0
	ds_read_b64 v[15:16], v15 offset:520
	s_waitcnt lgkmcnt(0)
	v_mul_f64 v[11:12], v[11:12], v[15:16]
	v_xor_b32_e32 v16, 0x80000000, v12
	v_mov_b32_e32 v15, v11
	ds_write_b64 v14, v[15:16]
.LBB29_976:
	s_or_b64 exec, exec, s[0:1]
	s_waitcnt lgkmcnt(0)
	s_barrier
	s_and_saveexec_b64 s[0:1], s[28:29]
	s_cbranch_execz .LBB29_978
; %bb.977:
	v_mov_b32_e32 v15, 0
	ds_read_b64 v[15:16], v15 offset:512
	ds_read_b64 v[17:18], v14
	s_waitcnt lgkmcnt(0)
	v_fma_f64 v[11:12], -v[15:16], v[17:18], v[11:12]
.LBB29_978:
	s_or_b64 exec, exec, s[0:1]
	s_barrier
	s_and_saveexec_b64 s[0:1], s[28:29]
	s_cbranch_execz .LBB29_980
; %bb.979:
	v_mov_b32_e32 v15, 0
	ds_read_b64 v[15:16], v15
	s_waitcnt lgkmcnt(0)
	v_mul_f64 v[11:12], v[11:12], v[15:16]
	v_xor_b32_e32 v16, 0x80000000, v12
	v_mov_b32_e32 v15, v11
	ds_write_b64 v14, v[15:16]
.LBB29_980:
	s_or_b64 exec, exec, s[0:1]
	s_waitcnt lgkmcnt(0)
	s_barrier
	s_barrier
	s_and_saveexec_b64 s[0:1], s[2:3]
; %bb.981:
	v_lshlrev_b32_e32 v1, 3, v1
	v_lshl_or_b32 v1, v13, 9, v1
	ds_write_b64 v1, v[11:12] offset:1024
; %bb.982:
	s_or_b64 exec, exec, s[0:1]
	s_waitcnt lgkmcnt(0)
	s_barrier
	s_barrier
	s_and_saveexec_b64 s[0:1], s[34:35]
	s_cbranch_execz .LBB29_984
; %bb.983:
	v_lshlrev_b32_e32 v1, 3, v0
	s_movk_i32 s2, 0x1f8
	v_mad_u32_u24 v13, v0, s2, v1
	ds_read_b64 v[11:12], v13 offset:1024
	s_waitcnt lgkmcnt(0)
	ds_write_b64 v1, v[11:12] offset:16
	ds_read_b64 v[11:12], v13 offset:1032
	s_waitcnt lgkmcnt(0)
	ds_write_b64 v1, v[11:12] offset:528
.LBB29_984:
	s_or_b64 exec, exec, s[0:1]
	s_waitcnt lgkmcnt(0)
	s_barrier
	s_and_saveexec_b64 s[0:1], vcc
	s_cbranch_execz .LBB29_986
; %bb.985:
	v_mov_b32_e32 v1, 0
	ds_read_b128 v[11:14], v1 offset:512
	ds_read_b64 v[15:16], v1
	s_waitcnt lgkmcnt(0)
	v_mul_f64 v[13:14], v[15:16], v[13:14]
	v_mul_f64 v[11:12], v[11:12], v[13:14]
	ds_write2_b64 v1, v[11:12], v[11:12] offset0:1 offset1:64
.LBB29_986:
	s_or_b64 exec, exec, s[0:1]
.LBB29_987:
	s_load_dwordx4 s[12:15], s[4:5], 0x48
	v_cmp_le_i32_e32 vcc, s88, v0
	v_mov_b32_e32 v11, 0
	v_mov_b32_e32 v12, 0
	v_add_u32_e32 v13, s33, v0
	s_waitcnt lgkmcnt(0)
	s_mul_i32 s1, s13, s22
	s_mul_hi_u32 s2, s12, s22
	s_mul_i32 s0, s12, s22
	s_add_i32 s1, s2, s1
	s_lshl_b64 s[0:1], s[0:1], 3
	s_add_u32 s2, s46, s0
	s_addc_u32 s3, s47, s1
	s_lshl_b64 s[0:1], s[48:49], 3
	s_add_u32 s20, s2, s0
	s_addc_u32 s21, s3, s1
	s_and_b64 s[16:17], vcc, s[24:25]
	v_cmp_eq_u32_e64 s[2:3], 0, v2
	s_xor_b64 s[0:1], s[16:17], -1
	s_and_b64 s[4:5], s[2:3], s[0:1]
	s_barrier
	s_and_saveexec_b64 s[0:1], s[4:5]
	s_cbranch_execz .LBB29_989
; %bb.988:
	v_ashrrev_i32_e32 v1, 31, v13
	v_mul_lo_u32 v14, s51, v13
	v_mad_u64_u32 v[11:12], s[4:5], s50, v13, 0
	v_mul_lo_u32 v1, s50, v1
	v_add3_u32 v12, v12, v1, v14
	v_lshlrev_b64 v[11:12], 3, v[11:12]
	v_mov_b32_e32 v1, s21
	v_add_co_u32_e32 v11, vcc, s20, v11
	v_addc_co_u32_e32 v12, vcc, v1, v12, vcc
	global_load_dwordx2 v[11:12], v[11:12], off
	s_waitcnt vmcnt(0)
	v_mul_f64 v[11:12], v[11:12], -s[26:27]
.LBB29_989:
	s_or_b64 exec, exec, s[0:1]
	s_and_b32 s0, 0xffff, s91
	v_mad_u32_u24 v19, v2, s0, v0
	v_mov_b32_e32 v14, 0
	s_cmp_lt_i32 s6, 1
	v_cmp_eq_u32_e64 s[4:5], 0, v19
	s_cbranch_scc1 .LBB29_1015
; %bb.990:
	v_mad_u64_u32 v[15:16], s[0:1], s40, v13, 0
	v_cmp_gt_i32_e64 s[8:9], s7, v13
	s_mov_b32 s26, 0
	v_mov_b32_e32 v1, v16
	v_mad_u64_u32 v[16:17], s[0:1], s41, v13, v[1:2]
	s_lshl_b64 s[0:1], s[22:23], 2
	s_add_u32 s0, s14, s0
	v_lshlrev_b64 v[15:16], 3, v[15:16]
	v_mov_b32_e32 v17, 0xa000
	v_mov_b32_e32 v13, s90
	v_add_co_u32_e32 v21, vcc, s89, v15
	s_addc_u32 s1, s15, s1
	v_cmp_gt_u32_e64 s[12:13], 64, v19
	v_lshl_add_u32 v1, v19, 3, v17
	v_lshl_or_b32 v20, v2, 3, v17
	s_add_i32 s27, s6, -1
	v_addc_co_u32_e32 v22, vcc, v13, v16, vcc
	v_mov_b32_e32 v23, -1
	s_branch .LBB29_993
.LBB29_991:                             ;   in Loop: Header=BB29_993 Depth=1
	ds_read_b64 v[15:16], v20 offset:384
	s_waitcnt vmcnt(0) lgkmcnt(0)
	v_fma_f64 v[11:12], v[17:18], v[15:16], v[11:12]
.LBB29_992:                             ;   in Loop: Header=BB29_993 Depth=1
	s_or_b64 exec, exec, s[18:19]
	s_add_i32 s26, s26, 1
	s_cmp_eq_u32 s26, s6
	s_cbranch_scc1 .LBB29_1015
.LBB29_993:                             ; =>This Loop Header: Depth=1
                                        ;     Child Loop BB29_995 Depth 2
	v_cmp_gt_i32_e32 vcc, s26, v23
	s_and_b64 s[18:19], s[4:5], vcc
	s_and_saveexec_b64 s[10:11], s[18:19]
	s_cbranch_execz .LBB29_996
; %bb.994:                              ;   in Loop: Header=BB29_993 Depth=1
	global_load_dword v23, v14, s[0:1]
	s_waitcnt vmcnt(0)
	v_cmp_le_i32_e32 vcc, s26, v23
	s_cbranch_vccnz .LBB29_996
.LBB29_995:                             ;   Parent Loop BB29_993 Depth=1
                                        ; =>  This Inner Loop Header: Depth=2
	buffer_wbinvl1_vol
	global_load_dword v23, v14, s[0:1]
	s_waitcnt vmcnt(0)
	v_cmp_gt_i32_e32 vcc, s26, v23
	s_cbranch_vccnz .LBB29_995
.LBB29_996:                             ;   in Loop: Header=BB29_993 Depth=1
	s_or_b64 exec, exec, s[10:11]
	s_lshl_b32 s28, s26, 6
	buffer_wbinvl1_vol
	s_barrier
	s_and_saveexec_b64 s[10:11], s[12:13]
	s_cbranch_execz .LBB29_1000
; %bb.997:                              ;   in Loop: Header=BB29_993 Depth=1
	v_or_b32_e32 v13, s28, v19
	v_mov_b32_e32 v15, 0
	v_mov_b32_e32 v16, 0
	v_cmp_gt_i32_e32 vcc, s7, v13
	s_and_saveexec_b64 s[18:19], vcc
	s_cbranch_execz .LBB29_999
; %bb.998:                              ;   in Loop: Header=BB29_993 Depth=1
	v_mad_u64_u32 v[15:16], s[30:31], s50, v13, 0
	v_mad_u64_u32 v[16:17], s[30:31], s51, v13, v[16:17]
	v_mov_b32_e32 v13, s21
	v_lshlrev_b64 v[15:16], 3, v[15:16]
	v_add_co_u32_e32 v15, vcc, s20, v15
	v_addc_co_u32_e32 v16, vcc, v13, v16, vcc
	global_load_dwordx2 v[15:16], v[15:16], off
.LBB29_999:                             ;   in Loop: Header=BB29_993 Depth=1
	s_or_b64 exec, exec, s[18:19]
	s_waitcnt vmcnt(0)
	ds_write_b64 v1, v[15:16]
.LBB29_1000:                            ;   in Loop: Header=BB29_993 Depth=1
	s_or_b64 exec, exec, s[10:11]
	v_add_u32_e32 v13, s28, v2
	v_lshlrev_b64 v[15:16], 3, v[13:14]
	s_cmp_lg_u32 s26, s27
	v_add_co_u32_e32 v15, vcc, v21, v15
	s_cselect_b64 s[10:11], -1, 0
	v_addc_co_u32_e32 v16, vcc, v22, v16, vcc
	v_cmp_gt_i32_e32 vcc, s7, v13
	v_cndmask_b32_e64 v17, 0, 1, s[10:11]
	s_and_b64 s[28:29], vcc, s[8:9]
	v_cmp_ne_u32_e64 s[10:11], 1, v17
	s_waitcnt lgkmcnt(0)
	s_barrier
	s_and_saveexec_b64 s[18:19], s[28:29]
	s_cbranch_execz .LBB29_1004
; %bb.1001:                             ;   in Loop: Header=BB29_993 Depth=1
	v_mov_b32_e32 v18, v6
	s_and_b64 vcc, exec, s[10:11]
	v_mov_b32_e32 v17, v5
	s_cbranch_vccnz .LBB29_1003
; %bb.1002:                             ;   in Loop: Header=BB29_993 Depth=1
	global_load_dwordx2 v[17:18], v[15:16], off
.LBB29_1003:                            ;   in Loop: Header=BB29_993 Depth=1
	ds_read_b64 v[24:25], v20
	s_waitcnt vmcnt(0) lgkmcnt(0)
	v_fma_f64 v[11:12], v[17:18], v[24:25], v[11:12]
.LBB29_1004:                            ;   in Loop: Header=BB29_993 Depth=1
	s_or_b64 exec, exec, s[18:19]
	v_add_u32_e32 v17, 16, v13
	v_cmp_gt_i32_e32 vcc, s7, v17
	s_and_b64 s[28:29], vcc, s[8:9]
	s_and_saveexec_b64 s[18:19], s[28:29]
	s_cbranch_execz .LBB29_1008
; %bb.1005:                             ;   in Loop: Header=BB29_993 Depth=1
	v_mov_b32_e32 v18, v4
	s_and_b64 vcc, exec, s[10:11]
	v_mov_b32_e32 v17, v3
	s_cbranch_vccnz .LBB29_1007
; %bb.1006:                             ;   in Loop: Header=BB29_993 Depth=1
	global_load_dwordx2 v[17:18], v[15:16], off offset:128
.LBB29_1007:                            ;   in Loop: Header=BB29_993 Depth=1
	ds_read_b64 v[24:25], v20 offset:128
	s_waitcnt vmcnt(0) lgkmcnt(0)
	v_fma_f64 v[11:12], v[17:18], v[24:25], v[11:12]
.LBB29_1008:                            ;   in Loop: Header=BB29_993 Depth=1
	s_or_b64 exec, exec, s[18:19]
	v_add_u32_e32 v17, 32, v13
	v_cmp_gt_i32_e32 vcc, s7, v17
	s_and_b64 s[28:29], vcc, s[8:9]
	s_and_saveexec_b64 s[18:19], s[28:29]
	s_cbranch_execz .LBB29_1012
; %bb.1009:                             ;   in Loop: Header=BB29_993 Depth=1
	v_mov_b32_e32 v18, v10
	s_and_b64 vcc, exec, s[10:11]
	v_mov_b32_e32 v17, v9
	s_cbranch_vccnz .LBB29_1011
; %bb.1010:                             ;   in Loop: Header=BB29_993 Depth=1
	global_load_dwordx2 v[17:18], v[15:16], off offset:256
.LBB29_1011:                            ;   in Loop: Header=BB29_993 Depth=1
	ds_read_b64 v[24:25], v20 offset:256
	s_waitcnt vmcnt(0) lgkmcnt(0)
	v_fma_f64 v[11:12], v[17:18], v[24:25], v[11:12]
.LBB29_1012:                            ;   in Loop: Header=BB29_993 Depth=1
	s_or_b64 exec, exec, s[18:19]
	v_add_u32_e32 v13, 48, v13
	v_cmp_gt_i32_e32 vcc, s7, v13
	s_and_b64 s[28:29], vcc, s[8:9]
	s_and_saveexec_b64 s[18:19], s[28:29]
	s_cbranch_execz .LBB29_992
; %bb.1013:                             ;   in Loop: Header=BB29_993 Depth=1
	v_mov_b32_e32 v18, v8
	s_and_b64 vcc, exec, s[10:11]
	v_mov_b32_e32 v17, v7
	s_cbranch_vccnz .LBB29_991
; %bb.1014:                             ;   in Loop: Header=BB29_993 Depth=1
	global_load_dwordx2 v[17:18], v[15:16], off offset:384
	s_branch .LBB29_991
.LBB29_1015:
	v_lshl_add_u32 v1, v2, 6, v0
	s_xor_b64 s[0:1], s[24:25], -1
	v_lshlrev_b32_e32 v1, 3, v1
	ds_write_b64 v1, v[11:12] offset:32768
	s_waitcnt lgkmcnt(0)
	s_barrier
	s_and_saveexec_b64 s[4:5], s[2:3]
	s_cbranch_execz .LBB29_1017
; %bb.1016:
	v_lshlrev_b32_e32 v15, 3, v0
	ds_read2st64_b64 v[3:6], v15 offset0:65 offset1:66
	ds_read_b64 v[13:14], v15 offset:40448
	s_waitcnt lgkmcnt(1)
	v_add_f64 v[3:4], v[11:12], v[3:4]
	v_add_f64 v[11:12], v[3:4], v[5:6]
	ds_read2st64_b64 v[3:6], v15 offset0:67 offset1:68
	ds_read2st64_b64 v[7:10], v15 offset0:69 offset1:70
	s_waitcnt lgkmcnt(1)
	v_add_f64 v[3:4], v[11:12], v[3:4]
	v_add_f64 v[3:4], v[3:4], v[5:6]
	s_waitcnt lgkmcnt(0)
	v_add_f64 v[3:4], v[3:4], v[7:8]
	v_add_f64 v[11:12], v[3:4], v[9:10]
	ds_read2st64_b64 v[3:6], v15 offset0:71 offset1:72
	ds_read2st64_b64 v[7:10], v15 offset0:73 offset1:74
	s_waitcnt lgkmcnt(1)
	v_add_f64 v[3:4], v[11:12], v[3:4]
	v_add_f64 v[3:4], v[3:4], v[5:6]
	;; [unrolled: 8-line block ×3, first 2 shown]
	s_waitcnt lgkmcnt(0)
	v_add_f64 v[3:4], v[3:4], v[7:8]
	v_add_f64 v[3:4], v[3:4], v[9:10]
	;; [unrolled: 1-line block ×3, first 2 shown]
	v_xor_b32_e32 v4, 0x80000000, v4
	v_cndmask_b32_e64 v12, v4, 0, s[16:17]
	v_cndmask_b32_e64 v11, v3, 0, s[16:17]
.LBB29_1017:
	s_or_b64 exec, exec, s[4:5]
	s_and_b64 vcc, exec, s[58:59]
	s_cbranch_vccnz .LBB29_1030
; %bb.1018:
	v_mov_b32_e32 v3, 0xa000
	v_lshl_or_b32 v5, v2, 3, v3
	s_and_saveexec_b64 s[4:5], s[2:3]
; %bb.1019:
	v_lshl_add_u32 v3, v0, 3, v5
	ds_write_b64 v3, v[11:12]
; %bb.1020:
	s_or_b64 exec, exec, s[4:5]
	v_mov_b32_e32 v3, 0
	v_mov_b32_e32 v4, 0
	v_cmp_le_u32_e32 vcc, v2, v0
	s_waitcnt lgkmcnt(0)
	s_barrier
	s_and_saveexec_b64 s[4:5], vcc
	s_cbranch_execz .LBB29_1022
; %bb.1021:
	ds_read_b64 v[3:4], v1
	ds_read_b64 v[6:7], v5
	s_waitcnt lgkmcnt(0)
	v_fma_f64 v[3:4], v[3:4], v[6:7], 0
.LBB29_1022:
	s_or_b64 exec, exec, s[4:5]
	v_add_u32_e32 v6, 16, v2
	v_cmp_ge_u32_e32 vcc, v0, v6
	s_and_saveexec_b64 s[4:5], vcc
	s_cbranch_execz .LBB29_1024
; %bb.1023:
	ds_read_b64 v[6:7], v1 offset:8192
	ds_read_b64 v[8:9], v5 offset:128
	s_waitcnt lgkmcnt(0)
	v_fma_f64 v[3:4], v[6:7], v[8:9], v[3:4]
.LBB29_1024:
	s_or_b64 exec, exec, s[4:5]
	v_add_u32_e32 v6, 32, v2
	v_cmp_ge_u32_e32 vcc, v0, v6
	s_and_saveexec_b64 s[4:5], vcc
	s_cbranch_execz .LBB29_1026
; %bb.1025:
	ds_read_b64 v[6:7], v1 offset:16384
	ds_read_b64 v[8:9], v5 offset:256
	s_waitcnt lgkmcnt(0)
	v_fma_f64 v[3:4], v[6:7], v[8:9], v[3:4]
.LBB29_1026:
	s_or_b64 exec, exec, s[4:5]
	v_add_u32_e32 v2, 48, v2
	v_add_u32_e32 v6, 0x8000, v1
	v_cmp_ge_u32_e32 vcc, v0, v2
	s_and_saveexec_b64 s[4:5], vcc
	s_cbranch_execz .LBB29_1028
; %bb.1027:
	ds_read_b64 v[1:2], v1 offset:24576
	ds_read_b64 v[7:8], v5 offset:384
	s_waitcnt lgkmcnt(0)
	v_fma_f64 v[3:4], v[1:2], v[7:8], v[3:4]
.LBB29_1028:
	s_or_b64 exec, exec, s[4:5]
	s_mov_b64 s[6:7], 0
	s_mov_b64 s[4:5], 0
	ds_write_b64 v6, v[3:4]
	s_waitcnt lgkmcnt(0)
	s_barrier
                                        ; implicit-def: $vgpr5_vgpr6
                                        ; implicit-def: $vgpr1_vgpr2
	s_and_saveexec_b64 s[8:9], s[2:3]
	s_cbranch_execz .LBB29_1087
; %bb.1029:
	v_lshlrev_b32_e32 v15, 3, v0
	ds_read2st64_b64 v[5:8], v15 offset0:65 offset1:66
	ds_read_b64 v[9:10], v15 offset:40448
	s_mov_b64 s[4:5], exec
	s_waitcnt lgkmcnt(1)
	v_add_f64 v[1:2], v[3:4], v[5:6]
	v_add_f64 v[13:14], v[7:8], v[1:2]
	ds_read2st64_b64 v[1:4], v15 offset0:67 offset1:68
	ds_read2st64_b64 v[5:8], v15 offset0:69 offset1:70
	s_waitcnt lgkmcnt(1)
	v_add_f64 v[1:2], v[1:2], v[13:14]
	v_add_f64 v[1:2], v[3:4], v[1:2]
	s_waitcnt lgkmcnt(0)
	v_add_f64 v[1:2], v[5:6], v[1:2]
	v_add_f64 v[13:14], v[7:8], v[1:2]
	ds_read2st64_b64 v[1:4], v15 offset0:71 offset1:72
	ds_read2st64_b64 v[5:8], v15 offset0:73 offset1:74
	s_waitcnt lgkmcnt(1)
	v_add_f64 v[1:2], v[1:2], v[13:14]
	v_add_f64 v[1:2], v[3:4], v[1:2]
	;; [unrolled: 8-line block ×3, first 2 shown]
	s_waitcnt lgkmcnt(0)
	v_add_f64 v[1:2], v[5:6], v[1:2]
	v_add_f64 v[3:4], v[7:8], v[1:2]
	v_add_u32_e32 v7, s33, v19
	v_mad_u64_u32 v[1:2], s[10:11], s50, v7, 0
	v_add_f64 v[5:6], v[9:10], v[3:4]
	v_mad_u64_u32 v[2:3], s[10:11], s51, v7, v[2:3]
	s_or_b64 exec, exec, s[8:9]
	s_and_b64 vcc, exec, s[6:7]
	s_cbranch_vccnz .LBB29_1031
	s_branch .LBB29_1088
.LBB29_1030:
	s_mov_b64 s[4:5], 0
                                        ; implicit-def: $vgpr5_vgpr6
                                        ; implicit-def: $vgpr1_vgpr2
	s_cbranch_execz .LBB29_1088
.LBB29_1031:
	v_mul_u32_u24_e32 v1, 0x208, v0
	v_lshlrev_b32_e32 v2, 9, v0
	v_sub_u32_e32 v2, v1, v2
	s_mov_b32 s8, 0
	v_mov_b32_e32 v3, 0
	v_mov_b32_e32 v4, v0
	s_branch .LBB29_1033
.LBB29_1032:                            ;   in Loop: Header=BB29_1033 Depth=1
	s_or_b64 exec, exec, s[6:7]
	s_add_i32 s8, s8, 4
	v_add_u32_e32 v2, 0x800, v2
	s_cmp_lg_u32 s8, 64
	v_add_u32_e32 v4, -4, v4
	s_barrier
	s_cbranch_scc0 .LBB29_1049
.LBB29_1033:                            ; =>This Inner Loop Header: Depth=1
	v_cmp_eq_u32_e32 vcc, 0, v4
	s_and_b64 s[10:11], s[2:3], vcc
	s_and_saveexec_b64 s[6:7], s[10:11]
	s_cbranch_execz .LBB29_1035
; %bb.1034:                             ;   in Loop: Header=BB29_1033 Depth=1
	ds_read_b64 v[5:6], v1
	s_waitcnt lgkmcnt(0)
	v_mul_f64 v[11:12], v[11:12], v[5:6]
	ds_write_b64 v3, v[11:12] offset:41472
.LBB29_1035:                            ;   in Loop: Header=BB29_1033 Depth=1
	s_or_b64 exec, exec, s[6:7]
	v_cmp_lt_u32_e32 vcc, s8, v0
	s_and_b64 s[10:11], s[2:3], vcc
	s_waitcnt lgkmcnt(0)
	s_barrier
	s_and_saveexec_b64 s[6:7], s[10:11]
	s_cbranch_execz .LBB29_1037
; %bb.1036:                             ;   in Loop: Header=BB29_1033 Depth=1
	ds_read_b64 v[5:6], v2
	ds_read_b64 v[7:8], v3 offset:41472
	s_waitcnt lgkmcnt(0)
	v_fma_f64 v[11:12], v[5:6], v[7:8], v[11:12]
.LBB29_1037:                            ;   in Loop: Header=BB29_1033 Depth=1
	s_or_b64 exec, exec, s[6:7]
	s_or_b32 s9, s8, 1
	v_cmp_eq_u32_e32 vcc, s9, v0
	s_and_b64 s[10:11], s[2:3], vcc
	s_barrier
	s_and_saveexec_b64 s[6:7], s[10:11]
	s_cbranch_execz .LBB29_1039
; %bb.1038:                             ;   in Loop: Header=BB29_1033 Depth=1
	ds_read_b64 v[5:6], v1
	s_waitcnt lgkmcnt(0)
	v_mul_f64 v[11:12], v[11:12], v[5:6]
	ds_write_b64 v3, v[11:12] offset:41472
.LBB29_1039:                            ;   in Loop: Header=BB29_1033 Depth=1
	s_or_b64 exec, exec, s[6:7]
	v_cmp_lt_u32_e32 vcc, s9, v0
	s_and_b64 s[10:11], s[2:3], vcc
	s_waitcnt lgkmcnt(0)
	s_barrier
	s_and_saveexec_b64 s[6:7], s[10:11]
	s_cbranch_execz .LBB29_1041
; %bb.1040:                             ;   in Loop: Header=BB29_1033 Depth=1
	ds_read_b64 v[5:6], v2 offset:512
	ds_read_b64 v[7:8], v3 offset:41472
	s_waitcnt lgkmcnt(0)
	v_fma_f64 v[11:12], v[5:6], v[7:8], v[11:12]
.LBB29_1041:                            ;   in Loop: Header=BB29_1033 Depth=1
	s_or_b64 exec, exec, s[6:7]
	s_or_b32 s9, s8, 2
	v_cmp_eq_u32_e32 vcc, s9, v0
	s_and_b64 s[10:11], s[2:3], vcc
	s_barrier
	s_and_saveexec_b64 s[6:7], s[10:11]
	s_cbranch_execz .LBB29_1043
; %bb.1042:                             ;   in Loop: Header=BB29_1033 Depth=1
	ds_read_b64 v[5:6], v1
	s_waitcnt lgkmcnt(0)
	v_mul_f64 v[11:12], v[11:12], v[5:6]
	ds_write_b64 v3, v[11:12] offset:41472
.LBB29_1043:                            ;   in Loop: Header=BB29_1033 Depth=1
	s_or_b64 exec, exec, s[6:7]
	v_cmp_lt_u32_e32 vcc, s9, v0
	s_and_b64 s[10:11], s[2:3], vcc
	s_waitcnt lgkmcnt(0)
	s_barrier
	s_and_saveexec_b64 s[6:7], s[10:11]
	s_cbranch_execz .LBB29_1045
; %bb.1044:                             ;   in Loop: Header=BB29_1033 Depth=1
	ds_read_b64 v[5:6], v2 offset:1024
	ds_read_b64 v[7:8], v3 offset:41472
	s_waitcnt lgkmcnt(0)
	v_fma_f64 v[11:12], v[5:6], v[7:8], v[11:12]
.LBB29_1045:                            ;   in Loop: Header=BB29_1033 Depth=1
	s_or_b64 exec, exec, s[6:7]
	s_or_b32 s9, s8, 3
	v_cmp_eq_u32_e32 vcc, s9, v0
	s_and_b64 s[10:11], s[2:3], vcc
	s_barrier
	s_and_saveexec_b64 s[6:7], s[10:11]
	s_cbranch_execz .LBB29_1047
; %bb.1046:                             ;   in Loop: Header=BB29_1033 Depth=1
	ds_read_b64 v[5:6], v1
	s_waitcnt lgkmcnt(0)
	v_mul_f64 v[11:12], v[11:12], v[5:6]
	ds_write_b64 v3, v[11:12] offset:41472
.LBB29_1047:                            ;   in Loop: Header=BB29_1033 Depth=1
	s_or_b64 exec, exec, s[6:7]
	v_cmp_lt_u32_e32 vcc, s9, v0
	s_and_b64 s[10:11], s[2:3], vcc
	s_waitcnt lgkmcnt(0)
	s_barrier
	s_and_saveexec_b64 s[6:7], s[10:11]
	s_cbranch_execz .LBB29_1032
; %bb.1048:                             ;   in Loop: Header=BB29_1033 Depth=1
	ds_read_b64 v[5:6], v2 offset:1536
	ds_read_b64 v[7:8], v3 offset:41472
	s_waitcnt lgkmcnt(0)
	v_fma_f64 v[11:12], v[5:6], v[7:8], v[11:12]
	s_branch .LBB29_1032
.LBB29_1049:
	s_and_b64 vcc, exec, s[0:1]
	s_cbranch_vccz .LBB29_1089
; %bb.1050:
	s_and_b64 s[0:1], s[2:3], exec
	s_cbranch_execz .LBB29_1090
	s_branch .LBB29_1091
.LBB29_1051:
	v_cmp_ne_u32_e32 vcc, v0, v2
	s_and_saveexec_b64 s[12:13], vcc
	s_xor_b64 s[12:13], exec, s[12:13]
; %bb.1052:
	v_or_b32_e32 v1, v2, v0
	v_cmp_gt_u32_e32 vcc, 64, v1
	s_and_b64 s[10:11], vcc, exec
                                        ; implicit-def: $vgpr15_vgpr16
; %bb.1053:
	s_or_saveexec_b64 s[12:13], s[12:13]
	v_mov_b32_e32 v13, 0
	v_mov_b32_e32 v14, 0
	s_xor_b64 exec, exec, s[12:13]
	s_cbranch_execz .LBB29_1055
; %bb.1054:
	v_lshlrev_b64 v[13:14], 3, v[15:16]
	v_mov_b32_e32 v1, s90
	v_add_co_u32_e32 v13, vcc, s89, v13
	v_addc_co_u32_e32 v14, vcc, v1, v14, vcc
	global_load_dwordx2 v[13:14], v[13:14], off
	s_or_b64 s[10:11], s[10:11], exec
	s_waitcnt vmcnt(0)
	v_div_scale_f64 v[15:16], s[14:15], v[13:14], v[13:14], 1.0
	v_div_scale_f64 v[22:23], vcc, 1.0, v[13:14], 1.0
	v_rcp_f64_e32 v[18:19], v[15:16]
	v_fma_f64 v[20:21], -v[15:16], v[18:19], 1.0
	v_fma_f64 v[18:19], v[18:19], v[20:21], v[18:19]
	v_fma_f64 v[20:21], -v[15:16], v[18:19], 1.0
	v_fma_f64 v[18:19], v[18:19], v[20:21], v[18:19]
	v_mul_f64 v[20:21], v[22:23], v[18:19]
	v_fma_f64 v[15:16], -v[15:16], v[20:21], v[22:23]
	v_div_fmas_f64 v[15:16], v[15:16], v[18:19], v[20:21]
	v_div_fixup_f64 v[13:14], v[15:16], v[13:14], 1.0
.LBB29_1055:
	s_or_b64 exec, exec, s[12:13]
	s_and_b64 s[10:11], s[10:11], exec
                                        ; implicit-def: $vgpr15_vgpr16
	s_andn2_saveexec_b64 s[8:9], s[8:9]
	s_cbranch_execz .LBB29_14
.LBB29_1056:
	v_lshlrev_b64 v[13:14], 3, v[15:16]
	v_mov_b32_e32 v1, s90
	v_add_co_u32_e32 v13, vcc, s89, v13
	v_addc_co_u32_e32 v14, vcc, v1, v14, vcc
	global_load_dwordx2 v[13:14], v[13:14], off
	s_or_b64 s[10:11], s[10:11], exec
	s_waitcnt vmcnt(0)
	v_xor_b32_e32 v14, 0x80000000, v14
	s_or_b64 exec, exec, s[8:9]
	s_and_saveexec_b64 s[8:9], s[10:11]
	s_cbranch_execnz .LBB29_15
	s_branch .LBB29_16
.LBB29_1057:
	v_cmp_ne_u32_e32 vcc, v0, v1
	s_and_saveexec_b64 s[10:11], vcc
	s_xor_b64 s[10:11], exec, s[10:11]
; %bb.1058:
	v_or_b32_e32 v13, v1, v0
	v_cmp_gt_u32_e32 vcc, 64, v13
	s_and_b64 s[8:9], vcc, exec
                                        ; implicit-def: $vgpr15_vgpr16
; %bb.1059:
	s_or_saveexec_b64 s[10:11], s[10:11]
	v_mov_b32_e32 v13, 0
	v_mov_b32_e32 v14, 0
	s_xor_b64 exec, exec, s[10:11]
	s_cbranch_execz .LBB29_1061
; %bb.1060:
	v_lshlrev_b64 v[13:14], 3, v[15:16]
	v_mov_b32_e32 v15, s90
	v_add_co_u32_e32 v13, vcc, s89, v13
	v_addc_co_u32_e32 v14, vcc, v15, v14, vcc
	global_load_dwordx2 v[13:14], v[13:14], off
	s_or_b64 s[8:9], s[8:9], exec
	s_waitcnt vmcnt(0)
	v_div_scale_f64 v[15:16], s[12:13], v[13:14], v[13:14], 1.0
	v_div_scale_f64 v[22:23], vcc, 1.0, v[13:14], 1.0
	v_rcp_f64_e32 v[18:19], v[15:16]
	v_fma_f64 v[20:21], -v[15:16], v[18:19], 1.0
	v_fma_f64 v[18:19], v[18:19], v[20:21], v[18:19]
	v_fma_f64 v[20:21], -v[15:16], v[18:19], 1.0
	v_fma_f64 v[18:19], v[18:19], v[20:21], v[18:19]
	v_mul_f64 v[20:21], v[22:23], v[18:19]
	v_fma_f64 v[15:16], -v[15:16], v[20:21], v[22:23]
	v_div_fmas_f64 v[15:16], v[15:16], v[18:19], v[20:21]
	v_div_fixup_f64 v[13:14], v[15:16], v[13:14], 1.0
.LBB29_1061:
	s_or_b64 exec, exec, s[10:11]
	s_and_b64 s[8:9], s[8:9], exec
                                        ; implicit-def: $vgpr15_vgpr16
	s_andn2_saveexec_b64 s[2:3], s[2:3]
	s_cbranch_execz .LBB29_18
.LBB29_1062:
	v_lshlrev_b64 v[13:14], 3, v[15:16]
	v_mov_b32_e32 v15, s90
	v_add_co_u32_e32 v13, vcc, s89, v13
	v_addc_co_u32_e32 v14, vcc, v15, v14, vcc
	global_load_dwordx2 v[13:14], v[13:14], off
	s_or_b64 s[8:9], s[8:9], exec
	s_waitcnt vmcnt(0)
	v_xor_b32_e32 v14, 0x80000000, v14
	s_or_b64 exec, exec, s[2:3]
	s_and_saveexec_b64 s[2:3], s[8:9]
	s_cbranch_execnz .LBB29_19
	s_branch .LBB29_20
.LBB29_1063:
	v_cmp_ne_u32_e32 vcc, v0, v1
	s_and_saveexec_b64 s[10:11], vcc
	s_xor_b64 s[10:11], exec, s[10:11]
; %bb.1064:
	v_or_b32_e32 v13, v1, v0
	v_cmp_gt_u32_e32 vcc, 64, v13
	s_and_b64 s[8:9], vcc, exec
                                        ; implicit-def: $vgpr15_vgpr16
; %bb.1065:
	s_or_saveexec_b64 s[10:11], s[10:11]
	v_mov_b32_e32 v13, 0
	v_mov_b32_e32 v14, 0
	s_xor_b64 exec, exec, s[10:11]
	s_cbranch_execz .LBB29_1067
; %bb.1066:
	v_lshlrev_b64 v[13:14], 3, v[15:16]
	v_mov_b32_e32 v15, s90
	v_add_co_u32_e32 v13, vcc, s89, v13
	v_addc_co_u32_e32 v14, vcc, v15, v14, vcc
	global_load_dwordx2 v[13:14], v[13:14], off
	s_or_b64 s[8:9], s[8:9], exec
	s_waitcnt vmcnt(0)
	v_div_scale_f64 v[15:16], s[12:13], v[13:14], v[13:14], 1.0
	v_div_scale_f64 v[22:23], vcc, 1.0, v[13:14], 1.0
	v_rcp_f64_e32 v[18:19], v[15:16]
	v_fma_f64 v[20:21], -v[15:16], v[18:19], 1.0
	v_fma_f64 v[18:19], v[18:19], v[20:21], v[18:19]
	v_fma_f64 v[20:21], -v[15:16], v[18:19], 1.0
	v_fma_f64 v[18:19], v[18:19], v[20:21], v[18:19]
	v_mul_f64 v[20:21], v[22:23], v[18:19]
	v_fma_f64 v[15:16], -v[15:16], v[20:21], v[22:23]
	v_div_fmas_f64 v[15:16], v[15:16], v[18:19], v[20:21]
	v_div_fixup_f64 v[13:14], v[15:16], v[13:14], 1.0
.LBB29_1067:
	s_or_b64 exec, exec, s[10:11]
	s_and_b64 s[8:9], s[8:9], exec
                                        ; implicit-def: $vgpr15_vgpr16
	s_andn2_saveexec_b64 s[2:3], s[2:3]
	s_cbranch_execz .LBB29_22
.LBB29_1068:
	v_lshlrev_b64 v[13:14], 3, v[15:16]
	v_mov_b32_e32 v15, s90
	v_add_co_u32_e32 v13, vcc, s89, v13
	v_addc_co_u32_e32 v14, vcc, v15, v14, vcc
	global_load_dwordx2 v[13:14], v[13:14], off
	s_or_b64 s[8:9], s[8:9], exec
	s_waitcnt vmcnt(0)
	v_xor_b32_e32 v14, 0x80000000, v14
	s_or_b64 exec, exec, s[2:3]
	s_and_saveexec_b64 s[2:3], s[8:9]
	s_cbranch_execnz .LBB29_23
	s_branch .LBB29_24
.LBB29_1069:
	v_cmp_ne_u32_e32 vcc, v0, v2
	s_xor_b64 s[12:13], s[2:3], -1
	s_or_b64 s[14:15], s[12:13], vcc
	s_mov_b64 s[12:13], 0
	s_and_saveexec_b64 s[16:17], s[14:15]
	s_xor_b64 s[14:15], exec, s[16:17]
; %bb.1070:
	v_or_b32_e32 v1, v2, v0
	v_cmp_gt_u32_e32 vcc, 64, v1
	s_and_b64 s[12:13], vcc, exec
                                        ; implicit-def: $vgpr13_vgpr14
; %bb.1071:
	s_or_saveexec_b64 s[14:15], s[14:15]
	v_mov_b32_e32 v15, 0
	v_mov_b32_e32 v16, 0
	s_xor_b64 exec, exec, s[14:15]
	s_cbranch_execz .LBB29_1073
; %bb.1072:
	v_lshlrev_b64 v[13:14], 3, v[13:14]
	v_mov_b32_e32 v1, s90
	v_add_co_u32_e32 v13, vcc, s89, v13
	v_addc_co_u32_e32 v14, vcc, v1, v14, vcc
	global_load_dwordx2 v[13:14], v[13:14], off
	s_or_b64 s[12:13], s[12:13], exec
	s_waitcnt vmcnt(0)
	v_div_scale_f64 v[15:16], s[16:17], v[13:14], v[13:14], 1.0
	v_div_scale_f64 v[22:23], vcc, 1.0, v[13:14], 1.0
	v_rcp_f64_e32 v[18:19], v[15:16]
	v_fma_f64 v[20:21], -v[15:16], v[18:19], 1.0
	v_fma_f64 v[18:19], v[18:19], v[20:21], v[18:19]
	v_fma_f64 v[20:21], -v[15:16], v[18:19], 1.0
	v_fma_f64 v[18:19], v[18:19], v[20:21], v[18:19]
	v_mul_f64 v[20:21], v[22:23], v[18:19]
	v_fma_f64 v[15:16], -v[15:16], v[20:21], v[22:23]
	v_div_fmas_f64 v[15:16], v[15:16], v[18:19], v[20:21]
	v_div_fixup_f64 v[15:16], v[15:16], v[13:14], 1.0
.LBB29_1073:
	s_or_b64 exec, exec, s[14:15]
	s_and_b64 s[12:13], s[12:13], exec
                                        ; implicit-def: $vgpr13_vgpr14
	s_andn2_saveexec_b64 s[8:9], s[8:9]
	s_cbranch_execz .LBB29_36
.LBB29_1074:
	v_lshlrev_b64 v[13:14], 3, v[13:14]
	v_mov_b32_e32 v1, s90
	v_add_co_u32_e32 v13, vcc, s89, v13
	v_addc_co_u32_e32 v14, vcc, v1, v14, vcc
	global_load_dwordx2 v[15:16], v[13:14], off
	s_or_b64 s[12:13], s[12:13], exec
	s_waitcnt vmcnt(0)
	v_xor_b32_e32 v16, 0x80000000, v16
	s_or_b64 exec, exec, s[8:9]
	s_and_saveexec_b64 s[8:9], s[12:13]
	s_cbranch_execnz .LBB29_37
	s_branch .LBB29_38
.LBB29_1075:
	v_cmp_ne_u32_e32 vcc, v0, v1
	s_xor_b64 s[12:13], s[2:3], -1
	s_or_b64 s[14:15], s[12:13], vcc
	s_mov_b64 s[12:13], 0
	s_and_saveexec_b64 s[16:17], s[14:15]
	s_xor_b64 s[14:15], exec, s[16:17]
; %bb.1076:
	v_or_b32_e32 v13, v1, v0
	v_cmp_gt_u32_e32 vcc, 64, v13
	s_and_b64 s[12:13], vcc, exec
                                        ; implicit-def: $vgpr13_vgpr14
; %bb.1077:
	s_or_saveexec_b64 s[14:15], s[14:15]
	v_mov_b32_e32 v15, 0
	v_mov_b32_e32 v16, 0
	s_xor_b64 exec, exec, s[14:15]
	s_cbranch_execz .LBB29_1079
; %bb.1078:
	v_lshlrev_b64 v[13:14], 3, v[13:14]
	v_mov_b32_e32 v15, s90
	v_add_co_u32_e32 v13, vcc, s89, v13
	v_addc_co_u32_e32 v14, vcc, v15, v14, vcc
	global_load_dwordx2 v[13:14], v[13:14], off
	s_or_b64 s[12:13], s[12:13], exec
	s_waitcnt vmcnt(0)
	v_div_scale_f64 v[15:16], s[16:17], v[13:14], v[13:14], 1.0
	v_div_scale_f64 v[22:23], vcc, 1.0, v[13:14], 1.0
	v_rcp_f64_e32 v[18:19], v[15:16]
	v_fma_f64 v[20:21], -v[15:16], v[18:19], 1.0
	v_fma_f64 v[18:19], v[18:19], v[20:21], v[18:19]
	v_fma_f64 v[20:21], -v[15:16], v[18:19], 1.0
	v_fma_f64 v[18:19], v[18:19], v[20:21], v[18:19]
	v_mul_f64 v[20:21], v[22:23], v[18:19]
	v_fma_f64 v[15:16], -v[15:16], v[20:21], v[22:23]
	v_div_fmas_f64 v[15:16], v[15:16], v[18:19], v[20:21]
	v_div_fixup_f64 v[15:16], v[15:16], v[13:14], 1.0
.LBB29_1079:
	s_or_b64 exec, exec, s[14:15]
	s_and_b64 s[12:13], s[12:13], exec
                                        ; implicit-def: $vgpr13_vgpr14
	s_andn2_saveexec_b64 s[8:9], s[8:9]
	s_cbranch_execz .LBB29_40
.LBB29_1080:
	v_lshlrev_b64 v[13:14], 3, v[13:14]
	v_mov_b32_e32 v15, s90
	v_add_co_u32_e32 v13, vcc, s89, v13
	v_addc_co_u32_e32 v14, vcc, v15, v14, vcc
	global_load_dwordx2 v[15:16], v[13:14], off
	s_or_b64 s[12:13], s[12:13], exec
	s_waitcnt vmcnt(0)
	v_xor_b32_e32 v16, 0x80000000, v16
	s_or_b64 exec, exec, s[8:9]
	s_and_saveexec_b64 s[8:9], s[12:13]
	s_cbranch_execnz .LBB29_41
	s_branch .LBB29_42
.LBB29_1081:
	v_cmp_ne_u32_e32 vcc, v0, v1
	s_xor_b64 s[12:13], s[2:3], -1
	s_or_b64 s[14:15], s[12:13], vcc
	s_mov_b64 s[12:13], 0
	s_and_saveexec_b64 s[16:17], s[14:15]
	s_xor_b64 s[14:15], exec, s[16:17]
; %bb.1082:
	v_or_b32_e32 v13, v1, v0
	v_cmp_gt_u32_e32 vcc, 64, v13
	s_and_b64 s[12:13], vcc, exec
                                        ; implicit-def: $vgpr13_vgpr14
; %bb.1083:
	s_or_saveexec_b64 s[14:15], s[14:15]
	v_mov_b32_e32 v15, 0
	v_mov_b32_e32 v16, 0
	s_xor_b64 exec, exec, s[14:15]
	s_cbranch_execz .LBB29_1085
; %bb.1084:
	v_lshlrev_b64 v[13:14], 3, v[13:14]
	v_mov_b32_e32 v15, s90
	v_add_co_u32_e32 v13, vcc, s89, v13
	v_addc_co_u32_e32 v14, vcc, v15, v14, vcc
	global_load_dwordx2 v[13:14], v[13:14], off
	s_or_b64 s[12:13], s[12:13], exec
	s_waitcnt vmcnt(0)
	v_div_scale_f64 v[15:16], s[16:17], v[13:14], v[13:14], 1.0
	v_div_scale_f64 v[22:23], vcc, 1.0, v[13:14], 1.0
	v_rcp_f64_e32 v[18:19], v[15:16]
	v_fma_f64 v[20:21], -v[15:16], v[18:19], 1.0
	v_fma_f64 v[18:19], v[18:19], v[20:21], v[18:19]
	v_fma_f64 v[20:21], -v[15:16], v[18:19], 1.0
	v_fma_f64 v[18:19], v[18:19], v[20:21], v[18:19]
	v_mul_f64 v[20:21], v[22:23], v[18:19]
	v_fma_f64 v[15:16], -v[15:16], v[20:21], v[22:23]
	v_div_fmas_f64 v[15:16], v[15:16], v[18:19], v[20:21]
	v_div_fixup_f64 v[15:16], v[15:16], v[13:14], 1.0
.LBB29_1085:
	s_or_b64 exec, exec, s[14:15]
	s_and_b64 s[12:13], s[12:13], exec
                                        ; implicit-def: $vgpr13_vgpr14
	s_andn2_saveexec_b64 s[8:9], s[8:9]
	s_cbranch_execz .LBB29_44
.LBB29_1086:
	v_lshlrev_b64 v[13:14], 3, v[13:14]
	v_mov_b32_e32 v15, s90
	v_add_co_u32_e32 v13, vcc, s89, v13
	v_addc_co_u32_e32 v14, vcc, v15, v14, vcc
	global_load_dwordx2 v[15:16], v[13:14], off
	s_or_b64 s[12:13], s[12:13], exec
	s_waitcnt vmcnt(0)
	v_xor_b32_e32 v16, 0x80000000, v16
	s_or_b64 exec, exec, s[8:9]
	s_and_saveexec_b64 s[8:9], s[12:13]
	s_cbranch_execnz .LBB29_45
	s_branch .LBB29_46
.LBB29_1087:
	s_or_b64 exec, exec, s[8:9]
	s_and_b64 vcc, exec, s[6:7]
	s_cbranch_vccnz .LBB29_1031
.LBB29_1088:
	v_mov_b32_e32 v12, v6
	v_mov_b32_e32 v11, v5
	s_and_saveexec_b64 s[0:1], s[4:5]
	s_cbranch_execnz .LBB29_1094
	s_branch .LBB29_1095
.LBB29_1089:
	s_mov_b64 s[0:1], 0
.LBB29_1090:
	v_cmp_gt_i32_e32 vcc, s88, v0
	s_and_b64 s[2:3], s[2:3], vcc
	s_andn2_b64 s[0:1], s[0:1], exec
	s_and_b64 s[2:3], s[2:3], exec
	s_or_b64 s[0:1], s[0:1], s[2:3]
.LBB29_1091:
                                        ; implicit-def: $vgpr1_vgpr2
	s_and_saveexec_b64 s[2:3], s[0:1]
	s_cbranch_execz .LBB29_1093
; %bb.1092:
	v_mov_b32_e32 v0, s38
	v_add_co_u32_e32 v1, vcc, s33, v19
	v_addc_co_u32_e32 v0, vcc, 0, v0, vcc
	v_mul_lo_u32 v0, v0, s50
	v_mul_lo_u32 v3, v1, s51
	v_mad_u64_u32 v[1:2], s[0:1], v1, s50, 0
	s_or_b64 s[4:5], s[4:5], exec
	v_add3_u32 v2, v2, v3, v0
.LBB29_1093:
	s_or_b64 exec, exec, s[2:3]
	s_and_saveexec_b64 s[0:1], s[4:5]
	s_cbranch_execz .LBB29_1095
.LBB29_1094:
	v_lshlrev_b64 v[0:1], 3, v[1:2]
	v_mov_b32_e32 v2, s21
	v_add_co_u32_e32 v0, vcc, s20, v0
	v_addc_co_u32_e32 v1, vcc, v2, v1, vcc
	global_store_dwordx2 v[0:1], v[11:12], off
.LBB29_1095:
	s_or_b64 exec, exec, s[0:1]
	v_cmp_eq_u32_e32 vcc, 0, v19
	s_waitcnt vmcnt(0)
	buffer_wbinvl1_vol
	s_barrier
	s_and_saveexec_b64 s[0:1], vcc
	s_cbranch_execz .LBB29_1097
; %bb.1096:
	s_lshl_b64 s[2:3], s[22:23], 2
	s_add_u32 s2, s14, s2
	s_addc_u32 s3, s15, s3
	v_mov_b32_e32 v0, 0
	global_load_dword v1, v0, s[2:3]
	s_waitcnt vmcnt(0)
	v_add_u32_e32 v1, 1, v1
	global_store_dword v0, v1, s[2:3]
.LBB29_1097:
	s_or_b64 exec, exec, s[0:1]
	s_waitcnt vmcnt(0)
	buffer_wbinvl1_vol
	s_endpgm
.LBB29_1098:
	ds_read_b64 v[21:22], v20 offset:31680
	ds_read_b64 v[23:24], v19 offset:31208
	s_waitcnt lgkmcnt(0)
	v_fma_f64 v[11:12], v[21:22], v[23:24], v[11:12]
	s_or_b64 exec, exec, s[14:15]
	v_cmp_gt_u32_e64 s[10:11], 8, v15
	s_and_saveexec_b64 s[14:15], s[10:11]
	s_cbranch_execz .LBB29_79
.LBB29_1099:
	ds_read_b64 v[20:21], v20 offset:32192
	ds_read_b64 v[22:23], v19 offset:31216
	s_waitcnt lgkmcnt(0)
	v_fma_f64 v[11:12], v[20:21], v[22:23], v[11:12]
	s_or_b64 exec, exec, s[14:15]
	v_cmp_gt_u32_e64 s[10:11], 4, v15
	s_and_saveexec_b64 s[14:15], s[10:11]
	s_cbranch_execnz .LBB29_80
	s_branch .LBB29_81
.LBB29_1100:
	ds_read_b64 v[24:25], v23 offset:29568
	ds_read_b64 v[26:27], v22 offset:29128
	s_waitcnt lgkmcnt(0)
	v_fma_f64 v[11:12], v[24:25], v[26:27], v[11:12]
	s_or_b64 exec, exec, s[16:17]
	v_cmp_gt_u32_e64 s[14:15], 48, v15
	s_and_saveexec_b64 s[16:17], s[14:15]
	s_cbranch_execz .LBB29_121
.LBB29_1101:
	ds_read_b64 v[24:25], v23 offset:30080
	ds_read_b64 v[26:27], v22 offset:29136
	s_waitcnt lgkmcnt(0)
	v_fma_f64 v[11:12], v[24:25], v[26:27], v[11:12]
	s_or_b64 exec, exec, s[16:17]
	v_cmp_gt_u32_e64 s[14:15], 40, v15
	s_and_saveexec_b64 s[16:17], s[14:15]
	s_cbranch_execz .LBB29_122
.LBB29_1102:
	ds_read_b64 v[24:25], v23 offset:30592
	ds_read_b64 v[26:27], v22 offset:29144
	s_waitcnt lgkmcnt(0)
	v_fma_f64 v[11:12], v[24:25], v[26:27], v[11:12]
	s_or_b64 exec, exec, s[16:17]
	v_cmp_gt_u32_e64 s[14:15], 32, v15
	s_and_saveexec_b64 s[16:17], s[14:15]
	s_cbranch_execz .LBB29_123
.LBB29_1103:
	ds_read_b64 v[24:25], v23 offset:31104
	ds_read_b64 v[26:27], v22 offset:29152
	s_waitcnt lgkmcnt(0)
	v_fma_f64 v[11:12], v[24:25], v[26:27], v[11:12]
	s_or_b64 exec, exec, s[16:17]
	v_cmp_gt_u32_e64 s[14:15], 24, v15
	s_and_saveexec_b64 s[16:17], s[14:15]
	s_cbranch_execz .LBB29_124
.LBB29_1104:
	ds_read_b64 v[24:25], v23 offset:31616
	ds_read_b64 v[26:27], v22 offset:29160
	s_waitcnt lgkmcnt(0)
	v_fma_f64 v[11:12], v[24:25], v[26:27], v[11:12]
	s_or_b64 exec, exec, s[16:17]
	s_and_saveexec_b64 s[14:15], s[18:19]
	s_cbranch_execz .LBB29_125
.LBB29_1105:
	ds_read_b64 v[23:24], v23 offset:32128
	ds_read_b64 v[25:26], v22 offset:29168
	s_waitcnt lgkmcnt(0)
	v_fma_f64 v[11:12], v[23:24], v[25:26], v[11:12]
	s_or_b64 exec, exec, s[14:15]
	v_cmp_gt_u32_e64 s[14:15], 8, v15
	s_and_saveexec_b64 s[16:17], s[14:15]
	s_cbranch_execnz .LBB29_126
	s_branch .LBB29_127
.LBB29_1106:
	ds_read_b64 v[24:25], v23 offset:27520
	ds_read_b64 v[26:27], v22 offset:27048
	s_waitcnt lgkmcnt(0)
	v_fma_f64 v[11:12], v[24:25], v[26:27], v[11:12]
	s_or_b64 exec, exec, s[14:15]
	v_cmp_gt_u32_e64 s[10:11], 8, v15
	s_and_saveexec_b64 s[14:15], s[10:11]
	s_cbranch_execz .LBB29_183
.LBB29_1107:
	ds_read_b64 v[23:24], v23 offset:28032
	ds_read_b64 v[25:26], v22 offset:27056
	s_waitcnt lgkmcnt(0)
	v_fma_f64 v[11:12], v[23:24], v[25:26], v[11:12]
	s_or_b64 exec, exec, s[14:15]
	v_cmp_gt_u32_e64 s[10:11], 4, v15
	s_and_saveexec_b64 s[14:15], s[10:11]
	s_cbranch_execnz .LBB29_184
	s_branch .LBB29_185
.LBB29_1108:
	ds_read_b64 v[27:28], v26 offset:30464
	ds_read_b64 v[29:30], v25 offset:25048
	s_waitcnt lgkmcnt(0)
	v_fma_f64 v[11:12], v[27:28], v[29:30], v[11:12]
	s_or_b64 exec, exec, s[20:21]
	s_and_saveexec_b64 s[16:17], s[8:9]
	s_cbranch_execz .LBB29_245
.LBB29_1109:
	ds_read_b64 v[27:28], v26 offset:30976
	ds_read_b64 v[29:30], v25 offset:25056
	s_waitcnt lgkmcnt(0)
	v_fma_f64 v[11:12], v[27:28], v[29:30], v[11:12]
	s_or_b64 exec, exec, s[16:17]
	v_cmp_gt_u32_e64 s[16:17], 48, v15
	s_and_saveexec_b64 s[20:21], s[16:17]
	s_cbranch_execz .LBB29_246
.LBB29_1110:
	ds_read_b64 v[27:28], v26 offset:31488
	ds_read_b64 v[29:30], v25 offset:25064
	s_waitcnt lgkmcnt(0)
	v_fma_f64 v[11:12], v[27:28], v[29:30], v[11:12]
	s_or_b64 exec, exec, s[20:21]
	v_cmp_gt_u32_e64 s[16:17], 32, v15
	s_and_saveexec_b64 s[20:21], s[16:17]
	s_cbranch_execz .LBB29_247
.LBB29_1111:
	ds_read_b64 v[26:27], v26 offset:32000
	ds_read_b64 v[28:29], v25 offset:25072
	s_waitcnt lgkmcnt(0)
	v_fma_f64 v[11:12], v[26:27], v[28:29], v[11:12]
	s_or_b64 exec, exec, s[20:21]
	v_cmp_gt_u32_e64 s[16:17], 16, v15
	s_and_saveexec_b64 s[20:21], s[16:17]
	s_cbranch_execnz .LBB29_248
	s_branch .LBB29_249
.LBB29_1112:
	ds_read_b64 v[27:28], v26 offset:23360
	ds_read_b64 v[29:30], v25 offset:22888
	s_waitcnt lgkmcnt(0)
	v_fma_f64 v[11:12], v[27:28], v[29:30], v[11:12]
	s_or_b64 exec, exec, s[20:21]
	v_cmp_gt_u32_e64 s[14:15], 8, v15
	s_and_saveexec_b64 s[20:21], s[14:15]
	s_cbranch_execz .LBB29_337
.LBB29_1113:
	ds_read_b64 v[26:27], v26 offset:23872
	ds_read_b64 v[28:29], v25 offset:22896
	s_waitcnt lgkmcnt(0)
	v_fma_f64 v[11:12], v[26:27], v[28:29], v[11:12]
	s_or_b64 exec, exec, s[20:21]
	v_cmp_gt_u32_e64 s[14:15], 4, v15
	s_and_saveexec_b64 s[20:21], s[14:15]
	s_cbranch_execnz .LBB29_338
	s_branch .LBB29_339
.LBB29_1114:
	ds_read_b64 v[27:28], v26 offset:21248
	ds_read_b64 v[29:30], v25 offset:20808
	s_waitcnt lgkmcnt(0)
	v_fma_f64 v[11:12], v[27:28], v[29:30], v[11:12]
	s_or_b64 exec, exec, s[20:21]
	v_cmp_gt_u32_e64 s[14:15], 48, v15
	s_and_saveexec_b64 s[20:21], s[14:15]
	s_cbranch_execz .LBB29_379
.LBB29_1115:
	ds_read_b64 v[27:28], v26 offset:21760
	ds_read_b64 v[29:30], v25 offset:20816
	s_waitcnt lgkmcnt(0)
	v_fma_f64 v[11:12], v[27:28], v[29:30], v[11:12]
	s_or_b64 exec, exec, s[20:21]
	v_cmp_gt_u32_e64 s[14:15], 40, v15
	s_and_saveexec_b64 s[20:21], s[14:15]
	s_cbranch_execz .LBB29_380
.LBB29_1116:
	ds_read_b64 v[27:28], v26 offset:22272
	ds_read_b64 v[29:30], v25 offset:20824
	s_waitcnt lgkmcnt(0)
	v_fma_f64 v[11:12], v[27:28], v[29:30], v[11:12]
	s_or_b64 exec, exec, s[20:21]
	v_cmp_gt_u32_e64 s[14:15], 32, v15
	s_and_saveexec_b64 s[20:21], s[14:15]
	s_cbranch_execz .LBB29_381
.LBB29_1117:
	ds_read_b64 v[27:28], v26 offset:22784
	ds_read_b64 v[29:30], v25 offset:20832
	s_waitcnt lgkmcnt(0)
	v_fma_f64 v[11:12], v[27:28], v[29:30], v[11:12]
	s_or_b64 exec, exec, s[20:21]
	v_cmp_gt_u32_e64 s[14:15], 24, v15
	s_and_saveexec_b64 s[20:21], s[14:15]
	s_cbranch_execz .LBB29_382
.LBB29_1118:
	ds_read_b64 v[27:28], v26 offset:23296
	ds_read_b64 v[29:30], v25 offset:20840
	s_waitcnt lgkmcnt(0)
	v_fma_f64 v[11:12], v[27:28], v[29:30], v[11:12]
	s_or_b64 exec, exec, s[20:21]
	s_and_saveexec_b64 s[14:15], s[18:19]
	s_cbranch_execz .LBB29_383
.LBB29_1119:
	ds_read_b64 v[26:27], v26 offset:23808
	ds_read_b64 v[28:29], v25 offset:20848
	s_waitcnt lgkmcnt(0)
	v_fma_f64 v[11:12], v[26:27], v[28:29], v[11:12]
	s_or_b64 exec, exec, s[14:15]
	v_cmp_gt_u32_e64 s[14:15], 8, v15
	s_and_saveexec_b64 s[20:21], s[14:15]
	s_cbranch_execnz .LBB29_384
	s_branch .LBB29_385
.LBB29_1120:
	ds_read_b64 v[27:28], v26 offset:19200
	ds_read_b64 v[29:30], v25 offset:18728
	s_waitcnt lgkmcnt(0)
	v_fma_f64 v[11:12], v[27:28], v[29:30], v[11:12]
	s_or_b64 exec, exec, s[20:21]
	v_cmp_gt_u32_e64 s[14:15], 8, v15
	s_and_saveexec_b64 s[20:21], s[14:15]
	s_cbranch_execz .LBB29_441
.LBB29_1121:
	ds_read_b64 v[26:27], v26 offset:19712
	ds_read_b64 v[28:29], v25 offset:18736
	s_waitcnt lgkmcnt(0)
	v_fma_f64 v[11:12], v[26:27], v[28:29], v[11:12]
	s_or_b64 exec, exec, s[20:21]
	v_cmp_gt_u32_e64 s[14:15], 4, v15
	s_and_saveexec_b64 s[20:21], s[14:15]
	s_cbranch_execnz .LBB29_442
	s_branch .LBB29_443
.LBB29_1122:
	ds_read_b64 v[30:31], v29 offset:31232
	ds_read_b64 v[32:33], v28 offset:16872
	s_waitcnt lgkmcnt(0)
	v_fma_f64 v[11:12], v[30:31], v[32:33], v[11:12]
	s_or_b64 exec, exec, s[26:27]
	s_and_saveexec_b64 s[20:21], s[8:9]
	s_cbranch_execz .LBB29_539
.LBB29_1123:
	ds_read_b64 v[29:30], v29 offset:31744
	ds_read_b64 v[31:32], v28 offset:16880
	s_waitcnt lgkmcnt(0)
	v_fma_f64 v[11:12], v[29:30], v[31:32], v[11:12]
	s_or_b64 exec, exec, s[20:21]
	v_cmp_gt_u32_e64 s[20:21], 32, v15
	s_and_saveexec_b64 s[26:27], s[20:21]
	s_cbranch_execnz .LBB29_540
	s_branch .LBB29_541
.LBB29_1124:
	ds_read_b64 v[27:28], v26 offset:15040
	ds_read_b64 v[29:30], v25 offset:14568
	s_waitcnt lgkmcnt(0)
	v_fma_f64 v[11:12], v[27:28], v[29:30], v[11:12]
	s_or_b64 exec, exec, s[16:17]
	v_cmp_gt_u32_e64 s[12:13], 8, v15
	s_and_saveexec_b64 s[16:17], s[12:13]
	s_cbranch_execz .LBB29_585
.LBB29_1125:
	ds_read_b64 v[26:27], v26 offset:15552
	ds_read_b64 v[28:29], v25 offset:14576
	s_waitcnt lgkmcnt(0)
	v_fma_f64 v[11:12], v[26:27], v[28:29], v[11:12]
	s_or_b64 exec, exec, s[16:17]
	v_cmp_gt_u32_e64 s[12:13], 4, v15
	s_and_saveexec_b64 s[16:17], s[12:13]
	s_cbranch_execnz .LBB29_586
	s_branch .LBB29_587
.LBB29_1126:
	ds_read_b64 v[27:28], v26 offset:12928
	ds_read_b64 v[29:30], v25 offset:12488
	s_waitcnt lgkmcnt(0)
	v_fma_f64 v[11:12], v[27:28], v[29:30], v[11:12]
	s_or_b64 exec, exec, s[16:17]
	v_cmp_gt_u32_e64 s[12:13], 48, v15
	s_and_saveexec_b64 s[16:17], s[12:13]
	s_cbranch_execz .LBB29_627
.LBB29_1127:
	ds_read_b64 v[27:28], v26 offset:13440
	ds_read_b64 v[29:30], v25 offset:12496
	s_waitcnt lgkmcnt(0)
	v_fma_f64 v[11:12], v[27:28], v[29:30], v[11:12]
	s_or_b64 exec, exec, s[16:17]
	v_cmp_gt_u32_e64 s[12:13], 40, v15
	s_and_saveexec_b64 s[16:17], s[12:13]
	s_cbranch_execz .LBB29_628
.LBB29_1128:
	ds_read_b64 v[27:28], v26 offset:13952
	ds_read_b64 v[29:30], v25 offset:12504
	s_waitcnt lgkmcnt(0)
	v_fma_f64 v[11:12], v[27:28], v[29:30], v[11:12]
	s_or_b64 exec, exec, s[16:17]
	v_cmp_gt_u32_e64 s[12:13], 32, v15
	s_and_saveexec_b64 s[16:17], s[12:13]
	s_cbranch_execz .LBB29_629
.LBB29_1129:
	ds_read_b64 v[27:28], v26 offset:14464
	ds_read_b64 v[29:30], v25 offset:12512
	s_waitcnt lgkmcnt(0)
	v_fma_f64 v[11:12], v[27:28], v[29:30], v[11:12]
	s_or_b64 exec, exec, s[16:17]
	v_cmp_gt_u32_e64 s[12:13], 24, v15
	s_and_saveexec_b64 s[16:17], s[12:13]
	s_cbranch_execz .LBB29_630
.LBB29_1130:
	ds_read_b64 v[27:28], v26 offset:14976
	ds_read_b64 v[29:30], v25 offset:12520
	s_waitcnt lgkmcnt(0)
	v_fma_f64 v[11:12], v[27:28], v[29:30], v[11:12]
	s_or_b64 exec, exec, s[16:17]
	s_and_saveexec_b64 s[12:13], s[18:19]
	s_cbranch_execz .LBB29_631
.LBB29_1131:
	ds_read_b64 v[26:27], v26 offset:15488
	ds_read_b64 v[28:29], v25 offset:12528
	s_waitcnt lgkmcnt(0)
	v_fma_f64 v[11:12], v[26:27], v[28:29], v[11:12]
	s_or_b64 exec, exec, s[12:13]
	v_cmp_gt_u32_e64 s[12:13], 8, v15
	s_and_saveexec_b64 s[16:17], s[12:13]
	s_cbranch_execnz .LBB29_632
	s_branch .LBB29_633
.LBB29_1132:
	ds_read_b64 v[27:28], v26 offset:10880
	ds_read_b64 v[29:30], v25 offset:10408
	s_waitcnt lgkmcnt(0)
	v_fma_f64 v[11:12], v[27:28], v[29:30], v[11:12]
	s_or_b64 exec, exec, s[16:17]
	v_cmp_gt_u32_e64 s[12:13], 8, v15
	s_and_saveexec_b64 s[16:17], s[12:13]
	s_cbranch_execz .LBB29_689
.LBB29_1133:
	ds_read_b64 v[26:27], v26 offset:11392
	ds_read_b64 v[28:29], v25 offset:10416
	s_waitcnt lgkmcnt(0)
	v_fma_f64 v[11:12], v[26:27], v[28:29], v[11:12]
	s_or_b64 exec, exec, s[16:17]
	v_cmp_gt_u32_e64 s[12:13], 4, v15
	s_and_saveexec_b64 s[16:17], s[12:13]
	s_cbranch_execnz .LBB29_690
	s_branch .LBB29_691
.LBB29_1134:
	ds_read_b64 v[27:28], v26 offset:13824
	ds_read_b64 v[29:30], v25 offset:8408
	s_waitcnt lgkmcnt(0)
	v_fma_f64 v[11:12], v[27:28], v[29:30], v[11:12]
	s_or_b64 exec, exec, s[16:17]
	s_and_saveexec_b64 s[12:13], s[8:9]
	s_cbranch_execz .LBB29_751
.LBB29_1135:
	ds_read_b64 v[27:28], v26 offset:14336
	ds_read_b64 v[29:30], v25 offset:8416
	s_waitcnt lgkmcnt(0)
	v_fma_f64 v[11:12], v[27:28], v[29:30], v[11:12]
	s_or_b64 exec, exec, s[12:13]
	v_cmp_gt_u32_e64 s[12:13], 48, v15
	s_and_saveexec_b64 s[16:17], s[12:13]
	s_cbranch_execz .LBB29_752
.LBB29_1136:
	ds_read_b64 v[27:28], v26 offset:14848
	ds_read_b64 v[29:30], v25 offset:8424
	s_waitcnt lgkmcnt(0)
	v_fma_f64 v[11:12], v[27:28], v[29:30], v[11:12]
	s_or_b64 exec, exec, s[16:17]
	v_cmp_gt_u32_e64 s[12:13], 32, v15
	s_and_saveexec_b64 s[16:17], s[12:13]
	s_cbranch_execz .LBB29_753
.LBB29_1137:
	ds_read_b64 v[26:27], v26 offset:15360
	ds_read_b64 v[28:29], v25 offset:8432
	s_waitcnt lgkmcnt(0)
	v_fma_f64 v[11:12], v[26:27], v[28:29], v[11:12]
	s_or_b64 exec, exec, s[16:17]
	v_cmp_gt_u32_e64 s[12:13], 16, v15
	s_and_saveexec_b64 s[16:17], s[12:13]
	s_cbranch_execnz .LBB29_754
	s_branch .LBB29_755
.LBB29_1138:
	ds_read_b64 v[24:25], v23 offset:6720
	ds_read_b64 v[26:27], v22 offset:6248
	s_waitcnt lgkmcnt(0)
	v_fma_f64 v[11:12], v[24:25], v[26:27], v[11:12]
	s_or_b64 exec, exec, s[12:13]
	v_cmp_gt_u32_e64 s[10:11], 8, v15
	s_and_saveexec_b64 s[12:13], s[10:11]
	s_cbranch_execz .LBB29_843
.LBB29_1139:
	ds_read_b64 v[23:24], v23 offset:7232
	ds_read_b64 v[25:26], v22 offset:6256
	s_waitcnt lgkmcnt(0)
	v_fma_f64 v[11:12], v[23:24], v[25:26], v[11:12]
	s_or_b64 exec, exec, s[12:13]
	v_cmp_gt_u32_e64 s[10:11], 4, v15
	s_and_saveexec_b64 s[12:13], s[10:11]
	s_cbranch_execnz .LBB29_844
	s_branch .LBB29_845
.LBB29_1140:
	ds_read_b64 v[24:25], v23 offset:4608
	ds_read_b64 v[26:27], v22 offset:4168
	s_waitcnt lgkmcnt(0)
	v_fma_f64 v[11:12], v[24:25], v[26:27], v[11:12]
	s_or_b64 exec, exec, s[12:13]
	v_cmp_gt_u32_e64 s[10:11], 48, v15
	s_and_saveexec_b64 s[12:13], s[10:11]
	s_cbranch_execz .LBB29_885
.LBB29_1141:
	ds_read_b64 v[24:25], v23 offset:5120
	ds_read_b64 v[26:27], v22 offset:4176
	s_waitcnt lgkmcnt(0)
	v_fma_f64 v[11:12], v[24:25], v[26:27], v[11:12]
	s_or_b64 exec, exec, s[12:13]
	v_cmp_gt_u32_e64 s[10:11], 40, v15
	s_and_saveexec_b64 s[12:13], s[10:11]
	s_cbranch_execz .LBB29_886
.LBB29_1142:
	ds_read_b64 v[24:25], v23 offset:5632
	ds_read_b64 v[26:27], v22 offset:4184
	s_waitcnt lgkmcnt(0)
	v_fma_f64 v[11:12], v[24:25], v[26:27], v[11:12]
	s_or_b64 exec, exec, s[12:13]
	v_cmp_gt_u32_e64 s[10:11], 32, v15
	s_and_saveexec_b64 s[12:13], s[10:11]
	s_cbranch_execz .LBB29_887
.LBB29_1143:
	ds_read_b64 v[24:25], v23 offset:6144
	ds_read_b64 v[26:27], v22 offset:4192
	s_waitcnt lgkmcnt(0)
	v_fma_f64 v[11:12], v[24:25], v[26:27], v[11:12]
	s_or_b64 exec, exec, s[12:13]
	v_cmp_gt_u32_e64 s[10:11], 24, v15
	s_and_saveexec_b64 s[12:13], s[10:11]
	s_cbranch_execz .LBB29_888
.LBB29_1144:
	ds_read_b64 v[24:25], v23 offset:6656
	ds_read_b64 v[26:27], v22 offset:4200
	s_waitcnt lgkmcnt(0)
	v_fma_f64 v[11:12], v[24:25], v[26:27], v[11:12]
	s_or_b64 exec, exec, s[12:13]
	s_and_saveexec_b64 s[10:11], s[18:19]
	s_cbranch_execz .LBB29_889
.LBB29_1145:
	ds_read_b64 v[23:24], v23 offset:7168
	ds_read_b64 v[25:26], v22 offset:4208
	s_waitcnt lgkmcnt(0)
	v_fma_f64 v[11:12], v[23:24], v[25:26], v[11:12]
	s_or_b64 exec, exec, s[10:11]
	v_cmp_gt_u32_e64 s[10:11], 8, v15
	s_and_saveexec_b64 s[12:13], s[10:11]
	s_cbranch_execnz .LBB29_890
	s_branch .LBB29_891
.LBB29_1146:
	ds_read_b64 v[21:22], v20 offset:2560
	ds_read_b64 v[23:24], v19 offset:2088
	s_waitcnt lgkmcnt(0)
	v_fma_f64 v[11:12], v[21:22], v[23:24], v[11:12]
	s_or_b64 exec, exec, s[10:11]
	v_cmp_gt_u32_e64 s[8:9], 8, v15
	s_and_saveexec_b64 s[10:11], s[8:9]
	s_cbranch_execz .LBB29_947
.LBB29_1147:
	ds_read_b64 v[20:21], v20 offset:3072
	ds_read_b64 v[22:23], v19 offset:2096
	s_waitcnt lgkmcnt(0)
	v_fma_f64 v[11:12], v[20:21], v[22:23], v[11:12]
	s_or_b64 exec, exec, s[10:11]
	v_cmp_gt_u32_e64 s[8:9], 4, v15
	s_and_saveexec_b64 s[10:11], s[8:9]
	s_cbranch_execnz .LBB29_948
	s_branch .LBB29_949
	.section	.rodata,"a",@progbits
	.p2align	6, 0x0
	.amdhsa_kernel _ZL19rocblas_trsv_deviceILi64ELi16ELb0ELb1ELb0ELb0EdPKdS1_PdEviT7_lllT6_T8_lllPii
		.amdhsa_group_segment_fixed_size 41480
		.amdhsa_private_segment_fixed_size 0
		.amdhsa_kernarg_size 352
		.amdhsa_user_sgpr_count 6
		.amdhsa_user_sgpr_private_segment_buffer 1
		.amdhsa_user_sgpr_dispatch_ptr 0
		.amdhsa_user_sgpr_queue_ptr 0
		.amdhsa_user_sgpr_kernarg_segment_ptr 1
		.amdhsa_user_sgpr_dispatch_id 0
		.amdhsa_user_sgpr_flat_scratch_init 0
		.amdhsa_user_sgpr_private_segment_size 0
		.amdhsa_uses_dynamic_stack 0
		.amdhsa_system_sgpr_private_segment_wavefront_offset 0
		.amdhsa_system_sgpr_workgroup_id_x 1
		.amdhsa_system_sgpr_workgroup_id_y 0
		.amdhsa_system_sgpr_workgroup_id_z 1
		.amdhsa_system_sgpr_workgroup_info 0
		.amdhsa_system_vgpr_workitem_id 1
		.amdhsa_next_free_vgpr 49
		.amdhsa_next_free_sgpr 98
		.amdhsa_reserve_vcc 1
		.amdhsa_reserve_flat_scratch 0
		.amdhsa_float_round_mode_32 0
		.amdhsa_float_round_mode_16_64 0
		.amdhsa_float_denorm_mode_32 3
		.amdhsa_float_denorm_mode_16_64 3
		.amdhsa_dx10_clamp 1
		.amdhsa_ieee_mode 1
		.amdhsa_fp16_overflow 0
		.amdhsa_exception_fp_ieee_invalid_op 0
		.amdhsa_exception_fp_denorm_src 0
		.amdhsa_exception_fp_ieee_div_zero 0
		.amdhsa_exception_fp_ieee_overflow 0
		.amdhsa_exception_fp_ieee_underflow 0
		.amdhsa_exception_fp_ieee_inexact 0
		.amdhsa_exception_int_div_zero 0
	.end_amdhsa_kernel
	.section	.text._ZL19rocblas_trsv_deviceILi64ELi16ELb0ELb1ELb0ELb0EdPKdS1_PdEviT7_lllT6_T8_lllPii,"axG",@progbits,_ZL19rocblas_trsv_deviceILi64ELi16ELb0ELb1ELb0ELb0EdPKdS1_PdEviT7_lllT6_T8_lllPii,comdat
.Lfunc_end29:
	.size	_ZL19rocblas_trsv_deviceILi64ELi16ELb0ELb1ELb0ELb0EdPKdS1_PdEviT7_lllT6_T8_lllPii, .Lfunc_end29-_ZL19rocblas_trsv_deviceILi64ELi16ELb0ELb1ELb0ELb0EdPKdS1_PdEviT7_lllT6_T8_lllPii
                                        ; -- End function
	.set _ZL19rocblas_trsv_deviceILi64ELi16ELb0ELb1ELb0ELb0EdPKdS1_PdEviT7_lllT6_T8_lllPii.num_vgpr, 37
	.set _ZL19rocblas_trsv_deviceILi64ELi16ELb0ELb1ELb0ELb0EdPKdS1_PdEviT7_lllT6_T8_lllPii.num_agpr, 0
	.set _ZL19rocblas_trsv_deviceILi64ELi16ELb0ELb1ELb0ELb0EdPKdS1_PdEviT7_lllT6_T8_lllPii.numbered_sgpr, 96
	.set _ZL19rocblas_trsv_deviceILi64ELi16ELb0ELb1ELb0ELb0EdPKdS1_PdEviT7_lllT6_T8_lllPii.num_named_barrier, 0
	.set _ZL19rocblas_trsv_deviceILi64ELi16ELb0ELb1ELb0ELb0EdPKdS1_PdEviT7_lllT6_T8_lllPii.private_seg_size, 0
	.set _ZL19rocblas_trsv_deviceILi64ELi16ELb0ELb1ELb0ELb0EdPKdS1_PdEviT7_lllT6_T8_lllPii.uses_vcc, 1
	.set _ZL19rocblas_trsv_deviceILi64ELi16ELb0ELb1ELb0ELb0EdPKdS1_PdEviT7_lllT6_T8_lllPii.uses_flat_scratch, 0
	.set _ZL19rocblas_trsv_deviceILi64ELi16ELb0ELb1ELb0ELb0EdPKdS1_PdEviT7_lllT6_T8_lllPii.has_dyn_sized_stack, 0
	.set _ZL19rocblas_trsv_deviceILi64ELi16ELb0ELb1ELb0ELb0EdPKdS1_PdEviT7_lllT6_T8_lllPii.has_recursion, 0
	.set _ZL19rocblas_trsv_deviceILi64ELi16ELb0ELb1ELb0ELb0EdPKdS1_PdEviT7_lllT6_T8_lllPii.has_indirect_call, 0
	.section	.AMDGPU.csdata,"",@progbits
; Kernel info:
; codeLenInByte = 39528
; TotalNumSgprs: 100
; NumVgprs: 37
; ScratchSize: 0
; MemoryBound: 0
; FloatMode: 240
; IeeeMode: 1
; LDSByteSize: 41480 bytes/workgroup (compile time only)
; SGPRBlocks: 12
; VGPRBlocks: 12
; NumSGPRsForWavesPerEU: 102
; NumVGPRsForWavesPerEU: 49
; Occupancy: 4
; WaveLimiterHint : 0
; COMPUTE_PGM_RSRC2:SCRATCH_EN: 0
; COMPUTE_PGM_RSRC2:USER_SGPR: 6
; COMPUTE_PGM_RSRC2:TRAP_HANDLER: 0
; COMPUTE_PGM_RSRC2:TGID_X_EN: 1
; COMPUTE_PGM_RSRC2:TGID_Y_EN: 0
; COMPUTE_PGM_RSRC2:TGID_Z_EN: 1
; COMPUTE_PGM_RSRC2:TIDIG_COMP_CNT: 1
	.section	.text._ZL19rocblas_trsv_deviceILi64ELi16ELb0ELb1ELb1ELb0EdPKdS1_PdEviT7_lllT6_T8_lllPii,"axG",@progbits,_ZL19rocblas_trsv_deviceILi64ELi16ELb0ELb1ELb1ELb0EdPKdS1_PdEviT7_lllT6_T8_lllPii,comdat
	.globl	_ZL19rocblas_trsv_deviceILi64ELi16ELb0ELb1ELb1ELb0EdPKdS1_PdEviT7_lllT6_T8_lllPii ; -- Begin function _ZL19rocblas_trsv_deviceILi64ELi16ELb0ELb1ELb1ELb0EdPKdS1_PdEviT7_lllT6_T8_lllPii
	.p2align	8
	.type	_ZL19rocblas_trsv_deviceILi64ELi16ELb0ELb1ELb1ELb0EdPKdS1_PdEviT7_lllT6_T8_lllPii,@function
_ZL19rocblas_trsv_deviceILi64ELi16ELb0ELb1ELb1ELb0EdPKdS1_PdEviT7_lllT6_T8_lllPii: ; @_ZL19rocblas_trsv_deviceILi64ELi16ELb0ELb1ELb1ELb0EdPKdS1_PdEviT7_lllT6_T8_lllPii
; %bb.0:
	s_mov_b32 s22, s7
	s_load_dwordx16 s[36:51], s[4:5], 0x8
	s_load_dword s7, s[4:5], 0x0
	v_mov_b32_e32 v2, v1
	s_mov_b32 s23, 0
	s_waitcnt lgkmcnt(0)
	s_load_dwordx2 s[26:27], s[44:45], 0x0
	s_load_dword s91, s[4:5], 0x6c
	s_mul_i32 s0, s43, s22
	s_mul_hi_u32 s1, s42, s22
	s_add_i32 s1, s1, s0
	s_mul_i32 s0, s42, s22
	s_lshl_b64 s[0:1], s[0:1], 3
	s_add_u32 s2, s36, s0
	s_addc_u32 s3, s37, s1
	s_lshl_b64 s[0:1], s[38:39], 3
	s_add_u32 s89, s2, s0
	s_addc_u32 s90, s3, s1
	s_cmp_eq_u32 s6, 0
	s_cbranch_scc1 .LBB30_10
; %bb.1:
	s_lshl_b32 s33, s6, 6
	v_add_u32_e32 v1, s33, v0
	v_ashrrev_i32_e32 v3, 31, v1
	v_mul_lo_u32 v5, s40, v3
	v_mul_lo_u32 v6, s41, v1
	v_mad_u64_u32 v[3:4], s[0:1], s40, v1, 0
	v_add_u32_e32 v7, s33, v2
	v_subrev_u32_e32 v11, 64, v7
	v_add3_u32 v4, v4, v5, v6
	v_lshlrev_b64 v[3:4], 3, v[3:4]
	v_ashrrev_i32_e32 v12, 31, v11
	v_cmp_gt_i32_e32 vcc, s7, v1
	v_mov_b32_e32 v1, s90
	v_add_co_u32_e64 v5, s[0:1], s89, v3
	v_addc_co_u32_e64 v1, s[0:1], v1, v4, s[0:1]
	v_lshlrev_b64 v[3:4], 3, v[11:12]
	s_waitcnt lgkmcnt(0)
	v_add_co_u32_e64 v12, s[0:1], v5, v3
	v_addc_co_u32_e64 v13, s[0:1], v1, v4, s[0:1]
	v_cmp_gt_i32_e64 s[0:1], s7, v11
	v_mov_b32_e32 v3, 0
	v_mov_b32_e32 v5, 0
	;; [unrolled: 1-line block ×4, first 2 shown]
	s_and_b64 s[2:3], s[0:1], vcc
	s_barrier
	s_and_saveexec_b64 s[0:1], s[2:3]
	s_cbranch_execz .LBB30_3
; %bb.2:
	global_load_dwordx2 v[5:6], v[12:13], off
.LBB30_3:
	s_or_b64 exec, exec, s[0:1]
	v_add_u32_e32 v1, 16, v11
	v_cmp_gt_i32_e64 s[0:1], s7, v1
	s_and_b64 s[2:3], s[0:1], vcc
	s_waitcnt vmcnt(0)
	s_barrier
	s_and_saveexec_b64 s[0:1], s[2:3]
	s_cbranch_execz .LBB30_5
; %bb.4:
	global_load_dwordx2 v[3:4], v[12:13], off offset:128
.LBB30_5:
	s_or_b64 exec, exec, s[0:1]
	v_add_u32_e32 v1, 32, v11
	v_cmp_gt_i32_e64 s[0:1], s7, v1
	v_mov_b32_e32 v7, 0
	v_mov_b32_e32 v9, 0
	;; [unrolled: 1-line block ×4, first 2 shown]
	s_and_b64 s[2:3], s[0:1], vcc
	s_waitcnt vmcnt(0)
	s_barrier
	s_and_saveexec_b64 s[0:1], s[2:3]
	s_cbranch_execz .LBB30_7
; %bb.6:
	global_load_dwordx2 v[9:10], v[12:13], off offset:256
.LBB30_7:
	s_or_b64 exec, exec, s[0:1]
	v_add_u32_e32 v1, 48, v11
	v_cmp_gt_i32_e64 s[0:1], s7, v1
	s_and_b64 s[2:3], s[0:1], vcc
	s_waitcnt vmcnt(0)
	s_barrier
	s_and_saveexec_b64 s[0:1], s[2:3]
	s_cbranch_execz .LBB30_9
; %bb.8:
	global_load_dwordx2 v[7:8], v[12:13], off offset:384
.LBB30_9:
	s_or_b64 exec, exec, s[0:1]
	s_branch .LBB30_11
.LBB30_10:
                                        ; implicit-def: $vgpr7_vgpr8
                                        ; implicit-def: $vgpr9_vgpr10
                                        ; implicit-def: $vgpr3_vgpr4
                                        ; implicit-def: $vgpr5_vgpr6
	s_mov_b32 s33, s23
.LBB30_11:
	s_ashr_i32 s0, s7, 31
	s_lshr_b32 s0, s0, 26
	s_add_i32 s0, s7, s0
	s_andn2_b32 s0, s0, 63
	s_sub_i32 s88, s7, s0
	s_add_i32 s0, s7, -1
	s_ashr_i32 s1, s0, 31
	s_lshr_b32 s1, s1, 26
	s_add_i32 s0, s0, s1
	s_ashr_i32 s0, s0, 6
	s_cmp_eq_u32 s0, s6
	s_cselect_b64 s[0:1], -1, 0
	s_cmp_lg_u32 s88, 0
	s_cselect_b64 s[2:3], -1, 0
	s_and_b64 s[24:25], s[2:3], s[0:1]
	s_cmp_lt_i32 s6, 5
	s_cselect_b64 s[2:3], -1, 0
	s_or_b64 s[0:1], s[2:3], s[24:25]
	s_ashr_i32 s38, s33, 31
	s_add_u32 s10, s40, 1
	v_mov_b32_e32 v1, 0
	v_mov_b32_e32 v11, s33
	v_mad_u64_u32 v[11:12], s[8:9], s10, v11, v[0:1]
	s_addc_u32 s11, s41, 0
	s_mul_i32 s8, s10, s38
	s_mul_i32 s11, s11, s33
	s_add_i32 s8, s8, s11
	s_mov_b64 s[12:13], -1
	v_lshlrev_b32_e32 v17, 6, v0
	v_add_u32_e32 v12, s8, v12
	s_and_b64 vcc, exec, s[24:25]
	v_cmp_le_u32_e64 s[8:9], v2, v0
	s_cbranch_vccnz .LBB30_33
; %bb.12:
	v_mad_u64_u32 v[15:16], s[10:11], s40, v2, v[11:12]
	v_mov_b32_e32 v1, v16
	v_mad_u64_u32 v[13:14], s[10:11], s41, v2, v[1:2]
	s_mov_b64 s[10:11], 0
	v_mov_b32_e32 v16, v13
                                        ; implicit-def: $vgpr13_vgpr14
	s_and_saveexec_b64 s[12:13], s[8:9]
	s_xor_b64 s[8:9], exec, s[12:13]
	s_cbranch_execnz .LBB30_1051
; %bb.13:
	s_andn2_saveexec_b64 s[8:9], s[8:9]
	s_cbranch_execnz .LBB30_1056
.LBB30_14:
	s_or_b64 exec, exec, s[8:9]
	s_and_saveexec_b64 s[8:9], s[10:11]
.LBB30_15:
	v_add_u32_e32 v1, v2, v17
	v_lshl_add_u32 v15, v2, 6, v0
	v_cndmask_b32_e64 v1, v15, v1, s[2:3]
	v_lshlrev_b32_e32 v1, 3, v1
	ds_write_b64 v1, v[13:14]
.LBB30_16:
	s_or_b64 exec, exec, s[8:9]
	v_add_u32_e32 v1, 16, v2
	v_mad_u64_u32 v[15:16], s[2:3], s40, v1, v[11:12]
	v_cmp_le_u32_e32 vcc, v1, v0
	s_mov_b64 s[8:9], 0
	v_mov_b32_e32 v13, v16
	v_mad_u64_u32 v[13:14], s[2:3], s41, v1, v[13:14]
	v_mov_b32_e32 v16, v13
                                        ; implicit-def: $vgpr13_vgpr14
	s_and_saveexec_b64 s[2:3], vcc
	s_xor_b64 s[2:3], exec, s[2:3]
	s_cbranch_execnz .LBB30_1057
; %bb.17:
	s_andn2_saveexec_b64 s[2:3], s[2:3]
	s_cbranch_execnz .LBB30_1062
.LBB30_18:
	s_or_b64 exec, exec, s[2:3]
	s_and_saveexec_b64 s[2:3], s[8:9]
.LBB30_19:
	v_add_u32_e32 v15, v1, v17
	v_lshl_add_u32 v1, v1, 6, v0
	v_cndmask_b32_e64 v1, v1, v15, s[0:1]
	v_lshlrev_b32_e32 v1, 3, v1
	ds_write_b64 v1, v[13:14]
.LBB30_20:
	s_or_b64 exec, exec, s[2:3]
	v_add_u32_e32 v1, 32, v2
	v_mad_u64_u32 v[15:16], s[2:3], s40, v1, v[11:12]
	v_cmp_le_u32_e32 vcc, v1, v0
	s_mov_b64 s[8:9], 0
	v_mov_b32_e32 v13, v16
	v_mad_u64_u32 v[13:14], s[2:3], s41, v1, v[13:14]
	v_mov_b32_e32 v16, v13
                                        ; implicit-def: $vgpr13_vgpr14
	s_and_saveexec_b64 s[2:3], vcc
	s_xor_b64 s[2:3], exec, s[2:3]
	s_cbranch_execnz .LBB30_1063
; %bb.21:
	s_andn2_saveexec_b64 s[2:3], s[2:3]
	s_cbranch_execnz .LBB30_1068
.LBB30_22:
	s_or_b64 exec, exec, s[2:3]
	s_and_saveexec_b64 s[2:3], s[8:9]
.LBB30_23:
	v_add_u32_e32 v15, v1, v17
	v_lshl_add_u32 v1, v1, 6, v0
	v_cndmask_b32_e64 v1, v1, v15, s[0:1]
	v_lshlrev_b32_e32 v1, 3, v1
	ds_write_b64 v1, v[13:14]
.LBB30_24:
	s_or_b64 exec, exec, s[2:3]
	v_add_u32_e32 v1, 48, v2
	v_mad_u64_u32 v[15:16], s[2:3], s40, v1, v[11:12]
	v_cmp_le_u32_e32 vcc, v1, v0
	s_mov_b64 s[10:11], 0
	v_mov_b32_e32 v13, v16
	v_mad_u64_u32 v[13:14], s[2:3], s41, v1, v[13:14]
	v_mov_b32_e32 v16, v13
                                        ; implicit-def: $vgpr13_vgpr14
	s_and_saveexec_b64 s[2:3], vcc
	s_xor_b64 s[2:3], exec, s[2:3]
	s_cbranch_execz .LBB30_30
; %bb.25:
	v_cmp_ne_u32_e32 vcc, v0, v1
	s_mov_b64 s[8:9], 0
	s_and_saveexec_b64 s[10:11], vcc
	s_xor_b64 s[10:11], exec, s[10:11]
; %bb.26:
	v_or_b32_e32 v13, v1, v0
	v_cmp_gt_u32_e32 vcc, 64, v13
	s_and_b64 s[8:9], vcc, exec
                                        ; implicit-def: $vgpr15_vgpr16
; %bb.27:
	s_or_saveexec_b64 s[10:11], s[10:11]
	v_mov_b32_e32 v13, 0
	v_mov_b32_e32 v14, 0
	s_xor_b64 exec, exec, s[10:11]
	s_cbranch_execz .LBB30_29
; %bb.28:
	v_lshlrev_b64 v[13:14], 3, v[15:16]
	v_mov_b32_e32 v15, s90
	v_add_co_u32_e32 v13, vcc, s89, v13
	v_addc_co_u32_e32 v14, vcc, v15, v14, vcc
	global_load_dwordx2 v[13:14], v[13:14], off
	s_or_b64 s[8:9], s[8:9], exec
	s_waitcnt vmcnt(0)
	v_div_scale_f64 v[15:16], s[12:13], v[13:14], v[13:14], 1.0
	v_div_scale_f64 v[22:23], vcc, 1.0, v[13:14], 1.0
	v_rcp_f64_e32 v[18:19], v[15:16]
	v_fma_f64 v[20:21], -v[15:16], v[18:19], 1.0
	v_fma_f64 v[18:19], v[18:19], v[20:21], v[18:19]
	v_fma_f64 v[20:21], -v[15:16], v[18:19], 1.0
	v_fma_f64 v[18:19], v[18:19], v[20:21], v[18:19]
	v_mul_f64 v[20:21], v[22:23], v[18:19]
	v_fma_f64 v[15:16], -v[15:16], v[20:21], v[22:23]
	v_div_fmas_f64 v[15:16], v[15:16], v[18:19], v[20:21]
	v_div_fixup_f64 v[13:14], v[15:16], v[13:14], 1.0
.LBB30_29:
	s_or_b64 exec, exec, s[10:11]
	s_and_b64 s[10:11], s[8:9], exec
                                        ; implicit-def: $vgpr15_vgpr16
.LBB30_30:
	s_or_saveexec_b64 s[2:3], s[2:3]
	v_add_u32_e32 v18, v1, v17
	v_lshl_add_u32 v1, v1, 6, v0
	s_xor_b64 exec, exec, s[2:3]
	s_cbranch_execz .LBB30_32
; %bb.31:
	v_lshlrev_b64 v[13:14], 3, v[15:16]
	v_mov_b32_e32 v15, s90
	v_add_co_u32_e32 v13, vcc, s89, v13
	v_addc_co_u32_e32 v14, vcc, v15, v14, vcc
	global_load_dwordx2 v[13:14], v[13:14], off
	s_or_b64 s[10:11], s[10:11], exec
	s_waitcnt vmcnt(0)
	v_xor_b32_e32 v14, 0x80000000, v14
.LBB30_32:
	s_or_b64 exec, exec, s[2:3]
	v_cndmask_b32_e64 v1, v1, v18, s[0:1]
	s_branch .LBB30_55
.LBB30_33:
	s_mov_b64 s[10:11], 0
                                        ; implicit-def: $vgpr13_vgpr14
                                        ; implicit-def: $vgpr1
	s_and_b64 vcc, exec, s[12:13]
	s_cbranch_vccz .LBB30_55
; %bb.34:
	v_mad_u64_u32 v[13:14], s[2:3], s40, v2, v[11:12]
	v_cmp_le_u32_e32 vcc, v2, v0
	v_cmp_gt_i32_e64 s[2:3], s88, v0
	v_mov_b32_e32 v1, v14
	v_mad_u64_u32 v[14:15], s[8:9], s41, v2, v[1:2]
	v_max_i32_e32 v1, v2, v0
	v_cmp_le_i32_e64 s[8:9], s88, v1
	s_or_b64 s[8:9], s[8:9], vcc
	s_mov_b64 s[12:13], 0
                                        ; implicit-def: $vgpr15_vgpr16
	s_and_saveexec_b64 s[14:15], s[8:9]
	s_xor_b64 s[8:9], exec, s[14:15]
	s_cbranch_execnz .LBB30_1069
; %bb.35:
	s_andn2_saveexec_b64 s[8:9], s[8:9]
	s_cbranch_execnz .LBB30_1074
.LBB30_36:
	s_or_b64 exec, exec, s[8:9]
	s_and_saveexec_b64 s[8:9], s[12:13]
.LBB30_37:
	v_lshlrev_b32_e32 v1, 3, v17
	v_lshl_add_u32 v1, v2, 3, v1
	ds_write_b64 v1, v[15:16]
.LBB30_38:
	s_or_b64 exec, exec, s[8:9]
	v_add_u32_e32 v1, 16, v2
	v_mad_u64_u32 v[13:14], s[8:9], s40, v1, v[11:12]
	v_cmp_gt_u32_e32 vcc, v1, v0
	s_mov_b64 s[12:13], 0
	v_mad_u64_u32 v[14:15], s[8:9], s41, v1, v[14:15]
	v_cmp_gt_i32_e64 s[8:9], s88, v1
	s_and_b64 s[8:9], vcc, s[8:9]
	s_and_b64 s[8:9], s[2:3], s[8:9]
	s_xor_b64 s[8:9], s[8:9], -1
                                        ; implicit-def: $vgpr15_vgpr16
	s_and_saveexec_b64 s[14:15], s[8:9]
	s_xor_b64 s[8:9], exec, s[14:15]
	s_cbranch_execnz .LBB30_1075
; %bb.39:
	s_andn2_saveexec_b64 s[8:9], s[8:9]
	s_cbranch_execnz .LBB30_1080
.LBB30_40:
	s_or_b64 exec, exec, s[8:9]
	s_and_saveexec_b64 s[8:9], s[12:13]
.LBB30_41:
	v_add_u32_e32 v13, v1, v17
	v_lshl_add_u32 v1, v1, 6, v0
	v_cndmask_b32_e64 v1, v1, v13, s[0:1]
	v_lshlrev_b32_e32 v1, 3, v1
	ds_write_b64 v1, v[15:16]
.LBB30_42:
	s_or_b64 exec, exec, s[8:9]
	v_add_u32_e32 v1, 32, v2
	v_mad_u64_u32 v[13:14], s[8:9], s40, v1, v[11:12]
	v_cmp_gt_u32_e32 vcc, v1, v0
	s_mov_b64 s[12:13], 0
	v_mad_u64_u32 v[14:15], s[8:9], s41, v1, v[14:15]
	v_cmp_gt_i32_e64 s[8:9], s88, v1
	s_and_b64 s[8:9], vcc, s[8:9]
	s_and_b64 s[8:9], s[2:3], s[8:9]
	s_xor_b64 s[8:9], s[8:9], -1
                                        ; implicit-def: $vgpr15_vgpr16
	s_and_saveexec_b64 s[14:15], s[8:9]
	s_xor_b64 s[8:9], exec, s[14:15]
	s_cbranch_execnz .LBB30_1081
; %bb.43:
	s_andn2_saveexec_b64 s[8:9], s[8:9]
	s_cbranch_execnz .LBB30_1086
.LBB30_44:
	s_or_b64 exec, exec, s[8:9]
	s_and_saveexec_b64 s[8:9], s[12:13]
.LBB30_45:
	v_add_u32_e32 v13, v1, v17
	v_lshl_add_u32 v1, v1, 6, v0
	v_cndmask_b32_e64 v1, v1, v13, s[0:1]
	v_lshlrev_b32_e32 v1, 3, v1
	ds_write_b64 v1, v[15:16]
.LBB30_46:
	s_or_b64 exec, exec, s[8:9]
	v_add_u32_e32 v1, 48, v2
	v_mad_u64_u32 v[11:12], s[8:9], s40, v1, v[11:12]
	v_cmp_gt_u32_e32 vcc, v1, v0
	v_mad_u64_u32 v[12:13], s[8:9], s41, v1, v[12:13]
	v_cmp_gt_i32_e64 s[8:9], s88, v1
	s_and_b64 s[8:9], vcc, s[8:9]
	s_and_b64 s[8:9], s[2:3], s[8:9]
	s_xor_b64 s[8:9], s[8:9], -1
                                        ; implicit-def: $vgpr13_vgpr14
	s_and_saveexec_b64 s[12:13], s[8:9]
	s_xor_b64 s[8:9], exec, s[12:13]
	s_cbranch_execz .LBB30_52
; %bb.47:
	v_cmp_ne_u32_e32 vcc, v0, v1
	s_xor_b64 s[2:3], s[2:3], -1
	s_or_b64 s[12:13], s[2:3], vcc
	s_mov_b64 s[2:3], s[10:11]
	s_and_saveexec_b64 s[14:15], s[12:13]
	s_xor_b64 s[12:13], exec, s[14:15]
; %bb.48:
	v_or_b32_e32 v11, v1, v0
	v_cmp_gt_u32_e32 vcc, 64, v11
	s_andn2_b64 s[2:3], s[10:11], exec
	s_and_b64 s[14:15], vcc, exec
	s_or_b64 s[2:3], s[2:3], s[14:15]
                                        ; implicit-def: $vgpr11_vgpr12
; %bb.49:
	s_or_saveexec_b64 s[12:13], s[12:13]
	v_mov_b32_e32 v13, 0
	v_mov_b32_e32 v14, 0
	s_xor_b64 exec, exec, s[12:13]
	s_cbranch_execz .LBB30_51
; %bb.50:
	v_lshlrev_b64 v[11:12], 3, v[11:12]
	v_mov_b32_e32 v13, s90
	v_add_co_u32_e32 v11, vcc, s89, v11
	v_addc_co_u32_e32 v12, vcc, v13, v12, vcc
	global_load_dwordx2 v[11:12], v[11:12], off
	s_or_b64 s[2:3], s[2:3], exec
	s_waitcnt vmcnt(0)
	v_div_scale_f64 v[13:14], s[14:15], v[11:12], v[11:12], 1.0
	v_div_scale_f64 v[20:21], vcc, 1.0, v[11:12], 1.0
	v_rcp_f64_e32 v[15:16], v[13:14]
	v_fma_f64 v[18:19], -v[13:14], v[15:16], 1.0
	v_fma_f64 v[15:16], v[15:16], v[18:19], v[15:16]
	v_fma_f64 v[18:19], -v[13:14], v[15:16], 1.0
	v_fma_f64 v[15:16], v[15:16], v[18:19], v[15:16]
	v_mul_f64 v[18:19], v[20:21], v[15:16]
	v_fma_f64 v[13:14], -v[13:14], v[18:19], v[20:21]
	v_div_fmas_f64 v[13:14], v[13:14], v[15:16], v[18:19]
	v_div_fixup_f64 v[13:14], v[13:14], v[11:12], 1.0
.LBB30_51:
	s_or_b64 exec, exec, s[12:13]
	s_andn2_b64 s[10:11], s[10:11], exec
	s_and_b64 s[2:3], s[2:3], exec
	s_or_b64 s[10:11], s[10:11], s[2:3]
                                        ; implicit-def: $vgpr11_vgpr12
.LBB30_52:
	s_or_saveexec_b64 s[2:3], s[8:9]
	v_add_u32_e32 v15, v1, v17
	v_lshl_add_u32 v1, v1, 6, v0
	s_xor_b64 exec, exec, s[2:3]
	s_cbranch_execz .LBB30_54
; %bb.53:
	v_lshlrev_b64 v[11:12], 3, v[11:12]
	v_mov_b32_e32 v13, s90
	v_add_co_u32_e32 v11, vcc, s89, v11
	v_addc_co_u32_e32 v12, vcc, v13, v12, vcc
	global_load_dwordx2 v[13:14], v[11:12], off
	s_or_b64 s[10:11], s[10:11], exec
	s_waitcnt vmcnt(0)
	v_xor_b32_e32 v14, 0x80000000, v14
.LBB30_54:
	s_or_b64 exec, exec, s[2:3]
	v_cndmask_b32_e64 v1, v1, v15, s[0:1]
.LBB30_55:
	s_xor_b64 s[0:1], s[0:1], -1
	s_and_saveexec_b64 s[2:3], s[10:11]
; %bb.56:
	v_lshlrev_b32_e32 v1, 3, v1
	ds_write_b64 v1, v[13:14]
; %bb.57:
	s_or_b64 exec, exec, s[2:3]
	v_cndmask_b32_e64 v1, 0, 1, s[0:1]
	v_cmp_ne_u32_e64 s[58:59], 1, v1
	s_andn2_b64 vcc, exec, s[0:1]
	s_waitcnt vmcnt(0) lgkmcnt(0)
	s_barrier
	s_cbranch_vccnz .LBB30_987
; %bb.58:
	v_or_b32_e32 v1, v0, v2
	v_cmp_eq_u32_e32 vcc, 0, v1
	s_and_saveexec_b64 s[0:1], vcc
	s_cbranch_execz .LBB30_60
; %bb.59:
	v_mov_b32_e32 v1, 0
	ds_read_b128 v[11:14], v1 offset:32752
	ds_read_b64 v[15:16], v1 offset:32240
	s_movk_i32 s2, 0x7800
	v_add_u32_e64 v1, s2, 0
	s_waitcnt lgkmcnt(0)
	v_mul_f64 v[13:14], v[15:16], v[13:14]
	v_mul_f64 v[11:12], v[11:12], v[13:14]
	ds_write2_b64 v1, v[11:12], v[11:12] offset0:191 offset1:254
.LBB30_60:
	s_or_b64 exec, exec, s[0:1]
	v_lshlrev_b32_e32 v11, 6, v2
	v_add_u32_e32 v15, v11, v0
	v_and_b32_e32 v12, v11, v0
	v_xor_b32_e32 v11, v11, v0
	v_lshrrev_b16_e32 v11, 1, v11
	v_add_u16_e32 v14, v12, v11
	v_mov_b32_e32 v11, 0
	v_and_b32_e32 v1, 1, v0
	v_sub_u32_e32 v13, 1, v14
	v_cmp_lt_u32_e64 s[8:9], 3, v15
	v_mov_b32_e32 v12, 0
	v_cmp_gt_u32_e64 s[2:3], 4, v15
	s_waitcnt lgkmcnt(0)
	s_barrier
	buffer_wbinvl1_vol
	s_and_saveexec_b64 s[0:1], s[2:3]
	s_cbranch_execz .LBB30_64
; %bb.61:
	v_lshlrev_b32_e32 v16, 9, v13
	v_lshlrev_b32_e32 v11, 3, v1
	ds_read_b64 v[11:12], v11 offset:32224
	ds_read_b64 v[16:17], v16 offset:32240
	v_cmp_gt_u32_e64 s[10:11], 2, v15
	s_waitcnt lgkmcnt(0)
	v_fma_f64 v[11:12], v[11:12], v[16:17], 0
	s_and_saveexec_b64 s[12:13], s[10:11]
	s_cbranch_execz .LBB30_63
; %bb.62:
	v_lshlrev_b32_e32 v16, 3, v0
	v_mov_b32_e32 v18, 0
	ds_read_b64 v[16:17], v16 offset:32736
	ds_read_b64 v[18:19], v18 offset:32760
	s_waitcnt lgkmcnt(0)
	v_fma_f64 v[11:12], v[16:17], v[18:19], v[11:12]
.LBB30_63:
	s_or_b64 exec, exec, s[12:13]
.LBB30_64:
	s_or_b64 exec, exec, s[0:1]
	v_mov_b32_e32 v16, 0x8000
	v_cmp_ne_u32_e64 s[10:11], 0, v1
	s_xor_b64 s[0:1], s[8:9], -1
	v_lshl_add_u32 v14, v14, 3, v16
	s_and_b64 s[30:31], s[10:11], s[0:1]
	s_and_saveexec_b64 s[8:9], s[30:31]
	s_cbranch_execz .LBB30_66
; %bb.65:
	v_mov_b32_e32 v16, 0
	ds_read_b64 v[16:17], v16 offset:31720
	s_waitcnt lgkmcnt(0)
	v_mul_f64 v[11:12], v[11:12], v[16:17]
	v_xor_b32_e32 v17, 0x80000000, v12
	v_mov_b32_e32 v16, v11
	ds_write_b64 v14, v[16:17]
.LBB30_66:
	s_or_b64 exec, exec, s[8:9]
	v_cmp_eq_u32_e64 s[8:9], 0, v1
	s_and_b64 s[28:29], s[8:9], s[0:1]
	s_waitcnt lgkmcnt(0)
	s_barrier
	s_and_saveexec_b64 s[0:1], s[28:29]
	s_cbranch_execz .LBB30_68
; %bb.67:
	v_mov_b32_e32 v16, 0
	ds_read_b64 v[16:17], v16 offset:31712
	ds_read_b64 v[18:19], v14
	s_waitcnt lgkmcnt(0)
	v_fma_f64 v[11:12], -v[16:17], v[18:19], v[11:12]
.LBB30_68:
	s_or_b64 exec, exec, s[0:1]
	s_barrier
	s_and_saveexec_b64 s[0:1], s[28:29]
	s_cbranch_execz .LBB30_70
; %bb.69:
	v_mov_b32_e32 v16, 0
	ds_read_b64 v[16:17], v16 offset:31200
	s_waitcnt lgkmcnt(0)
	v_mul_f64 v[11:12], v[11:12], v[16:17]
	v_xor_b32_e32 v17, 0x80000000, v12
	v_mov_b32_e32 v16, v11
	ds_write_b64 v14, v[16:17]
.LBB30_70:
	s_or_b64 exec, exec, s[0:1]
	s_waitcnt lgkmcnt(0)
	s_barrier
	s_barrier
	s_and_saveexec_b64 s[0:1], s[2:3]
; %bb.71:
	v_lshlrev_b32_e32 v16, 3, v1
	v_lshl_or_b32 v16, v13, 9, v16
	ds_write_b64 v16, v[11:12] offset:32224
; %bb.72:
	s_or_b64 exec, exec, s[0:1]
	v_cmp_eq_u32_e64 s[12:13], 0, v2
	v_cmp_gt_u32_e64 s[8:9], 2, v0
	s_and_b64 s[34:35], s[12:13], s[8:9]
	s_waitcnt lgkmcnt(0)
	s_barrier
	s_barrier
	s_and_saveexec_b64 s[0:1], s[34:35]
	s_cbranch_execz .LBB30_74
; %bb.73:
	v_lshlrev_b32_e32 v16, 3, v0
	s_movk_i32 s8, 0x1f8
	v_mad_u32_u24 v17, v0, s8, v16
	ds_read_b64 v[11:12], v17 offset:32224
	s_waitcnt lgkmcnt(0)
	ds_write_b64 v16, v[11:12] offset:31216
	ds_read_b64 v[11:12], v17 offset:32232
	s_waitcnt lgkmcnt(0)
	ds_write_b64 v16, v[11:12] offset:31728
.LBB30_74:
	s_or_b64 exec, exec, s[0:1]
	s_waitcnt lgkmcnt(0)
	s_barrier
	s_and_saveexec_b64 s[0:1], vcc
	s_cbranch_execz .LBB30_76
; %bb.75:
	v_mov_b32_e32 v11, 0
	ds_read_b128 v[16:19], v11 offset:31712
	ds_read_b64 v[11:12], v11 offset:31200
	s_movk_i32 s8, 0x7800
	s_waitcnt lgkmcnt(0)
	v_mul_f64 v[11:12], v[11:12], v[18:19]
	v_mul_f64 v[11:12], v[16:17], v[11:12]
	v_add_u32_e64 v16, s8, 0
	ds_write2_b64 v16, v[11:12], v[11:12] offset0:61 offset1:124
.LBB30_76:
	s_or_b64 exec, exec, s[0:1]
	v_lshrrev_b32_e32 v18, 2, v15
	v_mov_b32_e32 v11, 0
	v_and_b32_e32 v16, 3, v0
	v_sub_u32_e32 v17, 3, v18
	v_cmp_lt_u32_e64 s[8:9], 15, v15
	v_mov_b32_e32 v12, 0
	v_cmp_gt_u32_e64 s[18:19], 16, v15
	s_waitcnt lgkmcnt(0)
	s_barrier
	buffer_wbinvl1_vol
	s_and_saveexec_b64 s[0:1], s[18:19]
	s_cbranch_execz .LBB30_82
; %bb.77:
	v_lshlrev_b32_e32 v20, 3, v16
	v_lshlrev_b32_e32 v19, 9, v17
	ds_read_b64 v[11:12], v20 offset:31168
	ds_read_b64 v[21:22], v19 offset:31200
	v_cmp_gt_u32_e64 s[10:11], 12, v15
	s_waitcnt lgkmcnt(0)
	v_fma_f64 v[11:12], v[11:12], v[21:22], 0
	s_and_saveexec_b64 s[14:15], s[10:11]
	s_cbranch_execnz .LBB30_1098
; %bb.78:
	s_or_b64 exec, exec, s[14:15]
	v_cmp_gt_u32_e64 s[10:11], 8, v15
	s_and_saveexec_b64 s[14:15], s[10:11]
	s_cbranch_execnz .LBB30_1099
.LBB30_79:
	s_or_b64 exec, exec, s[14:15]
	v_cmp_gt_u32_e64 s[10:11], 4, v15
	s_and_saveexec_b64 s[14:15], s[10:11]
	s_cbranch_execz .LBB30_81
.LBB30_80:
	v_lshlrev_b32_e32 v19, 3, v0
	v_mov_b32_e32 v21, 0
	ds_read_b64 v[19:20], v19 offset:32704
	ds_read_b64 v[21:22], v21 offset:32760
	s_waitcnt lgkmcnt(0)
	v_fma_f64 v[11:12], v[19:20], v[21:22], v[11:12]
.LBB30_81:
	s_or_b64 exec, exec, s[14:15]
.LBB30_82:
                                        ; implicit-def: $vgpr36 : SGPR spill to VGPR lane
	v_writelane_b32 v36, s38, 0
	s_or_b64 exec, exec, s[0:1]
	v_mov_b32_e32 v19, 0x8000
	v_cmp_eq_u32_e64 s[10:11], 3, v16
	s_xor_b64 s[0:1], s[8:9], -1
	v_lshl_add_u32 v18, v18, 3, v19
	s_and_b64 s[38:39], s[10:11], s[0:1]
	s_and_saveexec_b64 s[8:9], s[38:39]
	s_cbranch_execz .LBB30_84
; %bb.83:
	v_mov_b32_e32 v19, 0
	ds_read_b64 v[19:20], v19 offset:30680
	s_waitcnt lgkmcnt(0)
	v_mul_f64 v[11:12], v[11:12], v[19:20]
	v_xor_b32_e32 v20, 0x80000000, v12
	v_mov_b32_e32 v19, v11
	ds_write_b64 v18, v[19:20]
.LBB30_84:
	s_or_b64 exec, exec, s[8:9]
	v_cmp_ne_u32_e64 s[8:9], 3, v16
	s_and_b64 s[42:43], s[8:9], s[0:1]
	s_waitcnt lgkmcnt(0)
	s_barrier
	s_and_saveexec_b64 s[8:9], s[42:43]
	s_cbranch_execz .LBB30_86
; %bb.85:
	v_lshlrev_b32_e32 v19, 3, v16
	ds_read_b64 v[19:20], v19 offset:30656
	ds_read_b64 v[21:22], v18
	s_waitcnt lgkmcnt(0)
	v_fma_f64 v[11:12], -v[19:20], v[21:22], v[11:12]
.LBB30_86:
	s_or_b64 exec, exec, s[8:9]
	v_cmp_eq_u32_e64 s[8:9], 2, v16
	s_and_b64 s[44:45], s[8:9], s[0:1]
	s_barrier
	s_and_saveexec_b64 s[8:9], s[44:45]
	s_cbranch_execz .LBB30_88
; %bb.87:
	v_mov_b32_e32 v19, 0
	ds_read_b64 v[19:20], v19 offset:30160
	s_waitcnt lgkmcnt(0)
	v_mul_f64 v[11:12], v[11:12], v[19:20]
	v_xor_b32_e32 v20, 0x80000000, v12
	v_mov_b32_e32 v19, v11
	ds_write_b64 v18, v[19:20]
.LBB30_88:
	s_or_b64 exec, exec, s[8:9]
	v_cmp_gt_u32_e64 s[8:9], 2, v16
	s_and_b64 s[52:53], s[8:9], s[0:1]
	s_waitcnt lgkmcnt(0)
	s_barrier
	s_and_saveexec_b64 s[8:9], s[52:53]
	s_cbranch_execz .LBB30_90
; %bb.89:
	v_lshlrev_b32_e32 v19, 3, v16
	ds_read_b64 v[19:20], v19 offset:30144
	ds_read_b64 v[21:22], v18
	s_waitcnt lgkmcnt(0)
	v_fma_f64 v[11:12], -v[19:20], v[21:22], v[11:12]
.LBB30_90:
	s_or_b64 exec, exec, s[8:9]
	v_cmp_eq_u32_e64 s[8:9], 1, v16
	s_and_b64 s[54:55], s[8:9], s[0:1]
	s_barrier
	s_and_saveexec_b64 s[8:9], s[54:55]
	s_cbranch_execz .LBB30_92
; %bb.91:
	v_mov_b32_e32 v19, 0
	ds_read_b64 v[19:20], v19 offset:29640
	s_waitcnt lgkmcnt(0)
	v_mul_f64 v[11:12], v[11:12], v[19:20]
	v_xor_b32_e32 v20, 0x80000000, v12
	v_mov_b32_e32 v19, v11
	ds_write_b64 v18, v[19:20]
.LBB30_92:
	s_or_b64 exec, exec, s[8:9]
	v_cmp_eq_u32_e64 s[8:9], 0, v16
	s_and_b64 s[36:37], s[8:9], s[0:1]
	s_waitcnt lgkmcnt(0)
	s_barrier
	s_and_saveexec_b64 s[0:1], s[36:37]
	s_cbranch_execz .LBB30_94
; %bb.93:
	v_mov_b32_e32 v19, 0
	ds_read_b64 v[19:20], v19 offset:29632
	ds_read_b64 v[21:22], v18
	s_waitcnt lgkmcnt(0)
	v_fma_f64 v[11:12], -v[19:20], v[21:22], v[11:12]
.LBB30_94:
	s_or_b64 exec, exec, s[0:1]
	s_barrier
	s_and_saveexec_b64 s[0:1], s[36:37]
	s_cbranch_execz .LBB30_96
; %bb.95:
	v_mov_b32_e32 v19, 0
	ds_read_b64 v[19:20], v19 offset:29120
	s_waitcnt lgkmcnt(0)
	v_mul_f64 v[11:12], v[11:12], v[19:20]
	v_xor_b32_e32 v20, 0x80000000, v12
	v_mov_b32_e32 v19, v11
	ds_write_b64 v18, v[19:20]
.LBB30_96:
	s_or_b64 exec, exec, s[0:1]
	s_waitcnt lgkmcnt(0)
	s_barrier
	s_barrier
	s_and_saveexec_b64 s[0:1], s[18:19]
; %bb.97:
	v_lshlrev_b32_e32 v19, 3, v16
	v_lshl_or_b32 v19, v17, 9, v19
	ds_write_b64 v19, v[11:12] offset:31168
; %bb.98:
	s_or_b64 exec, exec, s[0:1]
	v_cmp_gt_u32_e64 s[8:9], 4, v0
	s_and_b64 s[56:57], s[12:13], s[8:9]
	s_waitcnt lgkmcnt(0)
	s_barrier
	s_barrier
	s_and_saveexec_b64 s[0:1], s[56:57]
	s_cbranch_execz .LBB30_100
; %bb.99:
	v_lshlrev_b32_e32 v19, 9, v0
	ds_read_b64 v[11:12], v19 offset:31168
	s_movk_i32 s8, 0xfe08
	v_mad_i32_i24 v20, v0, s8, v19
	s_waitcnt lgkmcnt(0)
	ds_write_b64 v20, v[11:12] offset:29152
	ds_read_b64 v[11:12], v19 offset:31176
	s_waitcnt lgkmcnt(0)
	ds_write_b64 v20, v[11:12] offset:29664
	ds_read_b64 v[11:12], v19 offset:31184
	;; [unrolled: 3-line block ×3, first 2 shown]
	s_waitcnt lgkmcnt(0)
	ds_write_b64 v20, v[11:12] offset:30688
.LBB30_100:
	s_or_b64 exec, exec, s[0:1]
	s_waitcnt lgkmcnt(0)
	s_barrier
	s_and_saveexec_b64 s[0:1], vcc
	s_cbranch_execz .LBB30_102
; %bb.101:
	v_mov_b32_e32 v11, 0
	ds_read_b128 v[19:22], v11 offset:30672
	ds_read_b64 v[11:12], v11 offset:30160
	s_movk_i32 s8, 0x7000
	s_waitcnt lgkmcnt(0)
	v_mul_f64 v[11:12], v[11:12], v[21:22]
	v_mul_f64 v[11:12], v[19:20], v[11:12]
	v_add_u32_e64 v19, s8, 0
	ds_write2_b64 v19, v[11:12], v[11:12] offset0:187 offset1:250
.LBB30_102:
	s_or_b64 exec, exec, s[0:1]
	v_mov_b32_e32 v11, 0
	v_mov_b32_e32 v12, 0
	s_waitcnt lgkmcnt(0)
	s_barrier
	buffer_wbinvl1_vol
	s_and_saveexec_b64 s[0:1], s[2:3]
	s_cbranch_execz .LBB30_106
; %bb.103:
	v_lshlrev_b32_e32 v19, 9, v13
	v_lshlrev_b32_e32 v11, 3, v1
	ds_read_b64 v[11:12], v11 offset:30144
	ds_read_b64 v[19:20], v19 offset:30160
	v_cmp_gt_u32_e64 s[8:9], 2, v15
	s_waitcnt lgkmcnt(0)
	v_fma_f64 v[11:12], v[11:12], v[19:20], 0
	s_and_saveexec_b64 s[10:11], s[8:9]
	s_cbranch_execz .LBB30_105
; %bb.104:
	v_lshlrev_b32_e32 v19, 3, v0
	v_mov_b32_e32 v21, 0
	ds_read_b64 v[19:20], v19 offset:30656
	ds_read_b64 v[21:22], v21 offset:30680
	s_waitcnt lgkmcnt(0)
	v_fma_f64 v[11:12], v[19:20], v[21:22], v[11:12]
.LBB30_105:
	s_or_b64 exec, exec, s[10:11]
.LBB30_106:
	s_or_b64 exec, exec, s[0:1]
	s_and_saveexec_b64 s[0:1], s[30:31]
	s_cbranch_execz .LBB30_108
; %bb.107:
	v_mov_b32_e32 v19, 0
	ds_read_b64 v[19:20], v19 offset:29640
	s_waitcnt lgkmcnt(0)
	v_mul_f64 v[11:12], v[11:12], v[19:20]
	v_xor_b32_e32 v20, 0x80000000, v12
	v_mov_b32_e32 v19, v11
	ds_write_b64 v14, v[19:20]
.LBB30_108:
	s_or_b64 exec, exec, s[0:1]
	s_waitcnt lgkmcnt(0)
	s_barrier
	s_and_saveexec_b64 s[0:1], s[28:29]
	s_cbranch_execz .LBB30_110
; %bb.109:
	v_mov_b32_e32 v19, 0
	ds_read_b64 v[19:20], v19 offset:29632
	ds_read_b64 v[21:22], v14
	s_waitcnt lgkmcnt(0)
	v_fma_f64 v[11:12], -v[19:20], v[21:22], v[11:12]
.LBB30_110:
	s_or_b64 exec, exec, s[0:1]
	s_barrier
	s_and_saveexec_b64 s[0:1], s[28:29]
	s_cbranch_execz .LBB30_112
; %bb.111:
	v_mov_b32_e32 v19, 0
	ds_read_b64 v[19:20], v19 offset:29120
	s_waitcnt lgkmcnt(0)
	v_mul_f64 v[11:12], v[11:12], v[19:20]
	v_xor_b32_e32 v20, 0x80000000, v12
	v_mov_b32_e32 v19, v11
	ds_write_b64 v14, v[19:20]
.LBB30_112:
	s_or_b64 exec, exec, s[0:1]
	s_waitcnt lgkmcnt(0)
	s_barrier
	s_barrier
	s_and_saveexec_b64 s[0:1], s[2:3]
; %bb.113:
	v_lshlrev_b32_e32 v19, 3, v1
	v_lshl_or_b32 v19, v13, 9, v19
	ds_write_b64 v19, v[11:12] offset:30144
; %bb.114:
	s_or_b64 exec, exec, s[0:1]
	s_waitcnt lgkmcnt(0)
	s_barrier
	s_barrier
	s_and_saveexec_b64 s[0:1], s[34:35]
	s_cbranch_execz .LBB30_116
; %bb.115:
	v_lshlrev_b32_e32 v19, 3, v0
	s_movk_i32 s8, 0x1f8
	v_mad_u32_u24 v20, v0, s8, v19
	ds_read_b64 v[11:12], v20 offset:30144
	s_waitcnt lgkmcnt(0)
	ds_write_b64 v19, v[11:12] offset:29136
	ds_read_b64 v[11:12], v20 offset:30152
	s_waitcnt lgkmcnt(0)
	ds_write_b64 v19, v[11:12] offset:29648
.LBB30_116:
	s_or_b64 exec, exec, s[0:1]
	s_waitcnt lgkmcnt(0)
	s_barrier
	s_and_saveexec_b64 s[0:1], vcc
	s_cbranch_execz .LBB30_118
; %bb.117:
	v_mov_b32_e32 v11, 0
	ds_read_b128 v[19:22], v11 offset:29632
	ds_read_b64 v[11:12], v11 offset:29120
	s_movk_i32 s8, 0x7000
	s_waitcnt lgkmcnt(0)
	v_mul_f64 v[11:12], v[11:12], v[21:22]
	v_mul_f64 v[11:12], v[19:20], v[11:12]
	v_add_u32_e64 v19, s8, 0
	ds_write2_b64 v19, v[11:12], v[11:12] offset0:57 offset1:120
.LBB30_118:
	s_or_b64 exec, exec, s[0:1]
	v_lshrrev_b32_e32 v21, 3, v15
	v_mov_b32_e32 v11, 0
	v_and_b32_e32 v19, 7, v0
	v_sub_u32_e32 v20, 7, v21
	v_cmp_lt_u32_e64 s[10:11], 63, v15
	v_mov_b32_e32 v12, 0
	v_cmp_gt_u32_e64 s[8:9], 64, v15
	s_waitcnt lgkmcnt(0)
	s_barrier
	buffer_wbinvl1_vol
	s_and_saveexec_b64 s[0:1], s[8:9]
	s_cbranch_execz .LBB30_128
; %bb.119:
	v_lshlrev_b32_e32 v23, 3, v19
	v_lshlrev_b32_e32 v22, 9, v20
	ds_read_b64 v[11:12], v23 offset:29056
	ds_read_b64 v[24:25], v22 offset:29120
	v_cmp_gt_u32_e64 s[14:15], 56, v15
	s_waitcnt lgkmcnt(0)
	v_fma_f64 v[11:12], v[11:12], v[24:25], 0
	s_and_saveexec_b64 s[16:17], s[14:15]
	s_cbranch_execnz .LBB30_1100
; %bb.120:
	s_or_b64 exec, exec, s[16:17]
	v_cmp_gt_u32_e64 s[14:15], 48, v15
	s_and_saveexec_b64 s[16:17], s[14:15]
	s_cbranch_execnz .LBB30_1101
.LBB30_121:
	s_or_b64 exec, exec, s[16:17]
	v_cmp_gt_u32_e64 s[14:15], 40, v15
	s_and_saveexec_b64 s[16:17], s[14:15]
	s_cbranch_execnz .LBB30_1102
.LBB30_122:
	s_or_b64 exec, exec, s[16:17]
	v_cmp_gt_u32_e64 s[14:15], 32, v15
	s_and_saveexec_b64 s[16:17], s[14:15]
	s_cbranch_execnz .LBB30_1103
.LBB30_123:
	s_or_b64 exec, exec, s[16:17]
	v_cmp_gt_u32_e64 s[14:15], 24, v15
	s_and_saveexec_b64 s[16:17], s[14:15]
	s_cbranch_execnz .LBB30_1104
.LBB30_124:
	s_or_b64 exec, exec, s[16:17]
	s_and_saveexec_b64 s[14:15], s[18:19]
	s_cbranch_execnz .LBB30_1105
.LBB30_125:
	s_or_b64 exec, exec, s[14:15]
	v_cmp_gt_u32_e64 s[14:15], 8, v15
	s_and_saveexec_b64 s[16:17], s[14:15]
	s_cbranch_execz .LBB30_127
.LBB30_126:
	v_lshlrev_b32_e32 v22, 3, v0
	v_mov_b32_e32 v24, 0
	ds_read_b64 v[22:23], v22 offset:32640
	ds_read_b64 v[24:25], v24 offset:32760
	s_waitcnt lgkmcnt(0)
	v_fma_f64 v[11:12], v[22:23], v[24:25], v[11:12]
.LBB30_127:
	s_or_b64 exec, exec, s[16:17]
.LBB30_128:
	v_writelane_b32 v36, s58, 1
	v_writelane_b32 v36, s59, 2
	;; [unrolled: 1-line block ×4, first 2 shown]
	s_or_b64 exec, exec, s[0:1]
	v_mov_b32_e32 v22, 0x8000
	v_cmp_eq_u32_e64 s[14:15], 7, v19
	s_xor_b64 s[0:1], s[10:11], -1
	v_lshl_add_u32 v21, v21, 3, v22
	s_and_b64 s[58:59], s[14:15], s[0:1]
	s_and_saveexec_b64 s[10:11], s[58:59]
	s_cbranch_execz .LBB30_130
; %bb.129:
	v_mov_b32_e32 v22, 0
	ds_read_b64 v[22:23], v22 offset:28600
	s_waitcnt lgkmcnt(0)
	v_mul_f64 v[11:12], v[11:12], v[22:23]
	v_xor_b32_e32 v23, 0x80000000, v12
	v_mov_b32_e32 v22, v11
	ds_write_b64 v21, v[22:23]
.LBB30_130:
	s_or_b64 exec, exec, s[10:11]
	v_cmp_ne_u32_e64 s[10:11], 7, v19
	s_and_b64 s[60:61], s[10:11], s[0:1]
	s_waitcnt lgkmcnt(0)
	s_barrier
	s_and_saveexec_b64 s[10:11], s[60:61]
	s_cbranch_execz .LBB30_132
; %bb.131:
	v_lshlrev_b32_e32 v22, 3, v19
	ds_read_b64 v[22:23], v22 offset:28544
	ds_read_b64 v[24:25], v21
	s_waitcnt lgkmcnt(0)
	v_fma_f64 v[11:12], -v[22:23], v[24:25], v[11:12]
.LBB30_132:
	s_or_b64 exec, exec, s[10:11]
	v_cmp_eq_u32_e64 s[10:11], 6, v19
	s_and_b64 s[62:63], s[10:11], s[0:1]
	s_barrier
	s_and_saveexec_b64 s[10:11], s[62:63]
	s_cbranch_execz .LBB30_134
; %bb.133:
	v_mov_b32_e32 v22, 0
	ds_read_b64 v[22:23], v22 offset:28080
	s_waitcnt lgkmcnt(0)
	v_mul_f64 v[11:12], v[11:12], v[22:23]
	v_xor_b32_e32 v23, 0x80000000, v12
	v_mov_b32_e32 v22, v11
	ds_write_b64 v21, v[22:23]
.LBB30_134:
	s_or_b64 exec, exec, s[10:11]
	v_cmp_gt_u32_e64 s[10:11], 6, v19
	s_and_b64 s[64:65], s[10:11], s[0:1]
	s_waitcnt lgkmcnt(0)
	s_barrier
	s_and_saveexec_b64 s[10:11], s[64:65]
	s_cbranch_execz .LBB30_136
; %bb.135:
	v_lshlrev_b32_e32 v22, 3, v19
	ds_read_b64 v[22:23], v22 offset:28032
	ds_read_b64 v[24:25], v21
	s_waitcnt lgkmcnt(0)
	v_fma_f64 v[11:12], -v[22:23], v[24:25], v[11:12]
.LBB30_136:
	s_or_b64 exec, exec, s[10:11]
	v_cmp_eq_u32_e64 s[10:11], 5, v19
	s_and_b64 s[66:67], s[10:11], s[0:1]
	s_barrier
	s_and_saveexec_b64 s[10:11], s[66:67]
	s_cbranch_execz .LBB30_138
; %bb.137:
	v_mov_b32_e32 v22, 0
	ds_read_b64 v[22:23], v22 offset:27560
	s_waitcnt lgkmcnt(0)
	v_mul_f64 v[11:12], v[11:12], v[22:23]
	v_xor_b32_e32 v23, 0x80000000, v12
	v_mov_b32_e32 v22, v11
	ds_write_b64 v21, v[22:23]
.LBB30_138:
	s_or_b64 exec, exec, s[10:11]
	v_cmp_gt_u32_e64 s[10:11], 5, v19
	;; [unrolled: 29-line block ×5, first 2 shown]
	s_and_b64 s[82:83], s[10:11], s[0:1]
	s_waitcnt lgkmcnt(0)
	s_barrier
	s_and_saveexec_b64 s[10:11], s[82:83]
	s_cbranch_execz .LBB30_152
; %bb.151:
	v_lshlrev_b32_e32 v22, 3, v19
	ds_read_b64 v[22:23], v22 offset:25984
	ds_read_b64 v[24:25], v21
	s_waitcnt lgkmcnt(0)
	v_fma_f64 v[11:12], -v[22:23], v[24:25], v[11:12]
.LBB30_152:
	s_or_b64 exec, exec, s[10:11]
	v_cmp_eq_u32_e64 s[10:11], 1, v19
	s_and_b64 s[84:85], s[10:11], s[0:1]
	s_barrier
	s_and_saveexec_b64 s[10:11], s[84:85]
	s_cbranch_execz .LBB30_154
; %bb.153:
	v_mov_b32_e32 v22, 0
	ds_read_b64 v[22:23], v22 offset:25480
	s_waitcnt lgkmcnt(0)
	v_mul_f64 v[11:12], v[11:12], v[22:23]
	v_xor_b32_e32 v23, 0x80000000, v12
	v_mov_b32_e32 v22, v11
	ds_write_b64 v21, v[22:23]
.LBB30_154:
	s_or_b64 exec, exec, s[10:11]
	v_cmp_eq_u32_e64 s[10:11], 0, v19
	s_and_b64 s[68:69], s[10:11], s[0:1]
	s_waitcnt lgkmcnt(0)
	s_barrier
	s_and_saveexec_b64 s[0:1], s[68:69]
	s_cbranch_execz .LBB30_156
; %bb.155:
	v_mov_b32_e32 v22, 0
	ds_read_b64 v[22:23], v22 offset:25472
	ds_read_b64 v[24:25], v21
	s_waitcnt lgkmcnt(0)
	v_fma_f64 v[11:12], -v[22:23], v[24:25], v[11:12]
.LBB30_156:
	s_or_b64 exec, exec, s[0:1]
	s_barrier
	s_and_saveexec_b64 s[0:1], s[68:69]
	s_cbranch_execz .LBB30_158
; %bb.157:
	v_mov_b32_e32 v22, 0
	ds_read_b64 v[22:23], v22 offset:24960
	s_waitcnt lgkmcnt(0)
	v_mul_f64 v[11:12], v[11:12], v[22:23]
	v_xor_b32_e32 v23, 0x80000000, v12
	v_mov_b32_e32 v22, v11
	ds_write_b64 v21, v[22:23]
.LBB30_158:
	s_or_b64 exec, exec, s[0:1]
	s_waitcnt lgkmcnt(0)
	s_barrier
	s_barrier
	s_and_saveexec_b64 s[0:1], s[8:9]
; %bb.159:
	v_lshlrev_b32_e32 v22, 3, v19
	v_lshl_or_b32 v22, v20, 9, v22
	ds_write_b64 v22, v[11:12] offset:29056
; %bb.160:
	s_or_b64 exec, exec, s[0:1]
	v_cmp_gt_u32_e64 s[10:11], 8, v0
	s_and_b64 s[86:87], s[12:13], s[10:11]
	s_waitcnt lgkmcnt(0)
	s_barrier
	s_barrier
	s_and_saveexec_b64 s[0:1], s[86:87]
	s_cbranch_execz .LBB30_162
; %bb.161:
	v_lshlrev_b32_e32 v22, 9, v0
	ds_read_b64 v[11:12], v22 offset:29056
	s_movk_i32 s10, 0xfe08
	v_mad_i32_i24 v23, v0, s10, v22
	s_waitcnt lgkmcnt(0)
	ds_write_b64 v23, v[11:12] offset:25024
	ds_read_b64 v[11:12], v22 offset:29064
	s_waitcnt lgkmcnt(0)
	ds_write_b64 v23, v[11:12] offset:25536
	ds_read_b64 v[11:12], v22 offset:29072
	;; [unrolled: 3-line block ×7, first 2 shown]
	s_waitcnt lgkmcnt(0)
	ds_write_b64 v23, v[11:12] offset:28608
.LBB30_162:
	s_or_b64 exec, exec, s[0:1]
	s_waitcnt lgkmcnt(0)
	s_barrier
	s_and_saveexec_b64 s[0:1], vcc
	s_cbranch_execz .LBB30_164
; %bb.163:
	v_mov_b32_e32 v11, 0
	ds_read_b128 v[22:25], v11 offset:28592
	ds_read_b64 v[11:12], v11 offset:28080
	s_movk_i32 s10, 0x6800
	s_waitcnt lgkmcnt(0)
	v_mul_f64 v[11:12], v[11:12], v[24:25]
	v_mul_f64 v[11:12], v[22:23], v[11:12]
	v_add_u32_e64 v22, s10, 0
	ds_write2_b64 v22, v[11:12], v[11:12] offset0:183 offset1:246
.LBB30_164:
	s_or_b64 exec, exec, s[0:1]
	v_mov_b32_e32 v11, 0
	v_mov_b32_e32 v12, 0
	s_waitcnt lgkmcnt(0)
	s_barrier
	buffer_wbinvl1_vol
	s_and_saveexec_b64 s[0:1], s[2:3]
	s_cbranch_execz .LBB30_168
; %bb.165:
	v_lshlrev_b32_e32 v22, 9, v13
	v_lshlrev_b32_e32 v11, 3, v1
	ds_read_b64 v[11:12], v11 offset:28064
	ds_read_b64 v[22:23], v22 offset:28080
	v_cmp_gt_u32_e64 s[10:11], 2, v15
	s_waitcnt lgkmcnt(0)
	v_fma_f64 v[11:12], v[11:12], v[22:23], 0
	s_and_saveexec_b64 s[14:15], s[10:11]
	s_cbranch_execz .LBB30_167
; %bb.166:
	v_lshlrev_b32_e32 v22, 3, v0
	v_mov_b32_e32 v24, 0
	ds_read_b64 v[22:23], v22 offset:28576
	ds_read_b64 v[24:25], v24 offset:28600
	s_waitcnt lgkmcnt(0)
	v_fma_f64 v[11:12], v[22:23], v[24:25], v[11:12]
.LBB30_167:
	s_or_b64 exec, exec, s[14:15]
.LBB30_168:
	s_or_b64 exec, exec, s[0:1]
	s_and_saveexec_b64 s[0:1], s[30:31]
	s_cbranch_execz .LBB30_170
; %bb.169:
	v_mov_b32_e32 v22, 0
	ds_read_b64 v[22:23], v22 offset:27560
	s_waitcnt lgkmcnt(0)
	v_mul_f64 v[11:12], v[11:12], v[22:23]
	v_xor_b32_e32 v23, 0x80000000, v12
	v_mov_b32_e32 v22, v11
	ds_write_b64 v14, v[22:23]
.LBB30_170:
	s_or_b64 exec, exec, s[0:1]
	s_waitcnt lgkmcnt(0)
	s_barrier
	s_and_saveexec_b64 s[0:1], s[28:29]
	s_cbranch_execz .LBB30_172
; %bb.171:
	v_mov_b32_e32 v22, 0
	ds_read_b64 v[22:23], v22 offset:27552
	ds_read_b64 v[24:25], v14
	s_waitcnt lgkmcnt(0)
	v_fma_f64 v[11:12], -v[22:23], v[24:25], v[11:12]
.LBB30_172:
	s_or_b64 exec, exec, s[0:1]
	s_barrier
	s_and_saveexec_b64 s[0:1], s[28:29]
	s_cbranch_execz .LBB30_174
; %bb.173:
	v_mov_b32_e32 v22, 0
	ds_read_b64 v[22:23], v22 offset:27040
	s_waitcnt lgkmcnt(0)
	v_mul_f64 v[11:12], v[11:12], v[22:23]
	v_xor_b32_e32 v23, 0x80000000, v12
	v_mov_b32_e32 v22, v11
	ds_write_b64 v14, v[22:23]
.LBB30_174:
	s_or_b64 exec, exec, s[0:1]
	s_waitcnt lgkmcnt(0)
	s_barrier
	s_barrier
	s_and_saveexec_b64 s[0:1], s[2:3]
; %bb.175:
	v_lshlrev_b32_e32 v22, 3, v1
	v_lshl_or_b32 v22, v13, 9, v22
	ds_write_b64 v22, v[11:12] offset:28064
; %bb.176:
	s_or_b64 exec, exec, s[0:1]
	s_waitcnt lgkmcnt(0)
	s_barrier
	s_barrier
	s_and_saveexec_b64 s[0:1], s[34:35]
	s_cbranch_execz .LBB30_178
; %bb.177:
	v_lshlrev_b32_e32 v22, 3, v0
	s_movk_i32 s10, 0x1f8
	v_mad_u32_u24 v23, v0, s10, v22
	ds_read_b64 v[11:12], v23 offset:28064
	s_waitcnt lgkmcnt(0)
	ds_write_b64 v22, v[11:12] offset:27056
	ds_read_b64 v[11:12], v23 offset:28072
	s_waitcnt lgkmcnt(0)
	ds_write_b64 v22, v[11:12] offset:27568
.LBB30_178:
	s_or_b64 exec, exec, s[0:1]
	s_waitcnt lgkmcnt(0)
	s_barrier
	s_and_saveexec_b64 s[0:1], vcc
	s_cbranch_execz .LBB30_180
; %bb.179:
	v_mov_b32_e32 v11, 0
	ds_read_b128 v[22:25], v11 offset:27552
	ds_read_b64 v[11:12], v11 offset:27040
	s_movk_i32 s10, 0x6800
	s_waitcnt lgkmcnt(0)
	v_mul_f64 v[11:12], v[11:12], v[24:25]
	v_mul_f64 v[11:12], v[22:23], v[11:12]
	v_add_u32_e64 v22, s10, 0
	ds_write2_b64 v22, v[11:12], v[11:12] offset0:53 offset1:116
.LBB30_180:
	s_or_b64 exec, exec, s[0:1]
	v_mov_b32_e32 v11, 0
	v_mov_b32_e32 v12, 0
	s_waitcnt lgkmcnt(0)
	s_barrier
	buffer_wbinvl1_vol
	s_and_saveexec_b64 s[0:1], s[18:19]
	s_cbranch_execz .LBB30_186
; %bb.181:
	v_lshlrev_b32_e32 v23, 3, v16
	v_lshlrev_b32_e32 v22, 9, v17
	ds_read_b64 v[11:12], v23 offset:27008
	ds_read_b64 v[24:25], v22 offset:27040
	v_cmp_gt_u32_e64 s[10:11], 12, v15
	s_waitcnt lgkmcnt(0)
	v_fma_f64 v[11:12], v[11:12], v[24:25], 0
	s_and_saveexec_b64 s[14:15], s[10:11]
	s_cbranch_execnz .LBB30_1106
; %bb.182:
	s_or_b64 exec, exec, s[14:15]
	v_cmp_gt_u32_e64 s[10:11], 8, v15
	s_and_saveexec_b64 s[14:15], s[10:11]
	s_cbranch_execnz .LBB30_1107
.LBB30_183:
	s_or_b64 exec, exec, s[14:15]
	v_cmp_gt_u32_e64 s[10:11], 4, v15
	s_and_saveexec_b64 s[14:15], s[10:11]
	s_cbranch_execz .LBB30_185
.LBB30_184:
	v_lshlrev_b32_e32 v22, 3, v0
	v_mov_b32_e32 v24, 0
	ds_read_b64 v[22:23], v22 offset:28544
	ds_read_b64 v[24:25], v24 offset:28600
	s_waitcnt lgkmcnt(0)
	v_fma_f64 v[11:12], v[22:23], v[24:25], v[11:12]
.LBB30_185:
	s_or_b64 exec, exec, s[14:15]
.LBB30_186:
	s_or_b64 exec, exec, s[0:1]
	s_and_saveexec_b64 s[0:1], s[38:39]
	s_cbranch_execz .LBB30_188
; %bb.187:
	v_mov_b32_e32 v22, 0
	ds_read_b64 v[22:23], v22 offset:26520
	s_waitcnt lgkmcnt(0)
	v_mul_f64 v[11:12], v[11:12], v[22:23]
	v_xor_b32_e32 v23, 0x80000000, v12
	v_mov_b32_e32 v22, v11
	ds_write_b64 v18, v[22:23]
.LBB30_188:
	s_or_b64 exec, exec, s[0:1]
	s_waitcnt lgkmcnt(0)
	s_barrier
	s_and_saveexec_b64 s[0:1], s[42:43]
	s_cbranch_execz .LBB30_190
; %bb.189:
	v_lshlrev_b32_e32 v22, 3, v16
	ds_read_b64 v[22:23], v22 offset:26496
	ds_read_b64 v[24:25], v18
	s_waitcnt lgkmcnt(0)
	v_fma_f64 v[11:12], -v[22:23], v[24:25], v[11:12]
.LBB30_190:
	s_or_b64 exec, exec, s[0:1]
	s_barrier
	s_and_saveexec_b64 s[0:1], s[44:45]
	s_cbranch_execz .LBB30_192
; %bb.191:
	v_mov_b32_e32 v22, 0
	ds_read_b64 v[22:23], v22 offset:26000
	s_waitcnt lgkmcnt(0)
	v_mul_f64 v[11:12], v[11:12], v[22:23]
	v_xor_b32_e32 v23, 0x80000000, v12
	v_mov_b32_e32 v22, v11
	ds_write_b64 v18, v[22:23]
.LBB30_192:
	s_or_b64 exec, exec, s[0:1]
	s_waitcnt lgkmcnt(0)
	s_barrier
	s_and_saveexec_b64 s[0:1], s[52:53]
	s_cbranch_execz .LBB30_194
; %bb.193:
	v_lshlrev_b32_e32 v22, 3, v16
	ds_read_b64 v[22:23], v22 offset:25984
	ds_read_b64 v[24:25], v18
	s_waitcnt lgkmcnt(0)
	v_fma_f64 v[11:12], -v[22:23], v[24:25], v[11:12]
.LBB30_194:
	s_or_b64 exec, exec, s[0:1]
	s_barrier
	s_and_saveexec_b64 s[0:1], s[54:55]
	s_cbranch_execz .LBB30_196
; %bb.195:
	v_mov_b32_e32 v22, 0
	ds_read_b64 v[22:23], v22 offset:25480
	s_waitcnt lgkmcnt(0)
	v_mul_f64 v[11:12], v[11:12], v[22:23]
	v_xor_b32_e32 v23, 0x80000000, v12
	v_mov_b32_e32 v22, v11
	ds_write_b64 v18, v[22:23]
.LBB30_196:
	s_or_b64 exec, exec, s[0:1]
	s_waitcnt lgkmcnt(0)
	s_barrier
	s_and_saveexec_b64 s[0:1], s[36:37]
	s_cbranch_execz .LBB30_198
; %bb.197:
	v_mov_b32_e32 v22, 0
	ds_read_b64 v[22:23], v22 offset:25472
	ds_read_b64 v[24:25], v18
	s_waitcnt lgkmcnt(0)
	v_fma_f64 v[11:12], -v[22:23], v[24:25], v[11:12]
.LBB30_198:
	s_or_b64 exec, exec, s[0:1]
	s_barrier
	s_and_saveexec_b64 s[0:1], s[36:37]
	s_cbranch_execz .LBB30_200
; %bb.199:
	v_mov_b32_e32 v22, 0
	ds_read_b64 v[22:23], v22 offset:24960
	s_waitcnt lgkmcnt(0)
	v_mul_f64 v[11:12], v[11:12], v[22:23]
	v_xor_b32_e32 v23, 0x80000000, v12
	v_mov_b32_e32 v22, v11
	ds_write_b64 v18, v[22:23]
.LBB30_200:
	s_or_b64 exec, exec, s[0:1]
	s_waitcnt lgkmcnt(0)
	s_barrier
	s_barrier
	s_and_saveexec_b64 s[0:1], s[18:19]
; %bb.201:
	v_lshlrev_b32_e32 v22, 3, v16
	v_lshl_or_b32 v22, v17, 9, v22
	ds_write_b64 v22, v[11:12] offset:27008
; %bb.202:
	s_or_b64 exec, exec, s[0:1]
	s_waitcnt lgkmcnt(0)
	s_barrier
	s_barrier
	s_and_saveexec_b64 s[0:1], s[56:57]
	s_cbranch_execz .LBB30_204
; %bb.203:
	v_lshlrev_b32_e32 v22, 9, v0
	ds_read_b64 v[11:12], v22 offset:27008
	s_movk_i32 s10, 0xfe08
	v_mad_i32_i24 v23, v0, s10, v22
	s_waitcnt lgkmcnt(0)
	ds_write_b64 v23, v[11:12] offset:24992
	ds_read_b64 v[11:12], v22 offset:27016
	s_waitcnt lgkmcnt(0)
	ds_write_b64 v23, v[11:12] offset:25504
	ds_read_b64 v[11:12], v22 offset:27024
	;; [unrolled: 3-line block ×3, first 2 shown]
	s_waitcnt lgkmcnt(0)
	ds_write_b64 v23, v[11:12] offset:26528
.LBB30_204:
	s_or_b64 exec, exec, s[0:1]
	s_waitcnt lgkmcnt(0)
	s_barrier
	s_and_saveexec_b64 s[0:1], vcc
	s_cbranch_execz .LBB30_206
; %bb.205:
	v_mov_b32_e32 v11, 0
	ds_read_b128 v[22:25], v11 offset:26512
	ds_read_b64 v[11:12], v11 offset:26000
	s_movk_i32 s10, 0x6000
	s_waitcnt lgkmcnt(0)
	v_mul_f64 v[11:12], v[11:12], v[24:25]
	v_mul_f64 v[11:12], v[22:23], v[11:12]
	v_add_u32_e64 v22, s10, 0
	ds_write2_b64 v22, v[11:12], v[11:12] offset0:179 offset1:242
.LBB30_206:
	s_or_b64 exec, exec, s[0:1]
	v_mov_b32_e32 v11, 0
	v_mov_b32_e32 v12, 0
	s_waitcnt lgkmcnt(0)
	s_barrier
	buffer_wbinvl1_vol
	s_and_saveexec_b64 s[0:1], s[2:3]
	s_cbranch_execz .LBB30_210
; %bb.207:
	v_lshlrev_b32_e32 v22, 9, v13
	v_lshlrev_b32_e32 v11, 3, v1
	ds_read_b64 v[11:12], v11 offset:25984
	ds_read_b64 v[22:23], v22 offset:26000
	v_cmp_gt_u32_e64 s[10:11], 2, v15
	s_waitcnt lgkmcnt(0)
	v_fma_f64 v[11:12], v[11:12], v[22:23], 0
	s_and_saveexec_b64 s[14:15], s[10:11]
	s_cbranch_execz .LBB30_209
; %bb.208:
	v_lshlrev_b32_e32 v22, 3, v0
	v_mov_b32_e32 v24, 0
	ds_read_b64 v[22:23], v22 offset:26496
	ds_read_b64 v[24:25], v24 offset:26520
	s_waitcnt lgkmcnt(0)
	v_fma_f64 v[11:12], v[22:23], v[24:25], v[11:12]
.LBB30_209:
	s_or_b64 exec, exec, s[14:15]
.LBB30_210:
	s_or_b64 exec, exec, s[0:1]
	s_and_saveexec_b64 s[0:1], s[30:31]
	s_cbranch_execz .LBB30_212
; %bb.211:
	v_mov_b32_e32 v22, 0
	ds_read_b64 v[22:23], v22 offset:25480
	s_waitcnt lgkmcnt(0)
	v_mul_f64 v[11:12], v[11:12], v[22:23]
	v_xor_b32_e32 v23, 0x80000000, v12
	v_mov_b32_e32 v22, v11
	ds_write_b64 v14, v[22:23]
.LBB30_212:
	s_or_b64 exec, exec, s[0:1]
	s_waitcnt lgkmcnt(0)
	s_barrier
	s_and_saveexec_b64 s[0:1], s[28:29]
	s_cbranch_execz .LBB30_214
; %bb.213:
	v_mov_b32_e32 v22, 0
	ds_read_b64 v[22:23], v22 offset:25472
	ds_read_b64 v[24:25], v14
	s_waitcnt lgkmcnt(0)
	v_fma_f64 v[11:12], -v[22:23], v[24:25], v[11:12]
.LBB30_214:
	s_or_b64 exec, exec, s[0:1]
	s_barrier
	s_and_saveexec_b64 s[0:1], s[28:29]
	s_cbranch_execz .LBB30_216
; %bb.215:
	v_mov_b32_e32 v22, 0
	ds_read_b64 v[22:23], v22 offset:24960
	s_waitcnt lgkmcnt(0)
	v_mul_f64 v[11:12], v[11:12], v[22:23]
	v_xor_b32_e32 v23, 0x80000000, v12
	v_mov_b32_e32 v22, v11
	ds_write_b64 v14, v[22:23]
.LBB30_216:
	s_or_b64 exec, exec, s[0:1]
	s_waitcnt lgkmcnt(0)
	s_barrier
	s_barrier
	s_and_saveexec_b64 s[0:1], s[2:3]
; %bb.217:
	v_lshlrev_b32_e32 v22, 3, v1
	v_lshl_or_b32 v22, v13, 9, v22
	ds_write_b64 v22, v[11:12] offset:25984
; %bb.218:
	s_or_b64 exec, exec, s[0:1]
	s_waitcnt lgkmcnt(0)
	s_barrier
	s_barrier
	s_and_saveexec_b64 s[0:1], s[34:35]
	s_cbranch_execz .LBB30_220
; %bb.219:
	v_lshlrev_b32_e32 v22, 3, v0
	s_movk_i32 s10, 0x1f8
	v_mad_u32_u24 v23, v0, s10, v22
	ds_read_b64 v[11:12], v23 offset:25984
	s_waitcnt lgkmcnt(0)
	ds_write_b64 v22, v[11:12] offset:24976
	ds_read_b64 v[11:12], v23 offset:25992
	s_waitcnt lgkmcnt(0)
	ds_write_b64 v22, v[11:12] offset:25488
.LBB30_220:
	s_or_b64 exec, exec, s[0:1]
	s_waitcnt lgkmcnt(0)
	s_barrier
	s_and_saveexec_b64 s[0:1], vcc
	s_cbranch_execz .LBB30_222
; %bb.221:
	v_mov_b32_e32 v11, 0
	ds_read_b128 v[22:25], v11 offset:25472
	ds_read_b64 v[11:12], v11 offset:24960
	s_movk_i32 s10, 0x6000
	s_waitcnt lgkmcnt(0)
	v_mul_f64 v[11:12], v[11:12], v[24:25]
	v_mul_f64 v[11:12], v[22:23], v[11:12]
	v_add_u32_e64 v22, s10, 0
	ds_write2_b64 v22, v[11:12], v[11:12] offset0:49 offset1:112
.LBB30_222:
	s_or_b64 exec, exec, s[0:1]
	s_movk_i32 s0, 0xff
	v_lshrrev_b32_e32 v24, 4, v15
	v_cmp_lt_u32_e64 s[14:15], s0, v15
	s_movk_i32 s0, 0x100
	v_mov_b32_e32 v11, 0
	v_and_b32_e32 v22, 15, v0
	v_sub_u32_e32 v23, 15, v24
	v_mov_b32_e32 v12, 0
	v_cmp_gt_u32_e64 s[10:11], s0, v15
	s_waitcnt lgkmcnt(0)
	s_barrier
	buffer_wbinvl1_vol
	s_and_saveexec_b64 s[0:1], s[10:11]
	s_cbranch_execz .LBB30_250
; %bb.223:
	v_lshlrev_b32_e32 v26, 3, v22
	v_lshlrev_b32_e32 v25, 9, v23
	ds_read_b64 v[11:12], v26 offset:24832
	ds_read_b64 v[27:28], v25 offset:24960
	s_movk_i32 s16, 0xf0
	v_cmp_gt_u32_e64 s[16:17], s16, v15
	s_waitcnt lgkmcnt(0)
	v_fma_f64 v[11:12], v[11:12], v[27:28], 0
	s_and_saveexec_b64 s[20:21], s[16:17]
	s_cbranch_execz .LBB30_225
; %bb.224:
	ds_read_b64 v[27:28], v26 offset:25344
	ds_read_b64 v[29:30], v25 offset:24968
	s_waitcnt lgkmcnt(0)
	v_fma_f64 v[11:12], v[27:28], v[29:30], v[11:12]
.LBB30_225:
	s_or_b64 exec, exec, s[20:21]
	s_movk_i32 s16, 0xe0
	v_cmp_gt_u32_e64 s[16:17], s16, v15
	s_and_saveexec_b64 s[20:21], s[16:17]
	s_cbranch_execz .LBB30_227
; %bb.226:
	ds_read_b64 v[27:28], v26 offset:25856
	ds_read_b64 v[29:30], v25 offset:24976
	s_waitcnt lgkmcnt(0)
	v_fma_f64 v[11:12], v[27:28], v[29:30], v[11:12]
.LBB30_227:
	s_or_b64 exec, exec, s[20:21]
	s_movk_i32 s16, 0xd0
	v_cmp_gt_u32_e64 s[16:17], s16, v15
	;; [unrolled: 11-line block ×10, first 2 shown]
	s_and_saveexec_b64 s[20:21], s[16:17]
	s_cbranch_execnz .LBB30_1108
; %bb.244:
	s_or_b64 exec, exec, s[20:21]
	s_and_saveexec_b64 s[16:17], s[8:9]
	s_cbranch_execnz .LBB30_1109
.LBB30_245:
	s_or_b64 exec, exec, s[16:17]
	v_cmp_gt_u32_e64 s[16:17], 48, v15
	s_and_saveexec_b64 s[20:21], s[16:17]
	s_cbranch_execnz .LBB30_1110
.LBB30_246:
	s_or_b64 exec, exec, s[20:21]
	v_cmp_gt_u32_e64 s[16:17], 32, v15
	s_and_saveexec_b64 s[20:21], s[16:17]
	s_cbranch_execnz .LBB30_1111
.LBB30_247:
	s_or_b64 exec, exec, s[20:21]
	v_cmp_gt_u32_e64 s[16:17], 16, v15
	s_and_saveexec_b64 s[20:21], s[16:17]
	s_cbranch_execz .LBB30_249
.LBB30_248:
	v_lshlrev_b32_e32 v25, 3, v0
	v_mov_b32_e32 v27, 0
	ds_read_b64 v[25:26], v25 offset:32512
	ds_read_b64 v[27:28], v27 offset:32760
	s_waitcnt lgkmcnt(0)
	v_fma_f64 v[11:12], v[25:26], v[27:28], v[11:12]
.LBB30_249:
	s_or_b64 exec, exec, s[20:21]
.LBB30_250:
	s_or_b64 exec, exec, s[0:1]
	v_mov_b32_e32 v25, 0x8000
	v_lshl_add_u32 v24, v24, 3, v25
	v_cmp_eq_u32_e64 s[16:17], 15, v22
	s_xor_b64 s[20:21], s[14:15], -1
	s_and_b64 s[14:15], s[16:17], s[20:21]
	s_mov_b64 s[0:1], exec
	v_writelane_b32 v36, s14, 5
	v_writelane_b32 v36, s15, 6
	s_and_b64 s[14:15], s[0:1], s[14:15]
	s_mov_b64 exec, s[14:15]
	s_cbranch_execz .LBB30_252
; %bb.251:
	v_mov_b32_e32 v25, 0
	ds_read_b64 v[25:26], v25 offset:24440
	s_waitcnt lgkmcnt(0)
	v_mul_f64 v[11:12], v[11:12], v[25:26]
	v_xor_b32_e32 v26, 0x80000000, v12
	v_mov_b32_e32 v25, v11
	ds_write_b64 v24, v[25:26]
.LBB30_252:
	s_or_b64 exec, exec, s[0:1]
	v_cmp_ne_u32_e64 s[14:15], 15, v22
	s_waitcnt lgkmcnt(0)
	s_barrier
	s_and_b64 s[14:15], s[14:15], s[20:21]
	s_mov_b64 s[0:1], exec
	v_writelane_b32 v36, s14, 7
	v_writelane_b32 v36, s15, 8
	s_and_b64 s[14:15], s[0:1], s[14:15]
	s_mov_b64 exec, s[14:15]
	s_cbranch_execz .LBB30_254
; %bb.253:
	v_lshlrev_b32_e32 v25, 3, v22
	ds_read_b64 v[25:26], v25 offset:24320
	ds_read_b64 v[27:28], v24
	s_waitcnt lgkmcnt(0)
	v_fma_f64 v[11:12], -v[25:26], v[27:28], v[11:12]
.LBB30_254:
	s_or_b64 exec, exec, s[0:1]
	v_cmp_eq_u32_e64 s[14:15], 14, v22
	s_barrier
	s_and_b64 s[14:15], s[14:15], s[20:21]
	s_mov_b64 s[0:1], exec
	v_writelane_b32 v36, s14, 9
	v_writelane_b32 v36, s15, 10
	s_and_b64 s[14:15], s[0:1], s[14:15]
	s_mov_b64 exec, s[14:15]
	s_cbranch_execz .LBB30_256
; %bb.255:
	v_mov_b32_e32 v25, 0
	ds_read_b64 v[25:26], v25 offset:23920
	s_waitcnt lgkmcnt(0)
	v_mul_f64 v[11:12], v[11:12], v[25:26]
	v_xor_b32_e32 v26, 0x80000000, v12
	v_mov_b32_e32 v25, v11
	ds_write_b64 v24, v[25:26]
.LBB30_256:
	s_or_b64 exec, exec, s[0:1]
	v_cmp_gt_u32_e64 s[14:15], 14, v22
	s_waitcnt lgkmcnt(0)
	s_barrier
	s_and_b64 s[14:15], s[14:15], s[20:21]
	s_mov_b64 s[0:1], exec
	v_writelane_b32 v36, s14, 11
	v_writelane_b32 v36, s15, 12
	s_and_b64 s[14:15], s[0:1], s[14:15]
	s_mov_b64 exec, s[14:15]
	s_cbranch_execz .LBB30_258
; %bb.257:
	v_lshlrev_b32_e32 v25, 3, v22
	ds_read_b64 v[25:26], v25 offset:23808
	ds_read_b64 v[27:28], v24
	s_waitcnt lgkmcnt(0)
	v_fma_f64 v[11:12], -v[25:26], v[27:28], v[11:12]
.LBB30_258:
	s_or_b64 exec, exec, s[0:1]
	v_cmp_eq_u32_e64 s[14:15], 13, v22
	s_barrier
	s_and_b64 s[14:15], s[14:15], s[20:21]
	s_mov_b64 s[0:1], exec
	v_writelane_b32 v36, s14, 13
	v_writelane_b32 v36, s15, 14
	s_and_b64 s[14:15], s[0:1], s[14:15]
	s_mov_b64 exec, s[14:15]
	s_cbranch_execz .LBB30_260
; %bb.259:
	v_mov_b32_e32 v25, 0
	ds_read_b64 v[25:26], v25 offset:23400
	s_waitcnt lgkmcnt(0)
	v_mul_f64 v[11:12], v[11:12], v[25:26]
	v_xor_b32_e32 v26, 0x80000000, v12
	v_mov_b32_e32 v25, v11
	ds_write_b64 v24, v[25:26]
.LBB30_260:
	s_or_b64 exec, exec, s[0:1]
	v_cmp_gt_u32_e64 s[14:15], 13, v22
	;; [unrolled: 37-line block ×13, first 2 shown]
	s_and_b64 s[0:1], s[14:15], s[20:21]
	s_waitcnt lgkmcnt(0)
	s_barrier
	s_and_saveexec_b64 s[14:15], s[0:1]
	s_cbranch_execz .LBB30_306
; %bb.305:
	v_lshlrev_b32_e32 v25, 3, v22
	ds_read_b64 v[25:26], v25 offset:17664
	ds_read_b64 v[27:28], v24
	s_waitcnt lgkmcnt(0)
	v_fma_f64 v[11:12], -v[25:26], v[27:28], v[11:12]
.LBB30_306:
	s_or_b64 exec, exec, s[14:15]
	v_cmp_eq_u32_e64 s[14:15], 1, v22
	s_barrier
	s_and_b64 s[16:17], s[14:15], s[20:21]
	s_mov_b64 s[14:15], exec
	v_writelane_b32 v36, s16, 59
	v_writelane_b32 v36, s17, 60
	s_and_b64 s[16:17], s[14:15], s[16:17]
	s_mov_b64 exec, s[16:17]
	s_cbranch_execz .LBB30_308
; %bb.307:
	v_mov_b32_e32 v25, 0
	ds_read_b64 v[25:26], v25 offset:17160
	s_waitcnt lgkmcnt(0)
	v_mul_f64 v[11:12], v[11:12], v[25:26]
	v_xor_b32_e32 v26, 0x80000000, v12
	v_mov_b32_e32 v25, v11
	ds_write_b64 v24, v[25:26]
.LBB30_308:
	s_or_b64 exec, exec, s[14:15]
	v_cmp_eq_u32_e64 s[14:15], 0, v22
	s_and_b64 s[94:95], s[14:15], s[20:21]
	s_waitcnt lgkmcnt(0)
	s_barrier
	s_and_saveexec_b64 s[14:15], s[94:95]
	s_cbranch_execz .LBB30_310
; %bb.309:
	v_mov_b32_e32 v25, 0
	ds_read_b64 v[25:26], v25 offset:17152
	ds_read_b64 v[27:28], v24
	s_waitcnt lgkmcnt(0)
	v_fma_f64 v[11:12], -v[25:26], v[27:28], v[11:12]
.LBB30_310:
	s_or_b64 exec, exec, s[14:15]
	s_barrier
	s_and_saveexec_b64 s[14:15], s[94:95]
	s_cbranch_execz .LBB30_312
; %bb.311:
	v_mov_b32_e32 v25, 0
	ds_read_b64 v[25:26], v25 offset:16640
	s_waitcnt lgkmcnt(0)
	v_mul_f64 v[11:12], v[11:12], v[25:26]
	v_xor_b32_e32 v26, 0x80000000, v12
	v_mov_b32_e32 v25, v11
	ds_write_b64 v24, v[25:26]
.LBB30_312:
	s_or_b64 exec, exec, s[14:15]
	s_waitcnt lgkmcnt(0)
	s_barrier
	s_barrier
	s_and_saveexec_b64 s[14:15], s[10:11]
; %bb.313:
	v_lshlrev_b32_e32 v25, 3, v22
	v_lshl_or_b32 v25, v23, 9, v25
	ds_write_b64 v25, v[11:12] offset:24832
; %bb.314:
	s_or_b64 exec, exec, s[14:15]
	v_cmp_gt_u32_e64 s[14:15], 16, v0
	s_waitcnt lgkmcnt(0)
	s_barrier
	s_barrier
	s_and_b64 s[16:17], s[12:13], s[14:15]
	s_mov_b64 s[14:15], exec
	v_writelane_b32 v36, s16, 61
	v_writelane_b32 v36, s17, 62
	s_and_b64 s[16:17], s[14:15], s[16:17]
	s_mov_b64 exec, s[16:17]
	s_cbranch_execz .LBB30_316
; %bb.315:
	v_lshlrev_b32_e32 v25, 9, v0
	ds_read_b64 v[11:12], v25 offset:24832
	s_movk_i32 s16, 0xfe08
	v_mad_i32_i24 v26, v0, s16, v25
	s_waitcnt lgkmcnt(0)
	ds_write_b64 v26, v[11:12] offset:16768
	ds_read_b64 v[11:12], v25 offset:24840
	s_waitcnt lgkmcnt(0)
	ds_write_b64 v26, v[11:12] offset:17280
	ds_read_b64 v[11:12], v25 offset:24848
	;; [unrolled: 3-line block ×15, first 2 shown]
	s_waitcnt lgkmcnt(0)
	ds_write_b64 v26, v[11:12] offset:24448
.LBB30_316:
	s_or_b64 exec, exec, s[14:15]
	s_waitcnt lgkmcnt(0)
	s_barrier
	s_and_saveexec_b64 s[14:15], vcc
	s_cbranch_execz .LBB30_318
; %bb.317:
	v_mov_b32_e32 v11, 0
	ds_read_b128 v[25:28], v11 offset:24432
	ds_read_b64 v[11:12], v11 offset:23920
	s_movk_i32 s16, 0x5800
	s_waitcnt lgkmcnt(0)
	v_mul_f64 v[11:12], v[11:12], v[27:28]
	v_mul_f64 v[11:12], v[25:26], v[11:12]
	v_add_u32_e64 v25, s16, 0
	ds_write2_b64 v25, v[11:12], v[11:12] offset0:175 offset1:238
.LBB30_318:
	s_or_b64 exec, exec, s[14:15]
	v_mov_b32_e32 v11, 0
	v_mov_b32_e32 v12, 0
	s_waitcnt lgkmcnt(0)
	s_barrier
	buffer_wbinvl1_vol
	s_and_saveexec_b64 s[16:17], s[2:3]
	s_cbranch_execz .LBB30_322
; %bb.319:
	v_lshlrev_b32_e32 v25, 9, v13
	v_lshlrev_b32_e32 v11, 3, v1
	ds_read_b64 v[11:12], v11 offset:23904
	ds_read_b64 v[25:26], v25 offset:23920
	v_cmp_gt_u32_e64 s[14:15], 2, v15
	s_waitcnt lgkmcnt(0)
	v_fma_f64 v[11:12], v[11:12], v[25:26], 0
	s_and_saveexec_b64 s[20:21], s[14:15]
	s_cbranch_execz .LBB30_321
; %bb.320:
	v_lshlrev_b32_e32 v25, 3, v0
	v_mov_b32_e32 v27, 0
	ds_read_b64 v[25:26], v25 offset:24416
	ds_read_b64 v[27:28], v27 offset:24440
	s_waitcnt lgkmcnt(0)
	v_fma_f64 v[11:12], v[25:26], v[27:28], v[11:12]
.LBB30_321:
	s_or_b64 exec, exec, s[20:21]
.LBB30_322:
	s_or_b64 exec, exec, s[16:17]
	s_and_saveexec_b64 s[14:15], s[30:31]
	s_cbranch_execz .LBB30_324
; %bb.323:
	v_mov_b32_e32 v25, 0
	ds_read_b64 v[25:26], v25 offset:23400
	s_waitcnt lgkmcnt(0)
	v_mul_f64 v[11:12], v[11:12], v[25:26]
	v_xor_b32_e32 v26, 0x80000000, v12
	v_mov_b32_e32 v25, v11
	ds_write_b64 v14, v[25:26]
.LBB30_324:
	s_or_b64 exec, exec, s[14:15]
	s_waitcnt lgkmcnt(0)
	s_barrier
	s_and_saveexec_b64 s[14:15], s[28:29]
	s_cbranch_execz .LBB30_326
; %bb.325:
	v_mov_b32_e32 v25, 0
	ds_read_b64 v[25:26], v25 offset:23392
	ds_read_b64 v[27:28], v14
	s_waitcnt lgkmcnt(0)
	v_fma_f64 v[11:12], -v[25:26], v[27:28], v[11:12]
.LBB30_326:
	s_or_b64 exec, exec, s[14:15]
	s_barrier
	s_and_saveexec_b64 s[14:15], s[28:29]
	s_cbranch_execz .LBB30_328
; %bb.327:
	v_mov_b32_e32 v25, 0
	ds_read_b64 v[25:26], v25 offset:22880
	s_waitcnt lgkmcnt(0)
	v_mul_f64 v[11:12], v[11:12], v[25:26]
	v_xor_b32_e32 v26, 0x80000000, v12
	v_mov_b32_e32 v25, v11
	ds_write_b64 v14, v[25:26]
.LBB30_328:
	s_or_b64 exec, exec, s[14:15]
	s_waitcnt lgkmcnt(0)
	s_barrier
	s_barrier
	s_and_saveexec_b64 s[14:15], s[2:3]
; %bb.329:
	v_lshlrev_b32_e32 v25, 3, v1
	v_lshl_or_b32 v25, v13, 9, v25
	ds_write_b64 v25, v[11:12] offset:23904
; %bb.330:
	s_or_b64 exec, exec, s[14:15]
	s_waitcnt lgkmcnt(0)
	s_barrier
	s_barrier
	s_and_saveexec_b64 s[14:15], s[34:35]
	s_cbranch_execz .LBB30_332
; %bb.331:
	v_lshlrev_b32_e32 v25, 3, v0
	s_movk_i32 s16, 0x1f8
	v_mad_u32_u24 v26, v0, s16, v25
	ds_read_b64 v[11:12], v26 offset:23904
	s_waitcnt lgkmcnt(0)
	ds_write_b64 v25, v[11:12] offset:22896
	ds_read_b64 v[11:12], v26 offset:23912
	s_waitcnt lgkmcnt(0)
	ds_write_b64 v25, v[11:12] offset:23408
.LBB30_332:
	s_or_b64 exec, exec, s[14:15]
	s_waitcnt lgkmcnt(0)
	s_barrier
	s_and_saveexec_b64 s[14:15], vcc
	s_cbranch_execz .LBB30_334
; %bb.333:
	v_mov_b32_e32 v11, 0
	ds_read_b128 v[25:28], v11 offset:23392
	ds_read_b64 v[11:12], v11 offset:22880
	s_movk_i32 s16, 0x5800
	s_waitcnt lgkmcnt(0)
	v_mul_f64 v[11:12], v[11:12], v[27:28]
	v_mul_f64 v[11:12], v[25:26], v[11:12]
	v_add_u32_e64 v25, s16, 0
	ds_write2_b64 v25, v[11:12], v[11:12] offset0:45 offset1:108
.LBB30_334:
	s_or_b64 exec, exec, s[14:15]
	v_mov_b32_e32 v11, 0
	v_mov_b32_e32 v12, 0
	s_waitcnt lgkmcnt(0)
	s_barrier
	buffer_wbinvl1_vol
	s_and_saveexec_b64 s[16:17], s[18:19]
	s_cbranch_execz .LBB30_340
; %bb.335:
	v_lshlrev_b32_e32 v26, 3, v16
	v_lshlrev_b32_e32 v25, 9, v17
	ds_read_b64 v[11:12], v26 offset:22848
	ds_read_b64 v[27:28], v25 offset:22880
	v_cmp_gt_u32_e64 s[14:15], 12, v15
	s_waitcnt lgkmcnt(0)
	v_fma_f64 v[11:12], v[11:12], v[27:28], 0
	s_and_saveexec_b64 s[20:21], s[14:15]
	s_cbranch_execnz .LBB30_1112
; %bb.336:
	s_or_b64 exec, exec, s[20:21]
	v_cmp_gt_u32_e64 s[14:15], 8, v15
	s_and_saveexec_b64 s[20:21], s[14:15]
	s_cbranch_execnz .LBB30_1113
.LBB30_337:
	s_or_b64 exec, exec, s[20:21]
	v_cmp_gt_u32_e64 s[14:15], 4, v15
	s_and_saveexec_b64 s[20:21], s[14:15]
	s_cbranch_execz .LBB30_339
.LBB30_338:
	v_lshlrev_b32_e32 v25, 3, v0
	v_mov_b32_e32 v27, 0
	ds_read_b64 v[25:26], v25 offset:24384
	ds_read_b64 v[27:28], v27 offset:24440
	s_waitcnt lgkmcnt(0)
	v_fma_f64 v[11:12], v[25:26], v[27:28], v[11:12]
.LBB30_339:
	s_or_b64 exec, exec, s[20:21]
.LBB30_340:
	s_or_b64 exec, exec, s[16:17]
	s_and_saveexec_b64 s[14:15], s[38:39]
	s_cbranch_execz .LBB30_342
; %bb.341:
	v_mov_b32_e32 v25, 0
	ds_read_b64 v[25:26], v25 offset:22360
	s_waitcnt lgkmcnt(0)
	v_mul_f64 v[11:12], v[11:12], v[25:26]
	v_xor_b32_e32 v26, 0x80000000, v12
	v_mov_b32_e32 v25, v11
	ds_write_b64 v18, v[25:26]
.LBB30_342:
	s_or_b64 exec, exec, s[14:15]
	s_waitcnt lgkmcnt(0)
	s_barrier
	s_and_saveexec_b64 s[14:15], s[42:43]
	s_cbranch_execz .LBB30_344
; %bb.343:
	v_lshlrev_b32_e32 v25, 3, v16
	ds_read_b64 v[25:26], v25 offset:22336
	ds_read_b64 v[27:28], v18
	s_waitcnt lgkmcnt(0)
	v_fma_f64 v[11:12], -v[25:26], v[27:28], v[11:12]
.LBB30_344:
	s_or_b64 exec, exec, s[14:15]
	s_barrier
	s_and_saveexec_b64 s[14:15], s[44:45]
	s_cbranch_execz .LBB30_346
; %bb.345:
	v_mov_b32_e32 v25, 0
	ds_read_b64 v[25:26], v25 offset:21840
	s_waitcnt lgkmcnt(0)
	v_mul_f64 v[11:12], v[11:12], v[25:26]
	v_xor_b32_e32 v26, 0x80000000, v12
	v_mov_b32_e32 v25, v11
	ds_write_b64 v18, v[25:26]
.LBB30_346:
	s_or_b64 exec, exec, s[14:15]
	s_waitcnt lgkmcnt(0)
	s_barrier
	s_and_saveexec_b64 s[14:15], s[52:53]
	s_cbranch_execz .LBB30_348
; %bb.347:
	v_lshlrev_b32_e32 v25, 3, v16
	ds_read_b64 v[25:26], v25 offset:21824
	ds_read_b64 v[27:28], v18
	s_waitcnt lgkmcnt(0)
	v_fma_f64 v[11:12], -v[25:26], v[27:28], v[11:12]
.LBB30_348:
	s_or_b64 exec, exec, s[14:15]
	s_barrier
	s_and_saveexec_b64 s[14:15], s[54:55]
	s_cbranch_execz .LBB30_350
; %bb.349:
	v_mov_b32_e32 v25, 0
	ds_read_b64 v[25:26], v25 offset:21320
	s_waitcnt lgkmcnt(0)
	v_mul_f64 v[11:12], v[11:12], v[25:26]
	v_xor_b32_e32 v26, 0x80000000, v12
	v_mov_b32_e32 v25, v11
	ds_write_b64 v18, v[25:26]
.LBB30_350:
	s_or_b64 exec, exec, s[14:15]
	s_waitcnt lgkmcnt(0)
	s_barrier
	s_and_saveexec_b64 s[14:15], s[36:37]
	s_cbranch_execz .LBB30_352
; %bb.351:
	v_mov_b32_e32 v25, 0
	ds_read_b64 v[25:26], v25 offset:21312
	ds_read_b64 v[27:28], v18
	s_waitcnt lgkmcnt(0)
	v_fma_f64 v[11:12], -v[25:26], v[27:28], v[11:12]
.LBB30_352:
	s_or_b64 exec, exec, s[14:15]
	s_barrier
	s_and_saveexec_b64 s[14:15], s[36:37]
	s_cbranch_execz .LBB30_354
; %bb.353:
	v_mov_b32_e32 v25, 0
	ds_read_b64 v[25:26], v25 offset:20800
	s_waitcnt lgkmcnt(0)
	v_mul_f64 v[11:12], v[11:12], v[25:26]
	v_xor_b32_e32 v26, 0x80000000, v12
	v_mov_b32_e32 v25, v11
	ds_write_b64 v18, v[25:26]
.LBB30_354:
	s_or_b64 exec, exec, s[14:15]
	s_waitcnt lgkmcnt(0)
	s_barrier
	s_barrier
	s_and_saveexec_b64 s[14:15], s[18:19]
; %bb.355:
	v_lshlrev_b32_e32 v25, 3, v16
	v_lshl_or_b32 v25, v17, 9, v25
	ds_write_b64 v25, v[11:12] offset:22848
; %bb.356:
	s_or_b64 exec, exec, s[14:15]
	s_waitcnt lgkmcnt(0)
	s_barrier
	s_barrier
	s_and_saveexec_b64 s[14:15], s[56:57]
	s_cbranch_execz .LBB30_358
; %bb.357:
	v_lshlrev_b32_e32 v25, 9, v0
	ds_read_b64 v[11:12], v25 offset:22848
	s_movk_i32 s16, 0xfe08
	v_mad_i32_i24 v26, v0, s16, v25
	s_waitcnt lgkmcnt(0)
	ds_write_b64 v26, v[11:12] offset:20832
	ds_read_b64 v[11:12], v25 offset:22856
	s_waitcnt lgkmcnt(0)
	ds_write_b64 v26, v[11:12] offset:21344
	ds_read_b64 v[11:12], v25 offset:22864
	;; [unrolled: 3-line block ×3, first 2 shown]
	s_waitcnt lgkmcnt(0)
	ds_write_b64 v26, v[11:12] offset:22368
.LBB30_358:
	s_or_b64 exec, exec, s[14:15]
	s_waitcnt lgkmcnt(0)
	s_barrier
	s_and_saveexec_b64 s[14:15], vcc
	s_cbranch_execz .LBB30_360
; %bb.359:
	v_mov_b32_e32 v11, 0
	ds_read_b128 v[25:28], v11 offset:22352
	ds_read_b64 v[11:12], v11 offset:21840
	s_movk_i32 s16, 0x5000
	s_waitcnt lgkmcnt(0)
	v_mul_f64 v[11:12], v[11:12], v[27:28]
	v_mul_f64 v[11:12], v[25:26], v[11:12]
	v_add_u32_e64 v25, s16, 0
	ds_write2_b64 v25, v[11:12], v[11:12] offset0:171 offset1:234
.LBB30_360:
	s_or_b64 exec, exec, s[14:15]
	v_mov_b32_e32 v11, 0
	v_mov_b32_e32 v12, 0
	s_waitcnt lgkmcnt(0)
	s_barrier
	buffer_wbinvl1_vol
	s_and_saveexec_b64 s[16:17], s[2:3]
	s_cbranch_execz .LBB30_364
; %bb.361:
	v_lshlrev_b32_e32 v25, 9, v13
	v_lshlrev_b32_e32 v11, 3, v1
	ds_read_b64 v[11:12], v11 offset:21824
	ds_read_b64 v[25:26], v25 offset:21840
	v_cmp_gt_u32_e64 s[14:15], 2, v15
	s_waitcnt lgkmcnt(0)
	v_fma_f64 v[11:12], v[11:12], v[25:26], 0
	s_and_saveexec_b64 s[20:21], s[14:15]
	s_cbranch_execz .LBB30_363
; %bb.362:
	v_lshlrev_b32_e32 v25, 3, v0
	v_mov_b32_e32 v27, 0
	ds_read_b64 v[25:26], v25 offset:22336
	ds_read_b64 v[27:28], v27 offset:22360
	s_waitcnt lgkmcnt(0)
	v_fma_f64 v[11:12], v[25:26], v[27:28], v[11:12]
.LBB30_363:
	s_or_b64 exec, exec, s[20:21]
.LBB30_364:
	s_or_b64 exec, exec, s[16:17]
	s_and_saveexec_b64 s[14:15], s[30:31]
	s_cbranch_execz .LBB30_366
; %bb.365:
	v_mov_b32_e32 v25, 0
	ds_read_b64 v[25:26], v25 offset:21320
	s_waitcnt lgkmcnt(0)
	v_mul_f64 v[11:12], v[11:12], v[25:26]
	v_xor_b32_e32 v26, 0x80000000, v12
	v_mov_b32_e32 v25, v11
	ds_write_b64 v14, v[25:26]
.LBB30_366:
	s_or_b64 exec, exec, s[14:15]
	s_waitcnt lgkmcnt(0)
	s_barrier
	s_and_saveexec_b64 s[14:15], s[28:29]
	s_cbranch_execz .LBB30_368
; %bb.367:
	v_mov_b32_e32 v25, 0
	ds_read_b64 v[25:26], v25 offset:21312
	ds_read_b64 v[27:28], v14
	s_waitcnt lgkmcnt(0)
	v_fma_f64 v[11:12], -v[25:26], v[27:28], v[11:12]
.LBB30_368:
	s_or_b64 exec, exec, s[14:15]
	s_barrier
	s_and_saveexec_b64 s[14:15], s[28:29]
	s_cbranch_execz .LBB30_370
; %bb.369:
	v_mov_b32_e32 v25, 0
	ds_read_b64 v[25:26], v25 offset:20800
	s_waitcnt lgkmcnt(0)
	v_mul_f64 v[11:12], v[11:12], v[25:26]
	v_xor_b32_e32 v26, 0x80000000, v12
	v_mov_b32_e32 v25, v11
	ds_write_b64 v14, v[25:26]
.LBB30_370:
	s_or_b64 exec, exec, s[14:15]
	s_waitcnt lgkmcnt(0)
	s_barrier
	s_barrier
	s_and_saveexec_b64 s[14:15], s[2:3]
; %bb.371:
	v_lshlrev_b32_e32 v25, 3, v1
	v_lshl_or_b32 v25, v13, 9, v25
	ds_write_b64 v25, v[11:12] offset:21824
; %bb.372:
	s_or_b64 exec, exec, s[14:15]
	s_waitcnt lgkmcnt(0)
	s_barrier
	s_barrier
	s_and_saveexec_b64 s[14:15], s[34:35]
	s_cbranch_execz .LBB30_374
; %bb.373:
	v_lshlrev_b32_e32 v25, 3, v0
	s_movk_i32 s16, 0x1f8
	v_mad_u32_u24 v26, v0, s16, v25
	ds_read_b64 v[11:12], v26 offset:21824
	s_waitcnt lgkmcnt(0)
	ds_write_b64 v25, v[11:12] offset:20816
	ds_read_b64 v[11:12], v26 offset:21832
	s_waitcnt lgkmcnt(0)
	ds_write_b64 v25, v[11:12] offset:21328
.LBB30_374:
	s_or_b64 exec, exec, s[14:15]
	s_waitcnt lgkmcnt(0)
	s_barrier
	s_and_saveexec_b64 s[14:15], vcc
	s_cbranch_execz .LBB30_376
; %bb.375:
	v_mov_b32_e32 v11, 0
	ds_read_b128 v[25:28], v11 offset:21312
	ds_read_b64 v[11:12], v11 offset:20800
	s_movk_i32 s16, 0x5000
	s_waitcnt lgkmcnt(0)
	v_mul_f64 v[11:12], v[11:12], v[27:28]
	v_mul_f64 v[11:12], v[25:26], v[11:12]
	v_add_u32_e64 v25, s16, 0
	ds_write2_b64 v25, v[11:12], v[11:12] offset0:41 offset1:104
.LBB30_376:
	s_or_b64 exec, exec, s[14:15]
	v_mov_b32_e32 v11, 0
	v_mov_b32_e32 v12, 0
	s_waitcnt lgkmcnt(0)
	s_barrier
	buffer_wbinvl1_vol
	s_and_saveexec_b64 s[16:17], s[8:9]
	s_cbranch_execz .LBB30_386
; %bb.377:
	v_lshlrev_b32_e32 v26, 3, v19
	v_lshlrev_b32_e32 v25, 9, v20
	ds_read_b64 v[11:12], v26 offset:20736
	ds_read_b64 v[27:28], v25 offset:20800
	v_cmp_gt_u32_e64 s[14:15], 56, v15
	s_waitcnt lgkmcnt(0)
	v_fma_f64 v[11:12], v[11:12], v[27:28], 0
	s_and_saveexec_b64 s[20:21], s[14:15]
	s_cbranch_execnz .LBB30_1114
; %bb.378:
	s_or_b64 exec, exec, s[20:21]
	v_cmp_gt_u32_e64 s[14:15], 48, v15
	s_and_saveexec_b64 s[20:21], s[14:15]
	s_cbranch_execnz .LBB30_1115
.LBB30_379:
	s_or_b64 exec, exec, s[20:21]
	v_cmp_gt_u32_e64 s[14:15], 40, v15
	s_and_saveexec_b64 s[20:21], s[14:15]
	s_cbranch_execnz .LBB30_1116
.LBB30_380:
	s_or_b64 exec, exec, s[20:21]
	v_cmp_gt_u32_e64 s[14:15], 32, v15
	s_and_saveexec_b64 s[20:21], s[14:15]
	s_cbranch_execnz .LBB30_1117
.LBB30_381:
	s_or_b64 exec, exec, s[20:21]
	v_cmp_gt_u32_e64 s[14:15], 24, v15
	s_and_saveexec_b64 s[20:21], s[14:15]
	s_cbranch_execnz .LBB30_1118
.LBB30_382:
	s_or_b64 exec, exec, s[20:21]
	s_and_saveexec_b64 s[14:15], s[18:19]
	s_cbranch_execnz .LBB30_1119
.LBB30_383:
	s_or_b64 exec, exec, s[14:15]
	v_cmp_gt_u32_e64 s[14:15], 8, v15
	s_and_saveexec_b64 s[20:21], s[14:15]
	s_cbranch_execz .LBB30_385
.LBB30_384:
	v_lshlrev_b32_e32 v25, 3, v0
	v_mov_b32_e32 v27, 0
	ds_read_b64 v[25:26], v25 offset:24320
	ds_read_b64 v[27:28], v27 offset:24440
	s_waitcnt lgkmcnt(0)
	v_fma_f64 v[11:12], v[25:26], v[27:28], v[11:12]
.LBB30_385:
	s_or_b64 exec, exec, s[20:21]
.LBB30_386:
	s_or_b64 exec, exec, s[16:17]
	s_and_saveexec_b64 s[14:15], s[58:59]
	s_cbranch_execz .LBB30_388
; %bb.387:
	v_mov_b32_e32 v25, 0
	ds_read_b64 v[25:26], v25 offset:20280
	s_waitcnt lgkmcnt(0)
	v_mul_f64 v[11:12], v[11:12], v[25:26]
	v_xor_b32_e32 v26, 0x80000000, v12
	v_mov_b32_e32 v25, v11
	ds_write_b64 v21, v[25:26]
.LBB30_388:
	s_or_b64 exec, exec, s[14:15]
	s_waitcnt lgkmcnt(0)
	s_barrier
	s_and_saveexec_b64 s[14:15], s[60:61]
	s_cbranch_execz .LBB30_390
; %bb.389:
	v_lshlrev_b32_e32 v25, 3, v19
	ds_read_b64 v[25:26], v25 offset:20224
	ds_read_b64 v[27:28], v21
	s_waitcnt lgkmcnt(0)
	v_fma_f64 v[11:12], -v[25:26], v[27:28], v[11:12]
.LBB30_390:
	s_or_b64 exec, exec, s[14:15]
	s_barrier
	s_and_saveexec_b64 s[14:15], s[62:63]
	s_cbranch_execz .LBB30_392
; %bb.391:
	v_mov_b32_e32 v25, 0
	ds_read_b64 v[25:26], v25 offset:19760
	s_waitcnt lgkmcnt(0)
	v_mul_f64 v[11:12], v[11:12], v[25:26]
	v_xor_b32_e32 v26, 0x80000000, v12
	v_mov_b32_e32 v25, v11
	ds_write_b64 v21, v[25:26]
.LBB30_392:
	s_or_b64 exec, exec, s[14:15]
	s_waitcnt lgkmcnt(0)
	s_barrier
	s_and_saveexec_b64 s[14:15], s[64:65]
	s_cbranch_execz .LBB30_394
; %bb.393:
	v_lshlrev_b32_e32 v25, 3, v19
	ds_read_b64 v[25:26], v25 offset:19712
	ds_read_b64 v[27:28], v21
	s_waitcnt lgkmcnt(0)
	v_fma_f64 v[11:12], -v[25:26], v[27:28], v[11:12]
.LBB30_394:
	s_or_b64 exec, exec, s[14:15]
	s_barrier
	;; [unrolled: 25-line block ×6, first 2 shown]
	s_and_saveexec_b64 s[14:15], s[84:85]
	s_cbranch_execz .LBB30_412
; %bb.411:
	v_mov_b32_e32 v25, 0
	ds_read_b64 v[25:26], v25 offset:17160
	s_waitcnt lgkmcnt(0)
	v_mul_f64 v[11:12], v[11:12], v[25:26]
	v_xor_b32_e32 v26, 0x80000000, v12
	v_mov_b32_e32 v25, v11
	ds_write_b64 v21, v[25:26]
.LBB30_412:
	s_or_b64 exec, exec, s[14:15]
	s_waitcnt lgkmcnt(0)
	s_barrier
	s_and_saveexec_b64 s[14:15], s[68:69]
	s_cbranch_execz .LBB30_414
; %bb.413:
	v_mov_b32_e32 v25, 0
	ds_read_b64 v[25:26], v25 offset:17152
	ds_read_b64 v[27:28], v21
	s_waitcnt lgkmcnt(0)
	v_fma_f64 v[11:12], -v[25:26], v[27:28], v[11:12]
.LBB30_414:
	s_or_b64 exec, exec, s[14:15]
	s_barrier
	s_and_saveexec_b64 s[14:15], s[68:69]
	s_cbranch_execz .LBB30_416
; %bb.415:
	v_mov_b32_e32 v25, 0
	ds_read_b64 v[25:26], v25 offset:16640
	s_waitcnt lgkmcnt(0)
	v_mul_f64 v[11:12], v[11:12], v[25:26]
	v_xor_b32_e32 v26, 0x80000000, v12
	v_mov_b32_e32 v25, v11
	ds_write_b64 v21, v[25:26]
.LBB30_416:
	s_or_b64 exec, exec, s[14:15]
	s_waitcnt lgkmcnt(0)
	s_barrier
	s_barrier
	s_and_saveexec_b64 s[14:15], s[8:9]
; %bb.417:
	v_lshlrev_b32_e32 v25, 3, v19
	v_lshl_or_b32 v25, v20, 9, v25
	ds_write_b64 v25, v[11:12] offset:20736
; %bb.418:
	s_or_b64 exec, exec, s[14:15]
	s_waitcnt lgkmcnt(0)
	s_barrier
	s_barrier
	s_and_saveexec_b64 s[14:15], s[86:87]
	s_cbranch_execz .LBB30_420
; %bb.419:
	v_lshlrev_b32_e32 v25, 9, v0
	ds_read_b64 v[11:12], v25 offset:20736
	s_movk_i32 s16, 0xfe08
	v_mad_i32_i24 v26, v0, s16, v25
	s_waitcnt lgkmcnt(0)
	ds_write_b64 v26, v[11:12] offset:16704
	ds_read_b64 v[11:12], v25 offset:20744
	s_waitcnt lgkmcnt(0)
	ds_write_b64 v26, v[11:12] offset:17216
	ds_read_b64 v[11:12], v25 offset:20752
	;; [unrolled: 3-line block ×7, first 2 shown]
	s_waitcnt lgkmcnt(0)
	ds_write_b64 v26, v[11:12] offset:20288
.LBB30_420:
	s_or_b64 exec, exec, s[14:15]
	s_waitcnt lgkmcnt(0)
	s_barrier
	s_and_saveexec_b64 s[14:15], vcc
	s_cbranch_execz .LBB30_422
; %bb.421:
	v_mov_b32_e32 v11, 0
	ds_read_b128 v[25:28], v11 offset:20272
	ds_read_b64 v[11:12], v11 offset:19760
	s_movk_i32 s16, 0x4800
	s_waitcnt lgkmcnt(0)
	v_mul_f64 v[11:12], v[11:12], v[27:28]
	v_mul_f64 v[11:12], v[25:26], v[11:12]
	v_add_u32_e64 v25, s16, 0
	ds_write2_b64 v25, v[11:12], v[11:12] offset0:167 offset1:230
.LBB30_422:
	s_or_b64 exec, exec, s[14:15]
	v_mov_b32_e32 v11, 0
	v_mov_b32_e32 v12, 0
	s_waitcnt lgkmcnt(0)
	s_barrier
	buffer_wbinvl1_vol
	s_and_saveexec_b64 s[16:17], s[2:3]
	s_cbranch_execz .LBB30_426
; %bb.423:
	v_lshlrev_b32_e32 v25, 9, v13
	v_lshlrev_b32_e32 v11, 3, v1
	ds_read_b64 v[11:12], v11 offset:19744
	ds_read_b64 v[25:26], v25 offset:19760
	v_cmp_gt_u32_e64 s[14:15], 2, v15
	s_waitcnt lgkmcnt(0)
	v_fma_f64 v[11:12], v[11:12], v[25:26], 0
	s_and_saveexec_b64 s[20:21], s[14:15]
	s_cbranch_execz .LBB30_425
; %bb.424:
	v_lshlrev_b32_e32 v25, 3, v0
	v_mov_b32_e32 v27, 0
	ds_read_b64 v[25:26], v25 offset:20256
	ds_read_b64 v[27:28], v27 offset:20280
	s_waitcnt lgkmcnt(0)
	v_fma_f64 v[11:12], v[25:26], v[27:28], v[11:12]
.LBB30_425:
	s_or_b64 exec, exec, s[20:21]
.LBB30_426:
	s_or_b64 exec, exec, s[16:17]
	s_and_saveexec_b64 s[14:15], s[30:31]
	s_cbranch_execz .LBB30_428
; %bb.427:
	v_mov_b32_e32 v25, 0
	ds_read_b64 v[25:26], v25 offset:19240
	s_waitcnt lgkmcnt(0)
	v_mul_f64 v[11:12], v[11:12], v[25:26]
	v_xor_b32_e32 v26, 0x80000000, v12
	v_mov_b32_e32 v25, v11
	ds_write_b64 v14, v[25:26]
.LBB30_428:
	s_or_b64 exec, exec, s[14:15]
	s_waitcnt lgkmcnt(0)
	s_barrier
	s_and_saveexec_b64 s[14:15], s[28:29]
	s_cbranch_execz .LBB30_430
; %bb.429:
	v_mov_b32_e32 v25, 0
	ds_read_b64 v[25:26], v25 offset:19232
	ds_read_b64 v[27:28], v14
	s_waitcnt lgkmcnt(0)
	v_fma_f64 v[11:12], -v[25:26], v[27:28], v[11:12]
.LBB30_430:
	s_or_b64 exec, exec, s[14:15]
	s_barrier
	s_and_saveexec_b64 s[14:15], s[28:29]
	s_cbranch_execz .LBB30_432
; %bb.431:
	v_mov_b32_e32 v25, 0
	ds_read_b64 v[25:26], v25 offset:18720
	s_waitcnt lgkmcnt(0)
	v_mul_f64 v[11:12], v[11:12], v[25:26]
	v_xor_b32_e32 v26, 0x80000000, v12
	v_mov_b32_e32 v25, v11
	ds_write_b64 v14, v[25:26]
.LBB30_432:
	s_or_b64 exec, exec, s[14:15]
	s_waitcnt lgkmcnt(0)
	s_barrier
	s_barrier
	s_and_saveexec_b64 s[14:15], s[2:3]
; %bb.433:
	v_lshlrev_b32_e32 v25, 3, v1
	v_lshl_or_b32 v25, v13, 9, v25
	ds_write_b64 v25, v[11:12] offset:19744
; %bb.434:
	s_or_b64 exec, exec, s[14:15]
	s_waitcnt lgkmcnt(0)
	s_barrier
	s_barrier
	s_and_saveexec_b64 s[14:15], s[34:35]
	s_cbranch_execz .LBB30_436
; %bb.435:
	v_lshlrev_b32_e32 v25, 3, v0
	s_movk_i32 s16, 0x1f8
	v_mad_u32_u24 v26, v0, s16, v25
	ds_read_b64 v[11:12], v26 offset:19744
	s_waitcnt lgkmcnt(0)
	ds_write_b64 v25, v[11:12] offset:18736
	ds_read_b64 v[11:12], v26 offset:19752
	s_waitcnt lgkmcnt(0)
	ds_write_b64 v25, v[11:12] offset:19248
.LBB30_436:
	s_or_b64 exec, exec, s[14:15]
	s_waitcnt lgkmcnt(0)
	s_barrier
	s_and_saveexec_b64 s[14:15], vcc
	s_cbranch_execz .LBB30_438
; %bb.437:
	v_mov_b32_e32 v11, 0
	ds_read_b128 v[25:28], v11 offset:19232
	ds_read_b64 v[11:12], v11 offset:18720
	s_movk_i32 s16, 0x4800
	s_waitcnt lgkmcnt(0)
	v_mul_f64 v[11:12], v[11:12], v[27:28]
	v_mul_f64 v[11:12], v[25:26], v[11:12]
	v_add_u32_e64 v25, s16, 0
	ds_write2_b64 v25, v[11:12], v[11:12] offset0:37 offset1:100
.LBB30_438:
	s_or_b64 exec, exec, s[14:15]
	v_mov_b32_e32 v11, 0
	v_mov_b32_e32 v12, 0
	s_waitcnt lgkmcnt(0)
	s_barrier
	buffer_wbinvl1_vol
	s_and_saveexec_b64 s[16:17], s[18:19]
	s_cbranch_execz .LBB30_444
; %bb.439:
	v_lshlrev_b32_e32 v26, 3, v16
	v_lshlrev_b32_e32 v25, 9, v17
	ds_read_b64 v[11:12], v26 offset:18688
	ds_read_b64 v[27:28], v25 offset:18720
	v_cmp_gt_u32_e64 s[14:15], 12, v15
	s_waitcnt lgkmcnt(0)
	v_fma_f64 v[11:12], v[11:12], v[27:28], 0
	s_and_saveexec_b64 s[20:21], s[14:15]
	s_cbranch_execnz .LBB30_1120
; %bb.440:
	s_or_b64 exec, exec, s[20:21]
	v_cmp_gt_u32_e64 s[14:15], 8, v15
	s_and_saveexec_b64 s[20:21], s[14:15]
	s_cbranch_execnz .LBB30_1121
.LBB30_441:
	s_or_b64 exec, exec, s[20:21]
	v_cmp_gt_u32_e64 s[14:15], 4, v15
	s_and_saveexec_b64 s[20:21], s[14:15]
	s_cbranch_execz .LBB30_443
.LBB30_442:
	v_lshlrev_b32_e32 v25, 3, v0
	v_mov_b32_e32 v27, 0
	ds_read_b64 v[25:26], v25 offset:20224
	ds_read_b64 v[27:28], v27 offset:20280
	s_waitcnt lgkmcnt(0)
	v_fma_f64 v[11:12], v[25:26], v[27:28], v[11:12]
.LBB30_443:
	s_or_b64 exec, exec, s[20:21]
.LBB30_444:
	s_or_b64 exec, exec, s[16:17]
	s_and_saveexec_b64 s[14:15], s[38:39]
	s_cbranch_execz .LBB30_446
; %bb.445:
	v_mov_b32_e32 v25, 0
	ds_read_b64 v[25:26], v25 offset:18200
	s_waitcnt lgkmcnt(0)
	v_mul_f64 v[11:12], v[11:12], v[25:26]
	v_xor_b32_e32 v26, 0x80000000, v12
	v_mov_b32_e32 v25, v11
	ds_write_b64 v18, v[25:26]
.LBB30_446:
	s_or_b64 exec, exec, s[14:15]
	s_waitcnt lgkmcnt(0)
	s_barrier
	s_and_saveexec_b64 s[14:15], s[42:43]
	s_cbranch_execz .LBB30_448
; %bb.447:
	v_lshlrev_b32_e32 v25, 3, v16
	ds_read_b64 v[25:26], v25 offset:18176
	ds_read_b64 v[27:28], v18
	s_waitcnt lgkmcnt(0)
	v_fma_f64 v[11:12], -v[25:26], v[27:28], v[11:12]
.LBB30_448:
	s_or_b64 exec, exec, s[14:15]
	s_barrier
	s_and_saveexec_b64 s[14:15], s[44:45]
	s_cbranch_execz .LBB30_450
; %bb.449:
	v_mov_b32_e32 v25, 0
	ds_read_b64 v[25:26], v25 offset:17680
	s_waitcnt lgkmcnt(0)
	v_mul_f64 v[11:12], v[11:12], v[25:26]
	v_xor_b32_e32 v26, 0x80000000, v12
	v_mov_b32_e32 v25, v11
	ds_write_b64 v18, v[25:26]
.LBB30_450:
	s_or_b64 exec, exec, s[14:15]
	s_waitcnt lgkmcnt(0)
	s_barrier
	s_and_saveexec_b64 s[14:15], s[52:53]
	s_cbranch_execz .LBB30_452
; %bb.451:
	v_lshlrev_b32_e32 v25, 3, v16
	ds_read_b64 v[25:26], v25 offset:17664
	ds_read_b64 v[27:28], v18
	s_waitcnt lgkmcnt(0)
	v_fma_f64 v[11:12], -v[25:26], v[27:28], v[11:12]
.LBB30_452:
	s_or_b64 exec, exec, s[14:15]
	s_barrier
	s_and_saveexec_b64 s[14:15], s[54:55]
	s_cbranch_execz .LBB30_454
; %bb.453:
	v_mov_b32_e32 v25, 0
	ds_read_b64 v[25:26], v25 offset:17160
	s_waitcnt lgkmcnt(0)
	v_mul_f64 v[11:12], v[11:12], v[25:26]
	v_xor_b32_e32 v26, 0x80000000, v12
	v_mov_b32_e32 v25, v11
	ds_write_b64 v18, v[25:26]
.LBB30_454:
	s_or_b64 exec, exec, s[14:15]
	s_waitcnt lgkmcnt(0)
	s_barrier
	s_and_saveexec_b64 s[14:15], s[36:37]
	s_cbranch_execz .LBB30_456
; %bb.455:
	v_mov_b32_e32 v25, 0
	ds_read_b64 v[25:26], v25 offset:17152
	ds_read_b64 v[27:28], v18
	s_waitcnt lgkmcnt(0)
	v_fma_f64 v[11:12], -v[25:26], v[27:28], v[11:12]
.LBB30_456:
	s_or_b64 exec, exec, s[14:15]
	s_barrier
	s_and_saveexec_b64 s[14:15], s[36:37]
	s_cbranch_execz .LBB30_458
; %bb.457:
	v_mov_b32_e32 v25, 0
	ds_read_b64 v[25:26], v25 offset:16640
	s_waitcnt lgkmcnt(0)
	v_mul_f64 v[11:12], v[11:12], v[25:26]
	v_xor_b32_e32 v26, 0x80000000, v12
	v_mov_b32_e32 v25, v11
	ds_write_b64 v18, v[25:26]
.LBB30_458:
	s_or_b64 exec, exec, s[14:15]
	s_waitcnt lgkmcnt(0)
	s_barrier
	s_barrier
	s_and_saveexec_b64 s[14:15], s[18:19]
; %bb.459:
	v_lshlrev_b32_e32 v25, 3, v16
	v_lshl_or_b32 v25, v17, 9, v25
	ds_write_b64 v25, v[11:12] offset:18688
; %bb.460:
	s_or_b64 exec, exec, s[14:15]
	s_waitcnt lgkmcnt(0)
	s_barrier
	s_barrier
	s_and_saveexec_b64 s[14:15], s[56:57]
	s_cbranch_execz .LBB30_462
; %bb.461:
	v_lshlrev_b32_e32 v25, 9, v0
	ds_read_b64 v[11:12], v25 offset:18688
	s_movk_i32 s16, 0xfe08
	v_mad_i32_i24 v26, v0, s16, v25
	s_waitcnt lgkmcnt(0)
	ds_write_b64 v26, v[11:12] offset:16672
	ds_read_b64 v[11:12], v25 offset:18696
	s_waitcnt lgkmcnt(0)
	ds_write_b64 v26, v[11:12] offset:17184
	ds_read_b64 v[11:12], v25 offset:18704
	;; [unrolled: 3-line block ×3, first 2 shown]
	s_waitcnt lgkmcnt(0)
	ds_write_b64 v26, v[11:12] offset:18208
.LBB30_462:
	s_or_b64 exec, exec, s[14:15]
	s_waitcnt lgkmcnt(0)
	s_barrier
	s_and_saveexec_b64 s[14:15], vcc
	s_cbranch_execz .LBB30_464
; %bb.463:
	v_mov_b32_e32 v11, 0
	ds_read_b128 v[25:28], v11 offset:18192
	ds_read_b64 v[11:12], v11 offset:17680
	s_movk_i32 s16, 0x4000
	s_waitcnt lgkmcnt(0)
	v_mul_f64 v[11:12], v[11:12], v[27:28]
	v_mul_f64 v[11:12], v[25:26], v[11:12]
	v_add_u32_e64 v25, s16, 0
	ds_write2_b64 v25, v[11:12], v[11:12] offset0:163 offset1:226
.LBB30_464:
	s_or_b64 exec, exec, s[14:15]
	v_mov_b32_e32 v11, 0
	v_mov_b32_e32 v12, 0
	s_waitcnt lgkmcnt(0)
	s_barrier
	buffer_wbinvl1_vol
	s_and_saveexec_b64 s[16:17], s[2:3]
	s_cbranch_execz .LBB30_468
; %bb.465:
	v_lshlrev_b32_e32 v25, 9, v13
	v_lshlrev_b32_e32 v11, 3, v1
	ds_read_b64 v[11:12], v11 offset:17664
	ds_read_b64 v[25:26], v25 offset:17680
	v_cmp_gt_u32_e64 s[14:15], 2, v15
	s_waitcnt lgkmcnt(0)
	v_fma_f64 v[11:12], v[11:12], v[25:26], 0
	s_and_saveexec_b64 s[20:21], s[14:15]
	s_cbranch_execz .LBB30_467
; %bb.466:
	v_lshlrev_b32_e32 v25, 3, v0
	v_mov_b32_e32 v27, 0
	ds_read_b64 v[25:26], v25 offset:18176
	ds_read_b64 v[27:28], v27 offset:18200
	s_waitcnt lgkmcnt(0)
	v_fma_f64 v[11:12], v[25:26], v[27:28], v[11:12]
.LBB30_467:
	s_or_b64 exec, exec, s[20:21]
.LBB30_468:
	s_or_b64 exec, exec, s[16:17]
	s_and_saveexec_b64 s[14:15], s[30:31]
	s_cbranch_execz .LBB30_470
; %bb.469:
	v_mov_b32_e32 v25, 0
	ds_read_b64 v[25:26], v25 offset:17160
	s_waitcnt lgkmcnt(0)
	v_mul_f64 v[11:12], v[11:12], v[25:26]
	v_xor_b32_e32 v26, 0x80000000, v12
	v_mov_b32_e32 v25, v11
	ds_write_b64 v14, v[25:26]
.LBB30_470:
	s_or_b64 exec, exec, s[14:15]
	s_waitcnt lgkmcnt(0)
	s_barrier
	s_and_saveexec_b64 s[14:15], s[28:29]
	s_cbranch_execz .LBB30_472
; %bb.471:
	v_mov_b32_e32 v25, 0
	ds_read_b64 v[25:26], v25 offset:17152
	ds_read_b64 v[27:28], v14
	s_waitcnt lgkmcnt(0)
	v_fma_f64 v[11:12], -v[25:26], v[27:28], v[11:12]
.LBB30_472:
	s_or_b64 exec, exec, s[14:15]
	s_barrier
	s_and_saveexec_b64 s[14:15], s[28:29]
	s_cbranch_execz .LBB30_474
; %bb.473:
	v_mov_b32_e32 v25, 0
	ds_read_b64 v[25:26], v25 offset:16640
	s_waitcnt lgkmcnt(0)
	v_mul_f64 v[11:12], v[11:12], v[25:26]
	v_xor_b32_e32 v26, 0x80000000, v12
	v_mov_b32_e32 v25, v11
	ds_write_b64 v14, v[25:26]
.LBB30_474:
	s_or_b64 exec, exec, s[14:15]
	s_waitcnt lgkmcnt(0)
	s_barrier
	s_barrier
	s_and_saveexec_b64 s[14:15], s[2:3]
; %bb.475:
	v_lshlrev_b32_e32 v25, 3, v1
	v_lshl_or_b32 v25, v13, 9, v25
	ds_write_b64 v25, v[11:12] offset:17664
; %bb.476:
	s_or_b64 exec, exec, s[14:15]
	s_waitcnt lgkmcnt(0)
	s_barrier
	s_barrier
	s_and_saveexec_b64 s[14:15], s[34:35]
	s_cbranch_execz .LBB30_478
; %bb.477:
	v_lshlrev_b32_e32 v25, 3, v0
	s_movk_i32 s16, 0x1f8
	v_mad_u32_u24 v26, v0, s16, v25
	ds_read_b64 v[11:12], v26 offset:17664
	s_waitcnt lgkmcnt(0)
	ds_write_b64 v25, v[11:12] offset:16656
	ds_read_b64 v[11:12], v26 offset:17672
	s_waitcnt lgkmcnt(0)
	ds_write_b64 v25, v[11:12] offset:17168
.LBB30_478:
	s_or_b64 exec, exec, s[14:15]
	s_waitcnt lgkmcnt(0)
	s_barrier
	s_and_saveexec_b64 s[14:15], vcc
	s_cbranch_execz .LBB30_480
; %bb.479:
	v_mov_b32_e32 v11, 0
	ds_read_b128 v[25:28], v11 offset:17152
	ds_read_b64 v[11:12], v11 offset:16640
	s_movk_i32 s16, 0x4000
	s_waitcnt lgkmcnt(0)
	v_mul_f64 v[11:12], v[11:12], v[27:28]
	v_mul_f64 v[11:12], v[25:26], v[11:12]
	v_add_u32_e64 v25, s16, 0
	ds_write2_b64 v25, v[11:12], v[11:12] offset0:33 offset1:96
.LBB30_480:
	s_or_b64 exec, exec, s[14:15]
	s_movk_i32 s14, 0x3ff
	v_lshrrev_b32_e32 v27, 5, v15
	v_cmp_lt_u32_e64 s[16:17], s14, v15
	s_movk_i32 s14, 0x400
	v_mov_b32_e32 v11, 0
	v_and_b32_e32 v25, 31, v0
	v_sub_u32_e32 v26, 31, v27
	v_mov_b32_e32 v12, 0
	v_cmp_gt_u32_e64 s[14:15], s14, v15
	s_waitcnt lgkmcnt(0)
	s_barrier
	buffer_wbinvl1_vol
	s_and_saveexec_b64 s[92:93], s[14:15]
	s_cbranch_execz .LBB30_542
; %bb.481:
	v_lshlrev_b32_e32 v29, 3, v25
	v_lshlrev_b32_e32 v28, 9, v26
	ds_read_b64 v[11:12], v29 offset:16384
	ds_read_b64 v[30:31], v28 offset:16640
	s_movk_i32 s20, 0x3e0
	v_cmp_gt_u32_e64 s[20:21], s20, v15
	s_waitcnt lgkmcnt(0)
	v_fma_f64 v[11:12], v[11:12], v[30:31], 0
	s_and_saveexec_b64 s[26:27], s[20:21]
	s_cbranch_execz .LBB30_483
; %bb.482:
	ds_read_b64 v[30:31], v29 offset:16896
	ds_read_b64 v[32:33], v28 offset:16648
	s_waitcnt lgkmcnt(0)
	v_fma_f64 v[11:12], v[30:31], v[32:33], v[11:12]
.LBB30_483:
	s_or_b64 exec, exec, s[26:27]
	s_movk_i32 s20, 0x3c0
	v_cmp_gt_u32_e64 s[20:21], s20, v15
	s_and_saveexec_b64 s[26:27], s[20:21]
	s_cbranch_execz .LBB30_485
; %bb.484:
	ds_read_b64 v[30:31], v29 offset:17408
	ds_read_b64 v[32:33], v28 offset:16656
	s_waitcnt lgkmcnt(0)
	v_fma_f64 v[11:12], v[30:31], v[32:33], v[11:12]
.LBB30_485:
	s_or_b64 exec, exec, s[26:27]
	s_movk_i32 s20, 0x3a0
	v_cmp_gt_u32_e64 s[20:21], s20, v15
	;; [unrolled: 11-line block ×22, first 2 shown]
	s_and_saveexec_b64 s[26:27], s[20:21]
	s_cbranch_execz .LBB30_527
; %bb.526:
	ds_read_b64 v[30:31], v29 offset:28160
	ds_read_b64 v[32:33], v28 offset:16824
	s_waitcnt lgkmcnt(0)
	v_fma_f64 v[11:12], v[30:31], v[32:33], v[11:12]
.LBB30_527:
	s_or_b64 exec, exec, s[26:27]
	s_and_saveexec_b64 s[20:21], s[10:11]
	s_cbranch_execz .LBB30_529
; %bb.528:
	ds_read_b64 v[30:31], v29 offset:28672
	ds_read_b64 v[32:33], v28 offset:16832
	s_waitcnt lgkmcnt(0)
	v_fma_f64 v[11:12], v[30:31], v[32:33], v[11:12]
.LBB30_529:
	s_or_b64 exec, exec, s[20:21]
	s_movk_i32 s20, 0xe0
	v_cmp_gt_u32_e64 s[20:21], s20, v15
	s_and_saveexec_b64 s[26:27], s[20:21]
	s_cbranch_execz .LBB30_531
; %bb.530:
	ds_read_b64 v[30:31], v29 offset:29184
	ds_read_b64 v[32:33], v28 offset:16840
	s_waitcnt lgkmcnt(0)
	v_fma_f64 v[11:12], v[30:31], v[32:33], v[11:12]
.LBB30_531:
	s_or_b64 exec, exec, s[26:27]
	s_movk_i32 s20, 0xc0
	v_cmp_gt_u32_e64 s[20:21], s20, v15
	;; [unrolled: 11-line block ×5, first 2 shown]
	s_and_saveexec_b64 s[26:27], s[20:21]
	s_cbranch_execnz .LBB30_1122
; %bb.538:
	s_or_b64 exec, exec, s[26:27]
	s_and_saveexec_b64 s[20:21], s[8:9]
	s_cbranch_execnz .LBB30_1123
.LBB30_539:
	s_or_b64 exec, exec, s[20:21]
	v_cmp_gt_u32_e64 s[20:21], 32, v15
	s_and_saveexec_b64 s[26:27], s[20:21]
	s_cbranch_execz .LBB30_541
.LBB30_540:
	v_lshlrev_b32_e32 v28, 3, v0
	v_mov_b32_e32 v30, 0
	ds_read_b64 v[28:29], v28 offset:32256
	ds_read_b64 v[30:31], v30 offset:32760
	s_waitcnt lgkmcnt(0)
	v_fma_f64 v[11:12], v[28:29], v[30:31], v[11:12]
.LBB30_541:
	s_or_b64 exec, exec, s[26:27]
.LBB30_542:
	s_or_b64 exec, exec, s[92:93]
	v_mov_b32_e32 v28, 0x8000
	s_movk_i32 s20, 0x208
	v_lshlrev_b32_e32 v29, 9, v25
	v_mov_b32_e32 v30, 0x3800
	v_lshl_add_u32 v27, v27, 3, v28
	v_mul_u32_u24_e32 v28, 0x208, v25
	v_sub_u32_e32 v29, 0, v29
	v_mad_u32_u24 v30, v25, s20, v30
	s_mov_b32 s26, 31
	s_xor_b64 s[20:21], s[16:17], -1
	s_branch .LBB30_544
.LBB30_543:                             ;   in Loop: Header=BB30_544 Depth=1
	s_or_b64 exec, exec, s[16:17]
	s_add_i32 s26, s26, -4
	s_cmp_eq_u32 s27, 0
	v_add_u32_e32 v29, 0xfffff800, v29
	s_barrier
	s_cbranch_scc1 .LBB30_560
.LBB30_544:                             ; =>This Inner Loop Header: Depth=1
	s_movk_i32 s16, 0xc200
	v_cmp_eq_u32_e64 s[16:17], s16, v29
	s_and_b64 s[92:93], s[20:21], s[16:17]
	s_and_saveexec_b64 s[16:17], s[92:93]
	s_cbranch_execz .LBB30_546
; %bb.545:                              ;   in Loop: Header=BB30_544 Depth=1
	ds_read_b64 v[31:32], v28
	s_waitcnt lgkmcnt(0)
	v_mul_f64 v[11:12], v[11:12], v[31:32]
	v_xor_b32_e32 v32, 0x80000000, v12
	v_mov_b32_e32 v31, v11
	ds_write_b64 v27, v[31:32]
.LBB30_546:                             ;   in Loop: Header=BB30_544 Depth=1
	s_or_b64 exec, exec, s[16:17]
	v_cmp_gt_u32_e64 s[16:17], s26, v25
	s_and_b64 s[92:93], s[20:21], s[16:17]
	v_add_u32_e32 v31, v30, v29
	s_waitcnt lgkmcnt(0)
	s_barrier
	s_and_saveexec_b64 s[16:17], s[92:93]
	s_cbranch_execz .LBB30_548
; %bb.547:                              ;   in Loop: Header=BB30_544 Depth=1
	ds_read_b64 v[32:33], v31 offset:1536
	ds_read_b64 v[34:35], v27
	s_waitcnt lgkmcnt(0)
	v_fma_f64 v[11:12], -v[32:33], v[34:35], v[11:12]
.LBB30_548:                             ;   in Loop: Header=BB30_544 Depth=1
	s_or_b64 exec, exec, s[16:17]
	s_add_i32 s27, s26, -1
	v_cmp_eq_u32_e64 s[16:17], s27, v25
	s_and_b64 s[92:93], s[20:21], s[16:17]
	s_barrier
	s_and_saveexec_b64 s[16:17], s[92:93]
	s_cbranch_execz .LBB30_550
; %bb.549:                              ;   in Loop: Header=BB30_544 Depth=1
	ds_read_b64 v[32:33], v28
	s_waitcnt lgkmcnt(0)
	v_mul_f64 v[11:12], v[11:12], v[32:33]
	v_xor_b32_e32 v33, 0x80000000, v12
	v_mov_b32_e32 v32, v11
	ds_write_b64 v27, v[32:33]
.LBB30_550:                             ;   in Loop: Header=BB30_544 Depth=1
	s_or_b64 exec, exec, s[16:17]
	v_cmp_gt_u32_e64 s[16:17], s27, v25
	s_and_b64 s[92:93], s[20:21], s[16:17]
	s_waitcnt lgkmcnt(0)
	s_barrier
	s_and_saveexec_b64 s[16:17], s[92:93]
	s_cbranch_execz .LBB30_552
; %bb.551:                              ;   in Loop: Header=BB30_544 Depth=1
	ds_read_b64 v[32:33], v31 offset:1024
	ds_read_b64 v[34:35], v27
	s_waitcnt lgkmcnt(0)
	v_fma_f64 v[11:12], -v[32:33], v[34:35], v[11:12]
.LBB30_552:                             ;   in Loop: Header=BB30_544 Depth=1
	s_or_b64 exec, exec, s[16:17]
	s_add_i32 s27, s26, -2
	v_cmp_eq_u32_e64 s[16:17], s27, v25
	s_and_b64 s[92:93], s[20:21], s[16:17]
	s_barrier
	s_and_saveexec_b64 s[16:17], s[92:93]
	s_cbranch_execz .LBB30_554
; %bb.553:                              ;   in Loop: Header=BB30_544 Depth=1
	ds_read_b64 v[32:33], v28
	s_waitcnt lgkmcnt(0)
	v_mul_f64 v[11:12], v[11:12], v[32:33]
	v_xor_b32_e32 v33, 0x80000000, v12
	v_mov_b32_e32 v32, v11
	ds_write_b64 v27, v[32:33]
.LBB30_554:                             ;   in Loop: Header=BB30_544 Depth=1
	s_or_b64 exec, exec, s[16:17]
	v_cmp_gt_u32_e64 s[16:17], s27, v25
	s_and_b64 s[92:93], s[20:21], s[16:17]
	;; [unrolled: 28-line block ×3, first 2 shown]
	s_waitcnt lgkmcnt(0)
	s_barrier
	s_and_saveexec_b64 s[16:17], s[92:93]
	s_cbranch_execz .LBB30_543
; %bb.559:                              ;   in Loop: Header=BB30_544 Depth=1
	ds_read_b64 v[31:32], v31
	ds_read_b64 v[33:34], v27
	s_waitcnt lgkmcnt(0)
	v_fma_f64 v[11:12], -v[31:32], v[33:34], v[11:12]
	s_branch .LBB30_543
.LBB30_560:
	s_and_saveexec_b64 s[16:17], s[14:15]
; %bb.561:
	v_lshlrev_b32_e32 v25, 3, v25
	v_lshl_or_b32 v25, v26, 9, v25
	ds_write_b64 v25, v[11:12] offset:16384
; %bb.562:
	s_or_b64 exec, exec, s[16:17]
	v_cmp_gt_u32_e64 s[14:15], 32, v0
	s_and_b64 s[14:15], s[12:13], s[14:15]
	s_waitcnt lgkmcnt(0)
	s_barrier
	s_barrier
	s_and_saveexec_b64 s[12:13], s[14:15]
	s_cbranch_execz .LBB30_564
; %bb.563:
	v_lshlrev_b32_e32 v25, 9, v0
	ds_read_b64 v[11:12], v25 offset:16384
	s_movk_i32 s14, 0xfe08
	v_mad_i32_i24 v26, v0, s14, v25
	s_waitcnt lgkmcnt(0)
	ds_write_b64 v26, v[11:12] offset:256
	ds_read_b64 v[11:12], v25 offset:16392
	s_waitcnt lgkmcnt(0)
	ds_write_b64 v26, v[11:12] offset:768
	ds_read_b64 v[11:12], v25 offset:16400
	;; [unrolled: 3-line block ×31, first 2 shown]
	s_waitcnt lgkmcnt(0)
	ds_write_b64 v26, v[11:12] offset:16128
.LBB30_564:
	s_or_b64 exec, exec, s[12:13]
	s_waitcnt lgkmcnt(0)
	s_barrier
	s_and_saveexec_b64 s[12:13], vcc
	s_cbranch_execz .LBB30_566
; %bb.565:
	v_mov_b32_e32 v11, 0
	ds_read_b128 v[25:28], v11 offset:16112
	ds_read_b64 v[11:12], v11 offset:15600
	s_movk_i32 s14, 0x3800
	s_waitcnt lgkmcnt(0)
	v_mul_f64 v[11:12], v[11:12], v[27:28]
	v_mul_f64 v[11:12], v[25:26], v[11:12]
	v_add_u32_e64 v25, s14, 0
	ds_write2_b64 v25, v[11:12], v[11:12] offset0:159 offset1:222
.LBB30_566:
	s_or_b64 exec, exec, s[12:13]
	v_mov_b32_e32 v11, 0
	v_mov_b32_e32 v12, 0
	s_waitcnt lgkmcnt(0)
	s_barrier
	buffer_wbinvl1_vol
	s_and_saveexec_b64 s[14:15], s[2:3]
	s_cbranch_execz .LBB30_570
; %bb.567:
	v_lshlrev_b32_e32 v25, 9, v13
	v_lshlrev_b32_e32 v11, 3, v1
	ds_read_b64 v[11:12], v11 offset:15584
	ds_read_b64 v[25:26], v25 offset:15600
	v_cmp_gt_u32_e64 s[12:13], 2, v15
	s_waitcnt lgkmcnt(0)
	v_fma_f64 v[11:12], v[11:12], v[25:26], 0
	s_and_saveexec_b64 s[16:17], s[12:13]
	s_cbranch_execz .LBB30_569
; %bb.568:
	v_lshlrev_b32_e32 v25, 3, v0
	v_mov_b32_e32 v27, 0
	ds_read_b64 v[25:26], v25 offset:16096
	ds_read_b64 v[27:28], v27 offset:16120
	s_waitcnt lgkmcnt(0)
	v_fma_f64 v[11:12], v[25:26], v[27:28], v[11:12]
.LBB30_569:
	s_or_b64 exec, exec, s[16:17]
.LBB30_570:
	s_or_b64 exec, exec, s[14:15]
	s_and_saveexec_b64 s[12:13], s[30:31]
	s_cbranch_execz .LBB30_572
; %bb.571:
	v_mov_b32_e32 v25, 0
	ds_read_b64 v[25:26], v25 offset:15080
	s_waitcnt lgkmcnt(0)
	v_mul_f64 v[11:12], v[11:12], v[25:26]
	v_xor_b32_e32 v26, 0x80000000, v12
	v_mov_b32_e32 v25, v11
	ds_write_b64 v14, v[25:26]
.LBB30_572:
	s_or_b64 exec, exec, s[12:13]
	s_waitcnt lgkmcnt(0)
	s_barrier
	s_and_saveexec_b64 s[12:13], s[28:29]
	s_cbranch_execz .LBB30_574
; %bb.573:
	v_mov_b32_e32 v25, 0
	ds_read_b64 v[25:26], v25 offset:15072
	ds_read_b64 v[27:28], v14
	s_waitcnt lgkmcnt(0)
	v_fma_f64 v[11:12], -v[25:26], v[27:28], v[11:12]
.LBB30_574:
	s_or_b64 exec, exec, s[12:13]
	s_barrier
	s_and_saveexec_b64 s[12:13], s[28:29]
	s_cbranch_execz .LBB30_576
; %bb.575:
	v_mov_b32_e32 v25, 0
	ds_read_b64 v[25:26], v25 offset:14560
	s_waitcnt lgkmcnt(0)
	v_mul_f64 v[11:12], v[11:12], v[25:26]
	v_xor_b32_e32 v26, 0x80000000, v12
	v_mov_b32_e32 v25, v11
	ds_write_b64 v14, v[25:26]
.LBB30_576:
	s_or_b64 exec, exec, s[12:13]
	s_waitcnt lgkmcnt(0)
	s_barrier
	s_barrier
	s_and_saveexec_b64 s[12:13], s[2:3]
; %bb.577:
	v_lshlrev_b32_e32 v25, 3, v1
	v_lshl_or_b32 v25, v13, 9, v25
	ds_write_b64 v25, v[11:12] offset:15584
; %bb.578:
	s_or_b64 exec, exec, s[12:13]
	s_waitcnt lgkmcnt(0)
	s_barrier
	s_barrier
	s_and_saveexec_b64 s[12:13], s[34:35]
	s_cbranch_execz .LBB30_580
; %bb.579:
	v_lshlrev_b32_e32 v25, 3, v0
	s_movk_i32 s14, 0x1f8
	v_mad_u32_u24 v26, v0, s14, v25
	ds_read_b64 v[11:12], v26 offset:15584
	s_waitcnt lgkmcnt(0)
	ds_write_b64 v25, v[11:12] offset:14576
	ds_read_b64 v[11:12], v26 offset:15592
	s_waitcnt lgkmcnt(0)
	ds_write_b64 v25, v[11:12] offset:15088
.LBB30_580:
	s_or_b64 exec, exec, s[12:13]
	s_waitcnt lgkmcnt(0)
	s_barrier
	s_and_saveexec_b64 s[12:13], vcc
	s_cbranch_execz .LBB30_582
; %bb.581:
	v_mov_b32_e32 v11, 0
	ds_read_b128 v[25:28], v11 offset:15072
	ds_read_b64 v[11:12], v11 offset:14560
	s_movk_i32 s14, 0x3800
	s_waitcnt lgkmcnt(0)
	v_mul_f64 v[11:12], v[11:12], v[27:28]
	v_mul_f64 v[11:12], v[25:26], v[11:12]
	v_add_u32_e64 v25, s14, 0
	ds_write2_b64 v25, v[11:12], v[11:12] offset0:29 offset1:92
.LBB30_582:
	s_or_b64 exec, exec, s[12:13]
	v_mov_b32_e32 v11, 0
	v_mov_b32_e32 v12, 0
	s_waitcnt lgkmcnt(0)
	s_barrier
	buffer_wbinvl1_vol
	s_and_saveexec_b64 s[14:15], s[18:19]
	s_cbranch_execz .LBB30_588
; %bb.583:
	v_lshlrev_b32_e32 v26, 3, v16
	v_lshlrev_b32_e32 v25, 9, v17
	ds_read_b64 v[11:12], v26 offset:14528
	ds_read_b64 v[27:28], v25 offset:14560
	v_cmp_gt_u32_e64 s[12:13], 12, v15
	s_waitcnt lgkmcnt(0)
	v_fma_f64 v[11:12], v[11:12], v[27:28], 0
	s_and_saveexec_b64 s[16:17], s[12:13]
	s_cbranch_execnz .LBB30_1124
; %bb.584:
	s_or_b64 exec, exec, s[16:17]
	v_cmp_gt_u32_e64 s[12:13], 8, v15
	s_and_saveexec_b64 s[16:17], s[12:13]
	s_cbranch_execnz .LBB30_1125
.LBB30_585:
	s_or_b64 exec, exec, s[16:17]
	v_cmp_gt_u32_e64 s[12:13], 4, v15
	s_and_saveexec_b64 s[16:17], s[12:13]
	s_cbranch_execz .LBB30_587
.LBB30_586:
	v_lshlrev_b32_e32 v25, 3, v0
	v_mov_b32_e32 v27, 0
	ds_read_b64 v[25:26], v25 offset:16064
	ds_read_b64 v[27:28], v27 offset:16120
	s_waitcnt lgkmcnt(0)
	v_fma_f64 v[11:12], v[25:26], v[27:28], v[11:12]
.LBB30_587:
	s_or_b64 exec, exec, s[16:17]
.LBB30_588:
	s_or_b64 exec, exec, s[14:15]
	s_and_saveexec_b64 s[12:13], s[38:39]
	s_cbranch_execz .LBB30_590
; %bb.589:
	v_mov_b32_e32 v25, 0
	ds_read_b64 v[25:26], v25 offset:14040
	s_waitcnt lgkmcnt(0)
	v_mul_f64 v[11:12], v[11:12], v[25:26]
	v_xor_b32_e32 v26, 0x80000000, v12
	v_mov_b32_e32 v25, v11
	ds_write_b64 v18, v[25:26]
.LBB30_590:
	s_or_b64 exec, exec, s[12:13]
	s_waitcnt lgkmcnt(0)
	s_barrier
	s_and_saveexec_b64 s[12:13], s[42:43]
	s_cbranch_execz .LBB30_592
; %bb.591:
	v_lshlrev_b32_e32 v25, 3, v16
	ds_read_b64 v[25:26], v25 offset:14016
	ds_read_b64 v[27:28], v18
	s_waitcnt lgkmcnt(0)
	v_fma_f64 v[11:12], -v[25:26], v[27:28], v[11:12]
.LBB30_592:
	s_or_b64 exec, exec, s[12:13]
	s_barrier
	s_and_saveexec_b64 s[12:13], s[44:45]
	s_cbranch_execz .LBB30_594
; %bb.593:
	v_mov_b32_e32 v25, 0
	ds_read_b64 v[25:26], v25 offset:13520
	s_waitcnt lgkmcnt(0)
	v_mul_f64 v[11:12], v[11:12], v[25:26]
	v_xor_b32_e32 v26, 0x80000000, v12
	v_mov_b32_e32 v25, v11
	ds_write_b64 v18, v[25:26]
.LBB30_594:
	s_or_b64 exec, exec, s[12:13]
	s_waitcnt lgkmcnt(0)
	s_barrier
	s_and_saveexec_b64 s[12:13], s[52:53]
	s_cbranch_execz .LBB30_596
; %bb.595:
	v_lshlrev_b32_e32 v25, 3, v16
	ds_read_b64 v[25:26], v25 offset:13504
	ds_read_b64 v[27:28], v18
	s_waitcnt lgkmcnt(0)
	v_fma_f64 v[11:12], -v[25:26], v[27:28], v[11:12]
.LBB30_596:
	s_or_b64 exec, exec, s[12:13]
	s_barrier
	s_and_saveexec_b64 s[12:13], s[54:55]
	s_cbranch_execz .LBB30_598
; %bb.597:
	v_mov_b32_e32 v25, 0
	ds_read_b64 v[25:26], v25 offset:13000
	s_waitcnt lgkmcnt(0)
	v_mul_f64 v[11:12], v[11:12], v[25:26]
	v_xor_b32_e32 v26, 0x80000000, v12
	v_mov_b32_e32 v25, v11
	ds_write_b64 v18, v[25:26]
.LBB30_598:
	s_or_b64 exec, exec, s[12:13]
	s_waitcnt lgkmcnt(0)
	s_barrier
	s_and_saveexec_b64 s[12:13], s[36:37]
	s_cbranch_execz .LBB30_600
; %bb.599:
	v_mov_b32_e32 v25, 0
	ds_read_b64 v[25:26], v25 offset:12992
	ds_read_b64 v[27:28], v18
	s_waitcnt lgkmcnt(0)
	v_fma_f64 v[11:12], -v[25:26], v[27:28], v[11:12]
.LBB30_600:
	s_or_b64 exec, exec, s[12:13]
	s_barrier
	s_and_saveexec_b64 s[12:13], s[36:37]
	s_cbranch_execz .LBB30_602
; %bb.601:
	v_mov_b32_e32 v25, 0
	ds_read_b64 v[25:26], v25 offset:12480
	s_waitcnt lgkmcnt(0)
	v_mul_f64 v[11:12], v[11:12], v[25:26]
	v_xor_b32_e32 v26, 0x80000000, v12
	v_mov_b32_e32 v25, v11
	ds_write_b64 v18, v[25:26]
.LBB30_602:
	s_or_b64 exec, exec, s[12:13]
	s_waitcnt lgkmcnt(0)
	s_barrier
	s_barrier
	s_and_saveexec_b64 s[12:13], s[18:19]
; %bb.603:
	v_lshlrev_b32_e32 v25, 3, v16
	v_lshl_or_b32 v25, v17, 9, v25
	ds_write_b64 v25, v[11:12] offset:14528
; %bb.604:
	s_or_b64 exec, exec, s[12:13]
	s_waitcnt lgkmcnt(0)
	s_barrier
	s_barrier
	s_and_saveexec_b64 s[12:13], s[56:57]
	s_cbranch_execz .LBB30_606
; %bb.605:
	v_lshlrev_b32_e32 v25, 9, v0
	ds_read_b64 v[11:12], v25 offset:14528
	s_movk_i32 s14, 0xfe08
	v_mad_i32_i24 v26, v0, s14, v25
	s_waitcnt lgkmcnt(0)
	ds_write_b64 v26, v[11:12] offset:12512
	ds_read_b64 v[11:12], v25 offset:14536
	s_waitcnt lgkmcnt(0)
	ds_write_b64 v26, v[11:12] offset:13024
	ds_read_b64 v[11:12], v25 offset:14544
	;; [unrolled: 3-line block ×3, first 2 shown]
	s_waitcnt lgkmcnt(0)
	ds_write_b64 v26, v[11:12] offset:14048
.LBB30_606:
	s_or_b64 exec, exec, s[12:13]
	s_waitcnt lgkmcnt(0)
	s_barrier
	s_and_saveexec_b64 s[12:13], vcc
	s_cbranch_execz .LBB30_608
; %bb.607:
	v_mov_b32_e32 v11, 0
	ds_read_b128 v[25:28], v11 offset:14032
	ds_read_b64 v[11:12], v11 offset:13520
	s_movk_i32 s14, 0x3000
	s_waitcnt lgkmcnt(0)
	v_mul_f64 v[11:12], v[11:12], v[27:28]
	v_mul_f64 v[11:12], v[25:26], v[11:12]
	v_add_u32_e64 v25, s14, 0
	ds_write2_b64 v25, v[11:12], v[11:12] offset0:155 offset1:218
.LBB30_608:
	s_or_b64 exec, exec, s[12:13]
	v_mov_b32_e32 v11, 0
	v_mov_b32_e32 v12, 0
	s_waitcnt lgkmcnt(0)
	s_barrier
	buffer_wbinvl1_vol
	s_and_saveexec_b64 s[14:15], s[2:3]
	s_cbranch_execz .LBB30_612
; %bb.609:
	v_lshlrev_b32_e32 v25, 9, v13
	v_lshlrev_b32_e32 v11, 3, v1
	ds_read_b64 v[11:12], v11 offset:13504
	ds_read_b64 v[25:26], v25 offset:13520
	v_cmp_gt_u32_e64 s[12:13], 2, v15
	s_waitcnt lgkmcnt(0)
	v_fma_f64 v[11:12], v[11:12], v[25:26], 0
	s_and_saveexec_b64 s[16:17], s[12:13]
	s_cbranch_execz .LBB30_611
; %bb.610:
	v_lshlrev_b32_e32 v25, 3, v0
	v_mov_b32_e32 v27, 0
	ds_read_b64 v[25:26], v25 offset:14016
	ds_read_b64 v[27:28], v27 offset:14040
	s_waitcnt lgkmcnt(0)
	v_fma_f64 v[11:12], v[25:26], v[27:28], v[11:12]
.LBB30_611:
	s_or_b64 exec, exec, s[16:17]
.LBB30_612:
	s_or_b64 exec, exec, s[14:15]
	s_and_saveexec_b64 s[12:13], s[30:31]
	s_cbranch_execz .LBB30_614
; %bb.613:
	v_mov_b32_e32 v25, 0
	ds_read_b64 v[25:26], v25 offset:13000
	s_waitcnt lgkmcnt(0)
	v_mul_f64 v[11:12], v[11:12], v[25:26]
	v_xor_b32_e32 v26, 0x80000000, v12
	v_mov_b32_e32 v25, v11
	ds_write_b64 v14, v[25:26]
.LBB30_614:
	s_or_b64 exec, exec, s[12:13]
	s_waitcnt lgkmcnt(0)
	s_barrier
	s_and_saveexec_b64 s[12:13], s[28:29]
	s_cbranch_execz .LBB30_616
; %bb.615:
	v_mov_b32_e32 v25, 0
	ds_read_b64 v[25:26], v25 offset:12992
	ds_read_b64 v[27:28], v14
	s_waitcnt lgkmcnt(0)
	v_fma_f64 v[11:12], -v[25:26], v[27:28], v[11:12]
.LBB30_616:
	s_or_b64 exec, exec, s[12:13]
	s_barrier
	s_and_saveexec_b64 s[12:13], s[28:29]
	s_cbranch_execz .LBB30_618
; %bb.617:
	v_mov_b32_e32 v25, 0
	ds_read_b64 v[25:26], v25 offset:12480
	s_waitcnt lgkmcnt(0)
	v_mul_f64 v[11:12], v[11:12], v[25:26]
	v_xor_b32_e32 v26, 0x80000000, v12
	v_mov_b32_e32 v25, v11
	ds_write_b64 v14, v[25:26]
.LBB30_618:
	s_or_b64 exec, exec, s[12:13]
	s_waitcnt lgkmcnt(0)
	s_barrier
	s_barrier
	s_and_saveexec_b64 s[12:13], s[2:3]
; %bb.619:
	v_lshlrev_b32_e32 v25, 3, v1
	v_lshl_or_b32 v25, v13, 9, v25
	ds_write_b64 v25, v[11:12] offset:13504
; %bb.620:
	s_or_b64 exec, exec, s[12:13]
	s_waitcnt lgkmcnt(0)
	s_barrier
	s_barrier
	s_and_saveexec_b64 s[12:13], s[34:35]
	s_cbranch_execz .LBB30_622
; %bb.621:
	v_lshlrev_b32_e32 v25, 3, v0
	s_movk_i32 s14, 0x1f8
	v_mad_u32_u24 v26, v0, s14, v25
	ds_read_b64 v[11:12], v26 offset:13504
	s_waitcnt lgkmcnt(0)
	ds_write_b64 v25, v[11:12] offset:12496
	ds_read_b64 v[11:12], v26 offset:13512
	s_waitcnt lgkmcnt(0)
	ds_write_b64 v25, v[11:12] offset:13008
.LBB30_622:
	s_or_b64 exec, exec, s[12:13]
	s_waitcnt lgkmcnt(0)
	s_barrier
	s_and_saveexec_b64 s[12:13], vcc
	s_cbranch_execz .LBB30_624
; %bb.623:
	v_mov_b32_e32 v11, 0
	ds_read_b128 v[25:28], v11 offset:12992
	ds_read_b64 v[11:12], v11 offset:12480
	s_movk_i32 s14, 0x3000
	s_waitcnt lgkmcnt(0)
	v_mul_f64 v[11:12], v[11:12], v[27:28]
	v_mul_f64 v[11:12], v[25:26], v[11:12]
	v_add_u32_e64 v25, s14, 0
	ds_write2_b64 v25, v[11:12], v[11:12] offset0:25 offset1:88
.LBB30_624:
	s_or_b64 exec, exec, s[12:13]
	v_mov_b32_e32 v11, 0
	v_mov_b32_e32 v12, 0
	s_waitcnt lgkmcnt(0)
	s_barrier
	buffer_wbinvl1_vol
	s_and_saveexec_b64 s[14:15], s[8:9]
	s_cbranch_execz .LBB30_634
; %bb.625:
	v_lshlrev_b32_e32 v26, 3, v19
	v_lshlrev_b32_e32 v25, 9, v20
	ds_read_b64 v[11:12], v26 offset:12416
	ds_read_b64 v[27:28], v25 offset:12480
	v_cmp_gt_u32_e64 s[12:13], 56, v15
	s_waitcnt lgkmcnt(0)
	v_fma_f64 v[11:12], v[11:12], v[27:28], 0
	s_and_saveexec_b64 s[16:17], s[12:13]
	s_cbranch_execnz .LBB30_1126
; %bb.626:
	s_or_b64 exec, exec, s[16:17]
	v_cmp_gt_u32_e64 s[12:13], 48, v15
	s_and_saveexec_b64 s[16:17], s[12:13]
	s_cbranch_execnz .LBB30_1127
.LBB30_627:
	s_or_b64 exec, exec, s[16:17]
	v_cmp_gt_u32_e64 s[12:13], 40, v15
	s_and_saveexec_b64 s[16:17], s[12:13]
	s_cbranch_execnz .LBB30_1128
.LBB30_628:
	s_or_b64 exec, exec, s[16:17]
	v_cmp_gt_u32_e64 s[12:13], 32, v15
	s_and_saveexec_b64 s[16:17], s[12:13]
	s_cbranch_execnz .LBB30_1129
.LBB30_629:
	s_or_b64 exec, exec, s[16:17]
	v_cmp_gt_u32_e64 s[12:13], 24, v15
	s_and_saveexec_b64 s[16:17], s[12:13]
	s_cbranch_execnz .LBB30_1130
.LBB30_630:
	s_or_b64 exec, exec, s[16:17]
	s_and_saveexec_b64 s[12:13], s[18:19]
	s_cbranch_execnz .LBB30_1131
.LBB30_631:
	s_or_b64 exec, exec, s[12:13]
	v_cmp_gt_u32_e64 s[12:13], 8, v15
	s_and_saveexec_b64 s[16:17], s[12:13]
	s_cbranch_execz .LBB30_633
.LBB30_632:
	v_lshlrev_b32_e32 v25, 3, v0
	v_mov_b32_e32 v27, 0
	ds_read_b64 v[25:26], v25 offset:16000
	ds_read_b64 v[27:28], v27 offset:16120
	s_waitcnt lgkmcnt(0)
	v_fma_f64 v[11:12], v[25:26], v[27:28], v[11:12]
.LBB30_633:
	s_or_b64 exec, exec, s[16:17]
.LBB30_634:
	s_or_b64 exec, exec, s[14:15]
	s_and_saveexec_b64 s[12:13], s[58:59]
	s_cbranch_execz .LBB30_636
; %bb.635:
	v_mov_b32_e32 v25, 0
	ds_read_b64 v[25:26], v25 offset:11960
	s_waitcnt lgkmcnt(0)
	v_mul_f64 v[11:12], v[11:12], v[25:26]
	v_xor_b32_e32 v26, 0x80000000, v12
	v_mov_b32_e32 v25, v11
	ds_write_b64 v21, v[25:26]
.LBB30_636:
	s_or_b64 exec, exec, s[12:13]
	s_waitcnt lgkmcnt(0)
	s_barrier
	s_and_saveexec_b64 s[12:13], s[60:61]
	s_cbranch_execz .LBB30_638
; %bb.637:
	v_lshlrev_b32_e32 v25, 3, v19
	ds_read_b64 v[25:26], v25 offset:11904
	ds_read_b64 v[27:28], v21
	s_waitcnt lgkmcnt(0)
	v_fma_f64 v[11:12], -v[25:26], v[27:28], v[11:12]
.LBB30_638:
	s_or_b64 exec, exec, s[12:13]
	s_barrier
	s_and_saveexec_b64 s[12:13], s[62:63]
	s_cbranch_execz .LBB30_640
; %bb.639:
	v_mov_b32_e32 v25, 0
	ds_read_b64 v[25:26], v25 offset:11440
	s_waitcnt lgkmcnt(0)
	v_mul_f64 v[11:12], v[11:12], v[25:26]
	v_xor_b32_e32 v26, 0x80000000, v12
	v_mov_b32_e32 v25, v11
	ds_write_b64 v21, v[25:26]
.LBB30_640:
	s_or_b64 exec, exec, s[12:13]
	s_waitcnt lgkmcnt(0)
	s_barrier
	s_and_saveexec_b64 s[12:13], s[64:65]
	s_cbranch_execz .LBB30_642
; %bb.641:
	v_lshlrev_b32_e32 v25, 3, v19
	ds_read_b64 v[25:26], v25 offset:11392
	ds_read_b64 v[27:28], v21
	s_waitcnt lgkmcnt(0)
	v_fma_f64 v[11:12], -v[25:26], v[27:28], v[11:12]
.LBB30_642:
	s_or_b64 exec, exec, s[12:13]
	s_barrier
	;; [unrolled: 25-line block ×6, first 2 shown]
	s_and_saveexec_b64 s[12:13], s[84:85]
	s_cbranch_execz .LBB30_660
; %bb.659:
	v_mov_b32_e32 v25, 0
	ds_read_b64 v[25:26], v25 offset:8840
	s_waitcnt lgkmcnt(0)
	v_mul_f64 v[11:12], v[11:12], v[25:26]
	v_xor_b32_e32 v26, 0x80000000, v12
	v_mov_b32_e32 v25, v11
	ds_write_b64 v21, v[25:26]
.LBB30_660:
	s_or_b64 exec, exec, s[12:13]
	s_waitcnt lgkmcnt(0)
	s_barrier
	s_and_saveexec_b64 s[12:13], s[68:69]
	s_cbranch_execz .LBB30_662
; %bb.661:
	v_mov_b32_e32 v25, 0
	ds_read_b64 v[25:26], v25 offset:8832
	ds_read_b64 v[27:28], v21
	s_waitcnt lgkmcnt(0)
	v_fma_f64 v[11:12], -v[25:26], v[27:28], v[11:12]
.LBB30_662:
	s_or_b64 exec, exec, s[12:13]
	s_barrier
	s_and_saveexec_b64 s[12:13], s[68:69]
	s_cbranch_execz .LBB30_664
; %bb.663:
	v_mov_b32_e32 v25, 0
	ds_read_b64 v[25:26], v25 offset:8320
	s_waitcnt lgkmcnt(0)
	v_mul_f64 v[11:12], v[11:12], v[25:26]
	v_xor_b32_e32 v26, 0x80000000, v12
	v_mov_b32_e32 v25, v11
	ds_write_b64 v21, v[25:26]
.LBB30_664:
	s_or_b64 exec, exec, s[12:13]
	s_waitcnt lgkmcnt(0)
	s_barrier
	s_barrier
	s_and_saveexec_b64 s[12:13], s[8:9]
; %bb.665:
	v_lshlrev_b32_e32 v25, 3, v19
	v_lshl_or_b32 v25, v20, 9, v25
	ds_write_b64 v25, v[11:12] offset:12416
; %bb.666:
	s_or_b64 exec, exec, s[12:13]
	s_waitcnt lgkmcnt(0)
	s_barrier
	s_barrier
	s_and_saveexec_b64 s[12:13], s[86:87]
	s_cbranch_execz .LBB30_668
; %bb.667:
	v_lshlrev_b32_e32 v25, 9, v0
	ds_read_b64 v[11:12], v25 offset:12416
	s_movk_i32 s14, 0xfe08
	v_mad_i32_i24 v26, v0, s14, v25
	s_waitcnt lgkmcnt(0)
	ds_write_b64 v26, v[11:12] offset:8384
	ds_read_b64 v[11:12], v25 offset:12424
	s_waitcnt lgkmcnt(0)
	ds_write_b64 v26, v[11:12] offset:8896
	ds_read_b64 v[11:12], v25 offset:12432
	;; [unrolled: 3-line block ×7, first 2 shown]
	s_waitcnt lgkmcnt(0)
	ds_write_b64 v26, v[11:12] offset:11968
.LBB30_668:
	s_or_b64 exec, exec, s[12:13]
	s_waitcnt lgkmcnt(0)
	s_barrier
	s_and_saveexec_b64 s[12:13], vcc
	s_cbranch_execz .LBB30_670
; %bb.669:
	v_mov_b32_e32 v11, 0
	ds_read_b128 v[25:28], v11 offset:11952
	ds_read_b64 v[11:12], v11 offset:11440
	s_movk_i32 s14, 0x2800
	s_waitcnt lgkmcnt(0)
	v_mul_f64 v[11:12], v[11:12], v[27:28]
	v_mul_f64 v[11:12], v[25:26], v[11:12]
	v_add_u32_e64 v25, s14, 0
	ds_write2_b64 v25, v[11:12], v[11:12] offset0:151 offset1:214
.LBB30_670:
	s_or_b64 exec, exec, s[12:13]
	v_mov_b32_e32 v11, 0
	v_mov_b32_e32 v12, 0
	s_waitcnt lgkmcnt(0)
	s_barrier
	buffer_wbinvl1_vol
	s_and_saveexec_b64 s[14:15], s[2:3]
	s_cbranch_execz .LBB30_674
; %bb.671:
	v_lshlrev_b32_e32 v25, 9, v13
	v_lshlrev_b32_e32 v11, 3, v1
	ds_read_b64 v[11:12], v11 offset:11424
	ds_read_b64 v[25:26], v25 offset:11440
	v_cmp_gt_u32_e64 s[12:13], 2, v15
	s_waitcnt lgkmcnt(0)
	v_fma_f64 v[11:12], v[11:12], v[25:26], 0
	s_and_saveexec_b64 s[16:17], s[12:13]
	s_cbranch_execz .LBB30_673
; %bb.672:
	v_lshlrev_b32_e32 v25, 3, v0
	v_mov_b32_e32 v27, 0
	ds_read_b64 v[25:26], v25 offset:11936
	ds_read_b64 v[27:28], v27 offset:11960
	s_waitcnt lgkmcnt(0)
	v_fma_f64 v[11:12], v[25:26], v[27:28], v[11:12]
.LBB30_673:
	s_or_b64 exec, exec, s[16:17]
.LBB30_674:
	s_or_b64 exec, exec, s[14:15]
	s_and_saveexec_b64 s[12:13], s[30:31]
	s_cbranch_execz .LBB30_676
; %bb.675:
	v_mov_b32_e32 v25, 0
	ds_read_b64 v[25:26], v25 offset:10920
	s_waitcnt lgkmcnt(0)
	v_mul_f64 v[11:12], v[11:12], v[25:26]
	v_xor_b32_e32 v26, 0x80000000, v12
	v_mov_b32_e32 v25, v11
	ds_write_b64 v14, v[25:26]
.LBB30_676:
	s_or_b64 exec, exec, s[12:13]
	s_waitcnt lgkmcnt(0)
	s_barrier
	s_and_saveexec_b64 s[12:13], s[28:29]
	s_cbranch_execz .LBB30_678
; %bb.677:
	v_mov_b32_e32 v25, 0
	ds_read_b64 v[25:26], v25 offset:10912
	ds_read_b64 v[27:28], v14
	s_waitcnt lgkmcnt(0)
	v_fma_f64 v[11:12], -v[25:26], v[27:28], v[11:12]
.LBB30_678:
	s_or_b64 exec, exec, s[12:13]
	s_barrier
	s_and_saveexec_b64 s[12:13], s[28:29]
	s_cbranch_execz .LBB30_680
; %bb.679:
	v_mov_b32_e32 v25, 0
	ds_read_b64 v[25:26], v25 offset:10400
	s_waitcnt lgkmcnt(0)
	v_mul_f64 v[11:12], v[11:12], v[25:26]
	v_xor_b32_e32 v26, 0x80000000, v12
	v_mov_b32_e32 v25, v11
	ds_write_b64 v14, v[25:26]
.LBB30_680:
	s_or_b64 exec, exec, s[12:13]
	s_waitcnt lgkmcnt(0)
	s_barrier
	s_barrier
	s_and_saveexec_b64 s[12:13], s[2:3]
; %bb.681:
	v_lshlrev_b32_e32 v25, 3, v1
	v_lshl_or_b32 v25, v13, 9, v25
	ds_write_b64 v25, v[11:12] offset:11424
; %bb.682:
	s_or_b64 exec, exec, s[12:13]
	s_waitcnt lgkmcnt(0)
	s_barrier
	s_barrier
	s_and_saveexec_b64 s[12:13], s[34:35]
	s_cbranch_execz .LBB30_684
; %bb.683:
	v_lshlrev_b32_e32 v25, 3, v0
	s_movk_i32 s14, 0x1f8
	v_mad_u32_u24 v26, v0, s14, v25
	ds_read_b64 v[11:12], v26 offset:11424
	s_waitcnt lgkmcnt(0)
	ds_write_b64 v25, v[11:12] offset:10416
	ds_read_b64 v[11:12], v26 offset:11432
	s_waitcnt lgkmcnt(0)
	ds_write_b64 v25, v[11:12] offset:10928
.LBB30_684:
	s_or_b64 exec, exec, s[12:13]
	s_waitcnt lgkmcnt(0)
	s_barrier
	s_and_saveexec_b64 s[12:13], vcc
	s_cbranch_execz .LBB30_686
; %bb.685:
	v_mov_b32_e32 v11, 0
	ds_read_b128 v[25:28], v11 offset:10912
	ds_read_b64 v[11:12], v11 offset:10400
	s_movk_i32 s14, 0x2800
	s_waitcnt lgkmcnt(0)
	v_mul_f64 v[11:12], v[11:12], v[27:28]
	v_mul_f64 v[11:12], v[25:26], v[11:12]
	v_add_u32_e64 v25, s14, 0
	ds_write2_b64 v25, v[11:12], v[11:12] offset0:21 offset1:84
.LBB30_686:
	s_or_b64 exec, exec, s[12:13]
	v_mov_b32_e32 v11, 0
	v_mov_b32_e32 v12, 0
	s_waitcnt lgkmcnt(0)
	s_barrier
	buffer_wbinvl1_vol
	s_and_saveexec_b64 s[14:15], s[18:19]
	s_cbranch_execz .LBB30_692
; %bb.687:
	v_lshlrev_b32_e32 v26, 3, v16
	v_lshlrev_b32_e32 v25, 9, v17
	ds_read_b64 v[11:12], v26 offset:10368
	ds_read_b64 v[27:28], v25 offset:10400
	v_cmp_gt_u32_e64 s[12:13], 12, v15
	s_waitcnt lgkmcnt(0)
	v_fma_f64 v[11:12], v[11:12], v[27:28], 0
	s_and_saveexec_b64 s[16:17], s[12:13]
	s_cbranch_execnz .LBB30_1132
; %bb.688:
	s_or_b64 exec, exec, s[16:17]
	v_cmp_gt_u32_e64 s[12:13], 8, v15
	s_and_saveexec_b64 s[16:17], s[12:13]
	s_cbranch_execnz .LBB30_1133
.LBB30_689:
	s_or_b64 exec, exec, s[16:17]
	v_cmp_gt_u32_e64 s[12:13], 4, v15
	s_and_saveexec_b64 s[16:17], s[12:13]
	s_cbranch_execz .LBB30_691
.LBB30_690:
	v_lshlrev_b32_e32 v25, 3, v0
	v_mov_b32_e32 v27, 0
	ds_read_b64 v[25:26], v25 offset:11904
	ds_read_b64 v[27:28], v27 offset:11960
	s_waitcnt lgkmcnt(0)
	v_fma_f64 v[11:12], v[25:26], v[27:28], v[11:12]
.LBB30_691:
	s_or_b64 exec, exec, s[16:17]
.LBB30_692:
	s_or_b64 exec, exec, s[14:15]
	s_and_saveexec_b64 s[12:13], s[38:39]
	s_cbranch_execz .LBB30_694
; %bb.693:
	v_mov_b32_e32 v25, 0
	ds_read_b64 v[25:26], v25 offset:9880
	s_waitcnt lgkmcnt(0)
	v_mul_f64 v[11:12], v[11:12], v[25:26]
	v_xor_b32_e32 v26, 0x80000000, v12
	v_mov_b32_e32 v25, v11
	ds_write_b64 v18, v[25:26]
.LBB30_694:
	s_or_b64 exec, exec, s[12:13]
	s_waitcnt lgkmcnt(0)
	s_barrier
	s_and_saveexec_b64 s[12:13], s[42:43]
	s_cbranch_execz .LBB30_696
; %bb.695:
	v_lshlrev_b32_e32 v25, 3, v16
	ds_read_b64 v[25:26], v25 offset:9856
	ds_read_b64 v[27:28], v18
	s_waitcnt lgkmcnt(0)
	v_fma_f64 v[11:12], -v[25:26], v[27:28], v[11:12]
.LBB30_696:
	s_or_b64 exec, exec, s[12:13]
	s_barrier
	s_and_saveexec_b64 s[12:13], s[44:45]
	s_cbranch_execz .LBB30_698
; %bb.697:
	v_mov_b32_e32 v25, 0
	ds_read_b64 v[25:26], v25 offset:9360
	s_waitcnt lgkmcnt(0)
	v_mul_f64 v[11:12], v[11:12], v[25:26]
	v_xor_b32_e32 v26, 0x80000000, v12
	v_mov_b32_e32 v25, v11
	ds_write_b64 v18, v[25:26]
.LBB30_698:
	s_or_b64 exec, exec, s[12:13]
	s_waitcnt lgkmcnt(0)
	s_barrier
	s_and_saveexec_b64 s[12:13], s[52:53]
	s_cbranch_execz .LBB30_700
; %bb.699:
	v_lshlrev_b32_e32 v25, 3, v16
	ds_read_b64 v[25:26], v25 offset:9344
	ds_read_b64 v[27:28], v18
	s_waitcnt lgkmcnt(0)
	v_fma_f64 v[11:12], -v[25:26], v[27:28], v[11:12]
.LBB30_700:
	s_or_b64 exec, exec, s[12:13]
	s_barrier
	s_and_saveexec_b64 s[12:13], s[54:55]
	s_cbranch_execz .LBB30_702
; %bb.701:
	v_mov_b32_e32 v25, 0
	ds_read_b64 v[25:26], v25 offset:8840
	s_waitcnt lgkmcnt(0)
	v_mul_f64 v[11:12], v[11:12], v[25:26]
	v_xor_b32_e32 v26, 0x80000000, v12
	v_mov_b32_e32 v25, v11
	ds_write_b64 v18, v[25:26]
.LBB30_702:
	s_or_b64 exec, exec, s[12:13]
	s_waitcnt lgkmcnt(0)
	s_barrier
	s_and_saveexec_b64 s[12:13], s[36:37]
	s_cbranch_execz .LBB30_704
; %bb.703:
	v_mov_b32_e32 v25, 0
	ds_read_b64 v[25:26], v25 offset:8832
	ds_read_b64 v[27:28], v18
	s_waitcnt lgkmcnt(0)
	v_fma_f64 v[11:12], -v[25:26], v[27:28], v[11:12]
.LBB30_704:
	s_or_b64 exec, exec, s[12:13]
	s_barrier
	s_and_saveexec_b64 s[12:13], s[36:37]
	s_cbranch_execz .LBB30_706
; %bb.705:
	v_mov_b32_e32 v25, 0
	ds_read_b64 v[25:26], v25 offset:8320
	s_waitcnt lgkmcnt(0)
	v_mul_f64 v[11:12], v[11:12], v[25:26]
	v_xor_b32_e32 v26, 0x80000000, v12
	v_mov_b32_e32 v25, v11
	ds_write_b64 v18, v[25:26]
.LBB30_706:
	s_or_b64 exec, exec, s[12:13]
	s_waitcnt lgkmcnt(0)
	s_barrier
	s_barrier
	s_and_saveexec_b64 s[12:13], s[18:19]
; %bb.707:
	v_lshlrev_b32_e32 v25, 3, v16
	v_lshl_or_b32 v25, v17, 9, v25
	ds_write_b64 v25, v[11:12] offset:10368
; %bb.708:
	s_or_b64 exec, exec, s[12:13]
	s_waitcnt lgkmcnt(0)
	s_barrier
	s_barrier
	s_and_saveexec_b64 s[12:13], s[56:57]
	s_cbranch_execz .LBB30_710
; %bb.709:
	v_lshlrev_b32_e32 v25, 9, v0
	ds_read_b64 v[11:12], v25 offset:10368
	s_movk_i32 s14, 0xfe08
	v_mad_i32_i24 v26, v0, s14, v25
	s_waitcnt lgkmcnt(0)
	ds_write_b64 v26, v[11:12] offset:8352
	ds_read_b64 v[11:12], v25 offset:10376
	s_waitcnt lgkmcnt(0)
	ds_write_b64 v26, v[11:12] offset:8864
	ds_read_b64 v[11:12], v25 offset:10384
	;; [unrolled: 3-line block ×3, first 2 shown]
	s_waitcnt lgkmcnt(0)
	ds_write_b64 v26, v[11:12] offset:9888
.LBB30_710:
	s_or_b64 exec, exec, s[12:13]
	s_waitcnt lgkmcnt(0)
	s_barrier
	s_and_saveexec_b64 s[12:13], vcc
	s_cbranch_execz .LBB30_712
; %bb.711:
	v_mov_b32_e32 v11, 0
	ds_read_b128 v[25:28], v11 offset:9872
	ds_read_b64 v[11:12], v11 offset:9360
	s_movk_i32 s14, 0x2000
	s_waitcnt lgkmcnt(0)
	v_mul_f64 v[11:12], v[11:12], v[27:28]
	v_mul_f64 v[11:12], v[25:26], v[11:12]
	v_add_u32_e64 v25, s14, 0
	ds_write2_b64 v25, v[11:12], v[11:12] offset0:147 offset1:210
.LBB30_712:
	s_or_b64 exec, exec, s[12:13]
	v_mov_b32_e32 v11, 0
	v_mov_b32_e32 v12, 0
	s_waitcnt lgkmcnt(0)
	s_barrier
	buffer_wbinvl1_vol
	s_and_saveexec_b64 s[14:15], s[2:3]
	s_cbranch_execz .LBB30_716
; %bb.713:
	v_lshlrev_b32_e32 v25, 9, v13
	v_lshlrev_b32_e32 v11, 3, v1
	ds_read_b64 v[11:12], v11 offset:9344
	ds_read_b64 v[25:26], v25 offset:9360
	v_cmp_gt_u32_e64 s[12:13], 2, v15
	s_waitcnt lgkmcnt(0)
	v_fma_f64 v[11:12], v[11:12], v[25:26], 0
	s_and_saveexec_b64 s[16:17], s[12:13]
	s_cbranch_execz .LBB30_715
; %bb.714:
	v_lshlrev_b32_e32 v25, 3, v0
	v_mov_b32_e32 v27, 0
	ds_read_b64 v[25:26], v25 offset:9856
	ds_read_b64 v[27:28], v27 offset:9880
	s_waitcnt lgkmcnt(0)
	v_fma_f64 v[11:12], v[25:26], v[27:28], v[11:12]
.LBB30_715:
	s_or_b64 exec, exec, s[16:17]
.LBB30_716:
	s_or_b64 exec, exec, s[14:15]
	s_and_saveexec_b64 s[12:13], s[30:31]
	s_cbranch_execz .LBB30_718
; %bb.717:
	v_mov_b32_e32 v25, 0
	ds_read_b64 v[25:26], v25 offset:8840
	s_waitcnt lgkmcnt(0)
	v_mul_f64 v[11:12], v[11:12], v[25:26]
	v_xor_b32_e32 v26, 0x80000000, v12
	v_mov_b32_e32 v25, v11
	ds_write_b64 v14, v[25:26]
.LBB30_718:
	s_or_b64 exec, exec, s[12:13]
	s_waitcnt lgkmcnt(0)
	s_barrier
	s_and_saveexec_b64 s[12:13], s[28:29]
	s_cbranch_execz .LBB30_720
; %bb.719:
	v_mov_b32_e32 v25, 0
	ds_read_b64 v[25:26], v25 offset:8832
	ds_read_b64 v[27:28], v14
	s_waitcnt lgkmcnt(0)
	v_fma_f64 v[11:12], -v[25:26], v[27:28], v[11:12]
.LBB30_720:
	s_or_b64 exec, exec, s[12:13]
	s_barrier
	s_and_saveexec_b64 s[12:13], s[28:29]
	s_cbranch_execz .LBB30_722
; %bb.721:
	v_mov_b32_e32 v25, 0
	ds_read_b64 v[25:26], v25 offset:8320
	s_waitcnt lgkmcnt(0)
	v_mul_f64 v[11:12], v[11:12], v[25:26]
	v_xor_b32_e32 v26, 0x80000000, v12
	v_mov_b32_e32 v25, v11
	ds_write_b64 v14, v[25:26]
.LBB30_722:
	s_or_b64 exec, exec, s[12:13]
	s_waitcnt lgkmcnt(0)
	s_barrier
	s_barrier
	s_and_saveexec_b64 s[12:13], s[2:3]
; %bb.723:
	v_lshlrev_b32_e32 v25, 3, v1
	v_lshl_or_b32 v25, v13, 9, v25
	ds_write_b64 v25, v[11:12] offset:9344
; %bb.724:
	s_or_b64 exec, exec, s[12:13]
	s_waitcnt lgkmcnt(0)
	s_barrier
	s_barrier
	s_and_saveexec_b64 s[12:13], s[34:35]
	s_cbranch_execz .LBB30_726
; %bb.725:
	v_lshlrev_b32_e32 v25, 3, v0
	s_movk_i32 s14, 0x1f8
	v_mad_u32_u24 v26, v0, s14, v25
	ds_read_b64 v[11:12], v26 offset:9344
	s_waitcnt lgkmcnt(0)
	ds_write_b64 v25, v[11:12] offset:8336
	ds_read_b64 v[11:12], v26 offset:9352
	s_waitcnt lgkmcnt(0)
	ds_write_b64 v25, v[11:12] offset:8848
.LBB30_726:
	s_or_b64 exec, exec, s[12:13]
	s_waitcnt lgkmcnt(0)
	s_barrier
	s_and_saveexec_b64 s[12:13], vcc
	s_cbranch_execz .LBB30_728
; %bb.727:
	v_mov_b32_e32 v11, 0
	ds_read_b128 v[25:28], v11 offset:8832
	ds_read_b64 v[11:12], v11 offset:8320
	s_movk_i32 s14, 0x2000
	s_waitcnt lgkmcnt(0)
	v_mul_f64 v[11:12], v[11:12], v[27:28]
	v_mul_f64 v[11:12], v[25:26], v[11:12]
	v_add_u32_e64 v25, s14, 0
	ds_write2_b64 v25, v[11:12], v[11:12] offset0:17 offset1:80
.LBB30_728:
	s_or_b64 exec, exec, s[12:13]
	v_mov_b32_e32 v11, 0
	v_mov_b32_e32 v12, 0
	s_waitcnt lgkmcnt(0)
	s_barrier
	buffer_wbinvl1_vol
	s_and_saveexec_b64 s[14:15], s[10:11]
	s_cbranch_execz .LBB30_756
; %bb.729:
	v_lshlrev_b32_e32 v26, 3, v22
	v_lshlrev_b32_e32 v25, 9, v23
	ds_read_b64 v[11:12], v26 offset:8192
	ds_read_b64 v[27:28], v25 offset:8320
	s_movk_i32 s12, 0xf0
	v_cmp_gt_u32_e64 s[12:13], s12, v15
	s_waitcnt lgkmcnt(0)
	v_fma_f64 v[11:12], v[11:12], v[27:28], 0
	s_and_saveexec_b64 s[16:17], s[12:13]
	s_cbranch_execz .LBB30_731
; %bb.730:
	ds_read_b64 v[27:28], v26 offset:8704
	ds_read_b64 v[29:30], v25 offset:8328
	s_waitcnt lgkmcnt(0)
	v_fma_f64 v[11:12], v[27:28], v[29:30], v[11:12]
.LBB30_731:
	s_or_b64 exec, exec, s[16:17]
	s_movk_i32 s12, 0xe0
	v_cmp_gt_u32_e64 s[12:13], s12, v15
	s_and_saveexec_b64 s[16:17], s[12:13]
	s_cbranch_execz .LBB30_733
; %bb.732:
	ds_read_b64 v[27:28], v26 offset:9216
	ds_read_b64 v[29:30], v25 offset:8336
	s_waitcnt lgkmcnt(0)
	v_fma_f64 v[11:12], v[27:28], v[29:30], v[11:12]
.LBB30_733:
	s_or_b64 exec, exec, s[16:17]
	s_movk_i32 s12, 0xd0
	v_cmp_gt_u32_e64 s[12:13], s12, v15
	;; [unrolled: 11-line block ×10, first 2 shown]
	s_and_saveexec_b64 s[16:17], s[12:13]
	s_cbranch_execnz .LBB30_1134
; %bb.750:
	s_or_b64 exec, exec, s[16:17]
	s_and_saveexec_b64 s[12:13], s[8:9]
	s_cbranch_execnz .LBB30_1135
.LBB30_751:
	s_or_b64 exec, exec, s[12:13]
	v_cmp_gt_u32_e64 s[12:13], 48, v15
	s_and_saveexec_b64 s[16:17], s[12:13]
	s_cbranch_execnz .LBB30_1136
.LBB30_752:
	s_or_b64 exec, exec, s[16:17]
	v_cmp_gt_u32_e64 s[12:13], 32, v15
	s_and_saveexec_b64 s[16:17], s[12:13]
	s_cbranch_execnz .LBB30_1137
.LBB30_753:
	s_or_b64 exec, exec, s[16:17]
	v_cmp_gt_u32_e64 s[12:13], 16, v15
	s_and_saveexec_b64 s[16:17], s[12:13]
	s_cbranch_execz .LBB30_755
.LBB30_754:
	v_lshlrev_b32_e32 v25, 3, v0
	v_mov_b32_e32 v27, 0
	ds_read_b64 v[25:26], v25 offset:15872
	ds_read_b64 v[27:28], v27 offset:16120
	s_waitcnt lgkmcnt(0)
	v_fma_f64 v[11:12], v[25:26], v[27:28], v[11:12]
.LBB30_755:
	s_or_b64 exec, exec, s[16:17]
.LBB30_756:
	s_or_b64 exec, exec, s[14:15]
	s_mov_b64 s[12:13], exec
	v_readlane_b32 s14, v36, 5
	v_readlane_b32 s15, v36, 6
	s_and_b64 s[14:15], s[12:13], s[14:15]
	s_mov_b64 exec, s[14:15]
	s_cbranch_execz .LBB30_758
; %bb.757:
	v_mov_b32_e32 v25, 0
	ds_read_b64 v[25:26], v25 offset:7800
	s_waitcnt lgkmcnt(0)
	v_mul_f64 v[11:12], v[11:12], v[25:26]
	v_xor_b32_e32 v26, 0x80000000, v12
	v_mov_b32_e32 v25, v11
	ds_write_b64 v24, v[25:26]
.LBB30_758:
	s_or_b64 exec, exec, s[12:13]
	s_waitcnt lgkmcnt(0)
	s_barrier
	s_mov_b64 s[12:13], exec
	v_readlane_b32 s14, v36, 7
	v_readlane_b32 s15, v36, 8
	s_and_b64 s[14:15], s[12:13], s[14:15]
	s_mov_b64 exec, s[14:15]
	s_cbranch_execz .LBB30_760
; %bb.759:
	v_lshlrev_b32_e32 v25, 3, v22
	ds_read_b64 v[25:26], v25 offset:7680
	ds_read_b64 v[27:28], v24
	s_waitcnt lgkmcnt(0)
	v_fma_f64 v[11:12], -v[25:26], v[27:28], v[11:12]
.LBB30_760:
	s_or_b64 exec, exec, s[12:13]
	s_barrier
	s_mov_b64 s[12:13], exec
	v_readlane_b32 s14, v36, 9
	v_readlane_b32 s15, v36, 10
	s_and_b64 s[14:15], s[12:13], s[14:15]
	s_mov_b64 exec, s[14:15]
	s_cbranch_execz .LBB30_762
; %bb.761:
	v_mov_b32_e32 v25, 0
	ds_read_b64 v[25:26], v25 offset:7280
	s_waitcnt lgkmcnt(0)
	v_mul_f64 v[11:12], v[11:12], v[25:26]
	v_xor_b32_e32 v26, 0x80000000, v12
	v_mov_b32_e32 v25, v11
	ds_write_b64 v24, v[25:26]
.LBB30_762:
	s_or_b64 exec, exec, s[12:13]
	s_waitcnt lgkmcnt(0)
	s_barrier
	s_mov_b64 s[12:13], exec
	v_readlane_b32 s14, v36, 11
	v_readlane_b32 s15, v36, 12
	s_and_b64 s[14:15], s[12:13], s[14:15]
	s_mov_b64 exec, s[14:15]
	s_cbranch_execz .LBB30_764
; %bb.763:
	v_lshlrev_b32_e32 v25, 3, v22
	ds_read_b64 v[25:26], v25 offset:7168
	ds_read_b64 v[27:28], v24
	s_waitcnt lgkmcnt(0)
	v_fma_f64 v[11:12], -v[25:26], v[27:28], v[11:12]
.LBB30_764:
	s_or_b64 exec, exec, s[12:13]
	s_barrier
	;; [unrolled: 33-line block ×13, first 2 shown]
	s_mov_b64 s[12:13], exec
	v_readlane_b32 s14, v36, 57
	v_readlane_b32 s15, v36, 58
	s_and_b64 s[14:15], s[12:13], s[14:15]
	s_mov_b64 exec, s[14:15]
	s_cbranch_execz .LBB30_810
; %bb.809:
	v_mov_b32_e32 v25, 0
	ds_read_b64 v[25:26], v25 offset:1040
	s_waitcnt lgkmcnt(0)
	v_mul_f64 v[11:12], v[11:12], v[25:26]
	v_xor_b32_e32 v26, 0x80000000, v12
	v_mov_b32_e32 v25, v11
	ds_write_b64 v24, v[25:26]
.LBB30_810:
	s_or_b64 exec, exec, s[12:13]
	s_waitcnt lgkmcnt(0)
	s_barrier
	s_and_saveexec_b64 s[12:13], s[0:1]
	s_cbranch_execz .LBB30_812
; %bb.811:
	v_lshlrev_b32_e32 v25, 3, v22
	ds_read_b64 v[25:26], v25 offset:1024
	ds_read_b64 v[27:28], v24
	s_waitcnt lgkmcnt(0)
	v_fma_f64 v[11:12], -v[25:26], v[27:28], v[11:12]
.LBB30_812:
	s_or_b64 exec, exec, s[12:13]
	s_barrier
	s_mov_b64 s[0:1], exec
	v_readlane_b32 s12, v36, 59
	v_readlane_b32 s13, v36, 60
	s_and_b64 s[12:13], s[0:1], s[12:13]
	s_mov_b64 exec, s[12:13]
	s_cbranch_execz .LBB30_814
; %bb.813:
	v_mov_b32_e32 v25, 0
	ds_read_b64 v[25:26], v25 offset:520
	s_waitcnt lgkmcnt(0)
	v_mul_f64 v[11:12], v[11:12], v[25:26]
	v_xor_b32_e32 v26, 0x80000000, v12
	v_mov_b32_e32 v25, v11
	ds_write_b64 v24, v[25:26]
.LBB30_814:
	s_or_b64 exec, exec, s[0:1]
	s_waitcnt lgkmcnt(0)
	s_barrier
	s_and_saveexec_b64 s[0:1], s[94:95]
	s_cbranch_execz .LBB30_816
; %bb.815:
	v_mov_b32_e32 v25, 0
	ds_read_b64 v[25:26], v25 offset:512
	ds_read_b64 v[27:28], v24
	s_waitcnt lgkmcnt(0)
	v_fma_f64 v[11:12], -v[25:26], v[27:28], v[11:12]
.LBB30_816:
	s_or_b64 exec, exec, s[0:1]
	s_barrier
	s_and_saveexec_b64 s[0:1], s[94:95]
	s_cbranch_execz .LBB30_818
; %bb.817:
	v_mov_b32_e32 v25, 0
	ds_read_b64 v[25:26], v25
	s_waitcnt lgkmcnt(0)
	v_mul_f64 v[11:12], v[11:12], v[25:26]
	v_xor_b32_e32 v26, 0x80000000, v12
	v_mov_b32_e32 v25, v11
	ds_write_b64 v24, v[25:26]
.LBB30_818:
	s_or_b64 exec, exec, s[0:1]
	s_waitcnt lgkmcnt(0)
	s_barrier
	s_barrier
	s_and_saveexec_b64 s[0:1], s[10:11]
; %bb.819:
	v_lshlrev_b32_e32 v22, 3, v22
	v_lshl_or_b32 v22, v23, 9, v22
	ds_write_b64 v22, v[11:12] offset:8192
; %bb.820:
	s_or_b64 exec, exec, s[0:1]
	s_waitcnt lgkmcnt(0)
	s_barrier
	s_barrier
	s_mov_b64 s[0:1], exec
	v_readlane_b32 s10, v36, 61
	v_readlane_b32 s11, v36, 62
	s_and_b64 s[10:11], s[0:1], s[10:11]
	s_mov_b64 exec, s[10:11]
	s_cbranch_execz .LBB30_822
; %bb.821:
	v_lshlrev_b32_e32 v22, 9, v0
	ds_read_b64 v[11:12], v22 offset:8192
	s_movk_i32 s10, 0xfe08
	v_mad_i32_i24 v23, v0, s10, v22
	s_waitcnt lgkmcnt(0)
	ds_write_b64 v23, v[11:12] offset:128
	ds_read_b64 v[11:12], v22 offset:8200
	s_waitcnt lgkmcnt(0)
	ds_write_b64 v23, v[11:12] offset:640
	ds_read_b64 v[11:12], v22 offset:8208
	;; [unrolled: 3-line block ×15, first 2 shown]
	s_waitcnt lgkmcnt(0)
	ds_write_b64 v23, v[11:12] offset:7808
.LBB30_822:
	s_or_b64 exec, exec, s[0:1]
	s_waitcnt lgkmcnt(0)
	s_barrier
	s_and_saveexec_b64 s[0:1], vcc
	s_cbranch_execz .LBB30_824
; %bb.823:
	v_mov_b32_e32 v11, 0
	ds_read_b128 v[22:25], v11 offset:7792
	ds_read_b64 v[11:12], v11 offset:7280
	s_movk_i32 s10, 0x1800
	s_waitcnt lgkmcnt(0)
	v_mul_f64 v[11:12], v[11:12], v[24:25]
	v_mul_f64 v[11:12], v[22:23], v[11:12]
	v_add_u32_e64 v22, s10, 0
	ds_write2_b64 v22, v[11:12], v[11:12] offset0:143 offset1:206
.LBB30_824:
	s_or_b64 exec, exec, s[0:1]
	v_mov_b32_e32 v11, 0
	v_mov_b32_e32 v12, 0
	s_waitcnt lgkmcnt(0)
	s_barrier
	buffer_wbinvl1_vol
	s_and_saveexec_b64 s[0:1], s[2:3]
	s_cbranch_execz .LBB30_828
; %bb.825:
	v_lshlrev_b32_e32 v22, 9, v13
	v_lshlrev_b32_e32 v11, 3, v1
	ds_read_b64 v[11:12], v11 offset:7264
	ds_read_b64 v[22:23], v22 offset:7280
	v_cmp_gt_u32_e64 s[10:11], 2, v15
	s_waitcnt lgkmcnt(0)
	v_fma_f64 v[11:12], v[11:12], v[22:23], 0
	s_and_saveexec_b64 s[12:13], s[10:11]
	s_cbranch_execz .LBB30_827
; %bb.826:
	v_lshlrev_b32_e32 v22, 3, v0
	v_mov_b32_e32 v24, 0
	ds_read_b64 v[22:23], v22 offset:7776
	ds_read_b64 v[24:25], v24 offset:7800
	s_waitcnt lgkmcnt(0)
	v_fma_f64 v[11:12], v[22:23], v[24:25], v[11:12]
.LBB30_827:
	s_or_b64 exec, exec, s[12:13]
.LBB30_828:
	s_or_b64 exec, exec, s[0:1]
	s_and_saveexec_b64 s[0:1], s[30:31]
	s_cbranch_execz .LBB30_830
; %bb.829:
	v_mov_b32_e32 v22, 0
	ds_read_b64 v[22:23], v22 offset:6760
	s_waitcnt lgkmcnt(0)
	v_mul_f64 v[11:12], v[11:12], v[22:23]
	v_xor_b32_e32 v23, 0x80000000, v12
	v_mov_b32_e32 v22, v11
	ds_write_b64 v14, v[22:23]
.LBB30_830:
	s_or_b64 exec, exec, s[0:1]
	s_waitcnt lgkmcnt(0)
	s_barrier
	s_and_saveexec_b64 s[0:1], s[28:29]
	s_cbranch_execz .LBB30_832
; %bb.831:
	v_mov_b32_e32 v22, 0
	ds_read_b64 v[22:23], v22 offset:6752
	ds_read_b64 v[24:25], v14
	s_waitcnt lgkmcnt(0)
	v_fma_f64 v[11:12], -v[22:23], v[24:25], v[11:12]
.LBB30_832:
	s_or_b64 exec, exec, s[0:1]
	s_barrier
	s_and_saveexec_b64 s[0:1], s[28:29]
	s_cbranch_execz .LBB30_834
; %bb.833:
	v_mov_b32_e32 v22, 0
	ds_read_b64 v[22:23], v22 offset:6240
	s_waitcnt lgkmcnt(0)
	v_mul_f64 v[11:12], v[11:12], v[22:23]
	v_xor_b32_e32 v23, 0x80000000, v12
	v_mov_b32_e32 v22, v11
	ds_write_b64 v14, v[22:23]
.LBB30_834:
	s_or_b64 exec, exec, s[0:1]
	s_waitcnt lgkmcnt(0)
	s_barrier
	s_barrier
	s_and_saveexec_b64 s[0:1], s[2:3]
; %bb.835:
	v_lshlrev_b32_e32 v22, 3, v1
	v_lshl_or_b32 v22, v13, 9, v22
	ds_write_b64 v22, v[11:12] offset:7264
; %bb.836:
	s_or_b64 exec, exec, s[0:1]
	s_waitcnt lgkmcnt(0)
	s_barrier
	s_barrier
	s_and_saveexec_b64 s[0:1], s[34:35]
	s_cbranch_execz .LBB30_838
; %bb.837:
	v_lshlrev_b32_e32 v22, 3, v0
	s_movk_i32 s10, 0x1f8
	v_mad_u32_u24 v23, v0, s10, v22
	ds_read_b64 v[11:12], v23 offset:7264
	s_waitcnt lgkmcnt(0)
	ds_write_b64 v22, v[11:12] offset:6256
	ds_read_b64 v[11:12], v23 offset:7272
	s_waitcnt lgkmcnt(0)
	ds_write_b64 v22, v[11:12] offset:6768
.LBB30_838:
	s_or_b64 exec, exec, s[0:1]
	s_waitcnt lgkmcnt(0)
	s_barrier
	s_and_saveexec_b64 s[0:1], vcc
	s_cbranch_execz .LBB30_840
; %bb.839:
	v_mov_b32_e32 v11, 0
	ds_read_b128 v[22:25], v11 offset:6752
	ds_read_b64 v[11:12], v11 offset:6240
	s_movk_i32 s10, 0x1800
	s_waitcnt lgkmcnt(0)
	v_mul_f64 v[11:12], v[11:12], v[24:25]
	v_mul_f64 v[11:12], v[22:23], v[11:12]
	v_add_u32_e64 v22, s10, 0
	ds_write2_b64 v22, v[11:12], v[11:12] offset0:13 offset1:76
.LBB30_840:
	s_or_b64 exec, exec, s[0:1]
	v_mov_b32_e32 v11, 0
	v_mov_b32_e32 v12, 0
	s_waitcnt lgkmcnt(0)
	s_barrier
	buffer_wbinvl1_vol
	s_and_saveexec_b64 s[0:1], s[18:19]
	s_cbranch_execz .LBB30_846
; %bb.841:
	v_lshlrev_b32_e32 v23, 3, v16
	v_lshlrev_b32_e32 v22, 9, v17
	ds_read_b64 v[11:12], v23 offset:6208
	ds_read_b64 v[24:25], v22 offset:6240
	v_cmp_gt_u32_e64 s[10:11], 12, v15
	s_waitcnt lgkmcnt(0)
	v_fma_f64 v[11:12], v[11:12], v[24:25], 0
	s_and_saveexec_b64 s[12:13], s[10:11]
	s_cbranch_execnz .LBB30_1138
; %bb.842:
	s_or_b64 exec, exec, s[12:13]
	v_cmp_gt_u32_e64 s[10:11], 8, v15
	s_and_saveexec_b64 s[12:13], s[10:11]
	s_cbranch_execnz .LBB30_1139
.LBB30_843:
	s_or_b64 exec, exec, s[12:13]
	v_cmp_gt_u32_e64 s[10:11], 4, v15
	s_and_saveexec_b64 s[12:13], s[10:11]
	s_cbranch_execz .LBB30_845
.LBB30_844:
	v_lshlrev_b32_e32 v22, 3, v0
	v_mov_b32_e32 v24, 0
	ds_read_b64 v[22:23], v22 offset:7744
	ds_read_b64 v[24:25], v24 offset:7800
	s_waitcnt lgkmcnt(0)
	v_fma_f64 v[11:12], v[22:23], v[24:25], v[11:12]
.LBB30_845:
	s_or_b64 exec, exec, s[12:13]
.LBB30_846:
	s_or_b64 exec, exec, s[0:1]
	s_and_saveexec_b64 s[0:1], s[38:39]
	s_cbranch_execz .LBB30_848
; %bb.847:
	v_mov_b32_e32 v22, 0
	ds_read_b64 v[22:23], v22 offset:5720
	s_waitcnt lgkmcnt(0)
	v_mul_f64 v[11:12], v[11:12], v[22:23]
	v_xor_b32_e32 v23, 0x80000000, v12
	v_mov_b32_e32 v22, v11
	ds_write_b64 v18, v[22:23]
.LBB30_848:
	s_or_b64 exec, exec, s[0:1]
	s_waitcnt lgkmcnt(0)
	s_barrier
	s_and_saveexec_b64 s[0:1], s[42:43]
	s_cbranch_execz .LBB30_850
; %bb.849:
	v_lshlrev_b32_e32 v22, 3, v16
	ds_read_b64 v[22:23], v22 offset:5696
	ds_read_b64 v[24:25], v18
	s_waitcnt lgkmcnt(0)
	v_fma_f64 v[11:12], -v[22:23], v[24:25], v[11:12]
.LBB30_850:
	s_or_b64 exec, exec, s[0:1]
	s_barrier
	s_and_saveexec_b64 s[0:1], s[44:45]
	s_cbranch_execz .LBB30_852
; %bb.851:
	v_mov_b32_e32 v22, 0
	ds_read_b64 v[22:23], v22 offset:5200
	s_waitcnt lgkmcnt(0)
	v_mul_f64 v[11:12], v[11:12], v[22:23]
	v_xor_b32_e32 v23, 0x80000000, v12
	v_mov_b32_e32 v22, v11
	ds_write_b64 v18, v[22:23]
.LBB30_852:
	s_or_b64 exec, exec, s[0:1]
	s_waitcnt lgkmcnt(0)
	s_barrier
	s_and_saveexec_b64 s[0:1], s[52:53]
	s_cbranch_execz .LBB30_854
; %bb.853:
	v_lshlrev_b32_e32 v22, 3, v16
	ds_read_b64 v[22:23], v22 offset:5184
	ds_read_b64 v[24:25], v18
	s_waitcnt lgkmcnt(0)
	v_fma_f64 v[11:12], -v[22:23], v[24:25], v[11:12]
.LBB30_854:
	s_or_b64 exec, exec, s[0:1]
	s_barrier
	s_and_saveexec_b64 s[0:1], s[54:55]
	s_cbranch_execz .LBB30_856
; %bb.855:
	v_mov_b32_e32 v22, 0
	ds_read_b64 v[22:23], v22 offset:4680
	s_waitcnt lgkmcnt(0)
	v_mul_f64 v[11:12], v[11:12], v[22:23]
	v_xor_b32_e32 v23, 0x80000000, v12
	v_mov_b32_e32 v22, v11
	ds_write_b64 v18, v[22:23]
.LBB30_856:
	s_or_b64 exec, exec, s[0:1]
	s_waitcnt lgkmcnt(0)
	s_barrier
	s_and_saveexec_b64 s[0:1], s[36:37]
	s_cbranch_execz .LBB30_858
; %bb.857:
	v_mov_b32_e32 v22, 0
	ds_read_b64 v[22:23], v22 offset:4672
	ds_read_b64 v[24:25], v18
	s_waitcnt lgkmcnt(0)
	v_fma_f64 v[11:12], -v[22:23], v[24:25], v[11:12]
.LBB30_858:
	s_or_b64 exec, exec, s[0:1]
	s_barrier
	s_and_saveexec_b64 s[0:1], s[36:37]
	s_cbranch_execz .LBB30_860
; %bb.859:
	v_mov_b32_e32 v22, 0
	ds_read_b64 v[22:23], v22 offset:4160
	s_waitcnt lgkmcnt(0)
	v_mul_f64 v[11:12], v[11:12], v[22:23]
	v_xor_b32_e32 v23, 0x80000000, v12
	v_mov_b32_e32 v22, v11
	ds_write_b64 v18, v[22:23]
.LBB30_860:
	s_or_b64 exec, exec, s[0:1]
	s_waitcnt lgkmcnt(0)
	s_barrier
	s_barrier
	s_and_saveexec_b64 s[0:1], s[18:19]
; %bb.861:
	v_lshlrev_b32_e32 v22, 3, v16
	v_lshl_or_b32 v22, v17, 9, v22
	ds_write_b64 v22, v[11:12] offset:6208
; %bb.862:
	s_or_b64 exec, exec, s[0:1]
	s_waitcnt lgkmcnt(0)
	s_barrier
	s_barrier
	s_and_saveexec_b64 s[0:1], s[56:57]
	s_cbranch_execz .LBB30_864
; %bb.863:
	v_lshlrev_b32_e32 v22, 9, v0
	ds_read_b64 v[11:12], v22 offset:6208
	s_movk_i32 s10, 0xfe08
	v_mad_i32_i24 v23, v0, s10, v22
	s_waitcnt lgkmcnt(0)
	ds_write_b64 v23, v[11:12] offset:4192
	ds_read_b64 v[11:12], v22 offset:6216
	s_waitcnt lgkmcnt(0)
	ds_write_b64 v23, v[11:12] offset:4704
	ds_read_b64 v[11:12], v22 offset:6224
	;; [unrolled: 3-line block ×3, first 2 shown]
	s_waitcnt lgkmcnt(0)
	ds_write_b64 v23, v[11:12] offset:5728
.LBB30_864:
	s_or_b64 exec, exec, s[0:1]
	s_waitcnt lgkmcnt(0)
	s_barrier
	s_and_saveexec_b64 s[0:1], vcc
	s_cbranch_execz .LBB30_866
; %bb.865:
	v_mov_b32_e32 v11, 0
	ds_read_b128 v[22:25], v11 offset:5712
	ds_read_b64 v[11:12], v11 offset:5200
	s_movk_i32 s10, 0x1000
	s_waitcnt lgkmcnt(0)
	v_mul_f64 v[11:12], v[11:12], v[24:25]
	v_mul_f64 v[11:12], v[22:23], v[11:12]
	v_add_u32_e64 v22, s10, 0
	ds_write2_b64 v22, v[11:12], v[11:12] offset0:139 offset1:202
.LBB30_866:
	s_or_b64 exec, exec, s[0:1]
	v_mov_b32_e32 v11, 0
	v_mov_b32_e32 v12, 0
	s_waitcnt lgkmcnt(0)
	s_barrier
	buffer_wbinvl1_vol
	s_and_saveexec_b64 s[0:1], s[2:3]
	s_cbranch_execz .LBB30_870
; %bb.867:
	v_lshlrev_b32_e32 v22, 9, v13
	v_lshlrev_b32_e32 v11, 3, v1
	ds_read_b64 v[11:12], v11 offset:5184
	ds_read_b64 v[22:23], v22 offset:5200
	v_cmp_gt_u32_e64 s[10:11], 2, v15
	s_waitcnt lgkmcnt(0)
	v_fma_f64 v[11:12], v[11:12], v[22:23], 0
	s_and_saveexec_b64 s[12:13], s[10:11]
	s_cbranch_execz .LBB30_869
; %bb.868:
	v_lshlrev_b32_e32 v22, 3, v0
	v_mov_b32_e32 v24, 0
	ds_read_b64 v[22:23], v22 offset:5696
	ds_read_b64 v[24:25], v24 offset:5720
	s_waitcnt lgkmcnt(0)
	v_fma_f64 v[11:12], v[22:23], v[24:25], v[11:12]
.LBB30_869:
	s_or_b64 exec, exec, s[12:13]
.LBB30_870:
	s_or_b64 exec, exec, s[0:1]
	s_and_saveexec_b64 s[0:1], s[30:31]
	s_cbranch_execz .LBB30_872
; %bb.871:
	v_mov_b32_e32 v22, 0
	ds_read_b64 v[22:23], v22 offset:4680
	s_waitcnt lgkmcnt(0)
	v_mul_f64 v[11:12], v[11:12], v[22:23]
	v_xor_b32_e32 v23, 0x80000000, v12
	v_mov_b32_e32 v22, v11
	ds_write_b64 v14, v[22:23]
.LBB30_872:
	s_or_b64 exec, exec, s[0:1]
	s_waitcnt lgkmcnt(0)
	s_barrier
	s_and_saveexec_b64 s[0:1], s[28:29]
	s_cbranch_execz .LBB30_874
; %bb.873:
	v_mov_b32_e32 v22, 0
	ds_read_b64 v[22:23], v22 offset:4672
	ds_read_b64 v[24:25], v14
	s_waitcnt lgkmcnt(0)
	v_fma_f64 v[11:12], -v[22:23], v[24:25], v[11:12]
.LBB30_874:
	s_or_b64 exec, exec, s[0:1]
	s_barrier
	s_and_saveexec_b64 s[0:1], s[28:29]
	s_cbranch_execz .LBB30_876
; %bb.875:
	v_mov_b32_e32 v22, 0
	ds_read_b64 v[22:23], v22 offset:4160
	s_waitcnt lgkmcnt(0)
	v_mul_f64 v[11:12], v[11:12], v[22:23]
	v_xor_b32_e32 v23, 0x80000000, v12
	v_mov_b32_e32 v22, v11
	ds_write_b64 v14, v[22:23]
.LBB30_876:
	s_or_b64 exec, exec, s[0:1]
	s_waitcnt lgkmcnt(0)
	s_barrier
	s_barrier
	s_and_saveexec_b64 s[0:1], s[2:3]
; %bb.877:
	v_lshlrev_b32_e32 v22, 3, v1
	v_lshl_or_b32 v22, v13, 9, v22
	ds_write_b64 v22, v[11:12] offset:5184
; %bb.878:
	s_or_b64 exec, exec, s[0:1]
	s_waitcnt lgkmcnt(0)
	s_barrier
	s_barrier
	s_and_saveexec_b64 s[0:1], s[34:35]
	s_cbranch_execz .LBB30_880
; %bb.879:
	v_lshlrev_b32_e32 v22, 3, v0
	s_movk_i32 s10, 0x1f8
	v_mad_u32_u24 v23, v0, s10, v22
	ds_read_b64 v[11:12], v23 offset:5184
	s_waitcnt lgkmcnt(0)
	ds_write_b64 v22, v[11:12] offset:4176
	ds_read_b64 v[11:12], v23 offset:5192
	s_waitcnt lgkmcnt(0)
	ds_write_b64 v22, v[11:12] offset:4688
.LBB30_880:
	s_or_b64 exec, exec, s[0:1]
	s_waitcnt lgkmcnt(0)
	s_barrier
	s_and_saveexec_b64 s[0:1], vcc
	s_cbranch_execz .LBB30_882
; %bb.881:
	v_mov_b32_e32 v11, 0
	ds_read_b128 v[22:25], v11 offset:4672
	ds_read_b64 v[11:12], v11 offset:4160
	s_movk_i32 s10, 0x1000
	s_waitcnt lgkmcnt(0)
	v_mul_f64 v[11:12], v[11:12], v[24:25]
	v_mul_f64 v[11:12], v[22:23], v[11:12]
	v_add_u32_e64 v22, s10, 0
	ds_write2_b64 v22, v[11:12], v[11:12] offset0:9 offset1:72
.LBB30_882:
	s_or_b64 exec, exec, s[0:1]
	v_mov_b32_e32 v11, 0
	v_mov_b32_e32 v12, 0
	s_waitcnt lgkmcnt(0)
	s_barrier
	buffer_wbinvl1_vol
	s_and_saveexec_b64 s[0:1], s[8:9]
	s_cbranch_execz .LBB30_892
; %bb.883:
	v_lshlrev_b32_e32 v23, 3, v19
	v_lshlrev_b32_e32 v22, 9, v20
	ds_read_b64 v[11:12], v23 offset:4096
	ds_read_b64 v[24:25], v22 offset:4160
	v_cmp_gt_u32_e64 s[10:11], 56, v15
	s_waitcnt lgkmcnt(0)
	v_fma_f64 v[11:12], v[11:12], v[24:25], 0
	s_and_saveexec_b64 s[12:13], s[10:11]
	s_cbranch_execnz .LBB30_1140
; %bb.884:
	s_or_b64 exec, exec, s[12:13]
	v_cmp_gt_u32_e64 s[10:11], 48, v15
	s_and_saveexec_b64 s[12:13], s[10:11]
	s_cbranch_execnz .LBB30_1141
.LBB30_885:
	s_or_b64 exec, exec, s[12:13]
	v_cmp_gt_u32_e64 s[10:11], 40, v15
	s_and_saveexec_b64 s[12:13], s[10:11]
	s_cbranch_execnz .LBB30_1142
.LBB30_886:
	s_or_b64 exec, exec, s[12:13]
	v_cmp_gt_u32_e64 s[10:11], 32, v15
	s_and_saveexec_b64 s[12:13], s[10:11]
	s_cbranch_execnz .LBB30_1143
.LBB30_887:
	s_or_b64 exec, exec, s[12:13]
	v_cmp_gt_u32_e64 s[10:11], 24, v15
	s_and_saveexec_b64 s[12:13], s[10:11]
	s_cbranch_execnz .LBB30_1144
.LBB30_888:
	s_or_b64 exec, exec, s[12:13]
	s_and_saveexec_b64 s[10:11], s[18:19]
	s_cbranch_execnz .LBB30_1145
.LBB30_889:
	s_or_b64 exec, exec, s[10:11]
	v_cmp_gt_u32_e64 s[10:11], 8, v15
	s_and_saveexec_b64 s[12:13], s[10:11]
	s_cbranch_execz .LBB30_891
.LBB30_890:
	v_lshlrev_b32_e32 v22, 3, v0
	v_mov_b32_e32 v24, 0
	ds_read_b64 v[22:23], v22 offset:7680
	ds_read_b64 v[24:25], v24 offset:7800
	s_waitcnt lgkmcnt(0)
	v_fma_f64 v[11:12], v[22:23], v[24:25], v[11:12]
.LBB30_891:
	s_or_b64 exec, exec, s[12:13]
.LBB30_892:
	s_or_b64 exec, exec, s[0:1]
	s_and_saveexec_b64 s[0:1], s[58:59]
	s_cbranch_execz .LBB30_894
; %bb.893:
	v_mov_b32_e32 v22, 0
	ds_read_b64 v[22:23], v22 offset:3640
	s_waitcnt lgkmcnt(0)
	v_mul_f64 v[11:12], v[11:12], v[22:23]
	v_xor_b32_e32 v23, 0x80000000, v12
	v_mov_b32_e32 v22, v11
	ds_write_b64 v21, v[22:23]
.LBB30_894:
	s_or_b64 exec, exec, s[0:1]
	s_waitcnt lgkmcnt(0)
	s_barrier
	s_and_saveexec_b64 s[0:1], s[60:61]
	v_readlane_b32 s26, v36, 3
	v_readlane_b32 s58, v36, 1
	;; [unrolled: 1-line block ×4, first 2 shown]
	s_cbranch_execz .LBB30_896
; %bb.895:
	v_lshlrev_b32_e32 v22, 3, v19
	ds_read_b64 v[22:23], v22 offset:3584
	ds_read_b64 v[24:25], v21
	s_waitcnt lgkmcnt(0)
	v_fma_f64 v[11:12], -v[22:23], v[24:25], v[11:12]
.LBB30_896:
	s_or_b64 exec, exec, s[0:1]
	s_barrier
	s_and_saveexec_b64 s[0:1], s[62:63]
	s_cbranch_execz .LBB30_898
; %bb.897:
	v_mov_b32_e32 v22, 0
	ds_read_b64 v[22:23], v22 offset:3120
	s_waitcnt lgkmcnt(0)
	v_mul_f64 v[11:12], v[11:12], v[22:23]
	v_xor_b32_e32 v23, 0x80000000, v12
	v_mov_b32_e32 v22, v11
	ds_write_b64 v21, v[22:23]
.LBB30_898:
	s_or_b64 exec, exec, s[0:1]
	s_waitcnt lgkmcnt(0)
	s_barrier
	s_and_saveexec_b64 s[0:1], s[64:65]
	s_cbranch_execz .LBB30_900
; %bb.899:
	v_lshlrev_b32_e32 v22, 3, v19
	ds_read_b64 v[22:23], v22 offset:3072
	ds_read_b64 v[24:25], v21
	s_waitcnt lgkmcnt(0)
	v_fma_f64 v[11:12], -v[22:23], v[24:25], v[11:12]
.LBB30_900:
	s_or_b64 exec, exec, s[0:1]
	s_barrier
	s_and_saveexec_b64 s[0:1], s[66:67]
	s_cbranch_execz .LBB30_902
; %bb.901:
	v_mov_b32_e32 v22, 0
	ds_read_b64 v[22:23], v22 offset:2600
	s_waitcnt lgkmcnt(0)
	v_mul_f64 v[11:12], v[11:12], v[22:23]
	v_xor_b32_e32 v23, 0x80000000, v12
	v_mov_b32_e32 v22, v11
	ds_write_b64 v21, v[22:23]
.LBB30_902:
	s_or_b64 exec, exec, s[0:1]
	s_waitcnt lgkmcnt(0)
	s_barrier
	s_and_saveexec_b64 s[0:1], s[70:71]
	;; [unrolled: 25-line block ×6, first 2 shown]
	s_cbranch_execz .LBB30_920
; %bb.919:
	v_mov_b32_e32 v22, 0
	ds_read_b64 v[22:23], v22 offset:512
	ds_read_b64 v[24:25], v21
	s_waitcnt lgkmcnt(0)
	v_fma_f64 v[11:12], -v[22:23], v[24:25], v[11:12]
.LBB30_920:
	s_or_b64 exec, exec, s[0:1]
	s_barrier
	s_and_saveexec_b64 s[0:1], s[68:69]
	s_cbranch_execz .LBB30_922
; %bb.921:
	v_mov_b32_e32 v22, 0
	ds_read_b64 v[22:23], v22
	s_waitcnt lgkmcnt(0)
	v_mul_f64 v[11:12], v[11:12], v[22:23]
	v_xor_b32_e32 v23, 0x80000000, v12
	v_mov_b32_e32 v22, v11
	ds_write_b64 v21, v[22:23]
.LBB30_922:
	s_or_b64 exec, exec, s[0:1]
	s_waitcnt lgkmcnt(0)
	s_barrier
	s_barrier
	s_and_saveexec_b64 s[0:1], s[8:9]
; %bb.923:
	v_lshlrev_b32_e32 v19, 3, v19
	v_lshl_or_b32 v19, v20, 9, v19
	ds_write_b64 v19, v[11:12] offset:4096
; %bb.924:
	s_or_b64 exec, exec, s[0:1]
	s_waitcnt lgkmcnt(0)
	s_barrier
	s_barrier
	s_and_saveexec_b64 s[0:1], s[86:87]
	s_cbranch_execz .LBB30_926
; %bb.925:
	v_lshlrev_b32_e32 v19, 9, v0
	ds_read_b64 v[11:12], v19 offset:4096
	s_movk_i32 s8, 0xfe08
	v_mad_i32_i24 v20, v0, s8, v19
	s_waitcnt lgkmcnt(0)
	ds_write_b64 v20, v[11:12] offset:64
	ds_read_b64 v[11:12], v19 offset:4104
	s_waitcnt lgkmcnt(0)
	ds_write_b64 v20, v[11:12] offset:576
	ds_read_b64 v[11:12], v19 offset:4112
	;; [unrolled: 3-line block ×7, first 2 shown]
	s_waitcnt lgkmcnt(0)
	ds_write_b64 v20, v[11:12] offset:3648
.LBB30_926:
	s_or_b64 exec, exec, s[0:1]
	s_waitcnt lgkmcnt(0)
	s_barrier
	s_and_saveexec_b64 s[0:1], vcc
	s_cbranch_execz .LBB30_928
; %bb.927:
	v_mov_b32_e32 v11, 0
	ds_read_b128 v[19:22], v11 offset:3632
	ds_read_b64 v[11:12], v11 offset:3120
	s_movk_i32 s8, 0x800
	s_waitcnt lgkmcnt(0)
	v_mul_f64 v[11:12], v[11:12], v[21:22]
	v_mul_f64 v[11:12], v[19:20], v[11:12]
	v_add_u32_e64 v19, s8, 0
	ds_write2_b64 v19, v[11:12], v[11:12] offset0:135 offset1:198
.LBB30_928:
	s_or_b64 exec, exec, s[0:1]
	v_mov_b32_e32 v11, 0
	v_mov_b32_e32 v12, 0
	s_waitcnt lgkmcnt(0)
	s_barrier
	buffer_wbinvl1_vol
	s_and_saveexec_b64 s[0:1], s[2:3]
	s_cbranch_execz .LBB30_932
; %bb.929:
	v_lshlrev_b32_e32 v19, 9, v13
	v_lshlrev_b32_e32 v11, 3, v1
	ds_read_b64 v[11:12], v11 offset:3104
	ds_read_b64 v[19:20], v19 offset:3120
	v_cmp_gt_u32_e64 s[8:9], 2, v15
	s_waitcnt lgkmcnt(0)
	v_fma_f64 v[11:12], v[11:12], v[19:20], 0
	s_and_saveexec_b64 s[10:11], s[8:9]
	s_cbranch_execz .LBB30_931
; %bb.930:
	v_lshlrev_b32_e32 v19, 3, v0
	v_mov_b32_e32 v21, 0
	ds_read_b64 v[19:20], v19 offset:3616
	ds_read_b64 v[21:22], v21 offset:3640
	s_waitcnt lgkmcnt(0)
	v_fma_f64 v[11:12], v[19:20], v[21:22], v[11:12]
.LBB30_931:
	s_or_b64 exec, exec, s[10:11]
.LBB30_932:
	s_or_b64 exec, exec, s[0:1]
	s_and_saveexec_b64 s[0:1], s[30:31]
	s_cbranch_execz .LBB30_934
; %bb.933:
	v_mov_b32_e32 v19, 0
	ds_read_b64 v[19:20], v19 offset:2600
	s_waitcnt lgkmcnt(0)
	v_mul_f64 v[11:12], v[11:12], v[19:20]
	v_xor_b32_e32 v20, 0x80000000, v12
	v_mov_b32_e32 v19, v11
	ds_write_b64 v14, v[19:20]
.LBB30_934:
	s_or_b64 exec, exec, s[0:1]
	s_waitcnt lgkmcnt(0)
	s_barrier
	s_and_saveexec_b64 s[0:1], s[28:29]
	s_cbranch_execz .LBB30_936
; %bb.935:
	v_mov_b32_e32 v19, 0
	ds_read_b64 v[19:20], v19 offset:2592
	ds_read_b64 v[21:22], v14
	s_waitcnt lgkmcnt(0)
	v_fma_f64 v[11:12], -v[19:20], v[21:22], v[11:12]
.LBB30_936:
	s_or_b64 exec, exec, s[0:1]
	s_barrier
	s_and_saveexec_b64 s[0:1], s[28:29]
	s_cbranch_execz .LBB30_938
; %bb.937:
	v_mov_b32_e32 v19, 0
	ds_read_b64 v[19:20], v19 offset:2080
	s_waitcnt lgkmcnt(0)
	v_mul_f64 v[11:12], v[11:12], v[19:20]
	v_xor_b32_e32 v20, 0x80000000, v12
	v_mov_b32_e32 v19, v11
	ds_write_b64 v14, v[19:20]
.LBB30_938:
	s_or_b64 exec, exec, s[0:1]
	s_waitcnt lgkmcnt(0)
	s_barrier
	s_barrier
	s_and_saveexec_b64 s[0:1], s[2:3]
; %bb.939:
	v_lshlrev_b32_e32 v19, 3, v1
	v_lshl_or_b32 v19, v13, 9, v19
	ds_write_b64 v19, v[11:12] offset:3104
; %bb.940:
	s_or_b64 exec, exec, s[0:1]
	s_waitcnt lgkmcnt(0)
	s_barrier
	s_barrier
	s_and_saveexec_b64 s[0:1], s[34:35]
	s_cbranch_execz .LBB30_942
; %bb.941:
	v_lshlrev_b32_e32 v19, 3, v0
	s_movk_i32 s8, 0x1f8
	v_mad_u32_u24 v20, v0, s8, v19
	ds_read_b64 v[11:12], v20 offset:3104
	s_waitcnt lgkmcnt(0)
	ds_write_b64 v19, v[11:12] offset:2096
	ds_read_b64 v[11:12], v20 offset:3112
	s_waitcnt lgkmcnt(0)
	ds_write_b64 v19, v[11:12] offset:2608
.LBB30_942:
	s_or_b64 exec, exec, s[0:1]
	s_waitcnt lgkmcnt(0)
	s_barrier
	s_and_saveexec_b64 s[0:1], vcc
	s_cbranch_execz .LBB30_944
; %bb.943:
	v_mov_b32_e32 v11, 0
	ds_read_b128 v[19:22], v11 offset:2592
	ds_read_b64 v[11:12], v11 offset:2080
	s_movk_i32 s8, 0x800
	s_waitcnt lgkmcnt(0)
	v_mul_f64 v[11:12], v[11:12], v[21:22]
	v_mul_f64 v[11:12], v[19:20], v[11:12]
	v_add_u32_e64 v19, s8, 0
	ds_write2_b64 v19, v[11:12], v[11:12] offset0:5 offset1:68
.LBB30_944:
	s_or_b64 exec, exec, s[0:1]
	v_mov_b32_e32 v11, 0
	v_mov_b32_e32 v12, 0
	s_waitcnt lgkmcnt(0)
	s_barrier
	buffer_wbinvl1_vol
	s_and_saveexec_b64 s[0:1], s[18:19]
	s_cbranch_execz .LBB30_950
; %bb.945:
	v_lshlrev_b32_e32 v20, 3, v16
	v_lshlrev_b32_e32 v19, 9, v17
	ds_read_b64 v[11:12], v20 offset:2048
	ds_read_b64 v[21:22], v19 offset:2080
	v_cmp_gt_u32_e64 s[8:9], 12, v15
	s_waitcnt lgkmcnt(0)
	v_fma_f64 v[11:12], v[11:12], v[21:22], 0
	s_and_saveexec_b64 s[10:11], s[8:9]
	s_cbranch_execnz .LBB30_1146
; %bb.946:
	s_or_b64 exec, exec, s[10:11]
	v_cmp_gt_u32_e64 s[8:9], 8, v15
	s_and_saveexec_b64 s[10:11], s[8:9]
	s_cbranch_execnz .LBB30_1147
.LBB30_947:
	s_or_b64 exec, exec, s[10:11]
	v_cmp_gt_u32_e64 s[8:9], 4, v15
	s_and_saveexec_b64 s[10:11], s[8:9]
	s_cbranch_execz .LBB30_949
.LBB30_948:
	v_lshlrev_b32_e32 v19, 3, v0
	v_mov_b32_e32 v21, 0
	ds_read_b64 v[19:20], v19 offset:3584
	ds_read_b64 v[21:22], v21 offset:3640
	s_waitcnt lgkmcnt(0)
	v_fma_f64 v[11:12], v[19:20], v[21:22], v[11:12]
.LBB30_949:
	s_or_b64 exec, exec, s[10:11]
.LBB30_950:
	s_or_b64 exec, exec, s[0:1]
	s_and_saveexec_b64 s[0:1], s[38:39]
	s_cbranch_execz .LBB30_952
; %bb.951:
	v_mov_b32_e32 v19, 0
	ds_read_b64 v[19:20], v19 offset:1560
	s_waitcnt lgkmcnt(0)
	v_mul_f64 v[11:12], v[11:12], v[19:20]
	v_xor_b32_e32 v20, 0x80000000, v12
	v_mov_b32_e32 v19, v11
	ds_write_b64 v18, v[19:20]
.LBB30_952:
	s_or_b64 exec, exec, s[0:1]
	s_waitcnt lgkmcnt(0)
	s_barrier
	s_and_saveexec_b64 s[0:1], s[42:43]
	v_readlane_b32 s38, v36, 0
	s_cbranch_execz .LBB30_954
; %bb.953:
	v_lshlrev_b32_e32 v19, 3, v16
	ds_read_b64 v[19:20], v19 offset:1536
	ds_read_b64 v[21:22], v18
	s_waitcnt lgkmcnt(0)
	v_fma_f64 v[11:12], -v[19:20], v[21:22], v[11:12]
.LBB30_954:
	s_or_b64 exec, exec, s[0:1]
	s_barrier
	s_and_saveexec_b64 s[0:1], s[44:45]
	s_cbranch_execz .LBB30_956
; %bb.955:
	v_mov_b32_e32 v19, 0
	ds_read_b64 v[19:20], v19 offset:1040
	s_waitcnt lgkmcnt(0)
	v_mul_f64 v[11:12], v[11:12], v[19:20]
	v_xor_b32_e32 v20, 0x80000000, v12
	v_mov_b32_e32 v19, v11
	ds_write_b64 v18, v[19:20]
.LBB30_956:
	s_or_b64 exec, exec, s[0:1]
	s_waitcnt lgkmcnt(0)
	s_barrier
	s_and_saveexec_b64 s[0:1], s[52:53]
	s_cbranch_execz .LBB30_958
; %bb.957:
	v_lshlrev_b32_e32 v19, 3, v16
	ds_read_b64 v[19:20], v19 offset:1024
	ds_read_b64 v[21:22], v18
	s_waitcnt lgkmcnt(0)
	v_fma_f64 v[11:12], -v[19:20], v[21:22], v[11:12]
.LBB30_958:
	s_or_b64 exec, exec, s[0:1]
	s_barrier
	s_and_saveexec_b64 s[0:1], s[54:55]
	s_cbranch_execz .LBB30_960
; %bb.959:
	v_mov_b32_e32 v19, 0
	ds_read_b64 v[19:20], v19 offset:520
	s_waitcnt lgkmcnt(0)
	v_mul_f64 v[11:12], v[11:12], v[19:20]
	v_xor_b32_e32 v20, 0x80000000, v12
	v_mov_b32_e32 v19, v11
	ds_write_b64 v18, v[19:20]
.LBB30_960:
	s_or_b64 exec, exec, s[0:1]
	s_waitcnt lgkmcnt(0)
	s_barrier
	s_and_saveexec_b64 s[0:1], s[36:37]
	s_cbranch_execz .LBB30_962
; %bb.961:
	v_mov_b32_e32 v19, 0
	ds_read_b64 v[19:20], v19 offset:512
	ds_read_b64 v[21:22], v18
	s_waitcnt lgkmcnt(0)
	v_fma_f64 v[11:12], -v[19:20], v[21:22], v[11:12]
.LBB30_962:
	s_or_b64 exec, exec, s[0:1]
	s_barrier
	s_and_saveexec_b64 s[0:1], s[36:37]
	s_cbranch_execz .LBB30_964
; %bb.963:
	v_mov_b32_e32 v19, 0
	ds_read_b64 v[19:20], v19
	s_waitcnt lgkmcnt(0)
	v_mul_f64 v[11:12], v[11:12], v[19:20]
	v_xor_b32_e32 v20, 0x80000000, v12
	v_mov_b32_e32 v19, v11
	ds_write_b64 v18, v[19:20]
.LBB30_964:
	s_or_b64 exec, exec, s[0:1]
	s_waitcnt lgkmcnt(0)
	s_barrier
	s_barrier
	s_and_saveexec_b64 s[0:1], s[18:19]
; %bb.965:
	v_lshlrev_b32_e32 v16, 3, v16
	v_lshl_or_b32 v16, v17, 9, v16
	ds_write_b64 v16, v[11:12] offset:2048
; %bb.966:
	s_or_b64 exec, exec, s[0:1]
	s_waitcnt lgkmcnt(0)
	s_barrier
	s_barrier
	s_and_saveexec_b64 s[0:1], s[56:57]
	s_cbranch_execz .LBB30_968
; %bb.967:
	v_lshlrev_b32_e32 v16, 9, v0
	ds_read_b64 v[11:12], v16 offset:2048
	s_movk_i32 s8, 0xfe08
	v_mad_i32_i24 v17, v0, s8, v16
	s_waitcnt lgkmcnt(0)
	ds_write_b64 v17, v[11:12] offset:32
	ds_read_b64 v[11:12], v16 offset:2056
	s_waitcnt lgkmcnt(0)
	ds_write_b64 v17, v[11:12] offset:544
	ds_read_b64 v[11:12], v16 offset:2064
	;; [unrolled: 3-line block ×3, first 2 shown]
	s_waitcnt lgkmcnt(0)
	ds_write_b64 v17, v[11:12] offset:1568
.LBB30_968:
	s_or_b64 exec, exec, s[0:1]
	s_waitcnt lgkmcnt(0)
	s_barrier
	s_and_saveexec_b64 s[0:1], vcc
	s_cbranch_execz .LBB30_970
; %bb.969:
	v_mov_b32_e32 v20, 0
	ds_read_b128 v[16:19], v20 offset:1552
	ds_read_b64 v[11:12], v20 offset:1040
	s_waitcnt lgkmcnt(0)
	v_mul_f64 v[11:12], v[11:12], v[18:19]
	v_mul_f64 v[11:12], v[16:17], v[11:12]
	ds_write2_b64 v20, v[11:12], v[11:12] offset0:131 offset1:194
.LBB30_970:
	s_or_b64 exec, exec, s[0:1]
	v_mov_b32_e32 v11, 0
	v_mov_b32_e32 v12, 0
	s_waitcnt lgkmcnt(0)
	s_barrier
	buffer_wbinvl1_vol
	s_and_saveexec_b64 s[0:1], s[2:3]
	s_cbranch_execz .LBB30_974
; %bb.971:
	v_lshlrev_b32_e32 v16, 9, v13
	v_lshlrev_b32_e32 v11, 3, v1
	ds_read_b64 v[11:12], v11 offset:1024
	ds_read_b64 v[16:17], v16 offset:1040
	v_cmp_gt_u32_e64 s[8:9], 2, v15
	s_waitcnt lgkmcnt(0)
	v_fma_f64 v[11:12], v[11:12], v[16:17], 0
	s_and_saveexec_b64 s[10:11], s[8:9]
	s_cbranch_execz .LBB30_973
; %bb.972:
	v_lshlrev_b32_e32 v15, 3, v0
	v_mov_b32_e32 v17, 0
	ds_read_b64 v[15:16], v15 offset:1536
	ds_read_b64 v[17:18], v17 offset:1560
	s_waitcnt lgkmcnt(0)
	v_fma_f64 v[11:12], v[15:16], v[17:18], v[11:12]
.LBB30_973:
	s_or_b64 exec, exec, s[10:11]
.LBB30_974:
	s_or_b64 exec, exec, s[0:1]
	s_and_saveexec_b64 s[0:1], s[30:31]
	s_cbranch_execz .LBB30_976
; %bb.975:
	v_mov_b32_e32 v15, 0
	ds_read_b64 v[15:16], v15 offset:520
	s_waitcnt lgkmcnt(0)
	v_mul_f64 v[11:12], v[11:12], v[15:16]
	v_xor_b32_e32 v16, 0x80000000, v12
	v_mov_b32_e32 v15, v11
	ds_write_b64 v14, v[15:16]
.LBB30_976:
	s_or_b64 exec, exec, s[0:1]
	s_waitcnt lgkmcnt(0)
	s_barrier
	s_and_saveexec_b64 s[0:1], s[28:29]
	s_cbranch_execz .LBB30_978
; %bb.977:
	v_mov_b32_e32 v15, 0
	ds_read_b64 v[15:16], v15 offset:512
	ds_read_b64 v[17:18], v14
	s_waitcnt lgkmcnt(0)
	v_fma_f64 v[11:12], -v[15:16], v[17:18], v[11:12]
.LBB30_978:
	s_or_b64 exec, exec, s[0:1]
	s_barrier
	s_and_saveexec_b64 s[0:1], s[28:29]
	s_cbranch_execz .LBB30_980
; %bb.979:
	v_mov_b32_e32 v15, 0
	ds_read_b64 v[15:16], v15
	s_waitcnt lgkmcnt(0)
	v_mul_f64 v[11:12], v[11:12], v[15:16]
	v_xor_b32_e32 v16, 0x80000000, v12
	v_mov_b32_e32 v15, v11
	ds_write_b64 v14, v[15:16]
.LBB30_980:
	s_or_b64 exec, exec, s[0:1]
	s_waitcnt lgkmcnt(0)
	s_barrier
	s_barrier
	s_and_saveexec_b64 s[0:1], s[2:3]
; %bb.981:
	v_lshlrev_b32_e32 v1, 3, v1
	v_lshl_or_b32 v1, v13, 9, v1
	ds_write_b64 v1, v[11:12] offset:1024
; %bb.982:
	s_or_b64 exec, exec, s[0:1]
	s_waitcnt lgkmcnt(0)
	s_barrier
	s_barrier
	s_and_saveexec_b64 s[0:1], s[34:35]
	s_cbranch_execz .LBB30_984
; %bb.983:
	v_lshlrev_b32_e32 v1, 3, v0
	s_movk_i32 s2, 0x1f8
	v_mad_u32_u24 v13, v0, s2, v1
	ds_read_b64 v[11:12], v13 offset:1024
	s_waitcnt lgkmcnt(0)
	ds_write_b64 v1, v[11:12] offset:16
	ds_read_b64 v[11:12], v13 offset:1032
	s_waitcnt lgkmcnt(0)
	ds_write_b64 v1, v[11:12] offset:528
.LBB30_984:
	s_or_b64 exec, exec, s[0:1]
	s_waitcnt lgkmcnt(0)
	s_barrier
	s_and_saveexec_b64 s[0:1], vcc
	s_cbranch_execz .LBB30_986
; %bb.985:
	v_mov_b32_e32 v1, 0
	ds_read_b128 v[11:14], v1 offset:512
	ds_read_b64 v[15:16], v1
	s_waitcnt lgkmcnt(0)
	v_mul_f64 v[13:14], v[15:16], v[13:14]
	v_mul_f64 v[11:12], v[11:12], v[13:14]
	ds_write2_b64 v1, v[11:12], v[11:12] offset0:1 offset1:64
.LBB30_986:
	s_or_b64 exec, exec, s[0:1]
.LBB30_987:
	s_load_dwordx4 s[12:15], s[4:5], 0x48
	v_cmp_le_i32_e32 vcc, s88, v0
	v_mov_b32_e32 v11, 0
	v_mov_b32_e32 v12, 0
	v_add_u32_e32 v13, s33, v0
	s_waitcnt lgkmcnt(0)
	s_mul_i32 s1, s13, s22
	s_mul_hi_u32 s2, s12, s22
	s_mul_i32 s0, s12, s22
	s_add_i32 s1, s2, s1
	s_lshl_b64 s[0:1], s[0:1], 3
	s_add_u32 s2, s46, s0
	s_addc_u32 s3, s47, s1
	s_lshl_b64 s[0:1], s[48:49], 3
	s_add_u32 s20, s2, s0
	s_addc_u32 s21, s3, s1
	s_and_b64 s[16:17], vcc, s[24:25]
	v_cmp_eq_u32_e64 s[2:3], 0, v2
	s_xor_b64 s[0:1], s[16:17], -1
	s_and_b64 s[4:5], s[2:3], s[0:1]
	s_barrier
	s_and_saveexec_b64 s[0:1], s[4:5]
	s_cbranch_execz .LBB30_989
; %bb.988:
	v_ashrrev_i32_e32 v1, 31, v13
	v_mul_lo_u32 v14, s51, v13
	v_mad_u64_u32 v[11:12], s[4:5], s50, v13, 0
	v_mul_lo_u32 v1, s50, v1
	v_add3_u32 v12, v12, v1, v14
	v_lshlrev_b64 v[11:12], 3, v[11:12]
	v_mov_b32_e32 v1, s21
	v_add_co_u32_e32 v11, vcc, s20, v11
	v_addc_co_u32_e32 v12, vcc, v1, v12, vcc
	global_load_dwordx2 v[11:12], v[11:12], off
	s_waitcnt vmcnt(0)
	v_mul_f64 v[11:12], v[11:12], -s[26:27]
.LBB30_989:
	s_or_b64 exec, exec, s[0:1]
	s_and_b32 s0, 0xffff, s91
	v_mad_u32_u24 v19, v2, s0, v0
	v_mov_b32_e32 v14, 0
	s_cmp_lt_i32 s6, 1
	v_cmp_eq_u32_e64 s[4:5], 0, v19
	s_cbranch_scc1 .LBB30_1015
; %bb.990:
	v_mad_u64_u32 v[15:16], s[0:1], s40, v13, 0
	v_cmp_gt_i32_e64 s[8:9], s7, v13
	s_mov_b32 s26, 0
	v_mov_b32_e32 v1, v16
	v_mad_u64_u32 v[16:17], s[0:1], s41, v13, v[1:2]
	s_lshl_b64 s[0:1], s[22:23], 2
	s_add_u32 s0, s14, s0
	v_lshlrev_b64 v[15:16], 3, v[15:16]
	v_mov_b32_e32 v17, 0xa000
	v_mov_b32_e32 v13, s90
	v_add_co_u32_e32 v21, vcc, s89, v15
	s_addc_u32 s1, s15, s1
	v_cmp_gt_u32_e64 s[12:13], 64, v19
	v_lshl_add_u32 v1, v19, 3, v17
	v_lshl_or_b32 v20, v2, 3, v17
	s_add_i32 s27, s6, -1
	v_addc_co_u32_e32 v22, vcc, v13, v16, vcc
	v_mov_b32_e32 v23, -1
	s_branch .LBB30_993
.LBB30_991:                             ;   in Loop: Header=BB30_993 Depth=1
	ds_read_b64 v[15:16], v20 offset:384
	s_waitcnt vmcnt(0) lgkmcnt(0)
	v_fma_f64 v[11:12], v[17:18], v[15:16], v[11:12]
.LBB30_992:                             ;   in Loop: Header=BB30_993 Depth=1
	s_or_b64 exec, exec, s[18:19]
	s_add_i32 s26, s26, 1
	s_cmp_eq_u32 s26, s6
	s_cbranch_scc1 .LBB30_1015
.LBB30_993:                             ; =>This Loop Header: Depth=1
                                        ;     Child Loop BB30_995 Depth 2
	v_cmp_gt_i32_e32 vcc, s26, v23
	s_and_b64 s[18:19], s[4:5], vcc
	s_and_saveexec_b64 s[10:11], s[18:19]
	s_cbranch_execz .LBB30_996
; %bb.994:                              ;   in Loop: Header=BB30_993 Depth=1
	global_load_dword v23, v14, s[0:1]
	s_waitcnt vmcnt(0)
	v_cmp_le_i32_e32 vcc, s26, v23
	s_cbranch_vccnz .LBB30_996
.LBB30_995:                             ;   Parent Loop BB30_993 Depth=1
                                        ; =>  This Inner Loop Header: Depth=2
	buffer_wbinvl1_vol
	global_load_dword v23, v14, s[0:1]
	s_waitcnt vmcnt(0)
	v_cmp_gt_i32_e32 vcc, s26, v23
	s_cbranch_vccnz .LBB30_995
.LBB30_996:                             ;   in Loop: Header=BB30_993 Depth=1
	s_or_b64 exec, exec, s[10:11]
	s_lshl_b32 s28, s26, 6
	buffer_wbinvl1_vol
	s_barrier
	s_and_saveexec_b64 s[10:11], s[12:13]
	s_cbranch_execz .LBB30_1000
; %bb.997:                              ;   in Loop: Header=BB30_993 Depth=1
	v_or_b32_e32 v13, s28, v19
	v_mov_b32_e32 v15, 0
	v_mov_b32_e32 v16, 0
	v_cmp_gt_i32_e32 vcc, s7, v13
	s_and_saveexec_b64 s[18:19], vcc
	s_cbranch_execz .LBB30_999
; %bb.998:                              ;   in Loop: Header=BB30_993 Depth=1
	v_mad_u64_u32 v[15:16], s[30:31], s50, v13, 0
	v_mad_u64_u32 v[16:17], s[30:31], s51, v13, v[16:17]
	v_mov_b32_e32 v13, s21
	v_lshlrev_b64 v[15:16], 3, v[15:16]
	v_add_co_u32_e32 v15, vcc, s20, v15
	v_addc_co_u32_e32 v16, vcc, v13, v16, vcc
	global_load_dwordx2 v[15:16], v[15:16], off
.LBB30_999:                             ;   in Loop: Header=BB30_993 Depth=1
	s_or_b64 exec, exec, s[18:19]
	s_waitcnt vmcnt(0)
	ds_write_b64 v1, v[15:16]
.LBB30_1000:                            ;   in Loop: Header=BB30_993 Depth=1
	s_or_b64 exec, exec, s[10:11]
	v_add_u32_e32 v13, s28, v2
	v_lshlrev_b64 v[15:16], 3, v[13:14]
	s_cmp_lg_u32 s26, s27
	v_add_co_u32_e32 v15, vcc, v21, v15
	s_cselect_b64 s[10:11], -1, 0
	v_addc_co_u32_e32 v16, vcc, v22, v16, vcc
	v_cmp_gt_i32_e32 vcc, s7, v13
	v_cndmask_b32_e64 v17, 0, 1, s[10:11]
	s_and_b64 s[28:29], vcc, s[8:9]
	v_cmp_ne_u32_e64 s[10:11], 1, v17
	s_waitcnt lgkmcnt(0)
	s_barrier
	s_and_saveexec_b64 s[18:19], s[28:29]
	s_cbranch_execz .LBB30_1004
; %bb.1001:                             ;   in Loop: Header=BB30_993 Depth=1
	v_mov_b32_e32 v18, v6
	s_and_b64 vcc, exec, s[10:11]
	v_mov_b32_e32 v17, v5
	s_cbranch_vccnz .LBB30_1003
; %bb.1002:                             ;   in Loop: Header=BB30_993 Depth=1
	global_load_dwordx2 v[17:18], v[15:16], off
.LBB30_1003:                            ;   in Loop: Header=BB30_993 Depth=1
	ds_read_b64 v[24:25], v20
	s_waitcnt vmcnt(0) lgkmcnt(0)
	v_fma_f64 v[11:12], v[17:18], v[24:25], v[11:12]
.LBB30_1004:                            ;   in Loop: Header=BB30_993 Depth=1
	s_or_b64 exec, exec, s[18:19]
	v_add_u32_e32 v17, 16, v13
	v_cmp_gt_i32_e32 vcc, s7, v17
	s_and_b64 s[28:29], vcc, s[8:9]
	s_and_saveexec_b64 s[18:19], s[28:29]
	s_cbranch_execz .LBB30_1008
; %bb.1005:                             ;   in Loop: Header=BB30_993 Depth=1
	v_mov_b32_e32 v18, v4
	s_and_b64 vcc, exec, s[10:11]
	v_mov_b32_e32 v17, v3
	s_cbranch_vccnz .LBB30_1007
; %bb.1006:                             ;   in Loop: Header=BB30_993 Depth=1
	global_load_dwordx2 v[17:18], v[15:16], off offset:128
.LBB30_1007:                            ;   in Loop: Header=BB30_993 Depth=1
	ds_read_b64 v[24:25], v20 offset:128
	s_waitcnt vmcnt(0) lgkmcnt(0)
	v_fma_f64 v[11:12], v[17:18], v[24:25], v[11:12]
.LBB30_1008:                            ;   in Loop: Header=BB30_993 Depth=1
	s_or_b64 exec, exec, s[18:19]
	v_add_u32_e32 v17, 32, v13
	v_cmp_gt_i32_e32 vcc, s7, v17
	s_and_b64 s[28:29], vcc, s[8:9]
	s_and_saveexec_b64 s[18:19], s[28:29]
	s_cbranch_execz .LBB30_1012
; %bb.1009:                             ;   in Loop: Header=BB30_993 Depth=1
	v_mov_b32_e32 v18, v10
	s_and_b64 vcc, exec, s[10:11]
	v_mov_b32_e32 v17, v9
	s_cbranch_vccnz .LBB30_1011
; %bb.1010:                             ;   in Loop: Header=BB30_993 Depth=1
	global_load_dwordx2 v[17:18], v[15:16], off offset:256
.LBB30_1011:                            ;   in Loop: Header=BB30_993 Depth=1
	ds_read_b64 v[24:25], v20 offset:256
	s_waitcnt vmcnt(0) lgkmcnt(0)
	v_fma_f64 v[11:12], v[17:18], v[24:25], v[11:12]
.LBB30_1012:                            ;   in Loop: Header=BB30_993 Depth=1
	s_or_b64 exec, exec, s[18:19]
	v_add_u32_e32 v13, 48, v13
	v_cmp_gt_i32_e32 vcc, s7, v13
	s_and_b64 s[28:29], vcc, s[8:9]
	s_and_saveexec_b64 s[18:19], s[28:29]
	s_cbranch_execz .LBB30_992
; %bb.1013:                             ;   in Loop: Header=BB30_993 Depth=1
	v_mov_b32_e32 v18, v8
	s_and_b64 vcc, exec, s[10:11]
	v_mov_b32_e32 v17, v7
	s_cbranch_vccnz .LBB30_991
; %bb.1014:                             ;   in Loop: Header=BB30_993 Depth=1
	global_load_dwordx2 v[17:18], v[15:16], off offset:384
	s_branch .LBB30_991
.LBB30_1015:
	v_lshl_add_u32 v1, v2, 6, v0
	s_xor_b64 s[0:1], s[24:25], -1
	v_lshlrev_b32_e32 v1, 3, v1
	ds_write_b64 v1, v[11:12] offset:32768
	s_waitcnt lgkmcnt(0)
	s_barrier
	s_and_saveexec_b64 s[4:5], s[2:3]
	s_cbranch_execz .LBB30_1017
; %bb.1016:
	v_lshlrev_b32_e32 v15, 3, v0
	ds_read2st64_b64 v[3:6], v15 offset0:65 offset1:66
	ds_read_b64 v[13:14], v15 offset:40448
	s_waitcnt lgkmcnt(1)
	v_add_f64 v[3:4], v[11:12], v[3:4]
	v_add_f64 v[11:12], v[3:4], v[5:6]
	ds_read2st64_b64 v[3:6], v15 offset0:67 offset1:68
	ds_read2st64_b64 v[7:10], v15 offset0:69 offset1:70
	s_waitcnt lgkmcnt(1)
	v_add_f64 v[3:4], v[11:12], v[3:4]
	v_add_f64 v[3:4], v[3:4], v[5:6]
	s_waitcnt lgkmcnt(0)
	v_add_f64 v[3:4], v[3:4], v[7:8]
	v_add_f64 v[11:12], v[3:4], v[9:10]
	ds_read2st64_b64 v[3:6], v15 offset0:71 offset1:72
	ds_read2st64_b64 v[7:10], v15 offset0:73 offset1:74
	s_waitcnt lgkmcnt(1)
	v_add_f64 v[3:4], v[11:12], v[3:4]
	v_add_f64 v[3:4], v[3:4], v[5:6]
	;; [unrolled: 8-line block ×3, first 2 shown]
	s_waitcnt lgkmcnt(0)
	v_add_f64 v[3:4], v[3:4], v[7:8]
	v_add_f64 v[3:4], v[3:4], v[9:10]
	v_add_f64 v[3:4], v[3:4], v[13:14]
	v_xor_b32_e32 v4, 0x80000000, v4
	v_cndmask_b32_e64 v12, v4, 0, s[16:17]
	v_cndmask_b32_e64 v11, v3, 0, s[16:17]
.LBB30_1017:
	s_or_b64 exec, exec, s[4:5]
	s_and_b64 vcc, exec, s[58:59]
	s_cbranch_vccnz .LBB30_1030
; %bb.1018:
	v_mov_b32_e32 v3, 0xa000
	v_lshl_or_b32 v5, v2, 3, v3
	s_and_saveexec_b64 s[4:5], s[2:3]
; %bb.1019:
	v_lshl_add_u32 v3, v0, 3, v5
	ds_write_b64 v3, v[11:12]
; %bb.1020:
	s_or_b64 exec, exec, s[4:5]
	v_mov_b32_e32 v3, 0
	v_mov_b32_e32 v4, 0
	v_cmp_le_u32_e32 vcc, v2, v0
	s_waitcnt lgkmcnt(0)
	s_barrier
	s_and_saveexec_b64 s[4:5], vcc
	s_cbranch_execz .LBB30_1022
; %bb.1021:
	ds_read_b64 v[3:4], v1
	ds_read_b64 v[6:7], v5
	s_waitcnt lgkmcnt(0)
	v_fma_f64 v[3:4], v[3:4], v[6:7], 0
.LBB30_1022:
	s_or_b64 exec, exec, s[4:5]
	v_add_u32_e32 v6, 16, v2
	v_cmp_ge_u32_e32 vcc, v0, v6
	s_and_saveexec_b64 s[4:5], vcc
	s_cbranch_execz .LBB30_1024
; %bb.1023:
	ds_read_b64 v[6:7], v1 offset:8192
	ds_read_b64 v[8:9], v5 offset:128
	s_waitcnt lgkmcnt(0)
	v_fma_f64 v[3:4], v[6:7], v[8:9], v[3:4]
.LBB30_1024:
	s_or_b64 exec, exec, s[4:5]
	v_add_u32_e32 v6, 32, v2
	v_cmp_ge_u32_e32 vcc, v0, v6
	s_and_saveexec_b64 s[4:5], vcc
	s_cbranch_execz .LBB30_1026
; %bb.1025:
	ds_read_b64 v[6:7], v1 offset:16384
	ds_read_b64 v[8:9], v5 offset:256
	s_waitcnt lgkmcnt(0)
	v_fma_f64 v[3:4], v[6:7], v[8:9], v[3:4]
.LBB30_1026:
	s_or_b64 exec, exec, s[4:5]
	v_add_u32_e32 v2, 48, v2
	v_add_u32_e32 v6, 0x8000, v1
	v_cmp_ge_u32_e32 vcc, v0, v2
	s_and_saveexec_b64 s[4:5], vcc
	s_cbranch_execz .LBB30_1028
; %bb.1027:
	ds_read_b64 v[1:2], v1 offset:24576
	ds_read_b64 v[7:8], v5 offset:384
	s_waitcnt lgkmcnt(0)
	v_fma_f64 v[3:4], v[1:2], v[7:8], v[3:4]
.LBB30_1028:
	s_or_b64 exec, exec, s[4:5]
	s_mov_b64 s[6:7], 0
	s_mov_b64 s[4:5], 0
	ds_write_b64 v6, v[3:4]
	s_waitcnt lgkmcnt(0)
	s_barrier
                                        ; implicit-def: $vgpr5_vgpr6
                                        ; implicit-def: $vgpr1_vgpr2
	s_and_saveexec_b64 s[8:9], s[2:3]
	s_cbranch_execz .LBB30_1087
; %bb.1029:
	v_lshlrev_b32_e32 v15, 3, v0
	ds_read2st64_b64 v[5:8], v15 offset0:65 offset1:66
	ds_read_b64 v[9:10], v15 offset:40448
	s_mov_b64 s[4:5], exec
	s_waitcnt lgkmcnt(1)
	v_add_f64 v[1:2], v[3:4], v[5:6]
	v_add_f64 v[13:14], v[7:8], v[1:2]
	ds_read2st64_b64 v[1:4], v15 offset0:67 offset1:68
	ds_read2st64_b64 v[5:8], v15 offset0:69 offset1:70
	s_waitcnt lgkmcnt(1)
	v_add_f64 v[1:2], v[1:2], v[13:14]
	v_add_f64 v[1:2], v[3:4], v[1:2]
	s_waitcnt lgkmcnt(0)
	v_add_f64 v[1:2], v[5:6], v[1:2]
	v_add_f64 v[13:14], v[7:8], v[1:2]
	ds_read2st64_b64 v[1:4], v15 offset0:71 offset1:72
	ds_read2st64_b64 v[5:8], v15 offset0:73 offset1:74
	s_waitcnt lgkmcnt(1)
	v_add_f64 v[1:2], v[1:2], v[13:14]
	v_add_f64 v[1:2], v[3:4], v[1:2]
	;; [unrolled: 8-line block ×3, first 2 shown]
	s_waitcnt lgkmcnt(0)
	v_add_f64 v[1:2], v[5:6], v[1:2]
	v_add_f64 v[3:4], v[7:8], v[1:2]
	v_add_u32_e32 v7, s33, v19
	v_mad_u64_u32 v[1:2], s[10:11], s50, v7, 0
	v_add_f64 v[5:6], v[9:10], v[3:4]
	v_mad_u64_u32 v[2:3], s[10:11], s51, v7, v[2:3]
	s_or_b64 exec, exec, s[8:9]
	s_and_b64 vcc, exec, s[6:7]
	s_cbranch_vccnz .LBB30_1031
	s_branch .LBB30_1088
.LBB30_1030:
	s_mov_b64 s[4:5], 0
                                        ; implicit-def: $vgpr5_vgpr6
                                        ; implicit-def: $vgpr1_vgpr2
	s_cbranch_execz .LBB30_1088
.LBB30_1031:
	v_mul_u32_u24_e32 v1, 0x208, v0
	v_lshlrev_b32_e32 v2, 9, v0
	v_sub_u32_e32 v2, v1, v2
	s_mov_b32 s8, 0
	v_mov_b32_e32 v3, 0
	v_mov_b32_e32 v4, v0
	s_branch .LBB30_1033
.LBB30_1032:                            ;   in Loop: Header=BB30_1033 Depth=1
	s_or_b64 exec, exec, s[6:7]
	s_add_i32 s8, s8, 4
	v_add_u32_e32 v2, 0x800, v2
	s_cmp_lg_u32 s8, 64
	v_add_u32_e32 v4, -4, v4
	s_barrier
	s_cbranch_scc0 .LBB30_1049
.LBB30_1033:                            ; =>This Inner Loop Header: Depth=1
	v_cmp_eq_u32_e32 vcc, 0, v4
	s_and_b64 s[10:11], s[2:3], vcc
	s_and_saveexec_b64 s[6:7], s[10:11]
	s_cbranch_execz .LBB30_1035
; %bb.1034:                             ;   in Loop: Header=BB30_1033 Depth=1
	ds_read_b64 v[5:6], v1
	s_waitcnt lgkmcnt(0)
	v_mul_f64 v[11:12], v[11:12], v[5:6]
	ds_write_b64 v3, v[11:12] offset:41472
.LBB30_1035:                            ;   in Loop: Header=BB30_1033 Depth=1
	s_or_b64 exec, exec, s[6:7]
	v_cmp_lt_u32_e32 vcc, s8, v0
	s_and_b64 s[10:11], s[2:3], vcc
	s_waitcnt lgkmcnt(0)
	s_barrier
	s_and_saveexec_b64 s[6:7], s[10:11]
	s_cbranch_execz .LBB30_1037
; %bb.1036:                             ;   in Loop: Header=BB30_1033 Depth=1
	ds_read_b64 v[5:6], v2
	ds_read_b64 v[7:8], v3 offset:41472
	s_waitcnt lgkmcnt(0)
	v_fma_f64 v[11:12], v[5:6], v[7:8], v[11:12]
.LBB30_1037:                            ;   in Loop: Header=BB30_1033 Depth=1
	s_or_b64 exec, exec, s[6:7]
	s_or_b32 s9, s8, 1
	v_cmp_eq_u32_e32 vcc, s9, v0
	s_and_b64 s[10:11], s[2:3], vcc
	s_barrier
	s_and_saveexec_b64 s[6:7], s[10:11]
	s_cbranch_execz .LBB30_1039
; %bb.1038:                             ;   in Loop: Header=BB30_1033 Depth=1
	ds_read_b64 v[5:6], v1
	s_waitcnt lgkmcnt(0)
	v_mul_f64 v[11:12], v[11:12], v[5:6]
	ds_write_b64 v3, v[11:12] offset:41472
.LBB30_1039:                            ;   in Loop: Header=BB30_1033 Depth=1
	s_or_b64 exec, exec, s[6:7]
	v_cmp_lt_u32_e32 vcc, s9, v0
	s_and_b64 s[10:11], s[2:3], vcc
	s_waitcnt lgkmcnt(0)
	s_barrier
	s_and_saveexec_b64 s[6:7], s[10:11]
	s_cbranch_execz .LBB30_1041
; %bb.1040:                             ;   in Loop: Header=BB30_1033 Depth=1
	ds_read_b64 v[5:6], v2 offset:512
	ds_read_b64 v[7:8], v3 offset:41472
	s_waitcnt lgkmcnt(0)
	v_fma_f64 v[11:12], v[5:6], v[7:8], v[11:12]
.LBB30_1041:                            ;   in Loop: Header=BB30_1033 Depth=1
	s_or_b64 exec, exec, s[6:7]
	s_or_b32 s9, s8, 2
	v_cmp_eq_u32_e32 vcc, s9, v0
	s_and_b64 s[10:11], s[2:3], vcc
	s_barrier
	s_and_saveexec_b64 s[6:7], s[10:11]
	s_cbranch_execz .LBB30_1043
; %bb.1042:                             ;   in Loop: Header=BB30_1033 Depth=1
	ds_read_b64 v[5:6], v1
	s_waitcnt lgkmcnt(0)
	v_mul_f64 v[11:12], v[11:12], v[5:6]
	ds_write_b64 v3, v[11:12] offset:41472
.LBB30_1043:                            ;   in Loop: Header=BB30_1033 Depth=1
	s_or_b64 exec, exec, s[6:7]
	v_cmp_lt_u32_e32 vcc, s9, v0
	s_and_b64 s[10:11], s[2:3], vcc
	s_waitcnt lgkmcnt(0)
	s_barrier
	s_and_saveexec_b64 s[6:7], s[10:11]
	s_cbranch_execz .LBB30_1045
; %bb.1044:                             ;   in Loop: Header=BB30_1033 Depth=1
	ds_read_b64 v[5:6], v2 offset:1024
	ds_read_b64 v[7:8], v3 offset:41472
	s_waitcnt lgkmcnt(0)
	v_fma_f64 v[11:12], v[5:6], v[7:8], v[11:12]
.LBB30_1045:                            ;   in Loop: Header=BB30_1033 Depth=1
	s_or_b64 exec, exec, s[6:7]
	s_or_b32 s9, s8, 3
	v_cmp_eq_u32_e32 vcc, s9, v0
	s_and_b64 s[10:11], s[2:3], vcc
	s_barrier
	s_and_saveexec_b64 s[6:7], s[10:11]
	s_cbranch_execz .LBB30_1047
; %bb.1046:                             ;   in Loop: Header=BB30_1033 Depth=1
	ds_read_b64 v[5:6], v1
	s_waitcnt lgkmcnt(0)
	v_mul_f64 v[11:12], v[11:12], v[5:6]
	ds_write_b64 v3, v[11:12] offset:41472
.LBB30_1047:                            ;   in Loop: Header=BB30_1033 Depth=1
	s_or_b64 exec, exec, s[6:7]
	v_cmp_lt_u32_e32 vcc, s9, v0
	s_and_b64 s[10:11], s[2:3], vcc
	s_waitcnt lgkmcnt(0)
	s_barrier
	s_and_saveexec_b64 s[6:7], s[10:11]
	s_cbranch_execz .LBB30_1032
; %bb.1048:                             ;   in Loop: Header=BB30_1033 Depth=1
	ds_read_b64 v[5:6], v2 offset:1536
	ds_read_b64 v[7:8], v3 offset:41472
	s_waitcnt lgkmcnt(0)
	v_fma_f64 v[11:12], v[5:6], v[7:8], v[11:12]
	s_branch .LBB30_1032
.LBB30_1049:
	s_and_b64 vcc, exec, s[0:1]
	s_cbranch_vccz .LBB30_1089
; %bb.1050:
	s_and_b64 s[0:1], s[2:3], exec
	s_cbranch_execz .LBB30_1090
	s_branch .LBB30_1091
.LBB30_1051:
	v_cmp_ne_u32_e32 vcc, v0, v2
	s_and_saveexec_b64 s[12:13], vcc
	s_xor_b64 s[12:13], exec, s[12:13]
; %bb.1052:
	v_or_b32_e32 v1, v2, v0
	v_cmp_gt_u32_e32 vcc, 64, v1
	s_and_b64 s[10:11], vcc, exec
                                        ; implicit-def: $vgpr15_vgpr16
; %bb.1053:
	s_or_saveexec_b64 s[12:13], s[12:13]
	v_mov_b32_e32 v13, 0
	v_mov_b32_e32 v14, 0
	s_xor_b64 exec, exec, s[12:13]
	s_cbranch_execz .LBB30_1055
; %bb.1054:
	v_lshlrev_b64 v[13:14], 3, v[15:16]
	v_mov_b32_e32 v1, s90
	v_add_co_u32_e32 v13, vcc, s89, v13
	v_addc_co_u32_e32 v14, vcc, v1, v14, vcc
	global_load_dwordx2 v[13:14], v[13:14], off
	s_or_b64 s[10:11], s[10:11], exec
	s_waitcnt vmcnt(0)
	v_div_scale_f64 v[15:16], s[14:15], v[13:14], v[13:14], 1.0
	v_div_scale_f64 v[22:23], vcc, 1.0, v[13:14], 1.0
	v_rcp_f64_e32 v[18:19], v[15:16]
	v_fma_f64 v[20:21], -v[15:16], v[18:19], 1.0
	v_fma_f64 v[18:19], v[18:19], v[20:21], v[18:19]
	v_fma_f64 v[20:21], -v[15:16], v[18:19], 1.0
	v_fma_f64 v[18:19], v[18:19], v[20:21], v[18:19]
	v_mul_f64 v[20:21], v[22:23], v[18:19]
	v_fma_f64 v[15:16], -v[15:16], v[20:21], v[22:23]
	v_div_fmas_f64 v[15:16], v[15:16], v[18:19], v[20:21]
	v_div_fixup_f64 v[13:14], v[15:16], v[13:14], 1.0
.LBB30_1055:
	s_or_b64 exec, exec, s[12:13]
	s_and_b64 s[10:11], s[10:11], exec
                                        ; implicit-def: $vgpr15_vgpr16
	s_andn2_saveexec_b64 s[8:9], s[8:9]
	s_cbranch_execz .LBB30_14
.LBB30_1056:
	v_lshlrev_b64 v[13:14], 3, v[15:16]
	v_mov_b32_e32 v1, s90
	v_add_co_u32_e32 v13, vcc, s89, v13
	v_addc_co_u32_e32 v14, vcc, v1, v14, vcc
	global_load_dwordx2 v[13:14], v[13:14], off
	s_or_b64 s[10:11], s[10:11], exec
	s_waitcnt vmcnt(0)
	v_xor_b32_e32 v14, 0x80000000, v14
	s_or_b64 exec, exec, s[8:9]
	s_and_saveexec_b64 s[8:9], s[10:11]
	s_cbranch_execnz .LBB30_15
	s_branch .LBB30_16
.LBB30_1057:
	v_cmp_ne_u32_e32 vcc, v0, v1
	s_and_saveexec_b64 s[10:11], vcc
	s_xor_b64 s[10:11], exec, s[10:11]
; %bb.1058:
	v_or_b32_e32 v13, v1, v0
	v_cmp_gt_u32_e32 vcc, 64, v13
	s_and_b64 s[8:9], vcc, exec
                                        ; implicit-def: $vgpr15_vgpr16
; %bb.1059:
	s_or_saveexec_b64 s[10:11], s[10:11]
	v_mov_b32_e32 v13, 0
	v_mov_b32_e32 v14, 0
	s_xor_b64 exec, exec, s[10:11]
	s_cbranch_execz .LBB30_1061
; %bb.1060:
	v_lshlrev_b64 v[13:14], 3, v[15:16]
	v_mov_b32_e32 v15, s90
	v_add_co_u32_e32 v13, vcc, s89, v13
	v_addc_co_u32_e32 v14, vcc, v15, v14, vcc
	global_load_dwordx2 v[13:14], v[13:14], off
	s_or_b64 s[8:9], s[8:9], exec
	s_waitcnt vmcnt(0)
	v_div_scale_f64 v[15:16], s[12:13], v[13:14], v[13:14], 1.0
	v_div_scale_f64 v[22:23], vcc, 1.0, v[13:14], 1.0
	v_rcp_f64_e32 v[18:19], v[15:16]
	v_fma_f64 v[20:21], -v[15:16], v[18:19], 1.0
	v_fma_f64 v[18:19], v[18:19], v[20:21], v[18:19]
	v_fma_f64 v[20:21], -v[15:16], v[18:19], 1.0
	v_fma_f64 v[18:19], v[18:19], v[20:21], v[18:19]
	v_mul_f64 v[20:21], v[22:23], v[18:19]
	v_fma_f64 v[15:16], -v[15:16], v[20:21], v[22:23]
	v_div_fmas_f64 v[15:16], v[15:16], v[18:19], v[20:21]
	v_div_fixup_f64 v[13:14], v[15:16], v[13:14], 1.0
.LBB30_1061:
	s_or_b64 exec, exec, s[10:11]
	s_and_b64 s[8:9], s[8:9], exec
                                        ; implicit-def: $vgpr15_vgpr16
	s_andn2_saveexec_b64 s[2:3], s[2:3]
	s_cbranch_execz .LBB30_18
.LBB30_1062:
	v_lshlrev_b64 v[13:14], 3, v[15:16]
	v_mov_b32_e32 v15, s90
	v_add_co_u32_e32 v13, vcc, s89, v13
	v_addc_co_u32_e32 v14, vcc, v15, v14, vcc
	global_load_dwordx2 v[13:14], v[13:14], off
	s_or_b64 s[8:9], s[8:9], exec
	s_waitcnt vmcnt(0)
	v_xor_b32_e32 v14, 0x80000000, v14
	s_or_b64 exec, exec, s[2:3]
	s_and_saveexec_b64 s[2:3], s[8:9]
	s_cbranch_execnz .LBB30_19
	s_branch .LBB30_20
.LBB30_1063:
	v_cmp_ne_u32_e32 vcc, v0, v1
	s_and_saveexec_b64 s[10:11], vcc
	s_xor_b64 s[10:11], exec, s[10:11]
; %bb.1064:
	v_or_b32_e32 v13, v1, v0
	v_cmp_gt_u32_e32 vcc, 64, v13
	s_and_b64 s[8:9], vcc, exec
                                        ; implicit-def: $vgpr15_vgpr16
; %bb.1065:
	s_or_saveexec_b64 s[10:11], s[10:11]
	v_mov_b32_e32 v13, 0
	v_mov_b32_e32 v14, 0
	s_xor_b64 exec, exec, s[10:11]
	s_cbranch_execz .LBB30_1067
; %bb.1066:
	v_lshlrev_b64 v[13:14], 3, v[15:16]
	v_mov_b32_e32 v15, s90
	v_add_co_u32_e32 v13, vcc, s89, v13
	v_addc_co_u32_e32 v14, vcc, v15, v14, vcc
	global_load_dwordx2 v[13:14], v[13:14], off
	s_or_b64 s[8:9], s[8:9], exec
	s_waitcnt vmcnt(0)
	v_div_scale_f64 v[15:16], s[12:13], v[13:14], v[13:14], 1.0
	v_div_scale_f64 v[22:23], vcc, 1.0, v[13:14], 1.0
	v_rcp_f64_e32 v[18:19], v[15:16]
	v_fma_f64 v[20:21], -v[15:16], v[18:19], 1.0
	v_fma_f64 v[18:19], v[18:19], v[20:21], v[18:19]
	v_fma_f64 v[20:21], -v[15:16], v[18:19], 1.0
	v_fma_f64 v[18:19], v[18:19], v[20:21], v[18:19]
	v_mul_f64 v[20:21], v[22:23], v[18:19]
	v_fma_f64 v[15:16], -v[15:16], v[20:21], v[22:23]
	v_div_fmas_f64 v[15:16], v[15:16], v[18:19], v[20:21]
	v_div_fixup_f64 v[13:14], v[15:16], v[13:14], 1.0
.LBB30_1067:
	s_or_b64 exec, exec, s[10:11]
	s_and_b64 s[8:9], s[8:9], exec
                                        ; implicit-def: $vgpr15_vgpr16
	s_andn2_saveexec_b64 s[2:3], s[2:3]
	s_cbranch_execz .LBB30_22
.LBB30_1068:
	v_lshlrev_b64 v[13:14], 3, v[15:16]
	v_mov_b32_e32 v15, s90
	v_add_co_u32_e32 v13, vcc, s89, v13
	v_addc_co_u32_e32 v14, vcc, v15, v14, vcc
	global_load_dwordx2 v[13:14], v[13:14], off
	s_or_b64 s[8:9], s[8:9], exec
	s_waitcnt vmcnt(0)
	v_xor_b32_e32 v14, 0x80000000, v14
	s_or_b64 exec, exec, s[2:3]
	s_and_saveexec_b64 s[2:3], s[8:9]
	s_cbranch_execnz .LBB30_23
	s_branch .LBB30_24
.LBB30_1069:
	v_cmp_ne_u32_e32 vcc, v0, v2
	s_xor_b64 s[12:13], s[2:3], -1
	s_or_b64 s[14:15], s[12:13], vcc
	s_mov_b64 s[12:13], 0
	s_and_saveexec_b64 s[16:17], s[14:15]
	s_xor_b64 s[14:15], exec, s[16:17]
; %bb.1070:
	v_or_b32_e32 v1, v2, v0
	v_cmp_gt_u32_e32 vcc, 64, v1
	s_and_b64 s[12:13], vcc, exec
                                        ; implicit-def: $vgpr13_vgpr14
; %bb.1071:
	s_or_saveexec_b64 s[14:15], s[14:15]
	v_mov_b32_e32 v15, 0
	v_mov_b32_e32 v16, 0
	s_xor_b64 exec, exec, s[14:15]
	s_cbranch_execz .LBB30_1073
; %bb.1072:
	v_lshlrev_b64 v[13:14], 3, v[13:14]
	v_mov_b32_e32 v1, s90
	v_add_co_u32_e32 v13, vcc, s89, v13
	v_addc_co_u32_e32 v14, vcc, v1, v14, vcc
	global_load_dwordx2 v[13:14], v[13:14], off
	s_or_b64 s[12:13], s[12:13], exec
	s_waitcnt vmcnt(0)
	v_div_scale_f64 v[15:16], s[16:17], v[13:14], v[13:14], 1.0
	v_div_scale_f64 v[22:23], vcc, 1.0, v[13:14], 1.0
	v_rcp_f64_e32 v[18:19], v[15:16]
	v_fma_f64 v[20:21], -v[15:16], v[18:19], 1.0
	v_fma_f64 v[18:19], v[18:19], v[20:21], v[18:19]
	v_fma_f64 v[20:21], -v[15:16], v[18:19], 1.0
	v_fma_f64 v[18:19], v[18:19], v[20:21], v[18:19]
	v_mul_f64 v[20:21], v[22:23], v[18:19]
	v_fma_f64 v[15:16], -v[15:16], v[20:21], v[22:23]
	v_div_fmas_f64 v[15:16], v[15:16], v[18:19], v[20:21]
	v_div_fixup_f64 v[15:16], v[15:16], v[13:14], 1.0
.LBB30_1073:
	s_or_b64 exec, exec, s[14:15]
	s_and_b64 s[12:13], s[12:13], exec
                                        ; implicit-def: $vgpr13_vgpr14
	s_andn2_saveexec_b64 s[8:9], s[8:9]
	s_cbranch_execz .LBB30_36
.LBB30_1074:
	v_lshlrev_b64 v[13:14], 3, v[13:14]
	v_mov_b32_e32 v1, s90
	v_add_co_u32_e32 v13, vcc, s89, v13
	v_addc_co_u32_e32 v14, vcc, v1, v14, vcc
	global_load_dwordx2 v[15:16], v[13:14], off
	s_or_b64 s[12:13], s[12:13], exec
	s_waitcnt vmcnt(0)
	v_xor_b32_e32 v16, 0x80000000, v16
	s_or_b64 exec, exec, s[8:9]
	s_and_saveexec_b64 s[8:9], s[12:13]
	s_cbranch_execnz .LBB30_37
	s_branch .LBB30_38
.LBB30_1075:
	v_cmp_ne_u32_e32 vcc, v0, v1
	s_xor_b64 s[12:13], s[2:3], -1
	s_or_b64 s[14:15], s[12:13], vcc
	s_mov_b64 s[12:13], 0
	s_and_saveexec_b64 s[16:17], s[14:15]
	s_xor_b64 s[14:15], exec, s[16:17]
; %bb.1076:
	v_or_b32_e32 v13, v1, v0
	v_cmp_gt_u32_e32 vcc, 64, v13
	s_and_b64 s[12:13], vcc, exec
                                        ; implicit-def: $vgpr13_vgpr14
; %bb.1077:
	s_or_saveexec_b64 s[14:15], s[14:15]
	v_mov_b32_e32 v15, 0
	v_mov_b32_e32 v16, 0
	s_xor_b64 exec, exec, s[14:15]
	s_cbranch_execz .LBB30_1079
; %bb.1078:
	v_lshlrev_b64 v[13:14], 3, v[13:14]
	v_mov_b32_e32 v15, s90
	v_add_co_u32_e32 v13, vcc, s89, v13
	v_addc_co_u32_e32 v14, vcc, v15, v14, vcc
	global_load_dwordx2 v[13:14], v[13:14], off
	s_or_b64 s[12:13], s[12:13], exec
	s_waitcnt vmcnt(0)
	v_div_scale_f64 v[15:16], s[16:17], v[13:14], v[13:14], 1.0
	v_div_scale_f64 v[22:23], vcc, 1.0, v[13:14], 1.0
	v_rcp_f64_e32 v[18:19], v[15:16]
	v_fma_f64 v[20:21], -v[15:16], v[18:19], 1.0
	v_fma_f64 v[18:19], v[18:19], v[20:21], v[18:19]
	v_fma_f64 v[20:21], -v[15:16], v[18:19], 1.0
	v_fma_f64 v[18:19], v[18:19], v[20:21], v[18:19]
	v_mul_f64 v[20:21], v[22:23], v[18:19]
	v_fma_f64 v[15:16], -v[15:16], v[20:21], v[22:23]
	v_div_fmas_f64 v[15:16], v[15:16], v[18:19], v[20:21]
	v_div_fixup_f64 v[15:16], v[15:16], v[13:14], 1.0
.LBB30_1079:
	s_or_b64 exec, exec, s[14:15]
	s_and_b64 s[12:13], s[12:13], exec
                                        ; implicit-def: $vgpr13_vgpr14
	s_andn2_saveexec_b64 s[8:9], s[8:9]
	s_cbranch_execz .LBB30_40
.LBB30_1080:
	v_lshlrev_b64 v[13:14], 3, v[13:14]
	v_mov_b32_e32 v15, s90
	v_add_co_u32_e32 v13, vcc, s89, v13
	v_addc_co_u32_e32 v14, vcc, v15, v14, vcc
	global_load_dwordx2 v[15:16], v[13:14], off
	s_or_b64 s[12:13], s[12:13], exec
	s_waitcnt vmcnt(0)
	v_xor_b32_e32 v16, 0x80000000, v16
	s_or_b64 exec, exec, s[8:9]
	s_and_saveexec_b64 s[8:9], s[12:13]
	s_cbranch_execnz .LBB30_41
	s_branch .LBB30_42
.LBB30_1081:
	v_cmp_ne_u32_e32 vcc, v0, v1
	s_xor_b64 s[12:13], s[2:3], -1
	s_or_b64 s[14:15], s[12:13], vcc
	s_mov_b64 s[12:13], 0
	s_and_saveexec_b64 s[16:17], s[14:15]
	s_xor_b64 s[14:15], exec, s[16:17]
; %bb.1082:
	v_or_b32_e32 v13, v1, v0
	v_cmp_gt_u32_e32 vcc, 64, v13
	s_and_b64 s[12:13], vcc, exec
                                        ; implicit-def: $vgpr13_vgpr14
; %bb.1083:
	s_or_saveexec_b64 s[14:15], s[14:15]
	v_mov_b32_e32 v15, 0
	v_mov_b32_e32 v16, 0
	s_xor_b64 exec, exec, s[14:15]
	s_cbranch_execz .LBB30_1085
; %bb.1084:
	v_lshlrev_b64 v[13:14], 3, v[13:14]
	v_mov_b32_e32 v15, s90
	v_add_co_u32_e32 v13, vcc, s89, v13
	v_addc_co_u32_e32 v14, vcc, v15, v14, vcc
	global_load_dwordx2 v[13:14], v[13:14], off
	s_or_b64 s[12:13], s[12:13], exec
	s_waitcnt vmcnt(0)
	v_div_scale_f64 v[15:16], s[16:17], v[13:14], v[13:14], 1.0
	v_div_scale_f64 v[22:23], vcc, 1.0, v[13:14], 1.0
	v_rcp_f64_e32 v[18:19], v[15:16]
	v_fma_f64 v[20:21], -v[15:16], v[18:19], 1.0
	v_fma_f64 v[18:19], v[18:19], v[20:21], v[18:19]
	v_fma_f64 v[20:21], -v[15:16], v[18:19], 1.0
	v_fma_f64 v[18:19], v[18:19], v[20:21], v[18:19]
	v_mul_f64 v[20:21], v[22:23], v[18:19]
	v_fma_f64 v[15:16], -v[15:16], v[20:21], v[22:23]
	v_div_fmas_f64 v[15:16], v[15:16], v[18:19], v[20:21]
	v_div_fixup_f64 v[15:16], v[15:16], v[13:14], 1.0
.LBB30_1085:
	s_or_b64 exec, exec, s[14:15]
	s_and_b64 s[12:13], s[12:13], exec
                                        ; implicit-def: $vgpr13_vgpr14
	s_andn2_saveexec_b64 s[8:9], s[8:9]
	s_cbranch_execz .LBB30_44
.LBB30_1086:
	v_lshlrev_b64 v[13:14], 3, v[13:14]
	v_mov_b32_e32 v15, s90
	v_add_co_u32_e32 v13, vcc, s89, v13
	v_addc_co_u32_e32 v14, vcc, v15, v14, vcc
	global_load_dwordx2 v[15:16], v[13:14], off
	s_or_b64 s[12:13], s[12:13], exec
	s_waitcnt vmcnt(0)
	v_xor_b32_e32 v16, 0x80000000, v16
	s_or_b64 exec, exec, s[8:9]
	s_and_saveexec_b64 s[8:9], s[12:13]
	s_cbranch_execnz .LBB30_45
	s_branch .LBB30_46
.LBB30_1087:
	s_or_b64 exec, exec, s[8:9]
	s_and_b64 vcc, exec, s[6:7]
	s_cbranch_vccnz .LBB30_1031
.LBB30_1088:
	v_mov_b32_e32 v12, v6
	v_mov_b32_e32 v11, v5
	s_and_saveexec_b64 s[0:1], s[4:5]
	s_cbranch_execnz .LBB30_1094
	s_branch .LBB30_1095
.LBB30_1089:
	s_mov_b64 s[0:1], 0
.LBB30_1090:
	v_cmp_gt_i32_e32 vcc, s88, v0
	s_and_b64 s[2:3], s[2:3], vcc
	s_andn2_b64 s[0:1], s[0:1], exec
	s_and_b64 s[2:3], s[2:3], exec
	s_or_b64 s[0:1], s[0:1], s[2:3]
.LBB30_1091:
                                        ; implicit-def: $vgpr1_vgpr2
	s_and_saveexec_b64 s[2:3], s[0:1]
	s_cbranch_execz .LBB30_1093
; %bb.1092:
	v_mov_b32_e32 v0, s38
	v_add_co_u32_e32 v1, vcc, s33, v19
	v_addc_co_u32_e32 v0, vcc, 0, v0, vcc
	v_mul_lo_u32 v0, v0, s50
	v_mul_lo_u32 v3, v1, s51
	v_mad_u64_u32 v[1:2], s[0:1], v1, s50, 0
	s_or_b64 s[4:5], s[4:5], exec
	v_add3_u32 v2, v2, v3, v0
.LBB30_1093:
	s_or_b64 exec, exec, s[2:3]
	s_and_saveexec_b64 s[0:1], s[4:5]
	s_cbranch_execz .LBB30_1095
.LBB30_1094:
	v_lshlrev_b64 v[0:1], 3, v[1:2]
	v_mov_b32_e32 v2, s21
	v_add_co_u32_e32 v0, vcc, s20, v0
	v_addc_co_u32_e32 v1, vcc, v2, v1, vcc
	global_store_dwordx2 v[0:1], v[11:12], off
.LBB30_1095:
	s_or_b64 exec, exec, s[0:1]
	v_cmp_eq_u32_e32 vcc, 0, v19
	s_waitcnt vmcnt(0)
	buffer_wbinvl1_vol
	s_barrier
	s_and_saveexec_b64 s[0:1], vcc
	s_cbranch_execz .LBB30_1097
; %bb.1096:
	s_lshl_b64 s[2:3], s[22:23], 2
	s_add_u32 s2, s14, s2
	s_addc_u32 s3, s15, s3
	v_mov_b32_e32 v0, 0
	global_load_dword v1, v0, s[2:3]
	s_waitcnt vmcnt(0)
	v_add_u32_e32 v1, 1, v1
	global_store_dword v0, v1, s[2:3]
.LBB30_1097:
	s_or_b64 exec, exec, s[0:1]
	s_waitcnt vmcnt(0)
	buffer_wbinvl1_vol
	s_endpgm
.LBB30_1098:
	ds_read_b64 v[21:22], v20 offset:31680
	ds_read_b64 v[23:24], v19 offset:31208
	s_waitcnt lgkmcnt(0)
	v_fma_f64 v[11:12], v[21:22], v[23:24], v[11:12]
	s_or_b64 exec, exec, s[14:15]
	v_cmp_gt_u32_e64 s[10:11], 8, v15
	s_and_saveexec_b64 s[14:15], s[10:11]
	s_cbranch_execz .LBB30_79
.LBB30_1099:
	ds_read_b64 v[20:21], v20 offset:32192
	ds_read_b64 v[22:23], v19 offset:31216
	s_waitcnt lgkmcnt(0)
	v_fma_f64 v[11:12], v[20:21], v[22:23], v[11:12]
	s_or_b64 exec, exec, s[14:15]
	v_cmp_gt_u32_e64 s[10:11], 4, v15
	s_and_saveexec_b64 s[14:15], s[10:11]
	s_cbranch_execnz .LBB30_80
	s_branch .LBB30_81
.LBB30_1100:
	ds_read_b64 v[24:25], v23 offset:29568
	ds_read_b64 v[26:27], v22 offset:29128
	s_waitcnt lgkmcnt(0)
	v_fma_f64 v[11:12], v[24:25], v[26:27], v[11:12]
	s_or_b64 exec, exec, s[16:17]
	v_cmp_gt_u32_e64 s[14:15], 48, v15
	s_and_saveexec_b64 s[16:17], s[14:15]
	s_cbranch_execz .LBB30_121
.LBB30_1101:
	ds_read_b64 v[24:25], v23 offset:30080
	ds_read_b64 v[26:27], v22 offset:29136
	s_waitcnt lgkmcnt(0)
	v_fma_f64 v[11:12], v[24:25], v[26:27], v[11:12]
	s_or_b64 exec, exec, s[16:17]
	v_cmp_gt_u32_e64 s[14:15], 40, v15
	s_and_saveexec_b64 s[16:17], s[14:15]
	s_cbranch_execz .LBB30_122
.LBB30_1102:
	ds_read_b64 v[24:25], v23 offset:30592
	ds_read_b64 v[26:27], v22 offset:29144
	s_waitcnt lgkmcnt(0)
	v_fma_f64 v[11:12], v[24:25], v[26:27], v[11:12]
	s_or_b64 exec, exec, s[16:17]
	v_cmp_gt_u32_e64 s[14:15], 32, v15
	s_and_saveexec_b64 s[16:17], s[14:15]
	s_cbranch_execz .LBB30_123
.LBB30_1103:
	ds_read_b64 v[24:25], v23 offset:31104
	ds_read_b64 v[26:27], v22 offset:29152
	s_waitcnt lgkmcnt(0)
	v_fma_f64 v[11:12], v[24:25], v[26:27], v[11:12]
	s_or_b64 exec, exec, s[16:17]
	v_cmp_gt_u32_e64 s[14:15], 24, v15
	s_and_saveexec_b64 s[16:17], s[14:15]
	s_cbranch_execz .LBB30_124
.LBB30_1104:
	ds_read_b64 v[24:25], v23 offset:31616
	ds_read_b64 v[26:27], v22 offset:29160
	s_waitcnt lgkmcnt(0)
	v_fma_f64 v[11:12], v[24:25], v[26:27], v[11:12]
	s_or_b64 exec, exec, s[16:17]
	s_and_saveexec_b64 s[14:15], s[18:19]
	s_cbranch_execz .LBB30_125
.LBB30_1105:
	ds_read_b64 v[23:24], v23 offset:32128
	ds_read_b64 v[25:26], v22 offset:29168
	s_waitcnt lgkmcnt(0)
	v_fma_f64 v[11:12], v[23:24], v[25:26], v[11:12]
	s_or_b64 exec, exec, s[14:15]
	v_cmp_gt_u32_e64 s[14:15], 8, v15
	s_and_saveexec_b64 s[16:17], s[14:15]
	s_cbranch_execnz .LBB30_126
	s_branch .LBB30_127
.LBB30_1106:
	ds_read_b64 v[24:25], v23 offset:27520
	ds_read_b64 v[26:27], v22 offset:27048
	s_waitcnt lgkmcnt(0)
	v_fma_f64 v[11:12], v[24:25], v[26:27], v[11:12]
	s_or_b64 exec, exec, s[14:15]
	v_cmp_gt_u32_e64 s[10:11], 8, v15
	s_and_saveexec_b64 s[14:15], s[10:11]
	s_cbranch_execz .LBB30_183
.LBB30_1107:
	ds_read_b64 v[23:24], v23 offset:28032
	ds_read_b64 v[25:26], v22 offset:27056
	s_waitcnt lgkmcnt(0)
	v_fma_f64 v[11:12], v[23:24], v[25:26], v[11:12]
	s_or_b64 exec, exec, s[14:15]
	v_cmp_gt_u32_e64 s[10:11], 4, v15
	s_and_saveexec_b64 s[14:15], s[10:11]
	s_cbranch_execnz .LBB30_184
	s_branch .LBB30_185
.LBB30_1108:
	ds_read_b64 v[27:28], v26 offset:30464
	ds_read_b64 v[29:30], v25 offset:25048
	s_waitcnt lgkmcnt(0)
	v_fma_f64 v[11:12], v[27:28], v[29:30], v[11:12]
	s_or_b64 exec, exec, s[20:21]
	s_and_saveexec_b64 s[16:17], s[8:9]
	s_cbranch_execz .LBB30_245
.LBB30_1109:
	ds_read_b64 v[27:28], v26 offset:30976
	ds_read_b64 v[29:30], v25 offset:25056
	s_waitcnt lgkmcnt(0)
	v_fma_f64 v[11:12], v[27:28], v[29:30], v[11:12]
	s_or_b64 exec, exec, s[16:17]
	v_cmp_gt_u32_e64 s[16:17], 48, v15
	s_and_saveexec_b64 s[20:21], s[16:17]
	s_cbranch_execz .LBB30_246
.LBB30_1110:
	ds_read_b64 v[27:28], v26 offset:31488
	ds_read_b64 v[29:30], v25 offset:25064
	s_waitcnt lgkmcnt(0)
	v_fma_f64 v[11:12], v[27:28], v[29:30], v[11:12]
	s_or_b64 exec, exec, s[20:21]
	v_cmp_gt_u32_e64 s[16:17], 32, v15
	s_and_saveexec_b64 s[20:21], s[16:17]
	s_cbranch_execz .LBB30_247
.LBB30_1111:
	ds_read_b64 v[26:27], v26 offset:32000
	ds_read_b64 v[28:29], v25 offset:25072
	s_waitcnt lgkmcnt(0)
	v_fma_f64 v[11:12], v[26:27], v[28:29], v[11:12]
	s_or_b64 exec, exec, s[20:21]
	v_cmp_gt_u32_e64 s[16:17], 16, v15
	s_and_saveexec_b64 s[20:21], s[16:17]
	s_cbranch_execnz .LBB30_248
	s_branch .LBB30_249
.LBB30_1112:
	ds_read_b64 v[27:28], v26 offset:23360
	ds_read_b64 v[29:30], v25 offset:22888
	s_waitcnt lgkmcnt(0)
	v_fma_f64 v[11:12], v[27:28], v[29:30], v[11:12]
	s_or_b64 exec, exec, s[20:21]
	v_cmp_gt_u32_e64 s[14:15], 8, v15
	s_and_saveexec_b64 s[20:21], s[14:15]
	s_cbranch_execz .LBB30_337
.LBB30_1113:
	ds_read_b64 v[26:27], v26 offset:23872
	ds_read_b64 v[28:29], v25 offset:22896
	s_waitcnt lgkmcnt(0)
	v_fma_f64 v[11:12], v[26:27], v[28:29], v[11:12]
	s_or_b64 exec, exec, s[20:21]
	v_cmp_gt_u32_e64 s[14:15], 4, v15
	s_and_saveexec_b64 s[20:21], s[14:15]
	s_cbranch_execnz .LBB30_338
	s_branch .LBB30_339
.LBB30_1114:
	ds_read_b64 v[27:28], v26 offset:21248
	ds_read_b64 v[29:30], v25 offset:20808
	s_waitcnt lgkmcnt(0)
	v_fma_f64 v[11:12], v[27:28], v[29:30], v[11:12]
	s_or_b64 exec, exec, s[20:21]
	v_cmp_gt_u32_e64 s[14:15], 48, v15
	s_and_saveexec_b64 s[20:21], s[14:15]
	s_cbranch_execz .LBB30_379
.LBB30_1115:
	ds_read_b64 v[27:28], v26 offset:21760
	ds_read_b64 v[29:30], v25 offset:20816
	s_waitcnt lgkmcnt(0)
	v_fma_f64 v[11:12], v[27:28], v[29:30], v[11:12]
	s_or_b64 exec, exec, s[20:21]
	v_cmp_gt_u32_e64 s[14:15], 40, v15
	s_and_saveexec_b64 s[20:21], s[14:15]
	s_cbranch_execz .LBB30_380
.LBB30_1116:
	ds_read_b64 v[27:28], v26 offset:22272
	ds_read_b64 v[29:30], v25 offset:20824
	s_waitcnt lgkmcnt(0)
	v_fma_f64 v[11:12], v[27:28], v[29:30], v[11:12]
	s_or_b64 exec, exec, s[20:21]
	v_cmp_gt_u32_e64 s[14:15], 32, v15
	s_and_saveexec_b64 s[20:21], s[14:15]
	s_cbranch_execz .LBB30_381
.LBB30_1117:
	ds_read_b64 v[27:28], v26 offset:22784
	ds_read_b64 v[29:30], v25 offset:20832
	s_waitcnt lgkmcnt(0)
	v_fma_f64 v[11:12], v[27:28], v[29:30], v[11:12]
	s_or_b64 exec, exec, s[20:21]
	v_cmp_gt_u32_e64 s[14:15], 24, v15
	s_and_saveexec_b64 s[20:21], s[14:15]
	s_cbranch_execz .LBB30_382
.LBB30_1118:
	ds_read_b64 v[27:28], v26 offset:23296
	ds_read_b64 v[29:30], v25 offset:20840
	s_waitcnt lgkmcnt(0)
	v_fma_f64 v[11:12], v[27:28], v[29:30], v[11:12]
	s_or_b64 exec, exec, s[20:21]
	s_and_saveexec_b64 s[14:15], s[18:19]
	s_cbranch_execz .LBB30_383
.LBB30_1119:
	ds_read_b64 v[26:27], v26 offset:23808
	ds_read_b64 v[28:29], v25 offset:20848
	s_waitcnt lgkmcnt(0)
	v_fma_f64 v[11:12], v[26:27], v[28:29], v[11:12]
	s_or_b64 exec, exec, s[14:15]
	v_cmp_gt_u32_e64 s[14:15], 8, v15
	s_and_saveexec_b64 s[20:21], s[14:15]
	s_cbranch_execnz .LBB30_384
	s_branch .LBB30_385
.LBB30_1120:
	ds_read_b64 v[27:28], v26 offset:19200
	ds_read_b64 v[29:30], v25 offset:18728
	s_waitcnt lgkmcnt(0)
	v_fma_f64 v[11:12], v[27:28], v[29:30], v[11:12]
	s_or_b64 exec, exec, s[20:21]
	v_cmp_gt_u32_e64 s[14:15], 8, v15
	s_and_saveexec_b64 s[20:21], s[14:15]
	s_cbranch_execz .LBB30_441
.LBB30_1121:
	ds_read_b64 v[26:27], v26 offset:19712
	ds_read_b64 v[28:29], v25 offset:18736
	s_waitcnt lgkmcnt(0)
	v_fma_f64 v[11:12], v[26:27], v[28:29], v[11:12]
	s_or_b64 exec, exec, s[20:21]
	v_cmp_gt_u32_e64 s[14:15], 4, v15
	s_and_saveexec_b64 s[20:21], s[14:15]
	s_cbranch_execnz .LBB30_442
	s_branch .LBB30_443
.LBB30_1122:
	ds_read_b64 v[30:31], v29 offset:31232
	ds_read_b64 v[32:33], v28 offset:16872
	s_waitcnt lgkmcnt(0)
	v_fma_f64 v[11:12], v[30:31], v[32:33], v[11:12]
	s_or_b64 exec, exec, s[26:27]
	s_and_saveexec_b64 s[20:21], s[8:9]
	s_cbranch_execz .LBB30_539
.LBB30_1123:
	ds_read_b64 v[29:30], v29 offset:31744
	ds_read_b64 v[31:32], v28 offset:16880
	s_waitcnt lgkmcnt(0)
	v_fma_f64 v[11:12], v[29:30], v[31:32], v[11:12]
	s_or_b64 exec, exec, s[20:21]
	v_cmp_gt_u32_e64 s[20:21], 32, v15
	s_and_saveexec_b64 s[26:27], s[20:21]
	s_cbranch_execnz .LBB30_540
	s_branch .LBB30_541
.LBB30_1124:
	ds_read_b64 v[27:28], v26 offset:15040
	ds_read_b64 v[29:30], v25 offset:14568
	s_waitcnt lgkmcnt(0)
	v_fma_f64 v[11:12], v[27:28], v[29:30], v[11:12]
	s_or_b64 exec, exec, s[16:17]
	v_cmp_gt_u32_e64 s[12:13], 8, v15
	s_and_saveexec_b64 s[16:17], s[12:13]
	s_cbranch_execz .LBB30_585
.LBB30_1125:
	ds_read_b64 v[26:27], v26 offset:15552
	ds_read_b64 v[28:29], v25 offset:14576
	s_waitcnt lgkmcnt(0)
	v_fma_f64 v[11:12], v[26:27], v[28:29], v[11:12]
	s_or_b64 exec, exec, s[16:17]
	v_cmp_gt_u32_e64 s[12:13], 4, v15
	s_and_saveexec_b64 s[16:17], s[12:13]
	s_cbranch_execnz .LBB30_586
	s_branch .LBB30_587
.LBB30_1126:
	ds_read_b64 v[27:28], v26 offset:12928
	ds_read_b64 v[29:30], v25 offset:12488
	s_waitcnt lgkmcnt(0)
	v_fma_f64 v[11:12], v[27:28], v[29:30], v[11:12]
	s_or_b64 exec, exec, s[16:17]
	v_cmp_gt_u32_e64 s[12:13], 48, v15
	s_and_saveexec_b64 s[16:17], s[12:13]
	s_cbranch_execz .LBB30_627
.LBB30_1127:
	ds_read_b64 v[27:28], v26 offset:13440
	ds_read_b64 v[29:30], v25 offset:12496
	s_waitcnt lgkmcnt(0)
	v_fma_f64 v[11:12], v[27:28], v[29:30], v[11:12]
	s_or_b64 exec, exec, s[16:17]
	v_cmp_gt_u32_e64 s[12:13], 40, v15
	s_and_saveexec_b64 s[16:17], s[12:13]
	s_cbranch_execz .LBB30_628
.LBB30_1128:
	ds_read_b64 v[27:28], v26 offset:13952
	ds_read_b64 v[29:30], v25 offset:12504
	s_waitcnt lgkmcnt(0)
	v_fma_f64 v[11:12], v[27:28], v[29:30], v[11:12]
	s_or_b64 exec, exec, s[16:17]
	v_cmp_gt_u32_e64 s[12:13], 32, v15
	s_and_saveexec_b64 s[16:17], s[12:13]
	s_cbranch_execz .LBB30_629
.LBB30_1129:
	ds_read_b64 v[27:28], v26 offset:14464
	ds_read_b64 v[29:30], v25 offset:12512
	s_waitcnt lgkmcnt(0)
	v_fma_f64 v[11:12], v[27:28], v[29:30], v[11:12]
	s_or_b64 exec, exec, s[16:17]
	v_cmp_gt_u32_e64 s[12:13], 24, v15
	s_and_saveexec_b64 s[16:17], s[12:13]
	s_cbranch_execz .LBB30_630
.LBB30_1130:
	ds_read_b64 v[27:28], v26 offset:14976
	ds_read_b64 v[29:30], v25 offset:12520
	s_waitcnt lgkmcnt(0)
	v_fma_f64 v[11:12], v[27:28], v[29:30], v[11:12]
	s_or_b64 exec, exec, s[16:17]
	s_and_saveexec_b64 s[12:13], s[18:19]
	s_cbranch_execz .LBB30_631
.LBB30_1131:
	ds_read_b64 v[26:27], v26 offset:15488
	ds_read_b64 v[28:29], v25 offset:12528
	s_waitcnt lgkmcnt(0)
	v_fma_f64 v[11:12], v[26:27], v[28:29], v[11:12]
	s_or_b64 exec, exec, s[12:13]
	v_cmp_gt_u32_e64 s[12:13], 8, v15
	s_and_saveexec_b64 s[16:17], s[12:13]
	s_cbranch_execnz .LBB30_632
	s_branch .LBB30_633
.LBB30_1132:
	ds_read_b64 v[27:28], v26 offset:10880
	ds_read_b64 v[29:30], v25 offset:10408
	s_waitcnt lgkmcnt(0)
	v_fma_f64 v[11:12], v[27:28], v[29:30], v[11:12]
	s_or_b64 exec, exec, s[16:17]
	v_cmp_gt_u32_e64 s[12:13], 8, v15
	s_and_saveexec_b64 s[16:17], s[12:13]
	s_cbranch_execz .LBB30_689
.LBB30_1133:
	ds_read_b64 v[26:27], v26 offset:11392
	ds_read_b64 v[28:29], v25 offset:10416
	s_waitcnt lgkmcnt(0)
	v_fma_f64 v[11:12], v[26:27], v[28:29], v[11:12]
	s_or_b64 exec, exec, s[16:17]
	v_cmp_gt_u32_e64 s[12:13], 4, v15
	s_and_saveexec_b64 s[16:17], s[12:13]
	s_cbranch_execnz .LBB30_690
	s_branch .LBB30_691
.LBB30_1134:
	ds_read_b64 v[27:28], v26 offset:13824
	ds_read_b64 v[29:30], v25 offset:8408
	s_waitcnt lgkmcnt(0)
	v_fma_f64 v[11:12], v[27:28], v[29:30], v[11:12]
	s_or_b64 exec, exec, s[16:17]
	s_and_saveexec_b64 s[12:13], s[8:9]
	s_cbranch_execz .LBB30_751
.LBB30_1135:
	ds_read_b64 v[27:28], v26 offset:14336
	ds_read_b64 v[29:30], v25 offset:8416
	s_waitcnt lgkmcnt(0)
	v_fma_f64 v[11:12], v[27:28], v[29:30], v[11:12]
	s_or_b64 exec, exec, s[12:13]
	v_cmp_gt_u32_e64 s[12:13], 48, v15
	s_and_saveexec_b64 s[16:17], s[12:13]
	s_cbranch_execz .LBB30_752
.LBB30_1136:
	ds_read_b64 v[27:28], v26 offset:14848
	ds_read_b64 v[29:30], v25 offset:8424
	s_waitcnt lgkmcnt(0)
	v_fma_f64 v[11:12], v[27:28], v[29:30], v[11:12]
	s_or_b64 exec, exec, s[16:17]
	v_cmp_gt_u32_e64 s[12:13], 32, v15
	s_and_saveexec_b64 s[16:17], s[12:13]
	s_cbranch_execz .LBB30_753
.LBB30_1137:
	ds_read_b64 v[26:27], v26 offset:15360
	ds_read_b64 v[28:29], v25 offset:8432
	s_waitcnt lgkmcnt(0)
	v_fma_f64 v[11:12], v[26:27], v[28:29], v[11:12]
	s_or_b64 exec, exec, s[16:17]
	v_cmp_gt_u32_e64 s[12:13], 16, v15
	s_and_saveexec_b64 s[16:17], s[12:13]
	s_cbranch_execnz .LBB30_754
	s_branch .LBB30_755
.LBB30_1138:
	ds_read_b64 v[24:25], v23 offset:6720
	ds_read_b64 v[26:27], v22 offset:6248
	s_waitcnt lgkmcnt(0)
	v_fma_f64 v[11:12], v[24:25], v[26:27], v[11:12]
	s_or_b64 exec, exec, s[12:13]
	v_cmp_gt_u32_e64 s[10:11], 8, v15
	s_and_saveexec_b64 s[12:13], s[10:11]
	s_cbranch_execz .LBB30_843
.LBB30_1139:
	ds_read_b64 v[23:24], v23 offset:7232
	ds_read_b64 v[25:26], v22 offset:6256
	s_waitcnt lgkmcnt(0)
	v_fma_f64 v[11:12], v[23:24], v[25:26], v[11:12]
	s_or_b64 exec, exec, s[12:13]
	v_cmp_gt_u32_e64 s[10:11], 4, v15
	s_and_saveexec_b64 s[12:13], s[10:11]
	s_cbranch_execnz .LBB30_844
	s_branch .LBB30_845
.LBB30_1140:
	ds_read_b64 v[24:25], v23 offset:4608
	ds_read_b64 v[26:27], v22 offset:4168
	s_waitcnt lgkmcnt(0)
	v_fma_f64 v[11:12], v[24:25], v[26:27], v[11:12]
	s_or_b64 exec, exec, s[12:13]
	v_cmp_gt_u32_e64 s[10:11], 48, v15
	s_and_saveexec_b64 s[12:13], s[10:11]
	s_cbranch_execz .LBB30_885
.LBB30_1141:
	ds_read_b64 v[24:25], v23 offset:5120
	ds_read_b64 v[26:27], v22 offset:4176
	s_waitcnt lgkmcnt(0)
	v_fma_f64 v[11:12], v[24:25], v[26:27], v[11:12]
	s_or_b64 exec, exec, s[12:13]
	v_cmp_gt_u32_e64 s[10:11], 40, v15
	s_and_saveexec_b64 s[12:13], s[10:11]
	s_cbranch_execz .LBB30_886
.LBB30_1142:
	ds_read_b64 v[24:25], v23 offset:5632
	ds_read_b64 v[26:27], v22 offset:4184
	s_waitcnt lgkmcnt(0)
	v_fma_f64 v[11:12], v[24:25], v[26:27], v[11:12]
	s_or_b64 exec, exec, s[12:13]
	v_cmp_gt_u32_e64 s[10:11], 32, v15
	s_and_saveexec_b64 s[12:13], s[10:11]
	s_cbranch_execz .LBB30_887
.LBB30_1143:
	ds_read_b64 v[24:25], v23 offset:6144
	ds_read_b64 v[26:27], v22 offset:4192
	s_waitcnt lgkmcnt(0)
	v_fma_f64 v[11:12], v[24:25], v[26:27], v[11:12]
	s_or_b64 exec, exec, s[12:13]
	v_cmp_gt_u32_e64 s[10:11], 24, v15
	s_and_saveexec_b64 s[12:13], s[10:11]
	s_cbranch_execz .LBB30_888
.LBB30_1144:
	ds_read_b64 v[24:25], v23 offset:6656
	ds_read_b64 v[26:27], v22 offset:4200
	s_waitcnt lgkmcnt(0)
	v_fma_f64 v[11:12], v[24:25], v[26:27], v[11:12]
	s_or_b64 exec, exec, s[12:13]
	s_and_saveexec_b64 s[10:11], s[18:19]
	s_cbranch_execz .LBB30_889
.LBB30_1145:
	ds_read_b64 v[23:24], v23 offset:7168
	ds_read_b64 v[25:26], v22 offset:4208
	s_waitcnt lgkmcnt(0)
	v_fma_f64 v[11:12], v[23:24], v[25:26], v[11:12]
	s_or_b64 exec, exec, s[10:11]
	v_cmp_gt_u32_e64 s[10:11], 8, v15
	s_and_saveexec_b64 s[12:13], s[10:11]
	s_cbranch_execnz .LBB30_890
	s_branch .LBB30_891
.LBB30_1146:
	ds_read_b64 v[21:22], v20 offset:2560
	ds_read_b64 v[23:24], v19 offset:2088
	s_waitcnt lgkmcnt(0)
	v_fma_f64 v[11:12], v[21:22], v[23:24], v[11:12]
	s_or_b64 exec, exec, s[10:11]
	v_cmp_gt_u32_e64 s[8:9], 8, v15
	s_and_saveexec_b64 s[10:11], s[8:9]
	s_cbranch_execz .LBB30_947
.LBB30_1147:
	ds_read_b64 v[20:21], v20 offset:3072
	ds_read_b64 v[22:23], v19 offset:2096
	s_waitcnt lgkmcnt(0)
	v_fma_f64 v[11:12], v[20:21], v[22:23], v[11:12]
	s_or_b64 exec, exec, s[10:11]
	v_cmp_gt_u32_e64 s[8:9], 4, v15
	s_and_saveexec_b64 s[10:11], s[8:9]
	s_cbranch_execnz .LBB30_948
	s_branch .LBB30_949
	.section	.rodata,"a",@progbits
	.p2align	6, 0x0
	.amdhsa_kernel _ZL19rocblas_trsv_deviceILi64ELi16ELb0ELb1ELb1ELb0EdPKdS1_PdEviT7_lllT6_T8_lllPii
		.amdhsa_group_segment_fixed_size 41480
		.amdhsa_private_segment_fixed_size 0
		.amdhsa_kernarg_size 352
		.amdhsa_user_sgpr_count 6
		.amdhsa_user_sgpr_private_segment_buffer 1
		.amdhsa_user_sgpr_dispatch_ptr 0
		.amdhsa_user_sgpr_queue_ptr 0
		.amdhsa_user_sgpr_kernarg_segment_ptr 1
		.amdhsa_user_sgpr_dispatch_id 0
		.amdhsa_user_sgpr_flat_scratch_init 0
		.amdhsa_user_sgpr_private_segment_size 0
		.amdhsa_uses_dynamic_stack 0
		.amdhsa_system_sgpr_private_segment_wavefront_offset 0
		.amdhsa_system_sgpr_workgroup_id_x 1
		.amdhsa_system_sgpr_workgroup_id_y 0
		.amdhsa_system_sgpr_workgroup_id_z 1
		.amdhsa_system_sgpr_workgroup_info 0
		.amdhsa_system_vgpr_workitem_id 1
		.amdhsa_next_free_vgpr 49
		.amdhsa_next_free_sgpr 98
		.amdhsa_reserve_vcc 1
		.amdhsa_reserve_flat_scratch 0
		.amdhsa_float_round_mode_32 0
		.amdhsa_float_round_mode_16_64 0
		.amdhsa_float_denorm_mode_32 3
		.amdhsa_float_denorm_mode_16_64 3
		.amdhsa_dx10_clamp 1
		.amdhsa_ieee_mode 1
		.amdhsa_fp16_overflow 0
		.amdhsa_exception_fp_ieee_invalid_op 0
		.amdhsa_exception_fp_denorm_src 0
		.amdhsa_exception_fp_ieee_div_zero 0
		.amdhsa_exception_fp_ieee_overflow 0
		.amdhsa_exception_fp_ieee_underflow 0
		.amdhsa_exception_fp_ieee_inexact 0
		.amdhsa_exception_int_div_zero 0
	.end_amdhsa_kernel
	.section	.text._ZL19rocblas_trsv_deviceILi64ELi16ELb0ELb1ELb1ELb0EdPKdS1_PdEviT7_lllT6_T8_lllPii,"axG",@progbits,_ZL19rocblas_trsv_deviceILi64ELi16ELb0ELb1ELb1ELb0EdPKdS1_PdEviT7_lllT6_T8_lllPii,comdat
.Lfunc_end30:
	.size	_ZL19rocblas_trsv_deviceILi64ELi16ELb0ELb1ELb1ELb0EdPKdS1_PdEviT7_lllT6_T8_lllPii, .Lfunc_end30-_ZL19rocblas_trsv_deviceILi64ELi16ELb0ELb1ELb1ELb0EdPKdS1_PdEviT7_lllT6_T8_lllPii
                                        ; -- End function
	.set _ZL19rocblas_trsv_deviceILi64ELi16ELb0ELb1ELb1ELb0EdPKdS1_PdEviT7_lllT6_T8_lllPii.num_vgpr, 37
	.set _ZL19rocblas_trsv_deviceILi64ELi16ELb0ELb1ELb1ELb0EdPKdS1_PdEviT7_lllT6_T8_lllPii.num_agpr, 0
	.set _ZL19rocblas_trsv_deviceILi64ELi16ELb0ELb1ELb1ELb0EdPKdS1_PdEviT7_lllT6_T8_lllPii.numbered_sgpr, 96
	.set _ZL19rocblas_trsv_deviceILi64ELi16ELb0ELb1ELb1ELb0EdPKdS1_PdEviT7_lllT6_T8_lllPii.num_named_barrier, 0
	.set _ZL19rocblas_trsv_deviceILi64ELi16ELb0ELb1ELb1ELb0EdPKdS1_PdEviT7_lllT6_T8_lllPii.private_seg_size, 0
	.set _ZL19rocblas_trsv_deviceILi64ELi16ELb0ELb1ELb1ELb0EdPKdS1_PdEviT7_lllT6_T8_lllPii.uses_vcc, 1
	.set _ZL19rocblas_trsv_deviceILi64ELi16ELb0ELb1ELb1ELb0EdPKdS1_PdEviT7_lllT6_T8_lllPii.uses_flat_scratch, 0
	.set _ZL19rocblas_trsv_deviceILi64ELi16ELb0ELb1ELb1ELb0EdPKdS1_PdEviT7_lllT6_T8_lllPii.has_dyn_sized_stack, 0
	.set _ZL19rocblas_trsv_deviceILi64ELi16ELb0ELb1ELb1ELb0EdPKdS1_PdEviT7_lllT6_T8_lllPii.has_recursion, 0
	.set _ZL19rocblas_trsv_deviceILi64ELi16ELb0ELb1ELb1ELb0EdPKdS1_PdEviT7_lllT6_T8_lllPii.has_indirect_call, 0
	.section	.AMDGPU.csdata,"",@progbits
; Kernel info:
; codeLenInByte = 39528
; TotalNumSgprs: 100
; NumVgprs: 37
; ScratchSize: 0
; MemoryBound: 0
; FloatMode: 240
; IeeeMode: 1
; LDSByteSize: 41480 bytes/workgroup (compile time only)
; SGPRBlocks: 12
; VGPRBlocks: 12
; NumSGPRsForWavesPerEU: 102
; NumVGPRsForWavesPerEU: 49
; Occupancy: 4
; WaveLimiterHint : 0
; COMPUTE_PGM_RSRC2:SCRATCH_EN: 0
; COMPUTE_PGM_RSRC2:USER_SGPR: 6
; COMPUTE_PGM_RSRC2:TRAP_HANDLER: 0
; COMPUTE_PGM_RSRC2:TGID_X_EN: 1
; COMPUTE_PGM_RSRC2:TGID_Y_EN: 0
; COMPUTE_PGM_RSRC2:TGID_Z_EN: 1
; COMPUTE_PGM_RSRC2:TIDIG_COMP_CNT: 1
	.section	.text._ZL19rocblas_trsv_deviceILi64ELi16ELb1ELb0ELb0ELb1EdPKdS1_PdEviT7_lllT6_T8_lllPii,"axG",@progbits,_ZL19rocblas_trsv_deviceILi64ELi16ELb1ELb0ELb0ELb1EdPKdS1_PdEviT7_lllT6_T8_lllPii,comdat
	.globl	_ZL19rocblas_trsv_deviceILi64ELi16ELb1ELb0ELb0ELb1EdPKdS1_PdEviT7_lllT6_T8_lllPii ; -- Begin function _ZL19rocblas_trsv_deviceILi64ELi16ELb1ELb0ELb0ELb1EdPKdS1_PdEviT7_lllT6_T8_lllPii
	.p2align	8
	.type	_ZL19rocblas_trsv_deviceILi64ELi16ELb1ELb0ELb0ELb1EdPKdS1_PdEviT7_lllT6_T8_lllPii,@function
_ZL19rocblas_trsv_deviceILi64ELi16ELb1ELb0ELb0ELb1EdPKdS1_PdEviT7_lllT6_T8_lllPii: ; @_ZL19rocblas_trsv_deviceILi64ELi16ELb1ELb0ELb0ELb1EdPKdS1_PdEviT7_lllT6_T8_lllPii
; %bb.0:
	s_load_dwordx16 s[16:31], s[4:5], 0x8
	s_load_dword s33, s[4:5], 0x0
	s_mov_b32 s34, s7
	s_mov_b32 s35, 0
	s_waitcnt lgkmcnt(0)
	s_mul_i32 s0, s23, s7
	s_mul_hi_u32 s1, s22, s7
	s_add_i32 s1, s1, s0
	s_mul_i32 s0, s22, s7
	s_lshl_b64 s[0:1], s[0:1], 3
	s_add_u32 s2, s16, s0
	s_load_dwordx2 s[22:23], s[24:25], 0x0
	s_load_dword s16, s[4:5], 0x6c
	s_addc_u32 s3, s17, s1
	s_lshl_b64 s[0:1], s[18:19], 3
	s_add_u32 s92, s2, s0
	s_addc_u32 s93, s3, s1
	s_cmp_eq_u32 s6, 0
	s_cbranch_scc1 .LBB31_10
; %bb.1:
	s_lshl_b32 s2, s6, 6
	v_add_u32_e32 v2, s2, v1
	v_subrev_u32_e32 v12, 64, v2
	v_ashrrev_i32_e32 v2, 31, v12
	v_mul_lo_u32 v6, s20, v2
	v_mul_lo_u32 v7, s21, v12
	v_mad_u64_u32 v[2:3], s[0:1], s20, v12, 0
	v_add_u32_e32 v4, s2, v0
	v_ashrrev_i32_e32 v5, 31, v4
	v_add3_u32 v3, v3, v6, v7
	v_lshlrev_b64 v[2:3], 3, v[2:3]
	v_mov_b32_e32 v6, s93
	v_add_co_u32_e64 v7, s[0:1], s92, v2
	v_addc_co_u32_e64 v6, s[0:1], v6, v3, s[0:1]
	v_lshlrev_b64 v[2:3], 3, v[4:5]
	v_cmp_gt_i32_e32 vcc, s33, v4
	v_add_co_u32_e64 v10, s[0:1], v7, v2
	v_addc_co_u32_e64 v11, s[0:1], v6, v3, s[0:1]
	v_cmp_gt_i32_e64 s[0:1], s33, v12
	v_mov_b32_e32 v4, 0
	v_mov_b32_e32 v2, 0
	;; [unrolled: 1-line block ×4, first 2 shown]
	s_and_b64 s[2:3], vcc, s[0:1]
	s_waitcnt lgkmcnt(0)
	s_barrier
	s_and_saveexec_b64 s[0:1], s[2:3]
	s_cbranch_execz .LBB31_3
; %bb.2:
	global_load_dwordx2 v[2:3], v[10:11], off
.LBB31_3:
	s_or_b64 exec, exec, s[0:1]
	v_add_u32_e32 v6, 16, v12
	v_cmp_gt_i32_e64 s[0:1], s33, v6
	s_and_b64 s[0:1], vcc, s[0:1]
	s_waitcnt vmcnt(0)
	s_barrier
	s_and_saveexec_b64 s[2:3], s[0:1]
	s_cbranch_execz .LBB31_5
; %bb.4:
	s_lshl_b64 s[0:1], s[20:21], 7
	v_mov_b32_e32 v5, s1
	v_add_co_u32_e64 v4, s[0:1], s0, v10
	v_addc_co_u32_e64 v5, s[0:1], v11, v5, s[0:1]
	global_load_dwordx2 v[4:5], v[4:5], off
.LBB31_5:
	s_or_b64 exec, exec, s[2:3]
	v_add_u32_e32 v6, 32, v12
	v_cmp_gt_i32_e64 s[0:1], s33, v6
	v_mov_b32_e32 v6, 0
	v_mov_b32_e32 v8, 0
	;; [unrolled: 1-line block ×4, first 2 shown]
	s_and_b64 s[0:1], vcc, s[0:1]
	s_waitcnt vmcnt(0)
	s_barrier
	s_and_saveexec_b64 s[2:3], s[0:1]
	s_cbranch_execz .LBB31_7
; %bb.6:
	s_lshl_b64 s[0:1], s[20:21], 8
	v_mov_b32_e32 v9, s1
	v_add_co_u32_e64 v8, s[0:1], s0, v10
	v_addc_co_u32_e64 v9, s[0:1], v11, v9, s[0:1]
	global_load_dwordx2 v[8:9], v[8:9], off
.LBB31_7:
	s_or_b64 exec, exec, s[2:3]
	v_add_u32_e32 v12, 48, v12
	v_cmp_gt_i32_e64 s[0:1], s33, v12
	s_and_b64 s[2:3], vcc, s[0:1]
	s_waitcnt vmcnt(0)
	s_barrier
	s_and_saveexec_b64 s[0:1], s[2:3]
	s_cbranch_execz .LBB31_9
; %bb.8:
	v_mov_b32_e32 v6, 0x180
	v_mad_u64_u32 v[6:7], s[2:3], s20, v6, v[10:11]
	s_mul_i32 s2, s21, 0x180
	v_add_u32_e32 v7, s2, v7
	global_load_dwordx2 v[6:7], v[6:7], off
.LBB31_9:
	s_or_b64 exec, exec, s[0:1]
	s_branch .LBB31_11
.LBB31_10:
                                        ; implicit-def: $vgpr6_vgpr7
                                        ; implicit-def: $vgpr8_vgpr9
                                        ; implicit-def: $vgpr4_vgpr5
                                        ; implicit-def: $vgpr2_vgpr3
.LBB31_11:
	s_ashr_i32 s0, s33, 31
	s_lshr_b32 s0, s0, 26
	s_add_i32 s0, s33, s0
	s_andn2_b32 s0, s0, 63
	s_sub_i32 s7, s33, s0
	s_add_i32 s0, s33, -1
	s_ashr_i32 s1, s0, 31
	s_lshr_b32 s1, s1, 26
	s_add_i32 s0, s0, s1
	s_ashr_i32 s0, s0, 6
	s_cmp_eq_u32 s0, s6
	s_cselect_b64 s[0:1], -1, 0
	s_cmp_lg_u32 s7, 0
	s_cselect_b64 s[2:3], -1, 0
	s_and_b64 s[18:19], s[2:3], s[0:1]
	s_mov_b64 s[2:3], -1
	s_and_b64 vcc, exec, s[18:19]
	v_cmp_le_u32_e64 s[0:1], v0, v1
	v_lshlrev_b32_e32 v18, 3, v0
	s_cbranch_vccnz .LBB31_33
; %bb.12:
	s_add_u32 s2, s20, 1
	s_addc_u32 s3, s21, 0
	s_lshl_b32 s8, s6, 6
	s_ashr_i32 s9, s8, 31
	s_mul_hi_u32 s10, s2, s8
	s_mul_i32 s9, s2, s9
	s_add_i32 s9, s10, s9
	s_mul_i32 s3, s3, s8
	s_add_i32 s3, s9, s3
	s_mul_i32 s2, s2, s8
	s_lshl_b64 s[2:3], s[2:3], 3
	s_add_u32 s2, s92, s2
	s_addc_u32 s3, s93, s3
	v_lshlrev_b32_e32 v14, 3, v0
	v_mov_b32_e32 v11, s3
	v_add_co_u32_e32 v10, vcc, s2, v14
	v_addc_co_u32_e32 v11, vcc, 0, v11, vcc
	s_mov_b64 s[2:3], 0
	s_and_saveexec_b64 s[8:9], s[0:1]
	s_xor_b64 s[0:1], exec, s[8:9]
; %bb.13:
	v_or_b32_e32 v12, v1, v0
	v_cmp_gt_u32_e32 vcc, 64, v12
	s_and_b64 s[2:3], vcc, exec
; %bb.14:
	s_or_saveexec_b64 s[0:1], s[0:1]
	v_mov_b32_e32 v12, 0
	v_mov_b32_e32 v13, 0
	s_xor_b64 exec, exec, s[0:1]
	s_cbranch_execz .LBB31_16
; %bb.15:
	v_mad_u64_u32 v[12:13], s[8:9], s20, v1, 0
	s_or_b64 s[2:3], s[2:3], exec
	v_mad_u64_u32 v[15:16], s[8:9], s21, v1, v[13:14]
	v_mov_b32_e32 v13, v15
	v_lshlrev_b64 v[12:13], 3, v[12:13]
	v_add_co_u32_e32 v12, vcc, v10, v12
	v_addc_co_u32_e32 v13, vcc, v11, v13, vcc
	global_load_dwordx2 v[12:13], v[12:13], off
	s_waitcnt vmcnt(0)
	v_xor_b32_e32 v13, 0x80000000, v13
.LBB31_16:
	s_or_b64 exec, exec, s[0:1]
	s_and_saveexec_b64 s[0:1], s[2:3]
; %bb.17:
	v_lshl_add_u32 v15, v1, 9, v14
	ds_write_b64 v15, v[12:13]
; %bb.18:
	s_or_b64 exec, exec, s[0:1]
	v_add_u32_e32 v15, 16, v1
	v_cmp_le_u32_e32 vcc, v0, v15
	s_mov_b64 s[0:1], 0
	s_and_saveexec_b64 s[2:3], vcc
	s_xor_b64 s[2:3], exec, s[2:3]
; %bb.19:
	v_or_b32_e32 v12, v15, v0
	v_cmp_gt_u32_e32 vcc, 64, v12
	s_and_b64 s[0:1], vcc, exec
; %bb.20:
	s_or_saveexec_b64 s[2:3], s[2:3]
	v_mov_b32_e32 v12, 0
	v_mov_b32_e32 v13, 0
	s_xor_b64 exec, exec, s[2:3]
	s_cbranch_execz .LBB31_22
; %bb.21:
	v_mad_u64_u32 v[12:13], s[8:9], s20, v15, 0
	s_or_b64 s[0:1], s[0:1], exec
	v_mad_u64_u32 v[16:17], s[8:9], s21, v15, v[13:14]
	v_mov_b32_e32 v13, v16
	v_lshlrev_b64 v[12:13], 3, v[12:13]
	v_add_co_u32_e32 v12, vcc, v10, v12
	v_addc_co_u32_e32 v13, vcc, v11, v13, vcc
	global_load_dwordx2 v[12:13], v[12:13], off
	s_waitcnt vmcnt(0)
	v_xor_b32_e32 v13, 0x80000000, v13
.LBB31_22:
	s_or_b64 exec, exec, s[2:3]
	s_and_saveexec_b64 s[2:3], s[0:1]
; %bb.23:
	v_lshl_add_u32 v15, v15, 9, v14
	ds_write_b64 v15, v[12:13]
; %bb.24:
	s_or_b64 exec, exec, s[2:3]
	v_add_u32_e32 v15, 32, v1
	v_cmp_le_u32_e32 vcc, v0, v15
	s_mov_b64 s[0:1], 0
	s_and_saveexec_b64 s[2:3], vcc
	s_xor_b64 s[2:3], exec, s[2:3]
; %bb.25:
	v_or_b32_e32 v12, v15, v0
	v_cmp_gt_u32_e32 vcc, 64, v12
	s_and_b64 s[0:1], vcc, exec
; %bb.26:
	s_or_saveexec_b64 s[2:3], s[2:3]
	v_mov_b32_e32 v12, 0
	v_mov_b32_e32 v13, 0
	s_xor_b64 exec, exec, s[2:3]
	s_cbranch_execz .LBB31_28
; %bb.27:
	v_mad_u64_u32 v[12:13], s[8:9], s20, v15, 0
	s_or_b64 s[0:1], s[0:1], exec
	v_mad_u64_u32 v[16:17], s[8:9], s21, v15, v[13:14]
	v_mov_b32_e32 v13, v16
	v_lshlrev_b64 v[12:13], 3, v[12:13]
	v_add_co_u32_e32 v12, vcc, v10, v12
	v_addc_co_u32_e32 v13, vcc, v11, v13, vcc
	global_load_dwordx2 v[12:13], v[12:13], off
	s_waitcnt vmcnt(0)
	v_xor_b32_e32 v13, 0x80000000, v13
.LBB31_28:
	s_or_b64 exec, exec, s[2:3]
	s_and_saveexec_b64 s[2:3], s[0:1]
; %bb.29:
	v_lshl_add_u32 v14, v15, 9, v14
	ds_write_b64 v14, v[12:13]
; %bb.30:
	s_or_b64 exec, exec, s[2:3]
	v_add_u32_e32 v14, 48, v1
	v_cmp_le_u32_e32 vcc, v0, v14
	s_mov_b64 s[0:1], -1
	s_mov_b64 s[2:3], 0
	s_mov_b64 s[8:9], 0
	s_and_saveexec_b64 s[10:11], vcc
	s_xor_b64 s[10:11], exec, s[10:11]
; %bb.31:
	v_or_b32_e32 v12, v14, v0
	v_cmp_gt_u32_e32 vcc, 64, v12
	s_and_b64 s[8:9], vcc, exec
	s_xor_b64 s[0:1], exec, -1
; %bb.32:
	s_or_b64 exec, exec, s[10:11]
	v_lshl_add_u32 v15, v14, 6, v0
	s_and_b64 vcc, exec, s[2:3]
	s_cbranch_vccnz .LBB31_34
	s_branch .LBB31_55
.LBB31_33:
	s_mov_b64 s[0:1], 0
	s_mov_b64 s[8:9], 0
                                        ; implicit-def: $vgpr15
                                        ; implicit-def: $vgpr10_vgpr11
                                        ; implicit-def: $vgpr14
	s_and_b64 vcc, exec, s[2:3]
	s_cbranch_vccz .LBB31_55
.LBB31_34:
	s_add_u32 s0, s20, 1
	s_addc_u32 s1, s21, 0
	s_lshl_b32 s2, s6, 6
	s_ashr_i32 s3, s2, 31
	s_mul_hi_u32 s10, s0, s2
	s_mul_i32 s3, s0, s3
	s_add_i32 s3, s10, s3
	s_mul_i32 s1, s1, s2
	s_add_i32 s1, s3, s1
	s_mul_i32 s0, s0, s2
	s_lshl_b64 s[0:1], s[0:1], 3
	s_add_u32 s0, s92, s0
	s_addc_u32 s1, s93, s1
	v_lshlrev_b32_e32 v14, 3, v0
	v_mov_b32_e32 v11, s1
	v_add_co_u32_e64 v10, s[0:1], s0, v14
	v_addc_co_u32_e64 v11, s[0:1], 0, v11, s[0:1]
	v_max_i32_e32 v12, v1, v0
	v_cmp_le_u32_e64 s[0:1], v0, v1
	v_cmp_le_i32_e64 s[2:3], s7, v12
	v_cmp_gt_i32_e32 vcc, s7, v0
	s_or_b64 s[0:1], s[2:3], s[0:1]
	s_mov_b64 s[2:3], 0
	s_and_saveexec_b64 s[10:11], s[0:1]
	s_xor_b64 s[10:11], exec, s[10:11]
; %bb.35:
	v_or_b32_e32 v12, v1, v0
	v_cmp_gt_u32_e64 s[0:1], 64, v12
	s_and_b64 s[2:3], s[0:1], exec
; %bb.36:
	s_or_saveexec_b64 s[10:11], s[10:11]
	v_mov_b32_e32 v12, 0
	v_mov_b32_e32 v13, 0
	s_xor_b64 exec, exec, s[10:11]
	s_cbranch_execz .LBB31_38
; %bb.37:
	v_mad_u64_u32 v[12:13], s[0:1], s20, v1, 0
	s_or_b64 s[2:3], s[2:3], exec
	v_mad_u64_u32 v[15:16], s[0:1], s21, v1, v[13:14]
	v_mov_b32_e32 v13, v15
	v_lshlrev_b64 v[12:13], 3, v[12:13]
	v_add_co_u32_e64 v12, s[0:1], v10, v12
	v_addc_co_u32_e64 v13, s[0:1], v11, v13, s[0:1]
	global_load_dwordx2 v[12:13], v[12:13], off
	s_waitcnt vmcnt(0)
	v_xor_b32_e32 v13, 0x80000000, v13
.LBB31_38:
	s_or_b64 exec, exec, s[10:11]
	s_and_saveexec_b64 s[0:1], s[2:3]
; %bb.39:
	v_lshl_add_u32 v15, v1, 9, v14
	ds_write_b64 v15, v[12:13]
; %bb.40:
	s_or_b64 exec, exec, s[0:1]
	v_add_u32_e32 v15, 16, v1
	v_cmp_gt_u32_e64 s[0:1], v0, v15
	v_cmp_gt_i32_e64 s[2:3], s7, v15
	s_and_b64 s[0:1], s[0:1], s[2:3]
	s_and_b64 s[0:1], s[0:1], vcc
	s_xor_b64 s[0:1], s[0:1], -1
	s_mov_b64 s[2:3], 0
	s_and_saveexec_b64 s[10:11], s[0:1]
	s_xor_b64 s[10:11], exec, s[10:11]
; %bb.41:
	v_or_b32_e32 v12, v15, v0
	v_cmp_gt_u32_e64 s[0:1], 64, v12
	s_and_b64 s[2:3], s[0:1], exec
; %bb.42:
	s_or_saveexec_b64 s[10:11], s[10:11]
	v_mov_b32_e32 v12, 0
	v_mov_b32_e32 v13, 0
	s_xor_b64 exec, exec, s[10:11]
	s_cbranch_execz .LBB31_44
; %bb.43:
	v_mad_u64_u32 v[12:13], s[0:1], s20, v15, 0
	s_or_b64 s[2:3], s[2:3], exec
	v_mad_u64_u32 v[16:17], s[0:1], s21, v15, v[13:14]
	v_mov_b32_e32 v13, v16
	v_lshlrev_b64 v[12:13], 3, v[12:13]
	v_add_co_u32_e64 v12, s[0:1], v10, v12
	v_addc_co_u32_e64 v13, s[0:1], v11, v13, s[0:1]
	global_load_dwordx2 v[12:13], v[12:13], off
	s_waitcnt vmcnt(0)
	v_xor_b32_e32 v13, 0x80000000, v13
.LBB31_44:
	s_or_b64 exec, exec, s[10:11]
	s_and_saveexec_b64 s[0:1], s[2:3]
; %bb.45:
	v_lshl_add_u32 v15, v15, 9, v14
	ds_write_b64 v15, v[12:13]
; %bb.46:
	s_or_b64 exec, exec, s[0:1]
	v_add_u32_e32 v15, 32, v1
	v_cmp_gt_u32_e64 s[0:1], v0, v15
	v_cmp_gt_i32_e64 s[2:3], s7, v15
	s_and_b64 s[0:1], s[0:1], s[2:3]
	s_and_b64 s[0:1], s[0:1], vcc
	s_xor_b64 s[0:1], s[0:1], -1
	s_mov_b64 s[2:3], 0
	s_and_saveexec_b64 s[10:11], s[0:1]
	s_xor_b64 s[10:11], exec, s[10:11]
; %bb.47:
	v_or_b32_e32 v12, v15, v0
	v_cmp_gt_u32_e64 s[0:1], 64, v12
	s_and_b64 s[2:3], s[0:1], exec
; %bb.48:
	s_or_saveexec_b64 s[10:11], s[10:11]
	v_mov_b32_e32 v12, 0
	v_mov_b32_e32 v13, 0
	s_xor_b64 exec, exec, s[10:11]
	s_cbranch_execz .LBB31_50
; %bb.49:
	v_mad_u64_u32 v[12:13], s[0:1], s20, v15, 0
	s_or_b64 s[2:3], s[2:3], exec
	v_mad_u64_u32 v[16:17], s[0:1], s21, v15, v[13:14]
	v_mov_b32_e32 v13, v16
	v_lshlrev_b64 v[12:13], 3, v[12:13]
	v_add_co_u32_e64 v12, s[0:1], v10, v12
	v_addc_co_u32_e64 v13, s[0:1], v11, v13, s[0:1]
	global_load_dwordx2 v[12:13], v[12:13], off
	s_waitcnt vmcnt(0)
	v_xor_b32_e32 v13, 0x80000000, v13
.LBB31_50:
	s_or_b64 exec, exec, s[10:11]
	s_and_saveexec_b64 s[0:1], s[2:3]
; %bb.51:
	v_lshl_add_u32 v14, v15, 9, v14
	ds_write_b64 v14, v[12:13]
; %bb.52:
	s_or_b64 exec, exec, s[0:1]
	v_add_u32_e32 v14, 48, v1
	v_cmp_gt_u32_e64 s[0:1], v0, v14
	v_cmp_gt_i32_e64 s[2:3], s7, v14
	s_and_b64 s[0:1], s[0:1], s[2:3]
	s_and_b64 s[2:3], s[0:1], vcc
	s_mov_b64 s[0:1], -1
	s_xor_b64 s[10:11], s[2:3], -1
	s_and_saveexec_b64 s[2:3], s[10:11]
; %bb.53:
	v_or_b32_e32 v12, v14, v0
	v_cmp_gt_u32_e32 vcc, 64, v12
	s_andn2_b64 s[0:1], s[8:9], exec
	s_and_b64 s[8:9], vcc, exec
	s_or_b64 s[8:9], s[0:1], s[8:9]
	s_xor_b64 s[0:1], exec, -1
; %bb.54:
	s_or_b64 exec, exec, s[2:3]
	v_lshl_add_u32 v15, v14, 6, v0
.LBB31_55:
	v_mov_b32_e32 v12, 0
	v_mov_b32_e32 v13, 0
	s_and_saveexec_b64 s[2:3], s[0:1]
	s_cbranch_execnz .LBB31_1077
; %bb.56:
	s_or_b64 exec, exec, s[2:3]
	s_and_saveexec_b64 s[0:1], s[8:9]
.LBB31_57:
	v_lshlrev_b32_e32 v10, 3, v15
	ds_write_b64 v10, v[12:13]
.LBB31_58:
	s_or_b64 exec, exec, s[0:1]
	s_cmp_lt_i32 s6, 5
	s_cselect_b64 s[0:1], -1, 0
	s_or_b64 s[24:25], s[0:1], s[18:19]
	s_and_b64 vcc, exec, s[24:25]
	s_waitcnt vmcnt(0) lgkmcnt(0)
	s_barrier
	s_cbranch_vccnz .LBB31_1034
; %bb.59:
	v_or_b32_e32 v10, v0, v1
	s_mov_b32 s2, 0
	v_cmp_eq_u32_e32 vcc, 0, v10
	s_and_saveexec_b64 s[0:1], vcc
; %bb.60:
	s_mov_b32 s3, 0x3ff00000
	v_mov_b32_e32 v11, s3
	v_mov_b32_e32 v12, 0
	;; [unrolled: 1-line block ×3, first 2 shown]
	ds_write2_b64 v12, v[10:11], v[10:11] offset1:65
; %bb.61:
	s_or_b64 exec, exec, s[0:1]
	v_lshl_add_u32 v14, v1, 6, v0
	v_and_b32_e32 v16, 1, v0
	v_lshrrev_b32_e32 v15, 1, v14
	v_lshlrev_b32_e32 v12, 3, v16
	v_mov_b32_e32 v10, 0
	v_cmp_lt_u32_e64 s[2:3], 3, v14
	v_cmp_gt_u32_e64 s[0:1], 4, v14
	v_mov_b32_e32 v11, 0
	v_lshl_or_b32 v12, v15, 9, v12
	s_waitcnt lgkmcnt(0)
	s_barrier
	s_and_saveexec_b64 s[10:11], s[0:1]
	s_cbranch_execz .LBB31_65
; %bb.62:
	v_mul_u32_u24_e32 v13, 0x208, v15
	ds_read_b64 v[10:11], v12 offset:16
	ds_read_b64 v[19:20], v13
	v_cmp_gt_u32_e64 s[8:9], 2, v14
	s_waitcnt lgkmcnt(0)
	v_fma_f64 v[10:11], v[10:11], v[19:20], 0
	s_and_saveexec_b64 s[12:13], s[8:9]
	s_cbranch_execz .LBB31_64
; %bb.63:
	v_lshlrev_b32_e32 v13, 3, v0
	v_mov_b32_e32 v17, 0
	ds_read_b64 v[19:20], v13 offset:528
	ds_read_b64 v[21:22], v17 offset:8
	s_waitcnt lgkmcnt(0)
	v_fma_f64 v[10:11], v[19:20], v[21:22], v[10:11]
.LBB31_64:
	s_or_b64 exec, exec, s[12:13]
	v_xor_b32_e32 v11, 0x80000000, v11
.LBB31_65:
                                        ; implicit-def: $vgpr41 : SGPR spill to VGPR lane
	v_writelane_b32 v41, s22, 0
	v_writelane_b32 v41, s23, 1
	s_or_b64 exec, exec, s[10:11]
	v_mov_b32_e32 v13, 0x8000
	v_cmp_eq_u32_e64 s[8:9], 0, v16
	s_xor_b64 s[10:11], s[2:3], -1
	v_lshl_add_u32 v13, v15, 3, v13
	s_and_b64 s[38:39], s[8:9], s[10:11]
	s_and_saveexec_b64 s[2:3], s[38:39]
; %bb.66:
	ds_write_b64 v13, v[10:11]
; %bb.67:
	s_or_b64 exec, exec, s[2:3]
	v_cmp_ne_u32_e64 s[2:3], 0, v16
	s_and_b64 s[36:37], s[2:3], s[10:11]
	s_waitcnt lgkmcnt(0)
	s_barrier
	s_and_saveexec_b64 s[2:3], s[36:37]
	s_cbranch_execz .LBB31_69
; %bb.68:
	v_mov_b32_e32 v16, 0
	ds_read_b64 v[16:17], v16 offset:1048
	ds_read_b64 v[19:20], v13
	s_waitcnt lgkmcnt(0)
	v_fma_f64 v[10:11], v[16:17], v[19:20], v[10:11]
.LBB31_69:
	s_or_b64 exec, exec, s[2:3]
	s_barrier
	s_and_saveexec_b64 s[2:3], s[36:37]
; %bb.70:
	ds_write_b64 v13, v[10:11]
; %bb.71:
	s_or_b64 exec, exec, s[2:3]
	s_waitcnt lgkmcnt(0)
	s_barrier
	s_barrier
	s_and_saveexec_b64 s[2:3], s[0:1]
; %bb.72:
	v_xor_b32_e32 v11, 0x80000000, v11
	ds_write_b64 v12, v[10:11] offset:16
; %bb.73:
	s_or_b64 exec, exec, s[2:3]
	s_waitcnt lgkmcnt(0)
	s_barrier
	s_barrier
	s_and_saveexec_b64 s[2:3], vcc
; %bb.74:
	s_mov_b64 s[8:9], 1.0
	v_mov_b32_e32 v11, s9
	v_mov_b32_e32 v16, 0
	;; [unrolled: 1-line block ×3, first 2 shown]
	ds_write2_b64 v16, v[10:11], v[10:11] offset0:130 offset1:195
; %bb.75:
	s_or_b64 exec, exec, s[2:3]
	v_and_b32_e32 v20, 3, v0
	v_lshrrev_b32_e32 v21, 2, v14
	v_lshlrev_b32_e32 v17, 3, v20
	v_mov_b32_e32 v10, 0
	v_cmp_lt_u32_e64 s[8:9], 15, v14
	v_cmp_gt_u32_e64 s[2:3], 16, v14
	v_mov_b32_e32 v11, 0
	v_lshl_or_b32 v16, v21, 9, v17
	s_waitcnt lgkmcnt(0)
	s_barrier
	s_and_saveexec_b64 s[12:13], s[2:3]
	s_cbranch_execz .LBB31_81
; %bb.76:
	v_mul_u32_u24_e32 v19, 0x208, v21
	ds_read_b64 v[10:11], v16 offset:32
	ds_read_b64 v[22:23], v19
	v_cmp_gt_u32_e64 s[10:11], 12, v14
	s_waitcnt lgkmcnt(0)
	v_fma_f64 v[10:11], v[10:11], v[22:23], 0
	s_and_saveexec_b64 s[14:15], s[10:11]
	s_cbranch_execnz .LBB31_1110
; %bb.77:
	s_or_b64 exec, exec, s[14:15]
	v_cmp_gt_u32_e64 s[10:11], 8, v14
	s_and_saveexec_b64 s[14:15], s[10:11]
	s_cbranch_execnz .LBB31_1111
.LBB31_78:
	s_or_b64 exec, exec, s[14:15]
	v_cmp_gt_u32_e64 s[10:11], 4, v14
	s_and_saveexec_b64 s[14:15], s[10:11]
	s_cbranch_execz .LBB31_80
.LBB31_79:
	v_lshlrev_b32_e32 v19, 3, v0
	v_mov_b32_e32 v24, 0
	ds_read_b64 v[22:23], v19 offset:1568
	ds_read_b64 v[24:25], v24 offset:24
	s_waitcnt lgkmcnt(0)
	v_fma_f64 v[10:11], v[22:23], v[24:25], v[10:11]
.LBB31_80:
	s_or_b64 exec, exec, s[14:15]
	v_xor_b32_e32 v11, 0x80000000, v11
.LBB31_81:
	s_or_b64 exec, exec, s[12:13]
	v_mov_b32_e32 v19, 0x8000
	v_cmp_eq_u32_e64 s[10:11], 0, v20
	s_xor_b64 s[12:13], s[8:9], -1
	v_lshl_add_u32 v19, v21, 3, v19
	s_and_b64 s[42:43], s[10:11], s[12:13]
	s_and_saveexec_b64 s[8:9], s[42:43]
; %bb.82:
	ds_write_b64 v19, v[10:11]
; %bb.83:
	s_or_b64 exec, exec, s[8:9]
	v_cmp_ne_u32_e64 s[8:9], 0, v20
	s_and_b64 s[44:45], s[8:9], s[12:13]
	s_waitcnt lgkmcnt(0)
	s_barrier
	s_and_saveexec_b64 s[8:9], s[44:45]
	s_cbranch_execz .LBB31_85
; %bb.84:
	ds_read_b64 v[22:23], v17 offset:2080
	ds_read_b64 v[24:25], v19
	s_waitcnt lgkmcnt(0)
	v_fma_f64 v[10:11], v[22:23], v[24:25], v[10:11]
.LBB31_85:
	s_or_b64 exec, exec, s[8:9]
	v_cmp_eq_u32_e64 s[8:9], 1, v20
	s_and_b64 s[46:47], s[8:9], s[12:13]
	s_barrier
	s_and_saveexec_b64 s[8:9], s[46:47]
; %bb.86:
	ds_write_b64 v19, v[10:11]
; %bb.87:
	s_or_b64 exec, exec, s[8:9]
	v_cmp_lt_u32_e64 s[8:9], 1, v20
	s_and_b64 s[48:49], s[8:9], s[12:13]
	s_waitcnt lgkmcnt(0)
	s_barrier
	s_and_saveexec_b64 s[8:9], s[48:49]
	s_cbranch_execz .LBB31_89
; %bb.88:
	ds_read_b64 v[22:23], v17 offset:2592
	ds_read_b64 v[24:25], v19
	s_waitcnt lgkmcnt(0)
	v_fma_f64 v[10:11], v[22:23], v[24:25], v[10:11]
.LBB31_89:
	s_or_b64 exec, exec, s[8:9]
	v_cmp_eq_u32_e64 s[8:9], 2, v20
	s_and_b64 s[50:51], s[8:9], s[12:13]
	s_barrier
	s_and_saveexec_b64 s[8:9], s[50:51]
; %bb.90:
	ds_write_b64 v19, v[10:11]
; %bb.91:
	s_or_b64 exec, exec, s[8:9]
	v_cmp_eq_u32_e64 s[8:9], 3, v20
	s_and_b64 s[40:41], s[8:9], s[12:13]
	s_waitcnt lgkmcnt(0)
	s_barrier
	s_and_saveexec_b64 s[8:9], s[40:41]
	s_cbranch_execz .LBB31_93
; %bb.92:
	v_mov_b32_e32 v22, 0
	ds_read_b64 v[22:23], v22 offset:3128
	ds_read_b64 v[24:25], v19
	s_waitcnt lgkmcnt(0)
	v_fma_f64 v[10:11], v[22:23], v[24:25], v[10:11]
.LBB31_93:
	s_or_b64 exec, exec, s[8:9]
	s_barrier
	s_and_saveexec_b64 s[8:9], s[40:41]
; %bb.94:
	ds_write_b64 v19, v[10:11]
; %bb.95:
	s_or_b64 exec, exec, s[8:9]
	s_waitcnt lgkmcnt(0)
	s_barrier
	s_barrier
	s_and_saveexec_b64 s[8:9], s[2:3]
; %bb.96:
	v_xor_b32_e32 v11, 0x80000000, v11
	ds_write_b64 v16, v[10:11] offset:32
; %bb.97:
	s_or_b64 exec, exec, s[8:9]
	s_waitcnt lgkmcnt(0)
	s_barrier
	s_barrier
	s_and_saveexec_b64 s[8:9], vcc
	s_cbranch_execz .LBB31_99
; %bb.98:
	s_mov_b64 s[10:11], 1.0
	v_mov_b32_e32 v10, s10
	v_mov_b32_e32 v11, s11
	s_movk_i32 s10, 0x800
	v_add_u32_e64 v22, s10, 0
	ds_write2_b64 v22, v[10:11], v[10:11] offset0:4 offset1:69
.LBB31_99:
	s_or_b64 exec, exec, s[8:9]
	v_mov_b32_e32 v10, 0
	v_mov_b32_e32 v11, 0
	s_waitcnt lgkmcnt(0)
	s_barrier
	s_and_saveexec_b64 s[10:11], s[0:1]
	s_cbranch_execz .LBB31_103
; %bb.100:
	v_mul_u32_u24_e32 v22, 0x208, v15
	ds_read_b64 v[10:11], v12 offset:2096
	ds_read_b64 v[22:23], v22 offset:2080
	v_cmp_gt_u32_e64 s[8:9], 2, v14
	s_waitcnt lgkmcnt(0)
	v_fma_f64 v[10:11], v[10:11], v[22:23], 0
	s_and_saveexec_b64 s[12:13], s[8:9]
	s_cbranch_execz .LBB31_102
; %bb.101:
	v_lshlrev_b32_e32 v22, 3, v0
	v_mov_b32_e32 v24, 0
	ds_read_b64 v[22:23], v22 offset:2608
	ds_read_b64 v[24:25], v24 offset:2088
	s_waitcnt lgkmcnt(0)
	v_fma_f64 v[10:11], v[22:23], v[24:25], v[10:11]
.LBB31_102:
	s_or_b64 exec, exec, s[12:13]
	v_xor_b32_e32 v11, 0x80000000, v11
.LBB31_103:
	s_or_b64 exec, exec, s[10:11]
	s_and_saveexec_b64 s[8:9], s[38:39]
; %bb.104:
	ds_write_b64 v13, v[10:11]
; %bb.105:
	s_or_b64 exec, exec, s[8:9]
	s_waitcnt lgkmcnt(0)
	s_barrier
	s_and_saveexec_b64 s[8:9], s[36:37]
	s_cbranch_execz .LBB31_107
; %bb.106:
	v_mov_b32_e32 v22, 0
	ds_read_b64 v[22:23], v22 offset:3128
	ds_read_b64 v[24:25], v13
	s_waitcnt lgkmcnt(0)
	v_fma_f64 v[10:11], v[22:23], v[24:25], v[10:11]
.LBB31_107:
	s_or_b64 exec, exec, s[8:9]
	s_barrier
	s_and_saveexec_b64 s[8:9], s[36:37]
; %bb.108:
	ds_write_b64 v13, v[10:11]
; %bb.109:
	s_or_b64 exec, exec, s[8:9]
	s_waitcnt lgkmcnt(0)
	s_barrier
	s_barrier
	s_and_saveexec_b64 s[8:9], s[0:1]
; %bb.110:
	v_xor_b32_e32 v11, 0x80000000, v11
	ds_write_b64 v12, v[10:11] offset:2096
; %bb.111:
	s_or_b64 exec, exec, s[8:9]
	s_waitcnt lgkmcnt(0)
	s_barrier
	s_barrier
	s_and_saveexec_b64 s[8:9], vcc
	s_cbranch_execz .LBB31_113
; %bb.112:
	s_mov_b64 s[10:11], 1.0
	v_mov_b32_e32 v10, s10
	v_mov_b32_e32 v11, s11
	s_movk_i32 s10, 0x800
	v_add_u32_e64 v22, s10, 0
	ds_write2_b64 v22, v[10:11], v[10:11] offset0:134 offset1:199
.LBB31_113:
	s_or_b64 exec, exec, s[8:9]
	v_and_b32_e32 v25, 7, v0
	v_lshrrev_b32_e32 v26, 3, v14
	v_lshlrev_b32_e32 v23, 3, v25
	v_mov_b32_e32 v10, 0
	v_cmp_lt_u32_e64 s[8:9], 63, v14
	v_cmp_gt_u32_e64 s[14:15], 64, v14
	v_mov_b32_e32 v11, 0
	v_lshl_or_b32 v22, v26, 9, v23
	s_waitcnt lgkmcnt(0)
	s_barrier
	s_and_saveexec_b64 s[12:13], s[14:15]
	s_cbranch_execz .LBB31_123
; %bb.114:
	v_mul_u32_u24_e32 v24, 0x208, v26
	ds_read_b64 v[10:11], v22 offset:64
	ds_read_b64 v[27:28], v24
	v_cmp_gt_u32_e64 s[10:11], 56, v14
	s_waitcnt lgkmcnt(0)
	v_fma_f64 v[10:11], v[10:11], v[27:28], 0
	s_and_saveexec_b64 s[16:17], s[10:11]
	s_cbranch_execnz .LBB31_1112
; %bb.115:
	s_or_b64 exec, exec, s[16:17]
	v_cmp_gt_u32_e64 s[10:11], 48, v14
	s_and_saveexec_b64 s[16:17], s[10:11]
	s_cbranch_execnz .LBB31_1113
.LBB31_116:
	s_or_b64 exec, exec, s[16:17]
	v_cmp_gt_u32_e64 s[10:11], 40, v14
	s_and_saveexec_b64 s[16:17], s[10:11]
	s_cbranch_execnz .LBB31_1114
.LBB31_117:
	s_or_b64 exec, exec, s[16:17]
	v_cmp_gt_u32_e64 s[10:11], 32, v14
	s_and_saveexec_b64 s[16:17], s[10:11]
	s_cbranch_execnz .LBB31_1115
.LBB31_118:
	s_or_b64 exec, exec, s[16:17]
	v_cmp_gt_u32_e64 s[10:11], 24, v14
	s_and_saveexec_b64 s[16:17], s[10:11]
	s_cbranch_execnz .LBB31_1116
.LBB31_119:
	s_or_b64 exec, exec, s[16:17]
	v_cmp_gt_u32_e64 s[10:11], 16, v14
	s_and_saveexec_b64 s[16:17], s[10:11]
	s_cbranch_execnz .LBB31_1117
.LBB31_120:
	s_or_b64 exec, exec, s[16:17]
	v_cmp_gt_u32_e64 s[10:11], 8, v14
	s_and_saveexec_b64 s[16:17], s[10:11]
	s_cbranch_execz .LBB31_122
.LBB31_121:
	v_lshlrev_b32_e32 v24, 3, v0
	v_mov_b32_e32 v29, 0
	ds_read_b64 v[27:28], v24 offset:3648
	ds_read_b64 v[29:30], v29 offset:56
	s_waitcnt lgkmcnt(0)
	v_fma_f64 v[10:11], v[27:28], v[29:30], v[10:11]
.LBB31_122:
	s_or_b64 exec, exec, s[16:17]
	v_xor_b32_e32 v11, 0x80000000, v11
.LBB31_123:
	s_or_b64 exec, exec, s[12:13]
	v_mov_b32_e32 v24, 0x8000
	v_cmp_eq_u32_e64 s[10:11], 0, v25
	s_xor_b64 s[12:13], s[8:9], -1
	v_lshl_add_u32 v24, v26, 3, v24
	s_and_b64 s[52:53], s[10:11], s[12:13]
	s_and_saveexec_b64 s[8:9], s[52:53]
; %bb.124:
	ds_write_b64 v24, v[10:11]
; %bb.125:
	s_or_b64 exec, exec, s[8:9]
	v_cmp_ne_u32_e64 s[8:9], 0, v25
	s_and_b64 s[54:55], s[8:9], s[12:13]
	s_waitcnt lgkmcnt(0)
	s_barrier
	s_and_saveexec_b64 s[8:9], s[54:55]
	s_cbranch_execz .LBB31_127
; %bb.126:
	ds_read_b64 v[27:28], v23 offset:4160
	ds_read_b64 v[29:30], v24
	s_waitcnt lgkmcnt(0)
	v_fma_f64 v[10:11], v[27:28], v[29:30], v[10:11]
.LBB31_127:
	s_or_b64 exec, exec, s[8:9]
	v_cmp_eq_u32_e64 s[8:9], 1, v25
	s_and_b64 s[56:57], s[8:9], s[12:13]
	s_barrier
	s_and_saveexec_b64 s[8:9], s[56:57]
; %bb.128:
	ds_write_b64 v24, v[10:11]
; %bb.129:
	s_or_b64 exec, exec, s[8:9]
	v_cmp_lt_u32_e64 s[8:9], 1, v25
	s_and_b64 s[58:59], s[8:9], s[12:13]
	s_waitcnt lgkmcnt(0)
	s_barrier
	s_and_saveexec_b64 s[8:9], s[58:59]
	s_cbranch_execz .LBB31_131
; %bb.130:
	ds_read_b64 v[27:28], v23 offset:4672
	ds_read_b64 v[29:30], v24
	s_waitcnt lgkmcnt(0)
	v_fma_f64 v[10:11], v[27:28], v[29:30], v[10:11]
.LBB31_131:
	s_or_b64 exec, exec, s[8:9]
	v_cmp_eq_u32_e64 s[8:9], 2, v25
	s_and_b64 s[60:61], s[8:9], s[12:13]
	s_barrier
	s_and_saveexec_b64 s[8:9], s[60:61]
; %bb.132:
	ds_write_b64 v24, v[10:11]
; %bb.133:
	s_or_b64 exec, exec, s[8:9]
	v_cmp_lt_u32_e64 s[8:9], 2, v25
	;; [unrolled: 21-line block ×5, first 2 shown]
	s_and_b64 s[76:77], s[8:9], s[12:13]
	s_waitcnt lgkmcnt(0)
	s_barrier
	s_and_saveexec_b64 s[8:9], s[76:77]
	s_cbranch_execz .LBB31_147
; %bb.146:
	ds_read_b64 v[27:28], v23 offset:6720
	ds_read_b64 v[29:30], v24
	s_waitcnt lgkmcnt(0)
	v_fma_f64 v[10:11], v[27:28], v[29:30], v[10:11]
.LBB31_147:
	s_or_b64 exec, exec, s[8:9]
	v_cmp_eq_u32_e64 s[8:9], 6, v25
	s_and_b64 s[78:79], s[8:9], s[12:13]
	s_barrier
	s_and_saveexec_b64 s[8:9], s[78:79]
; %bb.148:
	ds_write_b64 v24, v[10:11]
; %bb.149:
	s_or_b64 exec, exec, s[8:9]
	v_cmp_eq_u32_e64 s[8:9], 7, v25
	s_and_b64 s[62:63], s[8:9], s[12:13]
	s_waitcnt lgkmcnt(0)
	s_barrier
	s_and_saveexec_b64 s[8:9], s[62:63]
	s_cbranch_execz .LBB31_151
; %bb.150:
	v_mov_b32_e32 v27, 0
	ds_read_b64 v[27:28], v27 offset:7288
	ds_read_b64 v[29:30], v24
	s_waitcnt lgkmcnt(0)
	v_fma_f64 v[10:11], v[27:28], v[29:30], v[10:11]
.LBB31_151:
	s_or_b64 exec, exec, s[8:9]
	s_barrier
	s_and_saveexec_b64 s[8:9], s[62:63]
; %bb.152:
	ds_write_b64 v24, v[10:11]
; %bb.153:
	s_or_b64 exec, exec, s[8:9]
	s_waitcnt lgkmcnt(0)
	s_barrier
	s_barrier
	s_and_saveexec_b64 s[8:9], s[14:15]
; %bb.154:
	v_xor_b32_e32 v11, 0x80000000, v11
	ds_write_b64 v22, v[10:11] offset:64
; %bb.155:
	s_or_b64 exec, exec, s[8:9]
	s_waitcnt lgkmcnt(0)
	s_barrier
	s_barrier
	s_and_saveexec_b64 s[8:9], vcc
	s_cbranch_execz .LBB31_157
; %bb.156:
	s_mov_b64 s[10:11], 1.0
	v_mov_b32_e32 v10, s10
	v_mov_b32_e32 v11, s11
	s_movk_i32 s10, 0x1000
	v_add_u32_e64 v27, s10, 0
	ds_write2_b64 v27, v[10:11], v[10:11] offset0:8 offset1:73
.LBB31_157:
	s_or_b64 exec, exec, s[8:9]
	v_mov_b32_e32 v10, 0
	v_mov_b32_e32 v11, 0
	s_waitcnt lgkmcnt(0)
	s_barrier
	s_and_saveexec_b64 s[10:11], s[0:1]
	s_cbranch_execz .LBB31_161
; %bb.158:
	v_mul_u32_u24_e32 v27, 0x208, v15
	ds_read_b64 v[10:11], v12 offset:4176
	ds_read_b64 v[27:28], v27 offset:4160
	v_cmp_gt_u32_e64 s[8:9], 2, v14
	s_waitcnt lgkmcnt(0)
	v_fma_f64 v[10:11], v[10:11], v[27:28], 0
	s_and_saveexec_b64 s[12:13], s[8:9]
	s_cbranch_execz .LBB31_160
; %bb.159:
	v_lshlrev_b32_e32 v27, 3, v0
	v_mov_b32_e32 v29, 0
	ds_read_b64 v[27:28], v27 offset:4688
	ds_read_b64 v[29:30], v29 offset:4168
	s_waitcnt lgkmcnt(0)
	v_fma_f64 v[10:11], v[27:28], v[29:30], v[10:11]
.LBB31_160:
	s_or_b64 exec, exec, s[12:13]
	v_xor_b32_e32 v11, 0x80000000, v11
.LBB31_161:
	s_or_b64 exec, exec, s[10:11]
	s_and_saveexec_b64 s[8:9], s[38:39]
; %bb.162:
	ds_write_b64 v13, v[10:11]
; %bb.163:
	s_or_b64 exec, exec, s[8:9]
	s_waitcnt lgkmcnt(0)
	s_barrier
	s_and_saveexec_b64 s[8:9], s[36:37]
	s_cbranch_execz .LBB31_165
; %bb.164:
	v_mov_b32_e32 v27, 0
	ds_read_b64 v[27:28], v27 offset:5208
	ds_read_b64 v[29:30], v13
	s_waitcnt lgkmcnt(0)
	v_fma_f64 v[10:11], v[27:28], v[29:30], v[10:11]
.LBB31_165:
	s_or_b64 exec, exec, s[8:9]
	s_barrier
	s_and_saveexec_b64 s[8:9], s[36:37]
; %bb.166:
	ds_write_b64 v13, v[10:11]
; %bb.167:
	s_or_b64 exec, exec, s[8:9]
	s_waitcnt lgkmcnt(0)
	s_barrier
	s_barrier
	s_and_saveexec_b64 s[8:9], s[0:1]
; %bb.168:
	v_xor_b32_e32 v11, 0x80000000, v11
	ds_write_b64 v12, v[10:11] offset:4176
; %bb.169:
	s_or_b64 exec, exec, s[8:9]
	s_waitcnt lgkmcnt(0)
	s_barrier
	s_barrier
	s_and_saveexec_b64 s[8:9], vcc
	s_cbranch_execz .LBB31_171
; %bb.170:
	s_mov_b64 s[10:11], 1.0
	v_mov_b32_e32 v10, s10
	v_mov_b32_e32 v11, s11
	s_movk_i32 s10, 0x1000
	v_add_u32_e64 v27, s10, 0
	ds_write2_b64 v27, v[10:11], v[10:11] offset0:138 offset1:203
.LBB31_171:
	s_or_b64 exec, exec, s[8:9]
	v_mov_b32_e32 v10, 0
	v_mov_b32_e32 v11, 0
	s_waitcnt lgkmcnt(0)
	s_barrier
	s_and_saveexec_b64 s[10:11], s[2:3]
	s_cbranch_execz .LBB31_177
; %bb.172:
	v_mul_u32_u24_e32 v27, 0x208, v21
	ds_read_b64 v[10:11], v16 offset:4192
	ds_read_b64 v[28:29], v27 offset:4160
	v_cmp_gt_u32_e64 s[8:9], 12, v14
	s_waitcnt lgkmcnt(0)
	v_fma_f64 v[10:11], v[10:11], v[28:29], 0
	s_and_saveexec_b64 s[12:13], s[8:9]
	s_cbranch_execnz .LBB31_1118
; %bb.173:
	s_or_b64 exec, exec, s[12:13]
	v_cmp_gt_u32_e64 s[8:9], 8, v14
	s_and_saveexec_b64 s[12:13], s[8:9]
	s_cbranch_execnz .LBB31_1119
.LBB31_174:
	s_or_b64 exec, exec, s[12:13]
	v_cmp_gt_u32_e64 s[8:9], 4, v14
	s_and_saveexec_b64 s[12:13], s[8:9]
	s_cbranch_execz .LBB31_176
.LBB31_175:
	v_lshlrev_b32_e32 v27, 3, v0
	v_mov_b32_e32 v29, 0
	ds_read_b64 v[27:28], v27 offset:5728
	ds_read_b64 v[29:30], v29 offset:4184
	s_waitcnt lgkmcnt(0)
	v_fma_f64 v[10:11], v[27:28], v[29:30], v[10:11]
.LBB31_176:
	s_or_b64 exec, exec, s[12:13]
	v_xor_b32_e32 v11, 0x80000000, v11
.LBB31_177:
	s_or_b64 exec, exec, s[10:11]
	s_and_saveexec_b64 s[8:9], s[42:43]
; %bb.178:
	ds_write_b64 v19, v[10:11]
; %bb.179:
	s_or_b64 exec, exec, s[8:9]
	s_waitcnt lgkmcnt(0)
	s_barrier
	s_and_saveexec_b64 s[8:9], s[44:45]
	s_cbranch_execz .LBB31_181
; %bb.180:
	ds_read_b64 v[27:28], v17 offset:6240
	ds_read_b64 v[29:30], v19
	s_waitcnt lgkmcnt(0)
	v_fma_f64 v[10:11], v[27:28], v[29:30], v[10:11]
.LBB31_181:
	s_or_b64 exec, exec, s[8:9]
	s_barrier
	s_and_saveexec_b64 s[8:9], s[46:47]
; %bb.182:
	ds_write_b64 v19, v[10:11]
; %bb.183:
	s_or_b64 exec, exec, s[8:9]
	s_waitcnt lgkmcnt(0)
	s_barrier
	s_and_saveexec_b64 s[8:9], s[48:49]
	s_cbranch_execz .LBB31_185
; %bb.184:
	ds_read_b64 v[27:28], v17 offset:6752
	ds_read_b64 v[29:30], v19
	s_waitcnt lgkmcnt(0)
	v_fma_f64 v[10:11], v[27:28], v[29:30], v[10:11]
.LBB31_185:
	s_or_b64 exec, exec, s[8:9]
	s_barrier
	s_and_saveexec_b64 s[8:9], s[50:51]
; %bb.186:
	ds_write_b64 v19, v[10:11]
; %bb.187:
	s_or_b64 exec, exec, s[8:9]
	s_waitcnt lgkmcnt(0)
	s_barrier
	s_and_saveexec_b64 s[8:9], s[40:41]
	s_cbranch_execz .LBB31_189
; %bb.188:
	v_mov_b32_e32 v27, 0
	ds_read_b64 v[27:28], v27 offset:7288
	ds_read_b64 v[29:30], v19
	s_waitcnt lgkmcnt(0)
	v_fma_f64 v[10:11], v[27:28], v[29:30], v[10:11]
.LBB31_189:
	s_or_b64 exec, exec, s[8:9]
	s_barrier
	s_and_saveexec_b64 s[8:9], s[40:41]
; %bb.190:
	ds_write_b64 v19, v[10:11]
; %bb.191:
	s_or_b64 exec, exec, s[8:9]
	s_waitcnt lgkmcnt(0)
	s_barrier
	s_barrier
	s_and_saveexec_b64 s[8:9], s[2:3]
; %bb.192:
	v_xor_b32_e32 v11, 0x80000000, v11
	ds_write_b64 v16, v[10:11] offset:4192
; %bb.193:
	s_or_b64 exec, exec, s[8:9]
	s_waitcnt lgkmcnt(0)
	s_barrier
	s_barrier
	s_and_saveexec_b64 s[8:9], vcc
	s_cbranch_execz .LBB31_195
; %bb.194:
	s_mov_b64 s[10:11], 1.0
	v_mov_b32_e32 v10, s10
	v_mov_b32_e32 v11, s11
	s_movk_i32 s10, 0x1800
	v_add_u32_e64 v27, s10, 0
	ds_write2_b64 v27, v[10:11], v[10:11] offset0:12 offset1:77
.LBB31_195:
	s_or_b64 exec, exec, s[8:9]
	v_mov_b32_e32 v10, 0
	v_mov_b32_e32 v11, 0
	s_waitcnt lgkmcnt(0)
	s_barrier
	s_and_saveexec_b64 s[10:11], s[0:1]
	s_cbranch_execz .LBB31_199
; %bb.196:
	v_mul_u32_u24_e32 v27, 0x208, v15
	ds_read_b64 v[10:11], v12 offset:6256
	ds_read_b64 v[27:28], v27 offset:6240
	v_cmp_gt_u32_e64 s[8:9], 2, v14
	s_waitcnt lgkmcnt(0)
	v_fma_f64 v[10:11], v[10:11], v[27:28], 0
	s_and_saveexec_b64 s[12:13], s[8:9]
	s_cbranch_execz .LBB31_198
; %bb.197:
	v_lshlrev_b32_e32 v27, 3, v0
	v_mov_b32_e32 v29, 0
	ds_read_b64 v[27:28], v27 offset:6768
	ds_read_b64 v[29:30], v29 offset:6248
	s_waitcnt lgkmcnt(0)
	v_fma_f64 v[10:11], v[27:28], v[29:30], v[10:11]
.LBB31_198:
	s_or_b64 exec, exec, s[12:13]
	v_xor_b32_e32 v11, 0x80000000, v11
.LBB31_199:
	s_or_b64 exec, exec, s[10:11]
	s_and_saveexec_b64 s[8:9], s[38:39]
; %bb.200:
	ds_write_b64 v13, v[10:11]
; %bb.201:
	s_or_b64 exec, exec, s[8:9]
	s_waitcnt lgkmcnt(0)
	s_barrier
	s_and_saveexec_b64 s[8:9], s[36:37]
	s_cbranch_execz .LBB31_203
; %bb.202:
	v_mov_b32_e32 v27, 0
	ds_read_b64 v[27:28], v27 offset:7288
	ds_read_b64 v[29:30], v13
	s_waitcnt lgkmcnt(0)
	v_fma_f64 v[10:11], v[27:28], v[29:30], v[10:11]
.LBB31_203:
	s_or_b64 exec, exec, s[8:9]
	s_barrier
	s_and_saveexec_b64 s[8:9], s[36:37]
; %bb.204:
	ds_write_b64 v13, v[10:11]
; %bb.205:
	s_or_b64 exec, exec, s[8:9]
	s_waitcnt lgkmcnt(0)
	s_barrier
	s_barrier
	s_and_saveexec_b64 s[8:9], s[0:1]
; %bb.206:
	v_xor_b32_e32 v11, 0x80000000, v11
	ds_write_b64 v12, v[10:11] offset:6256
; %bb.207:
	s_or_b64 exec, exec, s[8:9]
	s_waitcnt lgkmcnt(0)
	s_barrier
	s_barrier
	s_and_saveexec_b64 s[8:9], vcc
	s_cbranch_execz .LBB31_209
; %bb.208:
	s_mov_b64 s[10:11], 1.0
	v_mov_b32_e32 v10, s10
	v_mov_b32_e32 v11, s11
	s_movk_i32 s10, 0x1800
	v_add_u32_e64 v27, s10, 0
	ds_write2_b64 v27, v[10:11], v[10:11] offset0:142 offset1:207
.LBB31_209:
	s_or_b64 exec, exec, s[8:9]
	v_lshrrev_b32_e32 v31, 4, v14
	v_and_b32_e32 v28, 15, v0
	s_movk_i32 s8, 0xff
	v_lshlrev_b32_e32 v30, 6, v31
	v_cmp_lt_u32_e64 s[10:11], s8, v14
	s_movk_i32 s8, 0x100
	v_or_b32_e32 v27, v30, v28
	v_mov_b32_e32 v10, 0
	v_cmp_gt_u32_e64 s[8:9], s8, v14
	v_mov_b32_e32 v11, 0
	v_lshlrev_b32_e32 v27, 3, v27
	s_waitcnt lgkmcnt(0)
	s_barrier
	s_and_saveexec_b64 s[16:17], s[8:9]
	s_cbranch_execz .LBB31_237
; %bb.210:
	v_mul_u32_u24_e32 v29, 0x208, v31
	ds_read_b64 v[10:11], v27 offset:128
	ds_read_b64 v[32:33], v29
	s_movk_i32 s12, 0xf0
	v_cmp_gt_u32_e64 s[12:13], s12, v14
	s_waitcnt lgkmcnt(0)
	v_fma_f64 v[10:11], v[10:11], v[32:33], 0
	s_and_saveexec_b64 s[22:23], s[12:13]
	s_cbranch_execz .LBB31_212
; %bb.211:
	v_lshlrev_b32_e32 v32, 3, v31
	v_sub_u32_e32 v32, v29, v32
	v_lshl_add_u32 v32, v28, 3, v32
	ds_read_b64 v[32:33], v32 offset:640
	ds_read_b64 v[34:35], v29 offset:8
	s_waitcnt lgkmcnt(0)
	v_fma_f64 v[10:11], v[32:33], v[34:35], v[10:11]
.LBB31_212:
	s_or_b64 exec, exec, s[22:23]
	s_movk_i32 s12, 0xe0
	v_cmp_gt_u32_e64 s[12:13], s12, v14
	s_and_saveexec_b64 s[22:23], s[12:13]
	s_cbranch_execz .LBB31_214
; %bb.213:
	v_lshlrev_b32_e32 v32, 3, v31
	v_sub_u32_e32 v32, v29, v32
	v_lshl_add_u32 v32, v28, 3, v32
	ds_read_b64 v[32:33], v32 offset:1152
	ds_read_b64 v[34:35], v29 offset:16
	s_waitcnt lgkmcnt(0)
	v_fma_f64 v[10:11], v[32:33], v[34:35], v[10:11]
.LBB31_214:
	s_or_b64 exec, exec, s[22:23]
	s_movk_i32 s12, 0xd0
	v_cmp_gt_u32_e64 s[12:13], s12, v14
	;; [unrolled: 14-line block ×7, first 2 shown]
	s_and_saveexec_b64 s[22:23], s[12:13]
	s_cbranch_execz .LBB31_226
; %bb.225:
	ds_read_b64 v[32:33], v27 offset:4224
	ds_read_b64 v[34:35], v29 offset:64
	s_waitcnt lgkmcnt(0)
	v_fma_f64 v[10:11], v[32:33], v[34:35], v[10:11]
.LBB31_226:
	s_or_b64 exec, exec, s[22:23]
	s_movk_i32 s12, 0x70
	v_cmp_gt_u32_e64 s[12:13], s12, v14
	s_and_saveexec_b64 s[22:23], s[12:13]
	s_cbranch_execz .LBB31_228
; %bb.227:
	v_lshlrev_b32_e32 v32, 3, v31
	v_sub_u32_e32 v32, v29, v32
	v_lshl_add_u32 v32, v28, 3, v32
	ds_read_b64 v[32:33], v32 offset:4736
	ds_read_b64 v[34:35], v29 offset:72
	s_waitcnt lgkmcnt(0)
	v_fma_f64 v[10:11], v[32:33], v[34:35], v[10:11]
.LBB31_228:
	s_or_b64 exec, exec, s[22:23]
	s_movk_i32 s12, 0x60
	v_cmp_gt_u32_e64 s[12:13], s12, v14
	s_and_saveexec_b64 s[22:23], s[12:13]
	s_cbranch_execz .LBB31_230
; %bb.229:
	v_lshlrev_b32_e32 v32, 3, v28
	v_lshl_add_u32 v32, v30, 3, v32
	ds_read_b64 v[32:33], v32 offset:5248
	ds_read_b64 v[34:35], v29 offset:80
	s_waitcnt lgkmcnt(0)
	v_fma_f64 v[10:11], v[32:33], v[34:35], v[10:11]
.LBB31_230:
	s_or_b64 exec, exec, s[22:23]
	s_movk_i32 s12, 0x50
	v_cmp_gt_u32_e64 s[12:13], s12, v14
	s_and_saveexec_b64 s[22:23], s[12:13]
	s_cbranch_execnz .LBB31_1120
; %bb.231:
	s_or_b64 exec, exec, s[22:23]
	v_cmp_gt_u32_e64 s[12:13], 64, v14
	s_and_saveexec_b64 s[22:23], s[12:13]
	s_cbranch_execnz .LBB31_1121
.LBB31_232:
	s_or_b64 exec, exec, s[22:23]
	v_cmp_gt_u32_e64 s[12:13], 48, v14
	s_and_saveexec_b64 s[22:23], s[12:13]
	s_cbranch_execnz .LBB31_1122
.LBB31_233:
	s_or_b64 exec, exec, s[22:23]
	v_cmp_gt_u32_e64 s[12:13], 32, v14
	s_and_saveexec_b64 s[22:23], s[12:13]
	s_cbranch_execnz .LBB31_1123
.LBB31_234:
	s_or_b64 exec, exec, s[22:23]
	v_cmp_gt_u32_e64 s[12:13], 16, v14
	s_and_saveexec_b64 s[22:23], s[12:13]
	s_cbranch_execz .LBB31_236
.LBB31_235:
	v_lshlrev_b32_e32 v29, 3, v0
	v_mov_b32_e32 v34, 0
	ds_read_b64 v[32:33], v29 offset:7808
	ds_read_b64 v[34:35], v34 offset:120
	s_waitcnt lgkmcnt(0)
	v_fma_f64 v[10:11], v[32:33], v[34:35], v[10:11]
.LBB31_236:
	s_or_b64 exec, exec, s[22:23]
	v_xor_b32_e32 v11, 0x80000000, v11
.LBB31_237:
	s_or_b64 exec, exec, s[16:17]
	v_mov_b32_e32 v29, 0x8000
	v_lshl_add_u32 v29, v31, 3, v29
	v_cmp_eq_u32_e64 s[12:13], 0, v28
	s_xor_b64 s[16:17], s[10:11], -1
	s_and_b64 s[12:13], s[12:13], s[16:17]
	s_mov_b64 s[10:11], exec
	v_writelane_b32 v41, s12, 2
	v_writelane_b32 v41, s13, 3
	s_and_b64 s[12:13], s[10:11], s[12:13]
	s_mov_b64 exec, s[12:13]
; %bb.238:
	ds_write_b64 v29, v[10:11]
; %bb.239:
	s_or_b64 exec, exec, s[10:11]
	v_cmp_ne_u32_e64 s[10:11], 0, v28
	s_waitcnt lgkmcnt(0)
	s_barrier
	s_and_b64 s[12:13], s[10:11], s[16:17]
	s_mov_b64 s[10:11], exec
	v_writelane_b32 v41, s12, 4
	v_writelane_b32 v41, s13, 5
	s_and_b64 s[12:13], s[10:11], s[12:13]
	s_mov_b64 exec, s[12:13]
	s_cbranch_execz .LBB31_241
; %bb.240:
	v_lshlrev_b32_e32 v32, 3, v28
	ds_read_b64 v[32:33], v32 offset:8320
	ds_read_b64 v[34:35], v29
	s_waitcnt lgkmcnt(0)
	v_fma_f64 v[10:11], v[32:33], v[34:35], v[10:11]
.LBB31_241:
	s_or_b64 exec, exec, s[10:11]
	v_cmp_eq_u32_e64 s[10:11], 1, v28
	s_barrier
	s_and_b64 s[12:13], s[10:11], s[16:17]
	s_mov_b64 s[10:11], exec
	v_writelane_b32 v41, s12, 6
	v_writelane_b32 v41, s13, 7
	s_and_b64 s[12:13], s[10:11], s[12:13]
	s_mov_b64 exec, s[12:13]
; %bb.242:
	ds_write_b64 v29, v[10:11]
; %bb.243:
	s_or_b64 exec, exec, s[10:11]
	v_cmp_lt_u32_e64 s[10:11], 1, v28
	s_waitcnt lgkmcnt(0)
	s_barrier
	s_and_b64 s[12:13], s[10:11], s[16:17]
	s_mov_b64 s[10:11], exec
	v_writelane_b32 v41, s12, 8
	v_writelane_b32 v41, s13, 9
	s_and_b64 s[12:13], s[10:11], s[12:13]
	s_mov_b64 exec, s[12:13]
	s_cbranch_execz .LBB31_245
; %bb.244:
	v_lshlrev_b32_e32 v32, 3, v28
	ds_read_b64 v[32:33], v32 offset:8832
	ds_read_b64 v[34:35], v29
	s_waitcnt lgkmcnt(0)
	v_fma_f64 v[10:11], v[32:33], v[34:35], v[10:11]
.LBB31_245:
	s_or_b64 exec, exec, s[10:11]
	v_cmp_eq_u32_e64 s[10:11], 2, v28
	s_barrier
	s_and_b64 s[12:13], s[10:11], s[16:17]
	s_mov_b64 s[10:11], exec
	v_writelane_b32 v41, s12, 10
	v_writelane_b32 v41, s13, 11
	s_and_b64 s[12:13], s[10:11], s[12:13]
	s_mov_b64 exec, s[12:13]
; %bb.246:
	ds_write_b64 v29, v[10:11]
; %bb.247:
	s_or_b64 exec, exec, s[10:11]
	v_cmp_lt_u32_e64 s[10:11], 2, v28
	;; [unrolled: 30-line block ×11, first 2 shown]
	s_waitcnt lgkmcnt(0)
	s_barrier
	s_and_b64 s[12:13], s[10:11], s[16:17]
	s_mov_b64 s[10:11], exec
	v_writelane_b32 v41, s12, 48
	v_writelane_b32 v41, s13, 49
	s_and_b64 s[12:13], s[10:11], s[12:13]
	s_mov_b64 exec, s[12:13]
	s_cbranch_execz .LBB31_285
; %bb.284:
	v_lshlrev_b32_e32 v32, 3, v28
	ds_read_b64 v[32:33], v32 offset:13952
	ds_read_b64 v[34:35], v29
	s_waitcnt lgkmcnt(0)
	v_fma_f64 v[10:11], v[32:33], v[34:35], v[10:11]
.LBB31_285:
	s_or_b64 exec, exec, s[10:11]
	v_cmp_eq_u32_e64 s[10:11], 12, v28
	s_and_b64 s[94:95], s[10:11], s[16:17]
	s_barrier
	s_and_saveexec_b64 s[10:11], s[94:95]
; %bb.286:
	ds_write_b64 v29, v[10:11]
; %bb.287:
	s_or_b64 exec, exec, s[10:11]
	v_cmp_lt_u32_e64 s[10:11], 12, v28
	s_and_b64 s[22:23], s[10:11], s[16:17]
	s_waitcnt lgkmcnt(0)
	s_barrier
	s_and_saveexec_b64 s[10:11], s[22:23]
	s_cbranch_execz .LBB31_289
; %bb.288:
	v_lshlrev_b32_e32 v32, 3, v28
	ds_read_b64 v[32:33], v32 offset:14464
	ds_read_b64 v[34:35], v29
	s_waitcnt lgkmcnt(0)
	v_fma_f64 v[10:11], v[32:33], v[34:35], v[10:11]
.LBB31_289:
	s_or_b64 exec, exec, s[10:11]
	v_cmp_eq_u32_e64 s[10:11], 13, v28
	s_and_b64 s[80:81], s[10:11], s[16:17]
	s_barrier
	s_and_saveexec_b64 s[10:11], s[80:81]
; %bb.290:
	ds_write_b64 v29, v[10:11]
; %bb.291:
	s_or_b64 exec, exec, s[10:11]
	v_cmp_lt_u32_e64 s[10:11], 13, v28
	s_and_b64 s[82:83], s[10:11], s[16:17]
	s_waitcnt lgkmcnt(0)
	s_barrier
	s_and_saveexec_b64 s[10:11], s[82:83]
	s_cbranch_execz .LBB31_293
; %bb.292:
	v_lshlrev_b32_e32 v32, 3, v28
	ds_read_b64 v[32:33], v32 offset:14976
	ds_read_b64 v[34:35], v29
	s_waitcnt lgkmcnt(0)
	v_fma_f64 v[10:11], v[32:33], v[34:35], v[10:11]
.LBB31_293:
	s_or_b64 exec, exec, s[10:11]
	v_cmp_eq_u32_e64 s[10:11], 14, v28
	s_and_b64 s[84:85], s[10:11], s[16:17]
	s_barrier
	s_and_saveexec_b64 s[10:11], s[84:85]
; %bb.294:
	ds_write_b64 v29, v[10:11]
; %bb.295:
	s_or_b64 exec, exec, s[10:11]
	v_cmp_eq_u32_e64 s[10:11], 15, v28
	s_and_b64 s[86:87], s[10:11], s[16:17]
	s_waitcnt lgkmcnt(0)
	s_barrier
	s_and_saveexec_b64 s[10:11], s[86:87]
	s_cbranch_execz .LBB31_297
; %bb.296:
	v_mov_b32_e32 v32, 0
	ds_read_b64 v[32:33], v32 offset:15608
	ds_read_b64 v[34:35], v29
	s_waitcnt lgkmcnt(0)
	v_fma_f64 v[10:11], v[32:33], v[34:35], v[10:11]
.LBB31_297:
	s_or_b64 exec, exec, s[10:11]
	s_barrier
	s_and_saveexec_b64 s[10:11], s[86:87]
; %bb.298:
	ds_write_b64 v29, v[10:11]
; %bb.299:
	s_or_b64 exec, exec, s[10:11]
	s_waitcnt lgkmcnt(0)
	s_barrier
	s_barrier
	s_and_saveexec_b64 s[10:11], s[8:9]
; %bb.300:
	v_xor_b32_e32 v11, 0x80000000, v11
	ds_write_b64 v27, v[10:11] offset:128
; %bb.301:
	s_or_b64 exec, exec, s[10:11]
	s_waitcnt lgkmcnt(0)
	s_barrier
	s_barrier
	s_and_saveexec_b64 s[10:11], vcc
	s_cbranch_execz .LBB31_303
; %bb.302:
	s_mov_b64 s[12:13], 1.0
	v_mov_b32_e32 v10, s12
	v_mov_b32_e32 v11, s13
	s_movk_i32 s12, 0x2000
	v_add_u32_e64 v32, s12, 0
	ds_write2_b64 v32, v[10:11], v[10:11] offset0:16 offset1:81
.LBB31_303:
	s_or_b64 exec, exec, s[10:11]
	v_mov_b32_e32 v10, 0
	v_mov_b32_e32 v11, 0
	s_waitcnt lgkmcnt(0)
	s_barrier
	s_and_saveexec_b64 s[12:13], s[0:1]
	s_cbranch_execz .LBB31_307
; %bb.304:
	v_mul_u32_u24_e32 v32, 0x208, v15
	ds_read_b64 v[10:11], v12 offset:8336
	ds_read_b64 v[32:33], v32 offset:8320
	v_cmp_gt_u32_e64 s[10:11], 2, v14
	s_waitcnt lgkmcnt(0)
	v_fma_f64 v[10:11], v[10:11], v[32:33], 0
	s_and_saveexec_b64 s[16:17], s[10:11]
	s_cbranch_execz .LBB31_306
; %bb.305:
	v_lshlrev_b32_e32 v32, 3, v0
	v_mov_b32_e32 v34, 0
	ds_read_b64 v[32:33], v32 offset:8848
	ds_read_b64 v[34:35], v34 offset:8328
	s_waitcnt lgkmcnt(0)
	v_fma_f64 v[10:11], v[32:33], v[34:35], v[10:11]
.LBB31_306:
	s_or_b64 exec, exec, s[16:17]
	v_xor_b32_e32 v11, 0x80000000, v11
.LBB31_307:
	s_or_b64 exec, exec, s[12:13]
	s_and_saveexec_b64 s[10:11], s[38:39]
; %bb.308:
	ds_write_b64 v13, v[10:11]
; %bb.309:
	s_or_b64 exec, exec, s[10:11]
	s_waitcnt lgkmcnt(0)
	s_barrier
	s_and_saveexec_b64 s[10:11], s[36:37]
	s_cbranch_execz .LBB31_311
; %bb.310:
	v_mov_b32_e32 v32, 0
	ds_read_b64 v[32:33], v32 offset:9368
	ds_read_b64 v[34:35], v13
	s_waitcnt lgkmcnt(0)
	v_fma_f64 v[10:11], v[32:33], v[34:35], v[10:11]
.LBB31_311:
	s_or_b64 exec, exec, s[10:11]
	s_barrier
	s_and_saveexec_b64 s[10:11], s[36:37]
; %bb.312:
	ds_write_b64 v13, v[10:11]
; %bb.313:
	s_or_b64 exec, exec, s[10:11]
	s_waitcnt lgkmcnt(0)
	s_barrier
	s_barrier
	s_and_saveexec_b64 s[10:11], s[0:1]
; %bb.314:
	v_xor_b32_e32 v11, 0x80000000, v11
	ds_write_b64 v12, v[10:11] offset:8336
; %bb.315:
	s_or_b64 exec, exec, s[10:11]
	s_waitcnt lgkmcnt(0)
	s_barrier
	s_barrier
	s_and_saveexec_b64 s[10:11], vcc
	s_cbranch_execz .LBB31_317
; %bb.316:
	s_mov_b64 s[12:13], 1.0
	v_mov_b32_e32 v10, s12
	v_mov_b32_e32 v11, s13
	s_movk_i32 s12, 0x2000
	v_add_u32_e64 v32, s12, 0
	ds_write2_b64 v32, v[10:11], v[10:11] offset0:146 offset1:211
.LBB31_317:
	s_or_b64 exec, exec, s[10:11]
	v_mov_b32_e32 v10, 0
	v_mov_b32_e32 v11, 0
	s_waitcnt lgkmcnt(0)
	s_barrier
	s_and_saveexec_b64 s[12:13], s[2:3]
	s_cbranch_execz .LBB31_323
; %bb.318:
	v_mul_u32_u24_e32 v32, 0x208, v21
	ds_read_b64 v[10:11], v16 offset:8352
	ds_read_b64 v[33:34], v32 offset:8320
	v_cmp_gt_u32_e64 s[10:11], 12, v14
	s_waitcnt lgkmcnt(0)
	v_fma_f64 v[10:11], v[10:11], v[33:34], 0
	s_and_saveexec_b64 s[16:17], s[10:11]
	s_cbranch_execnz .LBB31_1124
; %bb.319:
	s_or_b64 exec, exec, s[16:17]
	v_cmp_gt_u32_e64 s[10:11], 8, v14
	s_and_saveexec_b64 s[16:17], s[10:11]
	s_cbranch_execnz .LBB31_1125
.LBB31_320:
	s_or_b64 exec, exec, s[16:17]
	v_cmp_gt_u32_e64 s[10:11], 4, v14
	s_and_saveexec_b64 s[16:17], s[10:11]
	s_cbranch_execz .LBB31_322
.LBB31_321:
	v_lshlrev_b32_e32 v32, 3, v0
	v_mov_b32_e32 v34, 0
	ds_read_b64 v[32:33], v32 offset:9888
	ds_read_b64 v[34:35], v34 offset:8344
	s_waitcnt lgkmcnt(0)
	v_fma_f64 v[10:11], v[32:33], v[34:35], v[10:11]
.LBB31_322:
	s_or_b64 exec, exec, s[16:17]
	v_xor_b32_e32 v11, 0x80000000, v11
.LBB31_323:
	s_or_b64 exec, exec, s[12:13]
	s_and_saveexec_b64 s[10:11], s[42:43]
; %bb.324:
	ds_write_b64 v19, v[10:11]
; %bb.325:
	s_or_b64 exec, exec, s[10:11]
	s_waitcnt lgkmcnt(0)
	s_barrier
	s_and_saveexec_b64 s[10:11], s[44:45]
	s_cbranch_execz .LBB31_327
; %bb.326:
	ds_read_b64 v[32:33], v17 offset:10400
	ds_read_b64 v[34:35], v19
	s_waitcnt lgkmcnt(0)
	v_fma_f64 v[10:11], v[32:33], v[34:35], v[10:11]
.LBB31_327:
	s_or_b64 exec, exec, s[10:11]
	s_barrier
	s_and_saveexec_b64 s[10:11], s[46:47]
; %bb.328:
	ds_write_b64 v19, v[10:11]
; %bb.329:
	s_or_b64 exec, exec, s[10:11]
	s_waitcnt lgkmcnt(0)
	s_barrier
	s_and_saveexec_b64 s[10:11], s[48:49]
	s_cbranch_execz .LBB31_331
; %bb.330:
	ds_read_b64 v[32:33], v17 offset:10912
	ds_read_b64 v[34:35], v19
	s_waitcnt lgkmcnt(0)
	v_fma_f64 v[10:11], v[32:33], v[34:35], v[10:11]
.LBB31_331:
	s_or_b64 exec, exec, s[10:11]
	s_barrier
	s_and_saveexec_b64 s[10:11], s[50:51]
; %bb.332:
	ds_write_b64 v19, v[10:11]
; %bb.333:
	s_or_b64 exec, exec, s[10:11]
	s_waitcnt lgkmcnt(0)
	s_barrier
	s_and_saveexec_b64 s[10:11], s[40:41]
	s_cbranch_execz .LBB31_335
; %bb.334:
	v_mov_b32_e32 v32, 0
	ds_read_b64 v[32:33], v32 offset:11448
	ds_read_b64 v[34:35], v19
	s_waitcnt lgkmcnt(0)
	v_fma_f64 v[10:11], v[32:33], v[34:35], v[10:11]
.LBB31_335:
	s_or_b64 exec, exec, s[10:11]
	s_barrier
	s_and_saveexec_b64 s[10:11], s[40:41]
; %bb.336:
	ds_write_b64 v19, v[10:11]
; %bb.337:
	s_or_b64 exec, exec, s[10:11]
	s_waitcnt lgkmcnt(0)
	s_barrier
	s_barrier
	s_and_saveexec_b64 s[10:11], s[2:3]
; %bb.338:
	v_xor_b32_e32 v11, 0x80000000, v11
	ds_write_b64 v16, v[10:11] offset:8352
; %bb.339:
	s_or_b64 exec, exec, s[10:11]
	s_waitcnt lgkmcnt(0)
	s_barrier
	s_barrier
	s_and_saveexec_b64 s[10:11], vcc
	s_cbranch_execz .LBB31_341
; %bb.340:
	s_mov_b64 s[12:13], 1.0
	v_mov_b32_e32 v10, s12
	v_mov_b32_e32 v11, s13
	s_movk_i32 s12, 0x2800
	v_add_u32_e64 v32, s12, 0
	ds_write2_b64 v32, v[10:11], v[10:11] offset0:20 offset1:85
.LBB31_341:
	s_or_b64 exec, exec, s[10:11]
	v_mov_b32_e32 v10, 0
	v_mov_b32_e32 v11, 0
	s_waitcnt lgkmcnt(0)
	s_barrier
	s_and_saveexec_b64 s[12:13], s[0:1]
	s_cbranch_execz .LBB31_345
; %bb.342:
	v_mul_u32_u24_e32 v32, 0x208, v15
	ds_read_b64 v[10:11], v12 offset:10416
	ds_read_b64 v[32:33], v32 offset:10400
	v_cmp_gt_u32_e64 s[10:11], 2, v14
	s_waitcnt lgkmcnt(0)
	v_fma_f64 v[10:11], v[10:11], v[32:33], 0
	s_and_saveexec_b64 s[16:17], s[10:11]
	s_cbranch_execz .LBB31_344
; %bb.343:
	v_lshlrev_b32_e32 v32, 3, v0
	v_mov_b32_e32 v34, 0
	ds_read_b64 v[32:33], v32 offset:10928
	ds_read_b64 v[34:35], v34 offset:10408
	s_waitcnt lgkmcnt(0)
	v_fma_f64 v[10:11], v[32:33], v[34:35], v[10:11]
.LBB31_344:
	s_or_b64 exec, exec, s[16:17]
	v_xor_b32_e32 v11, 0x80000000, v11
.LBB31_345:
	s_or_b64 exec, exec, s[12:13]
	s_and_saveexec_b64 s[10:11], s[38:39]
; %bb.346:
	ds_write_b64 v13, v[10:11]
; %bb.347:
	s_or_b64 exec, exec, s[10:11]
	s_waitcnt lgkmcnt(0)
	s_barrier
	s_and_saveexec_b64 s[10:11], s[36:37]
	s_cbranch_execz .LBB31_349
; %bb.348:
	v_mov_b32_e32 v32, 0
	ds_read_b64 v[32:33], v32 offset:11448
	ds_read_b64 v[34:35], v13
	s_waitcnt lgkmcnt(0)
	v_fma_f64 v[10:11], v[32:33], v[34:35], v[10:11]
.LBB31_349:
	s_or_b64 exec, exec, s[10:11]
	s_barrier
	s_and_saveexec_b64 s[10:11], s[36:37]
; %bb.350:
	ds_write_b64 v13, v[10:11]
; %bb.351:
	s_or_b64 exec, exec, s[10:11]
	s_waitcnt lgkmcnt(0)
	s_barrier
	s_barrier
	s_and_saveexec_b64 s[10:11], s[0:1]
; %bb.352:
	v_xor_b32_e32 v11, 0x80000000, v11
	ds_write_b64 v12, v[10:11] offset:10416
; %bb.353:
	s_or_b64 exec, exec, s[10:11]
	s_waitcnt lgkmcnt(0)
	s_barrier
	s_barrier
	s_and_saveexec_b64 s[10:11], vcc
	s_cbranch_execz .LBB31_355
; %bb.354:
	s_mov_b64 s[12:13], 1.0
	v_mov_b32_e32 v10, s12
	v_mov_b32_e32 v11, s13
	s_movk_i32 s12, 0x2800
	v_add_u32_e64 v32, s12, 0
	ds_write2_b64 v32, v[10:11], v[10:11] offset0:150 offset1:215
.LBB31_355:
	s_or_b64 exec, exec, s[10:11]
	v_mov_b32_e32 v10, 0
	v_mov_b32_e32 v11, 0
	s_waitcnt lgkmcnt(0)
	s_barrier
	s_and_saveexec_b64 s[12:13], s[14:15]
	s_cbranch_execz .LBB31_365
; %bb.356:
	v_mul_u32_u24_e32 v32, 0x208, v26
	ds_read_b64 v[10:11], v22 offset:8384
	ds_read_b64 v[33:34], v32 offset:8320
	v_cmp_gt_u32_e64 s[10:11], 56, v14
	s_waitcnt lgkmcnt(0)
	v_fma_f64 v[10:11], v[10:11], v[33:34], 0
	s_and_saveexec_b64 s[16:17], s[10:11]
	s_cbranch_execnz .LBB31_1126
; %bb.357:
	s_or_b64 exec, exec, s[16:17]
	v_cmp_gt_u32_e64 s[10:11], 48, v14
	s_and_saveexec_b64 s[16:17], s[10:11]
	s_cbranch_execnz .LBB31_1127
.LBB31_358:
	s_or_b64 exec, exec, s[16:17]
	v_cmp_gt_u32_e64 s[10:11], 40, v14
	s_and_saveexec_b64 s[16:17], s[10:11]
	s_cbranch_execnz .LBB31_1128
.LBB31_359:
	s_or_b64 exec, exec, s[16:17]
	v_cmp_gt_u32_e64 s[10:11], 32, v14
	s_and_saveexec_b64 s[16:17], s[10:11]
	s_cbranch_execnz .LBB31_1129
.LBB31_360:
	s_or_b64 exec, exec, s[16:17]
	v_cmp_gt_u32_e64 s[10:11], 24, v14
	s_and_saveexec_b64 s[16:17], s[10:11]
	s_cbranch_execnz .LBB31_1130
.LBB31_361:
	s_or_b64 exec, exec, s[16:17]
	v_cmp_gt_u32_e64 s[10:11], 16, v14
	s_and_saveexec_b64 s[16:17], s[10:11]
	s_cbranch_execnz .LBB31_1131
.LBB31_362:
	s_or_b64 exec, exec, s[16:17]
	v_cmp_gt_u32_e64 s[10:11], 8, v14
	s_and_saveexec_b64 s[16:17], s[10:11]
	s_cbranch_execz .LBB31_364
.LBB31_363:
	v_lshlrev_b32_e32 v32, 3, v0
	v_mov_b32_e32 v34, 0
	ds_read_b64 v[32:33], v32 offset:11968
	ds_read_b64 v[34:35], v34 offset:8376
	s_waitcnt lgkmcnt(0)
	v_fma_f64 v[10:11], v[32:33], v[34:35], v[10:11]
.LBB31_364:
	s_or_b64 exec, exec, s[16:17]
	v_xor_b32_e32 v11, 0x80000000, v11
.LBB31_365:
	s_or_b64 exec, exec, s[12:13]
	s_and_saveexec_b64 s[10:11], s[52:53]
; %bb.366:
	ds_write_b64 v24, v[10:11]
; %bb.367:
	s_or_b64 exec, exec, s[10:11]
	s_waitcnt lgkmcnt(0)
	s_barrier
	s_and_saveexec_b64 s[10:11], s[54:55]
	s_cbranch_execz .LBB31_369
; %bb.368:
	ds_read_b64 v[32:33], v23 offset:12480
	ds_read_b64 v[34:35], v24
	s_waitcnt lgkmcnt(0)
	v_fma_f64 v[10:11], v[32:33], v[34:35], v[10:11]
.LBB31_369:
	s_or_b64 exec, exec, s[10:11]
	s_barrier
	s_and_saveexec_b64 s[10:11], s[56:57]
; %bb.370:
	ds_write_b64 v24, v[10:11]
; %bb.371:
	s_or_b64 exec, exec, s[10:11]
	s_waitcnt lgkmcnt(0)
	s_barrier
	s_and_saveexec_b64 s[10:11], s[58:59]
	s_cbranch_execz .LBB31_373
; %bb.372:
	ds_read_b64 v[32:33], v23 offset:12992
	ds_read_b64 v[34:35], v24
	s_waitcnt lgkmcnt(0)
	v_fma_f64 v[10:11], v[32:33], v[34:35], v[10:11]
.LBB31_373:
	s_or_b64 exec, exec, s[10:11]
	s_barrier
	;; [unrolled: 17-line block ×6, first 2 shown]
	s_and_saveexec_b64 s[10:11], s[78:79]
; %bb.390:
	ds_write_b64 v24, v[10:11]
; %bb.391:
	s_or_b64 exec, exec, s[10:11]
	s_waitcnt lgkmcnt(0)
	s_barrier
	s_and_saveexec_b64 s[10:11], s[62:63]
	s_cbranch_execz .LBB31_393
; %bb.392:
	v_mov_b32_e32 v32, 0
	ds_read_b64 v[32:33], v32 offset:15608
	ds_read_b64 v[34:35], v24
	s_waitcnt lgkmcnt(0)
	v_fma_f64 v[10:11], v[32:33], v[34:35], v[10:11]
.LBB31_393:
	s_or_b64 exec, exec, s[10:11]
	s_barrier
	s_and_saveexec_b64 s[10:11], s[62:63]
; %bb.394:
	ds_write_b64 v24, v[10:11]
; %bb.395:
	s_or_b64 exec, exec, s[10:11]
	s_waitcnt lgkmcnt(0)
	s_barrier
	s_barrier
	s_and_saveexec_b64 s[10:11], s[14:15]
; %bb.396:
	v_xor_b32_e32 v11, 0x80000000, v11
	ds_write_b64 v22, v[10:11] offset:8384
; %bb.397:
	s_or_b64 exec, exec, s[10:11]
	s_waitcnt lgkmcnt(0)
	s_barrier
	s_barrier
	s_and_saveexec_b64 s[10:11], vcc
	s_cbranch_execz .LBB31_399
; %bb.398:
	s_mov_b64 s[12:13], 1.0
	v_mov_b32_e32 v10, s12
	v_mov_b32_e32 v11, s13
	s_movk_i32 s12, 0x3000
	v_add_u32_e64 v32, s12, 0
	ds_write2_b64 v32, v[10:11], v[10:11] offset0:24 offset1:89
.LBB31_399:
	s_or_b64 exec, exec, s[10:11]
	v_mov_b32_e32 v10, 0
	v_mov_b32_e32 v11, 0
	s_waitcnt lgkmcnt(0)
	s_barrier
	s_and_saveexec_b64 s[12:13], s[0:1]
	s_cbranch_execz .LBB31_403
; %bb.400:
	v_mul_u32_u24_e32 v32, 0x208, v15
	ds_read_b64 v[10:11], v12 offset:12496
	ds_read_b64 v[32:33], v32 offset:12480
	v_cmp_gt_u32_e64 s[10:11], 2, v14
	s_waitcnt lgkmcnt(0)
	v_fma_f64 v[10:11], v[10:11], v[32:33], 0
	s_and_saveexec_b64 s[16:17], s[10:11]
	s_cbranch_execz .LBB31_402
; %bb.401:
	v_lshlrev_b32_e32 v32, 3, v0
	v_mov_b32_e32 v34, 0
	ds_read_b64 v[32:33], v32 offset:13008
	ds_read_b64 v[34:35], v34 offset:12488
	s_waitcnt lgkmcnt(0)
	v_fma_f64 v[10:11], v[32:33], v[34:35], v[10:11]
.LBB31_402:
	s_or_b64 exec, exec, s[16:17]
	v_xor_b32_e32 v11, 0x80000000, v11
.LBB31_403:
	s_or_b64 exec, exec, s[12:13]
	s_and_saveexec_b64 s[10:11], s[38:39]
; %bb.404:
	ds_write_b64 v13, v[10:11]
; %bb.405:
	s_or_b64 exec, exec, s[10:11]
	s_waitcnt lgkmcnt(0)
	s_barrier
	s_and_saveexec_b64 s[10:11], s[36:37]
	s_cbranch_execz .LBB31_407
; %bb.406:
	v_mov_b32_e32 v32, 0
	ds_read_b64 v[32:33], v32 offset:13528
	ds_read_b64 v[34:35], v13
	s_waitcnt lgkmcnt(0)
	v_fma_f64 v[10:11], v[32:33], v[34:35], v[10:11]
.LBB31_407:
	s_or_b64 exec, exec, s[10:11]
	s_barrier
	s_and_saveexec_b64 s[10:11], s[36:37]
; %bb.408:
	ds_write_b64 v13, v[10:11]
; %bb.409:
	s_or_b64 exec, exec, s[10:11]
	s_waitcnt lgkmcnt(0)
	s_barrier
	s_barrier
	s_and_saveexec_b64 s[10:11], s[0:1]
; %bb.410:
	v_xor_b32_e32 v11, 0x80000000, v11
	ds_write_b64 v12, v[10:11] offset:12496
; %bb.411:
	s_or_b64 exec, exec, s[10:11]
	s_waitcnt lgkmcnt(0)
	s_barrier
	s_barrier
	s_and_saveexec_b64 s[10:11], vcc
	s_cbranch_execz .LBB31_413
; %bb.412:
	s_mov_b64 s[12:13], 1.0
	v_mov_b32_e32 v10, s12
	v_mov_b32_e32 v11, s13
	s_movk_i32 s12, 0x3000
	v_add_u32_e64 v32, s12, 0
	ds_write2_b64 v32, v[10:11], v[10:11] offset0:154 offset1:219
.LBB31_413:
	s_or_b64 exec, exec, s[10:11]
	v_mov_b32_e32 v10, 0
	v_mov_b32_e32 v11, 0
	s_waitcnt lgkmcnt(0)
	s_barrier
	s_and_saveexec_b64 s[12:13], s[2:3]
	s_cbranch_execz .LBB31_419
; %bb.414:
	v_mul_u32_u24_e32 v32, 0x208, v21
	ds_read_b64 v[10:11], v16 offset:12512
	ds_read_b64 v[33:34], v32 offset:12480
	v_cmp_gt_u32_e64 s[10:11], 12, v14
	s_waitcnt lgkmcnt(0)
	v_fma_f64 v[10:11], v[10:11], v[33:34], 0
	s_and_saveexec_b64 s[16:17], s[10:11]
	s_cbranch_execnz .LBB31_1132
; %bb.415:
	s_or_b64 exec, exec, s[16:17]
	v_cmp_gt_u32_e64 s[10:11], 8, v14
	s_and_saveexec_b64 s[16:17], s[10:11]
	s_cbranch_execnz .LBB31_1133
.LBB31_416:
	s_or_b64 exec, exec, s[16:17]
	v_cmp_gt_u32_e64 s[10:11], 4, v14
	s_and_saveexec_b64 s[16:17], s[10:11]
	s_cbranch_execz .LBB31_418
.LBB31_417:
	v_lshlrev_b32_e32 v32, 3, v0
	v_mov_b32_e32 v34, 0
	ds_read_b64 v[32:33], v32 offset:14048
	ds_read_b64 v[34:35], v34 offset:12504
	s_waitcnt lgkmcnt(0)
	v_fma_f64 v[10:11], v[32:33], v[34:35], v[10:11]
.LBB31_418:
	s_or_b64 exec, exec, s[16:17]
	v_xor_b32_e32 v11, 0x80000000, v11
.LBB31_419:
	s_or_b64 exec, exec, s[12:13]
	s_and_saveexec_b64 s[10:11], s[42:43]
; %bb.420:
	ds_write_b64 v19, v[10:11]
; %bb.421:
	s_or_b64 exec, exec, s[10:11]
	s_waitcnt lgkmcnt(0)
	s_barrier
	s_and_saveexec_b64 s[10:11], s[44:45]
	s_cbranch_execz .LBB31_423
; %bb.422:
	ds_read_b64 v[32:33], v17 offset:14560
	ds_read_b64 v[34:35], v19
	s_waitcnt lgkmcnt(0)
	v_fma_f64 v[10:11], v[32:33], v[34:35], v[10:11]
.LBB31_423:
	s_or_b64 exec, exec, s[10:11]
	s_barrier
	s_and_saveexec_b64 s[10:11], s[46:47]
; %bb.424:
	ds_write_b64 v19, v[10:11]
; %bb.425:
	s_or_b64 exec, exec, s[10:11]
	s_waitcnt lgkmcnt(0)
	s_barrier
	s_and_saveexec_b64 s[10:11], s[48:49]
	s_cbranch_execz .LBB31_427
; %bb.426:
	ds_read_b64 v[32:33], v17 offset:15072
	ds_read_b64 v[34:35], v19
	s_waitcnt lgkmcnt(0)
	v_fma_f64 v[10:11], v[32:33], v[34:35], v[10:11]
.LBB31_427:
	s_or_b64 exec, exec, s[10:11]
	s_barrier
	s_and_saveexec_b64 s[10:11], s[50:51]
; %bb.428:
	ds_write_b64 v19, v[10:11]
; %bb.429:
	s_or_b64 exec, exec, s[10:11]
	s_waitcnt lgkmcnt(0)
	s_barrier
	s_and_saveexec_b64 s[10:11], s[40:41]
	s_cbranch_execz .LBB31_431
; %bb.430:
	v_mov_b32_e32 v32, 0
	ds_read_b64 v[32:33], v32 offset:15608
	ds_read_b64 v[34:35], v19
	s_waitcnt lgkmcnt(0)
	v_fma_f64 v[10:11], v[32:33], v[34:35], v[10:11]
.LBB31_431:
	s_or_b64 exec, exec, s[10:11]
	s_barrier
	s_and_saveexec_b64 s[10:11], s[40:41]
; %bb.432:
	ds_write_b64 v19, v[10:11]
; %bb.433:
	s_or_b64 exec, exec, s[10:11]
	s_waitcnt lgkmcnt(0)
	s_barrier
	s_barrier
	s_and_saveexec_b64 s[10:11], s[2:3]
; %bb.434:
	v_xor_b32_e32 v11, 0x80000000, v11
	ds_write_b64 v16, v[10:11] offset:12512
; %bb.435:
	s_or_b64 exec, exec, s[10:11]
	s_waitcnt lgkmcnt(0)
	s_barrier
	s_barrier
	s_and_saveexec_b64 s[10:11], vcc
	s_cbranch_execz .LBB31_437
; %bb.436:
	s_mov_b64 s[12:13], 1.0
	v_mov_b32_e32 v10, s12
	v_mov_b32_e32 v11, s13
	s_movk_i32 s12, 0x3800
	v_add_u32_e64 v32, s12, 0
	ds_write2_b64 v32, v[10:11], v[10:11] offset0:28 offset1:93
.LBB31_437:
	s_or_b64 exec, exec, s[10:11]
	v_mov_b32_e32 v10, 0
	v_mov_b32_e32 v11, 0
	s_waitcnt lgkmcnt(0)
	s_barrier
	s_and_saveexec_b64 s[12:13], s[0:1]
	s_cbranch_execz .LBB31_441
; %bb.438:
	v_mul_u32_u24_e32 v32, 0x208, v15
	ds_read_b64 v[10:11], v12 offset:14576
	ds_read_b64 v[32:33], v32 offset:14560
	v_cmp_gt_u32_e64 s[10:11], 2, v14
	s_waitcnt lgkmcnt(0)
	v_fma_f64 v[10:11], v[10:11], v[32:33], 0
	s_and_saveexec_b64 s[16:17], s[10:11]
	s_cbranch_execz .LBB31_440
; %bb.439:
	v_lshlrev_b32_e32 v32, 3, v0
	v_mov_b32_e32 v34, 0
	ds_read_b64 v[32:33], v32 offset:15088
	ds_read_b64 v[34:35], v34 offset:14568
	s_waitcnt lgkmcnt(0)
	v_fma_f64 v[10:11], v[32:33], v[34:35], v[10:11]
.LBB31_440:
	s_or_b64 exec, exec, s[16:17]
	v_xor_b32_e32 v11, 0x80000000, v11
.LBB31_441:
	s_or_b64 exec, exec, s[12:13]
	s_and_saveexec_b64 s[10:11], s[38:39]
; %bb.442:
	ds_write_b64 v13, v[10:11]
; %bb.443:
	s_or_b64 exec, exec, s[10:11]
	s_waitcnt lgkmcnt(0)
	s_barrier
	s_and_saveexec_b64 s[10:11], s[36:37]
	s_cbranch_execz .LBB31_445
; %bb.444:
	v_mov_b32_e32 v32, 0
	ds_read_b64 v[32:33], v32 offset:15608
	ds_read_b64 v[34:35], v13
	s_waitcnt lgkmcnt(0)
	v_fma_f64 v[10:11], v[32:33], v[34:35], v[10:11]
.LBB31_445:
	s_or_b64 exec, exec, s[10:11]
	s_barrier
	s_and_saveexec_b64 s[10:11], s[36:37]
; %bb.446:
	ds_write_b64 v13, v[10:11]
; %bb.447:
	s_or_b64 exec, exec, s[10:11]
	s_waitcnt lgkmcnt(0)
	s_barrier
	s_barrier
	s_and_saveexec_b64 s[10:11], s[0:1]
; %bb.448:
	v_xor_b32_e32 v11, 0x80000000, v11
	ds_write_b64 v12, v[10:11] offset:14576
; %bb.449:
	s_or_b64 exec, exec, s[10:11]
	s_waitcnt lgkmcnt(0)
	s_barrier
	s_barrier
	s_and_saveexec_b64 s[10:11], vcc
	s_cbranch_execz .LBB31_451
; %bb.450:
	s_mov_b64 s[12:13], 1.0
	v_mov_b32_e32 v10, s12
	v_mov_b32_e32 v11, s13
	s_movk_i32 s12, 0x3800
	v_add_u32_e64 v32, s12, 0
	ds_write2_b64 v32, v[10:11], v[10:11] offset0:158 offset1:223
.LBB31_451:
	s_or_b64 exec, exec, s[10:11]
	v_and_b32_e32 v34, 31, v0
	s_movk_i32 s10, 0x3ff
	v_lshrrev_b32_e32 v35, 5, v14
	v_cmp_lt_u32_e64 s[12:13], s10, v14
	s_movk_i32 s10, 0x400
	v_lshlrev_b32_e32 v33, 3, v34
	v_mov_b32_e32 v10, 0
	v_cmp_gt_u32_e64 s[10:11], s10, v14
	v_mov_b32_e32 v11, 0
	v_lshl_or_b32 v32, v35, 9, v33
	s_waitcnt lgkmcnt(0)
	s_barrier
	s_and_saveexec_b64 s[88:89], s[10:11]
	s_cbranch_execz .LBB31_513
; %bb.452:
	v_mul_u32_u24_e32 v36, 0x208, v35
	ds_read_b64 v[10:11], v32 offset:256
	ds_read_b64 v[37:38], v36
	s_movk_i32 s16, 0x3e0
	v_cmp_gt_u32_e64 s[16:17], s16, v14
	s_waitcnt lgkmcnt(0)
	v_fma_f64 v[10:11], v[10:11], v[37:38], 0
	s_and_saveexec_b64 s[90:91], s[16:17]
	s_cbranch_execz .LBB31_454
; %bb.453:
	ds_read_b64 v[37:38], v32 offset:768
	ds_read_b64 v[39:40], v36 offset:8
	s_waitcnt lgkmcnt(0)
	v_fma_f64 v[10:11], v[37:38], v[39:40], v[10:11]
.LBB31_454:
	s_or_b64 exec, exec, s[90:91]
	s_movk_i32 s16, 0x3c0
	v_cmp_gt_u32_e64 s[16:17], s16, v14
	s_and_saveexec_b64 s[90:91], s[16:17]
	s_cbranch_execz .LBB31_456
; %bb.455:
	ds_read_b64 v[37:38], v32 offset:1280
	ds_read_b64 v[39:40], v36 offset:16
	s_waitcnt lgkmcnt(0)
	v_fma_f64 v[10:11], v[37:38], v[39:40], v[10:11]
.LBB31_456:
	s_or_b64 exec, exec, s[90:91]
	s_movk_i32 s16, 0x3a0
	v_cmp_gt_u32_e64 s[16:17], s16, v14
	;; [unrolled: 11-line block ×28, first 2 shown]
	s_and_saveexec_b64 s[90:91], s[16:17]
	s_cbranch_execnz .LBB31_1134
; %bb.509:
	s_or_b64 exec, exec, s[90:91]
	v_cmp_gt_u32_e64 s[16:17], 64, v14
	s_and_saveexec_b64 s[90:91], s[16:17]
	s_cbranch_execnz .LBB31_1135
.LBB31_510:
	s_or_b64 exec, exec, s[90:91]
	v_cmp_gt_u32_e64 s[16:17], 32, v14
	s_and_saveexec_b64 s[90:91], s[16:17]
	s_cbranch_execz .LBB31_512
.LBB31_511:
	v_lshlrev_b32_e32 v36, 3, v0
	v_mov_b32_e32 v38, 0
	ds_read_b64 v[36:37], v36 offset:16128
	ds_read_b64 v[38:39], v38 offset:248
	s_waitcnt lgkmcnt(0)
	v_fma_f64 v[10:11], v[36:37], v[38:39], v[10:11]
.LBB31_512:
	s_or_b64 exec, exec, s[90:91]
	v_xor_b32_e32 v11, 0x80000000, v11
.LBB31_513:
	s_or_b64 exec, exec, s[88:89]
	v_mov_b32_e32 v36, 0x8000
	v_cmp_eq_u32_e64 s[16:17], 0, v34
	s_xor_b64 s[88:89], s[12:13], -1
	v_lshl_or_b32 v35, v35, 3, v36
	s_and_b64 s[16:17], s[88:89], s[16:17]
	s_and_saveexec_b64 s[12:13], s[16:17]
; %bb.514:
	ds_write_b64 v35, v[10:11]
; %bb.515:
	s_or_b64 exec, exec, s[12:13]
	v_cmp_ne_u32_e64 s[12:13], 0, v34
	s_and_b64 s[16:17], s[88:89], s[12:13]
	s_waitcnt lgkmcnt(0)
	s_barrier
	s_and_saveexec_b64 s[12:13], s[16:17]
	s_cbranch_execz .LBB31_517
; %bb.516:
	ds_read_b64 v[36:37], v33 offset:16640
	ds_read_b64 v[38:39], v35
	s_waitcnt lgkmcnt(0)
	v_fma_f64 v[10:11], v[36:37], v[38:39], v[10:11]
.LBB31_517:
	s_or_b64 exec, exec, s[12:13]
	v_cmp_eq_u32_e64 s[12:13], 1, v34
	s_and_b64 s[16:17], s[88:89], s[12:13]
	s_barrier
	s_and_saveexec_b64 s[12:13], s[16:17]
; %bb.518:
	ds_write_b64 v35, v[10:11]
; %bb.519:
	s_or_b64 exec, exec, s[12:13]
	v_cmp_lt_u32_e64 s[12:13], 1, v34
	s_and_b64 s[16:17], s[88:89], s[12:13]
	s_waitcnt lgkmcnt(0)
	s_barrier
	s_and_saveexec_b64 s[12:13], s[16:17]
	s_cbranch_execz .LBB31_521
; %bb.520:
	ds_read_b64 v[36:37], v33 offset:17152
	ds_read_b64 v[38:39], v35
	s_waitcnt lgkmcnt(0)
	v_fma_f64 v[10:11], v[36:37], v[38:39], v[10:11]
.LBB31_521:
	s_or_b64 exec, exec, s[12:13]
	v_cmp_eq_u32_e64 s[12:13], 2, v34
	s_and_b64 s[16:17], s[88:89], s[12:13]
	s_barrier
	s_and_saveexec_b64 s[12:13], s[16:17]
; %bb.522:
	ds_write_b64 v35, v[10:11]
; %bb.523:
	s_or_b64 exec, exec, s[12:13]
	v_cmp_lt_u32_e64 s[12:13], 2, v34
	;; [unrolled: 21-line block ×29, first 2 shown]
	s_and_b64 s[16:17], s[88:89], s[12:13]
	s_waitcnt lgkmcnt(0)
	s_barrier
	s_and_saveexec_b64 s[12:13], s[16:17]
	s_cbranch_execz .LBB31_633
; %bb.632:
	ds_read_b64 v[36:37], v33 offset:31488
	ds_read_b64 v[38:39], v35
	s_waitcnt lgkmcnt(0)
	v_fma_f64 v[10:11], v[36:37], v[38:39], v[10:11]
.LBB31_633:
	s_or_b64 exec, exec, s[12:13]
	v_cmp_eq_u32_e64 s[12:13], 30, v34
	s_and_b64 s[16:17], s[88:89], s[12:13]
	s_barrier
	s_and_saveexec_b64 s[12:13], s[16:17]
; %bb.634:
	ds_write_b64 v35, v[10:11]
; %bb.635:
	s_or_b64 exec, exec, s[12:13]
	v_cmp_eq_u32_e64 s[12:13], 31, v34
	s_and_b64 s[12:13], s[88:89], s[12:13]
	s_waitcnt lgkmcnt(0)
	s_barrier
	s_and_saveexec_b64 s[16:17], s[12:13]
	s_cbranch_execz .LBB31_637
; %bb.636:
	ds_read_b64 v[33:34], v33 offset:32000
	ds_read_b64 v[36:37], v35
	s_waitcnt lgkmcnt(0)
	v_fma_f64 v[10:11], v[33:34], v[36:37], v[10:11]
.LBB31_637:
	s_or_b64 exec, exec, s[16:17]
	s_barrier
	s_and_saveexec_b64 s[16:17], s[12:13]
; %bb.638:
	ds_write_b64 v35, v[10:11]
; %bb.639:
	s_or_b64 exec, exec, s[16:17]
	s_waitcnt lgkmcnt(0)
	s_barrier
	s_barrier
	s_and_saveexec_b64 s[12:13], s[10:11]
; %bb.640:
	v_xor_b32_e32 v11, 0x80000000, v11
	ds_write_b64 v32, v[10:11] offset:256
; %bb.641:
	s_or_b64 exec, exec, s[12:13]
	s_waitcnt lgkmcnt(0)
	s_barrier
	s_barrier
	s_and_saveexec_b64 s[10:11], vcc
	s_cbranch_execz .LBB31_643
; %bb.642:
	s_mov_b64 s[12:13], 1.0
	v_mov_b32_e32 v10, s12
	v_mov_b32_e32 v11, s13
	s_movk_i32 s12, 0x4000
	v_add_u32_e64 v32, s12, 0
	ds_write2_b64 v32, v[10:11], v[10:11] offset0:32 offset1:97
.LBB31_643:
	s_or_b64 exec, exec, s[10:11]
	v_mov_b32_e32 v10, 0
	v_mov_b32_e32 v11, 0
	s_waitcnt lgkmcnt(0)
	s_barrier
	s_and_saveexec_b64 s[12:13], s[0:1]
	s_cbranch_execz .LBB31_647
; %bb.644:
	v_mul_u32_u24_e32 v32, 0x208, v15
	ds_read_b64 v[10:11], v12 offset:16656
	ds_read_b64 v[32:33], v32 offset:16640
	v_cmp_gt_u32_e64 s[10:11], 2, v14
	s_waitcnt lgkmcnt(0)
	v_fma_f64 v[10:11], v[10:11], v[32:33], 0
	s_and_saveexec_b64 s[16:17], s[10:11]
	s_cbranch_execz .LBB31_646
; %bb.645:
	v_lshlrev_b32_e32 v32, 3, v0
	v_mov_b32_e32 v34, 0
	ds_read_b64 v[32:33], v32 offset:17168
	ds_read_b64 v[34:35], v34 offset:16648
	s_waitcnt lgkmcnt(0)
	v_fma_f64 v[10:11], v[32:33], v[34:35], v[10:11]
.LBB31_646:
	s_or_b64 exec, exec, s[16:17]
	v_xor_b32_e32 v11, 0x80000000, v11
.LBB31_647:
	s_or_b64 exec, exec, s[12:13]
	s_and_saveexec_b64 s[10:11], s[38:39]
; %bb.648:
	ds_write_b64 v13, v[10:11]
; %bb.649:
	s_or_b64 exec, exec, s[10:11]
	s_waitcnt lgkmcnt(0)
	s_barrier
	s_and_saveexec_b64 s[10:11], s[36:37]
	s_cbranch_execz .LBB31_651
; %bb.650:
	v_mov_b32_e32 v32, 0
	ds_read_b64 v[32:33], v32 offset:17688
	ds_read_b64 v[34:35], v13
	s_waitcnt lgkmcnt(0)
	v_fma_f64 v[10:11], v[32:33], v[34:35], v[10:11]
.LBB31_651:
	s_or_b64 exec, exec, s[10:11]
	s_barrier
	s_and_saveexec_b64 s[10:11], s[36:37]
; %bb.652:
	ds_write_b64 v13, v[10:11]
; %bb.653:
	s_or_b64 exec, exec, s[10:11]
	s_waitcnt lgkmcnt(0)
	s_barrier
	s_barrier
	s_and_saveexec_b64 s[10:11], s[0:1]
; %bb.654:
	v_xor_b32_e32 v11, 0x80000000, v11
	ds_write_b64 v12, v[10:11] offset:16656
; %bb.655:
	s_or_b64 exec, exec, s[10:11]
	s_waitcnt lgkmcnt(0)
	s_barrier
	s_barrier
	s_and_saveexec_b64 s[10:11], vcc
	s_cbranch_execz .LBB31_657
; %bb.656:
	s_mov_b64 s[12:13], 1.0
	v_mov_b32_e32 v10, s12
	v_mov_b32_e32 v11, s13
	s_movk_i32 s12, 0x4000
	v_add_u32_e64 v32, s12, 0
	ds_write2_b64 v32, v[10:11], v[10:11] offset0:162 offset1:227
.LBB31_657:
	s_or_b64 exec, exec, s[10:11]
	v_mov_b32_e32 v10, 0
	v_mov_b32_e32 v11, 0
	s_waitcnt lgkmcnt(0)
	s_barrier
	s_and_saveexec_b64 s[12:13], s[2:3]
	s_cbranch_execz .LBB31_663
; %bb.658:
	v_mul_u32_u24_e32 v32, 0x208, v21
	ds_read_b64 v[10:11], v16 offset:16672
	ds_read_b64 v[33:34], v32 offset:16640
	v_cmp_gt_u32_e64 s[10:11], 12, v14
	s_waitcnt lgkmcnt(0)
	v_fma_f64 v[10:11], v[10:11], v[33:34], 0
	s_and_saveexec_b64 s[16:17], s[10:11]
	s_cbranch_execnz .LBB31_1136
; %bb.659:
	s_or_b64 exec, exec, s[16:17]
	v_cmp_gt_u32_e64 s[10:11], 8, v14
	s_and_saveexec_b64 s[16:17], s[10:11]
	s_cbranch_execnz .LBB31_1137
.LBB31_660:
	s_or_b64 exec, exec, s[16:17]
	v_cmp_gt_u32_e64 s[10:11], 4, v14
	s_and_saveexec_b64 s[16:17], s[10:11]
	s_cbranch_execz .LBB31_662
.LBB31_661:
	v_lshlrev_b32_e32 v32, 3, v0
	v_mov_b32_e32 v34, 0
	ds_read_b64 v[32:33], v32 offset:18208
	ds_read_b64 v[34:35], v34 offset:16664
	s_waitcnt lgkmcnt(0)
	v_fma_f64 v[10:11], v[32:33], v[34:35], v[10:11]
.LBB31_662:
	s_or_b64 exec, exec, s[16:17]
	v_xor_b32_e32 v11, 0x80000000, v11
.LBB31_663:
	s_or_b64 exec, exec, s[12:13]
	s_and_saveexec_b64 s[10:11], s[42:43]
; %bb.664:
	ds_write_b64 v19, v[10:11]
; %bb.665:
	s_or_b64 exec, exec, s[10:11]
	s_waitcnt lgkmcnt(0)
	s_barrier
	s_and_saveexec_b64 s[10:11], s[44:45]
	s_cbranch_execz .LBB31_667
; %bb.666:
	ds_read_b64 v[32:33], v17 offset:18720
	ds_read_b64 v[34:35], v19
	s_waitcnt lgkmcnt(0)
	v_fma_f64 v[10:11], v[32:33], v[34:35], v[10:11]
.LBB31_667:
	s_or_b64 exec, exec, s[10:11]
	s_barrier
	s_and_saveexec_b64 s[10:11], s[46:47]
; %bb.668:
	ds_write_b64 v19, v[10:11]
; %bb.669:
	s_or_b64 exec, exec, s[10:11]
	s_waitcnt lgkmcnt(0)
	s_barrier
	s_and_saveexec_b64 s[10:11], s[48:49]
	s_cbranch_execz .LBB31_671
; %bb.670:
	ds_read_b64 v[32:33], v17 offset:19232
	ds_read_b64 v[34:35], v19
	s_waitcnt lgkmcnt(0)
	v_fma_f64 v[10:11], v[32:33], v[34:35], v[10:11]
.LBB31_671:
	s_or_b64 exec, exec, s[10:11]
	s_barrier
	s_and_saveexec_b64 s[10:11], s[50:51]
; %bb.672:
	ds_write_b64 v19, v[10:11]
; %bb.673:
	s_or_b64 exec, exec, s[10:11]
	s_waitcnt lgkmcnt(0)
	s_barrier
	s_and_saveexec_b64 s[10:11], s[40:41]
	s_cbranch_execz .LBB31_675
; %bb.674:
	v_mov_b32_e32 v32, 0
	ds_read_b64 v[32:33], v32 offset:19768
	ds_read_b64 v[34:35], v19
	s_waitcnt lgkmcnt(0)
	v_fma_f64 v[10:11], v[32:33], v[34:35], v[10:11]
.LBB31_675:
	s_or_b64 exec, exec, s[10:11]
	s_barrier
	s_and_saveexec_b64 s[10:11], s[40:41]
; %bb.676:
	ds_write_b64 v19, v[10:11]
; %bb.677:
	s_or_b64 exec, exec, s[10:11]
	s_waitcnt lgkmcnt(0)
	s_barrier
	s_barrier
	s_and_saveexec_b64 s[10:11], s[2:3]
; %bb.678:
	v_xor_b32_e32 v11, 0x80000000, v11
	ds_write_b64 v16, v[10:11] offset:16672
; %bb.679:
	s_or_b64 exec, exec, s[10:11]
	s_waitcnt lgkmcnt(0)
	s_barrier
	s_barrier
	s_and_saveexec_b64 s[10:11], vcc
	s_cbranch_execz .LBB31_681
; %bb.680:
	s_mov_b64 s[12:13], 1.0
	v_mov_b32_e32 v10, s12
	v_mov_b32_e32 v11, s13
	s_movk_i32 s12, 0x4800
	v_add_u32_e64 v32, s12, 0
	ds_write2_b64 v32, v[10:11], v[10:11] offset0:36 offset1:101
.LBB31_681:
	s_or_b64 exec, exec, s[10:11]
	v_mov_b32_e32 v10, 0
	v_mov_b32_e32 v11, 0
	s_waitcnt lgkmcnt(0)
	s_barrier
	s_and_saveexec_b64 s[12:13], s[0:1]
	s_cbranch_execz .LBB31_685
; %bb.682:
	v_mul_u32_u24_e32 v32, 0x208, v15
	ds_read_b64 v[10:11], v12 offset:18736
	ds_read_b64 v[32:33], v32 offset:18720
	v_cmp_gt_u32_e64 s[10:11], 2, v14
	s_waitcnt lgkmcnt(0)
	v_fma_f64 v[10:11], v[10:11], v[32:33], 0
	s_and_saveexec_b64 s[16:17], s[10:11]
	s_cbranch_execz .LBB31_684
; %bb.683:
	v_lshlrev_b32_e32 v32, 3, v0
	v_mov_b32_e32 v34, 0
	ds_read_b64 v[32:33], v32 offset:19248
	ds_read_b64 v[34:35], v34 offset:18728
	s_waitcnt lgkmcnt(0)
	v_fma_f64 v[10:11], v[32:33], v[34:35], v[10:11]
.LBB31_684:
	s_or_b64 exec, exec, s[16:17]
	v_xor_b32_e32 v11, 0x80000000, v11
.LBB31_685:
	s_or_b64 exec, exec, s[12:13]
	s_and_saveexec_b64 s[10:11], s[38:39]
; %bb.686:
	ds_write_b64 v13, v[10:11]
; %bb.687:
	s_or_b64 exec, exec, s[10:11]
	s_waitcnt lgkmcnt(0)
	s_barrier
	s_and_saveexec_b64 s[10:11], s[36:37]
	s_cbranch_execz .LBB31_689
; %bb.688:
	v_mov_b32_e32 v32, 0
	ds_read_b64 v[32:33], v32 offset:19768
	ds_read_b64 v[34:35], v13
	s_waitcnt lgkmcnt(0)
	v_fma_f64 v[10:11], v[32:33], v[34:35], v[10:11]
.LBB31_689:
	s_or_b64 exec, exec, s[10:11]
	s_barrier
	s_and_saveexec_b64 s[10:11], s[36:37]
; %bb.690:
	ds_write_b64 v13, v[10:11]
; %bb.691:
	s_or_b64 exec, exec, s[10:11]
	s_waitcnt lgkmcnt(0)
	s_barrier
	s_barrier
	s_and_saveexec_b64 s[10:11], s[0:1]
; %bb.692:
	v_xor_b32_e32 v11, 0x80000000, v11
	ds_write_b64 v12, v[10:11] offset:18736
; %bb.693:
	s_or_b64 exec, exec, s[10:11]
	s_waitcnt lgkmcnt(0)
	s_barrier
	s_barrier
	s_and_saveexec_b64 s[10:11], vcc
	s_cbranch_execz .LBB31_695
; %bb.694:
	s_mov_b64 s[12:13], 1.0
	v_mov_b32_e32 v10, s12
	v_mov_b32_e32 v11, s13
	s_movk_i32 s12, 0x4800
	v_add_u32_e64 v32, s12, 0
	ds_write2_b64 v32, v[10:11], v[10:11] offset0:166 offset1:231
.LBB31_695:
	s_or_b64 exec, exec, s[10:11]
	v_mov_b32_e32 v10, 0
	v_mov_b32_e32 v11, 0
	s_waitcnt lgkmcnt(0)
	s_barrier
	s_and_saveexec_b64 s[12:13], s[14:15]
	s_cbranch_execz .LBB31_705
; %bb.696:
	v_mul_u32_u24_e32 v32, 0x208, v26
	ds_read_b64 v[10:11], v22 offset:16704
	ds_read_b64 v[33:34], v32 offset:16640
	v_cmp_gt_u32_e64 s[10:11], 56, v14
	s_waitcnt lgkmcnt(0)
	v_fma_f64 v[10:11], v[10:11], v[33:34], 0
	s_and_saveexec_b64 s[16:17], s[10:11]
	s_cbranch_execnz .LBB31_1138
; %bb.697:
	s_or_b64 exec, exec, s[16:17]
	v_cmp_gt_u32_e64 s[10:11], 48, v14
	s_and_saveexec_b64 s[16:17], s[10:11]
	s_cbranch_execnz .LBB31_1139
.LBB31_698:
	s_or_b64 exec, exec, s[16:17]
	v_cmp_gt_u32_e64 s[10:11], 40, v14
	s_and_saveexec_b64 s[16:17], s[10:11]
	s_cbranch_execnz .LBB31_1140
.LBB31_699:
	s_or_b64 exec, exec, s[16:17]
	v_cmp_gt_u32_e64 s[10:11], 32, v14
	s_and_saveexec_b64 s[16:17], s[10:11]
	s_cbranch_execnz .LBB31_1141
.LBB31_700:
	s_or_b64 exec, exec, s[16:17]
	v_cmp_gt_u32_e64 s[10:11], 24, v14
	s_and_saveexec_b64 s[16:17], s[10:11]
	s_cbranch_execnz .LBB31_1142
.LBB31_701:
	s_or_b64 exec, exec, s[16:17]
	v_cmp_gt_u32_e64 s[10:11], 16, v14
	s_and_saveexec_b64 s[16:17], s[10:11]
	s_cbranch_execnz .LBB31_1143
.LBB31_702:
	s_or_b64 exec, exec, s[16:17]
	v_cmp_gt_u32_e64 s[10:11], 8, v14
	s_and_saveexec_b64 s[16:17], s[10:11]
	s_cbranch_execz .LBB31_704
.LBB31_703:
	v_lshlrev_b32_e32 v32, 3, v0
	v_mov_b32_e32 v34, 0
	ds_read_b64 v[32:33], v32 offset:20288
	ds_read_b64 v[34:35], v34 offset:16696
	s_waitcnt lgkmcnt(0)
	v_fma_f64 v[10:11], v[32:33], v[34:35], v[10:11]
.LBB31_704:
	s_or_b64 exec, exec, s[16:17]
	v_xor_b32_e32 v11, 0x80000000, v11
.LBB31_705:
	s_or_b64 exec, exec, s[12:13]
	s_and_saveexec_b64 s[10:11], s[52:53]
; %bb.706:
	ds_write_b64 v24, v[10:11]
; %bb.707:
	s_or_b64 exec, exec, s[10:11]
	s_waitcnt lgkmcnt(0)
	s_barrier
	s_and_saveexec_b64 s[10:11], s[54:55]
	s_cbranch_execz .LBB31_709
; %bb.708:
	ds_read_b64 v[32:33], v23 offset:20800
	ds_read_b64 v[34:35], v24
	s_waitcnt lgkmcnt(0)
	v_fma_f64 v[10:11], v[32:33], v[34:35], v[10:11]
.LBB31_709:
	s_or_b64 exec, exec, s[10:11]
	s_barrier
	s_and_saveexec_b64 s[10:11], s[56:57]
; %bb.710:
	ds_write_b64 v24, v[10:11]
; %bb.711:
	s_or_b64 exec, exec, s[10:11]
	s_waitcnt lgkmcnt(0)
	s_barrier
	s_and_saveexec_b64 s[10:11], s[58:59]
	s_cbranch_execz .LBB31_713
; %bb.712:
	ds_read_b64 v[32:33], v23 offset:21312
	ds_read_b64 v[34:35], v24
	s_waitcnt lgkmcnt(0)
	v_fma_f64 v[10:11], v[32:33], v[34:35], v[10:11]
.LBB31_713:
	s_or_b64 exec, exec, s[10:11]
	s_barrier
	;; [unrolled: 17-line block ×6, first 2 shown]
	s_and_saveexec_b64 s[10:11], s[78:79]
; %bb.730:
	ds_write_b64 v24, v[10:11]
; %bb.731:
	s_or_b64 exec, exec, s[10:11]
	s_waitcnt lgkmcnt(0)
	s_barrier
	s_and_saveexec_b64 s[10:11], s[62:63]
	s_cbranch_execz .LBB31_733
; %bb.732:
	v_mov_b32_e32 v32, 0
	ds_read_b64 v[32:33], v32 offset:23928
	ds_read_b64 v[34:35], v24
	s_waitcnt lgkmcnt(0)
	v_fma_f64 v[10:11], v[32:33], v[34:35], v[10:11]
.LBB31_733:
	s_or_b64 exec, exec, s[10:11]
	s_barrier
	s_and_saveexec_b64 s[10:11], s[62:63]
; %bb.734:
	ds_write_b64 v24, v[10:11]
; %bb.735:
	s_or_b64 exec, exec, s[10:11]
	s_waitcnt lgkmcnt(0)
	s_barrier
	s_barrier
	s_and_saveexec_b64 s[10:11], s[14:15]
; %bb.736:
	v_xor_b32_e32 v11, 0x80000000, v11
	ds_write_b64 v22, v[10:11] offset:16704
; %bb.737:
	s_or_b64 exec, exec, s[10:11]
	s_waitcnt lgkmcnt(0)
	s_barrier
	s_barrier
	s_and_saveexec_b64 s[10:11], vcc
	s_cbranch_execz .LBB31_739
; %bb.738:
	s_mov_b64 s[12:13], 1.0
	v_mov_b32_e32 v10, s12
	v_mov_b32_e32 v11, s13
	s_movk_i32 s12, 0x5000
	v_add_u32_e64 v32, s12, 0
	ds_write2_b64 v32, v[10:11], v[10:11] offset0:40 offset1:105
.LBB31_739:
	s_or_b64 exec, exec, s[10:11]
	v_mov_b32_e32 v10, 0
	v_mov_b32_e32 v11, 0
	s_waitcnt lgkmcnt(0)
	s_barrier
	s_and_saveexec_b64 s[12:13], s[0:1]
	s_cbranch_execz .LBB31_743
; %bb.740:
	v_mul_u32_u24_e32 v32, 0x208, v15
	ds_read_b64 v[10:11], v12 offset:20816
	ds_read_b64 v[32:33], v32 offset:20800
	v_cmp_gt_u32_e64 s[10:11], 2, v14
	s_waitcnt lgkmcnt(0)
	v_fma_f64 v[10:11], v[10:11], v[32:33], 0
	s_and_saveexec_b64 s[16:17], s[10:11]
	s_cbranch_execz .LBB31_742
; %bb.741:
	v_lshlrev_b32_e32 v32, 3, v0
	v_mov_b32_e32 v34, 0
	ds_read_b64 v[32:33], v32 offset:21328
	ds_read_b64 v[34:35], v34 offset:20808
	s_waitcnt lgkmcnt(0)
	v_fma_f64 v[10:11], v[32:33], v[34:35], v[10:11]
.LBB31_742:
	s_or_b64 exec, exec, s[16:17]
	v_xor_b32_e32 v11, 0x80000000, v11
.LBB31_743:
	s_or_b64 exec, exec, s[12:13]
	s_and_saveexec_b64 s[10:11], s[38:39]
; %bb.744:
	ds_write_b64 v13, v[10:11]
; %bb.745:
	s_or_b64 exec, exec, s[10:11]
	s_waitcnt lgkmcnt(0)
	s_barrier
	s_and_saveexec_b64 s[10:11], s[36:37]
	s_cbranch_execz .LBB31_747
; %bb.746:
	v_mov_b32_e32 v32, 0
	ds_read_b64 v[32:33], v32 offset:21848
	ds_read_b64 v[34:35], v13
	s_waitcnt lgkmcnt(0)
	v_fma_f64 v[10:11], v[32:33], v[34:35], v[10:11]
.LBB31_747:
	s_or_b64 exec, exec, s[10:11]
	s_barrier
	s_and_saveexec_b64 s[10:11], s[36:37]
; %bb.748:
	ds_write_b64 v13, v[10:11]
; %bb.749:
	s_or_b64 exec, exec, s[10:11]
	s_waitcnt lgkmcnt(0)
	s_barrier
	s_barrier
	s_and_saveexec_b64 s[10:11], s[0:1]
; %bb.750:
	v_xor_b32_e32 v11, 0x80000000, v11
	ds_write_b64 v12, v[10:11] offset:20816
; %bb.751:
	s_or_b64 exec, exec, s[10:11]
	s_waitcnt lgkmcnt(0)
	s_barrier
	s_barrier
	s_and_saveexec_b64 s[10:11], vcc
	s_cbranch_execz .LBB31_753
; %bb.752:
	s_mov_b64 s[12:13], 1.0
	v_mov_b32_e32 v10, s12
	v_mov_b32_e32 v11, s13
	s_movk_i32 s12, 0x5000
	v_add_u32_e64 v32, s12, 0
	ds_write2_b64 v32, v[10:11], v[10:11] offset0:170 offset1:235
.LBB31_753:
	s_or_b64 exec, exec, s[10:11]
	v_mov_b32_e32 v10, 0
	v_mov_b32_e32 v11, 0
	s_waitcnt lgkmcnt(0)
	s_barrier
	s_and_saveexec_b64 s[12:13], s[2:3]
	s_cbranch_execz .LBB31_759
; %bb.754:
	v_mul_u32_u24_e32 v32, 0x208, v21
	ds_read_b64 v[10:11], v16 offset:20832
	ds_read_b64 v[33:34], v32 offset:20800
	v_cmp_gt_u32_e64 s[10:11], 12, v14
	s_waitcnt lgkmcnt(0)
	v_fma_f64 v[10:11], v[10:11], v[33:34], 0
	s_and_saveexec_b64 s[16:17], s[10:11]
	s_cbranch_execnz .LBB31_1144
; %bb.755:
	s_or_b64 exec, exec, s[16:17]
	v_cmp_gt_u32_e64 s[10:11], 8, v14
	s_and_saveexec_b64 s[16:17], s[10:11]
	s_cbranch_execnz .LBB31_1145
.LBB31_756:
	s_or_b64 exec, exec, s[16:17]
	v_cmp_gt_u32_e64 s[10:11], 4, v14
	s_and_saveexec_b64 s[16:17], s[10:11]
	s_cbranch_execz .LBB31_758
.LBB31_757:
	v_lshlrev_b32_e32 v32, 3, v0
	v_mov_b32_e32 v34, 0
	ds_read_b64 v[32:33], v32 offset:22368
	ds_read_b64 v[34:35], v34 offset:20824
	s_waitcnt lgkmcnt(0)
	v_fma_f64 v[10:11], v[32:33], v[34:35], v[10:11]
.LBB31_758:
	s_or_b64 exec, exec, s[16:17]
	v_xor_b32_e32 v11, 0x80000000, v11
.LBB31_759:
	s_or_b64 exec, exec, s[12:13]
	s_and_saveexec_b64 s[10:11], s[42:43]
; %bb.760:
	ds_write_b64 v19, v[10:11]
; %bb.761:
	s_or_b64 exec, exec, s[10:11]
	s_waitcnt lgkmcnt(0)
	s_barrier
	s_and_saveexec_b64 s[10:11], s[44:45]
	s_cbranch_execz .LBB31_763
; %bb.762:
	ds_read_b64 v[32:33], v17 offset:22880
	ds_read_b64 v[34:35], v19
	s_waitcnt lgkmcnt(0)
	v_fma_f64 v[10:11], v[32:33], v[34:35], v[10:11]
.LBB31_763:
	s_or_b64 exec, exec, s[10:11]
	s_barrier
	s_and_saveexec_b64 s[10:11], s[46:47]
; %bb.764:
	ds_write_b64 v19, v[10:11]
; %bb.765:
	s_or_b64 exec, exec, s[10:11]
	s_waitcnt lgkmcnt(0)
	s_barrier
	s_and_saveexec_b64 s[10:11], s[48:49]
	s_cbranch_execz .LBB31_767
; %bb.766:
	ds_read_b64 v[32:33], v17 offset:23392
	ds_read_b64 v[34:35], v19
	s_waitcnt lgkmcnt(0)
	v_fma_f64 v[10:11], v[32:33], v[34:35], v[10:11]
.LBB31_767:
	s_or_b64 exec, exec, s[10:11]
	s_barrier
	s_and_saveexec_b64 s[10:11], s[50:51]
; %bb.768:
	ds_write_b64 v19, v[10:11]
; %bb.769:
	s_or_b64 exec, exec, s[10:11]
	s_waitcnt lgkmcnt(0)
	s_barrier
	s_and_saveexec_b64 s[10:11], s[40:41]
	s_cbranch_execz .LBB31_771
; %bb.770:
	v_mov_b32_e32 v32, 0
	ds_read_b64 v[32:33], v32 offset:23928
	ds_read_b64 v[34:35], v19
	s_waitcnt lgkmcnt(0)
	v_fma_f64 v[10:11], v[32:33], v[34:35], v[10:11]
.LBB31_771:
	s_or_b64 exec, exec, s[10:11]
	s_barrier
	s_and_saveexec_b64 s[10:11], s[40:41]
; %bb.772:
	ds_write_b64 v19, v[10:11]
; %bb.773:
	s_or_b64 exec, exec, s[10:11]
	s_waitcnt lgkmcnt(0)
	s_barrier
	s_barrier
	s_and_saveexec_b64 s[10:11], s[2:3]
; %bb.774:
	v_xor_b32_e32 v11, 0x80000000, v11
	ds_write_b64 v16, v[10:11] offset:20832
; %bb.775:
	s_or_b64 exec, exec, s[10:11]
	s_waitcnt lgkmcnt(0)
	s_barrier
	s_barrier
	s_and_saveexec_b64 s[10:11], vcc
	s_cbranch_execz .LBB31_777
; %bb.776:
	s_mov_b64 s[12:13], 1.0
	v_mov_b32_e32 v10, s12
	v_mov_b32_e32 v11, s13
	s_movk_i32 s12, 0x5800
	v_add_u32_e64 v32, s12, 0
	ds_write2_b64 v32, v[10:11], v[10:11] offset0:44 offset1:109
.LBB31_777:
	s_or_b64 exec, exec, s[10:11]
	v_mov_b32_e32 v10, 0
	v_mov_b32_e32 v11, 0
	s_waitcnt lgkmcnt(0)
	s_barrier
	s_and_saveexec_b64 s[12:13], s[0:1]
	s_cbranch_execz .LBB31_781
; %bb.778:
	v_mul_u32_u24_e32 v32, 0x208, v15
	ds_read_b64 v[10:11], v12 offset:22896
	ds_read_b64 v[32:33], v32 offset:22880
	v_cmp_gt_u32_e64 s[10:11], 2, v14
	s_waitcnt lgkmcnt(0)
	v_fma_f64 v[10:11], v[10:11], v[32:33], 0
	s_and_saveexec_b64 s[16:17], s[10:11]
	s_cbranch_execz .LBB31_780
; %bb.779:
	v_lshlrev_b32_e32 v32, 3, v0
	v_mov_b32_e32 v34, 0
	ds_read_b64 v[32:33], v32 offset:23408
	ds_read_b64 v[34:35], v34 offset:22888
	s_waitcnt lgkmcnt(0)
	v_fma_f64 v[10:11], v[32:33], v[34:35], v[10:11]
.LBB31_780:
	s_or_b64 exec, exec, s[16:17]
	v_xor_b32_e32 v11, 0x80000000, v11
.LBB31_781:
	s_or_b64 exec, exec, s[12:13]
	s_and_saveexec_b64 s[10:11], s[38:39]
; %bb.782:
	ds_write_b64 v13, v[10:11]
; %bb.783:
	s_or_b64 exec, exec, s[10:11]
	s_waitcnt lgkmcnt(0)
	s_barrier
	s_and_saveexec_b64 s[10:11], s[36:37]
	s_cbranch_execz .LBB31_785
; %bb.784:
	v_mov_b32_e32 v32, 0
	ds_read_b64 v[32:33], v32 offset:23928
	ds_read_b64 v[34:35], v13
	s_waitcnt lgkmcnt(0)
	v_fma_f64 v[10:11], v[32:33], v[34:35], v[10:11]
.LBB31_785:
	s_or_b64 exec, exec, s[10:11]
	s_barrier
	s_and_saveexec_b64 s[10:11], s[36:37]
; %bb.786:
	ds_write_b64 v13, v[10:11]
; %bb.787:
	s_or_b64 exec, exec, s[10:11]
	s_waitcnt lgkmcnt(0)
	s_barrier
	s_barrier
	s_and_saveexec_b64 s[10:11], s[0:1]
; %bb.788:
	v_xor_b32_e32 v11, 0x80000000, v11
	ds_write_b64 v12, v[10:11] offset:22896
; %bb.789:
	s_or_b64 exec, exec, s[10:11]
	s_waitcnt lgkmcnt(0)
	s_barrier
	s_barrier
	s_and_saveexec_b64 s[10:11], vcc
	s_cbranch_execz .LBB31_791
; %bb.790:
	s_mov_b64 s[12:13], 1.0
	v_mov_b32_e32 v10, s12
	v_mov_b32_e32 v11, s13
	s_movk_i32 s12, 0x5800
	v_add_u32_e64 v32, s12, 0
	ds_write2_b64 v32, v[10:11], v[10:11] offset0:174 offset1:239
.LBB31_791:
	s_or_b64 exec, exec, s[10:11]
	v_mov_b32_e32 v10, 0
	v_mov_b32_e32 v11, 0
	s_waitcnt lgkmcnt(0)
	s_barrier
	s_and_saveexec_b64 s[12:13], s[8:9]
	s_cbranch_execz .LBB31_819
; %bb.792:
	v_mul_u32_u24_e32 v32, 0x208, v31
	ds_read_b64 v[10:11], v27 offset:16768
	ds_read_b64 v[33:34], v32 offset:16640
	s_movk_i32 s10, 0xf0
	v_cmp_gt_u32_e64 s[10:11], s10, v14
	s_waitcnt lgkmcnt(0)
	v_fma_f64 v[10:11], v[10:11], v[33:34], 0
	s_and_saveexec_b64 s[16:17], s[10:11]
	s_cbranch_execz .LBB31_794
; %bb.793:
	v_lshlrev_b32_e32 v33, 3, v31
	v_sub_u32_e32 v33, v32, v33
	v_lshl_add_u32 v33, v28, 3, v33
	ds_read_b64 v[33:34], v33 offset:17280
	ds_read_b64 v[35:36], v32 offset:16648
	s_waitcnt lgkmcnt(0)
	v_fma_f64 v[10:11], v[33:34], v[35:36], v[10:11]
.LBB31_794:
	s_or_b64 exec, exec, s[16:17]
	s_movk_i32 s10, 0xe0
	v_cmp_gt_u32_e64 s[10:11], s10, v14
	s_and_saveexec_b64 s[16:17], s[10:11]
	s_cbranch_execz .LBB31_796
; %bb.795:
	v_lshlrev_b32_e32 v33, 3, v31
	v_sub_u32_e32 v33, v32, v33
	v_lshl_add_u32 v33, v28, 3, v33
	ds_read_b64 v[33:34], v33 offset:17792
	ds_read_b64 v[35:36], v32 offset:16656
	s_waitcnt lgkmcnt(0)
	v_fma_f64 v[10:11], v[33:34], v[35:36], v[10:11]
.LBB31_796:
	s_or_b64 exec, exec, s[16:17]
	s_movk_i32 s10, 0xd0
	v_cmp_gt_u32_e64 s[10:11], s10, v14
	;; [unrolled: 14-line block ×7, first 2 shown]
	s_and_saveexec_b64 s[16:17], s[10:11]
	s_cbranch_execz .LBB31_808
; %bb.807:
	ds_read_b64 v[33:34], v27 offset:20864
	ds_read_b64 v[35:36], v32 offset:16704
	s_waitcnt lgkmcnt(0)
	v_fma_f64 v[10:11], v[33:34], v[35:36], v[10:11]
.LBB31_808:
	s_or_b64 exec, exec, s[16:17]
	s_movk_i32 s10, 0x70
	v_cmp_gt_u32_e64 s[10:11], s10, v14
	s_and_saveexec_b64 s[16:17], s[10:11]
	s_cbranch_execz .LBB31_810
; %bb.809:
	v_lshlrev_b32_e32 v31, 3, v28
	v_lshl_add_u32 v31, v30, 3, v31
	ds_read_b64 v[33:34], v31 offset:21376
	ds_read_b64 v[35:36], v32 offset:16712
	s_waitcnt lgkmcnt(0)
	v_fma_f64 v[10:11], v[33:34], v[35:36], v[10:11]
.LBB31_810:
	s_or_b64 exec, exec, s[16:17]
	s_movk_i32 s10, 0x60
	v_cmp_gt_u32_e64 s[10:11], s10, v14
	s_and_saveexec_b64 s[16:17], s[10:11]
	s_cbranch_execz .LBB31_812
; %bb.811:
	v_lshlrev_b32_e32 v31, 3, v28
	v_lshl_add_u32 v31, v30, 3, v31
	ds_read_b64 v[33:34], v31 offset:21888
	ds_read_b64 v[35:36], v32 offset:16720
	s_waitcnt lgkmcnt(0)
	v_fma_f64 v[10:11], v[33:34], v[35:36], v[10:11]
.LBB31_812:
	s_or_b64 exec, exec, s[16:17]
	s_movk_i32 s10, 0x50
	v_cmp_gt_u32_e64 s[10:11], s10, v14
	s_and_saveexec_b64 s[16:17], s[10:11]
	s_cbranch_execnz .LBB31_1146
; %bb.813:
	s_or_b64 exec, exec, s[16:17]
	v_cmp_gt_u32_e64 s[10:11], 64, v14
	s_and_saveexec_b64 s[16:17], s[10:11]
	s_cbranch_execnz .LBB31_1147
.LBB31_814:
	s_or_b64 exec, exec, s[16:17]
	v_cmp_gt_u32_e64 s[10:11], 48, v14
	s_and_saveexec_b64 s[16:17], s[10:11]
	s_cbranch_execnz .LBB31_1148
.LBB31_815:
	s_or_b64 exec, exec, s[16:17]
	v_cmp_gt_u32_e64 s[10:11], 32, v14
	s_and_saveexec_b64 s[16:17], s[10:11]
	s_cbranch_execnz .LBB31_1149
.LBB31_816:
	s_or_b64 exec, exec, s[16:17]
	v_cmp_gt_u32_e64 s[10:11], 16, v14
	s_and_saveexec_b64 s[16:17], s[10:11]
	s_cbranch_execz .LBB31_818
.LBB31_817:
	v_lshlrev_b32_e32 v30, 3, v0
	v_mov_b32_e32 v32, 0
	ds_read_b64 v[30:31], v30 offset:24448
	ds_read_b64 v[32:33], v32 offset:16760
	s_waitcnt lgkmcnt(0)
	v_fma_f64 v[10:11], v[30:31], v[32:33], v[10:11]
.LBB31_818:
	s_or_b64 exec, exec, s[16:17]
	v_xor_b32_e32 v11, 0x80000000, v11
.LBB31_819:
	s_or_b64 exec, exec, s[12:13]
	s_mov_b64 s[10:11], exec
	v_readlane_b32 s12, v41, 2
	v_readlane_b32 s13, v41, 3
	s_and_b64 s[12:13], s[10:11], s[12:13]
	s_mov_b64 exec, s[12:13]
; %bb.820:
	ds_write_b64 v29, v[10:11]
; %bb.821:
	s_or_b64 exec, exec, s[10:11]
	s_waitcnt lgkmcnt(0)
	s_barrier
	s_mov_b64 s[10:11], exec
	v_readlane_b32 s12, v41, 4
	v_readlane_b32 s13, v41, 5
	s_and_b64 s[12:13], s[10:11], s[12:13]
	s_mov_b64 exec, s[12:13]
	s_cbranch_execz .LBB31_823
; %bb.822:
	v_lshlrev_b32_e32 v30, 3, v28
	ds_read_b64 v[30:31], v30 offset:24960
	ds_read_b64 v[32:33], v29
	s_waitcnt lgkmcnt(0)
	v_fma_f64 v[10:11], v[30:31], v[32:33], v[10:11]
.LBB31_823:
	s_or_b64 exec, exec, s[10:11]
	s_barrier
	s_mov_b64 s[10:11], exec
	v_readlane_b32 s12, v41, 6
	v_readlane_b32 s13, v41, 7
	s_and_b64 s[12:13], s[10:11], s[12:13]
	s_mov_b64 exec, s[12:13]
; %bb.824:
	ds_write_b64 v29, v[10:11]
; %bb.825:
	s_or_b64 exec, exec, s[10:11]
	s_waitcnt lgkmcnt(0)
	s_barrier
	s_mov_b64 s[10:11], exec
	v_readlane_b32 s12, v41, 8
	v_readlane_b32 s13, v41, 9
	s_and_b64 s[12:13], s[10:11], s[12:13]
	s_mov_b64 exec, s[12:13]
	s_cbranch_execz .LBB31_827
; %bb.826:
	v_lshlrev_b32_e32 v30, 3, v28
	ds_read_b64 v[30:31], v30 offset:25472
	ds_read_b64 v[32:33], v29
	s_waitcnt lgkmcnt(0)
	v_fma_f64 v[10:11], v[30:31], v[32:33], v[10:11]
.LBB31_827:
	s_or_b64 exec, exec, s[10:11]
	s_barrier
	;; [unrolled: 26-line block ×12, first 2 shown]
	s_and_saveexec_b64 s[10:11], s[94:95]
; %bb.868:
	ds_write_b64 v29, v[10:11]
; %bb.869:
	s_or_b64 exec, exec, s[10:11]
	s_waitcnt lgkmcnt(0)
	s_barrier
	s_and_saveexec_b64 s[10:11], s[22:23]
	s_cbranch_execz .LBB31_871
; %bb.870:
	v_lshlrev_b32_e32 v30, 3, v28
	ds_read_b64 v[30:31], v30 offset:31104
	ds_read_b64 v[32:33], v29
	s_waitcnt lgkmcnt(0)
	v_fma_f64 v[10:11], v[30:31], v[32:33], v[10:11]
.LBB31_871:
	s_or_b64 exec, exec, s[10:11]
	s_barrier
	s_and_saveexec_b64 s[10:11], s[80:81]
; %bb.872:
	ds_write_b64 v29, v[10:11]
; %bb.873:
	s_or_b64 exec, exec, s[10:11]
	s_waitcnt lgkmcnt(0)
	s_barrier
	s_and_saveexec_b64 s[10:11], s[82:83]
	s_cbranch_execz .LBB31_875
; %bb.874:
	v_lshlrev_b32_e32 v28, 3, v28
	ds_read_b64 v[30:31], v28 offset:31616
	ds_read_b64 v[32:33], v29
	s_waitcnt lgkmcnt(0)
	v_fma_f64 v[10:11], v[30:31], v[32:33], v[10:11]
.LBB31_875:
	s_or_b64 exec, exec, s[10:11]
	s_barrier
	s_and_saveexec_b64 s[10:11], s[84:85]
; %bb.876:
	ds_write_b64 v29, v[10:11]
; %bb.877:
	s_or_b64 exec, exec, s[10:11]
	s_waitcnt lgkmcnt(0)
	s_barrier
	s_and_saveexec_b64 s[10:11], s[86:87]
	s_cbranch_execz .LBB31_879
; %bb.878:
	v_mov_b32_e32 v28, 0
	ds_read_b64 v[30:31], v28 offset:32248
	ds_read_b64 v[32:33], v29
	s_waitcnt lgkmcnt(0)
	v_fma_f64 v[10:11], v[30:31], v[32:33], v[10:11]
.LBB31_879:
	s_or_b64 exec, exec, s[10:11]
	s_barrier
	s_and_saveexec_b64 s[10:11], s[86:87]
; %bb.880:
	ds_write_b64 v29, v[10:11]
; %bb.881:
	s_or_b64 exec, exec, s[10:11]
	s_waitcnt lgkmcnt(0)
	s_barrier
	s_barrier
	s_and_saveexec_b64 s[10:11], s[8:9]
; %bb.882:
	v_xor_b32_e32 v11, 0x80000000, v11
	ds_write_b64 v27, v[10:11] offset:16768
; %bb.883:
	s_or_b64 exec, exec, s[10:11]
	s_waitcnt lgkmcnt(0)
	s_barrier
	s_barrier
	s_and_saveexec_b64 s[8:9], vcc
	s_cbranch_execz .LBB31_885
; %bb.884:
	s_mov_b64 s[10:11], 1.0
	v_mov_b32_e32 v10, s10
	v_mov_b32_e32 v11, s11
	s_movk_i32 s10, 0x6000
	v_add_u32_e64 v27, s10, 0
	ds_write2_b64 v27, v[10:11], v[10:11] offset0:48 offset1:113
.LBB31_885:
	s_or_b64 exec, exec, s[8:9]
	v_mov_b32_e32 v10, 0
	v_mov_b32_e32 v11, 0
	s_waitcnt lgkmcnt(0)
	s_barrier
	s_and_saveexec_b64 s[10:11], s[0:1]
	s_cbranch_execz .LBB31_889
; %bb.886:
	v_mul_u32_u24_e32 v27, 0x208, v15
	ds_read_b64 v[10:11], v12 offset:24976
	ds_read_b64 v[27:28], v27 offset:24960
	v_cmp_gt_u32_e64 s[8:9], 2, v14
	s_waitcnt lgkmcnt(0)
	v_fma_f64 v[10:11], v[10:11], v[27:28], 0
	s_and_saveexec_b64 s[12:13], s[8:9]
	s_cbranch_execz .LBB31_888
; %bb.887:
	v_lshlrev_b32_e32 v27, 3, v0
	v_mov_b32_e32 v29, 0
	ds_read_b64 v[27:28], v27 offset:25488
	ds_read_b64 v[29:30], v29 offset:24968
	s_waitcnt lgkmcnt(0)
	v_fma_f64 v[10:11], v[27:28], v[29:30], v[10:11]
.LBB31_888:
	s_or_b64 exec, exec, s[12:13]
	v_xor_b32_e32 v11, 0x80000000, v11
.LBB31_889:
	s_or_b64 exec, exec, s[10:11]
	s_and_saveexec_b64 s[8:9], s[38:39]
; %bb.890:
	ds_write_b64 v13, v[10:11]
; %bb.891:
	s_or_b64 exec, exec, s[8:9]
	s_waitcnt lgkmcnt(0)
	s_barrier
	s_and_saveexec_b64 s[8:9], s[36:37]
	s_cbranch_execz .LBB31_893
; %bb.892:
	v_mov_b32_e32 v27, 0
	ds_read_b64 v[27:28], v27 offset:26008
	ds_read_b64 v[29:30], v13
	s_waitcnt lgkmcnt(0)
	v_fma_f64 v[10:11], v[27:28], v[29:30], v[10:11]
.LBB31_893:
	s_or_b64 exec, exec, s[8:9]
	s_barrier
	s_and_saveexec_b64 s[8:9], s[36:37]
; %bb.894:
	ds_write_b64 v13, v[10:11]
; %bb.895:
	s_or_b64 exec, exec, s[8:9]
	s_waitcnt lgkmcnt(0)
	s_barrier
	s_barrier
	s_and_saveexec_b64 s[8:9], s[0:1]
; %bb.896:
	v_xor_b32_e32 v11, 0x80000000, v11
	ds_write_b64 v12, v[10:11] offset:24976
; %bb.897:
	s_or_b64 exec, exec, s[8:9]
	s_waitcnt lgkmcnt(0)
	s_barrier
	s_barrier
	s_and_saveexec_b64 s[8:9], vcc
	s_cbranch_execz .LBB31_899
; %bb.898:
	s_mov_b64 s[10:11], 1.0
	v_mov_b32_e32 v10, s10
	v_mov_b32_e32 v11, s11
	s_movk_i32 s10, 0x6000
	v_add_u32_e64 v27, s10, 0
	ds_write2_b64 v27, v[10:11], v[10:11] offset0:178 offset1:243
.LBB31_899:
	s_or_b64 exec, exec, s[8:9]
	v_mov_b32_e32 v10, 0
	v_mov_b32_e32 v11, 0
	s_waitcnt lgkmcnt(0)
	s_barrier
	s_and_saveexec_b64 s[10:11], s[2:3]
	s_cbranch_execz .LBB31_905
; %bb.900:
	v_mul_u32_u24_e32 v27, 0x208, v21
	ds_read_b64 v[10:11], v16 offset:24992
	ds_read_b64 v[28:29], v27 offset:24960
	v_cmp_gt_u32_e64 s[8:9], 12, v14
	s_waitcnt lgkmcnt(0)
	v_fma_f64 v[10:11], v[10:11], v[28:29], 0
	s_and_saveexec_b64 s[12:13], s[8:9]
	s_cbranch_execnz .LBB31_1150
; %bb.901:
	s_or_b64 exec, exec, s[12:13]
	v_cmp_gt_u32_e64 s[8:9], 8, v14
	s_and_saveexec_b64 s[12:13], s[8:9]
	s_cbranch_execnz .LBB31_1151
.LBB31_902:
	s_or_b64 exec, exec, s[12:13]
	v_cmp_gt_u32_e64 s[8:9], 4, v14
	s_and_saveexec_b64 s[12:13], s[8:9]
	s_cbranch_execz .LBB31_904
.LBB31_903:
	v_lshlrev_b32_e32 v27, 3, v0
	v_mov_b32_e32 v29, 0
	ds_read_b64 v[27:28], v27 offset:26528
	ds_read_b64 v[29:30], v29 offset:24984
	s_waitcnt lgkmcnt(0)
	v_fma_f64 v[10:11], v[27:28], v[29:30], v[10:11]
.LBB31_904:
	s_or_b64 exec, exec, s[12:13]
	v_xor_b32_e32 v11, 0x80000000, v11
.LBB31_905:
	s_or_b64 exec, exec, s[10:11]
	s_and_saveexec_b64 s[8:9], s[42:43]
; %bb.906:
	ds_write_b64 v19, v[10:11]
; %bb.907:
	s_or_b64 exec, exec, s[8:9]
	s_waitcnt lgkmcnt(0)
	s_barrier
	s_and_saveexec_b64 s[8:9], s[44:45]
	s_cbranch_execz .LBB31_909
; %bb.908:
	ds_read_b64 v[27:28], v17 offset:27040
	ds_read_b64 v[29:30], v19
	s_waitcnt lgkmcnt(0)
	v_fma_f64 v[10:11], v[27:28], v[29:30], v[10:11]
.LBB31_909:
	s_or_b64 exec, exec, s[8:9]
	s_barrier
	s_and_saveexec_b64 s[8:9], s[46:47]
; %bb.910:
	ds_write_b64 v19, v[10:11]
; %bb.911:
	s_or_b64 exec, exec, s[8:9]
	s_waitcnt lgkmcnt(0)
	s_barrier
	s_and_saveexec_b64 s[8:9], s[48:49]
	s_cbranch_execz .LBB31_913
; %bb.912:
	ds_read_b64 v[27:28], v17 offset:27552
	ds_read_b64 v[29:30], v19
	s_waitcnt lgkmcnt(0)
	v_fma_f64 v[10:11], v[27:28], v[29:30], v[10:11]
.LBB31_913:
	s_or_b64 exec, exec, s[8:9]
	s_barrier
	s_and_saveexec_b64 s[8:9], s[50:51]
; %bb.914:
	ds_write_b64 v19, v[10:11]
; %bb.915:
	s_or_b64 exec, exec, s[8:9]
	s_waitcnt lgkmcnt(0)
	s_barrier
	s_and_saveexec_b64 s[8:9], s[40:41]
	s_cbranch_execz .LBB31_917
; %bb.916:
	v_mov_b32_e32 v27, 0
	ds_read_b64 v[27:28], v27 offset:28088
	ds_read_b64 v[29:30], v19
	s_waitcnt lgkmcnt(0)
	v_fma_f64 v[10:11], v[27:28], v[29:30], v[10:11]
.LBB31_917:
	s_or_b64 exec, exec, s[8:9]
	s_barrier
	s_and_saveexec_b64 s[8:9], s[40:41]
; %bb.918:
	ds_write_b64 v19, v[10:11]
; %bb.919:
	s_or_b64 exec, exec, s[8:9]
	s_waitcnt lgkmcnt(0)
	s_barrier
	s_barrier
	s_and_saveexec_b64 s[8:9], s[2:3]
; %bb.920:
	v_xor_b32_e32 v11, 0x80000000, v11
	ds_write_b64 v16, v[10:11] offset:24992
; %bb.921:
	s_or_b64 exec, exec, s[8:9]
	s_waitcnt lgkmcnt(0)
	s_barrier
	s_barrier
	s_and_saveexec_b64 s[8:9], vcc
	s_cbranch_execz .LBB31_923
; %bb.922:
	s_mov_b64 s[10:11], 1.0
	v_mov_b32_e32 v10, s10
	v_mov_b32_e32 v11, s11
	s_movk_i32 s10, 0x6800
	v_add_u32_e64 v27, s10, 0
	ds_write2_b64 v27, v[10:11], v[10:11] offset0:52 offset1:117
.LBB31_923:
	s_or_b64 exec, exec, s[8:9]
	v_mov_b32_e32 v10, 0
	v_mov_b32_e32 v11, 0
	s_waitcnt lgkmcnt(0)
	s_barrier
	s_and_saveexec_b64 s[10:11], s[0:1]
	s_cbranch_execz .LBB31_927
; %bb.924:
	v_mul_u32_u24_e32 v27, 0x208, v15
	ds_read_b64 v[10:11], v12 offset:27056
	ds_read_b64 v[27:28], v27 offset:27040
	v_cmp_gt_u32_e64 s[8:9], 2, v14
	s_waitcnt lgkmcnt(0)
	v_fma_f64 v[10:11], v[10:11], v[27:28], 0
	s_and_saveexec_b64 s[12:13], s[8:9]
	s_cbranch_execz .LBB31_926
; %bb.925:
	v_lshlrev_b32_e32 v27, 3, v0
	v_mov_b32_e32 v29, 0
	ds_read_b64 v[27:28], v27 offset:27568
	ds_read_b64 v[29:30], v29 offset:27048
	s_waitcnt lgkmcnt(0)
	v_fma_f64 v[10:11], v[27:28], v[29:30], v[10:11]
.LBB31_926:
	s_or_b64 exec, exec, s[12:13]
	v_xor_b32_e32 v11, 0x80000000, v11
.LBB31_927:
	s_or_b64 exec, exec, s[10:11]
	s_and_saveexec_b64 s[8:9], s[38:39]
; %bb.928:
	ds_write_b64 v13, v[10:11]
; %bb.929:
	s_or_b64 exec, exec, s[8:9]
	s_waitcnt lgkmcnt(0)
	s_barrier
	s_and_saveexec_b64 s[8:9], s[36:37]
	s_cbranch_execz .LBB31_931
; %bb.930:
	v_mov_b32_e32 v27, 0
	ds_read_b64 v[27:28], v27 offset:28088
	ds_read_b64 v[29:30], v13
	s_waitcnt lgkmcnt(0)
	v_fma_f64 v[10:11], v[27:28], v[29:30], v[10:11]
.LBB31_931:
	s_or_b64 exec, exec, s[8:9]
	s_barrier
	s_and_saveexec_b64 s[8:9], s[36:37]
; %bb.932:
	ds_write_b64 v13, v[10:11]
; %bb.933:
	s_or_b64 exec, exec, s[8:9]
	s_waitcnt lgkmcnt(0)
	s_barrier
	s_barrier
	s_and_saveexec_b64 s[8:9], s[0:1]
; %bb.934:
	v_xor_b32_e32 v11, 0x80000000, v11
	ds_write_b64 v12, v[10:11] offset:27056
; %bb.935:
	s_or_b64 exec, exec, s[8:9]
	s_waitcnt lgkmcnt(0)
	s_barrier
	s_barrier
	s_and_saveexec_b64 s[8:9], vcc
	s_cbranch_execz .LBB31_937
; %bb.936:
	s_mov_b64 s[10:11], 1.0
	v_mov_b32_e32 v10, s10
	v_mov_b32_e32 v11, s11
	s_movk_i32 s10, 0x6800
	v_add_u32_e64 v27, s10, 0
	ds_write2_b64 v27, v[10:11], v[10:11] offset0:182 offset1:247
.LBB31_937:
	s_or_b64 exec, exec, s[8:9]
	v_mov_b32_e32 v10, 0
	v_mov_b32_e32 v11, 0
	s_waitcnt lgkmcnt(0)
	s_barrier
	s_and_saveexec_b64 s[10:11], s[14:15]
	s_cbranch_execz .LBB31_947
; %bb.938:
	v_mul_u32_u24_e32 v27, 0x208, v26
	ds_read_b64 v[10:11], v22 offset:25024
	ds_read_b64 v[28:29], v27 offset:24960
	v_cmp_gt_u32_e64 s[8:9], 56, v14
	s_waitcnt lgkmcnt(0)
	v_fma_f64 v[10:11], v[10:11], v[28:29], 0
	s_and_saveexec_b64 s[12:13], s[8:9]
	s_cbranch_execnz .LBB31_1152
; %bb.939:
	s_or_b64 exec, exec, s[12:13]
	v_cmp_gt_u32_e64 s[8:9], 48, v14
	s_and_saveexec_b64 s[12:13], s[8:9]
	s_cbranch_execnz .LBB31_1153
.LBB31_940:
	s_or_b64 exec, exec, s[12:13]
	v_cmp_gt_u32_e64 s[8:9], 40, v14
	s_and_saveexec_b64 s[12:13], s[8:9]
	s_cbranch_execnz .LBB31_1154
.LBB31_941:
	s_or_b64 exec, exec, s[12:13]
	v_cmp_gt_u32_e64 s[8:9], 32, v14
	s_and_saveexec_b64 s[12:13], s[8:9]
	s_cbranch_execnz .LBB31_1155
.LBB31_942:
	s_or_b64 exec, exec, s[12:13]
	v_cmp_gt_u32_e64 s[8:9], 24, v14
	s_and_saveexec_b64 s[12:13], s[8:9]
	s_cbranch_execnz .LBB31_1156
.LBB31_943:
	s_or_b64 exec, exec, s[12:13]
	v_cmp_gt_u32_e64 s[8:9], 16, v14
	s_and_saveexec_b64 s[12:13], s[8:9]
	s_cbranch_execnz .LBB31_1157
.LBB31_944:
	s_or_b64 exec, exec, s[12:13]
	v_cmp_gt_u32_e64 s[8:9], 8, v14
	s_and_saveexec_b64 s[12:13], s[8:9]
	s_cbranch_execz .LBB31_946
.LBB31_945:
	v_lshlrev_b32_e32 v25, 3, v0
	v_mov_b32_e32 v27, 0
	ds_read_b64 v[25:26], v25 offset:28608
	ds_read_b64 v[27:28], v27 offset:25016
	s_waitcnt lgkmcnt(0)
	v_fma_f64 v[10:11], v[25:26], v[27:28], v[10:11]
.LBB31_946:
	s_or_b64 exec, exec, s[12:13]
	v_xor_b32_e32 v11, 0x80000000, v11
.LBB31_947:
	s_or_b64 exec, exec, s[10:11]
	s_and_saveexec_b64 s[8:9], s[52:53]
; %bb.948:
	ds_write_b64 v24, v[10:11]
; %bb.949:
	s_or_b64 exec, exec, s[8:9]
	s_waitcnt lgkmcnt(0)
	s_barrier
	s_and_saveexec_b64 s[8:9], s[54:55]
	s_cbranch_execz .LBB31_951
; %bb.950:
	ds_read_b64 v[25:26], v23 offset:29120
	ds_read_b64 v[27:28], v24
	s_waitcnt lgkmcnt(0)
	v_fma_f64 v[10:11], v[25:26], v[27:28], v[10:11]
.LBB31_951:
	s_or_b64 exec, exec, s[8:9]
	s_barrier
	s_and_saveexec_b64 s[8:9], s[56:57]
; %bb.952:
	ds_write_b64 v24, v[10:11]
; %bb.953:
	s_or_b64 exec, exec, s[8:9]
	s_waitcnt lgkmcnt(0)
	s_barrier
	s_and_saveexec_b64 s[8:9], s[58:59]
	s_cbranch_execz .LBB31_955
; %bb.954:
	ds_read_b64 v[25:26], v23 offset:29632
	ds_read_b64 v[27:28], v24
	s_waitcnt lgkmcnt(0)
	v_fma_f64 v[10:11], v[25:26], v[27:28], v[10:11]
.LBB31_955:
	s_or_b64 exec, exec, s[8:9]
	s_barrier
	s_and_saveexec_b64 s[8:9], s[60:61]
; %bb.956:
	ds_write_b64 v24, v[10:11]
; %bb.957:
	s_or_b64 exec, exec, s[8:9]
	s_waitcnt lgkmcnt(0)
	s_barrier
	s_and_saveexec_b64 s[8:9], s[64:65]
	s_cbranch_execz .LBB31_959
; %bb.958:
	ds_read_b64 v[25:26], v23 offset:30144
	ds_read_b64 v[27:28], v24
	s_waitcnt lgkmcnt(0)
	v_fma_f64 v[10:11], v[25:26], v[27:28], v[10:11]
.LBB31_959:
	s_or_b64 exec, exec, s[8:9]
	s_barrier
	s_and_saveexec_b64 s[8:9], s[66:67]
; %bb.960:
	ds_write_b64 v24, v[10:11]
; %bb.961:
	s_or_b64 exec, exec, s[8:9]
	s_waitcnt lgkmcnt(0)
	s_barrier
	s_and_saveexec_b64 s[8:9], s[68:69]
	s_cbranch_execz .LBB31_963
; %bb.962:
	ds_read_b64 v[25:26], v23 offset:30656
	ds_read_b64 v[27:28], v24
	s_waitcnt lgkmcnt(0)
	v_fma_f64 v[10:11], v[25:26], v[27:28], v[10:11]
.LBB31_963:
	s_or_b64 exec, exec, s[8:9]
	s_barrier
	s_and_saveexec_b64 s[8:9], s[70:71]
; %bb.964:
	ds_write_b64 v24, v[10:11]
; %bb.965:
	s_or_b64 exec, exec, s[8:9]
	s_waitcnt lgkmcnt(0)
	s_barrier
	s_and_saveexec_b64 s[8:9], s[72:73]
	s_cbranch_execz .LBB31_967
; %bb.966:
	ds_read_b64 v[25:26], v23 offset:31168
	ds_read_b64 v[27:28], v24
	s_waitcnt lgkmcnt(0)
	v_fma_f64 v[10:11], v[25:26], v[27:28], v[10:11]
.LBB31_967:
	s_or_b64 exec, exec, s[8:9]
	s_barrier
	s_and_saveexec_b64 s[8:9], s[74:75]
; %bb.968:
	ds_write_b64 v24, v[10:11]
; %bb.969:
	s_or_b64 exec, exec, s[8:9]
	s_waitcnt lgkmcnt(0)
	s_barrier
	s_and_saveexec_b64 s[8:9], s[76:77]
	s_cbranch_execz .LBB31_971
; %bb.970:
	ds_read_b64 v[25:26], v23 offset:31680
	ds_read_b64 v[27:28], v24
	s_waitcnt lgkmcnt(0)
	v_fma_f64 v[10:11], v[25:26], v[27:28], v[10:11]
.LBB31_971:
	s_or_b64 exec, exec, s[8:9]
	s_barrier
	s_and_saveexec_b64 s[8:9], s[78:79]
; %bb.972:
	ds_write_b64 v24, v[10:11]
; %bb.973:
	s_or_b64 exec, exec, s[8:9]
	s_waitcnt lgkmcnt(0)
	s_barrier
	s_and_saveexec_b64 s[8:9], s[62:63]
	s_cbranch_execz .LBB31_975
; %bb.974:
	v_mov_b32_e32 v23, 0
	ds_read_b64 v[25:26], v23 offset:32248
	ds_read_b64 v[27:28], v24
	s_waitcnt lgkmcnt(0)
	v_fma_f64 v[10:11], v[25:26], v[27:28], v[10:11]
.LBB31_975:
	s_or_b64 exec, exec, s[8:9]
	s_barrier
	s_and_saveexec_b64 s[8:9], s[62:63]
; %bb.976:
	ds_write_b64 v24, v[10:11]
; %bb.977:
	s_or_b64 exec, exec, s[8:9]
	s_waitcnt lgkmcnt(0)
	s_barrier
	s_barrier
	s_and_saveexec_b64 s[8:9], s[14:15]
; %bb.978:
	v_xor_b32_e32 v11, 0x80000000, v11
	ds_write_b64 v22, v[10:11] offset:25024
; %bb.979:
	s_or_b64 exec, exec, s[8:9]
	s_waitcnt lgkmcnt(0)
	s_barrier
	s_barrier
	s_and_saveexec_b64 s[8:9], vcc
	s_cbranch_execz .LBB31_981
; %bb.980:
	s_mov_b64 s[10:11], 1.0
	v_mov_b32_e32 v10, s10
	v_mov_b32_e32 v11, s11
	s_movk_i32 s10, 0x7000
	v_add_u32_e64 v22, s10, 0
	ds_write2_b64 v22, v[10:11], v[10:11] offset0:56 offset1:121
.LBB31_981:
	s_or_b64 exec, exec, s[8:9]
	v_mov_b32_e32 v10, 0
	v_mov_b32_e32 v11, 0
	s_waitcnt lgkmcnt(0)
	s_barrier
	s_and_saveexec_b64 s[10:11], s[0:1]
	s_cbranch_execz .LBB31_985
; %bb.982:
	v_mul_u32_u24_e32 v22, 0x208, v15
	ds_read_b64 v[10:11], v12 offset:29136
	ds_read_b64 v[22:23], v22 offset:29120
	v_cmp_gt_u32_e64 s[8:9], 2, v14
	s_waitcnt lgkmcnt(0)
	v_fma_f64 v[10:11], v[10:11], v[22:23], 0
	s_and_saveexec_b64 s[12:13], s[8:9]
	s_cbranch_execz .LBB31_984
; %bb.983:
	v_lshlrev_b32_e32 v22, 3, v0
	v_mov_b32_e32 v24, 0
	ds_read_b64 v[22:23], v22 offset:29648
	ds_read_b64 v[24:25], v24 offset:29128
	s_waitcnt lgkmcnt(0)
	v_fma_f64 v[10:11], v[22:23], v[24:25], v[10:11]
.LBB31_984:
	s_or_b64 exec, exec, s[12:13]
	v_xor_b32_e32 v11, 0x80000000, v11
.LBB31_985:
	s_or_b64 exec, exec, s[10:11]
	s_and_saveexec_b64 s[8:9], s[38:39]
; %bb.986:
	ds_write_b64 v13, v[10:11]
; %bb.987:
	s_or_b64 exec, exec, s[8:9]
	s_waitcnt lgkmcnt(0)
	s_barrier
	s_and_saveexec_b64 s[8:9], s[36:37]
	s_cbranch_execz .LBB31_989
; %bb.988:
	v_mov_b32_e32 v22, 0
	ds_read_b64 v[22:23], v22 offset:30168
	ds_read_b64 v[24:25], v13
	s_waitcnt lgkmcnt(0)
	v_fma_f64 v[10:11], v[22:23], v[24:25], v[10:11]
.LBB31_989:
	s_or_b64 exec, exec, s[8:9]
	s_barrier
	s_and_saveexec_b64 s[8:9], s[36:37]
; %bb.990:
	ds_write_b64 v13, v[10:11]
; %bb.991:
	s_or_b64 exec, exec, s[8:9]
	s_waitcnt lgkmcnt(0)
	s_barrier
	s_barrier
	s_and_saveexec_b64 s[8:9], s[0:1]
; %bb.992:
	v_xor_b32_e32 v11, 0x80000000, v11
	ds_write_b64 v12, v[10:11] offset:29136
; %bb.993:
	s_or_b64 exec, exec, s[8:9]
	s_waitcnt lgkmcnt(0)
	s_barrier
	s_barrier
	s_and_saveexec_b64 s[8:9], vcc
	s_cbranch_execz .LBB31_995
; %bb.994:
	s_mov_b64 s[10:11], 1.0
	v_mov_b32_e32 v10, s10
	v_mov_b32_e32 v11, s11
	s_movk_i32 s10, 0x7000
	v_add_u32_e64 v22, s10, 0
	ds_write2_b64 v22, v[10:11], v[10:11] offset0:186 offset1:251
.LBB31_995:
	s_or_b64 exec, exec, s[8:9]
	v_mov_b32_e32 v10, 0
	v_mov_b32_e32 v11, 0
	s_waitcnt lgkmcnt(0)
	s_barrier
	s_and_saveexec_b64 s[10:11], s[2:3]
	s_cbranch_execz .LBB31_1001
; %bb.996:
	v_mul_u32_u24_e32 v22, 0x208, v21
	ds_read_b64 v[10:11], v16 offset:29152
	ds_read_b64 v[23:24], v22 offset:29120
	v_cmp_gt_u32_e64 s[8:9], 12, v14
	s_waitcnt lgkmcnt(0)
	v_fma_f64 v[10:11], v[10:11], v[23:24], 0
	s_and_saveexec_b64 s[12:13], s[8:9]
	s_cbranch_execnz .LBB31_1158
; %bb.997:
	s_or_b64 exec, exec, s[12:13]
	v_cmp_gt_u32_e64 s[8:9], 8, v14
	s_and_saveexec_b64 s[12:13], s[8:9]
	s_cbranch_execnz .LBB31_1159
.LBB31_998:
	s_or_b64 exec, exec, s[12:13]
	v_cmp_gt_u32_e64 s[8:9], 4, v14
	s_and_saveexec_b64 s[12:13], s[8:9]
	s_cbranch_execz .LBB31_1000
.LBB31_999:
	v_lshlrev_b32_e32 v20, 3, v0
	v_mov_b32_e32 v22, 0
	ds_read_b64 v[20:21], v20 offset:30688
	ds_read_b64 v[22:23], v22 offset:29144
	s_waitcnt lgkmcnt(0)
	v_fma_f64 v[10:11], v[20:21], v[22:23], v[10:11]
.LBB31_1000:
	s_or_b64 exec, exec, s[12:13]
	v_xor_b32_e32 v11, 0x80000000, v11
.LBB31_1001:
	s_or_b64 exec, exec, s[10:11]
	s_and_saveexec_b64 s[8:9], s[42:43]
; %bb.1002:
	ds_write_b64 v19, v[10:11]
; %bb.1003:
	s_or_b64 exec, exec, s[8:9]
	s_waitcnt lgkmcnt(0)
	s_barrier
	s_and_saveexec_b64 s[8:9], s[44:45]
	s_cbranch_execz .LBB31_1005
; %bb.1004:
	ds_read_b64 v[20:21], v17 offset:31200
	ds_read_b64 v[22:23], v19
	s_waitcnt lgkmcnt(0)
	v_fma_f64 v[10:11], v[20:21], v[22:23], v[10:11]
.LBB31_1005:
	s_or_b64 exec, exec, s[8:9]
	s_barrier
	s_and_saveexec_b64 s[8:9], s[46:47]
; %bb.1006:
	ds_write_b64 v19, v[10:11]
; %bb.1007:
	s_or_b64 exec, exec, s[8:9]
	s_waitcnt lgkmcnt(0)
	s_barrier
	s_and_saveexec_b64 s[8:9], s[48:49]
	s_cbranch_execz .LBB31_1009
; %bb.1008:
	ds_read_b64 v[20:21], v17 offset:31712
	ds_read_b64 v[22:23], v19
	s_waitcnt lgkmcnt(0)
	v_fma_f64 v[10:11], v[20:21], v[22:23], v[10:11]
.LBB31_1009:
	s_or_b64 exec, exec, s[8:9]
	s_barrier
	s_and_saveexec_b64 s[8:9], s[50:51]
; %bb.1010:
	ds_write_b64 v19, v[10:11]
; %bb.1011:
	s_or_b64 exec, exec, s[8:9]
	s_waitcnt lgkmcnt(0)
	s_barrier
	s_and_saveexec_b64 s[8:9], s[40:41]
	s_cbranch_execz .LBB31_1013
; %bb.1012:
	v_mov_b32_e32 v17, 0
	ds_read_b64 v[20:21], v17 offset:32248
	ds_read_b64 v[22:23], v19
	s_waitcnt lgkmcnt(0)
	v_fma_f64 v[10:11], v[20:21], v[22:23], v[10:11]
.LBB31_1013:
	s_or_b64 exec, exec, s[8:9]
	s_barrier
	s_and_saveexec_b64 s[8:9], s[40:41]
; %bb.1014:
	ds_write_b64 v19, v[10:11]
; %bb.1015:
	s_or_b64 exec, exec, s[8:9]
	s_waitcnt lgkmcnt(0)
	s_barrier
	s_barrier
	s_and_saveexec_b64 s[8:9], s[2:3]
; %bb.1016:
	v_xor_b32_e32 v11, 0x80000000, v11
	ds_write_b64 v16, v[10:11] offset:29152
; %bb.1017:
	s_or_b64 exec, exec, s[8:9]
	s_waitcnt lgkmcnt(0)
	s_barrier
	s_barrier
	s_and_saveexec_b64 s[2:3], vcc
	s_cbranch_execz .LBB31_1019
; %bb.1018:
	s_mov_b64 s[8:9], 1.0
	v_mov_b32_e32 v11, s9
	v_mov_b32_e32 v10, s8
	s_movk_i32 s8, 0x7800
	v_add_u32_e64 v16, s8, 0
	ds_write2_b64 v16, v[10:11], v[10:11] offset0:60 offset1:125
.LBB31_1019:
	s_or_b64 exec, exec, s[2:3]
	v_mov_b32_e32 v10, 0
	v_mov_b32_e32 v11, 0
	s_waitcnt lgkmcnt(0)
	s_barrier
	s_and_saveexec_b64 s[8:9], s[0:1]
	s_cbranch_execz .LBB31_1023
; %bb.1020:
	v_mul_u32_u24_e32 v15, 0x208, v15
	ds_read_b64 v[10:11], v12 offset:31216
	ds_read_b64 v[15:16], v15 offset:31200
	v_cmp_gt_u32_e64 s[2:3], 2, v14
	s_waitcnt lgkmcnt(0)
	v_fma_f64 v[10:11], v[10:11], v[15:16], 0
	s_and_saveexec_b64 s[10:11], s[2:3]
	s_cbranch_execz .LBB31_1022
; %bb.1021:
	v_lshlrev_b32_e32 v14, 3, v0
	v_mov_b32_e32 v16, 0
	ds_read_b64 v[14:15], v14 offset:31728
	ds_read_b64 v[16:17], v16 offset:31208
	s_waitcnt lgkmcnt(0)
	v_fma_f64 v[10:11], v[14:15], v[16:17], v[10:11]
.LBB31_1022:
	s_or_b64 exec, exec, s[10:11]
	v_xor_b32_e32 v11, 0x80000000, v11
.LBB31_1023:
	s_or_b64 exec, exec, s[8:9]
	s_and_saveexec_b64 s[2:3], s[38:39]
; %bb.1024:
	ds_write_b64 v13, v[10:11]
; %bb.1025:
	s_or_b64 exec, exec, s[2:3]
	s_waitcnt lgkmcnt(0)
	s_barrier
	s_and_saveexec_b64 s[2:3], s[36:37]
	s_load_dword s16, s[4:5], 0x6c
	v_readlane_b32 s22, v41, 0
	v_readlane_b32 s23, v41, 1
	s_cbranch_execz .LBB31_1027
; %bb.1026:
	v_mov_b32_e32 v14, 0
	ds_read_b64 v[14:15], v14 offset:32248
	ds_read_b64 v[16:17], v13
	s_waitcnt lgkmcnt(0)
	v_fma_f64 v[10:11], v[14:15], v[16:17], v[10:11]
.LBB31_1027:
	s_or_b64 exec, exec, s[2:3]
	s_waitcnt lgkmcnt(0)
	s_barrier
	s_and_saveexec_b64 s[2:3], s[36:37]
; %bb.1028:
	ds_write_b64 v13, v[10:11]
; %bb.1029:
	s_or_b64 exec, exec, s[2:3]
	s_waitcnt lgkmcnt(0)
	s_barrier
	s_barrier
	s_and_saveexec_b64 s[2:3], s[0:1]
; %bb.1030:
	v_xor_b32_e32 v11, 0x80000000, v11
	ds_write_b64 v12, v[10:11] offset:31216
; %bb.1031:
	s_or_b64 exec, exec, s[2:3]
	s_waitcnt lgkmcnt(0)
	s_barrier
	s_barrier
	s_and_saveexec_b64 s[0:1], vcc
	s_cbranch_execz .LBB31_1033
; %bb.1032:
	s_mov_b64 s[2:3], 1.0
	v_mov_b32_e32 v11, s3
	v_mov_b32_e32 v10, s2
	s_movk_i32 s2, 0x7800
	v_add_u32_e64 v12, s2, 0
	ds_write2_b64 v12, v[10:11], v[10:11] offset0:190 offset1:255
.LBB31_1033:
	s_or_b64 exec, exec, s[0:1]
.LBB31_1034:
	s_load_dwordx4 s[12:15], s[4:5], 0x48
	v_cmp_le_i32_e32 vcc, s7, v0
	v_mov_b32_e32 v10, 0
	v_mov_b32_e32 v11, 0
	v_lshl_add_u32 v12, s6, 6, v0
	s_waitcnt lgkmcnt(0)
	s_mul_i32 s1, s13, s34
	s_mul_hi_u32 s2, s12, s34
	s_mul_i32 s0, s12, s34
	s_add_i32 s1, s2, s1
	s_lshl_b64 s[0:1], s[0:1], 3
	s_add_u32 s2, s26, s0
	s_addc_u32 s3, s27, s1
	s_lshl_b64 s[0:1], s[28:29], 3
	s_add_u32 s36, s2, s0
	s_addc_u32 s37, s3, s1
	s_and_b64 s[12:13], vcc, s[18:19]
	v_cmp_eq_u32_e64 s[0:1], 0, v1
	s_xor_b64 s[2:3], s[12:13], -1
	s_and_b64 s[4:5], s[0:1], s[2:3]
	s_barrier
	s_and_saveexec_b64 s[2:3], s[4:5]
	s_cbranch_execz .LBB31_1036
; %bb.1035:
	v_ashrrev_i32_e32 v13, 31, v12
	v_mul_lo_u32 v14, s31, v12
	v_mad_u64_u32 v[10:11], s[4:5], s30, v12, 0
	v_mul_lo_u32 v13, s30, v13
	v_add3_u32 v11, v11, v13, v14
	v_lshlrev_b64 v[10:11], 3, v[10:11]
	v_mov_b32_e32 v13, s37
	v_add_co_u32_e32 v10, vcc, s36, v10
	v_addc_co_u32_e32 v11, vcc, v13, v11, vcc
	global_load_dwordx2 v[10:11], v[10:11], off
	s_waitcnt vmcnt(0)
	v_mul_f64 v[10:11], v[10:11], -s[22:23]
.LBB31_1036:
	s_or_b64 exec, exec, s[2:3]
	s_and_b32 s2, 0xffff, s16
	v_mad_u32_u24 v19, v1, s2, v0
	v_mov_b32_e32 v13, 0
	s_cmp_lt_i32 s6, 1
	v_cmp_eq_u32_e64 s[2:3], 0, v19
	s_cbranch_scc1 .LBB31_1062
; %bb.1037:
	v_mov_b32_e32 v14, 0xa000
	v_lshl_add_u32 v20, v19, 3, v14
	v_lshl_or_b32 v21, v1, 3, v14
	v_lshlrev_b64 v[14:15], 3, v[12:13]
	s_lshl_b64 s[4:5], s[34:35], 2
	s_add_u32 s16, s14, s4
	v_cmp_gt_i32_e64 s[10:11], s33, v12
	v_mov_b32_e32 v16, s93
	v_add_co_u32_e32 v12, vcc, s92, v14
	s_mul_i32 s8, s21, 0x180
	s_mul_hi_u32 s9, s20, 0x180
	s_mov_b32 s38, 0
	s_addc_u32 s17, s15, s5
	v_cmp_gt_u32_e64 s[4:5], 64, v19
	s_add_i32 s39, s6, -1
	v_addc_co_u32_e32 v22, vcc, v16, v15, vcc
	s_lshl_b64 s[22:23], s[20:21], 7
	s_lshl_b64 s[26:27], s[20:21], 8
	s_add_i32 s40, s9, s8
	s_mul_i32 s41, s20, 0x180
	v_mov_b32_e32 v23, -1
	s_branch .LBB31_1040
.LBB31_1038:                            ;   in Loop: Header=BB31_1040 Depth=1
	ds_read_b64 v[14:15], v21 offset:384
	s_waitcnt vmcnt(0) lgkmcnt(0)
	v_fma_f64 v[10:11], v[16:17], v[14:15], v[10:11]
.LBB31_1039:                            ;   in Loop: Header=BB31_1040 Depth=1
	s_or_b64 exec, exec, s[28:29]
	s_add_i32 s38, s38, 1
	s_cmp_eq_u32 s38, s6
	s_cbranch_scc1 .LBB31_1062
.LBB31_1040:                            ; =>This Loop Header: Depth=1
                                        ;     Child Loop BB31_1042 Depth 2
	v_cmp_gt_i32_e32 vcc, s38, v23
	s_and_b64 s[28:29], s[2:3], vcc
	s_and_saveexec_b64 s[8:9], s[28:29]
	s_cbranch_execz .LBB31_1043
; %bb.1041:                             ;   in Loop: Header=BB31_1040 Depth=1
	global_load_dword v23, v13, s[16:17]
	s_waitcnt vmcnt(0)
	v_cmp_le_i32_e32 vcc, s38, v23
	s_cbranch_vccnz .LBB31_1043
.LBB31_1042:                            ;   Parent Loop BB31_1040 Depth=1
                                        ; =>  This Inner Loop Header: Depth=2
	buffer_wbinvl1_vol
	global_load_dword v23, v13, s[16:17]
	s_waitcnt vmcnt(0)
	v_cmp_gt_i32_e32 vcc, s38, v23
	s_cbranch_vccnz .LBB31_1042
.LBB31_1043:                            ;   in Loop: Header=BB31_1040 Depth=1
	s_or_b64 exec, exec, s[8:9]
	s_lshl_b32 s42, s38, 6
	buffer_wbinvl1_vol
	s_barrier
	s_and_saveexec_b64 s[8:9], s[4:5]
	s_cbranch_execz .LBB31_1047
; %bb.1044:                             ;   in Loop: Header=BB31_1040 Depth=1
	v_or_b32_e32 v16, s42, v19
	v_mov_b32_e32 v14, 0
	v_mov_b32_e32 v15, 0
	v_cmp_gt_i32_e32 vcc, s33, v16
	s_and_saveexec_b64 s[28:29], vcc
	s_cbranch_execz .LBB31_1046
; %bb.1045:                             ;   in Loop: Header=BB31_1040 Depth=1
	v_mad_u64_u32 v[14:15], s[44:45], s30, v16, 0
	v_mad_u64_u32 v[15:16], s[44:45], s31, v16, v[15:16]
	v_mov_b32_e32 v16, s37
	v_lshlrev_b64 v[14:15], 3, v[14:15]
	v_add_co_u32_e32 v14, vcc, s36, v14
	v_addc_co_u32_e32 v15, vcc, v16, v15, vcc
	global_load_dwordx2 v[14:15], v[14:15], off
.LBB31_1046:                            ;   in Loop: Header=BB31_1040 Depth=1
	s_or_b64 exec, exec, s[28:29]
	s_waitcnt vmcnt(0)
	ds_write_b64 v20, v[14:15]
.LBB31_1047:                            ;   in Loop: Header=BB31_1040 Depth=1
	s_or_b64 exec, exec, s[8:9]
	v_add_u32_e32 v24, s42, v1
	v_mad_u64_u32 v[14:15], s[8:9], s20, v24, 0
	s_cmp_lg_u32 s38, s39
	s_waitcnt lgkmcnt(0)
	v_mad_u64_u32 v[15:16], s[8:9], s21, v24, v[15:16]
	s_cselect_b64 s[8:9], -1, 0
	v_cndmask_b32_e64 v16, 0, 1, s[8:9]
	v_lshlrev_b64 v[14:15], 3, v[14:15]
	v_cmp_ne_u32_e64 s[8:9], 1, v16
	v_add_co_u32_e32 v14, vcc, v12, v14
	v_addc_co_u32_e32 v15, vcc, v22, v15, vcc
	v_cmp_gt_i32_e32 vcc, s33, v24
	s_and_b64 s[42:43], s[10:11], vcc
	s_barrier
	s_and_saveexec_b64 s[28:29], s[42:43]
	s_cbranch_execz .LBB31_1051
; %bb.1048:                             ;   in Loop: Header=BB31_1040 Depth=1
	v_mov_b32_e32 v17, v3
	s_and_b64 vcc, exec, s[8:9]
	v_mov_b32_e32 v16, v2
	s_cbranch_vccnz .LBB31_1050
; %bb.1049:                             ;   in Loop: Header=BB31_1040 Depth=1
	global_load_dwordx2 v[16:17], v[14:15], off
.LBB31_1050:                            ;   in Loop: Header=BB31_1040 Depth=1
	ds_read_b64 v[25:26], v21
	s_waitcnt vmcnt(0) lgkmcnt(0)
	v_fma_f64 v[10:11], v[16:17], v[25:26], v[10:11]
.LBB31_1051:                            ;   in Loop: Header=BB31_1040 Depth=1
	s_or_b64 exec, exec, s[28:29]
	v_add_u32_e32 v16, 16, v24
	v_cmp_gt_i32_e32 vcc, s33, v16
	s_and_b64 s[42:43], s[10:11], vcc
	s_and_saveexec_b64 s[28:29], s[42:43]
	s_cbranch_execz .LBB31_1055
; %bb.1052:                             ;   in Loop: Header=BB31_1040 Depth=1
	v_mov_b32_e32 v17, v5
	s_and_b64 vcc, exec, s[8:9]
	v_mov_b32_e32 v16, v4
	s_cbranch_vccnz .LBB31_1054
; %bb.1053:                             ;   in Loop: Header=BB31_1040 Depth=1
	v_mov_b32_e32 v17, s23
	v_add_co_u32_e32 v16, vcc, s22, v14
	v_addc_co_u32_e32 v17, vcc, v15, v17, vcc
	global_load_dwordx2 v[16:17], v[16:17], off
.LBB31_1054:                            ;   in Loop: Header=BB31_1040 Depth=1
	ds_read_b64 v[25:26], v21 offset:128
	s_waitcnt vmcnt(0) lgkmcnt(0)
	v_fma_f64 v[10:11], v[16:17], v[25:26], v[10:11]
.LBB31_1055:                            ;   in Loop: Header=BB31_1040 Depth=1
	s_or_b64 exec, exec, s[28:29]
	v_add_u32_e32 v16, 32, v24
	v_cmp_gt_i32_e32 vcc, s33, v16
	s_and_b64 s[42:43], s[10:11], vcc
	s_and_saveexec_b64 s[28:29], s[42:43]
	s_cbranch_execz .LBB31_1059
; %bb.1056:                             ;   in Loop: Header=BB31_1040 Depth=1
	v_mov_b32_e32 v17, v9
	s_and_b64 vcc, exec, s[8:9]
	v_mov_b32_e32 v16, v8
	s_cbranch_vccnz .LBB31_1058
; %bb.1057:                             ;   in Loop: Header=BB31_1040 Depth=1
	v_mov_b32_e32 v17, s27
	v_add_co_u32_e32 v16, vcc, s26, v14
	v_addc_co_u32_e32 v17, vcc, v15, v17, vcc
	global_load_dwordx2 v[16:17], v[16:17], off
.LBB31_1058:                            ;   in Loop: Header=BB31_1040 Depth=1
	ds_read_b64 v[25:26], v21 offset:256
	s_waitcnt vmcnt(0) lgkmcnt(0)
	v_fma_f64 v[10:11], v[16:17], v[25:26], v[10:11]
.LBB31_1059:                            ;   in Loop: Header=BB31_1040 Depth=1
	s_or_b64 exec, exec, s[28:29]
	v_add_u32_e32 v16, 48, v24
	v_cmp_gt_i32_e32 vcc, s33, v16
	s_and_b64 s[42:43], s[10:11], vcc
	s_and_saveexec_b64 s[28:29], s[42:43]
	s_cbranch_execz .LBB31_1039
; %bb.1060:                             ;   in Loop: Header=BB31_1040 Depth=1
	v_mov_b32_e32 v17, v7
	s_and_b64 vcc, exec, s[8:9]
	v_mov_b32_e32 v16, v6
	s_cbranch_vccnz .LBB31_1038
; %bb.1061:                             ;   in Loop: Header=BB31_1040 Depth=1
	v_mov_b32_e32 v16, s40
	v_add_co_u32_e32 v14, vcc, s41, v14
	v_addc_co_u32_e32 v15, vcc, v15, v16, vcc
	global_load_dwordx2 v[16:17], v[14:15], off
	s_branch .LBB31_1038
.LBB31_1062:
	v_lshl_add_u32 v2, v1, 6, v0
	s_xor_b64 s[2:3], s[18:19], -1
	s_xor_b64 s[4:5], s[24:25], -1
	v_lshlrev_b32_e32 v4, 3, v2
	ds_write_b64 v4, v[10:11] offset:32768
	s_waitcnt lgkmcnt(0)
	s_barrier
	s_and_saveexec_b64 s[8:9], s[0:1]
	s_cbranch_execz .LBB31_1064
; %bb.1063:
	v_lshlrev_b32_e32 v15, 3, v0
	ds_read2st64_b64 v[5:8], v15 offset0:65 offset1:66
	ds_read_b64 v[2:3], v15 offset:40448
	s_waitcnt lgkmcnt(1)
	v_add_f64 v[5:6], v[10:11], v[5:6]
	v_add_f64 v[13:14], v[5:6], v[7:8]
	ds_read2st64_b64 v[5:8], v15 offset0:67 offset1:68
	ds_read2st64_b64 v[9:12], v15 offset0:69 offset1:70
	s_waitcnt lgkmcnt(1)
	v_add_f64 v[5:6], v[13:14], v[5:6]
	v_add_f64 v[5:6], v[5:6], v[7:8]
	s_waitcnt lgkmcnt(0)
	v_add_f64 v[5:6], v[5:6], v[9:10]
	v_add_f64 v[13:14], v[5:6], v[11:12]
	ds_read2st64_b64 v[5:8], v15 offset0:71 offset1:72
	ds_read2st64_b64 v[9:12], v15 offset0:73 offset1:74
	s_waitcnt lgkmcnt(1)
	v_add_f64 v[5:6], v[13:14], v[5:6]
	v_add_f64 v[5:6], v[5:6], v[7:8]
	;; [unrolled: 8-line block ×3, first 2 shown]
	s_waitcnt lgkmcnt(0)
	v_add_f64 v[5:6], v[5:6], v[9:10]
	v_add_f64 v[5:6], v[5:6], v[11:12]
	;; [unrolled: 1-line block ×3, first 2 shown]
	v_xor_b32_e32 v3, 0x80000000, v3
	v_cndmask_b32_e64 v11, v3, 0, s[12:13]
	v_cndmask_b32_e64 v10, v2, 0, s[12:13]
.LBB31_1064:
	s_or_b64 exec, exec, s[8:9]
	s_andn2_b64 vcc, exec, s[4:5]
	s_cbranch_vccnz .LBB31_1078
; %bb.1065:
	v_mov_b32_e32 v2, 0xa000
	v_lshl_or_b32 v5, v1, 3, v2
	s_and_saveexec_b64 s[4:5], s[0:1]
; %bb.1066:
	v_lshl_add_u32 v2, v0, 3, v5
	ds_write_b64 v2, v[10:11]
; %bb.1067:
	s_or_b64 exec, exec, s[4:5]
	v_mov_b32_e32 v2, 0
	v_mov_b32_e32 v3, 0
	v_cmp_ge_u32_e32 vcc, v0, v1
	s_waitcnt lgkmcnt(0)
	s_barrier
	s_and_saveexec_b64 s[4:5], vcc
	s_cbranch_execz .LBB31_1069
; %bb.1068:
	ds_read_b64 v[2:3], v4
	ds_read_b64 v[6:7], v5
	s_waitcnt lgkmcnt(0)
	v_fma_f64 v[2:3], v[2:3], v[6:7], 0
.LBB31_1069:
	s_or_b64 exec, exec, s[4:5]
	v_add_u32_e32 v6, 16, v1
	v_cmp_ge_u32_e32 vcc, v0, v6
	s_and_saveexec_b64 s[4:5], vcc
	s_cbranch_execz .LBB31_1071
; %bb.1070:
	ds_read_b64 v[6:7], v4 offset:8192
	ds_read_b64 v[8:9], v5 offset:128
	s_waitcnt lgkmcnt(0)
	v_fma_f64 v[2:3], v[6:7], v[8:9], v[2:3]
.LBB31_1071:
	s_or_b64 exec, exec, s[4:5]
	v_add_u32_e32 v6, 32, v1
	v_cmp_ge_u32_e32 vcc, v0, v6
	s_and_saveexec_b64 s[4:5], vcc
	s_cbranch_execz .LBB31_1073
; %bb.1072:
	ds_read_b64 v[6:7], v4 offset:16384
	ds_read_b64 v[8:9], v5 offset:256
	s_waitcnt lgkmcnt(0)
	v_fma_f64 v[2:3], v[6:7], v[8:9], v[2:3]
.LBB31_1073:
	s_or_b64 exec, exec, s[4:5]
	v_add_u32_e32 v1, 48, v1
	v_add_u32_e32 v6, 0x8000, v4
	v_cmp_ge_u32_e32 vcc, v0, v1
	s_and_saveexec_b64 s[4:5], vcc
	s_cbranch_execz .LBB31_1075
; %bb.1074:
	ds_read_b64 v[7:8], v4 offset:24576
	ds_read_b64 v[4:5], v5 offset:384
	s_waitcnt lgkmcnt(0)
	v_fma_f64 v[2:3], v[7:8], v[4:5], v[2:3]
.LBB31_1075:
	s_or_b64 exec, exec, s[4:5]
	s_mov_b64 s[8:9], 0
	s_mov_b64 s[4:5], 0
	ds_write_b64 v6, v[2:3]
	s_waitcnt lgkmcnt(0)
	s_barrier
                                        ; implicit-def: $vgpr6_vgpr7
                                        ; implicit-def: $vgpr4_vgpr5
	s_and_saveexec_b64 s[10:11], s[0:1]
	s_cbranch_execz .LBB31_1099
; %bb.1076:
	v_lshlrev_b32_e32 v9, 3, v0
	ds_read2st64_b64 v[4:7], v9 offset0:65 offset1:66
	ds_read_b64 v[12:13], v9 offset:40448
	s_mov_b64 s[4:5], exec
	s_waitcnt lgkmcnt(1)
	v_add_f64 v[1:2], v[2:3], v[4:5]
	v_add_f64 v[14:15], v[6:7], v[1:2]
	ds_read2st64_b64 v[1:4], v9 offset0:67 offset1:68
	ds_read2st64_b64 v[5:8], v9 offset0:69 offset1:70
	s_waitcnt lgkmcnt(1)
	v_add_f64 v[1:2], v[1:2], v[14:15]
	v_add_f64 v[1:2], v[3:4], v[1:2]
	s_waitcnt lgkmcnt(0)
	v_add_f64 v[1:2], v[5:6], v[1:2]
	v_add_f64 v[14:15], v[7:8], v[1:2]
	ds_read2st64_b64 v[1:4], v9 offset0:71 offset1:72
	ds_read2st64_b64 v[5:8], v9 offset0:73 offset1:74
	s_waitcnt lgkmcnt(1)
	v_add_f64 v[1:2], v[1:2], v[14:15]
	v_add_f64 v[1:2], v[3:4], v[1:2]
	;; [unrolled: 8-line block ×3, first 2 shown]
	v_lshl_add_u32 v3, s6, 6, v19
	s_waitcnt lgkmcnt(0)
	v_add_f64 v[1:2], v[5:6], v[1:2]
	v_mad_u64_u32 v[4:5], s[12:13], s30, v3, 0
	v_add_f64 v[1:2], v[7:8], v[1:2]
	v_add_f64 v[6:7], v[12:13], v[1:2]
	v_mov_b32_e32 v1, v5
	v_mad_u64_u32 v[1:2], s[12:13], s31, v3, v[1:2]
	v_mov_b32_e32 v5, v1
	s_or_b64 exec, exec, s[10:11]
	s_and_b64 vcc, exec, s[8:9]
	s_cbranch_vccnz .LBB31_1079
	s_branch .LBB31_1100
.LBB31_1077:
	v_mad_u64_u32 v[12:13], s[0:1], s20, v14, 0
	s_or_b64 s[8:9], s[8:9], exec
	v_mad_u64_u32 v[13:14], s[0:1], s21, v14, v[13:14]
	v_lshlrev_b64 v[12:13], 3, v[12:13]
	v_add_co_u32_e32 v10, vcc, v10, v12
	v_addc_co_u32_e32 v11, vcc, v11, v13, vcc
	global_load_dwordx2 v[12:13], v[10:11], off
	s_waitcnt vmcnt(0)
	v_xor_b32_e32 v13, 0x80000000, v13
	s_or_b64 exec, exec, s[2:3]
	s_and_saveexec_b64 s[0:1], s[8:9]
	s_cbranch_execnz .LBB31_57
	s_branch .LBB31_58
.LBB31_1078:
	s_mov_b64 s[4:5], 0
                                        ; implicit-def: $vgpr6_vgpr7
                                        ; implicit-def: $vgpr4_vgpr5
	s_cbranch_execz .LBB31_1100
.LBB31_1079:
	s_mov_b32 s10, 0
	v_mov_b32_e32 v1, 0
	v_mov_b32_e32 v2, v0
	s_branch .LBB31_1081
.LBB31_1080:                            ;   in Loop: Header=BB31_1081 Depth=1
	s_or_b64 exec, exec, s[8:9]
	s_add_i32 s10, s10, 4
	v_add_u32_e32 v18, 0x800, v18
	s_cmp_lg_u32 s10, 64
	v_add_u32_e32 v2, -4, v2
	s_barrier
	s_cbranch_scc0 .LBB31_1097
.LBB31_1081:                            ; =>This Inner Loop Header: Depth=1
	v_cmp_eq_u32_e32 vcc, 0, v2
	s_and_b64 s[12:13], s[0:1], vcc
	s_and_saveexec_b64 s[8:9], s[12:13]
; %bb.1082:                             ;   in Loop: Header=BB31_1081 Depth=1
	ds_write_b64 v1, v[10:11] offset:41472
; %bb.1083:                             ;   in Loop: Header=BB31_1081 Depth=1
	s_or_b64 exec, exec, s[8:9]
	v_cmp_lt_u32_e32 vcc, s10, v0
	s_and_b64 s[12:13], s[0:1], vcc
	s_waitcnt lgkmcnt(0)
	s_barrier
	s_and_saveexec_b64 s[8:9], s[12:13]
	s_cbranch_execz .LBB31_1085
; %bb.1084:                             ;   in Loop: Header=BB31_1081 Depth=1
	ds_read_b64 v[3:4], v18
	ds_read_b64 v[5:6], v1 offset:41472
	s_waitcnt lgkmcnt(0)
	v_fma_f64 v[10:11], v[3:4], v[5:6], v[10:11]
.LBB31_1085:                            ;   in Loop: Header=BB31_1081 Depth=1
	s_or_b64 exec, exec, s[8:9]
	s_or_b32 s11, s10, 1
	v_cmp_eq_u32_e32 vcc, s11, v0
	s_and_b64 s[12:13], s[0:1], vcc
	s_barrier
	s_and_saveexec_b64 s[8:9], s[12:13]
; %bb.1086:                             ;   in Loop: Header=BB31_1081 Depth=1
	ds_write_b64 v1, v[10:11] offset:41472
; %bb.1087:                             ;   in Loop: Header=BB31_1081 Depth=1
	s_or_b64 exec, exec, s[8:9]
	v_cmp_lt_u32_e32 vcc, s11, v0
	s_and_b64 s[12:13], s[0:1], vcc
	s_waitcnt lgkmcnt(0)
	s_barrier
	s_and_saveexec_b64 s[8:9], s[12:13]
	s_cbranch_execz .LBB31_1089
; %bb.1088:                             ;   in Loop: Header=BB31_1081 Depth=1
	ds_read_b64 v[3:4], v18 offset:512
	ds_read_b64 v[5:6], v1 offset:41472
	s_waitcnt lgkmcnt(0)
	v_fma_f64 v[10:11], v[3:4], v[5:6], v[10:11]
.LBB31_1089:                            ;   in Loop: Header=BB31_1081 Depth=1
	s_or_b64 exec, exec, s[8:9]
	s_or_b32 s11, s10, 2
	v_cmp_eq_u32_e32 vcc, s11, v0
	s_and_b64 s[12:13], s[0:1], vcc
	s_barrier
	s_and_saveexec_b64 s[8:9], s[12:13]
; %bb.1090:                             ;   in Loop: Header=BB31_1081 Depth=1
	ds_write_b64 v1, v[10:11] offset:41472
; %bb.1091:                             ;   in Loop: Header=BB31_1081 Depth=1
	s_or_b64 exec, exec, s[8:9]
	v_cmp_lt_u32_e32 vcc, s11, v0
	s_and_b64 s[12:13], s[0:1], vcc
	s_waitcnt lgkmcnt(0)
	s_barrier
	s_and_saveexec_b64 s[8:9], s[12:13]
	s_cbranch_execz .LBB31_1093
; %bb.1092:                             ;   in Loop: Header=BB31_1081 Depth=1
	ds_read_b64 v[3:4], v18 offset:1024
	ds_read_b64 v[5:6], v1 offset:41472
	s_waitcnt lgkmcnt(0)
	v_fma_f64 v[10:11], v[3:4], v[5:6], v[10:11]
.LBB31_1093:                            ;   in Loop: Header=BB31_1081 Depth=1
	s_or_b64 exec, exec, s[8:9]
	s_or_b32 s11, s10, 3
	v_cmp_eq_u32_e32 vcc, s11, v0
	s_and_b64 s[12:13], s[0:1], vcc
	s_barrier
	s_and_saveexec_b64 s[8:9], s[12:13]
; %bb.1094:                             ;   in Loop: Header=BB31_1081 Depth=1
	ds_write_b64 v1, v[10:11] offset:41472
; %bb.1095:                             ;   in Loop: Header=BB31_1081 Depth=1
	s_or_b64 exec, exec, s[8:9]
	v_cmp_lt_u32_e32 vcc, s11, v0
	s_and_b64 s[12:13], s[0:1], vcc
	s_waitcnt lgkmcnt(0)
	s_barrier
	s_and_saveexec_b64 s[8:9], s[12:13]
	s_cbranch_execz .LBB31_1080
; %bb.1096:                             ;   in Loop: Header=BB31_1081 Depth=1
	ds_read_b64 v[3:4], v18 offset:1536
	ds_read_b64 v[5:6], v1 offset:41472
	s_waitcnt lgkmcnt(0)
	v_fma_f64 v[10:11], v[3:4], v[5:6], v[10:11]
	s_branch .LBB31_1080
.LBB31_1097:
	s_and_b64 vcc, exec, s[2:3]
	s_cbranch_vccz .LBB31_1101
; %bb.1098:
	s_and_b64 s[2:3], s[0:1], exec
	s_cbranch_execz .LBB31_1102
	s_branch .LBB31_1103
.LBB31_1099:
	s_or_b64 exec, exec, s[10:11]
	s_and_b64 vcc, exec, s[8:9]
	s_cbranch_vccnz .LBB31_1079
.LBB31_1100:
	v_mov_b32_e32 v11, v7
	v_mov_b32_e32 v10, v6
	s_and_saveexec_b64 s[0:1], s[4:5]
	s_cbranch_execnz .LBB31_1106
	s_branch .LBB31_1107
.LBB31_1101:
	s_mov_b64 s[2:3], 0
.LBB31_1102:
	v_cmp_gt_i32_e32 vcc, s7, v0
	s_and_b64 s[0:1], s[0:1], vcc
	s_andn2_b64 s[2:3], s[2:3], exec
	s_and_b64 s[0:1], s[0:1], exec
	s_or_b64 s[2:3], s[2:3], s[0:1]
.LBB31_1103:
                                        ; implicit-def: $vgpr4_vgpr5
	s_and_saveexec_b64 s[0:1], s[2:3]
	s_cbranch_execz .LBB31_1105
; %bb.1104:
	s_lshl_b32 s2, s6, 6
	s_ashr_i32 s3, s2, 31
	v_mov_b32_e32 v0, s3
	v_add_co_u32_e32 v1, vcc, s2, v19
	v_addc_co_u32_e32 v0, vcc, 0, v0, vcc
	v_mul_lo_u32 v0, v0, s30
	v_mul_lo_u32 v2, v1, s31
	v_mad_u64_u32 v[4:5], s[2:3], v1, s30, 0
	s_or_b64 s[4:5], s[4:5], exec
	v_add3_u32 v5, v5, v2, v0
.LBB31_1105:
	s_or_b64 exec, exec, s[0:1]
	s_and_saveexec_b64 s[0:1], s[4:5]
	s_cbranch_execz .LBB31_1107
.LBB31_1106:
	v_lshlrev_b64 v[0:1], 3, v[4:5]
	v_mov_b32_e32 v2, s37
	v_add_co_u32_e32 v0, vcc, s36, v0
	v_addc_co_u32_e32 v1, vcc, v2, v1, vcc
	global_store_dwordx2 v[0:1], v[10:11], off
.LBB31_1107:
	s_or_b64 exec, exec, s[0:1]
	v_cmp_eq_u32_e32 vcc, 0, v19
	s_waitcnt vmcnt(0)
	buffer_wbinvl1_vol
	s_barrier
	s_and_saveexec_b64 s[0:1], vcc
	s_cbranch_execz .LBB31_1109
; %bb.1108:
	s_lshl_b64 s[2:3], s[34:35], 2
	s_add_u32 s2, s14, s2
	s_addc_u32 s3, s15, s3
	v_mov_b32_e32 v0, 0
	global_load_dword v1, v0, s[2:3]
	s_waitcnt vmcnt(0)
	v_add_u32_e32 v1, 1, v1
	global_store_dword v0, v1, s[2:3]
.LBB31_1109:
	s_or_b64 exec, exec, s[0:1]
	s_waitcnt vmcnt(0)
	buffer_wbinvl1_vol
	s_endpgm
.LBB31_1110:
	v_lshlrev_b32_e32 v22, 3, v21
	v_sub_u32_e32 v22, v19, v22
	v_lshl_add_u32 v22, v20, 3, v22
	ds_read_b64 v[22:23], v22 offset:544
	ds_read_b64 v[24:25], v19 offset:8
	s_waitcnt lgkmcnt(0)
	v_fma_f64 v[10:11], v[22:23], v[24:25], v[10:11]
	s_or_b64 exec, exec, s[14:15]
	v_cmp_gt_u32_e64 s[10:11], 8, v14
	s_and_saveexec_b64 s[14:15], s[10:11]
	s_cbranch_execz .LBB31_78
.LBB31_1111:
	ds_read_b64 v[22:23], v16 offset:1056
	ds_read_b64 v[24:25], v19 offset:16
	s_waitcnt lgkmcnt(0)
	v_fma_f64 v[10:11], v[22:23], v[24:25], v[10:11]
	s_or_b64 exec, exec, s[14:15]
	v_cmp_gt_u32_e64 s[10:11], 4, v14
	s_and_saveexec_b64 s[14:15], s[10:11]
	s_cbranch_execnz .LBB31_79
	s_branch .LBB31_80
.LBB31_1112:
	v_lshlrev_b32_e32 v27, 3, v26
	v_sub_u32_e32 v27, v24, v27
	v_lshl_add_u32 v27, v25, 3, v27
	ds_read_b64 v[27:28], v27 offset:576
	ds_read_b64 v[29:30], v24 offset:8
	s_waitcnt lgkmcnt(0)
	v_fma_f64 v[10:11], v[27:28], v[29:30], v[10:11]
	s_or_b64 exec, exec, s[16:17]
	v_cmp_gt_u32_e64 s[10:11], 48, v14
	s_and_saveexec_b64 s[16:17], s[10:11]
	s_cbranch_execz .LBB31_116
.LBB31_1113:
	v_lshlrev_b32_e32 v27, 3, v26
	v_sub_u32_e32 v27, v24, v27
	v_lshl_add_u32 v27, v25, 3, v27
	ds_read_b64 v[27:28], v27 offset:1088
	ds_read_b64 v[29:30], v24 offset:16
	s_waitcnt lgkmcnt(0)
	v_fma_f64 v[10:11], v[27:28], v[29:30], v[10:11]
	s_or_b64 exec, exec, s[16:17]
	v_cmp_gt_u32_e64 s[10:11], 40, v14
	s_and_saveexec_b64 s[16:17], s[10:11]
	s_cbranch_execz .LBB31_117
.LBB31_1114:
	v_lshlrev_b32_e32 v27, 3, v26
	v_sub_u32_e32 v27, v24, v27
	v_lshl_add_u32 v27, v25, 3, v27
	ds_read_b64 v[27:28], v27 offset:1600
	ds_read_b64 v[29:30], v24 offset:24
	s_waitcnt lgkmcnt(0)
	v_fma_f64 v[10:11], v[27:28], v[29:30], v[10:11]
	s_or_b64 exec, exec, s[16:17]
	v_cmp_gt_u32_e64 s[10:11], 32, v14
	s_and_saveexec_b64 s[16:17], s[10:11]
	s_cbranch_execz .LBB31_118
.LBB31_1115:
	ds_read_b64 v[27:28], v22 offset:2112
	ds_read_b64 v[29:30], v24 offset:32
	s_waitcnt lgkmcnt(0)
	v_fma_f64 v[10:11], v[27:28], v[29:30], v[10:11]
	s_or_b64 exec, exec, s[16:17]
	v_cmp_gt_u32_e64 s[10:11], 24, v14
	s_and_saveexec_b64 s[16:17], s[10:11]
	s_cbranch_execz .LBB31_119
.LBB31_1116:
	v_lshlrev_b32_e32 v27, 3, v26
	v_sub_u32_e32 v27, v24, v27
	v_lshl_add_u32 v27, v25, 3, v27
	ds_read_b64 v[27:28], v27 offset:2624
	ds_read_b64 v[29:30], v24 offset:40
	s_waitcnt lgkmcnt(0)
	v_fma_f64 v[10:11], v[27:28], v[29:30], v[10:11]
	s_or_b64 exec, exec, s[16:17]
	v_cmp_gt_u32_e64 s[10:11], 16, v14
	s_and_saveexec_b64 s[16:17], s[10:11]
	s_cbranch_execz .LBB31_120
.LBB31_1117:
	ds_read_b64 v[27:28], v22 offset:3136
	ds_read_b64 v[29:30], v24 offset:48
	s_waitcnt lgkmcnt(0)
	v_fma_f64 v[10:11], v[27:28], v[29:30], v[10:11]
	s_or_b64 exec, exec, s[16:17]
	v_cmp_gt_u32_e64 s[10:11], 8, v14
	s_and_saveexec_b64 s[16:17], s[10:11]
	s_cbranch_execnz .LBB31_121
	s_branch .LBB31_122
.LBB31_1118:
	v_lshlrev_b32_e32 v28, 3, v21
	v_sub_u32_e32 v28, v27, v28
	v_lshl_add_u32 v28, v20, 3, v28
	ds_read_b64 v[28:29], v28 offset:4704
	ds_read_b64 v[30:31], v27 offset:4168
	s_waitcnt lgkmcnt(0)
	v_fma_f64 v[10:11], v[28:29], v[30:31], v[10:11]
	s_or_b64 exec, exec, s[12:13]
	v_cmp_gt_u32_e64 s[8:9], 8, v14
	s_and_saveexec_b64 s[12:13], s[8:9]
	s_cbranch_execz .LBB31_174
.LBB31_1119:
	ds_read_b64 v[28:29], v16 offset:5216
	ds_read_b64 v[30:31], v27 offset:4176
	s_waitcnt lgkmcnt(0)
	v_fma_f64 v[10:11], v[28:29], v[30:31], v[10:11]
	s_or_b64 exec, exec, s[12:13]
	v_cmp_gt_u32_e64 s[8:9], 4, v14
	s_and_saveexec_b64 s[12:13], s[8:9]
	s_cbranch_execnz .LBB31_175
	s_branch .LBB31_176
.LBB31_1120:
	v_lshlrev_b32_e32 v32, 3, v28
	v_lshl_add_u32 v32, v30, 3, v32
	ds_read_b64 v[32:33], v32 offset:5760
	ds_read_b64 v[34:35], v29 offset:88
	s_waitcnt lgkmcnt(0)
	v_fma_f64 v[10:11], v[32:33], v[34:35], v[10:11]
	s_or_b64 exec, exec, s[22:23]
	v_cmp_gt_u32_e64 s[12:13], 64, v14
	s_and_saveexec_b64 s[22:23], s[12:13]
	s_cbranch_execz .LBB31_232
.LBB31_1121:
	ds_read_b64 v[32:33], v27 offset:6272
	ds_read_b64 v[34:35], v29 offset:96
	s_waitcnt lgkmcnt(0)
	v_fma_f64 v[10:11], v[32:33], v[34:35], v[10:11]
	s_or_b64 exec, exec, s[22:23]
	v_cmp_gt_u32_e64 s[12:13], 48, v14
	s_and_saveexec_b64 s[22:23], s[12:13]
	s_cbranch_execz .LBB31_233
.LBB31_1122:
	v_lshlrev_b32_e32 v32, 3, v28
	v_lshl_add_u32 v32, v30, 3, v32
	ds_read_b64 v[32:33], v32 offset:6784
	ds_read_b64 v[34:35], v29 offset:104
	s_waitcnt lgkmcnt(0)
	v_fma_f64 v[10:11], v[32:33], v[34:35], v[10:11]
	s_or_b64 exec, exec, s[22:23]
	v_cmp_gt_u32_e64 s[12:13], 32, v14
	s_and_saveexec_b64 s[22:23], s[12:13]
	s_cbranch_execz .LBB31_234
.LBB31_1123:
	ds_read_b64 v[32:33], v27 offset:7296
	ds_read_b64 v[34:35], v29 offset:112
	s_waitcnt lgkmcnt(0)
	v_fma_f64 v[10:11], v[32:33], v[34:35], v[10:11]
	s_or_b64 exec, exec, s[22:23]
	v_cmp_gt_u32_e64 s[12:13], 16, v14
	s_and_saveexec_b64 s[22:23], s[12:13]
	s_cbranch_execnz .LBB31_235
	s_branch .LBB31_236
.LBB31_1124:
	v_lshlrev_b32_e32 v33, 3, v21
	v_sub_u32_e32 v33, v32, v33
	v_lshl_add_u32 v33, v20, 3, v33
	ds_read_b64 v[33:34], v33 offset:8864
	ds_read_b64 v[35:36], v32 offset:8328
	s_waitcnt lgkmcnt(0)
	v_fma_f64 v[10:11], v[33:34], v[35:36], v[10:11]
	s_or_b64 exec, exec, s[16:17]
	v_cmp_gt_u32_e64 s[10:11], 8, v14
	s_and_saveexec_b64 s[16:17], s[10:11]
	s_cbranch_execz .LBB31_320
.LBB31_1125:
	ds_read_b64 v[33:34], v16 offset:9376
	ds_read_b64 v[35:36], v32 offset:8336
	s_waitcnt lgkmcnt(0)
	v_fma_f64 v[10:11], v[33:34], v[35:36], v[10:11]
	s_or_b64 exec, exec, s[16:17]
	v_cmp_gt_u32_e64 s[10:11], 4, v14
	s_and_saveexec_b64 s[16:17], s[10:11]
	s_cbranch_execnz .LBB31_321
	s_branch .LBB31_322
.LBB31_1126:
	v_lshlrev_b32_e32 v33, 3, v26
	v_sub_u32_e32 v33, v32, v33
	v_lshl_add_u32 v33, v25, 3, v33
	ds_read_b64 v[33:34], v33 offset:8896
	ds_read_b64 v[35:36], v32 offset:8328
	s_waitcnt lgkmcnt(0)
	v_fma_f64 v[10:11], v[33:34], v[35:36], v[10:11]
	s_or_b64 exec, exec, s[16:17]
	v_cmp_gt_u32_e64 s[10:11], 48, v14
	s_and_saveexec_b64 s[16:17], s[10:11]
	s_cbranch_execz .LBB31_358
.LBB31_1127:
	v_lshlrev_b32_e32 v33, 3, v26
	v_sub_u32_e32 v33, v32, v33
	v_lshl_add_u32 v33, v25, 3, v33
	ds_read_b64 v[33:34], v33 offset:9408
	ds_read_b64 v[35:36], v32 offset:8336
	s_waitcnt lgkmcnt(0)
	v_fma_f64 v[10:11], v[33:34], v[35:36], v[10:11]
	s_or_b64 exec, exec, s[16:17]
	v_cmp_gt_u32_e64 s[10:11], 40, v14
	s_and_saveexec_b64 s[16:17], s[10:11]
	s_cbranch_execz .LBB31_359
.LBB31_1128:
	v_lshlrev_b32_e32 v33, 3, v26
	v_sub_u32_e32 v33, v32, v33
	v_lshl_add_u32 v33, v25, 3, v33
	ds_read_b64 v[33:34], v33 offset:9920
	ds_read_b64 v[35:36], v32 offset:8344
	s_waitcnt lgkmcnt(0)
	v_fma_f64 v[10:11], v[33:34], v[35:36], v[10:11]
	s_or_b64 exec, exec, s[16:17]
	v_cmp_gt_u32_e64 s[10:11], 32, v14
	s_and_saveexec_b64 s[16:17], s[10:11]
	s_cbranch_execz .LBB31_360
.LBB31_1129:
	ds_read_b64 v[33:34], v22 offset:10432
	ds_read_b64 v[35:36], v32 offset:8352
	s_waitcnt lgkmcnt(0)
	v_fma_f64 v[10:11], v[33:34], v[35:36], v[10:11]
	s_or_b64 exec, exec, s[16:17]
	v_cmp_gt_u32_e64 s[10:11], 24, v14
	s_and_saveexec_b64 s[16:17], s[10:11]
	s_cbranch_execz .LBB31_361
.LBB31_1130:
	v_lshlrev_b32_e32 v33, 3, v26
	v_sub_u32_e32 v33, v32, v33
	v_lshl_add_u32 v33, v25, 3, v33
	ds_read_b64 v[33:34], v33 offset:10944
	ds_read_b64 v[35:36], v32 offset:8360
	s_waitcnt lgkmcnt(0)
	v_fma_f64 v[10:11], v[33:34], v[35:36], v[10:11]
	s_or_b64 exec, exec, s[16:17]
	v_cmp_gt_u32_e64 s[10:11], 16, v14
	s_and_saveexec_b64 s[16:17], s[10:11]
	s_cbranch_execz .LBB31_362
.LBB31_1131:
	ds_read_b64 v[33:34], v22 offset:11456
	ds_read_b64 v[35:36], v32 offset:8368
	s_waitcnt lgkmcnt(0)
	v_fma_f64 v[10:11], v[33:34], v[35:36], v[10:11]
	s_or_b64 exec, exec, s[16:17]
	v_cmp_gt_u32_e64 s[10:11], 8, v14
	s_and_saveexec_b64 s[16:17], s[10:11]
	s_cbranch_execnz .LBB31_363
	s_branch .LBB31_364
.LBB31_1132:
	v_lshlrev_b32_e32 v33, 3, v21
	v_sub_u32_e32 v33, v32, v33
	v_lshl_add_u32 v33, v20, 3, v33
	ds_read_b64 v[33:34], v33 offset:13024
	ds_read_b64 v[35:36], v32 offset:12488
	s_waitcnt lgkmcnt(0)
	v_fma_f64 v[10:11], v[33:34], v[35:36], v[10:11]
	s_or_b64 exec, exec, s[16:17]
	v_cmp_gt_u32_e64 s[10:11], 8, v14
	s_and_saveexec_b64 s[16:17], s[10:11]
	s_cbranch_execz .LBB31_416
.LBB31_1133:
	ds_read_b64 v[33:34], v16 offset:13536
	ds_read_b64 v[35:36], v32 offset:12496
	s_waitcnt lgkmcnt(0)
	v_fma_f64 v[10:11], v[33:34], v[35:36], v[10:11]
	s_or_b64 exec, exec, s[16:17]
	v_cmp_gt_u32_e64 s[10:11], 4, v14
	s_and_saveexec_b64 s[16:17], s[10:11]
	s_cbranch_execnz .LBB31_417
	s_branch .LBB31_418
.LBB31_1134:
	ds_read_b64 v[37:38], v32 offset:15104
	ds_read_b64 v[39:40], v36 offset:232
	s_waitcnt lgkmcnt(0)
	v_fma_f64 v[10:11], v[37:38], v[39:40], v[10:11]
	s_or_b64 exec, exec, s[90:91]
	v_cmp_gt_u32_e64 s[16:17], 64, v14
	s_and_saveexec_b64 s[90:91], s[16:17]
	s_cbranch_execz .LBB31_510
.LBB31_1135:
	ds_read_b64 v[37:38], v32 offset:15616
	ds_read_b64 v[39:40], v36 offset:240
	s_waitcnt lgkmcnt(0)
	v_fma_f64 v[10:11], v[37:38], v[39:40], v[10:11]
	s_or_b64 exec, exec, s[90:91]
	v_cmp_gt_u32_e64 s[16:17], 32, v14
	s_and_saveexec_b64 s[90:91], s[16:17]
	s_cbranch_execnz .LBB31_511
	s_branch .LBB31_512
.LBB31_1136:
	v_lshlrev_b32_e32 v33, 3, v21
	v_sub_u32_e32 v33, v32, v33
	v_lshl_add_u32 v33, v20, 3, v33
	ds_read_b64 v[33:34], v33 offset:17184
	ds_read_b64 v[35:36], v32 offset:16648
	s_waitcnt lgkmcnt(0)
	v_fma_f64 v[10:11], v[33:34], v[35:36], v[10:11]
	s_or_b64 exec, exec, s[16:17]
	v_cmp_gt_u32_e64 s[10:11], 8, v14
	s_and_saveexec_b64 s[16:17], s[10:11]
	s_cbranch_execz .LBB31_660
.LBB31_1137:
	ds_read_b64 v[33:34], v16 offset:17696
	ds_read_b64 v[35:36], v32 offset:16656
	s_waitcnt lgkmcnt(0)
	v_fma_f64 v[10:11], v[33:34], v[35:36], v[10:11]
	s_or_b64 exec, exec, s[16:17]
	v_cmp_gt_u32_e64 s[10:11], 4, v14
	s_and_saveexec_b64 s[16:17], s[10:11]
	s_cbranch_execnz .LBB31_661
	s_branch .LBB31_662
.LBB31_1138:
	v_lshlrev_b32_e32 v33, 3, v26
	v_sub_u32_e32 v33, v32, v33
	v_lshl_add_u32 v33, v25, 3, v33
	ds_read_b64 v[33:34], v33 offset:17216
	ds_read_b64 v[35:36], v32 offset:16648
	s_waitcnt lgkmcnt(0)
	v_fma_f64 v[10:11], v[33:34], v[35:36], v[10:11]
	s_or_b64 exec, exec, s[16:17]
	v_cmp_gt_u32_e64 s[10:11], 48, v14
	s_and_saveexec_b64 s[16:17], s[10:11]
	s_cbranch_execz .LBB31_698
.LBB31_1139:
	v_lshlrev_b32_e32 v33, 3, v26
	v_sub_u32_e32 v33, v32, v33
	v_lshl_add_u32 v33, v25, 3, v33
	ds_read_b64 v[33:34], v33 offset:17728
	ds_read_b64 v[35:36], v32 offset:16656
	s_waitcnt lgkmcnt(0)
	v_fma_f64 v[10:11], v[33:34], v[35:36], v[10:11]
	s_or_b64 exec, exec, s[16:17]
	v_cmp_gt_u32_e64 s[10:11], 40, v14
	s_and_saveexec_b64 s[16:17], s[10:11]
	s_cbranch_execz .LBB31_699
.LBB31_1140:
	v_lshlrev_b32_e32 v33, 3, v26
	v_sub_u32_e32 v33, v32, v33
	v_lshl_add_u32 v33, v25, 3, v33
	ds_read_b64 v[33:34], v33 offset:18240
	ds_read_b64 v[35:36], v32 offset:16664
	s_waitcnt lgkmcnt(0)
	v_fma_f64 v[10:11], v[33:34], v[35:36], v[10:11]
	s_or_b64 exec, exec, s[16:17]
	v_cmp_gt_u32_e64 s[10:11], 32, v14
	s_and_saveexec_b64 s[16:17], s[10:11]
	s_cbranch_execz .LBB31_700
.LBB31_1141:
	ds_read_b64 v[33:34], v22 offset:18752
	ds_read_b64 v[35:36], v32 offset:16672
	s_waitcnt lgkmcnt(0)
	v_fma_f64 v[10:11], v[33:34], v[35:36], v[10:11]
	s_or_b64 exec, exec, s[16:17]
	v_cmp_gt_u32_e64 s[10:11], 24, v14
	s_and_saveexec_b64 s[16:17], s[10:11]
	s_cbranch_execz .LBB31_701
.LBB31_1142:
	v_lshlrev_b32_e32 v33, 3, v26
	v_sub_u32_e32 v33, v32, v33
	v_lshl_add_u32 v33, v25, 3, v33
	ds_read_b64 v[33:34], v33 offset:19264
	ds_read_b64 v[35:36], v32 offset:16680
	s_waitcnt lgkmcnt(0)
	v_fma_f64 v[10:11], v[33:34], v[35:36], v[10:11]
	s_or_b64 exec, exec, s[16:17]
	v_cmp_gt_u32_e64 s[10:11], 16, v14
	s_and_saveexec_b64 s[16:17], s[10:11]
	s_cbranch_execz .LBB31_702
.LBB31_1143:
	ds_read_b64 v[33:34], v22 offset:19776
	ds_read_b64 v[35:36], v32 offset:16688
	s_waitcnt lgkmcnt(0)
	v_fma_f64 v[10:11], v[33:34], v[35:36], v[10:11]
	s_or_b64 exec, exec, s[16:17]
	v_cmp_gt_u32_e64 s[10:11], 8, v14
	s_and_saveexec_b64 s[16:17], s[10:11]
	s_cbranch_execnz .LBB31_703
	s_branch .LBB31_704
.LBB31_1144:
	v_lshlrev_b32_e32 v33, 3, v21
	v_sub_u32_e32 v33, v32, v33
	v_lshl_add_u32 v33, v20, 3, v33
	ds_read_b64 v[33:34], v33 offset:21344
	ds_read_b64 v[35:36], v32 offset:20808
	s_waitcnt lgkmcnt(0)
	v_fma_f64 v[10:11], v[33:34], v[35:36], v[10:11]
	s_or_b64 exec, exec, s[16:17]
	v_cmp_gt_u32_e64 s[10:11], 8, v14
	s_and_saveexec_b64 s[16:17], s[10:11]
	s_cbranch_execz .LBB31_756
.LBB31_1145:
	ds_read_b64 v[33:34], v16 offset:21856
	ds_read_b64 v[35:36], v32 offset:20816
	s_waitcnt lgkmcnt(0)
	v_fma_f64 v[10:11], v[33:34], v[35:36], v[10:11]
	s_or_b64 exec, exec, s[16:17]
	v_cmp_gt_u32_e64 s[10:11], 4, v14
	s_and_saveexec_b64 s[16:17], s[10:11]
	s_cbranch_execnz .LBB31_757
	s_branch .LBB31_758
.LBB31_1146:
	v_lshlrev_b32_e32 v31, 3, v28
	v_lshl_add_u32 v31, v30, 3, v31
	ds_read_b64 v[33:34], v31 offset:22400
	ds_read_b64 v[35:36], v32 offset:16728
	s_waitcnt lgkmcnt(0)
	v_fma_f64 v[10:11], v[33:34], v[35:36], v[10:11]
	s_or_b64 exec, exec, s[16:17]
	v_cmp_gt_u32_e64 s[10:11], 64, v14
	s_and_saveexec_b64 s[16:17], s[10:11]
	s_cbranch_execz .LBB31_814
.LBB31_1147:
	ds_read_b64 v[33:34], v27 offset:22912
	ds_read_b64 v[35:36], v32 offset:16736
	s_waitcnt lgkmcnt(0)
	v_fma_f64 v[10:11], v[33:34], v[35:36], v[10:11]
	s_or_b64 exec, exec, s[16:17]
	v_cmp_gt_u32_e64 s[10:11], 48, v14
	s_and_saveexec_b64 s[16:17], s[10:11]
	s_cbranch_execz .LBB31_815
.LBB31_1148:
	v_lshlrev_b32_e32 v31, 3, v28
	v_lshl_add_u32 v30, v30, 3, v31
	ds_read_b64 v[30:31], v30 offset:23424
	ds_read_b64 v[33:34], v32 offset:16744
	s_waitcnt lgkmcnt(0)
	v_fma_f64 v[10:11], v[30:31], v[33:34], v[10:11]
	s_or_b64 exec, exec, s[16:17]
	v_cmp_gt_u32_e64 s[10:11], 32, v14
	s_and_saveexec_b64 s[16:17], s[10:11]
	s_cbranch_execz .LBB31_816
.LBB31_1149:
	ds_read_b64 v[30:31], v27 offset:23936
	ds_read_b64 v[32:33], v32 offset:16752
	s_waitcnt lgkmcnt(0)
	v_fma_f64 v[10:11], v[30:31], v[32:33], v[10:11]
	s_or_b64 exec, exec, s[16:17]
	v_cmp_gt_u32_e64 s[10:11], 16, v14
	s_and_saveexec_b64 s[16:17], s[10:11]
	s_cbranch_execnz .LBB31_817
	s_branch .LBB31_818
.LBB31_1150:
	v_lshlrev_b32_e32 v28, 3, v21
	v_sub_u32_e32 v28, v27, v28
	v_lshl_add_u32 v28, v20, 3, v28
	ds_read_b64 v[28:29], v28 offset:25504
	ds_read_b64 v[30:31], v27 offset:24968
	s_waitcnt lgkmcnt(0)
	v_fma_f64 v[10:11], v[28:29], v[30:31], v[10:11]
	s_or_b64 exec, exec, s[12:13]
	v_cmp_gt_u32_e64 s[8:9], 8, v14
	s_and_saveexec_b64 s[12:13], s[8:9]
	s_cbranch_execz .LBB31_902
.LBB31_1151:
	ds_read_b64 v[28:29], v16 offset:26016
	ds_read_b64 v[30:31], v27 offset:24976
	s_waitcnt lgkmcnt(0)
	v_fma_f64 v[10:11], v[28:29], v[30:31], v[10:11]
	s_or_b64 exec, exec, s[12:13]
	v_cmp_gt_u32_e64 s[8:9], 4, v14
	s_and_saveexec_b64 s[12:13], s[8:9]
	s_cbranch_execnz .LBB31_903
	s_branch .LBB31_904
.LBB31_1152:
	v_lshlrev_b32_e32 v28, 3, v26
	v_sub_u32_e32 v28, v27, v28
	v_lshl_add_u32 v28, v25, 3, v28
	ds_read_b64 v[28:29], v28 offset:25536
	ds_read_b64 v[30:31], v27 offset:24968
	s_waitcnt lgkmcnt(0)
	v_fma_f64 v[10:11], v[28:29], v[30:31], v[10:11]
	s_or_b64 exec, exec, s[12:13]
	v_cmp_gt_u32_e64 s[8:9], 48, v14
	s_and_saveexec_b64 s[12:13], s[8:9]
	s_cbranch_execz .LBB31_940
.LBB31_1153:
	v_lshlrev_b32_e32 v28, 3, v26
	v_sub_u32_e32 v28, v27, v28
	v_lshl_add_u32 v28, v25, 3, v28
	ds_read_b64 v[28:29], v28 offset:26048
	ds_read_b64 v[30:31], v27 offset:24976
	s_waitcnt lgkmcnt(0)
	v_fma_f64 v[10:11], v[28:29], v[30:31], v[10:11]
	s_or_b64 exec, exec, s[12:13]
	v_cmp_gt_u32_e64 s[8:9], 40, v14
	s_and_saveexec_b64 s[12:13], s[8:9]
	s_cbranch_execz .LBB31_941
.LBB31_1154:
	v_lshlrev_b32_e32 v28, 3, v26
	v_sub_u32_e32 v28, v27, v28
	v_lshl_add_u32 v28, v25, 3, v28
	ds_read_b64 v[28:29], v28 offset:26560
	ds_read_b64 v[30:31], v27 offset:24984
	s_waitcnt lgkmcnt(0)
	v_fma_f64 v[10:11], v[28:29], v[30:31], v[10:11]
	s_or_b64 exec, exec, s[12:13]
	v_cmp_gt_u32_e64 s[8:9], 32, v14
	s_and_saveexec_b64 s[12:13], s[8:9]
	s_cbranch_execz .LBB31_942
.LBB31_1155:
	ds_read_b64 v[28:29], v22 offset:27072
	ds_read_b64 v[30:31], v27 offset:24992
	s_waitcnt lgkmcnt(0)
	v_fma_f64 v[10:11], v[28:29], v[30:31], v[10:11]
	s_or_b64 exec, exec, s[12:13]
	v_cmp_gt_u32_e64 s[8:9], 24, v14
	s_and_saveexec_b64 s[12:13], s[8:9]
	s_cbranch_execz .LBB31_943
.LBB31_1156:
	v_lshlrev_b32_e32 v26, 3, v26
	v_sub_u32_e32 v26, v27, v26
	v_lshl_add_u32 v25, v25, 3, v26
	ds_read_b64 v[25:26], v25 offset:27584
	ds_read_b64 v[28:29], v27 offset:25000
	s_waitcnt lgkmcnt(0)
	v_fma_f64 v[10:11], v[25:26], v[28:29], v[10:11]
	s_or_b64 exec, exec, s[12:13]
	v_cmp_gt_u32_e64 s[8:9], 16, v14
	s_and_saveexec_b64 s[12:13], s[8:9]
	s_cbranch_execz .LBB31_944
.LBB31_1157:
	ds_read_b64 v[25:26], v22 offset:28096
	ds_read_b64 v[27:28], v27 offset:25008
	s_waitcnt lgkmcnt(0)
	v_fma_f64 v[10:11], v[25:26], v[27:28], v[10:11]
	s_or_b64 exec, exec, s[12:13]
	v_cmp_gt_u32_e64 s[8:9], 8, v14
	s_and_saveexec_b64 s[12:13], s[8:9]
	s_cbranch_execnz .LBB31_945
	s_branch .LBB31_946
.LBB31_1158:
	v_lshlrev_b32_e32 v21, 3, v21
	v_sub_u32_e32 v21, v22, v21
	v_lshl_add_u32 v20, v20, 3, v21
	ds_read_b64 v[20:21], v20 offset:29664
	ds_read_b64 v[23:24], v22 offset:29128
	s_waitcnt lgkmcnt(0)
	v_fma_f64 v[10:11], v[20:21], v[23:24], v[10:11]
	s_or_b64 exec, exec, s[12:13]
	v_cmp_gt_u32_e64 s[8:9], 8, v14
	s_and_saveexec_b64 s[12:13], s[8:9]
	s_cbranch_execz .LBB31_998
.LBB31_1159:
	ds_read_b64 v[20:21], v16 offset:30176
	ds_read_b64 v[22:23], v22 offset:29136
	s_waitcnt lgkmcnt(0)
	v_fma_f64 v[10:11], v[20:21], v[22:23], v[10:11]
	s_or_b64 exec, exec, s[12:13]
	v_cmp_gt_u32_e64 s[8:9], 4, v14
	s_and_saveexec_b64 s[12:13], s[8:9]
	s_cbranch_execnz .LBB31_999
	s_branch .LBB31_1000
	.section	.rodata,"a",@progbits
	.p2align	6, 0x0
	.amdhsa_kernel _ZL19rocblas_trsv_deviceILi64ELi16ELb1ELb0ELb0ELb1EdPKdS1_PdEviT7_lllT6_T8_lllPii
		.amdhsa_group_segment_fixed_size 41480
		.amdhsa_private_segment_fixed_size 0
		.amdhsa_kernarg_size 352
		.amdhsa_user_sgpr_count 6
		.amdhsa_user_sgpr_private_segment_buffer 1
		.amdhsa_user_sgpr_dispatch_ptr 0
		.amdhsa_user_sgpr_queue_ptr 0
		.amdhsa_user_sgpr_kernarg_segment_ptr 1
		.amdhsa_user_sgpr_dispatch_id 0
		.amdhsa_user_sgpr_flat_scratch_init 0
		.amdhsa_user_sgpr_private_segment_size 0
		.amdhsa_uses_dynamic_stack 0
		.amdhsa_system_sgpr_private_segment_wavefront_offset 0
		.amdhsa_system_sgpr_workgroup_id_x 1
		.amdhsa_system_sgpr_workgroup_id_y 0
		.amdhsa_system_sgpr_workgroup_id_z 1
		.amdhsa_system_sgpr_workgroup_info 0
		.amdhsa_system_vgpr_workitem_id 1
		.amdhsa_next_free_vgpr 49
		.amdhsa_next_free_sgpr 98
		.amdhsa_reserve_vcc 1
		.amdhsa_reserve_flat_scratch 0
		.amdhsa_float_round_mode_32 0
		.amdhsa_float_round_mode_16_64 0
		.amdhsa_float_denorm_mode_32 3
		.amdhsa_float_denorm_mode_16_64 3
		.amdhsa_dx10_clamp 1
		.amdhsa_ieee_mode 1
		.amdhsa_fp16_overflow 0
		.amdhsa_exception_fp_ieee_invalid_op 0
		.amdhsa_exception_fp_denorm_src 0
		.amdhsa_exception_fp_ieee_div_zero 0
		.amdhsa_exception_fp_ieee_overflow 0
		.amdhsa_exception_fp_ieee_underflow 0
		.amdhsa_exception_fp_ieee_inexact 0
		.amdhsa_exception_int_div_zero 0
	.end_amdhsa_kernel
	.section	.text._ZL19rocblas_trsv_deviceILi64ELi16ELb1ELb0ELb0ELb1EdPKdS1_PdEviT7_lllT6_T8_lllPii,"axG",@progbits,_ZL19rocblas_trsv_deviceILi64ELi16ELb1ELb0ELb0ELb1EdPKdS1_PdEviT7_lllT6_T8_lllPii,comdat
.Lfunc_end31:
	.size	_ZL19rocblas_trsv_deviceILi64ELi16ELb1ELb0ELb0ELb1EdPKdS1_PdEviT7_lllT6_T8_lllPii, .Lfunc_end31-_ZL19rocblas_trsv_deviceILi64ELi16ELb1ELb0ELb0ELb1EdPKdS1_PdEviT7_lllT6_T8_lllPii
                                        ; -- End function
	.set _ZL19rocblas_trsv_deviceILi64ELi16ELb1ELb0ELb0ELb1EdPKdS1_PdEviT7_lllT6_T8_lllPii.num_vgpr, 42
	.set _ZL19rocblas_trsv_deviceILi64ELi16ELb1ELb0ELb0ELb1EdPKdS1_PdEviT7_lllT6_T8_lllPii.num_agpr, 0
	.set _ZL19rocblas_trsv_deviceILi64ELi16ELb1ELb0ELb0ELb1EdPKdS1_PdEviT7_lllT6_T8_lllPii.numbered_sgpr, 96
	.set _ZL19rocblas_trsv_deviceILi64ELi16ELb1ELb0ELb0ELb1EdPKdS1_PdEviT7_lllT6_T8_lllPii.num_named_barrier, 0
	.set _ZL19rocblas_trsv_deviceILi64ELi16ELb1ELb0ELb0ELb1EdPKdS1_PdEviT7_lllT6_T8_lllPii.private_seg_size, 0
	.set _ZL19rocblas_trsv_deviceILi64ELi16ELb1ELb0ELb0ELb1EdPKdS1_PdEviT7_lllT6_T8_lllPii.uses_vcc, 1
	.set _ZL19rocblas_trsv_deviceILi64ELi16ELb1ELb0ELb0ELb1EdPKdS1_PdEviT7_lllT6_T8_lllPii.uses_flat_scratch, 0
	.set _ZL19rocblas_trsv_deviceILi64ELi16ELb1ELb0ELb0ELb1EdPKdS1_PdEviT7_lllT6_T8_lllPii.has_dyn_sized_stack, 0
	.set _ZL19rocblas_trsv_deviceILi64ELi16ELb1ELb0ELb0ELb1EdPKdS1_PdEviT7_lllT6_T8_lllPii.has_recursion, 0
	.set _ZL19rocblas_trsv_deviceILi64ELi16ELb1ELb0ELb0ELb1EdPKdS1_PdEviT7_lllT6_T8_lllPii.has_indirect_call, 0
	.section	.AMDGPU.csdata,"",@progbits
; Kernel info:
; codeLenInByte = 30284
; TotalNumSgprs: 100
; NumVgprs: 42
; ScratchSize: 0
; MemoryBound: 0
; FloatMode: 240
; IeeeMode: 1
; LDSByteSize: 41480 bytes/workgroup (compile time only)
; SGPRBlocks: 12
; VGPRBlocks: 12
; NumSGPRsForWavesPerEU: 102
; NumVGPRsForWavesPerEU: 49
; Occupancy: 4
; WaveLimiterHint : 0
; COMPUTE_PGM_RSRC2:SCRATCH_EN: 0
; COMPUTE_PGM_RSRC2:USER_SGPR: 6
; COMPUTE_PGM_RSRC2:TRAP_HANDLER: 0
; COMPUTE_PGM_RSRC2:TGID_X_EN: 1
; COMPUTE_PGM_RSRC2:TGID_Y_EN: 0
; COMPUTE_PGM_RSRC2:TGID_Z_EN: 1
; COMPUTE_PGM_RSRC2:TIDIG_COMP_CNT: 1
	.section	.text._ZL19rocblas_trsv_deviceILi64ELi16ELb1ELb1ELb0ELb1EdPKdS1_PdEviT7_lllT6_T8_lllPii,"axG",@progbits,_ZL19rocblas_trsv_deviceILi64ELi16ELb1ELb1ELb0ELb1EdPKdS1_PdEviT7_lllT6_T8_lllPii,comdat
	.globl	_ZL19rocblas_trsv_deviceILi64ELi16ELb1ELb1ELb0ELb1EdPKdS1_PdEviT7_lllT6_T8_lllPii ; -- Begin function _ZL19rocblas_trsv_deviceILi64ELi16ELb1ELb1ELb0ELb1EdPKdS1_PdEviT7_lllT6_T8_lllPii
	.p2align	8
	.type	_ZL19rocblas_trsv_deviceILi64ELi16ELb1ELb1ELb0ELb1EdPKdS1_PdEviT7_lllT6_T8_lllPii,@function
_ZL19rocblas_trsv_deviceILi64ELi16ELb1ELb1ELb0ELb1EdPKdS1_PdEviT7_lllT6_T8_lllPii: ; @_ZL19rocblas_trsv_deviceILi64ELi16ELb1ELb1ELb0ELb1EdPKdS1_PdEviT7_lllT6_T8_lllPii
; %bb.0:
	s_load_dwordx16 s[36:51], s[4:5], 0x8
	s_load_dword s24, s[4:5], 0x0
	s_mov_b32 s22, s7
	s_mov_b32 s23, 0
	s_waitcnt lgkmcnt(0)
	s_mul_i32 s0, s43, s7
	s_mul_hi_u32 s1, s42, s7
	s_add_i32 s1, s1, s0
	s_mul_i32 s0, s42, s7
	s_load_dword s7, s[4:5], 0x60
	s_lshl_b64 s[0:1], s[0:1], 3
	s_add_u32 s2, s36, s0
	s_addc_u32 s3, s37, s1
	s_lshl_b64 s[0:1], s[38:39], 3
	s_load_dwordx2 s[18:19], s[44:45], 0x0
	s_load_dword s95, s[4:5], 0x6c
	s_add_u32 s91, s2, s0
	s_addc_u32 s94, s3, s1
	s_waitcnt lgkmcnt(0)
	s_add_i32 s7, s7, -1
	s_sub_i32 s33, s7, s6
	s_cmp_eq_u32 s6, 0
	s_cbranch_scc1 .LBB32_10
; %bb.1:
	s_lshl_b32 s2, s33, 6
	v_add_u32_e32 v4, s2, v0
	v_ashrrev_i32_e32 v2, 31, v4
	v_mul_lo_u32 v5, s40, v2
	v_mul_lo_u32 v6, s41, v4
	v_mad_u64_u32 v[2:3], s[0:1], s40, v4, 0
	v_add3_u32 v10, v1, s2, 64
	v_ashrrev_i32_e32 v11, 31, v10
	v_add3_u32 v3, v3, v5, v6
	v_lshlrev_b64 v[2:3], 3, v[2:3]
	v_cmp_gt_i32_e32 vcc, s24, v4
	v_mov_b32_e32 v4, s94
	v_add_co_u32_e64 v5, s[0:1], s91, v2
	v_addc_co_u32_e64 v4, s[0:1], v4, v3, s[0:1]
	v_lshlrev_b64 v[2:3], 3, v[10:11]
	v_add_co_u32_e64 v11, s[0:1], v5, v2
	v_addc_co_u32_e64 v12, s[0:1], v4, v3, s[0:1]
	v_cmp_gt_i32_e64 s[0:1], s24, v10
	v_mov_b32_e32 v2, 0
	v_mov_b32_e32 v4, 0
	v_mov_b32_e32 v3, 0
	v_mov_b32_e32 v5, 0
	s_and_b64 s[2:3], s[0:1], vcc
	s_barrier
	s_and_saveexec_b64 s[0:1], s[2:3]
	s_cbranch_execz .LBB32_3
; %bb.2:
	global_load_dwordx2 v[4:5], v[11:12], off
.LBB32_3:
	s_or_b64 exec, exec, s[0:1]
	v_add_u32_e32 v6, 16, v10
	v_cmp_gt_i32_e64 s[0:1], s24, v6
	s_and_b64 s[2:3], s[0:1], vcc
	s_waitcnt vmcnt(0)
	s_barrier
	s_and_saveexec_b64 s[0:1], s[2:3]
	s_cbranch_execz .LBB32_5
; %bb.4:
	global_load_dwordx2 v[2:3], v[11:12], off offset:128
.LBB32_5:
	s_or_b64 exec, exec, s[0:1]
	v_add_u32_e32 v6, 32, v10
	v_cmp_gt_i32_e64 s[0:1], s24, v6
	v_mov_b32_e32 v6, 0
	v_mov_b32_e32 v8, 0
	;; [unrolled: 1-line block ×4, first 2 shown]
	s_and_b64 s[2:3], s[0:1], vcc
	s_waitcnt vmcnt(0)
	s_barrier
	s_and_saveexec_b64 s[0:1], s[2:3]
	s_cbranch_execz .LBB32_7
; %bb.6:
	global_load_dwordx2 v[8:9], v[11:12], off offset:256
.LBB32_7:
	s_or_b64 exec, exec, s[0:1]
	v_add_u32_e32 v10, 48, v10
	v_cmp_gt_i32_e64 s[0:1], s24, v10
	s_and_b64 s[2:3], s[0:1], vcc
	s_waitcnt vmcnt(0)
	s_barrier
	s_and_saveexec_b64 s[0:1], s[2:3]
	s_cbranch_execz .LBB32_9
; %bb.8:
	global_load_dwordx2 v[6:7], v[11:12], off offset:384
.LBB32_9:
	s_or_b64 exec, exec, s[0:1]
	s_branch .LBB32_11
.LBB32_10:
                                        ; implicit-def: $vgpr6_vgpr7
                                        ; implicit-def: $vgpr8_vgpr9
                                        ; implicit-def: $vgpr2_vgpr3
                                        ; implicit-def: $vgpr4_vgpr5
.LBB32_11:
	s_ashr_i32 s25, s24, 31
	s_lshr_b32 s0, s25, 26
	s_add_i32 s0, s24, s0
	s_andn2_b32 s0, s0, 63
	s_sub_i32 s90, s24, s0
	s_add_i32 s0, s24, -1
	s_ashr_i32 s1, s0, 31
	s_lshr_b32 s1, s1, 26
	s_add_i32 s0, s0, s1
	s_ashr_i32 s0, s0, 6
	s_cmp_eq_u32 s0, s33
	s_cselect_b64 s[0:1], -1, 0
	s_cmp_lg_u32 s90, 0
	s_cselect_b64 s[2:3], -1, 0
	s_and_b64 s[26:27], s[2:3], s[0:1]
	s_cmp_lt_i32 s6, 5
	s_cselect_b64 s[2:3], -1, 0
	s_mov_b64 s[12:13], -1
	s_or_b64 s[0:1], s[2:3], s[26:27]
	v_lshlrev_b32_e32 v14, 6, v0
	s_and_b64 vcc, exec, s[26:27]
	v_cmp_le_u32_e64 s[8:9], v0, v1
	s_cbranch_vccnz .LBB32_33
; %bb.12:
	s_add_u32 s10, s40, 1
	s_addc_u32 s11, s41, 0
	s_lshl_b32 s12, s33, 6
	s_ashr_i32 s13, s12, 31
	s_mul_hi_u32 s14, s10, s12
	s_mul_i32 s13, s10, s13
	s_add_i32 s13, s14, s13
	s_mul_i32 s11, s11, s12
	s_add_i32 s11, s13, s11
	s_mul_i32 s10, s10, s12
	s_lshl_b64 s[10:11], s[10:11], 3
	s_add_u32 s10, s91, s10
	s_addc_u32 s11, s94, s11
	v_lshlrev_b32_e32 v10, 3, v0
	v_mov_b32_e32 v11, s11
	v_add_co_u32_e32 v10, vcc, s10, v10
	v_addc_co_u32_e32 v11, vcc, 0, v11, vcc
	s_mov_b64 s[10:11], 0
	s_and_saveexec_b64 s[12:13], s[8:9]
	s_xor_b64 s[8:9], exec, s[12:13]
; %bb.13:
	v_or_b32_e32 v12, v1, v0
	v_cmp_gt_u32_e32 vcc, 64, v12
	s_and_b64 s[10:11], vcc, exec
; %bb.14:
	s_or_saveexec_b64 s[8:9], s[8:9]
	v_mov_b32_e32 v12, 0
	v_mov_b32_e32 v13, 0
	s_xor_b64 exec, exec, s[8:9]
	s_cbranch_execz .LBB32_16
; %bb.15:
	v_mad_u64_u32 v[12:13], s[12:13], s40, v1, 0
	s_or_b64 s[10:11], s[10:11], exec
	v_mad_u64_u32 v[15:16], s[12:13], s41, v1, v[13:14]
	v_mov_b32_e32 v13, v15
	v_lshlrev_b64 v[12:13], 3, v[12:13]
	v_add_co_u32_e32 v12, vcc, v10, v12
	v_addc_co_u32_e32 v13, vcc, v11, v13, vcc
	global_load_dwordx2 v[12:13], v[12:13], off
	s_waitcnt vmcnt(0)
	v_xor_b32_e32 v13, 0x80000000, v13
.LBB32_16:
	s_or_b64 exec, exec, s[8:9]
	s_and_saveexec_b64 s[8:9], s[10:11]
; %bb.17:
	v_add_u32_e32 v15, v1, v14
	v_lshl_add_u32 v16, v1, 6, v0
	v_cndmask_b32_e64 v15, v16, v15, s[2:3]
	v_lshlrev_b32_e32 v15, 3, v15
	ds_write_b64 v15, v[12:13]
; %bb.18:
	s_or_b64 exec, exec, s[8:9]
	v_add_u32_e32 v15, 16, v1
	v_cmp_le_u32_e32 vcc, v0, v15
	s_mov_b64 s[2:3], 0
	s_and_saveexec_b64 s[8:9], vcc
	s_xor_b64 s[8:9], exec, s[8:9]
; %bb.19:
	v_or_b32_e32 v12, v15, v0
	v_cmp_gt_u32_e32 vcc, 64, v12
	s_and_b64 s[2:3], vcc, exec
; %bb.20:
	s_or_saveexec_b64 s[8:9], s[8:9]
	v_mov_b32_e32 v12, 0
	v_mov_b32_e32 v13, 0
	s_xor_b64 exec, exec, s[8:9]
	s_cbranch_execz .LBB32_22
; %bb.21:
	v_mad_u64_u32 v[12:13], s[10:11], s40, v15, 0
	s_or_b64 s[2:3], s[2:3], exec
	v_mad_u64_u32 v[16:17], s[10:11], s41, v15, v[13:14]
	v_mov_b32_e32 v13, v16
	v_lshlrev_b64 v[12:13], 3, v[12:13]
	v_add_co_u32_e32 v12, vcc, v10, v12
	v_addc_co_u32_e32 v13, vcc, v11, v13, vcc
	global_load_dwordx2 v[12:13], v[12:13], off
	s_waitcnt vmcnt(0)
	v_xor_b32_e32 v13, 0x80000000, v13
.LBB32_22:
	s_or_b64 exec, exec, s[8:9]
	s_and_saveexec_b64 s[8:9], s[2:3]
; %bb.23:
	v_add_u32_e32 v16, v15, v14
	v_lshl_add_u32 v15, v15, 6, v0
	v_cndmask_b32_e64 v15, v15, v16, s[0:1]
	v_lshlrev_b32_e32 v15, 3, v15
	ds_write_b64 v15, v[12:13]
; %bb.24:
	s_or_b64 exec, exec, s[8:9]
	v_add_u32_e32 v15, 32, v1
	v_cmp_le_u32_e32 vcc, v0, v15
	s_mov_b64 s[2:3], 0
	s_and_saveexec_b64 s[8:9], vcc
	s_xor_b64 s[8:9], exec, s[8:9]
; %bb.25:
	v_or_b32_e32 v12, v15, v0
	v_cmp_gt_u32_e32 vcc, 64, v12
	s_and_b64 s[2:3], vcc, exec
; %bb.26:
	s_or_saveexec_b64 s[8:9], s[8:9]
	v_mov_b32_e32 v12, 0
	v_mov_b32_e32 v13, 0
	s_xor_b64 exec, exec, s[8:9]
	s_cbranch_execz .LBB32_28
; %bb.27:
	v_mad_u64_u32 v[12:13], s[10:11], s40, v15, 0
	s_or_b64 s[2:3], s[2:3], exec
	v_mad_u64_u32 v[16:17], s[10:11], s41, v15, v[13:14]
	v_mov_b32_e32 v13, v16
	v_lshlrev_b64 v[12:13], 3, v[12:13]
	v_add_co_u32_e32 v12, vcc, v10, v12
	v_addc_co_u32_e32 v13, vcc, v11, v13, vcc
	global_load_dwordx2 v[12:13], v[12:13], off
	s_waitcnt vmcnt(0)
	v_xor_b32_e32 v13, 0x80000000, v13
.LBB32_28:
	s_or_b64 exec, exec, s[8:9]
	s_and_saveexec_b64 s[8:9], s[2:3]
; %bb.29:
	v_add_u32_e32 v16, v15, v14
	v_lshl_add_u32 v15, v15, 6, v0
	v_cndmask_b32_e64 v15, v15, v16, s[0:1]
	v_lshlrev_b32_e32 v15, 3, v15
	ds_write_b64 v15, v[12:13]
; %bb.30:
	s_or_b64 exec, exec, s[8:9]
	v_add_u32_e32 v15, 48, v1
	v_add_u32_e32 v12, v15, v14
	v_lshl_add_u32 v13, v15, 6, v0
	v_cmp_le_u32_e32 vcc, v0, v15
	s_mov_b64 s[2:3], -1
	s_mov_b64 s[12:13], 0
	s_mov_b64 s[10:11], 0
	s_and_saveexec_b64 s[8:9], vcc
	s_xor_b64 s[8:9], exec, s[8:9]
; %bb.31:
	v_or_b32_e32 v16, v15, v0
	v_cmp_gt_u32_e32 vcc, 64, v16
	s_and_b64 s[10:11], vcc, exec
	s_xor_b64 s[2:3], exec, -1
; %bb.32:
	s_or_b64 exec, exec, s[8:9]
	v_cndmask_b32_e64 v16, v13, v12, s[0:1]
	s_and_b64 vcc, exec, s[12:13]
	s_cbranch_vccnz .LBB32_34
	s_branch .LBB32_55
.LBB32_33:
	s_mov_b64 s[2:3], 0
	s_mov_b64 s[10:11], 0
                                        ; implicit-def: $vgpr16
                                        ; implicit-def: $vgpr10_vgpr11
                                        ; implicit-def: $vgpr15
	s_and_b64 vcc, exec, s[12:13]
	s_cbranch_vccz .LBB32_55
.LBB32_34:
	s_add_u32 s2, s40, 1
	s_addc_u32 s3, s41, 0
	s_lshl_b32 s8, s33, 6
	s_ashr_i32 s9, s8, 31
	s_mul_hi_u32 s12, s2, s8
	s_mul_i32 s9, s2, s9
	s_add_i32 s9, s12, s9
	s_mul_i32 s3, s3, s8
	s_add_i32 s3, s9, s3
	s_mul_i32 s2, s2, s8
	s_lshl_b64 s[2:3], s[2:3], 3
	s_add_u32 s2, s91, s2
	s_addc_u32 s3, s94, s3
	v_lshlrev_b32_e32 v10, 3, v0
	v_mov_b32_e32 v11, s3
	v_add_co_u32_e64 v10, s[2:3], s2, v10
	v_addc_co_u32_e64 v11, s[2:3], 0, v11, s[2:3]
	v_max_i32_e32 v12, v1, v0
	v_cmp_le_u32_e64 s[2:3], v0, v1
	v_cmp_le_i32_e64 s[8:9], s90, v12
	v_cmp_gt_i32_e32 vcc, s90, v0
	s_or_b64 s[2:3], s[8:9], s[2:3]
	s_mov_b64 s[8:9], 0
	s_and_saveexec_b64 s[12:13], s[2:3]
	s_xor_b64 s[12:13], exec, s[12:13]
; %bb.35:
	v_or_b32_e32 v12, v1, v0
	v_cmp_gt_u32_e64 s[2:3], 64, v12
	s_and_b64 s[8:9], s[2:3], exec
; %bb.36:
	s_or_saveexec_b64 s[12:13], s[12:13]
	v_mov_b32_e32 v12, 0
	v_mov_b32_e32 v13, 0
	s_xor_b64 exec, exec, s[12:13]
	s_cbranch_execz .LBB32_38
; %bb.37:
	v_mad_u64_u32 v[12:13], s[2:3], s40, v1, 0
	s_or_b64 s[8:9], s[8:9], exec
	v_mad_u64_u32 v[15:16], s[2:3], s41, v1, v[13:14]
	v_mov_b32_e32 v13, v15
	v_lshlrev_b64 v[12:13], 3, v[12:13]
	v_add_co_u32_e64 v12, s[2:3], v10, v12
	v_addc_co_u32_e64 v13, s[2:3], v11, v13, s[2:3]
	global_load_dwordx2 v[12:13], v[12:13], off
	s_waitcnt vmcnt(0)
	v_xor_b32_e32 v13, 0x80000000, v13
.LBB32_38:
	s_or_b64 exec, exec, s[12:13]
	s_and_saveexec_b64 s[2:3], s[8:9]
; %bb.39:
	v_lshlrev_b32_e32 v15, 3, v14
	v_lshl_add_u32 v15, v1, 3, v15
	ds_write_b64 v15, v[12:13]
; %bb.40:
	s_or_b64 exec, exec, s[2:3]
	v_add_u32_e32 v15, 16, v1
	v_cmp_gt_u32_e64 s[2:3], v0, v15
	v_cmp_gt_i32_e64 s[8:9], s90, v15
	s_and_b64 s[2:3], s[2:3], s[8:9]
	s_and_b64 s[2:3], s[2:3], vcc
	s_xor_b64 s[2:3], s[2:3], -1
	s_mov_b64 s[8:9], 0
	s_and_saveexec_b64 s[12:13], s[2:3]
	s_xor_b64 s[12:13], exec, s[12:13]
; %bb.41:
	v_or_b32_e32 v12, v15, v0
	v_cmp_gt_u32_e64 s[2:3], 64, v12
	s_and_b64 s[8:9], s[2:3], exec
; %bb.42:
	s_or_saveexec_b64 s[12:13], s[12:13]
	v_mov_b32_e32 v12, 0
	v_mov_b32_e32 v13, 0
	s_xor_b64 exec, exec, s[12:13]
	s_cbranch_execz .LBB32_44
; %bb.43:
	v_mad_u64_u32 v[12:13], s[2:3], s40, v15, 0
	s_or_b64 s[8:9], s[8:9], exec
	v_mad_u64_u32 v[16:17], s[2:3], s41, v15, v[13:14]
	v_mov_b32_e32 v13, v16
	v_lshlrev_b64 v[12:13], 3, v[12:13]
	v_add_co_u32_e64 v12, s[2:3], v10, v12
	v_addc_co_u32_e64 v13, s[2:3], v11, v13, s[2:3]
	global_load_dwordx2 v[12:13], v[12:13], off
	s_waitcnt vmcnt(0)
	v_xor_b32_e32 v13, 0x80000000, v13
.LBB32_44:
	s_or_b64 exec, exec, s[12:13]
	s_and_saveexec_b64 s[2:3], s[8:9]
; %bb.45:
	v_add_u32_e32 v16, v15, v14
	v_lshl_add_u32 v15, v15, 6, v0
	v_cndmask_b32_e64 v15, v15, v16, s[0:1]
	v_lshlrev_b32_e32 v15, 3, v15
	ds_write_b64 v15, v[12:13]
; %bb.46:
	s_or_b64 exec, exec, s[2:3]
	v_add_u32_e32 v15, 32, v1
	v_cmp_gt_u32_e64 s[2:3], v0, v15
	v_cmp_gt_i32_e64 s[8:9], s90, v15
	s_and_b64 s[2:3], s[2:3], s[8:9]
	s_and_b64 s[2:3], s[2:3], vcc
	s_xor_b64 s[2:3], s[2:3], -1
	s_mov_b64 s[8:9], 0
	s_and_saveexec_b64 s[12:13], s[2:3]
	s_xor_b64 s[12:13], exec, s[12:13]
; %bb.47:
	v_or_b32_e32 v12, v15, v0
	v_cmp_gt_u32_e64 s[2:3], 64, v12
	s_and_b64 s[8:9], s[2:3], exec
; %bb.48:
	s_or_saveexec_b64 s[12:13], s[12:13]
	v_mov_b32_e32 v12, 0
	v_mov_b32_e32 v13, 0
	s_xor_b64 exec, exec, s[12:13]
	s_cbranch_execz .LBB32_50
; %bb.49:
	v_mad_u64_u32 v[12:13], s[2:3], s40, v15, 0
	s_or_b64 s[8:9], s[8:9], exec
	v_mad_u64_u32 v[16:17], s[2:3], s41, v15, v[13:14]
	v_mov_b32_e32 v13, v16
	v_lshlrev_b64 v[12:13], 3, v[12:13]
	v_add_co_u32_e64 v12, s[2:3], v10, v12
	v_addc_co_u32_e64 v13, s[2:3], v11, v13, s[2:3]
	global_load_dwordx2 v[12:13], v[12:13], off
	s_waitcnt vmcnt(0)
	v_xor_b32_e32 v13, 0x80000000, v13
.LBB32_50:
	s_or_b64 exec, exec, s[12:13]
	s_and_saveexec_b64 s[2:3], s[8:9]
; %bb.51:
	v_add_u32_e32 v16, v15, v14
	v_lshl_add_u32 v15, v15, 6, v0
	v_cndmask_b32_e64 v15, v15, v16, s[0:1]
	v_lshlrev_b32_e32 v15, 3, v15
	ds_write_b64 v15, v[12:13]
; %bb.52:
	s_or_b64 exec, exec, s[2:3]
	v_add_u32_e32 v15, 48, v1
	v_cmp_gt_u32_e64 s[2:3], v0, v15
	v_cmp_gt_i32_e64 s[8:9], s90, v15
	s_and_b64 s[2:3], s[2:3], s[8:9]
	s_and_b64 s[8:9], s[2:3], vcc
	v_add_u32_e32 v12, v15, v14
	v_lshl_add_u32 v13, v15, 6, v0
	s_mov_b64 s[2:3], -1
	s_xor_b64 s[12:13], s[8:9], -1
	s_and_saveexec_b64 s[8:9], s[12:13]
; %bb.53:
	v_or_b32_e32 v14, v15, v0
	v_cmp_gt_u32_e32 vcc, 64, v14
	s_andn2_b64 s[2:3], s[10:11], exec
	s_and_b64 s[10:11], vcc, exec
	s_or_b64 s[10:11], s[2:3], s[10:11]
	s_xor_b64 s[2:3], exec, -1
; %bb.54:
	s_or_b64 exec, exec, s[8:9]
	v_cndmask_b32_e64 v16, v13, v12, s[0:1]
.LBB32_55:
	v_mov_b32_e32 v12, 0
	v_mov_b32_e32 v13, 0
	s_and_saveexec_b64 s[8:9], s[2:3]
	s_cbranch_execnz .LBB32_1139
; %bb.56:
	s_or_b64 exec, exec, s[8:9]
	s_xor_b64 s[0:1], s[0:1], -1
	s_and_saveexec_b64 s[2:3], s[10:11]
.LBB32_57:
	v_lshlrev_b32_e32 v10, 3, v16
	ds_write_b64 v10, v[12:13]
.LBB32_58:
	s_or_b64 exec, exec, s[2:3]
	v_cndmask_b32_e64 v10, 0, 1, s[0:1]
	v_cmp_ne_u32_e64 s[42:43], 1, v10
	s_andn2_b64 vcc, exec, s[0:1]
	s_waitcnt vmcnt(0) lgkmcnt(0)
	s_barrier
	s_cbranch_vccnz .LBB32_1096
; %bb.59:
	v_or_b32_e32 v10, v0, v1
	v_cmp_eq_u32_e32 vcc, 0, v10
	s_and_saveexec_b64 s[0:1], vcc
	s_cbranch_execz .LBB32_61
; %bb.60:
	v_mov_b32_e32 v12, 0
	ds_read_b64 v[10:11], v12 offset:8
	v_mov_b32_e32 v13, 0x3ff00000
	ds_write_b64 v12, v[12:13]
	s_waitcnt lgkmcnt(1)
	ds_write_b128 v12, v[10:13] offset:512
.LBB32_61:
	s_or_b64 exec, exec, s[0:1]
	v_lshl_add_u32 v14, v1, 6, v0
	v_and_b32_e32 v16, 1, v0
	v_lshrrev_b32_e32 v15, 1, v14
	v_lshlrev_b32_e32 v12, 3, v16
	v_mov_b32_e32 v10, 0
	v_cmp_lt_u32_e64 s[8:9], 3, v14
	v_cmp_gt_u32_e64 s[2:3], 4, v14
	v_mov_b32_e32 v11, 0
	v_lshl_or_b32 v12, v15, 9, v12
	s_waitcnt lgkmcnt(0)
	s_barrier
	s_and_saveexec_b64 s[0:1], s[2:3]
	s_cbranch_execz .LBB32_65
; %bb.62:
	v_mul_u32_u24_e32 v13, 0x208, v15
	ds_read_b64 v[10:11], v12 offset:16
	ds_read_b64 v[17:18], v13
	v_cmp_gt_u32_e64 s[10:11], 2, v14
	s_waitcnt lgkmcnt(0)
	v_fma_f64 v[10:11], v[10:11], v[17:18], 0
	s_and_saveexec_b64 s[12:13], s[10:11]
	s_cbranch_execz .LBB32_64
; %bb.63:
	v_lshlrev_b32_e32 v13, 3, v0
	v_mov_b32_e32 v19, 0
	ds_read_b64 v[17:18], v13 offset:528
	ds_read_b64 v[19:20], v19 offset:8
	s_waitcnt lgkmcnt(0)
	v_fma_f64 v[10:11], v[17:18], v[19:20], v[10:11]
.LBB32_64:
	s_or_b64 exec, exec, s[12:13]
	v_xor_b32_e32 v11, 0x80000000, v11
.LBB32_65:
                                        ; implicit-def: $vgpr40 : SGPR spill to VGPR lane
	v_writelane_b32 v40, s18, 0
	v_writelane_b32 v40, s19, 1
	s_or_b64 exec, exec, s[0:1]
	v_mov_b32_e32 v13, 0x8000
	v_cmp_eq_u32_e64 s[10:11], 0, v16
	s_xor_b64 s[0:1], s[8:9], -1
	v_lshl_add_u32 v13, v15, 3, v13
	s_and_b64 s[34:35], s[10:11], s[0:1]
	s_and_saveexec_b64 s[8:9], s[34:35]
; %bb.66:
	ds_write_b64 v13, v[10:11]
; %bb.67:
	s_or_b64 exec, exec, s[8:9]
	v_cmp_ne_u32_e64 s[8:9], 0, v16
	s_and_b64 s[30:31], s[8:9], s[0:1]
	s_waitcnt lgkmcnt(0)
	s_barrier
	s_and_saveexec_b64 s[0:1], s[30:31]
	s_cbranch_execz .LBB32_69
; %bb.68:
	v_mov_b32_e32 v16, 0
	ds_read_b64 v[16:17], v16 offset:1048
	ds_read_b64 v[18:19], v13
	s_waitcnt lgkmcnt(0)
	v_fma_f64 v[10:11], v[16:17], v[18:19], v[10:11]
.LBB32_69:
	s_or_b64 exec, exec, s[0:1]
	s_barrier
	s_and_saveexec_b64 s[0:1], s[30:31]
; %bb.70:
	ds_write_b64 v13, v[10:11]
; %bb.71:
	s_or_b64 exec, exec, s[0:1]
	s_waitcnt lgkmcnt(0)
	s_barrier
	s_barrier
	s_and_saveexec_b64 s[0:1], s[2:3]
; %bb.72:
	v_xor_b32_e32 v11, 0x80000000, v11
	ds_write_b64 v12, v[10:11] offset:16
; %bb.73:
	s_or_b64 exec, exec, s[0:1]
	v_cmp_eq_u32_e64 s[12:13], 0, v1
	v_cmp_gt_u32_e64 s[8:9], 2, v0
	s_and_b64 s[36:37], s[12:13], s[8:9]
	s_waitcnt lgkmcnt(0)
	s_barrier
	s_barrier
	s_and_saveexec_b64 s[0:1], s[36:37]
	s_cbranch_execz .LBB32_75
; %bb.74:
	v_lshlrev_b32_e32 v16, 3, v0
	s_movk_i32 s8, 0x1f8
	v_mad_u32_u24 v17, v0, s8, v16
	ds_read_b64 v[10:11], v17 offset:16
	s_waitcnt lgkmcnt(0)
	ds_write_b64 v16, v[10:11] offset:1024
	ds_read_b64 v[10:11], v17 offset:24
	s_waitcnt lgkmcnt(0)
	ds_write_b64 v16, v[10:11] offset:1536
.LBB32_75:
	s_or_b64 exec, exec, s[0:1]
	s_waitcnt lgkmcnt(0)
	s_barrier
	s_and_saveexec_b64 s[0:1], vcc
	s_cbranch_execz .LBB32_77
; %bb.76:
	v_mov_b32_e32 v18, 0
	ds_read_b64 v[16:17], v18 offset:1048
	v_mov_b32_e32 v19, 0x3ff00000
	ds_write_b64 v18, v[18:19] offset:1040
	s_waitcnt lgkmcnt(1)
	ds_write_b128 v18, v[16:19] offset:1552
.LBB32_77:
	s_or_b64 exec, exec, s[0:1]
	v_and_b32_e32 v19, 3, v0
	v_lshrrev_b32_e32 v20, 2, v14
	v_lshlrev_b32_e32 v17, 3, v19
	v_mov_b32_e32 v10, 0
	v_cmp_lt_u32_e64 s[8:9], 15, v14
	v_cmp_gt_u32_e64 s[18:19], 16, v14
	v_mov_b32_e32 v11, 0
	v_lshl_or_b32 v16, v20, 9, v17
	s_waitcnt lgkmcnt(0)
	s_barrier
	s_and_saveexec_b64 s[0:1], s[18:19]
	s_cbranch_execz .LBB32_83
; %bb.78:
	v_mul_u32_u24_e32 v18, 0x208, v20
	ds_read_b64 v[10:11], v16 offset:32
	ds_read_b64 v[21:22], v18
	v_cmp_gt_u32_e64 s[10:11], 12, v14
	s_waitcnt lgkmcnt(0)
	v_fma_f64 v[10:11], v[10:11], v[21:22], 0
	s_and_saveexec_b64 s[14:15], s[10:11]
	s_cbranch_execnz .LBB32_1170
; %bb.79:
	s_or_b64 exec, exec, s[14:15]
	v_cmp_gt_u32_e64 s[10:11], 8, v14
	s_and_saveexec_b64 s[14:15], s[10:11]
	s_cbranch_execnz .LBB32_1171
.LBB32_80:
	s_or_b64 exec, exec, s[14:15]
	v_cmp_gt_u32_e64 s[10:11], 4, v14
	s_and_saveexec_b64 s[14:15], s[10:11]
	s_cbranch_execz .LBB32_82
.LBB32_81:
	v_lshlrev_b32_e32 v18, 3, v0
	v_mov_b32_e32 v23, 0
	ds_read_b64 v[21:22], v18 offset:1568
	ds_read_b64 v[23:24], v23 offset:24
	s_waitcnt lgkmcnt(0)
	v_fma_f64 v[10:11], v[21:22], v[23:24], v[10:11]
.LBB32_82:
	s_or_b64 exec, exec, s[14:15]
	v_xor_b32_e32 v11, 0x80000000, v11
.LBB32_83:
	v_writelane_b32 v40, s42, 2
	v_writelane_b32 v40, s43, 3
	s_or_b64 exec, exec, s[0:1]
	v_mov_b32_e32 v18, 0x8000
	v_cmp_eq_u32_e64 s[10:11], 0, v19
	s_xor_b64 s[0:1], s[8:9], -1
	v_lshl_add_u32 v18, v20, 3, v18
	s_and_b64 s[42:43], s[10:11], s[0:1]
	s_and_saveexec_b64 s[8:9], s[42:43]
; %bb.84:
	ds_write_b64 v18, v[10:11]
; %bb.85:
	s_or_b64 exec, exec, s[8:9]
	v_cmp_ne_u32_e64 s[8:9], 0, v19
	s_and_b64 s[44:45], s[8:9], s[0:1]
	s_waitcnt lgkmcnt(0)
	s_barrier
	s_and_saveexec_b64 s[8:9], s[44:45]
	s_cbranch_execz .LBB32_87
; %bb.86:
	ds_read_b64 v[21:22], v17 offset:2080
	ds_read_b64 v[23:24], v18
	s_waitcnt lgkmcnt(0)
	v_fma_f64 v[10:11], v[21:22], v[23:24], v[10:11]
.LBB32_87:
	s_or_b64 exec, exec, s[8:9]
	v_cmp_eq_u32_e64 s[8:9], 1, v19
	s_and_b64 s[52:53], s[8:9], s[0:1]
	s_barrier
	s_and_saveexec_b64 s[8:9], s[52:53]
; %bb.88:
	ds_write_b64 v18, v[10:11]
; %bb.89:
	s_or_b64 exec, exec, s[8:9]
	v_cmp_lt_u32_e64 s[8:9], 1, v19
	s_and_b64 s[54:55], s[8:9], s[0:1]
	s_waitcnt lgkmcnt(0)
	s_barrier
	s_and_saveexec_b64 s[8:9], s[54:55]
	s_cbranch_execz .LBB32_91
; %bb.90:
	ds_read_b64 v[21:22], v17 offset:2592
	ds_read_b64 v[23:24], v18
	s_waitcnt lgkmcnt(0)
	v_fma_f64 v[10:11], v[21:22], v[23:24], v[10:11]
.LBB32_91:
	s_or_b64 exec, exec, s[8:9]
	v_cmp_eq_u32_e64 s[8:9], 2, v19
	s_and_b64 s[56:57], s[8:9], s[0:1]
	s_barrier
	s_and_saveexec_b64 s[8:9], s[56:57]
; %bb.92:
	ds_write_b64 v18, v[10:11]
; %bb.93:
	s_or_b64 exec, exec, s[8:9]
	v_cmp_eq_u32_e64 s[8:9], 3, v19
	s_and_b64 s[38:39], s[8:9], s[0:1]
	s_waitcnt lgkmcnt(0)
	s_barrier
	s_and_saveexec_b64 s[0:1], s[38:39]
	s_cbranch_execz .LBB32_95
; %bb.94:
	v_mov_b32_e32 v21, 0
	ds_read_b64 v[21:22], v21 offset:3128
	ds_read_b64 v[23:24], v18
	s_waitcnt lgkmcnt(0)
	v_fma_f64 v[10:11], v[21:22], v[23:24], v[10:11]
.LBB32_95:
	s_or_b64 exec, exec, s[0:1]
	s_barrier
	s_and_saveexec_b64 s[0:1], s[38:39]
; %bb.96:
	ds_write_b64 v18, v[10:11]
; %bb.97:
	s_or_b64 exec, exec, s[0:1]
	s_waitcnt lgkmcnt(0)
	s_barrier
	s_barrier
	s_and_saveexec_b64 s[0:1], s[18:19]
; %bb.98:
	v_xor_b32_e32 v11, 0x80000000, v11
	ds_write_b64 v16, v[10:11] offset:32
; %bb.99:
	s_or_b64 exec, exec, s[0:1]
	v_cmp_gt_u32_e64 s[8:9], 4, v0
	s_and_b64 s[58:59], s[12:13], s[8:9]
	s_waitcnt lgkmcnt(0)
	s_barrier
	s_barrier
	s_and_saveexec_b64 s[0:1], s[58:59]
	s_cbranch_execz .LBB32_101
; %bb.100:
	v_lshlrev_b32_e32 v21, 9, v0
	ds_read_b64 v[10:11], v21 offset:32
	s_movk_i32 s8, 0xfe08
	v_mad_i32_i24 v22, v0, s8, v21
	s_waitcnt lgkmcnt(0)
	ds_write_b64 v22, v[10:11] offset:2048
	ds_read_b64 v[10:11], v21 offset:40
	s_waitcnt lgkmcnt(0)
	ds_write_b64 v22, v[10:11] offset:2560
	ds_read_b64 v[10:11], v21 offset:48
	;; [unrolled: 3-line block ×3, first 2 shown]
	s_waitcnt lgkmcnt(0)
	ds_write_b64 v22, v[10:11] offset:3584
.LBB32_101:
	s_or_b64 exec, exec, s[0:1]
	s_waitcnt lgkmcnt(0)
	s_barrier
	s_and_saveexec_b64 s[0:1], vcc
	s_cbranch_execz .LBB32_103
; %bb.102:
	v_mov_b32_e32 v23, 0
	ds_read_b64 v[21:22], v23 offset:2088
	v_mov_b32_e32 v24, 0x3ff00000
	ds_write_b64 v23, v[23:24] offset:2080
	s_waitcnt lgkmcnt(1)
	ds_write_b128 v23, v[21:24] offset:2592
.LBB32_103:
	s_or_b64 exec, exec, s[0:1]
	v_mov_b32_e32 v10, 0
	v_mov_b32_e32 v11, 0
	s_waitcnt lgkmcnt(0)
	s_barrier
	s_and_saveexec_b64 s[0:1], s[2:3]
	s_cbranch_execz .LBB32_107
; %bb.104:
	v_mul_u32_u24_e32 v21, 0x208, v15
	ds_read_b64 v[10:11], v12 offset:2096
	ds_read_b64 v[21:22], v21 offset:2080
	v_cmp_gt_u32_e64 s[8:9], 2, v14
	s_waitcnt lgkmcnt(0)
	v_fma_f64 v[10:11], v[10:11], v[21:22], 0
	s_and_saveexec_b64 s[10:11], s[8:9]
	s_cbranch_execz .LBB32_106
; %bb.105:
	v_lshlrev_b32_e32 v21, 3, v0
	v_mov_b32_e32 v23, 0
	ds_read_b64 v[21:22], v21 offset:2608
	ds_read_b64 v[23:24], v23 offset:2088
	s_waitcnt lgkmcnt(0)
	v_fma_f64 v[10:11], v[21:22], v[23:24], v[10:11]
.LBB32_106:
	s_or_b64 exec, exec, s[10:11]
	v_xor_b32_e32 v11, 0x80000000, v11
.LBB32_107:
	s_or_b64 exec, exec, s[0:1]
	s_and_saveexec_b64 s[0:1], s[34:35]
; %bb.108:
	ds_write_b64 v13, v[10:11]
; %bb.109:
	s_or_b64 exec, exec, s[0:1]
	s_waitcnt lgkmcnt(0)
	s_barrier
	s_and_saveexec_b64 s[0:1], s[30:31]
	s_cbranch_execz .LBB32_111
; %bb.110:
	v_mov_b32_e32 v21, 0
	ds_read_b64 v[21:22], v21 offset:3128
	ds_read_b64 v[23:24], v13
	s_waitcnt lgkmcnt(0)
	v_fma_f64 v[10:11], v[21:22], v[23:24], v[10:11]
.LBB32_111:
	s_or_b64 exec, exec, s[0:1]
	s_barrier
	s_and_saveexec_b64 s[0:1], s[30:31]
; %bb.112:
	ds_write_b64 v13, v[10:11]
; %bb.113:
	s_or_b64 exec, exec, s[0:1]
	s_waitcnt lgkmcnt(0)
	s_barrier
	s_barrier
	s_and_saveexec_b64 s[0:1], s[2:3]
; %bb.114:
	v_xor_b32_e32 v11, 0x80000000, v11
	ds_write_b64 v12, v[10:11] offset:2096
; %bb.115:
	s_or_b64 exec, exec, s[0:1]
	s_waitcnt lgkmcnt(0)
	s_barrier
	s_barrier
	s_and_saveexec_b64 s[0:1], s[36:37]
	s_cbranch_execz .LBB32_117
; %bb.116:
	v_lshlrev_b32_e32 v21, 3, v0
	s_movk_i32 s8, 0x1f8
	v_mad_u32_u24 v22, v0, s8, v21
	ds_read_b64 v[10:11], v22 offset:2096
	s_waitcnt lgkmcnt(0)
	ds_write_b64 v21, v[10:11] offset:3104
	ds_read_b64 v[10:11], v22 offset:2104
	s_waitcnt lgkmcnt(0)
	ds_write_b64 v21, v[10:11] offset:3616
.LBB32_117:
	s_or_b64 exec, exec, s[0:1]
	s_waitcnt lgkmcnt(0)
	s_barrier
	s_and_saveexec_b64 s[0:1], vcc
	s_cbranch_execz .LBB32_119
; %bb.118:
	v_mov_b32_e32 v23, 0
	ds_read_b64 v[21:22], v23 offset:3128
	v_mov_b32_e32 v24, 0x3ff00000
	ds_write_b64 v23, v[23:24] offset:3120
	s_waitcnt lgkmcnt(1)
	ds_write_b128 v23, v[21:24] offset:3632
.LBB32_119:
	s_or_b64 exec, exec, s[0:1]
	v_and_b32_e32 v24, 7, v0
	v_lshrrev_b32_e32 v25, 3, v14
	v_lshlrev_b32_e32 v22, 3, v24
	v_mov_b32_e32 v10, 0
	v_cmp_lt_u32_e64 s[10:11], 63, v14
	v_cmp_gt_u32_e64 s[8:9], 64, v14
	v_mov_b32_e32 v11, 0
	v_lshl_or_b32 v21, v25, 9, v22
	s_waitcnt lgkmcnt(0)
	s_barrier
	s_and_saveexec_b64 s[0:1], s[8:9]
	s_cbranch_execz .LBB32_129
; %bb.120:
	v_mul_u32_u24_e32 v23, 0x208, v25
	ds_read_b64 v[10:11], v21 offset:64
	ds_read_b64 v[26:27], v23
	v_cmp_gt_u32_e64 s[14:15], 56, v14
	s_waitcnt lgkmcnt(0)
	v_fma_f64 v[10:11], v[10:11], v[26:27], 0
	s_and_saveexec_b64 s[16:17], s[14:15]
	s_cbranch_execnz .LBB32_1172
; %bb.121:
	s_or_b64 exec, exec, s[16:17]
	v_cmp_gt_u32_e64 s[14:15], 48, v14
	s_and_saveexec_b64 s[16:17], s[14:15]
	s_cbranch_execnz .LBB32_1173
.LBB32_122:
	s_or_b64 exec, exec, s[16:17]
	v_cmp_gt_u32_e64 s[14:15], 40, v14
	s_and_saveexec_b64 s[16:17], s[14:15]
	s_cbranch_execnz .LBB32_1174
.LBB32_123:
	s_or_b64 exec, exec, s[16:17]
	v_cmp_gt_u32_e64 s[14:15], 32, v14
	s_and_saveexec_b64 s[16:17], s[14:15]
	s_cbranch_execnz .LBB32_1175
.LBB32_124:
	s_or_b64 exec, exec, s[16:17]
	v_cmp_gt_u32_e64 s[14:15], 24, v14
	s_and_saveexec_b64 s[16:17], s[14:15]
	s_cbranch_execnz .LBB32_1176
.LBB32_125:
	s_or_b64 exec, exec, s[16:17]
	v_cmp_gt_u32_e64 s[14:15], 16, v14
	s_and_saveexec_b64 s[16:17], s[14:15]
	s_cbranch_execnz .LBB32_1177
.LBB32_126:
	s_or_b64 exec, exec, s[16:17]
	v_cmp_gt_u32_e64 s[14:15], 8, v14
	s_and_saveexec_b64 s[16:17], s[14:15]
	s_cbranch_execz .LBB32_128
.LBB32_127:
	v_lshlrev_b32_e32 v23, 3, v0
	v_mov_b32_e32 v28, 0
	ds_read_b64 v[26:27], v23 offset:3648
	ds_read_b64 v[28:29], v28 offset:56
	s_waitcnt lgkmcnt(0)
	v_fma_f64 v[10:11], v[26:27], v[28:29], v[10:11]
.LBB32_128:
	s_or_b64 exec, exec, s[16:17]
	v_xor_b32_e32 v11, 0x80000000, v11
.LBB32_129:
	s_or_b64 exec, exec, s[0:1]
	v_mov_b32_e32 v23, 0x8000
	v_cmp_eq_u32_e64 s[14:15], 0, v24
	s_xor_b64 s[0:1], s[10:11], -1
	v_lshl_add_u32 v23, v25, 3, v23
	s_and_b64 s[60:61], s[14:15], s[0:1]
	s_and_saveexec_b64 s[10:11], s[60:61]
; %bb.130:
	ds_write_b64 v23, v[10:11]
; %bb.131:
	s_or_b64 exec, exec, s[10:11]
	v_cmp_ne_u32_e64 s[10:11], 0, v24
	s_and_b64 s[62:63], s[10:11], s[0:1]
	s_waitcnt lgkmcnt(0)
	s_barrier
	s_and_saveexec_b64 s[10:11], s[62:63]
	s_cbranch_execz .LBB32_133
; %bb.132:
	ds_read_b64 v[26:27], v22 offset:4160
	ds_read_b64 v[28:29], v23
	s_waitcnt lgkmcnt(0)
	v_fma_f64 v[10:11], v[26:27], v[28:29], v[10:11]
.LBB32_133:
	s_or_b64 exec, exec, s[10:11]
	v_cmp_eq_u32_e64 s[10:11], 1, v24
	s_and_b64 s[64:65], s[10:11], s[0:1]
	s_barrier
	s_and_saveexec_b64 s[10:11], s[64:65]
; %bb.134:
	ds_write_b64 v23, v[10:11]
; %bb.135:
	s_or_b64 exec, exec, s[10:11]
	v_cmp_lt_u32_e64 s[10:11], 1, v24
	s_and_b64 s[66:67], s[10:11], s[0:1]
	s_waitcnt lgkmcnt(0)
	s_barrier
	s_and_saveexec_b64 s[10:11], s[66:67]
	s_cbranch_execz .LBB32_137
; %bb.136:
	ds_read_b64 v[26:27], v22 offset:4672
	ds_read_b64 v[28:29], v23
	s_waitcnt lgkmcnt(0)
	v_fma_f64 v[10:11], v[26:27], v[28:29], v[10:11]
.LBB32_137:
	s_or_b64 exec, exec, s[10:11]
	v_cmp_eq_u32_e64 s[10:11], 2, v24
	s_and_b64 s[68:69], s[10:11], s[0:1]
	s_barrier
	s_and_saveexec_b64 s[10:11], s[68:69]
; %bb.138:
	ds_write_b64 v23, v[10:11]
; %bb.139:
	s_or_b64 exec, exec, s[10:11]
	v_cmp_lt_u32_e64 s[10:11], 2, v24
	;; [unrolled: 21-line block ×5, first 2 shown]
	s_and_b64 s[84:85], s[10:11], s[0:1]
	s_waitcnt lgkmcnt(0)
	s_barrier
	s_and_saveexec_b64 s[10:11], s[84:85]
	s_cbranch_execz .LBB32_153
; %bb.152:
	ds_read_b64 v[26:27], v22 offset:6720
	ds_read_b64 v[28:29], v23
	s_waitcnt lgkmcnt(0)
	v_fma_f64 v[10:11], v[26:27], v[28:29], v[10:11]
.LBB32_153:
	s_or_b64 exec, exec, s[10:11]
	v_cmp_eq_u32_e64 s[10:11], 6, v24
	s_and_b64 s[86:87], s[10:11], s[0:1]
	s_barrier
	s_and_saveexec_b64 s[10:11], s[86:87]
; %bb.154:
	ds_write_b64 v23, v[10:11]
; %bb.155:
	s_or_b64 exec, exec, s[10:11]
	v_cmp_eq_u32_e64 s[10:11], 7, v24
	s_and_b64 s[70:71], s[10:11], s[0:1]
	s_waitcnt lgkmcnt(0)
	s_barrier
	s_and_saveexec_b64 s[0:1], s[70:71]
	s_cbranch_execz .LBB32_157
; %bb.156:
	v_mov_b32_e32 v26, 0
	ds_read_b64 v[26:27], v26 offset:7288
	ds_read_b64 v[28:29], v23
	s_waitcnt lgkmcnt(0)
	v_fma_f64 v[10:11], v[26:27], v[28:29], v[10:11]
.LBB32_157:
	s_or_b64 exec, exec, s[0:1]
	s_barrier
	s_and_saveexec_b64 s[0:1], s[70:71]
; %bb.158:
	ds_write_b64 v23, v[10:11]
; %bb.159:
	s_or_b64 exec, exec, s[0:1]
	s_waitcnt lgkmcnt(0)
	s_barrier
	s_barrier
	s_and_saveexec_b64 s[0:1], s[8:9]
; %bb.160:
	v_xor_b32_e32 v11, 0x80000000, v11
	ds_write_b64 v21, v[10:11] offset:64
; %bb.161:
	s_or_b64 exec, exec, s[0:1]
	v_cmp_gt_u32_e64 s[10:11], 8, v0
	s_and_b64 s[88:89], s[12:13], s[10:11]
	s_waitcnt lgkmcnt(0)
	s_barrier
	s_barrier
	s_and_saveexec_b64 s[0:1], s[88:89]
	s_cbranch_execz .LBB32_163
; %bb.162:
	v_lshlrev_b32_e32 v26, 9, v0
	ds_read_b64 v[10:11], v26 offset:64
	s_movk_i32 s10, 0xfe08
	v_mad_i32_i24 v27, v0, s10, v26
	s_waitcnt lgkmcnt(0)
	ds_write_b64 v27, v[10:11] offset:4096
	ds_read_b64 v[10:11], v26 offset:72
	s_waitcnt lgkmcnt(0)
	ds_write_b64 v27, v[10:11] offset:4608
	ds_read_b64 v[10:11], v26 offset:80
	;; [unrolled: 3-line block ×7, first 2 shown]
	s_waitcnt lgkmcnt(0)
	ds_write_b64 v27, v[10:11] offset:7680
.LBB32_163:
	s_or_b64 exec, exec, s[0:1]
	s_waitcnt lgkmcnt(0)
	s_barrier
	s_and_saveexec_b64 s[0:1], vcc
	s_cbranch_execz .LBB32_165
; %bb.164:
	v_mov_b32_e32 v28, 0
	ds_read_b64 v[26:27], v28 offset:4168
	v_mov_b32_e32 v29, 0x3ff00000
	ds_write_b64 v28, v[28:29] offset:4160
	s_waitcnt lgkmcnt(1)
	ds_write_b128 v28, v[26:29] offset:4672
.LBB32_165:
	s_or_b64 exec, exec, s[0:1]
	v_mov_b32_e32 v10, 0
	v_mov_b32_e32 v11, 0
	s_waitcnt lgkmcnt(0)
	s_barrier
	s_and_saveexec_b64 s[0:1], s[2:3]
	s_cbranch_execz .LBB32_169
; %bb.166:
	v_mul_u32_u24_e32 v26, 0x208, v15
	ds_read_b64 v[10:11], v12 offset:4176
	ds_read_b64 v[26:27], v26 offset:4160
	v_cmp_gt_u32_e64 s[10:11], 2, v14
	s_waitcnt lgkmcnt(0)
	v_fma_f64 v[10:11], v[10:11], v[26:27], 0
	s_and_saveexec_b64 s[14:15], s[10:11]
	s_cbranch_execz .LBB32_168
; %bb.167:
	v_lshlrev_b32_e32 v26, 3, v0
	v_mov_b32_e32 v28, 0
	ds_read_b64 v[26:27], v26 offset:4688
	ds_read_b64 v[28:29], v28 offset:4168
	s_waitcnt lgkmcnt(0)
	v_fma_f64 v[10:11], v[26:27], v[28:29], v[10:11]
.LBB32_168:
	s_or_b64 exec, exec, s[14:15]
	v_xor_b32_e32 v11, 0x80000000, v11
.LBB32_169:
	s_or_b64 exec, exec, s[0:1]
	s_and_saveexec_b64 s[0:1], s[34:35]
; %bb.170:
	ds_write_b64 v13, v[10:11]
; %bb.171:
	s_or_b64 exec, exec, s[0:1]
	s_waitcnt lgkmcnt(0)
	s_barrier
	s_and_saveexec_b64 s[0:1], s[30:31]
	s_cbranch_execz .LBB32_173
; %bb.172:
	v_mov_b32_e32 v26, 0
	ds_read_b64 v[26:27], v26 offset:5208
	ds_read_b64 v[28:29], v13
	s_waitcnt lgkmcnt(0)
	v_fma_f64 v[10:11], v[26:27], v[28:29], v[10:11]
.LBB32_173:
	s_or_b64 exec, exec, s[0:1]
	s_barrier
	s_and_saveexec_b64 s[0:1], s[30:31]
; %bb.174:
	ds_write_b64 v13, v[10:11]
; %bb.175:
	s_or_b64 exec, exec, s[0:1]
	s_waitcnt lgkmcnt(0)
	s_barrier
	s_barrier
	s_and_saveexec_b64 s[0:1], s[2:3]
; %bb.176:
	v_xor_b32_e32 v11, 0x80000000, v11
	ds_write_b64 v12, v[10:11] offset:4176
; %bb.177:
	s_or_b64 exec, exec, s[0:1]
	s_waitcnt lgkmcnt(0)
	s_barrier
	s_barrier
	s_and_saveexec_b64 s[0:1], s[36:37]
	s_cbranch_execz .LBB32_179
; %bb.178:
	v_lshlrev_b32_e32 v26, 3, v0
	s_movk_i32 s10, 0x1f8
	v_mad_u32_u24 v27, v0, s10, v26
	ds_read_b64 v[10:11], v27 offset:4176
	s_waitcnt lgkmcnt(0)
	ds_write_b64 v26, v[10:11] offset:5184
	ds_read_b64 v[10:11], v27 offset:4184
	s_waitcnt lgkmcnt(0)
	ds_write_b64 v26, v[10:11] offset:5696
.LBB32_179:
	s_or_b64 exec, exec, s[0:1]
	s_waitcnt lgkmcnt(0)
	s_barrier
	s_and_saveexec_b64 s[0:1], vcc
	s_cbranch_execz .LBB32_181
; %bb.180:
	v_mov_b32_e32 v28, 0
	ds_read_b64 v[26:27], v28 offset:5208
	v_mov_b32_e32 v29, 0x3ff00000
	ds_write_b64 v28, v[28:29] offset:5200
	s_waitcnt lgkmcnt(1)
	ds_write_b128 v28, v[26:29] offset:5712
.LBB32_181:
	s_or_b64 exec, exec, s[0:1]
	v_mov_b32_e32 v10, 0
	v_mov_b32_e32 v11, 0
	s_waitcnt lgkmcnt(0)
	s_barrier
	s_and_saveexec_b64 s[0:1], s[18:19]
	s_cbranch_execz .LBB32_187
; %bb.182:
	v_mul_u32_u24_e32 v26, 0x208, v20
	ds_read_b64 v[10:11], v16 offset:4192
	ds_read_b64 v[27:28], v26 offset:4160
	v_cmp_gt_u32_e64 s[10:11], 12, v14
	s_waitcnt lgkmcnt(0)
	v_fma_f64 v[10:11], v[10:11], v[27:28], 0
	s_and_saveexec_b64 s[14:15], s[10:11]
	s_cbranch_execnz .LBB32_1178
; %bb.183:
	s_or_b64 exec, exec, s[14:15]
	v_cmp_gt_u32_e64 s[10:11], 8, v14
	s_and_saveexec_b64 s[14:15], s[10:11]
	s_cbranch_execnz .LBB32_1179
.LBB32_184:
	s_or_b64 exec, exec, s[14:15]
	v_cmp_gt_u32_e64 s[10:11], 4, v14
	s_and_saveexec_b64 s[14:15], s[10:11]
	s_cbranch_execz .LBB32_186
.LBB32_185:
	v_lshlrev_b32_e32 v26, 3, v0
	v_mov_b32_e32 v28, 0
	ds_read_b64 v[26:27], v26 offset:5728
	ds_read_b64 v[28:29], v28 offset:4184
	s_waitcnt lgkmcnt(0)
	v_fma_f64 v[10:11], v[26:27], v[28:29], v[10:11]
.LBB32_186:
	s_or_b64 exec, exec, s[14:15]
	v_xor_b32_e32 v11, 0x80000000, v11
.LBB32_187:
	s_or_b64 exec, exec, s[0:1]
	s_and_saveexec_b64 s[0:1], s[42:43]
; %bb.188:
	ds_write_b64 v18, v[10:11]
; %bb.189:
	s_or_b64 exec, exec, s[0:1]
	s_waitcnt lgkmcnt(0)
	s_barrier
	s_and_saveexec_b64 s[0:1], s[44:45]
	s_cbranch_execz .LBB32_191
; %bb.190:
	ds_read_b64 v[26:27], v17 offset:6240
	ds_read_b64 v[28:29], v18
	s_waitcnt lgkmcnt(0)
	v_fma_f64 v[10:11], v[26:27], v[28:29], v[10:11]
.LBB32_191:
	s_or_b64 exec, exec, s[0:1]
	s_barrier
	s_and_saveexec_b64 s[0:1], s[52:53]
; %bb.192:
	ds_write_b64 v18, v[10:11]
; %bb.193:
	s_or_b64 exec, exec, s[0:1]
	s_waitcnt lgkmcnt(0)
	s_barrier
	s_and_saveexec_b64 s[0:1], s[54:55]
	s_cbranch_execz .LBB32_195
; %bb.194:
	ds_read_b64 v[26:27], v17 offset:6752
	ds_read_b64 v[28:29], v18
	s_waitcnt lgkmcnt(0)
	v_fma_f64 v[10:11], v[26:27], v[28:29], v[10:11]
.LBB32_195:
	s_or_b64 exec, exec, s[0:1]
	s_barrier
	s_and_saveexec_b64 s[0:1], s[56:57]
; %bb.196:
	ds_write_b64 v18, v[10:11]
; %bb.197:
	s_or_b64 exec, exec, s[0:1]
	s_waitcnt lgkmcnt(0)
	s_barrier
	s_and_saveexec_b64 s[0:1], s[38:39]
	s_cbranch_execz .LBB32_199
; %bb.198:
	v_mov_b32_e32 v26, 0
	ds_read_b64 v[26:27], v26 offset:7288
	ds_read_b64 v[28:29], v18
	s_waitcnt lgkmcnt(0)
	v_fma_f64 v[10:11], v[26:27], v[28:29], v[10:11]
.LBB32_199:
	s_or_b64 exec, exec, s[0:1]
	s_barrier
	s_and_saveexec_b64 s[0:1], s[38:39]
; %bb.200:
	ds_write_b64 v18, v[10:11]
; %bb.201:
	s_or_b64 exec, exec, s[0:1]
	s_waitcnt lgkmcnt(0)
	s_barrier
	s_barrier
	s_and_saveexec_b64 s[0:1], s[18:19]
; %bb.202:
	v_xor_b32_e32 v11, 0x80000000, v11
	ds_write_b64 v16, v[10:11] offset:4192
; %bb.203:
	s_or_b64 exec, exec, s[0:1]
	s_waitcnt lgkmcnt(0)
	s_barrier
	s_barrier
	s_and_saveexec_b64 s[0:1], s[58:59]
	s_cbranch_execz .LBB32_205
; %bb.204:
	v_lshlrev_b32_e32 v26, 9, v0
	ds_read_b64 v[10:11], v26 offset:4192
	s_movk_i32 s10, 0xfe08
	v_mad_i32_i24 v27, v0, s10, v26
	s_waitcnt lgkmcnt(0)
	ds_write_b64 v27, v[10:11] offset:6208
	ds_read_b64 v[10:11], v26 offset:4200
	s_waitcnt lgkmcnt(0)
	ds_write_b64 v27, v[10:11] offset:6720
	ds_read_b64 v[10:11], v26 offset:4208
	;; [unrolled: 3-line block ×3, first 2 shown]
	s_waitcnt lgkmcnt(0)
	ds_write_b64 v27, v[10:11] offset:7744
.LBB32_205:
	s_or_b64 exec, exec, s[0:1]
	s_waitcnt lgkmcnt(0)
	s_barrier
	s_and_saveexec_b64 s[0:1], vcc
	s_cbranch_execz .LBB32_207
; %bb.206:
	v_mov_b32_e32 v28, 0
	ds_read_b64 v[26:27], v28 offset:6248
	v_mov_b32_e32 v29, 0x3ff00000
	ds_write_b64 v28, v[28:29] offset:6240
	s_waitcnt lgkmcnt(1)
	ds_write_b128 v28, v[26:29] offset:6752
.LBB32_207:
	s_or_b64 exec, exec, s[0:1]
	v_mov_b32_e32 v10, 0
	v_mov_b32_e32 v11, 0
	s_waitcnt lgkmcnt(0)
	s_barrier
	s_and_saveexec_b64 s[0:1], s[2:3]
	s_cbranch_execz .LBB32_211
; %bb.208:
	v_mul_u32_u24_e32 v26, 0x208, v15
	ds_read_b64 v[10:11], v12 offset:6256
	ds_read_b64 v[26:27], v26 offset:6240
	v_cmp_gt_u32_e64 s[10:11], 2, v14
	s_waitcnt lgkmcnt(0)
	v_fma_f64 v[10:11], v[10:11], v[26:27], 0
	s_and_saveexec_b64 s[14:15], s[10:11]
	s_cbranch_execz .LBB32_210
; %bb.209:
	v_lshlrev_b32_e32 v26, 3, v0
	v_mov_b32_e32 v28, 0
	ds_read_b64 v[26:27], v26 offset:6768
	ds_read_b64 v[28:29], v28 offset:6248
	s_waitcnt lgkmcnt(0)
	v_fma_f64 v[10:11], v[26:27], v[28:29], v[10:11]
.LBB32_210:
	s_or_b64 exec, exec, s[14:15]
	v_xor_b32_e32 v11, 0x80000000, v11
.LBB32_211:
	s_or_b64 exec, exec, s[0:1]
	s_and_saveexec_b64 s[0:1], s[34:35]
; %bb.212:
	ds_write_b64 v13, v[10:11]
; %bb.213:
	s_or_b64 exec, exec, s[0:1]
	s_waitcnt lgkmcnt(0)
	s_barrier
	s_and_saveexec_b64 s[0:1], s[30:31]
	s_cbranch_execz .LBB32_215
; %bb.214:
	v_mov_b32_e32 v26, 0
	ds_read_b64 v[26:27], v26 offset:7288
	ds_read_b64 v[28:29], v13
	s_waitcnt lgkmcnt(0)
	v_fma_f64 v[10:11], v[26:27], v[28:29], v[10:11]
.LBB32_215:
	s_or_b64 exec, exec, s[0:1]
	s_barrier
	s_and_saveexec_b64 s[0:1], s[30:31]
; %bb.216:
	ds_write_b64 v13, v[10:11]
; %bb.217:
	s_or_b64 exec, exec, s[0:1]
	s_waitcnt lgkmcnt(0)
	s_barrier
	s_barrier
	s_and_saveexec_b64 s[0:1], s[2:3]
; %bb.218:
	v_xor_b32_e32 v11, 0x80000000, v11
	ds_write_b64 v12, v[10:11] offset:6256
; %bb.219:
	s_or_b64 exec, exec, s[0:1]
	s_waitcnt lgkmcnt(0)
	s_barrier
	s_barrier
	s_and_saveexec_b64 s[0:1], s[36:37]
	s_cbranch_execz .LBB32_221
; %bb.220:
	v_lshlrev_b32_e32 v26, 3, v0
	s_movk_i32 s10, 0x1f8
	v_mad_u32_u24 v27, v0, s10, v26
	ds_read_b64 v[10:11], v27 offset:6256
	s_waitcnt lgkmcnt(0)
	ds_write_b64 v26, v[10:11] offset:7264
	ds_read_b64 v[10:11], v27 offset:6264
	s_waitcnt lgkmcnt(0)
	ds_write_b64 v26, v[10:11] offset:7776
.LBB32_221:
	s_or_b64 exec, exec, s[0:1]
	s_waitcnt lgkmcnt(0)
	s_barrier
	s_and_saveexec_b64 s[0:1], vcc
	s_cbranch_execz .LBB32_223
; %bb.222:
	v_mov_b32_e32 v28, 0
	ds_read_b64 v[26:27], v28 offset:7288
	v_mov_b32_e32 v29, 0x3ff00000
	ds_write_b64 v28, v[28:29] offset:7280
	s_waitcnt lgkmcnt(1)
	ds_write_b128 v28, v[26:29] offset:7792
.LBB32_223:
	s_or_b64 exec, exec, s[0:1]
	v_lshrrev_b32_e32 v30, 4, v14
	v_and_b32_e32 v27, 15, v0
	s_movk_i32 s0, 0xff
	v_lshlrev_b32_e32 v29, 6, v30
	v_cmp_lt_u32_e64 s[14:15], s0, v14
	s_movk_i32 s0, 0x100
	v_or_b32_e32 v26, v29, v27
	v_mov_b32_e32 v10, 0
	v_cmp_gt_u32_e64 s[10:11], s0, v14
	v_mov_b32_e32 v11, 0
	v_lshlrev_b32_e32 v26, 3, v26
	s_waitcnt lgkmcnt(0)
	s_barrier
	s_and_saveexec_b64 s[0:1], s[10:11]
	s_cbranch_execz .LBB32_251
; %bb.224:
	v_mul_u32_u24_e32 v28, 0x208, v30
	ds_read_b64 v[10:11], v26 offset:128
	ds_read_b64 v[31:32], v28
	s_movk_i32 s16, 0xf0
	v_cmp_gt_u32_e64 s[16:17], s16, v14
	s_waitcnt lgkmcnt(0)
	v_fma_f64 v[10:11], v[10:11], v[31:32], 0
	s_and_saveexec_b64 s[20:21], s[16:17]
	s_cbranch_execz .LBB32_226
; %bb.225:
	v_lshlrev_b32_e32 v31, 3, v30
	v_sub_u32_e32 v31, v28, v31
	v_lshl_add_u32 v31, v27, 3, v31
	ds_read_b64 v[31:32], v31 offset:640
	ds_read_b64 v[33:34], v28 offset:8
	s_waitcnt lgkmcnt(0)
	v_fma_f64 v[10:11], v[31:32], v[33:34], v[10:11]
.LBB32_226:
	s_or_b64 exec, exec, s[20:21]
	s_movk_i32 s16, 0xe0
	v_cmp_gt_u32_e64 s[16:17], s16, v14
	s_and_saveexec_b64 s[20:21], s[16:17]
	s_cbranch_execz .LBB32_228
; %bb.227:
	v_lshlrev_b32_e32 v31, 3, v30
	v_sub_u32_e32 v31, v28, v31
	v_lshl_add_u32 v31, v27, 3, v31
	ds_read_b64 v[31:32], v31 offset:1152
	ds_read_b64 v[33:34], v28 offset:16
	s_waitcnt lgkmcnt(0)
	v_fma_f64 v[10:11], v[31:32], v[33:34], v[10:11]
.LBB32_228:
	s_or_b64 exec, exec, s[20:21]
	s_movk_i32 s16, 0xd0
	v_cmp_gt_u32_e64 s[16:17], s16, v14
	;; [unrolled: 14-line block ×7, first 2 shown]
	s_and_saveexec_b64 s[20:21], s[16:17]
	s_cbranch_execz .LBB32_240
; %bb.239:
	ds_read_b64 v[31:32], v26 offset:4224
	ds_read_b64 v[33:34], v28 offset:64
	s_waitcnt lgkmcnt(0)
	v_fma_f64 v[10:11], v[31:32], v[33:34], v[10:11]
.LBB32_240:
	s_or_b64 exec, exec, s[20:21]
	s_movk_i32 s16, 0x70
	v_cmp_gt_u32_e64 s[16:17], s16, v14
	s_and_saveexec_b64 s[20:21], s[16:17]
	s_cbranch_execz .LBB32_242
; %bb.241:
	v_lshlrev_b32_e32 v31, 3, v30
	v_sub_u32_e32 v31, v28, v31
	v_lshl_add_u32 v31, v27, 3, v31
	ds_read_b64 v[31:32], v31 offset:4736
	ds_read_b64 v[33:34], v28 offset:72
	s_waitcnt lgkmcnt(0)
	v_fma_f64 v[10:11], v[31:32], v[33:34], v[10:11]
.LBB32_242:
	s_or_b64 exec, exec, s[20:21]
	s_movk_i32 s16, 0x60
	v_cmp_gt_u32_e64 s[16:17], s16, v14
	s_and_saveexec_b64 s[20:21], s[16:17]
	s_cbranch_execz .LBB32_244
; %bb.243:
	v_lshlrev_b32_e32 v31, 3, v27
	v_lshl_add_u32 v31, v29, 3, v31
	ds_read_b64 v[31:32], v31 offset:5248
	ds_read_b64 v[33:34], v28 offset:80
	s_waitcnt lgkmcnt(0)
	v_fma_f64 v[10:11], v[31:32], v[33:34], v[10:11]
.LBB32_244:
	s_or_b64 exec, exec, s[20:21]
	s_movk_i32 s16, 0x50
	v_cmp_gt_u32_e64 s[16:17], s16, v14
	s_and_saveexec_b64 s[20:21], s[16:17]
	s_cbranch_execnz .LBB32_1180
; %bb.245:
	s_or_b64 exec, exec, s[20:21]
	v_cmp_gt_u32_e64 s[16:17], 64, v14
	s_and_saveexec_b64 s[20:21], s[16:17]
	s_cbranch_execnz .LBB32_1181
.LBB32_246:
	s_or_b64 exec, exec, s[20:21]
	v_cmp_gt_u32_e64 s[16:17], 48, v14
	s_and_saveexec_b64 s[20:21], s[16:17]
	s_cbranch_execnz .LBB32_1182
.LBB32_247:
	s_or_b64 exec, exec, s[20:21]
	v_cmp_gt_u32_e64 s[16:17], 32, v14
	s_and_saveexec_b64 s[20:21], s[16:17]
	s_cbranch_execnz .LBB32_1183
.LBB32_248:
	s_or_b64 exec, exec, s[20:21]
	v_cmp_gt_u32_e64 s[16:17], 16, v14
	s_and_saveexec_b64 s[20:21], s[16:17]
	s_cbranch_execz .LBB32_250
.LBB32_249:
	v_lshlrev_b32_e32 v28, 3, v0
	v_mov_b32_e32 v33, 0
	ds_read_b64 v[31:32], v28 offset:7808
	ds_read_b64 v[33:34], v33 offset:120
	s_waitcnt lgkmcnt(0)
	v_fma_f64 v[10:11], v[31:32], v[33:34], v[10:11]
.LBB32_250:
	s_or_b64 exec, exec, s[20:21]
	v_xor_b32_e32 v11, 0x80000000, v11
.LBB32_251:
	s_or_b64 exec, exec, s[0:1]
	v_mov_b32_e32 v28, 0x8000
	v_lshl_add_u32 v28, v30, 3, v28
	v_cmp_eq_u32_e64 s[16:17], 0, v27
	s_xor_b64 s[20:21], s[14:15], -1
	s_and_b64 s[14:15], s[16:17], s[20:21]
	s_mov_b64 s[0:1], exec
	v_writelane_b32 v40, s14, 4
	v_writelane_b32 v40, s15, 5
	s_and_b64 s[14:15], s[0:1], s[14:15]
	s_mov_b64 exec, s[14:15]
; %bb.252:
	ds_write_b64 v28, v[10:11]
; %bb.253:
	s_or_b64 exec, exec, s[0:1]
	v_cmp_ne_u32_e64 s[14:15], 0, v27
	s_waitcnt lgkmcnt(0)
	s_barrier
	s_and_b64 s[14:15], s[14:15], s[20:21]
	s_mov_b64 s[0:1], exec
	v_writelane_b32 v40, s14, 6
	v_writelane_b32 v40, s15, 7
	s_and_b64 s[14:15], s[0:1], s[14:15]
	s_mov_b64 exec, s[14:15]
	s_cbranch_execz .LBB32_255
; %bb.254:
	v_lshlrev_b32_e32 v31, 3, v27
	ds_read_b64 v[31:32], v31 offset:8320
	ds_read_b64 v[33:34], v28
	s_waitcnt lgkmcnt(0)
	v_fma_f64 v[10:11], v[31:32], v[33:34], v[10:11]
.LBB32_255:
	s_or_b64 exec, exec, s[0:1]
	v_cmp_eq_u32_e64 s[14:15], 1, v27
	s_barrier
	s_and_b64 s[14:15], s[14:15], s[20:21]
	s_mov_b64 s[0:1], exec
	v_writelane_b32 v40, s14, 8
	v_writelane_b32 v40, s15, 9
	s_and_b64 s[14:15], s[0:1], s[14:15]
	s_mov_b64 exec, s[14:15]
; %bb.256:
	ds_write_b64 v28, v[10:11]
; %bb.257:
	s_or_b64 exec, exec, s[0:1]
	v_cmp_lt_u32_e64 s[14:15], 1, v27
	s_waitcnt lgkmcnt(0)
	s_barrier
	s_and_b64 s[14:15], s[14:15], s[20:21]
	s_mov_b64 s[0:1], exec
	v_writelane_b32 v40, s14, 10
	v_writelane_b32 v40, s15, 11
	s_and_b64 s[14:15], s[0:1], s[14:15]
	s_mov_b64 exec, s[14:15]
	s_cbranch_execz .LBB32_259
; %bb.258:
	v_lshlrev_b32_e32 v31, 3, v27
	ds_read_b64 v[31:32], v31 offset:8832
	ds_read_b64 v[33:34], v28
	s_waitcnt lgkmcnt(0)
	v_fma_f64 v[10:11], v[31:32], v[33:34], v[10:11]
.LBB32_259:
	s_or_b64 exec, exec, s[0:1]
	v_cmp_eq_u32_e64 s[14:15], 2, v27
	s_barrier
	s_and_b64 s[14:15], s[14:15], s[20:21]
	s_mov_b64 s[0:1], exec
	v_writelane_b32 v40, s14, 12
	v_writelane_b32 v40, s15, 13
	s_and_b64 s[14:15], s[0:1], s[14:15]
	s_mov_b64 exec, s[14:15]
; %bb.260:
	ds_write_b64 v28, v[10:11]
; %bb.261:
	s_or_b64 exec, exec, s[0:1]
	v_cmp_lt_u32_e64 s[14:15], 2, v27
	;; [unrolled: 30-line block ×13, first 2 shown]
	s_waitcnt lgkmcnt(0)
	s_barrier
	s_and_b64 s[14:15], s[14:15], s[20:21]
	s_mov_b64 s[0:1], exec
	v_writelane_b32 v40, s14, 58
	v_writelane_b32 v40, s15, 59
	s_and_b64 s[14:15], s[0:1], s[14:15]
	s_mov_b64 exec, s[14:15]
	s_cbranch_execz .LBB32_307
; %bb.306:
	v_lshlrev_b32_e32 v31, 3, v27
	ds_read_b64 v[31:32], v31 offset:14976
	ds_read_b64 v[33:34], v28
	s_waitcnt lgkmcnt(0)
	v_fma_f64 v[10:11], v[31:32], v[33:34], v[10:11]
.LBB32_307:
	s_or_b64 exec, exec, s[0:1]
	v_cmp_eq_u32_e64 s[14:15], 14, v27
	s_barrier
	s_and_b64 s[14:15], s[14:15], s[20:21]
	s_mov_b64 s[0:1], exec
	v_writelane_b32 v40, s14, 60
	v_writelane_b32 v40, s15, 61
	s_and_b64 s[14:15], s[0:1], s[14:15]
	s_mov_b64 exec, s[14:15]
; %bb.308:
	ds_write_b64 v28, v[10:11]
; %bb.309:
	s_or_b64 exec, exec, s[0:1]
	v_cmp_eq_u32_e64 s[14:15], 15, v27
	s_and_b64 s[92:93], s[14:15], s[20:21]
	s_waitcnt lgkmcnt(0)
	s_barrier
	s_and_saveexec_b64 s[0:1], s[92:93]
	s_cbranch_execz .LBB32_311
; %bb.310:
	v_mov_b32_e32 v31, 0
	ds_read_b64 v[31:32], v31 offset:15608
	ds_read_b64 v[33:34], v28
	s_waitcnt lgkmcnt(0)
	v_fma_f64 v[10:11], v[31:32], v[33:34], v[10:11]
.LBB32_311:
	s_or_b64 exec, exec, s[0:1]
	s_barrier
	s_and_saveexec_b64 s[0:1], s[92:93]
; %bb.312:
	ds_write_b64 v28, v[10:11]
; %bb.313:
	s_or_b64 exec, exec, s[0:1]
	s_waitcnt lgkmcnt(0)
	s_barrier
	s_barrier
	s_and_saveexec_b64 s[0:1], s[10:11]
; %bb.314:
	v_xor_b32_e32 v11, 0x80000000, v11
	ds_write_b64 v26, v[10:11] offset:128
; %bb.315:
	s_or_b64 exec, exec, s[0:1]
	v_cmp_gt_u32_e64 s[14:15], 16, v0
	s_waitcnt lgkmcnt(0)
	s_barrier
	s_barrier
	s_and_b64 s[0:1], s[12:13], s[14:15]
	s_mov_b64 s[14:15], exec
	v_writelane_b32 v40, s0, 62
	v_writelane_b32 v40, s1, 63
	s_and_b64 s[0:1], s[14:15], s[0:1]
	s_mov_b64 exec, s[0:1]
	s_cbranch_execz .LBB32_317
; %bb.316:
	v_lshlrev_b32_e32 v31, 9, v0
	ds_read_b64 v[10:11], v31 offset:128
	s_movk_i32 s0, 0xfe08
	v_mad_i32_i24 v32, v0, s0, v31
	s_waitcnt lgkmcnt(0)
	ds_write_b64 v32, v[10:11] offset:8192
	ds_read_b64 v[10:11], v31 offset:136
	s_waitcnt lgkmcnt(0)
	ds_write_b64 v32, v[10:11] offset:8704
	ds_read_b64 v[10:11], v31 offset:144
	;; [unrolled: 3-line block ×15, first 2 shown]
	s_waitcnt lgkmcnt(0)
	ds_write_b64 v32, v[10:11] offset:15872
.LBB32_317:
	s_or_b64 exec, exec, s[14:15]
	s_waitcnt lgkmcnt(0)
	s_barrier
	s_and_saveexec_b64 s[14:15], vcc
	s_cbranch_execz .LBB32_319
; %bb.318:
	v_mov_b32_e32 v33, 0
	ds_read_b64 v[31:32], v33 offset:8328
	v_mov_b32_e32 v34, 0x3ff00000
	ds_write_b64 v33, v[33:34] offset:8320
	s_waitcnt lgkmcnt(1)
	ds_write_b128 v33, v[31:34] offset:8832
.LBB32_319:
	s_or_b64 exec, exec, s[14:15]
	v_mov_b32_e32 v10, 0
	v_mov_b32_e32 v11, 0
	s_waitcnt lgkmcnt(0)
	s_barrier
	s_and_saveexec_b64 s[16:17], s[2:3]
	s_cbranch_execz .LBB32_323
; %bb.320:
	v_mul_u32_u24_e32 v31, 0x208, v15
	ds_read_b64 v[10:11], v12 offset:8336
	ds_read_b64 v[31:32], v31 offset:8320
	v_cmp_gt_u32_e64 s[14:15], 2, v14
	s_waitcnt lgkmcnt(0)
	v_fma_f64 v[10:11], v[10:11], v[31:32], 0
	s_and_saveexec_b64 s[20:21], s[14:15]
	s_cbranch_execz .LBB32_322
; %bb.321:
	v_lshlrev_b32_e32 v31, 3, v0
	v_mov_b32_e32 v33, 0
	ds_read_b64 v[31:32], v31 offset:8848
	ds_read_b64 v[33:34], v33 offset:8328
	s_waitcnt lgkmcnt(0)
	v_fma_f64 v[10:11], v[31:32], v[33:34], v[10:11]
.LBB32_322:
	s_or_b64 exec, exec, s[20:21]
	v_xor_b32_e32 v11, 0x80000000, v11
.LBB32_323:
	s_or_b64 exec, exec, s[16:17]
	s_and_saveexec_b64 s[0:1], s[34:35]
; %bb.324:
	ds_write_b64 v13, v[10:11]
; %bb.325:
	s_or_b64 exec, exec, s[0:1]
	s_waitcnt lgkmcnt(0)
	s_barrier
	s_and_saveexec_b64 s[0:1], s[30:31]
	s_cbranch_execz .LBB32_327
; %bb.326:
	v_mov_b32_e32 v31, 0
	ds_read_b64 v[31:32], v31 offset:9368
	ds_read_b64 v[33:34], v13
	s_waitcnt lgkmcnt(0)
	v_fma_f64 v[10:11], v[31:32], v[33:34], v[10:11]
.LBB32_327:
	s_or_b64 exec, exec, s[0:1]
	s_barrier
	s_and_saveexec_b64 s[0:1], s[30:31]
; %bb.328:
	ds_write_b64 v13, v[10:11]
; %bb.329:
	s_or_b64 exec, exec, s[0:1]
	s_waitcnt lgkmcnt(0)
	s_barrier
	s_barrier
	s_and_saveexec_b64 s[0:1], s[2:3]
; %bb.330:
	v_xor_b32_e32 v11, 0x80000000, v11
	ds_write_b64 v12, v[10:11] offset:8336
; %bb.331:
	s_or_b64 exec, exec, s[0:1]
	s_waitcnt lgkmcnt(0)
	s_barrier
	s_barrier
	s_and_saveexec_b64 s[14:15], s[36:37]
	s_cbranch_execz .LBB32_333
; %bb.332:
	v_lshlrev_b32_e32 v31, 3, v0
	s_movk_i32 s0, 0x1f8
	v_mad_u32_u24 v32, v0, s0, v31
	ds_read_b64 v[10:11], v32 offset:8336
	s_waitcnt lgkmcnt(0)
	ds_write_b64 v31, v[10:11] offset:9344
	ds_read_b64 v[10:11], v32 offset:8344
	s_waitcnt lgkmcnt(0)
	ds_write_b64 v31, v[10:11] offset:9856
.LBB32_333:
	s_or_b64 exec, exec, s[14:15]
	s_waitcnt lgkmcnt(0)
	s_barrier
	s_and_saveexec_b64 s[14:15], vcc
	s_cbranch_execz .LBB32_335
; %bb.334:
	v_mov_b32_e32 v33, 0
	ds_read_b64 v[31:32], v33 offset:9368
	v_mov_b32_e32 v34, 0x3ff00000
	ds_write_b64 v33, v[33:34] offset:9360
	s_waitcnt lgkmcnt(1)
	ds_write_b128 v33, v[31:34] offset:9872
.LBB32_335:
	s_or_b64 exec, exec, s[14:15]
	v_mov_b32_e32 v10, 0
	v_mov_b32_e32 v11, 0
	s_waitcnt lgkmcnt(0)
	s_barrier
	s_and_saveexec_b64 s[16:17], s[18:19]
	s_cbranch_execz .LBB32_341
; %bb.336:
	v_mul_u32_u24_e32 v31, 0x208, v20
	ds_read_b64 v[10:11], v16 offset:8352
	ds_read_b64 v[32:33], v31 offset:8320
	v_cmp_gt_u32_e64 s[14:15], 12, v14
	s_waitcnt lgkmcnt(0)
	v_fma_f64 v[10:11], v[10:11], v[32:33], 0
	s_and_saveexec_b64 s[20:21], s[14:15]
	s_cbranch_execnz .LBB32_1184
; %bb.337:
	s_or_b64 exec, exec, s[20:21]
	v_cmp_gt_u32_e64 s[14:15], 8, v14
	s_and_saveexec_b64 s[0:1], s[14:15]
	s_cbranch_execnz .LBB32_1185
.LBB32_338:
	s_or_b64 exec, exec, s[0:1]
	v_cmp_gt_u32_e64 s[14:15], 4, v14
	s_and_saveexec_b64 s[20:21], s[14:15]
	s_cbranch_execz .LBB32_340
.LBB32_339:
	v_lshlrev_b32_e32 v31, 3, v0
	v_mov_b32_e32 v33, 0
	ds_read_b64 v[31:32], v31 offset:9888
	ds_read_b64 v[33:34], v33 offset:8344
	s_waitcnt lgkmcnt(0)
	v_fma_f64 v[10:11], v[31:32], v[33:34], v[10:11]
.LBB32_340:
	s_or_b64 exec, exec, s[20:21]
	v_xor_b32_e32 v11, 0x80000000, v11
.LBB32_341:
	s_or_b64 exec, exec, s[16:17]
	s_and_saveexec_b64 s[0:1], s[42:43]
; %bb.342:
	ds_write_b64 v18, v[10:11]
; %bb.343:
	s_or_b64 exec, exec, s[0:1]
	s_waitcnt lgkmcnt(0)
	s_barrier
	s_and_saveexec_b64 s[0:1], s[44:45]
	s_cbranch_execz .LBB32_345
; %bb.344:
	ds_read_b64 v[31:32], v17 offset:10400
	ds_read_b64 v[33:34], v18
	s_waitcnt lgkmcnt(0)
	v_fma_f64 v[10:11], v[31:32], v[33:34], v[10:11]
.LBB32_345:
	s_or_b64 exec, exec, s[0:1]
	s_barrier
	s_and_saveexec_b64 s[0:1], s[52:53]
; %bb.346:
	ds_write_b64 v18, v[10:11]
; %bb.347:
	s_or_b64 exec, exec, s[0:1]
	s_waitcnt lgkmcnt(0)
	s_barrier
	s_and_saveexec_b64 s[0:1], s[54:55]
	s_cbranch_execz .LBB32_349
; %bb.348:
	ds_read_b64 v[31:32], v17 offset:10912
	ds_read_b64 v[33:34], v18
	s_waitcnt lgkmcnt(0)
	v_fma_f64 v[10:11], v[31:32], v[33:34], v[10:11]
.LBB32_349:
	s_or_b64 exec, exec, s[0:1]
	s_barrier
	s_and_saveexec_b64 s[0:1], s[56:57]
; %bb.350:
	ds_write_b64 v18, v[10:11]
; %bb.351:
	s_or_b64 exec, exec, s[0:1]
	s_waitcnt lgkmcnt(0)
	s_barrier
	s_and_saveexec_b64 s[0:1], s[38:39]
	s_cbranch_execz .LBB32_353
; %bb.352:
	v_mov_b32_e32 v31, 0
	ds_read_b64 v[31:32], v31 offset:11448
	ds_read_b64 v[33:34], v18
	s_waitcnt lgkmcnt(0)
	v_fma_f64 v[10:11], v[31:32], v[33:34], v[10:11]
.LBB32_353:
	s_or_b64 exec, exec, s[0:1]
	s_barrier
	s_and_saveexec_b64 s[0:1], s[38:39]
; %bb.354:
	ds_write_b64 v18, v[10:11]
; %bb.355:
	s_or_b64 exec, exec, s[0:1]
	s_waitcnt lgkmcnt(0)
	s_barrier
	s_barrier
	s_and_saveexec_b64 s[0:1], s[18:19]
; %bb.356:
	v_xor_b32_e32 v11, 0x80000000, v11
	ds_write_b64 v16, v[10:11] offset:8352
; %bb.357:
	s_or_b64 exec, exec, s[0:1]
	s_waitcnt lgkmcnt(0)
	s_barrier
	s_barrier
	s_and_saveexec_b64 s[14:15], s[58:59]
	s_cbranch_execz .LBB32_359
; %bb.358:
	v_lshlrev_b32_e32 v31, 9, v0
	ds_read_b64 v[10:11], v31 offset:8352
	s_movk_i32 s0, 0xfe08
	v_mad_i32_i24 v32, v0, s0, v31
	s_waitcnt lgkmcnt(0)
	ds_write_b64 v32, v[10:11] offset:10368
	ds_read_b64 v[10:11], v31 offset:8360
	s_waitcnt lgkmcnt(0)
	ds_write_b64 v32, v[10:11] offset:10880
	ds_read_b64 v[10:11], v31 offset:8368
	;; [unrolled: 3-line block ×3, first 2 shown]
	s_waitcnt lgkmcnt(0)
	ds_write_b64 v32, v[10:11] offset:11904
.LBB32_359:
	s_or_b64 exec, exec, s[14:15]
	s_waitcnt lgkmcnt(0)
	s_barrier
	s_and_saveexec_b64 s[14:15], vcc
	s_cbranch_execz .LBB32_361
; %bb.360:
	v_mov_b32_e32 v33, 0
	ds_read_b64 v[31:32], v33 offset:10408
	v_mov_b32_e32 v34, 0x3ff00000
	ds_write_b64 v33, v[33:34] offset:10400
	s_waitcnt lgkmcnt(1)
	ds_write_b128 v33, v[31:34] offset:10912
.LBB32_361:
	s_or_b64 exec, exec, s[14:15]
	v_mov_b32_e32 v10, 0
	v_mov_b32_e32 v11, 0
	s_waitcnt lgkmcnt(0)
	s_barrier
	s_and_saveexec_b64 s[16:17], s[2:3]
	s_cbranch_execz .LBB32_365
; %bb.362:
	v_mul_u32_u24_e32 v31, 0x208, v15
	ds_read_b64 v[10:11], v12 offset:10416
	ds_read_b64 v[31:32], v31 offset:10400
	v_cmp_gt_u32_e64 s[14:15], 2, v14
	s_waitcnt lgkmcnt(0)
	v_fma_f64 v[10:11], v[10:11], v[31:32], 0
	s_and_saveexec_b64 s[20:21], s[14:15]
	s_cbranch_execz .LBB32_364
; %bb.363:
	v_lshlrev_b32_e32 v31, 3, v0
	v_mov_b32_e32 v33, 0
	ds_read_b64 v[31:32], v31 offset:10928
	ds_read_b64 v[33:34], v33 offset:10408
	s_waitcnt lgkmcnt(0)
	v_fma_f64 v[10:11], v[31:32], v[33:34], v[10:11]
.LBB32_364:
	s_or_b64 exec, exec, s[20:21]
	v_xor_b32_e32 v11, 0x80000000, v11
.LBB32_365:
	s_or_b64 exec, exec, s[16:17]
	s_and_saveexec_b64 s[0:1], s[34:35]
; %bb.366:
	ds_write_b64 v13, v[10:11]
; %bb.367:
	s_or_b64 exec, exec, s[0:1]
	s_waitcnt lgkmcnt(0)
	s_barrier
	s_and_saveexec_b64 s[0:1], s[30:31]
	s_cbranch_execz .LBB32_369
; %bb.368:
	v_mov_b32_e32 v31, 0
	ds_read_b64 v[31:32], v31 offset:11448
	ds_read_b64 v[33:34], v13
	s_waitcnt lgkmcnt(0)
	v_fma_f64 v[10:11], v[31:32], v[33:34], v[10:11]
.LBB32_369:
	s_or_b64 exec, exec, s[0:1]
	s_barrier
	s_and_saveexec_b64 s[0:1], s[30:31]
; %bb.370:
	ds_write_b64 v13, v[10:11]
; %bb.371:
	s_or_b64 exec, exec, s[0:1]
	s_waitcnt lgkmcnt(0)
	s_barrier
	s_barrier
	s_and_saveexec_b64 s[0:1], s[2:3]
; %bb.372:
	v_xor_b32_e32 v11, 0x80000000, v11
	ds_write_b64 v12, v[10:11] offset:10416
; %bb.373:
	s_or_b64 exec, exec, s[0:1]
	s_waitcnt lgkmcnt(0)
	s_barrier
	s_barrier
	s_and_saveexec_b64 s[14:15], s[36:37]
	s_cbranch_execz .LBB32_375
; %bb.374:
	v_lshlrev_b32_e32 v31, 3, v0
	s_movk_i32 s0, 0x1f8
	v_mad_u32_u24 v32, v0, s0, v31
	ds_read_b64 v[10:11], v32 offset:10416
	s_waitcnt lgkmcnt(0)
	ds_write_b64 v31, v[10:11] offset:11424
	ds_read_b64 v[10:11], v32 offset:10424
	s_waitcnt lgkmcnt(0)
	ds_write_b64 v31, v[10:11] offset:11936
.LBB32_375:
	s_or_b64 exec, exec, s[14:15]
	s_waitcnt lgkmcnt(0)
	s_barrier
	s_and_saveexec_b64 s[14:15], vcc
	s_cbranch_execz .LBB32_377
; %bb.376:
	v_mov_b32_e32 v33, 0
	ds_read_b64 v[31:32], v33 offset:11448
	v_mov_b32_e32 v34, 0x3ff00000
	ds_write_b64 v33, v[33:34] offset:11440
	s_waitcnt lgkmcnt(1)
	ds_write_b128 v33, v[31:34] offset:11952
.LBB32_377:
	s_or_b64 exec, exec, s[14:15]
	v_mov_b32_e32 v10, 0
	v_mov_b32_e32 v11, 0
	s_waitcnt lgkmcnt(0)
	s_barrier
	s_and_saveexec_b64 s[16:17], s[8:9]
	s_cbranch_execz .LBB32_387
; %bb.378:
	v_mul_u32_u24_e32 v31, 0x208, v25
	ds_read_b64 v[10:11], v21 offset:8384
	ds_read_b64 v[32:33], v31 offset:8320
	v_cmp_gt_u32_e64 s[14:15], 56, v14
	s_waitcnt lgkmcnt(0)
	v_fma_f64 v[10:11], v[10:11], v[32:33], 0
	s_and_saveexec_b64 s[20:21], s[14:15]
	s_cbranch_execnz .LBB32_1186
; %bb.379:
	s_or_b64 exec, exec, s[20:21]
	v_cmp_gt_u32_e64 s[14:15], 48, v14
	s_and_saveexec_b64 s[20:21], s[14:15]
	s_cbranch_execnz .LBB32_1187
.LBB32_380:
	s_or_b64 exec, exec, s[20:21]
	v_cmp_gt_u32_e64 s[14:15], 40, v14
	s_and_saveexec_b64 s[20:21], s[14:15]
	s_cbranch_execnz .LBB32_1188
.LBB32_381:
	s_or_b64 exec, exec, s[20:21]
	v_cmp_gt_u32_e64 s[14:15], 32, v14
	s_and_saveexec_b64 s[0:1], s[14:15]
	s_cbranch_execnz .LBB32_1189
.LBB32_382:
	s_or_b64 exec, exec, s[0:1]
	v_cmp_gt_u32_e64 s[14:15], 24, v14
	s_and_saveexec_b64 s[20:21], s[14:15]
	s_cbranch_execnz .LBB32_1190
.LBB32_383:
	s_or_b64 exec, exec, s[20:21]
	v_cmp_gt_u32_e64 s[14:15], 16, v14
	s_and_saveexec_b64 s[0:1], s[14:15]
	s_cbranch_execnz .LBB32_1191
.LBB32_384:
	s_or_b64 exec, exec, s[0:1]
	v_cmp_gt_u32_e64 s[14:15], 8, v14
	s_and_saveexec_b64 s[20:21], s[14:15]
	s_cbranch_execz .LBB32_386
.LBB32_385:
	v_lshlrev_b32_e32 v31, 3, v0
	v_mov_b32_e32 v33, 0
	ds_read_b64 v[31:32], v31 offset:11968
	ds_read_b64 v[33:34], v33 offset:8376
	s_waitcnt lgkmcnt(0)
	v_fma_f64 v[10:11], v[31:32], v[33:34], v[10:11]
.LBB32_386:
	s_or_b64 exec, exec, s[20:21]
	v_xor_b32_e32 v11, 0x80000000, v11
.LBB32_387:
	s_or_b64 exec, exec, s[16:17]
	s_and_saveexec_b64 s[0:1], s[60:61]
; %bb.388:
	ds_write_b64 v23, v[10:11]
; %bb.389:
	s_or_b64 exec, exec, s[0:1]
	s_waitcnt lgkmcnt(0)
	s_barrier
	s_and_saveexec_b64 s[0:1], s[62:63]
	s_cbranch_execz .LBB32_391
; %bb.390:
	ds_read_b64 v[31:32], v22 offset:12480
	ds_read_b64 v[33:34], v23
	s_waitcnt lgkmcnt(0)
	v_fma_f64 v[10:11], v[31:32], v[33:34], v[10:11]
.LBB32_391:
	s_or_b64 exec, exec, s[0:1]
	s_barrier
	s_and_saveexec_b64 s[0:1], s[64:65]
; %bb.392:
	ds_write_b64 v23, v[10:11]
; %bb.393:
	s_or_b64 exec, exec, s[0:1]
	s_waitcnt lgkmcnt(0)
	s_barrier
	s_and_saveexec_b64 s[0:1], s[66:67]
	s_cbranch_execz .LBB32_395
; %bb.394:
	ds_read_b64 v[31:32], v22 offset:12992
	ds_read_b64 v[33:34], v23
	s_waitcnt lgkmcnt(0)
	v_fma_f64 v[10:11], v[31:32], v[33:34], v[10:11]
.LBB32_395:
	s_or_b64 exec, exec, s[0:1]
	s_barrier
	;; [unrolled: 17-line block ×6, first 2 shown]
	s_and_saveexec_b64 s[0:1], s[86:87]
; %bb.412:
	ds_write_b64 v23, v[10:11]
; %bb.413:
	s_or_b64 exec, exec, s[0:1]
	s_waitcnt lgkmcnt(0)
	s_barrier
	s_and_saveexec_b64 s[0:1], s[70:71]
	s_cbranch_execz .LBB32_415
; %bb.414:
	v_mov_b32_e32 v31, 0
	ds_read_b64 v[31:32], v31 offset:15608
	ds_read_b64 v[33:34], v23
	s_waitcnt lgkmcnt(0)
	v_fma_f64 v[10:11], v[31:32], v[33:34], v[10:11]
.LBB32_415:
	s_or_b64 exec, exec, s[0:1]
	s_barrier
	s_and_saveexec_b64 s[0:1], s[70:71]
; %bb.416:
	ds_write_b64 v23, v[10:11]
; %bb.417:
	s_or_b64 exec, exec, s[0:1]
	s_waitcnt lgkmcnt(0)
	s_barrier
	s_barrier
	s_and_saveexec_b64 s[0:1], s[8:9]
; %bb.418:
	v_xor_b32_e32 v11, 0x80000000, v11
	ds_write_b64 v21, v[10:11] offset:8384
; %bb.419:
	s_or_b64 exec, exec, s[0:1]
	s_waitcnt lgkmcnt(0)
	s_barrier
	s_barrier
	s_and_saveexec_b64 s[14:15], s[88:89]
	s_cbranch_execz .LBB32_421
; %bb.420:
	v_lshlrev_b32_e32 v31, 9, v0
	ds_read_b64 v[10:11], v31 offset:8384
	s_movk_i32 s0, 0xfe08
	v_mad_i32_i24 v32, v0, s0, v31
	s_waitcnt lgkmcnt(0)
	ds_write_b64 v32, v[10:11] offset:12416
	ds_read_b64 v[10:11], v31 offset:8392
	s_waitcnt lgkmcnt(0)
	ds_write_b64 v32, v[10:11] offset:12928
	ds_read_b64 v[10:11], v31 offset:8400
	;; [unrolled: 3-line block ×7, first 2 shown]
	s_waitcnt lgkmcnt(0)
	ds_write_b64 v32, v[10:11] offset:16000
.LBB32_421:
	s_or_b64 exec, exec, s[14:15]
	s_waitcnt lgkmcnt(0)
	s_barrier
	s_and_saveexec_b64 s[14:15], vcc
	s_cbranch_execz .LBB32_423
; %bb.422:
	v_mov_b32_e32 v33, 0
	ds_read_b64 v[31:32], v33 offset:12488
	v_mov_b32_e32 v34, 0x3ff00000
	ds_write_b64 v33, v[33:34] offset:12480
	s_waitcnt lgkmcnt(1)
	ds_write_b128 v33, v[31:34] offset:12992
.LBB32_423:
	s_or_b64 exec, exec, s[14:15]
	v_mov_b32_e32 v10, 0
	v_mov_b32_e32 v11, 0
	s_waitcnt lgkmcnt(0)
	s_barrier
	s_and_saveexec_b64 s[16:17], s[2:3]
	s_cbranch_execz .LBB32_427
; %bb.424:
	v_mul_u32_u24_e32 v31, 0x208, v15
	ds_read_b64 v[10:11], v12 offset:12496
	ds_read_b64 v[31:32], v31 offset:12480
	v_cmp_gt_u32_e64 s[14:15], 2, v14
	s_waitcnt lgkmcnt(0)
	v_fma_f64 v[10:11], v[10:11], v[31:32], 0
	s_and_saveexec_b64 s[20:21], s[14:15]
	s_cbranch_execz .LBB32_426
; %bb.425:
	v_lshlrev_b32_e32 v31, 3, v0
	v_mov_b32_e32 v33, 0
	ds_read_b64 v[31:32], v31 offset:13008
	ds_read_b64 v[33:34], v33 offset:12488
	s_waitcnt lgkmcnt(0)
	v_fma_f64 v[10:11], v[31:32], v[33:34], v[10:11]
.LBB32_426:
	s_or_b64 exec, exec, s[20:21]
	v_xor_b32_e32 v11, 0x80000000, v11
.LBB32_427:
	s_or_b64 exec, exec, s[16:17]
	s_and_saveexec_b64 s[0:1], s[34:35]
; %bb.428:
	ds_write_b64 v13, v[10:11]
; %bb.429:
	s_or_b64 exec, exec, s[0:1]
	s_waitcnt lgkmcnt(0)
	s_barrier
	s_and_saveexec_b64 s[0:1], s[30:31]
	s_cbranch_execz .LBB32_431
; %bb.430:
	v_mov_b32_e32 v31, 0
	ds_read_b64 v[31:32], v31 offset:13528
	ds_read_b64 v[33:34], v13
	s_waitcnt lgkmcnt(0)
	v_fma_f64 v[10:11], v[31:32], v[33:34], v[10:11]
.LBB32_431:
	s_or_b64 exec, exec, s[0:1]
	s_barrier
	s_and_saveexec_b64 s[0:1], s[30:31]
; %bb.432:
	ds_write_b64 v13, v[10:11]
; %bb.433:
	s_or_b64 exec, exec, s[0:1]
	s_waitcnt lgkmcnt(0)
	s_barrier
	s_barrier
	s_and_saveexec_b64 s[0:1], s[2:3]
; %bb.434:
	v_xor_b32_e32 v11, 0x80000000, v11
	ds_write_b64 v12, v[10:11] offset:12496
; %bb.435:
	s_or_b64 exec, exec, s[0:1]
	s_waitcnt lgkmcnt(0)
	s_barrier
	s_barrier
	s_and_saveexec_b64 s[14:15], s[36:37]
	s_cbranch_execz .LBB32_437
; %bb.436:
	v_lshlrev_b32_e32 v31, 3, v0
	s_movk_i32 s0, 0x1f8
	v_mad_u32_u24 v32, v0, s0, v31
	ds_read_b64 v[10:11], v32 offset:12496
	s_waitcnt lgkmcnt(0)
	ds_write_b64 v31, v[10:11] offset:13504
	ds_read_b64 v[10:11], v32 offset:12504
	s_waitcnt lgkmcnt(0)
	ds_write_b64 v31, v[10:11] offset:14016
.LBB32_437:
	s_or_b64 exec, exec, s[14:15]
	s_waitcnt lgkmcnt(0)
	s_barrier
	s_and_saveexec_b64 s[14:15], vcc
	s_cbranch_execz .LBB32_439
; %bb.438:
	v_mov_b32_e32 v33, 0
	ds_read_b64 v[31:32], v33 offset:13528
	v_mov_b32_e32 v34, 0x3ff00000
	ds_write_b64 v33, v[33:34] offset:13520
	s_waitcnt lgkmcnt(1)
	ds_write_b128 v33, v[31:34] offset:14032
.LBB32_439:
	s_or_b64 exec, exec, s[14:15]
	v_mov_b32_e32 v10, 0
	v_mov_b32_e32 v11, 0
	s_waitcnt lgkmcnt(0)
	s_barrier
	s_and_saveexec_b64 s[16:17], s[18:19]
	s_cbranch_execz .LBB32_445
; %bb.440:
	v_mul_u32_u24_e32 v31, 0x208, v20
	ds_read_b64 v[10:11], v16 offset:12512
	ds_read_b64 v[32:33], v31 offset:12480
	v_cmp_gt_u32_e64 s[14:15], 12, v14
	s_waitcnt lgkmcnt(0)
	v_fma_f64 v[10:11], v[10:11], v[32:33], 0
	s_and_saveexec_b64 s[20:21], s[14:15]
	s_cbranch_execnz .LBB32_1192
; %bb.441:
	s_or_b64 exec, exec, s[20:21]
	v_cmp_gt_u32_e64 s[14:15], 8, v14
	s_and_saveexec_b64 s[0:1], s[14:15]
	s_cbranch_execnz .LBB32_1193
.LBB32_442:
	s_or_b64 exec, exec, s[0:1]
	v_cmp_gt_u32_e64 s[14:15], 4, v14
	s_and_saveexec_b64 s[20:21], s[14:15]
	s_cbranch_execz .LBB32_444
.LBB32_443:
	v_lshlrev_b32_e32 v31, 3, v0
	v_mov_b32_e32 v33, 0
	ds_read_b64 v[31:32], v31 offset:14048
	ds_read_b64 v[33:34], v33 offset:12504
	s_waitcnt lgkmcnt(0)
	v_fma_f64 v[10:11], v[31:32], v[33:34], v[10:11]
.LBB32_444:
	s_or_b64 exec, exec, s[20:21]
	v_xor_b32_e32 v11, 0x80000000, v11
.LBB32_445:
	s_or_b64 exec, exec, s[16:17]
	s_and_saveexec_b64 s[0:1], s[42:43]
; %bb.446:
	ds_write_b64 v18, v[10:11]
; %bb.447:
	s_or_b64 exec, exec, s[0:1]
	s_waitcnt lgkmcnt(0)
	s_barrier
	s_and_saveexec_b64 s[0:1], s[44:45]
	s_cbranch_execz .LBB32_449
; %bb.448:
	ds_read_b64 v[31:32], v17 offset:14560
	ds_read_b64 v[33:34], v18
	s_waitcnt lgkmcnt(0)
	v_fma_f64 v[10:11], v[31:32], v[33:34], v[10:11]
.LBB32_449:
	s_or_b64 exec, exec, s[0:1]
	s_barrier
	s_and_saveexec_b64 s[0:1], s[52:53]
; %bb.450:
	ds_write_b64 v18, v[10:11]
; %bb.451:
	s_or_b64 exec, exec, s[0:1]
	s_waitcnt lgkmcnt(0)
	s_barrier
	s_and_saveexec_b64 s[0:1], s[54:55]
	s_cbranch_execz .LBB32_453
; %bb.452:
	ds_read_b64 v[31:32], v17 offset:15072
	ds_read_b64 v[33:34], v18
	s_waitcnt lgkmcnt(0)
	v_fma_f64 v[10:11], v[31:32], v[33:34], v[10:11]
.LBB32_453:
	s_or_b64 exec, exec, s[0:1]
	s_barrier
	s_and_saveexec_b64 s[0:1], s[56:57]
; %bb.454:
	ds_write_b64 v18, v[10:11]
; %bb.455:
	s_or_b64 exec, exec, s[0:1]
	s_waitcnt lgkmcnt(0)
	s_barrier
	s_and_saveexec_b64 s[0:1], s[38:39]
	s_cbranch_execz .LBB32_457
; %bb.456:
	v_mov_b32_e32 v31, 0
	ds_read_b64 v[31:32], v31 offset:15608
	ds_read_b64 v[33:34], v18
	s_waitcnt lgkmcnt(0)
	v_fma_f64 v[10:11], v[31:32], v[33:34], v[10:11]
.LBB32_457:
	s_or_b64 exec, exec, s[0:1]
	s_barrier
	s_and_saveexec_b64 s[0:1], s[38:39]
; %bb.458:
	ds_write_b64 v18, v[10:11]
; %bb.459:
	s_or_b64 exec, exec, s[0:1]
	s_waitcnt lgkmcnt(0)
	s_barrier
	s_barrier
	s_and_saveexec_b64 s[0:1], s[18:19]
; %bb.460:
	v_xor_b32_e32 v11, 0x80000000, v11
	ds_write_b64 v16, v[10:11] offset:12512
; %bb.461:
	s_or_b64 exec, exec, s[0:1]
	s_waitcnt lgkmcnt(0)
	s_barrier
	s_barrier
	s_and_saveexec_b64 s[14:15], s[58:59]
	s_cbranch_execz .LBB32_463
; %bb.462:
	v_lshlrev_b32_e32 v31, 9, v0
	ds_read_b64 v[10:11], v31 offset:12512
	s_movk_i32 s0, 0xfe08
	v_mad_i32_i24 v32, v0, s0, v31
	s_waitcnt lgkmcnt(0)
	ds_write_b64 v32, v[10:11] offset:14528
	ds_read_b64 v[10:11], v31 offset:12520
	s_waitcnt lgkmcnt(0)
	ds_write_b64 v32, v[10:11] offset:15040
	ds_read_b64 v[10:11], v31 offset:12528
	;; [unrolled: 3-line block ×3, first 2 shown]
	s_waitcnt lgkmcnt(0)
	ds_write_b64 v32, v[10:11] offset:16064
.LBB32_463:
	s_or_b64 exec, exec, s[14:15]
	s_waitcnt lgkmcnt(0)
	s_barrier
	s_and_saveexec_b64 s[14:15], vcc
	s_cbranch_execz .LBB32_465
; %bb.464:
	v_mov_b32_e32 v33, 0
	ds_read_b64 v[31:32], v33 offset:14568
	v_mov_b32_e32 v34, 0x3ff00000
	ds_write_b64 v33, v[33:34] offset:14560
	s_waitcnt lgkmcnt(1)
	ds_write_b128 v33, v[31:34] offset:15072
.LBB32_465:
	s_or_b64 exec, exec, s[14:15]
	v_mov_b32_e32 v10, 0
	v_mov_b32_e32 v11, 0
	s_waitcnt lgkmcnt(0)
	s_barrier
	s_and_saveexec_b64 s[16:17], s[2:3]
	s_cbranch_execz .LBB32_469
; %bb.466:
	v_mul_u32_u24_e32 v31, 0x208, v15
	ds_read_b64 v[10:11], v12 offset:14576
	ds_read_b64 v[31:32], v31 offset:14560
	v_cmp_gt_u32_e64 s[14:15], 2, v14
	s_waitcnt lgkmcnt(0)
	v_fma_f64 v[10:11], v[10:11], v[31:32], 0
	s_and_saveexec_b64 s[20:21], s[14:15]
	s_cbranch_execz .LBB32_468
; %bb.467:
	v_lshlrev_b32_e32 v31, 3, v0
	v_mov_b32_e32 v33, 0
	ds_read_b64 v[31:32], v31 offset:15088
	ds_read_b64 v[33:34], v33 offset:14568
	s_waitcnt lgkmcnt(0)
	v_fma_f64 v[10:11], v[31:32], v[33:34], v[10:11]
.LBB32_468:
	s_or_b64 exec, exec, s[20:21]
	v_xor_b32_e32 v11, 0x80000000, v11
.LBB32_469:
	s_or_b64 exec, exec, s[16:17]
	s_and_saveexec_b64 s[0:1], s[34:35]
; %bb.470:
	ds_write_b64 v13, v[10:11]
; %bb.471:
	s_or_b64 exec, exec, s[0:1]
	s_waitcnt lgkmcnt(0)
	s_barrier
	s_and_saveexec_b64 s[0:1], s[30:31]
	s_cbranch_execz .LBB32_473
; %bb.472:
	v_mov_b32_e32 v31, 0
	ds_read_b64 v[31:32], v31 offset:15608
	ds_read_b64 v[33:34], v13
	s_waitcnt lgkmcnt(0)
	v_fma_f64 v[10:11], v[31:32], v[33:34], v[10:11]
.LBB32_473:
	s_or_b64 exec, exec, s[0:1]
	s_barrier
	s_and_saveexec_b64 s[0:1], s[30:31]
; %bb.474:
	ds_write_b64 v13, v[10:11]
; %bb.475:
	s_or_b64 exec, exec, s[0:1]
	s_waitcnt lgkmcnt(0)
	s_barrier
	s_barrier
	s_and_saveexec_b64 s[0:1], s[2:3]
; %bb.476:
	v_xor_b32_e32 v11, 0x80000000, v11
	ds_write_b64 v12, v[10:11] offset:14576
; %bb.477:
	s_or_b64 exec, exec, s[0:1]
	s_waitcnt lgkmcnt(0)
	s_barrier
	s_barrier
	s_and_saveexec_b64 s[14:15], s[36:37]
	s_cbranch_execz .LBB32_479
; %bb.478:
	v_lshlrev_b32_e32 v31, 3, v0
	s_movk_i32 s0, 0x1f8
	v_mad_u32_u24 v32, v0, s0, v31
	ds_read_b64 v[10:11], v32 offset:14576
	s_waitcnt lgkmcnt(0)
	ds_write_b64 v31, v[10:11] offset:15584
	ds_read_b64 v[10:11], v32 offset:14584
	s_waitcnt lgkmcnt(0)
	ds_write_b64 v31, v[10:11] offset:16096
.LBB32_479:
	s_or_b64 exec, exec, s[14:15]
	s_waitcnt lgkmcnt(0)
	s_barrier
	s_and_saveexec_b64 s[14:15], vcc
	s_cbranch_execz .LBB32_481
; %bb.480:
	v_mov_b32_e32 v33, 0
	ds_read_b64 v[31:32], v33 offset:15608
	v_mov_b32_e32 v34, 0x3ff00000
	ds_write_b64 v33, v[33:34] offset:15600
	s_waitcnt lgkmcnt(1)
	ds_write_b128 v33, v[31:34] offset:16112
.LBB32_481:
	s_or_b64 exec, exec, s[14:15]
	v_and_b32_e32 v33, 31, v0
	s_movk_i32 s0, 0x3ff
	v_lshrrev_b32_e32 v34, 5, v14
	v_cmp_lt_u32_e64 s[16:17], s0, v14
	s_movk_i32 s0, 0x400
	v_lshlrev_b32_e32 v32, 3, v33
	v_mov_b32_e32 v10, 0
	v_cmp_gt_u32_e64 s[14:15], s0, v14
	v_mov_b32_e32 v11, 0
	v_lshl_or_b32 v31, v34, 9, v32
	s_waitcnt lgkmcnt(0)
	s_barrier
	s_and_saveexec_b64 s[28:29], s[14:15]
	s_cbranch_execz .LBB32_543
; %bb.482:
	v_mul_u32_u24_e32 v35, 0x208, v34
	ds_read_b64 v[10:11], v31 offset:256
	ds_read_b64 v[36:37], v35
	s_movk_i32 s0, 0x3e0
	v_cmp_gt_u32_e64 s[20:21], s0, v14
	s_waitcnt lgkmcnt(0)
	v_fma_f64 v[10:11], v[10:11], v[36:37], 0
	s_and_saveexec_b64 s[0:1], s[20:21]
	s_cbranch_execz .LBB32_484
; %bb.483:
	ds_read_b64 v[36:37], v31 offset:768
	ds_read_b64 v[38:39], v35 offset:8
	s_waitcnt lgkmcnt(0)
	v_fma_f64 v[10:11], v[36:37], v[38:39], v[10:11]
.LBB32_484:
	s_or_b64 exec, exec, s[0:1]
	s_movk_i32 s0, 0x3c0
	v_cmp_gt_u32_e64 s[20:21], s0, v14
	s_and_saveexec_b64 s[0:1], s[20:21]
	s_cbranch_execz .LBB32_486
; %bb.485:
	ds_read_b64 v[36:37], v31 offset:1280
	ds_read_b64 v[38:39], v35 offset:16
	s_waitcnt lgkmcnt(0)
	v_fma_f64 v[10:11], v[36:37], v[38:39], v[10:11]
.LBB32_486:
	s_or_b64 exec, exec, s[0:1]
	s_movk_i32 s0, 0x3a0
	v_cmp_gt_u32_e64 s[20:21], s0, v14
	;; [unrolled: 11-line block ×28, first 2 shown]
	s_and_saveexec_b64 s[0:1], s[20:21]
	s_cbranch_execnz .LBB32_1194
; %bb.539:
	s_or_b64 exec, exec, s[0:1]
	v_cmp_gt_u32_e64 s[20:21], 64, v14
	s_and_saveexec_b64 s[0:1], s[20:21]
	s_cbranch_execnz .LBB32_1195
.LBB32_540:
	s_or_b64 exec, exec, s[0:1]
	v_cmp_gt_u32_e64 s[20:21], 32, v14
	s_and_saveexec_b64 s[0:1], s[20:21]
	s_cbranch_execz .LBB32_542
.LBB32_541:
	v_lshlrev_b32_e32 v35, 3, v0
	v_mov_b32_e32 v37, 0
	ds_read_b64 v[35:36], v35 offset:16128
	ds_read_b64 v[37:38], v37 offset:248
	s_waitcnt lgkmcnt(0)
	v_fma_f64 v[10:11], v[35:36], v[37:38], v[10:11]
.LBB32_542:
	s_or_b64 exec, exec, s[0:1]
	v_xor_b32_e32 v11, 0x80000000, v11
.LBB32_543:
	s_or_b64 exec, exec, s[28:29]
	v_mov_b32_e32 v35, 0x8000
	v_cmp_eq_u32_e64 s[20:21], 0, v33
	s_xor_b64 s[28:29], s[16:17], -1
	v_lshl_or_b32 v34, v34, 3, v35
	s_and_b64 s[16:17], s[28:29], s[20:21]
	s_and_saveexec_b64 s[0:1], s[16:17]
; %bb.544:
	ds_write_b64 v34, v[10:11]
; %bb.545:
	s_or_b64 exec, exec, s[0:1]
	v_cmp_ne_u32_e64 s[16:17], 0, v33
	s_and_b64 s[16:17], s[28:29], s[16:17]
	s_waitcnt lgkmcnt(0)
	s_barrier
	s_and_saveexec_b64 s[0:1], s[16:17]
	s_cbranch_execz .LBB32_547
; %bb.546:
	ds_read_b64 v[35:36], v32 offset:16640
	ds_read_b64 v[37:38], v34
	s_waitcnt lgkmcnt(0)
	v_fma_f64 v[10:11], v[35:36], v[37:38], v[10:11]
.LBB32_547:
	s_or_b64 exec, exec, s[0:1]
	v_cmp_eq_u32_e64 s[16:17], 1, v33
	s_and_b64 s[16:17], s[28:29], s[16:17]
	s_barrier
	s_and_saveexec_b64 s[0:1], s[16:17]
; %bb.548:
	ds_write_b64 v34, v[10:11]
; %bb.549:
	s_or_b64 exec, exec, s[0:1]
	v_cmp_lt_u32_e64 s[16:17], 1, v33
	s_and_b64 s[16:17], s[28:29], s[16:17]
	s_waitcnt lgkmcnt(0)
	s_barrier
	s_and_saveexec_b64 s[0:1], s[16:17]
	s_cbranch_execz .LBB32_551
; %bb.550:
	ds_read_b64 v[35:36], v32 offset:17152
	ds_read_b64 v[37:38], v34
	s_waitcnt lgkmcnt(0)
	v_fma_f64 v[10:11], v[35:36], v[37:38], v[10:11]
.LBB32_551:
	s_or_b64 exec, exec, s[0:1]
	v_cmp_eq_u32_e64 s[16:17], 2, v33
	s_and_b64 s[16:17], s[28:29], s[16:17]
	s_barrier
	s_and_saveexec_b64 s[0:1], s[16:17]
; %bb.552:
	ds_write_b64 v34, v[10:11]
; %bb.553:
	s_or_b64 exec, exec, s[0:1]
	v_cmp_lt_u32_e64 s[16:17], 2, v33
	;; [unrolled: 21-line block ×29, first 2 shown]
	s_and_b64 s[16:17], s[28:29], s[16:17]
	s_waitcnt lgkmcnt(0)
	s_barrier
	s_and_saveexec_b64 s[0:1], s[16:17]
	s_cbranch_execz .LBB32_663
; %bb.662:
	ds_read_b64 v[35:36], v32 offset:31488
	ds_read_b64 v[37:38], v34
	s_waitcnt lgkmcnt(0)
	v_fma_f64 v[10:11], v[35:36], v[37:38], v[10:11]
.LBB32_663:
	s_or_b64 exec, exec, s[0:1]
	v_cmp_eq_u32_e64 s[16:17], 30, v33
	s_and_b64 s[16:17], s[28:29], s[16:17]
	s_barrier
	s_and_saveexec_b64 s[0:1], s[16:17]
; %bb.664:
	ds_write_b64 v34, v[10:11]
; %bb.665:
	s_or_b64 exec, exec, s[0:1]
	v_cmp_eq_u32_e64 s[16:17], 31, v33
	s_and_b64 s[16:17], s[28:29], s[16:17]
	s_waitcnt lgkmcnt(0)
	s_barrier
	s_and_saveexec_b64 s[0:1], s[16:17]
	s_cbranch_execz .LBB32_667
; %bb.666:
	ds_read_b64 v[32:33], v32 offset:32000
	ds_read_b64 v[35:36], v34
	s_waitcnt lgkmcnt(0)
	v_fma_f64 v[10:11], v[32:33], v[35:36], v[10:11]
.LBB32_667:
	s_or_b64 exec, exec, s[0:1]
	s_barrier
	s_and_saveexec_b64 s[0:1], s[16:17]
; %bb.668:
	ds_write_b64 v34, v[10:11]
; %bb.669:
	s_or_b64 exec, exec, s[0:1]
	s_waitcnt lgkmcnt(0)
	s_barrier
	s_barrier
	s_and_saveexec_b64 s[0:1], s[14:15]
; %bb.670:
	v_xor_b32_e32 v11, 0x80000000, v11
	ds_write_b64 v31, v[10:11] offset:256
; %bb.671:
	s_or_b64 exec, exec, s[0:1]
	v_cmp_gt_u32_e64 s[14:15], 32, v0
	s_and_b64 s[0:1], s[12:13], s[14:15]
	s_waitcnt lgkmcnt(0)
	s_barrier
	s_barrier
	s_and_saveexec_b64 s[12:13], s[0:1]
	s_cbranch_execz .LBB32_673
; %bb.672:
	v_lshlrev_b32_e32 v31, 9, v0
	ds_read_b64 v[10:11], v31 offset:256
	s_movk_i32 s0, 0xfe08
	v_mad_i32_i24 v32, v0, s0, v31
	s_waitcnt lgkmcnt(0)
	ds_write_b64 v32, v[10:11] offset:16384
	ds_read_b64 v[10:11], v31 offset:264
	s_waitcnt lgkmcnt(0)
	ds_write_b64 v32, v[10:11] offset:16896
	ds_read_b64 v[10:11], v31 offset:272
	;; [unrolled: 3-line block ×31, first 2 shown]
	s_waitcnt lgkmcnt(0)
	ds_write_b64 v32, v[10:11] offset:32256
.LBB32_673:
	s_or_b64 exec, exec, s[12:13]
	s_waitcnt lgkmcnt(0)
	s_barrier
	s_and_saveexec_b64 s[12:13], vcc
	s_cbranch_execz .LBB32_675
; %bb.674:
	v_mov_b32_e32 v33, 0
	ds_read_b64 v[31:32], v33 offset:16648
	v_mov_b32_e32 v34, 0x3ff00000
	ds_write_b64 v33, v[33:34] offset:16640
	s_waitcnt lgkmcnt(1)
	ds_write_b128 v33, v[31:34] offset:17152
.LBB32_675:
	s_or_b64 exec, exec, s[12:13]
	v_mov_b32_e32 v10, 0
	v_mov_b32_e32 v11, 0
	s_waitcnt lgkmcnt(0)
	s_barrier
	s_and_saveexec_b64 s[14:15], s[2:3]
	s_cbranch_execz .LBB32_679
; %bb.676:
	v_mul_u32_u24_e32 v31, 0x208, v15
	ds_read_b64 v[10:11], v12 offset:16656
	ds_read_b64 v[31:32], v31 offset:16640
	v_cmp_gt_u32_e64 s[12:13], 2, v14
	s_waitcnt lgkmcnt(0)
	v_fma_f64 v[10:11], v[10:11], v[31:32], 0
	s_and_saveexec_b64 s[16:17], s[12:13]
	s_cbranch_execz .LBB32_678
; %bb.677:
	v_lshlrev_b32_e32 v31, 3, v0
	v_mov_b32_e32 v33, 0
	ds_read_b64 v[31:32], v31 offset:17168
	ds_read_b64 v[33:34], v33 offset:16648
	s_waitcnt lgkmcnt(0)
	v_fma_f64 v[10:11], v[31:32], v[33:34], v[10:11]
.LBB32_678:
	s_or_b64 exec, exec, s[16:17]
	v_xor_b32_e32 v11, 0x80000000, v11
.LBB32_679:
	s_or_b64 exec, exec, s[14:15]
	s_and_saveexec_b64 s[0:1], s[34:35]
; %bb.680:
	ds_write_b64 v13, v[10:11]
; %bb.681:
	s_or_b64 exec, exec, s[0:1]
	s_waitcnt lgkmcnt(0)
	s_barrier
	s_and_saveexec_b64 s[0:1], s[30:31]
	s_cbranch_execz .LBB32_683
; %bb.682:
	v_mov_b32_e32 v31, 0
	ds_read_b64 v[31:32], v31 offset:17688
	ds_read_b64 v[33:34], v13
	s_waitcnt lgkmcnt(0)
	v_fma_f64 v[10:11], v[31:32], v[33:34], v[10:11]
.LBB32_683:
	s_or_b64 exec, exec, s[0:1]
	s_barrier
	s_and_saveexec_b64 s[0:1], s[30:31]
; %bb.684:
	ds_write_b64 v13, v[10:11]
; %bb.685:
	s_or_b64 exec, exec, s[0:1]
	s_waitcnt lgkmcnt(0)
	s_barrier
	s_barrier
	s_and_saveexec_b64 s[0:1], s[2:3]
; %bb.686:
	v_xor_b32_e32 v11, 0x80000000, v11
	ds_write_b64 v12, v[10:11] offset:16656
; %bb.687:
	s_or_b64 exec, exec, s[0:1]
	s_waitcnt lgkmcnt(0)
	s_barrier
	s_barrier
	s_and_saveexec_b64 s[0:1], s[36:37]
	s_cbranch_execz .LBB32_689
; %bb.688:
	v_lshlrev_b32_e32 v31, 3, v0
	s_movk_i32 s12, 0x1f8
	v_mad_u32_u24 v32, v0, s12, v31
	ds_read_b64 v[10:11], v32 offset:16656
	s_waitcnt lgkmcnt(0)
	ds_write_b64 v31, v[10:11] offset:17664
	ds_read_b64 v[10:11], v32 offset:16664
	s_waitcnt lgkmcnt(0)
	ds_write_b64 v31, v[10:11] offset:18176
.LBB32_689:
	s_or_b64 exec, exec, s[0:1]
	s_waitcnt lgkmcnt(0)
	s_barrier
	s_and_saveexec_b64 s[12:13], vcc
	s_cbranch_execz .LBB32_691
; %bb.690:
	v_mov_b32_e32 v33, 0
	ds_read_b64 v[31:32], v33 offset:17688
	v_mov_b32_e32 v34, 0x3ff00000
	ds_write_b64 v33, v[33:34] offset:17680
	s_waitcnt lgkmcnt(1)
	ds_write_b128 v33, v[31:34] offset:18192
.LBB32_691:
	s_or_b64 exec, exec, s[12:13]
	v_mov_b32_e32 v10, 0
	v_mov_b32_e32 v11, 0
	s_waitcnt lgkmcnt(0)
	s_barrier
	s_and_saveexec_b64 s[14:15], s[18:19]
	s_cbranch_execz .LBB32_697
; %bb.692:
	v_mul_u32_u24_e32 v31, 0x208, v20
	ds_read_b64 v[10:11], v16 offset:16672
	ds_read_b64 v[32:33], v31 offset:16640
	v_cmp_gt_u32_e64 s[12:13], 12, v14
	s_waitcnt lgkmcnt(0)
	v_fma_f64 v[10:11], v[10:11], v[32:33], 0
	s_and_saveexec_b64 s[16:17], s[12:13]
	s_cbranch_execnz .LBB32_1196
; %bb.693:
	s_or_b64 exec, exec, s[16:17]
	v_cmp_gt_u32_e64 s[12:13], 8, v14
	s_and_saveexec_b64 s[0:1], s[12:13]
	s_cbranch_execnz .LBB32_1197
.LBB32_694:
	s_or_b64 exec, exec, s[0:1]
	v_cmp_gt_u32_e64 s[12:13], 4, v14
	s_and_saveexec_b64 s[0:1], s[12:13]
	s_cbranch_execz .LBB32_696
.LBB32_695:
	v_lshlrev_b32_e32 v31, 3, v0
	v_mov_b32_e32 v33, 0
	ds_read_b64 v[31:32], v31 offset:18208
	ds_read_b64 v[33:34], v33 offset:16664
	s_waitcnt lgkmcnt(0)
	v_fma_f64 v[10:11], v[31:32], v[33:34], v[10:11]
.LBB32_696:
	s_or_b64 exec, exec, s[0:1]
	v_xor_b32_e32 v11, 0x80000000, v11
.LBB32_697:
	s_or_b64 exec, exec, s[14:15]
	s_and_saveexec_b64 s[0:1], s[42:43]
; %bb.698:
	ds_write_b64 v18, v[10:11]
; %bb.699:
	s_or_b64 exec, exec, s[0:1]
	s_waitcnt lgkmcnt(0)
	s_barrier
	s_and_saveexec_b64 s[0:1], s[44:45]
	s_cbranch_execz .LBB32_701
; %bb.700:
	ds_read_b64 v[31:32], v17 offset:18720
	ds_read_b64 v[33:34], v18
	s_waitcnt lgkmcnt(0)
	v_fma_f64 v[10:11], v[31:32], v[33:34], v[10:11]
.LBB32_701:
	s_or_b64 exec, exec, s[0:1]
	s_barrier
	s_and_saveexec_b64 s[0:1], s[52:53]
; %bb.702:
	ds_write_b64 v18, v[10:11]
; %bb.703:
	s_or_b64 exec, exec, s[0:1]
	s_waitcnt lgkmcnt(0)
	s_barrier
	s_and_saveexec_b64 s[0:1], s[54:55]
	s_cbranch_execz .LBB32_705
; %bb.704:
	ds_read_b64 v[31:32], v17 offset:19232
	ds_read_b64 v[33:34], v18
	s_waitcnt lgkmcnt(0)
	v_fma_f64 v[10:11], v[31:32], v[33:34], v[10:11]
.LBB32_705:
	s_or_b64 exec, exec, s[0:1]
	s_barrier
	s_and_saveexec_b64 s[0:1], s[56:57]
; %bb.706:
	ds_write_b64 v18, v[10:11]
; %bb.707:
	s_or_b64 exec, exec, s[0:1]
	s_waitcnt lgkmcnt(0)
	s_barrier
	s_and_saveexec_b64 s[0:1], s[38:39]
	s_cbranch_execz .LBB32_709
; %bb.708:
	v_mov_b32_e32 v31, 0
	ds_read_b64 v[31:32], v31 offset:19768
	ds_read_b64 v[33:34], v18
	s_waitcnt lgkmcnt(0)
	v_fma_f64 v[10:11], v[31:32], v[33:34], v[10:11]
.LBB32_709:
	s_or_b64 exec, exec, s[0:1]
	s_barrier
	s_and_saveexec_b64 s[0:1], s[38:39]
; %bb.710:
	ds_write_b64 v18, v[10:11]
; %bb.711:
	s_or_b64 exec, exec, s[0:1]
	s_waitcnt lgkmcnt(0)
	s_barrier
	s_barrier
	s_and_saveexec_b64 s[0:1], s[18:19]
; %bb.712:
	v_xor_b32_e32 v11, 0x80000000, v11
	ds_write_b64 v16, v[10:11] offset:16672
; %bb.713:
	s_or_b64 exec, exec, s[0:1]
	s_waitcnt lgkmcnt(0)
	s_barrier
	s_barrier
	s_and_saveexec_b64 s[12:13], s[58:59]
	s_cbranch_execz .LBB32_715
; %bb.714:
	v_lshlrev_b32_e32 v31, 9, v0
	ds_read_b64 v[10:11], v31 offset:16672
	s_movk_i32 s0, 0xfe08
	v_mad_i32_i24 v32, v0, s0, v31
	s_waitcnt lgkmcnt(0)
	ds_write_b64 v32, v[10:11] offset:18688
	ds_read_b64 v[10:11], v31 offset:16680
	s_waitcnt lgkmcnt(0)
	ds_write_b64 v32, v[10:11] offset:19200
	ds_read_b64 v[10:11], v31 offset:16688
	;; [unrolled: 3-line block ×3, first 2 shown]
	s_waitcnt lgkmcnt(0)
	ds_write_b64 v32, v[10:11] offset:20224
.LBB32_715:
	s_or_b64 exec, exec, s[12:13]
	s_waitcnt lgkmcnt(0)
	s_barrier
	s_and_saveexec_b64 s[12:13], vcc
	s_cbranch_execz .LBB32_717
; %bb.716:
	v_mov_b32_e32 v33, 0
	ds_read_b64 v[31:32], v33 offset:18728
	v_mov_b32_e32 v34, 0x3ff00000
	ds_write_b64 v33, v[33:34] offset:18720
	s_waitcnt lgkmcnt(1)
	ds_write_b128 v33, v[31:34] offset:19232
.LBB32_717:
	s_or_b64 exec, exec, s[12:13]
	v_mov_b32_e32 v10, 0
	v_mov_b32_e32 v11, 0
	s_waitcnt lgkmcnt(0)
	s_barrier
	s_and_saveexec_b64 s[14:15], s[2:3]
	s_cbranch_execz .LBB32_721
; %bb.718:
	v_mul_u32_u24_e32 v31, 0x208, v15
	ds_read_b64 v[10:11], v12 offset:18736
	ds_read_b64 v[31:32], v31 offset:18720
	v_cmp_gt_u32_e64 s[12:13], 2, v14
	s_waitcnt lgkmcnt(0)
	v_fma_f64 v[10:11], v[10:11], v[31:32], 0
	s_and_saveexec_b64 s[16:17], s[12:13]
	s_cbranch_execz .LBB32_720
; %bb.719:
	v_lshlrev_b32_e32 v31, 3, v0
	v_mov_b32_e32 v33, 0
	ds_read_b64 v[31:32], v31 offset:19248
	ds_read_b64 v[33:34], v33 offset:18728
	s_waitcnt lgkmcnt(0)
	v_fma_f64 v[10:11], v[31:32], v[33:34], v[10:11]
.LBB32_720:
	s_or_b64 exec, exec, s[16:17]
	v_xor_b32_e32 v11, 0x80000000, v11
.LBB32_721:
	s_or_b64 exec, exec, s[14:15]
	s_and_saveexec_b64 s[0:1], s[34:35]
; %bb.722:
	ds_write_b64 v13, v[10:11]
; %bb.723:
	s_or_b64 exec, exec, s[0:1]
	s_waitcnt lgkmcnt(0)
	s_barrier
	s_and_saveexec_b64 s[0:1], s[30:31]
	s_cbranch_execz .LBB32_725
; %bb.724:
	v_mov_b32_e32 v31, 0
	ds_read_b64 v[31:32], v31 offset:19768
	ds_read_b64 v[33:34], v13
	s_waitcnt lgkmcnt(0)
	v_fma_f64 v[10:11], v[31:32], v[33:34], v[10:11]
.LBB32_725:
	s_or_b64 exec, exec, s[0:1]
	s_barrier
	s_and_saveexec_b64 s[0:1], s[30:31]
; %bb.726:
	ds_write_b64 v13, v[10:11]
; %bb.727:
	s_or_b64 exec, exec, s[0:1]
	s_waitcnt lgkmcnt(0)
	s_barrier
	s_barrier
	s_and_saveexec_b64 s[0:1], s[2:3]
; %bb.728:
	v_xor_b32_e32 v11, 0x80000000, v11
	ds_write_b64 v12, v[10:11] offset:18736
; %bb.729:
	s_or_b64 exec, exec, s[0:1]
	s_waitcnt lgkmcnt(0)
	s_barrier
	s_barrier
	s_and_saveexec_b64 s[0:1], s[36:37]
	s_cbranch_execz .LBB32_731
; %bb.730:
	v_lshlrev_b32_e32 v31, 3, v0
	s_movk_i32 s12, 0x1f8
	v_mad_u32_u24 v32, v0, s12, v31
	ds_read_b64 v[10:11], v32 offset:18736
	s_waitcnt lgkmcnt(0)
	ds_write_b64 v31, v[10:11] offset:19744
	ds_read_b64 v[10:11], v32 offset:18744
	s_waitcnt lgkmcnt(0)
	ds_write_b64 v31, v[10:11] offset:20256
.LBB32_731:
	s_or_b64 exec, exec, s[0:1]
	s_waitcnt lgkmcnt(0)
	s_barrier
	s_and_saveexec_b64 s[12:13], vcc
	s_cbranch_execz .LBB32_733
; %bb.732:
	v_mov_b32_e32 v33, 0
	ds_read_b64 v[31:32], v33 offset:19768
	v_mov_b32_e32 v34, 0x3ff00000
	ds_write_b64 v33, v[33:34] offset:19760
	s_waitcnt lgkmcnt(1)
	ds_write_b128 v33, v[31:34] offset:20272
.LBB32_733:
	s_or_b64 exec, exec, s[12:13]
	v_mov_b32_e32 v10, 0
	v_mov_b32_e32 v11, 0
	s_waitcnt lgkmcnt(0)
	s_barrier
	s_and_saveexec_b64 s[14:15], s[8:9]
	s_cbranch_execz .LBB32_743
; %bb.734:
	v_mul_u32_u24_e32 v31, 0x208, v25
	ds_read_b64 v[10:11], v21 offset:16704
	ds_read_b64 v[32:33], v31 offset:16640
	v_cmp_gt_u32_e64 s[12:13], 56, v14
	s_waitcnt lgkmcnt(0)
	v_fma_f64 v[10:11], v[10:11], v[32:33], 0
	s_and_saveexec_b64 s[16:17], s[12:13]
	s_cbranch_execnz .LBB32_1198
; %bb.735:
	s_or_b64 exec, exec, s[16:17]
	v_cmp_gt_u32_e64 s[12:13], 48, v14
	s_and_saveexec_b64 s[0:1], s[12:13]
	s_cbranch_execnz .LBB32_1199
.LBB32_736:
	s_or_b64 exec, exec, s[0:1]
	v_cmp_gt_u32_e64 s[12:13], 40, v14
	s_and_saveexec_b64 s[0:1], s[12:13]
	s_cbranch_execnz .LBB32_1200
.LBB32_737:
	s_or_b64 exec, exec, s[0:1]
	v_cmp_gt_u32_e64 s[12:13], 32, v14
	s_and_saveexec_b64 s[0:1], s[12:13]
	s_cbranch_execnz .LBB32_1201
.LBB32_738:
	s_or_b64 exec, exec, s[0:1]
	v_cmp_gt_u32_e64 s[12:13], 24, v14
	s_and_saveexec_b64 s[0:1], s[12:13]
	s_cbranch_execnz .LBB32_1202
.LBB32_739:
	s_or_b64 exec, exec, s[0:1]
	v_cmp_gt_u32_e64 s[12:13], 16, v14
	s_and_saveexec_b64 s[0:1], s[12:13]
	s_cbranch_execnz .LBB32_1203
.LBB32_740:
	s_or_b64 exec, exec, s[0:1]
	v_cmp_gt_u32_e64 s[12:13], 8, v14
	s_and_saveexec_b64 s[0:1], s[12:13]
	s_cbranch_execz .LBB32_742
.LBB32_741:
	v_lshlrev_b32_e32 v31, 3, v0
	v_mov_b32_e32 v33, 0
	ds_read_b64 v[31:32], v31 offset:20288
	ds_read_b64 v[33:34], v33 offset:16696
	s_waitcnt lgkmcnt(0)
	v_fma_f64 v[10:11], v[31:32], v[33:34], v[10:11]
.LBB32_742:
	s_or_b64 exec, exec, s[0:1]
	v_xor_b32_e32 v11, 0x80000000, v11
.LBB32_743:
	s_or_b64 exec, exec, s[14:15]
	s_and_saveexec_b64 s[0:1], s[60:61]
; %bb.744:
	ds_write_b64 v23, v[10:11]
; %bb.745:
	s_or_b64 exec, exec, s[0:1]
	s_waitcnt lgkmcnt(0)
	s_barrier
	s_and_saveexec_b64 s[0:1], s[62:63]
	s_cbranch_execz .LBB32_747
; %bb.746:
	ds_read_b64 v[31:32], v22 offset:20800
	ds_read_b64 v[33:34], v23
	s_waitcnt lgkmcnt(0)
	v_fma_f64 v[10:11], v[31:32], v[33:34], v[10:11]
.LBB32_747:
	s_or_b64 exec, exec, s[0:1]
	s_barrier
	s_and_saveexec_b64 s[0:1], s[64:65]
; %bb.748:
	ds_write_b64 v23, v[10:11]
; %bb.749:
	s_or_b64 exec, exec, s[0:1]
	s_waitcnt lgkmcnt(0)
	s_barrier
	s_and_saveexec_b64 s[0:1], s[66:67]
	s_cbranch_execz .LBB32_751
; %bb.750:
	ds_read_b64 v[31:32], v22 offset:21312
	ds_read_b64 v[33:34], v23
	s_waitcnt lgkmcnt(0)
	v_fma_f64 v[10:11], v[31:32], v[33:34], v[10:11]
.LBB32_751:
	s_or_b64 exec, exec, s[0:1]
	s_barrier
	;; [unrolled: 17-line block ×6, first 2 shown]
	s_and_saveexec_b64 s[0:1], s[86:87]
; %bb.768:
	ds_write_b64 v23, v[10:11]
; %bb.769:
	s_or_b64 exec, exec, s[0:1]
	s_waitcnt lgkmcnt(0)
	s_barrier
	s_and_saveexec_b64 s[0:1], s[70:71]
	s_cbranch_execz .LBB32_771
; %bb.770:
	v_mov_b32_e32 v31, 0
	ds_read_b64 v[31:32], v31 offset:23928
	ds_read_b64 v[33:34], v23
	s_waitcnt lgkmcnt(0)
	v_fma_f64 v[10:11], v[31:32], v[33:34], v[10:11]
.LBB32_771:
	s_or_b64 exec, exec, s[0:1]
	s_barrier
	s_and_saveexec_b64 s[0:1], s[70:71]
; %bb.772:
	ds_write_b64 v23, v[10:11]
; %bb.773:
	s_or_b64 exec, exec, s[0:1]
	s_waitcnt lgkmcnt(0)
	s_barrier
	s_barrier
	s_and_saveexec_b64 s[0:1], s[8:9]
; %bb.774:
	v_xor_b32_e32 v11, 0x80000000, v11
	ds_write_b64 v21, v[10:11] offset:16704
; %bb.775:
	s_or_b64 exec, exec, s[0:1]
	s_waitcnt lgkmcnt(0)
	s_barrier
	s_barrier
	s_and_saveexec_b64 s[12:13], s[88:89]
	s_cbranch_execz .LBB32_777
; %bb.776:
	v_lshlrev_b32_e32 v31, 9, v0
	ds_read_b64 v[10:11], v31 offset:16704
	s_movk_i32 s0, 0xfe08
	v_mad_i32_i24 v32, v0, s0, v31
	s_waitcnt lgkmcnt(0)
	ds_write_b64 v32, v[10:11] offset:20736
	ds_read_b64 v[10:11], v31 offset:16712
	s_waitcnt lgkmcnt(0)
	ds_write_b64 v32, v[10:11] offset:21248
	ds_read_b64 v[10:11], v31 offset:16720
	;; [unrolled: 3-line block ×7, first 2 shown]
	s_waitcnt lgkmcnt(0)
	ds_write_b64 v32, v[10:11] offset:24320
.LBB32_777:
	s_or_b64 exec, exec, s[12:13]
	s_waitcnt lgkmcnt(0)
	s_barrier
	s_and_saveexec_b64 s[12:13], vcc
	s_cbranch_execz .LBB32_779
; %bb.778:
	v_mov_b32_e32 v33, 0
	ds_read_b64 v[31:32], v33 offset:20808
	v_mov_b32_e32 v34, 0x3ff00000
	ds_write_b64 v33, v[33:34] offset:20800
	s_waitcnt lgkmcnt(1)
	ds_write_b128 v33, v[31:34] offset:21312
.LBB32_779:
	s_or_b64 exec, exec, s[12:13]
	v_mov_b32_e32 v10, 0
	v_mov_b32_e32 v11, 0
	s_waitcnt lgkmcnt(0)
	s_barrier
	s_and_saveexec_b64 s[14:15], s[2:3]
	s_cbranch_execz .LBB32_783
; %bb.780:
	v_mul_u32_u24_e32 v31, 0x208, v15
	ds_read_b64 v[10:11], v12 offset:20816
	ds_read_b64 v[31:32], v31 offset:20800
	v_cmp_gt_u32_e64 s[12:13], 2, v14
	s_waitcnt lgkmcnt(0)
	v_fma_f64 v[10:11], v[10:11], v[31:32], 0
	s_and_saveexec_b64 s[16:17], s[12:13]
	s_cbranch_execz .LBB32_782
; %bb.781:
	v_lshlrev_b32_e32 v31, 3, v0
	v_mov_b32_e32 v33, 0
	ds_read_b64 v[31:32], v31 offset:21328
	ds_read_b64 v[33:34], v33 offset:20808
	s_waitcnt lgkmcnt(0)
	v_fma_f64 v[10:11], v[31:32], v[33:34], v[10:11]
.LBB32_782:
	s_or_b64 exec, exec, s[16:17]
	v_xor_b32_e32 v11, 0x80000000, v11
.LBB32_783:
	s_or_b64 exec, exec, s[14:15]
	s_and_saveexec_b64 s[0:1], s[34:35]
; %bb.784:
	ds_write_b64 v13, v[10:11]
; %bb.785:
	s_or_b64 exec, exec, s[0:1]
	s_waitcnt lgkmcnt(0)
	s_barrier
	s_and_saveexec_b64 s[0:1], s[30:31]
	s_cbranch_execz .LBB32_787
; %bb.786:
	v_mov_b32_e32 v31, 0
	ds_read_b64 v[31:32], v31 offset:21848
	ds_read_b64 v[33:34], v13
	s_waitcnt lgkmcnt(0)
	v_fma_f64 v[10:11], v[31:32], v[33:34], v[10:11]
.LBB32_787:
	s_or_b64 exec, exec, s[0:1]
	s_barrier
	s_and_saveexec_b64 s[0:1], s[30:31]
; %bb.788:
	ds_write_b64 v13, v[10:11]
; %bb.789:
	s_or_b64 exec, exec, s[0:1]
	s_waitcnt lgkmcnt(0)
	s_barrier
	s_barrier
	s_and_saveexec_b64 s[0:1], s[2:3]
; %bb.790:
	v_xor_b32_e32 v11, 0x80000000, v11
	ds_write_b64 v12, v[10:11] offset:20816
; %bb.791:
	s_or_b64 exec, exec, s[0:1]
	s_waitcnt lgkmcnt(0)
	s_barrier
	s_barrier
	s_and_saveexec_b64 s[0:1], s[36:37]
	s_cbranch_execz .LBB32_793
; %bb.792:
	v_lshlrev_b32_e32 v31, 3, v0
	s_movk_i32 s12, 0x1f8
	v_mad_u32_u24 v32, v0, s12, v31
	ds_read_b64 v[10:11], v32 offset:20816
	s_waitcnt lgkmcnt(0)
	ds_write_b64 v31, v[10:11] offset:21824
	ds_read_b64 v[10:11], v32 offset:20824
	s_waitcnt lgkmcnt(0)
	ds_write_b64 v31, v[10:11] offset:22336
.LBB32_793:
	s_or_b64 exec, exec, s[0:1]
	s_waitcnt lgkmcnt(0)
	s_barrier
	s_and_saveexec_b64 s[12:13], vcc
	s_cbranch_execz .LBB32_795
; %bb.794:
	v_mov_b32_e32 v33, 0
	ds_read_b64 v[31:32], v33 offset:21848
	v_mov_b32_e32 v34, 0x3ff00000
	ds_write_b64 v33, v[33:34] offset:21840
	s_waitcnt lgkmcnt(1)
	ds_write_b128 v33, v[31:34] offset:22352
.LBB32_795:
	s_or_b64 exec, exec, s[12:13]
	v_mov_b32_e32 v10, 0
	v_mov_b32_e32 v11, 0
	s_waitcnt lgkmcnt(0)
	s_barrier
	s_and_saveexec_b64 s[14:15], s[18:19]
	s_cbranch_execz .LBB32_801
; %bb.796:
	v_mul_u32_u24_e32 v31, 0x208, v20
	ds_read_b64 v[10:11], v16 offset:20832
	ds_read_b64 v[32:33], v31 offset:20800
	v_cmp_gt_u32_e64 s[12:13], 12, v14
	s_waitcnt lgkmcnt(0)
	v_fma_f64 v[10:11], v[10:11], v[32:33], 0
	s_and_saveexec_b64 s[16:17], s[12:13]
	s_cbranch_execnz .LBB32_1204
; %bb.797:
	s_or_b64 exec, exec, s[16:17]
	v_cmp_gt_u32_e64 s[12:13], 8, v14
	s_and_saveexec_b64 s[0:1], s[12:13]
	s_cbranch_execnz .LBB32_1205
.LBB32_798:
	s_or_b64 exec, exec, s[0:1]
	v_cmp_gt_u32_e64 s[12:13], 4, v14
	s_and_saveexec_b64 s[0:1], s[12:13]
	s_cbranch_execz .LBB32_800
.LBB32_799:
	v_lshlrev_b32_e32 v31, 3, v0
	v_mov_b32_e32 v33, 0
	ds_read_b64 v[31:32], v31 offset:22368
	ds_read_b64 v[33:34], v33 offset:20824
	s_waitcnt lgkmcnt(0)
	v_fma_f64 v[10:11], v[31:32], v[33:34], v[10:11]
.LBB32_800:
	s_or_b64 exec, exec, s[0:1]
	v_xor_b32_e32 v11, 0x80000000, v11
.LBB32_801:
	s_or_b64 exec, exec, s[14:15]
	s_and_saveexec_b64 s[0:1], s[42:43]
; %bb.802:
	ds_write_b64 v18, v[10:11]
; %bb.803:
	s_or_b64 exec, exec, s[0:1]
	s_waitcnt lgkmcnt(0)
	s_barrier
	s_and_saveexec_b64 s[0:1], s[44:45]
	s_cbranch_execz .LBB32_805
; %bb.804:
	ds_read_b64 v[31:32], v17 offset:22880
	ds_read_b64 v[33:34], v18
	s_waitcnt lgkmcnt(0)
	v_fma_f64 v[10:11], v[31:32], v[33:34], v[10:11]
.LBB32_805:
	s_or_b64 exec, exec, s[0:1]
	s_barrier
	s_and_saveexec_b64 s[0:1], s[52:53]
; %bb.806:
	ds_write_b64 v18, v[10:11]
; %bb.807:
	s_or_b64 exec, exec, s[0:1]
	s_waitcnt lgkmcnt(0)
	s_barrier
	s_and_saveexec_b64 s[0:1], s[54:55]
	s_cbranch_execz .LBB32_809
; %bb.808:
	ds_read_b64 v[31:32], v17 offset:23392
	ds_read_b64 v[33:34], v18
	s_waitcnt lgkmcnt(0)
	v_fma_f64 v[10:11], v[31:32], v[33:34], v[10:11]
.LBB32_809:
	s_or_b64 exec, exec, s[0:1]
	s_barrier
	s_and_saveexec_b64 s[0:1], s[56:57]
; %bb.810:
	ds_write_b64 v18, v[10:11]
; %bb.811:
	s_or_b64 exec, exec, s[0:1]
	s_waitcnt lgkmcnt(0)
	s_barrier
	s_and_saveexec_b64 s[0:1], s[38:39]
	s_cbranch_execz .LBB32_813
; %bb.812:
	v_mov_b32_e32 v31, 0
	ds_read_b64 v[31:32], v31 offset:23928
	ds_read_b64 v[33:34], v18
	s_waitcnt lgkmcnt(0)
	v_fma_f64 v[10:11], v[31:32], v[33:34], v[10:11]
.LBB32_813:
	s_or_b64 exec, exec, s[0:1]
	s_barrier
	s_and_saveexec_b64 s[0:1], s[38:39]
; %bb.814:
	ds_write_b64 v18, v[10:11]
; %bb.815:
	s_or_b64 exec, exec, s[0:1]
	s_waitcnt lgkmcnt(0)
	s_barrier
	s_barrier
	s_and_saveexec_b64 s[0:1], s[18:19]
; %bb.816:
	v_xor_b32_e32 v11, 0x80000000, v11
	ds_write_b64 v16, v[10:11] offset:20832
; %bb.817:
	s_or_b64 exec, exec, s[0:1]
	s_waitcnt lgkmcnt(0)
	s_barrier
	s_barrier
	s_and_saveexec_b64 s[12:13], s[58:59]
	s_cbranch_execz .LBB32_819
; %bb.818:
	v_lshlrev_b32_e32 v31, 9, v0
	ds_read_b64 v[10:11], v31 offset:20832
	s_movk_i32 s0, 0xfe08
	v_mad_i32_i24 v32, v0, s0, v31
	s_waitcnt lgkmcnt(0)
	ds_write_b64 v32, v[10:11] offset:22848
	ds_read_b64 v[10:11], v31 offset:20840
	s_waitcnt lgkmcnt(0)
	ds_write_b64 v32, v[10:11] offset:23360
	ds_read_b64 v[10:11], v31 offset:20848
	;; [unrolled: 3-line block ×3, first 2 shown]
	s_waitcnt lgkmcnt(0)
	ds_write_b64 v32, v[10:11] offset:24384
.LBB32_819:
	s_or_b64 exec, exec, s[12:13]
	s_waitcnt lgkmcnt(0)
	s_barrier
	s_and_saveexec_b64 s[12:13], vcc
	s_cbranch_execz .LBB32_821
; %bb.820:
	v_mov_b32_e32 v33, 0
	ds_read_b64 v[31:32], v33 offset:22888
	v_mov_b32_e32 v34, 0x3ff00000
	ds_write_b64 v33, v[33:34] offset:22880
	s_waitcnt lgkmcnt(1)
	ds_write_b128 v33, v[31:34] offset:23392
.LBB32_821:
	s_or_b64 exec, exec, s[12:13]
	v_mov_b32_e32 v10, 0
	v_mov_b32_e32 v11, 0
	s_waitcnt lgkmcnt(0)
	s_barrier
	s_and_saveexec_b64 s[14:15], s[2:3]
	s_cbranch_execz .LBB32_825
; %bb.822:
	v_mul_u32_u24_e32 v31, 0x208, v15
	ds_read_b64 v[10:11], v12 offset:22896
	ds_read_b64 v[31:32], v31 offset:22880
	v_cmp_gt_u32_e64 s[12:13], 2, v14
	s_waitcnt lgkmcnt(0)
	v_fma_f64 v[10:11], v[10:11], v[31:32], 0
	s_and_saveexec_b64 s[16:17], s[12:13]
	s_cbranch_execz .LBB32_824
; %bb.823:
	v_lshlrev_b32_e32 v31, 3, v0
	v_mov_b32_e32 v33, 0
	ds_read_b64 v[31:32], v31 offset:23408
	ds_read_b64 v[33:34], v33 offset:22888
	s_waitcnt lgkmcnt(0)
	v_fma_f64 v[10:11], v[31:32], v[33:34], v[10:11]
.LBB32_824:
	s_or_b64 exec, exec, s[16:17]
	v_xor_b32_e32 v11, 0x80000000, v11
.LBB32_825:
	s_or_b64 exec, exec, s[14:15]
	s_and_saveexec_b64 s[0:1], s[34:35]
; %bb.826:
	ds_write_b64 v13, v[10:11]
; %bb.827:
	s_or_b64 exec, exec, s[0:1]
	s_waitcnt lgkmcnt(0)
	s_barrier
	s_and_saveexec_b64 s[0:1], s[30:31]
	s_cbranch_execz .LBB32_829
; %bb.828:
	v_mov_b32_e32 v31, 0
	ds_read_b64 v[31:32], v31 offset:23928
	ds_read_b64 v[33:34], v13
	s_waitcnt lgkmcnt(0)
	v_fma_f64 v[10:11], v[31:32], v[33:34], v[10:11]
.LBB32_829:
	s_or_b64 exec, exec, s[0:1]
	s_barrier
	s_and_saveexec_b64 s[0:1], s[30:31]
; %bb.830:
	ds_write_b64 v13, v[10:11]
; %bb.831:
	s_or_b64 exec, exec, s[0:1]
	s_waitcnt lgkmcnt(0)
	s_barrier
	s_barrier
	s_and_saveexec_b64 s[0:1], s[2:3]
; %bb.832:
	v_xor_b32_e32 v11, 0x80000000, v11
	ds_write_b64 v12, v[10:11] offset:22896
; %bb.833:
	s_or_b64 exec, exec, s[0:1]
	s_waitcnt lgkmcnt(0)
	s_barrier
	s_barrier
	s_and_saveexec_b64 s[0:1], s[36:37]
	s_cbranch_execz .LBB32_835
; %bb.834:
	v_lshlrev_b32_e32 v31, 3, v0
	s_movk_i32 s12, 0x1f8
	v_mad_u32_u24 v32, v0, s12, v31
	ds_read_b64 v[10:11], v32 offset:22896
	s_waitcnt lgkmcnt(0)
	ds_write_b64 v31, v[10:11] offset:23904
	ds_read_b64 v[10:11], v32 offset:22904
	s_waitcnt lgkmcnt(0)
	ds_write_b64 v31, v[10:11] offset:24416
.LBB32_835:
	s_or_b64 exec, exec, s[0:1]
	s_waitcnt lgkmcnt(0)
	s_barrier
	s_and_saveexec_b64 s[12:13], vcc
	s_cbranch_execz .LBB32_837
; %bb.836:
	v_mov_b32_e32 v33, 0
	ds_read_b64 v[31:32], v33 offset:23928
	v_mov_b32_e32 v34, 0x3ff00000
	ds_write_b64 v33, v[33:34] offset:23920
	s_waitcnt lgkmcnt(1)
	ds_write_b128 v33, v[31:34] offset:24432
.LBB32_837:
	s_or_b64 exec, exec, s[12:13]
	v_mov_b32_e32 v10, 0
	v_mov_b32_e32 v11, 0
	s_waitcnt lgkmcnt(0)
	s_barrier
	s_and_saveexec_b64 s[14:15], s[10:11]
	s_cbranch_execz .LBB32_865
; %bb.838:
	v_mul_u32_u24_e32 v31, 0x208, v30
	ds_read_b64 v[10:11], v26 offset:16768
	ds_read_b64 v[32:33], v31 offset:16640
	s_movk_i32 s0, 0xf0
	v_cmp_gt_u32_e64 s[12:13], s0, v14
	s_waitcnt lgkmcnt(0)
	v_fma_f64 v[10:11], v[10:11], v[32:33], 0
	s_and_saveexec_b64 s[16:17], s[12:13]
	s_cbranch_execz .LBB32_840
; %bb.839:
	v_lshlrev_b32_e32 v32, 3, v30
	v_sub_u32_e32 v32, v31, v32
	v_lshl_add_u32 v32, v27, 3, v32
	ds_read_b64 v[32:33], v32 offset:17280
	ds_read_b64 v[34:35], v31 offset:16648
	s_waitcnt lgkmcnt(0)
	v_fma_f64 v[10:11], v[32:33], v[34:35], v[10:11]
.LBB32_840:
	s_or_b64 exec, exec, s[16:17]
	s_movk_i32 s0, 0xe0
	v_cmp_gt_u32_e64 s[12:13], s0, v14
	s_and_saveexec_b64 s[0:1], s[12:13]
	s_cbranch_execz .LBB32_842
; %bb.841:
	v_lshlrev_b32_e32 v32, 3, v30
	v_sub_u32_e32 v32, v31, v32
	v_lshl_add_u32 v32, v27, 3, v32
	ds_read_b64 v[32:33], v32 offset:17792
	ds_read_b64 v[34:35], v31 offset:16656
	s_waitcnt lgkmcnt(0)
	v_fma_f64 v[10:11], v[32:33], v[34:35], v[10:11]
.LBB32_842:
	s_or_b64 exec, exec, s[0:1]
	s_movk_i32 s0, 0xd0
	v_cmp_gt_u32_e64 s[12:13], s0, v14
	;; [unrolled: 14-line block ×7, first 2 shown]
	s_and_saveexec_b64 s[0:1], s[12:13]
	s_cbranch_execz .LBB32_854
; %bb.853:
	ds_read_b64 v[32:33], v26 offset:20864
	ds_read_b64 v[34:35], v31 offset:16704
	s_waitcnt lgkmcnt(0)
	v_fma_f64 v[10:11], v[32:33], v[34:35], v[10:11]
.LBB32_854:
	s_or_b64 exec, exec, s[0:1]
	s_movk_i32 s0, 0x70
	v_cmp_gt_u32_e64 s[12:13], s0, v14
	s_and_saveexec_b64 s[0:1], s[12:13]
	s_cbranch_execz .LBB32_856
; %bb.855:
	v_lshlrev_b32_e32 v30, 3, v27
	v_lshl_add_u32 v30, v29, 3, v30
	ds_read_b64 v[32:33], v30 offset:21376
	ds_read_b64 v[34:35], v31 offset:16712
	s_waitcnt lgkmcnt(0)
	v_fma_f64 v[10:11], v[32:33], v[34:35], v[10:11]
.LBB32_856:
	s_or_b64 exec, exec, s[0:1]
	s_movk_i32 s0, 0x60
	v_cmp_gt_u32_e64 s[12:13], s0, v14
	s_and_saveexec_b64 s[0:1], s[12:13]
	s_cbranch_execz .LBB32_858
; %bb.857:
	v_lshlrev_b32_e32 v30, 3, v27
	v_lshl_add_u32 v30, v29, 3, v30
	ds_read_b64 v[32:33], v30 offset:21888
	ds_read_b64 v[34:35], v31 offset:16720
	s_waitcnt lgkmcnt(0)
	v_fma_f64 v[10:11], v[32:33], v[34:35], v[10:11]
.LBB32_858:
	s_or_b64 exec, exec, s[0:1]
	s_movk_i32 s0, 0x50
	v_cmp_gt_u32_e64 s[12:13], s0, v14
	s_and_saveexec_b64 s[0:1], s[12:13]
	s_cbranch_execnz .LBB32_1206
; %bb.859:
	s_or_b64 exec, exec, s[0:1]
	v_cmp_gt_u32_e64 s[12:13], 64, v14
	s_and_saveexec_b64 s[0:1], s[12:13]
	s_cbranch_execnz .LBB32_1207
.LBB32_860:
	s_or_b64 exec, exec, s[0:1]
	v_cmp_gt_u32_e64 s[12:13], 48, v14
	s_and_saveexec_b64 s[0:1], s[12:13]
	s_cbranch_execnz .LBB32_1208
.LBB32_861:
	s_or_b64 exec, exec, s[0:1]
	v_cmp_gt_u32_e64 s[12:13], 32, v14
	s_and_saveexec_b64 s[0:1], s[12:13]
	s_cbranch_execnz .LBB32_1209
.LBB32_862:
	s_or_b64 exec, exec, s[0:1]
	v_cmp_gt_u32_e64 s[12:13], 16, v14
	s_and_saveexec_b64 s[0:1], s[12:13]
	s_cbranch_execz .LBB32_864
.LBB32_863:
	v_lshlrev_b32_e32 v29, 3, v0
	v_mov_b32_e32 v31, 0
	ds_read_b64 v[29:30], v29 offset:24448
	ds_read_b64 v[31:32], v31 offset:16760
	s_waitcnt lgkmcnt(0)
	v_fma_f64 v[10:11], v[29:30], v[31:32], v[10:11]
.LBB32_864:
	s_or_b64 exec, exec, s[0:1]
	v_xor_b32_e32 v11, 0x80000000, v11
.LBB32_865:
	s_or_b64 exec, exec, s[14:15]
	s_mov_b64 s[0:1], exec
	v_readlane_b32 s12, v40, 4
	v_readlane_b32 s13, v40, 5
	s_and_b64 s[12:13], s[0:1], s[12:13]
	s_mov_b64 exec, s[12:13]
; %bb.866:
	ds_write_b64 v28, v[10:11]
; %bb.867:
	s_or_b64 exec, exec, s[0:1]
	s_waitcnt lgkmcnt(0)
	s_barrier
	s_mov_b64 s[0:1], exec
	v_readlane_b32 s12, v40, 6
	v_readlane_b32 s13, v40, 7
	s_and_b64 s[12:13], s[0:1], s[12:13]
	s_mov_b64 exec, s[12:13]
	s_cbranch_execz .LBB32_869
; %bb.868:
	v_lshlrev_b32_e32 v29, 3, v27
	ds_read_b64 v[29:30], v29 offset:24960
	ds_read_b64 v[31:32], v28
	s_waitcnt lgkmcnt(0)
	v_fma_f64 v[10:11], v[29:30], v[31:32], v[10:11]
.LBB32_869:
	s_or_b64 exec, exec, s[0:1]
	s_barrier
	s_mov_b64 s[0:1], exec
	v_readlane_b32 s12, v40, 8
	v_readlane_b32 s13, v40, 9
	s_and_b64 s[12:13], s[0:1], s[12:13]
	s_mov_b64 exec, s[12:13]
; %bb.870:
	ds_write_b64 v28, v[10:11]
; %bb.871:
	s_or_b64 exec, exec, s[0:1]
	s_waitcnt lgkmcnt(0)
	s_barrier
	s_mov_b64 s[0:1], exec
	v_readlane_b32 s12, v40, 10
	v_readlane_b32 s13, v40, 11
	s_and_b64 s[12:13], s[0:1], s[12:13]
	s_mov_b64 exec, s[12:13]
	s_cbranch_execz .LBB32_873
; %bb.872:
	v_lshlrev_b32_e32 v29, 3, v27
	ds_read_b64 v[29:30], v29 offset:25472
	ds_read_b64 v[31:32], v28
	s_waitcnt lgkmcnt(0)
	v_fma_f64 v[10:11], v[29:30], v[31:32], v[10:11]
.LBB32_873:
	s_or_b64 exec, exec, s[0:1]
	s_barrier
	;; [unrolled: 26-line block ×14, first 2 shown]
	s_mov_b64 s[0:1], exec
	v_readlane_b32 s12, v40, 60
	v_readlane_b32 s13, v40, 61
	s_and_b64 s[12:13], s[0:1], s[12:13]
	s_mov_b64 exec, s[12:13]
; %bb.922:
	ds_write_b64 v28, v[10:11]
; %bb.923:
	s_or_b64 exec, exec, s[0:1]
	s_waitcnt lgkmcnt(0)
	s_barrier
	s_and_saveexec_b64 s[0:1], s[92:93]
	s_cbranch_execz .LBB32_925
; %bb.924:
	v_mov_b32_e32 v27, 0
	ds_read_b64 v[29:30], v27 offset:32248
	ds_read_b64 v[31:32], v28
	s_waitcnt lgkmcnt(0)
	v_fma_f64 v[10:11], v[29:30], v[31:32], v[10:11]
.LBB32_925:
	s_or_b64 exec, exec, s[0:1]
	s_barrier
	s_and_saveexec_b64 s[0:1], s[92:93]
; %bb.926:
	ds_write_b64 v28, v[10:11]
; %bb.927:
	s_or_b64 exec, exec, s[0:1]
	s_waitcnt lgkmcnt(0)
	s_barrier
	s_barrier
	s_and_saveexec_b64 s[0:1], s[10:11]
; %bb.928:
	v_xor_b32_e32 v11, 0x80000000, v11
	ds_write_b64 v26, v[10:11] offset:16768
; %bb.929:
	s_or_b64 exec, exec, s[0:1]
	s_waitcnt lgkmcnt(0)
	s_barrier
	s_barrier
	s_mov_b64 s[0:1], exec
	v_readlane_b32 s10, v40, 62
	v_readlane_b32 s11, v40, 63
	s_and_b64 s[10:11], s[0:1], s[10:11]
	s_mov_b64 exec, s[10:11]
	s_cbranch_execz .LBB32_931
; %bb.930:
	v_lshlrev_b32_e32 v26, 9, v0
	ds_read_b64 v[10:11], v26 offset:16768
	s_movk_i32 s10, 0xfe08
	v_mad_i32_i24 v27, v0, s10, v26
	s_waitcnt lgkmcnt(0)
	ds_write_b64 v27, v[10:11] offset:24832
	ds_read_b64 v[10:11], v26 offset:16776
	s_waitcnt lgkmcnt(0)
	ds_write_b64 v27, v[10:11] offset:25344
	ds_read_b64 v[10:11], v26 offset:16784
	;; [unrolled: 3-line block ×15, first 2 shown]
	s_waitcnt lgkmcnt(0)
	ds_write_b64 v27, v[10:11] offset:32512
.LBB32_931:
	s_or_b64 exec, exec, s[0:1]
	s_waitcnt lgkmcnt(0)
	s_barrier
	s_and_saveexec_b64 s[0:1], vcc
	s_cbranch_execz .LBB32_933
; %bb.932:
	v_mov_b32_e32 v28, 0
	ds_read_b64 v[26:27], v28 offset:24968
	v_mov_b32_e32 v29, 0x3ff00000
	ds_write_b64 v28, v[28:29] offset:24960
	s_waitcnt lgkmcnt(1)
	ds_write_b128 v28, v[26:29] offset:25472
.LBB32_933:
	s_or_b64 exec, exec, s[0:1]
	v_mov_b32_e32 v10, 0
	v_mov_b32_e32 v11, 0
	s_waitcnt lgkmcnt(0)
	s_barrier
	s_and_saveexec_b64 s[0:1], s[2:3]
	s_cbranch_execz .LBB32_937
; %bb.934:
	v_mul_u32_u24_e32 v26, 0x208, v15
	ds_read_b64 v[10:11], v12 offset:24976
	ds_read_b64 v[26:27], v26 offset:24960
	v_cmp_gt_u32_e64 s[10:11], 2, v14
	s_waitcnt lgkmcnt(0)
	v_fma_f64 v[10:11], v[10:11], v[26:27], 0
	s_and_saveexec_b64 s[12:13], s[10:11]
	s_cbranch_execz .LBB32_936
; %bb.935:
	v_lshlrev_b32_e32 v26, 3, v0
	v_mov_b32_e32 v28, 0
	ds_read_b64 v[26:27], v26 offset:25488
	ds_read_b64 v[28:29], v28 offset:24968
	s_waitcnt lgkmcnt(0)
	v_fma_f64 v[10:11], v[26:27], v[28:29], v[10:11]
.LBB32_936:
	s_or_b64 exec, exec, s[12:13]
	v_xor_b32_e32 v11, 0x80000000, v11
.LBB32_937:
	s_or_b64 exec, exec, s[0:1]
	s_and_saveexec_b64 s[0:1], s[34:35]
; %bb.938:
	ds_write_b64 v13, v[10:11]
; %bb.939:
	s_or_b64 exec, exec, s[0:1]
	s_waitcnt lgkmcnt(0)
	s_barrier
	s_and_saveexec_b64 s[0:1], s[30:31]
	s_cbranch_execz .LBB32_941
; %bb.940:
	v_mov_b32_e32 v26, 0
	ds_read_b64 v[26:27], v26 offset:26008
	ds_read_b64 v[28:29], v13
	s_waitcnt lgkmcnt(0)
	v_fma_f64 v[10:11], v[26:27], v[28:29], v[10:11]
.LBB32_941:
	s_or_b64 exec, exec, s[0:1]
	s_barrier
	s_and_saveexec_b64 s[0:1], s[30:31]
; %bb.942:
	ds_write_b64 v13, v[10:11]
; %bb.943:
	s_or_b64 exec, exec, s[0:1]
	s_waitcnt lgkmcnt(0)
	s_barrier
	s_barrier
	s_and_saveexec_b64 s[0:1], s[2:3]
; %bb.944:
	v_xor_b32_e32 v11, 0x80000000, v11
	ds_write_b64 v12, v[10:11] offset:24976
; %bb.945:
	s_or_b64 exec, exec, s[0:1]
	s_waitcnt lgkmcnt(0)
	s_barrier
	s_barrier
	s_and_saveexec_b64 s[0:1], s[36:37]
	s_cbranch_execz .LBB32_947
; %bb.946:
	v_lshlrev_b32_e32 v26, 3, v0
	s_movk_i32 s10, 0x1f8
	v_mad_u32_u24 v27, v0, s10, v26
	ds_read_b64 v[10:11], v27 offset:24976
	s_waitcnt lgkmcnt(0)
	ds_write_b64 v26, v[10:11] offset:25984
	ds_read_b64 v[10:11], v27 offset:24984
	s_waitcnt lgkmcnt(0)
	ds_write_b64 v26, v[10:11] offset:26496
.LBB32_947:
	s_or_b64 exec, exec, s[0:1]
	s_waitcnt lgkmcnt(0)
	s_barrier
	s_and_saveexec_b64 s[0:1], vcc
	s_cbranch_execz .LBB32_949
; %bb.948:
	v_mov_b32_e32 v28, 0
	ds_read_b64 v[26:27], v28 offset:26008
	v_mov_b32_e32 v29, 0x3ff00000
	ds_write_b64 v28, v[28:29] offset:26000
	s_waitcnt lgkmcnt(1)
	ds_write_b128 v28, v[26:29] offset:26512
.LBB32_949:
	s_or_b64 exec, exec, s[0:1]
	v_mov_b32_e32 v10, 0
	v_mov_b32_e32 v11, 0
	s_waitcnt lgkmcnt(0)
	s_barrier
	s_and_saveexec_b64 s[0:1], s[18:19]
	s_cbranch_execz .LBB32_955
; %bb.950:
	v_mul_u32_u24_e32 v26, 0x208, v20
	ds_read_b64 v[10:11], v16 offset:24992
	ds_read_b64 v[27:28], v26 offset:24960
	v_cmp_gt_u32_e64 s[10:11], 12, v14
	s_waitcnt lgkmcnt(0)
	v_fma_f64 v[10:11], v[10:11], v[27:28], 0
	s_and_saveexec_b64 s[12:13], s[10:11]
	s_cbranch_execnz .LBB32_1210
; %bb.951:
	s_or_b64 exec, exec, s[12:13]
	v_cmp_gt_u32_e64 s[10:11], 8, v14
	s_and_saveexec_b64 s[12:13], s[10:11]
	s_cbranch_execnz .LBB32_1211
.LBB32_952:
	s_or_b64 exec, exec, s[12:13]
	v_cmp_gt_u32_e64 s[10:11], 4, v14
	s_and_saveexec_b64 s[12:13], s[10:11]
	s_cbranch_execz .LBB32_954
.LBB32_953:
	v_lshlrev_b32_e32 v26, 3, v0
	v_mov_b32_e32 v28, 0
	ds_read_b64 v[26:27], v26 offset:26528
	ds_read_b64 v[28:29], v28 offset:24984
	s_waitcnt lgkmcnt(0)
	v_fma_f64 v[10:11], v[26:27], v[28:29], v[10:11]
.LBB32_954:
	s_or_b64 exec, exec, s[12:13]
	v_xor_b32_e32 v11, 0x80000000, v11
.LBB32_955:
	s_or_b64 exec, exec, s[0:1]
	s_and_saveexec_b64 s[0:1], s[42:43]
; %bb.956:
	ds_write_b64 v18, v[10:11]
; %bb.957:
	s_or_b64 exec, exec, s[0:1]
	s_waitcnt lgkmcnt(0)
	s_barrier
	s_and_saveexec_b64 s[0:1], s[44:45]
	s_cbranch_execz .LBB32_959
; %bb.958:
	ds_read_b64 v[26:27], v17 offset:27040
	ds_read_b64 v[28:29], v18
	s_waitcnt lgkmcnt(0)
	v_fma_f64 v[10:11], v[26:27], v[28:29], v[10:11]
.LBB32_959:
	s_or_b64 exec, exec, s[0:1]
	s_barrier
	s_and_saveexec_b64 s[0:1], s[52:53]
; %bb.960:
	ds_write_b64 v18, v[10:11]
; %bb.961:
	s_or_b64 exec, exec, s[0:1]
	s_waitcnt lgkmcnt(0)
	s_barrier
	s_and_saveexec_b64 s[0:1], s[54:55]
	s_cbranch_execz .LBB32_963
; %bb.962:
	ds_read_b64 v[26:27], v17 offset:27552
	ds_read_b64 v[28:29], v18
	s_waitcnt lgkmcnt(0)
	v_fma_f64 v[10:11], v[26:27], v[28:29], v[10:11]
.LBB32_963:
	s_or_b64 exec, exec, s[0:1]
	s_barrier
	s_and_saveexec_b64 s[0:1], s[56:57]
; %bb.964:
	ds_write_b64 v18, v[10:11]
; %bb.965:
	s_or_b64 exec, exec, s[0:1]
	s_waitcnt lgkmcnt(0)
	s_barrier
	s_and_saveexec_b64 s[0:1], s[38:39]
	s_cbranch_execz .LBB32_967
; %bb.966:
	v_mov_b32_e32 v26, 0
	ds_read_b64 v[26:27], v26 offset:28088
	ds_read_b64 v[28:29], v18
	s_waitcnt lgkmcnt(0)
	v_fma_f64 v[10:11], v[26:27], v[28:29], v[10:11]
.LBB32_967:
	s_or_b64 exec, exec, s[0:1]
	s_barrier
	s_and_saveexec_b64 s[0:1], s[38:39]
; %bb.968:
	ds_write_b64 v18, v[10:11]
; %bb.969:
	s_or_b64 exec, exec, s[0:1]
	s_waitcnt lgkmcnt(0)
	s_barrier
	s_barrier
	s_and_saveexec_b64 s[0:1], s[18:19]
; %bb.970:
	v_xor_b32_e32 v11, 0x80000000, v11
	ds_write_b64 v16, v[10:11] offset:24992
; %bb.971:
	s_or_b64 exec, exec, s[0:1]
	s_waitcnt lgkmcnt(0)
	s_barrier
	s_barrier
	s_and_saveexec_b64 s[0:1], s[58:59]
	s_cbranch_execz .LBB32_973
; %bb.972:
	v_lshlrev_b32_e32 v26, 9, v0
	ds_read_b64 v[10:11], v26 offset:24992
	s_movk_i32 s10, 0xfe08
	v_mad_i32_i24 v27, v0, s10, v26
	s_waitcnt lgkmcnt(0)
	ds_write_b64 v27, v[10:11] offset:27008
	ds_read_b64 v[10:11], v26 offset:25000
	s_waitcnt lgkmcnt(0)
	ds_write_b64 v27, v[10:11] offset:27520
	ds_read_b64 v[10:11], v26 offset:25008
	;; [unrolled: 3-line block ×3, first 2 shown]
	s_waitcnt lgkmcnt(0)
	ds_write_b64 v27, v[10:11] offset:28544
.LBB32_973:
	s_or_b64 exec, exec, s[0:1]
	s_waitcnt lgkmcnt(0)
	s_barrier
	s_and_saveexec_b64 s[0:1], vcc
	s_cbranch_execz .LBB32_975
; %bb.974:
	v_mov_b32_e32 v28, 0
	ds_read_b64 v[26:27], v28 offset:27048
	v_mov_b32_e32 v29, 0x3ff00000
	ds_write_b64 v28, v[28:29] offset:27040
	s_waitcnt lgkmcnt(1)
	ds_write_b128 v28, v[26:29] offset:27552
.LBB32_975:
	s_or_b64 exec, exec, s[0:1]
	v_mov_b32_e32 v10, 0
	v_mov_b32_e32 v11, 0
	s_waitcnt lgkmcnt(0)
	s_barrier
	s_and_saveexec_b64 s[0:1], s[2:3]
	s_cbranch_execz .LBB32_979
; %bb.976:
	v_mul_u32_u24_e32 v26, 0x208, v15
	ds_read_b64 v[10:11], v12 offset:27056
	ds_read_b64 v[26:27], v26 offset:27040
	v_cmp_gt_u32_e64 s[10:11], 2, v14
	s_waitcnt lgkmcnt(0)
	v_fma_f64 v[10:11], v[10:11], v[26:27], 0
	s_and_saveexec_b64 s[12:13], s[10:11]
	s_cbranch_execz .LBB32_978
; %bb.977:
	v_lshlrev_b32_e32 v26, 3, v0
	v_mov_b32_e32 v28, 0
	ds_read_b64 v[26:27], v26 offset:27568
	ds_read_b64 v[28:29], v28 offset:27048
	s_waitcnt lgkmcnt(0)
	v_fma_f64 v[10:11], v[26:27], v[28:29], v[10:11]
.LBB32_978:
	s_or_b64 exec, exec, s[12:13]
	v_xor_b32_e32 v11, 0x80000000, v11
.LBB32_979:
	s_or_b64 exec, exec, s[0:1]
	s_and_saveexec_b64 s[0:1], s[34:35]
; %bb.980:
	ds_write_b64 v13, v[10:11]
; %bb.981:
	s_or_b64 exec, exec, s[0:1]
	s_waitcnt lgkmcnt(0)
	s_barrier
	s_and_saveexec_b64 s[0:1], s[30:31]
	s_cbranch_execz .LBB32_983
; %bb.982:
	v_mov_b32_e32 v26, 0
	ds_read_b64 v[26:27], v26 offset:28088
	ds_read_b64 v[28:29], v13
	s_waitcnt lgkmcnt(0)
	v_fma_f64 v[10:11], v[26:27], v[28:29], v[10:11]
.LBB32_983:
	s_or_b64 exec, exec, s[0:1]
	s_barrier
	s_and_saveexec_b64 s[0:1], s[30:31]
; %bb.984:
	ds_write_b64 v13, v[10:11]
; %bb.985:
	s_or_b64 exec, exec, s[0:1]
	s_waitcnt lgkmcnt(0)
	s_barrier
	s_barrier
	s_and_saveexec_b64 s[0:1], s[2:3]
; %bb.986:
	v_xor_b32_e32 v11, 0x80000000, v11
	ds_write_b64 v12, v[10:11] offset:27056
; %bb.987:
	s_or_b64 exec, exec, s[0:1]
	s_waitcnt lgkmcnt(0)
	s_barrier
	s_barrier
	s_and_saveexec_b64 s[0:1], s[36:37]
	s_cbranch_execz .LBB32_989
; %bb.988:
	v_lshlrev_b32_e32 v26, 3, v0
	s_movk_i32 s10, 0x1f8
	v_mad_u32_u24 v27, v0, s10, v26
	ds_read_b64 v[10:11], v27 offset:27056
	s_waitcnt lgkmcnt(0)
	ds_write_b64 v26, v[10:11] offset:28064
	ds_read_b64 v[10:11], v27 offset:27064
	s_waitcnt lgkmcnt(0)
	ds_write_b64 v26, v[10:11] offset:28576
.LBB32_989:
	s_or_b64 exec, exec, s[0:1]
	s_waitcnt lgkmcnt(0)
	s_barrier
	s_and_saveexec_b64 s[0:1], vcc
	s_cbranch_execz .LBB32_991
; %bb.990:
	v_mov_b32_e32 v28, 0
	ds_read_b64 v[26:27], v28 offset:28088
	v_mov_b32_e32 v29, 0x3ff00000
	ds_write_b64 v28, v[28:29] offset:28080
	s_waitcnt lgkmcnt(1)
	ds_write_b128 v28, v[26:29] offset:28592
.LBB32_991:
	s_or_b64 exec, exec, s[0:1]
	v_mov_b32_e32 v10, 0
	v_mov_b32_e32 v11, 0
	s_waitcnt lgkmcnt(0)
	s_barrier
	s_and_saveexec_b64 s[0:1], s[8:9]
	s_cbranch_execz .LBB32_1001
; %bb.992:
	v_mul_u32_u24_e32 v26, 0x208, v25
	ds_read_b64 v[10:11], v21 offset:25024
	ds_read_b64 v[27:28], v26 offset:24960
	v_cmp_gt_u32_e64 s[10:11], 56, v14
	s_waitcnt lgkmcnt(0)
	v_fma_f64 v[10:11], v[10:11], v[27:28], 0
	s_and_saveexec_b64 s[12:13], s[10:11]
	s_cbranch_execnz .LBB32_1212
; %bb.993:
	s_or_b64 exec, exec, s[12:13]
	v_cmp_gt_u32_e64 s[10:11], 48, v14
	s_and_saveexec_b64 s[12:13], s[10:11]
	s_cbranch_execnz .LBB32_1213
.LBB32_994:
	s_or_b64 exec, exec, s[12:13]
	v_cmp_gt_u32_e64 s[10:11], 40, v14
	s_and_saveexec_b64 s[12:13], s[10:11]
	s_cbranch_execnz .LBB32_1214
.LBB32_995:
	s_or_b64 exec, exec, s[12:13]
	v_cmp_gt_u32_e64 s[10:11], 32, v14
	s_and_saveexec_b64 s[12:13], s[10:11]
	s_cbranch_execnz .LBB32_1215
.LBB32_996:
	s_or_b64 exec, exec, s[12:13]
	v_cmp_gt_u32_e64 s[10:11], 24, v14
	s_and_saveexec_b64 s[12:13], s[10:11]
	s_cbranch_execnz .LBB32_1216
.LBB32_997:
	s_or_b64 exec, exec, s[12:13]
	v_cmp_gt_u32_e64 s[10:11], 16, v14
	s_and_saveexec_b64 s[12:13], s[10:11]
	s_cbranch_execnz .LBB32_1217
.LBB32_998:
	s_or_b64 exec, exec, s[12:13]
	v_cmp_gt_u32_e64 s[10:11], 8, v14
	s_and_saveexec_b64 s[12:13], s[10:11]
	s_cbranch_execz .LBB32_1000
.LBB32_999:
	v_lshlrev_b32_e32 v24, 3, v0
	v_mov_b32_e32 v26, 0
	ds_read_b64 v[24:25], v24 offset:28608
	ds_read_b64 v[26:27], v26 offset:25016
	s_waitcnt lgkmcnt(0)
	v_fma_f64 v[10:11], v[24:25], v[26:27], v[10:11]
.LBB32_1000:
	s_or_b64 exec, exec, s[12:13]
	v_xor_b32_e32 v11, 0x80000000, v11
.LBB32_1001:
	s_or_b64 exec, exec, s[0:1]
	s_and_saveexec_b64 s[0:1], s[60:61]
; %bb.1002:
	ds_write_b64 v23, v[10:11]
; %bb.1003:
	s_or_b64 exec, exec, s[0:1]
	s_waitcnt lgkmcnt(0)
	s_barrier
	s_and_saveexec_b64 s[0:1], s[62:63]
	s_cbranch_execz .LBB32_1005
; %bb.1004:
	ds_read_b64 v[24:25], v22 offset:29120
	ds_read_b64 v[26:27], v23
	s_waitcnt lgkmcnt(0)
	v_fma_f64 v[10:11], v[24:25], v[26:27], v[10:11]
.LBB32_1005:
	s_or_b64 exec, exec, s[0:1]
	s_barrier
	s_and_saveexec_b64 s[0:1], s[64:65]
; %bb.1006:
	ds_write_b64 v23, v[10:11]
; %bb.1007:
	s_or_b64 exec, exec, s[0:1]
	s_waitcnt lgkmcnt(0)
	s_barrier
	s_and_saveexec_b64 s[0:1], s[66:67]
	s_cbranch_execz .LBB32_1009
; %bb.1008:
	ds_read_b64 v[24:25], v22 offset:29632
	ds_read_b64 v[26:27], v23
	s_waitcnt lgkmcnt(0)
	v_fma_f64 v[10:11], v[24:25], v[26:27], v[10:11]
.LBB32_1009:
	s_or_b64 exec, exec, s[0:1]
	s_barrier
	;; [unrolled: 17-line block ×6, first 2 shown]
	s_and_saveexec_b64 s[0:1], s[86:87]
; %bb.1026:
	ds_write_b64 v23, v[10:11]
; %bb.1027:
	s_or_b64 exec, exec, s[0:1]
	s_waitcnt lgkmcnt(0)
	s_barrier
	s_and_saveexec_b64 s[0:1], s[70:71]
	s_cbranch_execz .LBB32_1029
; %bb.1028:
	v_mov_b32_e32 v22, 0
	ds_read_b64 v[24:25], v22 offset:32248
	ds_read_b64 v[26:27], v23
	s_waitcnt lgkmcnt(0)
	v_fma_f64 v[10:11], v[24:25], v[26:27], v[10:11]
.LBB32_1029:
	s_or_b64 exec, exec, s[0:1]
	s_barrier
	s_and_saveexec_b64 s[0:1], s[70:71]
; %bb.1030:
	ds_write_b64 v23, v[10:11]
; %bb.1031:
	s_or_b64 exec, exec, s[0:1]
	s_waitcnt lgkmcnt(0)
	s_barrier
	s_barrier
	s_and_saveexec_b64 s[0:1], s[8:9]
; %bb.1032:
	v_xor_b32_e32 v11, 0x80000000, v11
	ds_write_b64 v21, v[10:11] offset:25024
; %bb.1033:
	s_or_b64 exec, exec, s[0:1]
	s_waitcnt lgkmcnt(0)
	s_barrier
	s_barrier
	s_and_saveexec_b64 s[0:1], s[88:89]
	s_cbranch_execz .LBB32_1035
; %bb.1034:
	v_lshlrev_b32_e32 v21, 9, v0
	ds_read_b64 v[10:11], v21 offset:25024
	s_movk_i32 s8, 0xfe08
	v_mad_i32_i24 v22, v0, s8, v21
	s_waitcnt lgkmcnt(0)
	ds_write_b64 v22, v[10:11] offset:29056
	ds_read_b64 v[10:11], v21 offset:25032
	s_waitcnt lgkmcnt(0)
	ds_write_b64 v22, v[10:11] offset:29568
	ds_read_b64 v[10:11], v21 offset:25040
	s_waitcnt lgkmcnt(0)
	ds_write_b64 v22, v[10:11] offset:30080
	ds_read_b64 v[10:11], v21 offset:25048
	s_waitcnt lgkmcnt(0)
	ds_write_b64 v22, v[10:11] offset:30592
	ds_read_b64 v[10:11], v21 offset:25056
	s_waitcnt lgkmcnt(0)
	ds_write_b64 v22, v[10:11] offset:31104
	ds_read_b64 v[10:11], v21 offset:25064
	s_waitcnt lgkmcnt(0)
	ds_write_b64 v22, v[10:11] offset:31616
	ds_read_b64 v[10:11], v21 offset:25072
	s_waitcnt lgkmcnt(0)
	ds_write_b64 v22, v[10:11] offset:32128
	ds_read_b64 v[10:11], v21 offset:25080
	s_waitcnt lgkmcnt(0)
	ds_write_b64 v22, v[10:11] offset:32640
.LBB32_1035:
	s_or_b64 exec, exec, s[0:1]
	s_waitcnt lgkmcnt(0)
	s_barrier
	s_and_saveexec_b64 s[0:1], vcc
	s_cbranch_execz .LBB32_1037
; %bb.1036:
	v_mov_b32_e32 v23, 0
	ds_read_b64 v[21:22], v23 offset:29128
	v_mov_b32_e32 v24, 0x3ff00000
	ds_write_b64 v23, v[23:24] offset:29120
	s_waitcnt lgkmcnt(1)
	ds_write_b128 v23, v[21:24] offset:29632
.LBB32_1037:
	s_or_b64 exec, exec, s[0:1]
	v_mov_b32_e32 v10, 0
	v_mov_b32_e32 v11, 0
	s_waitcnt lgkmcnt(0)
	s_barrier
	s_and_saveexec_b64 s[0:1], s[2:3]
	s_cbranch_execz .LBB32_1041
; %bb.1038:
	v_mul_u32_u24_e32 v21, 0x208, v15
	ds_read_b64 v[10:11], v12 offset:29136
	ds_read_b64 v[21:22], v21 offset:29120
	v_cmp_gt_u32_e64 s[8:9], 2, v14
	s_waitcnt lgkmcnt(0)
	v_fma_f64 v[10:11], v[10:11], v[21:22], 0
	s_and_saveexec_b64 s[10:11], s[8:9]
	s_cbranch_execz .LBB32_1040
; %bb.1039:
	v_lshlrev_b32_e32 v21, 3, v0
	v_mov_b32_e32 v23, 0
	ds_read_b64 v[21:22], v21 offset:29648
	ds_read_b64 v[23:24], v23 offset:29128
	s_waitcnt lgkmcnt(0)
	v_fma_f64 v[10:11], v[21:22], v[23:24], v[10:11]
.LBB32_1040:
	s_or_b64 exec, exec, s[10:11]
	v_xor_b32_e32 v11, 0x80000000, v11
.LBB32_1041:
	s_or_b64 exec, exec, s[0:1]
	s_and_saveexec_b64 s[0:1], s[34:35]
; %bb.1042:
	ds_write_b64 v13, v[10:11]
; %bb.1043:
	s_or_b64 exec, exec, s[0:1]
	s_waitcnt lgkmcnt(0)
	s_barrier
	s_and_saveexec_b64 s[0:1], s[30:31]
	s_cbranch_execz .LBB32_1045
; %bb.1044:
	v_mov_b32_e32 v21, 0
	ds_read_b64 v[21:22], v21 offset:30168
	ds_read_b64 v[23:24], v13
	s_waitcnt lgkmcnt(0)
	v_fma_f64 v[10:11], v[21:22], v[23:24], v[10:11]
.LBB32_1045:
	s_or_b64 exec, exec, s[0:1]
	s_barrier
	s_and_saveexec_b64 s[0:1], s[30:31]
; %bb.1046:
	ds_write_b64 v13, v[10:11]
; %bb.1047:
	s_or_b64 exec, exec, s[0:1]
	s_waitcnt lgkmcnt(0)
	s_barrier
	s_barrier
	s_and_saveexec_b64 s[0:1], s[2:3]
; %bb.1048:
	v_xor_b32_e32 v11, 0x80000000, v11
	ds_write_b64 v12, v[10:11] offset:29136
; %bb.1049:
	s_or_b64 exec, exec, s[0:1]
	s_waitcnt lgkmcnt(0)
	s_barrier
	s_barrier
	s_and_saveexec_b64 s[0:1], s[36:37]
	s_cbranch_execz .LBB32_1051
; %bb.1050:
	v_lshlrev_b32_e32 v21, 3, v0
	s_movk_i32 s8, 0x1f8
	v_mad_u32_u24 v22, v0, s8, v21
	ds_read_b64 v[10:11], v22 offset:29136
	s_waitcnt lgkmcnt(0)
	ds_write_b64 v21, v[10:11] offset:30144
	ds_read_b64 v[10:11], v22 offset:29144
	s_waitcnt lgkmcnt(0)
	ds_write_b64 v21, v[10:11] offset:30656
.LBB32_1051:
	s_or_b64 exec, exec, s[0:1]
	s_waitcnt lgkmcnt(0)
	s_barrier
	s_and_saveexec_b64 s[0:1], vcc
	s_cbranch_execz .LBB32_1053
; %bb.1052:
	v_mov_b32_e32 v23, 0
	ds_read_b64 v[21:22], v23 offset:30168
	v_mov_b32_e32 v24, 0x3ff00000
	ds_write_b64 v23, v[23:24] offset:30160
	s_waitcnt lgkmcnt(1)
	ds_write_b128 v23, v[21:24] offset:30672
.LBB32_1053:
	s_or_b64 exec, exec, s[0:1]
	v_mov_b32_e32 v10, 0
	v_mov_b32_e32 v11, 0
	s_waitcnt lgkmcnt(0)
	s_barrier
	s_and_saveexec_b64 s[0:1], s[18:19]
	s_cbranch_execz .LBB32_1059
; %bb.1054:
	v_mul_u32_u24_e32 v21, 0x208, v20
	ds_read_b64 v[10:11], v16 offset:29152
	ds_read_b64 v[22:23], v21 offset:29120
	v_cmp_gt_u32_e64 s[8:9], 12, v14
	s_waitcnt lgkmcnt(0)
	v_fma_f64 v[10:11], v[10:11], v[22:23], 0
	s_and_saveexec_b64 s[10:11], s[8:9]
	s_cbranch_execnz .LBB32_1218
; %bb.1055:
	s_or_b64 exec, exec, s[10:11]
	v_cmp_gt_u32_e64 s[8:9], 8, v14
	s_and_saveexec_b64 s[10:11], s[8:9]
	s_cbranch_execnz .LBB32_1219
.LBB32_1056:
	s_or_b64 exec, exec, s[10:11]
	v_cmp_gt_u32_e64 s[8:9], 4, v14
	s_and_saveexec_b64 s[10:11], s[8:9]
	s_cbranch_execz .LBB32_1058
.LBB32_1057:
	v_lshlrev_b32_e32 v19, 3, v0
	v_mov_b32_e32 v21, 0
	ds_read_b64 v[19:20], v19 offset:30688
	ds_read_b64 v[21:22], v21 offset:29144
	s_waitcnt lgkmcnt(0)
	v_fma_f64 v[10:11], v[19:20], v[21:22], v[10:11]
.LBB32_1058:
	s_or_b64 exec, exec, s[10:11]
	v_xor_b32_e32 v11, 0x80000000, v11
.LBB32_1059:
	s_or_b64 exec, exec, s[0:1]
	s_and_saveexec_b64 s[0:1], s[42:43]
; %bb.1060:
	ds_write_b64 v18, v[10:11]
; %bb.1061:
	s_or_b64 exec, exec, s[0:1]
	s_waitcnt lgkmcnt(0)
	s_barrier
	s_and_saveexec_b64 s[0:1], s[44:45]
	v_readlane_b32 s42, v40, 2
	v_readlane_b32 s43, v40, 3
	s_cbranch_execz .LBB32_1063
; %bb.1062:
	ds_read_b64 v[19:20], v17 offset:31200
	ds_read_b64 v[21:22], v18
	s_waitcnt lgkmcnt(0)
	v_fma_f64 v[10:11], v[19:20], v[21:22], v[10:11]
.LBB32_1063:
	s_or_b64 exec, exec, s[0:1]
	s_barrier
	s_and_saveexec_b64 s[0:1], s[52:53]
; %bb.1064:
	ds_write_b64 v18, v[10:11]
; %bb.1065:
	s_or_b64 exec, exec, s[0:1]
	s_waitcnt lgkmcnt(0)
	s_barrier
	s_and_saveexec_b64 s[0:1], s[54:55]
	s_cbranch_execz .LBB32_1067
; %bb.1066:
	ds_read_b64 v[19:20], v17 offset:31712
	ds_read_b64 v[21:22], v18
	s_waitcnt lgkmcnt(0)
	v_fma_f64 v[10:11], v[19:20], v[21:22], v[10:11]
.LBB32_1067:
	s_or_b64 exec, exec, s[0:1]
	s_barrier
	s_and_saveexec_b64 s[0:1], s[56:57]
; %bb.1068:
	ds_write_b64 v18, v[10:11]
; %bb.1069:
	s_or_b64 exec, exec, s[0:1]
	s_waitcnt lgkmcnt(0)
	s_barrier
	s_and_saveexec_b64 s[0:1], s[38:39]
	s_cbranch_execz .LBB32_1071
; %bb.1070:
	v_mov_b32_e32 v17, 0
	ds_read_b64 v[19:20], v17 offset:32248
	ds_read_b64 v[21:22], v18
	s_waitcnt lgkmcnt(0)
	v_fma_f64 v[10:11], v[19:20], v[21:22], v[10:11]
.LBB32_1071:
	s_or_b64 exec, exec, s[0:1]
	s_barrier
	s_and_saveexec_b64 s[0:1], s[38:39]
; %bb.1072:
	ds_write_b64 v18, v[10:11]
; %bb.1073:
	s_or_b64 exec, exec, s[0:1]
	s_waitcnt lgkmcnt(0)
	s_barrier
	s_barrier
	s_and_saveexec_b64 s[0:1], s[18:19]
; %bb.1074:
	v_xor_b32_e32 v11, 0x80000000, v11
	ds_write_b64 v16, v[10:11] offset:29152
; %bb.1075:
	s_or_b64 exec, exec, s[0:1]
	s_waitcnt lgkmcnt(0)
	s_barrier
	s_barrier
	s_and_saveexec_b64 s[0:1], s[58:59]
	s_cbranch_execz .LBB32_1077
; %bb.1076:
	v_lshlrev_b32_e32 v16, 9, v0
	ds_read_b64 v[10:11], v16 offset:29152
	s_movk_i32 s8, 0xfe08
	v_mad_i32_i24 v17, v0, s8, v16
	s_waitcnt lgkmcnt(0)
	ds_write_b64 v17, v[10:11] offset:31168
	ds_read_b64 v[10:11], v16 offset:29160
	s_waitcnt lgkmcnt(0)
	ds_write_b64 v17, v[10:11] offset:31680
	ds_read_b64 v[10:11], v16 offset:29168
	;; [unrolled: 3-line block ×3, first 2 shown]
	s_waitcnt lgkmcnt(0)
	ds_write_b64 v17, v[10:11] offset:32704
.LBB32_1077:
	s_or_b64 exec, exec, s[0:1]
	s_waitcnt lgkmcnt(0)
	s_barrier
	s_and_saveexec_b64 s[0:1], vcc
	s_cbranch_execz .LBB32_1079
; %bb.1078:
	v_mov_b32_e32 v18, 0
	ds_read_b64 v[16:17], v18 offset:31208
	v_mov_b32_e32 v19, 0x3ff00000
	ds_write_b64 v18, v[18:19] offset:31200
	s_waitcnt lgkmcnt(1)
	ds_write_b128 v18, v[16:19] offset:31712
.LBB32_1079:
	s_or_b64 exec, exec, s[0:1]
	v_mov_b32_e32 v10, 0
	v_mov_b32_e32 v11, 0
	s_waitcnt lgkmcnt(0)
	s_barrier
	s_and_saveexec_b64 s[0:1], s[2:3]
	s_cbranch_execz .LBB32_1083
; %bb.1080:
	v_mul_u32_u24_e32 v15, 0x208, v15
	ds_read_b64 v[10:11], v12 offset:31216
	ds_read_b64 v[15:16], v15 offset:31200
	v_cmp_gt_u32_e64 s[8:9], 2, v14
	s_waitcnt lgkmcnt(0)
	v_fma_f64 v[10:11], v[10:11], v[15:16], 0
	s_and_saveexec_b64 s[10:11], s[8:9]
	s_cbranch_execz .LBB32_1082
; %bb.1081:
	v_lshlrev_b32_e32 v14, 3, v0
	v_mov_b32_e32 v16, 0
	ds_read_b64 v[14:15], v14 offset:31728
	ds_read_b64 v[16:17], v16 offset:31208
	s_waitcnt lgkmcnt(0)
	v_fma_f64 v[10:11], v[14:15], v[16:17], v[10:11]
.LBB32_1082:
	s_or_b64 exec, exec, s[10:11]
	v_xor_b32_e32 v11, 0x80000000, v11
.LBB32_1083:
	s_or_b64 exec, exec, s[0:1]
	s_and_saveexec_b64 s[0:1], s[34:35]
; %bb.1084:
	ds_write_b64 v13, v[10:11]
; %bb.1085:
	s_or_b64 exec, exec, s[0:1]
	s_waitcnt lgkmcnt(0)
	s_barrier
	s_and_saveexec_b64 s[0:1], s[30:31]
	v_readlane_b32 s18, v40, 0
	v_readlane_b32 s19, v40, 1
	s_cbranch_execz .LBB32_1087
; %bb.1086:
	v_mov_b32_e32 v14, 0
	ds_read_b64 v[14:15], v14 offset:32248
	ds_read_b64 v[16:17], v13
	s_waitcnt lgkmcnt(0)
	v_fma_f64 v[10:11], v[14:15], v[16:17], v[10:11]
.LBB32_1087:
	s_or_b64 exec, exec, s[0:1]
	s_barrier
	s_and_saveexec_b64 s[0:1], s[30:31]
; %bb.1088:
	ds_write_b64 v13, v[10:11]
; %bb.1089:
	s_or_b64 exec, exec, s[0:1]
	s_waitcnt lgkmcnt(0)
	s_barrier
	s_barrier
	s_and_saveexec_b64 s[0:1], s[2:3]
; %bb.1090:
	v_xor_b32_e32 v11, 0x80000000, v11
	ds_write_b64 v12, v[10:11] offset:31216
; %bb.1091:
	s_or_b64 exec, exec, s[0:1]
	s_waitcnt lgkmcnt(0)
	s_barrier
	s_barrier
	s_and_saveexec_b64 s[0:1], s[36:37]
	s_cbranch_execz .LBB32_1093
; %bb.1092:
	v_lshlrev_b32_e32 v12, 3, v0
	s_movk_i32 s2, 0x1f8
	v_mad_u32_u24 v13, v0, s2, v12
	ds_read_b64 v[10:11], v13 offset:31216
	s_waitcnt lgkmcnt(0)
	ds_write_b64 v12, v[10:11] offset:32224
	ds_read_b64 v[10:11], v13 offset:31224
	s_waitcnt lgkmcnt(0)
	ds_write_b64 v12, v[10:11] offset:32736
.LBB32_1093:
	s_or_b64 exec, exec, s[0:1]
	s_waitcnt lgkmcnt(0)
	s_barrier
	s_and_saveexec_b64 s[0:1], vcc
	s_cbranch_execz .LBB32_1095
; %bb.1094:
	v_mov_b32_e32 v12, 0
	ds_read_b64 v[10:11], v12 offset:32248
	v_mov_b32_e32 v13, 0x3ff00000
	ds_write_b64 v12, v[12:13] offset:32240
	s_waitcnt lgkmcnt(1)
	ds_write_b128 v12, v[10:13] offset:32752
.LBB32_1095:
	s_or_b64 exec, exec, s[0:1]
.LBB32_1096:
	s_load_dwordx4 s[12:15], s[4:5], 0x48
	v_cmp_le_i32_e32 vcc, s90, v0
	v_mov_b32_e32 v10, 0
	v_mov_b32_e32 v11, 0
	v_lshl_add_u32 v12, s33, 6, v0
	s_waitcnt lgkmcnt(0)
	s_mul_i32 s1, s13, s22
	s_mul_hi_u32 s2, s12, s22
	s_mul_i32 s0, s12, s22
	s_add_i32 s1, s2, s1
	s_lshl_b64 s[0:1], s[0:1], 3
	s_add_u32 s2, s46, s0
	s_addc_u32 s3, s47, s1
	s_lshl_b64 s[0:1], s[48:49], 3
	s_add_u32 s20, s2, s0
	s_addc_u32 s21, s3, s1
	s_and_b64 s[16:17], vcc, s[26:27]
	v_cmp_eq_u32_e64 s[2:3], 0, v1
	s_xor_b64 s[0:1], s[16:17], -1
	s_and_b64 s[4:5], s[2:3], s[0:1]
	s_barrier
	s_and_saveexec_b64 s[0:1], s[4:5]
	s_cbranch_execz .LBB32_1098
; %bb.1097:
	v_ashrrev_i32_e32 v13, 31, v12
	v_mul_lo_u32 v14, s51, v12
	v_mad_u64_u32 v[10:11], s[4:5], s50, v12, 0
	v_mul_lo_u32 v13, s50, v13
	v_add3_u32 v11, v11, v13, v14
	v_lshlrev_b64 v[10:11], 3, v[10:11]
	v_mov_b32_e32 v13, s21
	v_add_co_u32_e32 v10, vcc, s20, v10
	v_addc_co_u32_e32 v11, vcc, v13, v11, vcc
	global_load_dwordx2 v[10:11], v[10:11], off
	s_waitcnt vmcnt(0)
	v_mul_f64 v[10:11], v[10:11], -s[18:19]
.LBB32_1098:
	s_or_b64 exec, exec, s[0:1]
	s_and_b32 s0, 0xffff, s95
	v_mad_u32_u24 v17, v1, s0, v0
	v_mov_b32_e32 v18, 0
	s_cmp_lt_i32 s6, 1
	v_cmp_eq_u32_e64 s[4:5], 0, v17
	s_cbranch_scc1 .LBB32_1124
; %bb.1099:
	v_ashrrev_i32_e32 v15, 31, v12
	v_mul_lo_u32 v16, s41, v12
	v_mad_u64_u32 v[13:14], s[0:1], s40, v12, 0
	v_mul_lo_u32 v15, s40, v15
	v_cmp_gt_i32_e64 s[8:9], s24, v12
	s_lshl_b64 s[0:1], s[22:23], 2
	s_add_u32 s0, s14, s0
	v_add3_u32 v14, v14, v15, v16
	v_lshlrev_b64 v[12:13], 3, v[13:14]
	v_mov_b32_e32 v15, 0xa000
	v_mov_b32_e32 v14, s94
	v_add_co_u32_e32 v21, vcc, s91, v12
	s_mov_b32 s28, 0
	s_addc_u32 s1, s15, s1
	v_cmp_gt_u32_e64 s[12:13], 64, v17
	v_lshl_add_u32 v19, v17, 3, v15
	v_lshl_or_b32 v20, v1, 3, v15
	s_add_i32 s29, s33, 1
	v_addc_co_u32_e32 v22, vcc, v14, v13, vcc
	v_mov_b32_e32 v23, -1
	s_branch .LBB32_1102
.LBB32_1100:                            ;   in Loop: Header=BB32_1102 Depth=1
	ds_read_b64 v[12:13], v20 offset:384
	s_waitcnt vmcnt(0) lgkmcnt(0)
	v_fma_f64 v[10:11], v[14:15], v[12:13], v[10:11]
.LBB32_1101:                            ;   in Loop: Header=BB32_1102 Depth=1
	s_or_b64 exec, exec, s[18:19]
	s_add_i32 s28, s28, 1
	s_cmp_eq_u32 s28, s6
	s_cbranch_scc1 .LBB32_1124
.LBB32_1102:                            ; =>This Loop Header: Depth=1
                                        ;     Child Loop BB32_1104 Depth 2
	v_cmp_gt_i32_e32 vcc, s28, v23
	s_and_b64 s[18:19], s[4:5], vcc
	s_and_saveexec_b64 s[10:11], s[18:19]
	s_cbranch_execz .LBB32_1105
; %bb.1103:                             ;   in Loop: Header=BB32_1102 Depth=1
	global_load_dword v23, v18, s[0:1]
	s_waitcnt vmcnt(0)
	v_cmp_le_i32_e32 vcc, s28, v23
	s_cbranch_vccnz .LBB32_1105
.LBB32_1104:                            ;   Parent Loop BB32_1102 Depth=1
                                        ; =>  This Inner Loop Header: Depth=2
	buffer_wbinvl1_vol
	global_load_dword v23, v18, s[0:1]
	s_waitcnt vmcnt(0)
	v_cmp_gt_i32_e32 vcc, s28, v23
	s_cbranch_vccnz .LBB32_1104
.LBB32_1105:                            ;   in Loop: Header=BB32_1102 Depth=1
	s_or_b64 exec, exec, s[10:11]
	s_sub_i32 s30, s7, s28
	s_lshl_b32 s31, s30, 6
	buffer_wbinvl1_vol
	s_barrier
	s_and_saveexec_b64 s[10:11], s[12:13]
	s_cbranch_execz .LBB32_1109
; %bb.1106:                             ;   in Loop: Header=BB32_1102 Depth=1
	s_ashr_i32 s18, s31, 31
	v_mov_b32_e32 v13, s18
	v_or_b32_e32 v12, s31, v17
	v_cmp_gt_i64_e32 vcc, s[24:25], v[12:13]
	v_mov_b32_e32 v14, 0
	v_mov_b32_e32 v15, 0
	s_and_saveexec_b64 s[18:19], vcc
	s_cbranch_execz .LBB32_1108
; %bb.1107:                             ;   in Loop: Header=BB32_1102 Depth=1
	v_mul_lo_u32 v14, v13, s50
	v_mul_lo_u32 v15, v12, s51
	v_mad_u64_u32 v[12:13], s[34:35], v12, s50, 0
	v_add3_u32 v13, v13, v15, v14
	v_lshlrev_b64 v[12:13], 3, v[12:13]
	v_mov_b32_e32 v14, s21
	v_add_co_u32_e32 v12, vcc, s20, v12
	v_addc_co_u32_e32 v13, vcc, v14, v13, vcc
	global_load_dwordx2 v[14:15], v[12:13], off
.LBB32_1108:                            ;   in Loop: Header=BB32_1102 Depth=1
	s_or_b64 exec, exec, s[18:19]
	s_waitcnt vmcnt(0)
	ds_write_b64 v19, v[14:15]
.LBB32_1109:                            ;   in Loop: Header=BB32_1102 Depth=1
	s_or_b64 exec, exec, s[10:11]
	v_add_u32_e32 v14, s31, v1
	v_ashrrev_i32_e32 v15, 31, v14
	v_lshlrev_b64 v[12:13], 3, v[14:15]
	s_cmp_lg_u32 s30, s29
	v_add_co_u32_e32 v12, vcc, v21, v12
	s_cselect_b64 s[10:11], -1, 0
	v_addc_co_u32_e32 v13, vcc, v22, v13, vcc
	v_cmp_gt_i32_e32 vcc, s24, v14
	v_cndmask_b32_e64 v15, 0, 1, s[10:11]
	s_and_b64 s[30:31], vcc, s[8:9]
	v_cmp_ne_u32_e64 s[10:11], 1, v15
	s_waitcnt lgkmcnt(0)
	s_barrier
	s_and_saveexec_b64 s[18:19], s[30:31]
	s_cbranch_execz .LBB32_1113
; %bb.1110:                             ;   in Loop: Header=BB32_1102 Depth=1
	v_mov_b32_e32 v16, v5
	s_and_b64 vcc, exec, s[10:11]
	v_mov_b32_e32 v15, v4
	s_cbranch_vccnz .LBB32_1112
; %bb.1111:                             ;   in Loop: Header=BB32_1102 Depth=1
	global_load_dwordx2 v[15:16], v[12:13], off
.LBB32_1112:                            ;   in Loop: Header=BB32_1102 Depth=1
	ds_read_b64 v[24:25], v20
	s_waitcnt vmcnt(0) lgkmcnt(0)
	v_fma_f64 v[10:11], v[15:16], v[24:25], v[10:11]
.LBB32_1113:                            ;   in Loop: Header=BB32_1102 Depth=1
	s_or_b64 exec, exec, s[18:19]
	v_add_u32_e32 v15, 16, v14
	v_cmp_gt_i32_e32 vcc, s24, v15
	s_and_b64 s[30:31], vcc, s[8:9]
	s_and_saveexec_b64 s[18:19], s[30:31]
	s_cbranch_execz .LBB32_1117
; %bb.1114:                             ;   in Loop: Header=BB32_1102 Depth=1
	v_mov_b32_e32 v16, v3
	s_and_b64 vcc, exec, s[10:11]
	v_mov_b32_e32 v15, v2
	s_cbranch_vccnz .LBB32_1116
; %bb.1115:                             ;   in Loop: Header=BB32_1102 Depth=1
	global_load_dwordx2 v[15:16], v[12:13], off offset:128
.LBB32_1116:                            ;   in Loop: Header=BB32_1102 Depth=1
	ds_read_b64 v[24:25], v20 offset:128
	s_waitcnt vmcnt(0) lgkmcnt(0)
	v_fma_f64 v[10:11], v[15:16], v[24:25], v[10:11]
.LBB32_1117:                            ;   in Loop: Header=BB32_1102 Depth=1
	s_or_b64 exec, exec, s[18:19]
	v_add_u32_e32 v15, 32, v14
	v_cmp_gt_i32_e32 vcc, s24, v15
	s_and_b64 s[30:31], vcc, s[8:9]
	s_and_saveexec_b64 s[18:19], s[30:31]
	s_cbranch_execz .LBB32_1121
; %bb.1118:                             ;   in Loop: Header=BB32_1102 Depth=1
	v_mov_b32_e32 v16, v9
	s_and_b64 vcc, exec, s[10:11]
	v_mov_b32_e32 v15, v8
	s_cbranch_vccnz .LBB32_1120
; %bb.1119:                             ;   in Loop: Header=BB32_1102 Depth=1
	global_load_dwordx2 v[15:16], v[12:13], off offset:256
.LBB32_1120:                            ;   in Loop: Header=BB32_1102 Depth=1
	ds_read_b64 v[24:25], v20 offset:256
	s_waitcnt vmcnt(0) lgkmcnt(0)
	v_fma_f64 v[10:11], v[15:16], v[24:25], v[10:11]
.LBB32_1121:                            ;   in Loop: Header=BB32_1102 Depth=1
	s_or_b64 exec, exec, s[18:19]
	v_add_u32_e32 v14, 48, v14
	v_cmp_gt_i32_e32 vcc, s24, v14
	s_and_b64 s[30:31], vcc, s[8:9]
	s_and_saveexec_b64 s[18:19], s[30:31]
	s_cbranch_execz .LBB32_1101
; %bb.1122:                             ;   in Loop: Header=BB32_1102 Depth=1
	v_mov_b32_e32 v15, v7
	s_and_b64 vcc, exec, s[10:11]
	v_mov_b32_e32 v14, v6
	s_cbranch_vccnz .LBB32_1100
; %bb.1123:                             ;   in Loop: Header=BB32_1102 Depth=1
	global_load_dwordx2 v[14:15], v[12:13], off offset:384
	s_branch .LBB32_1100
.LBB32_1124:
	v_lshl_add_u32 v2, v1, 6, v0
	s_xor_b64 s[0:1], s[26:27], -1
	v_lshlrev_b32_e32 v4, 3, v2
	ds_write_b64 v4, v[10:11] offset:32768
	s_waitcnt lgkmcnt(0)
	s_barrier
	s_and_saveexec_b64 s[4:5], s[2:3]
	s_cbranch_execz .LBB32_1126
; %bb.1125:
	v_lshlrev_b32_e32 v15, 3, v0
	ds_read2st64_b64 v[5:8], v15 offset0:65 offset1:66
	ds_read_b64 v[2:3], v15 offset:40448
	s_waitcnt lgkmcnt(1)
	v_add_f64 v[5:6], v[10:11], v[5:6]
	v_add_f64 v[13:14], v[5:6], v[7:8]
	ds_read2st64_b64 v[5:8], v15 offset0:67 offset1:68
	ds_read2st64_b64 v[9:12], v15 offset0:69 offset1:70
	s_waitcnt lgkmcnt(1)
	v_add_f64 v[5:6], v[13:14], v[5:6]
	v_add_f64 v[5:6], v[5:6], v[7:8]
	s_waitcnt lgkmcnt(0)
	v_add_f64 v[5:6], v[5:6], v[9:10]
	v_add_f64 v[13:14], v[5:6], v[11:12]
	ds_read2st64_b64 v[5:8], v15 offset0:71 offset1:72
	ds_read2st64_b64 v[9:12], v15 offset0:73 offset1:74
	s_waitcnt lgkmcnt(1)
	v_add_f64 v[5:6], v[13:14], v[5:6]
	v_add_f64 v[5:6], v[5:6], v[7:8]
	;; [unrolled: 8-line block ×3, first 2 shown]
	s_waitcnt lgkmcnt(0)
	v_add_f64 v[5:6], v[5:6], v[9:10]
	v_add_f64 v[5:6], v[5:6], v[11:12]
	;; [unrolled: 1-line block ×3, first 2 shown]
	v_xor_b32_e32 v3, 0x80000000, v3
	v_cndmask_b32_e64 v11, v3, 0, s[16:17]
	v_cndmask_b32_e64 v10, v2, 0, s[16:17]
.LBB32_1126:
	s_or_b64 exec, exec, s[4:5]
	s_and_b64 vcc, exec, s[42:43]
	s_cbranch_vccnz .LBB32_1140
; %bb.1127:
	v_mov_b32_e32 v2, 0xa000
	v_lshl_or_b32 v5, v1, 3, v2
	s_and_saveexec_b64 s[4:5], s[2:3]
; %bb.1128:
	v_lshl_add_u32 v2, v0, 3, v5
	ds_write_b64 v2, v[10:11]
; %bb.1129:
	s_or_b64 exec, exec, s[4:5]
	v_mov_b32_e32 v2, 0
	v_mov_b32_e32 v3, 0
	v_cmp_le_u32_e32 vcc, v0, v1
	s_waitcnt lgkmcnt(0)
	s_barrier
	s_and_saveexec_b64 s[4:5], vcc
	s_cbranch_execz .LBB32_1131
; %bb.1130:
	ds_read_b64 v[2:3], v4
	ds_read_b64 v[6:7], v5
	s_waitcnt lgkmcnt(0)
	v_fma_f64 v[2:3], v[2:3], v[6:7], 0
.LBB32_1131:
	s_or_b64 exec, exec, s[4:5]
	v_add_u32_e32 v6, 16, v1
	v_cmp_le_u32_e32 vcc, v0, v6
	s_and_saveexec_b64 s[4:5], vcc
	s_cbranch_execz .LBB32_1133
; %bb.1132:
	ds_read_b64 v[6:7], v4 offset:8192
	ds_read_b64 v[8:9], v5 offset:128
	s_waitcnt lgkmcnt(0)
	v_fma_f64 v[2:3], v[6:7], v[8:9], v[2:3]
.LBB32_1133:
	s_or_b64 exec, exec, s[4:5]
	v_add_u32_e32 v6, 32, v1
	v_cmp_le_u32_e32 vcc, v0, v6
	s_and_saveexec_b64 s[4:5], vcc
	s_cbranch_execz .LBB32_1135
; %bb.1134:
	ds_read_b64 v[6:7], v4 offset:16384
	ds_read_b64 v[8:9], v5 offset:256
	s_waitcnt lgkmcnt(0)
	v_fma_f64 v[2:3], v[6:7], v[8:9], v[2:3]
.LBB32_1135:
	s_or_b64 exec, exec, s[4:5]
	v_add_u32_e32 v1, 48, v1
	v_add_u32_e32 v6, 0x8000, v4
	v_cmp_le_u32_e32 vcc, v0, v1
	s_and_saveexec_b64 s[4:5], vcc
	s_cbranch_execz .LBB32_1137
; %bb.1136:
	ds_read_b64 v[7:8], v4 offset:24576
	ds_read_b64 v[4:5], v5 offset:384
	s_waitcnt lgkmcnt(0)
	v_fma_f64 v[2:3], v[7:8], v[4:5], v[2:3]
.LBB32_1137:
	s_or_b64 exec, exec, s[4:5]
	s_mov_b64 s[6:7], 0
	s_mov_b64 s[4:5], 0
	ds_write_b64 v6, v[2:3]
	s_waitcnt lgkmcnt(0)
	s_barrier
                                        ; implicit-def: $vgpr4_vgpr5
	s_and_saveexec_b64 s[8:9], s[2:3]
	s_cbranch_execz .LBB32_1166
; %bb.1138:
	v_lshlrev_b32_e32 v9, 3, v0
	ds_read2st64_b64 v[4:7], v9 offset0:65 offset1:66
	ds_read_b64 v[12:13], v9 offset:40448
	s_mov_b64 s[4:5], exec
	s_waitcnt lgkmcnt(1)
	v_add_f64 v[1:2], v[2:3], v[4:5]
	v_add_f64 v[14:15], v[6:7], v[1:2]
	ds_read2st64_b64 v[1:4], v9 offset0:67 offset1:68
	ds_read2st64_b64 v[5:8], v9 offset0:69 offset1:70
	s_waitcnt lgkmcnt(1)
	v_add_f64 v[1:2], v[1:2], v[14:15]
	v_add_f64 v[1:2], v[3:4], v[1:2]
	s_waitcnt lgkmcnt(0)
	v_add_f64 v[1:2], v[5:6], v[1:2]
	v_add_f64 v[14:15], v[7:8], v[1:2]
	ds_read2st64_b64 v[1:4], v9 offset0:71 offset1:72
	ds_read2st64_b64 v[5:8], v9 offset0:73 offset1:74
	s_waitcnt lgkmcnt(1)
	v_add_f64 v[1:2], v[1:2], v[14:15]
	v_add_f64 v[1:2], v[3:4], v[1:2]
	;; [unrolled: 8-line block ×3, first 2 shown]
	s_waitcnt lgkmcnt(0)
	v_add_f64 v[1:2], v[5:6], v[1:2]
	v_add_f64 v[1:2], v[7:8], v[1:2]
	;; [unrolled: 1-line block ×3, first 2 shown]
	s_or_b64 exec, exec, s[8:9]
	s_and_b64 vcc, exec, s[6:7]
	s_cbranch_vccnz .LBB32_1141
	s_branch .LBB32_1167
.LBB32_1139:
	v_mad_u64_u32 v[12:13], s[2:3], s40, v15, 0
	s_or_b64 s[10:11], s[10:11], exec
	v_mad_u64_u32 v[13:14], s[2:3], s41, v15, v[13:14]
	v_lshlrev_b64 v[12:13], 3, v[12:13]
	v_add_co_u32_e32 v10, vcc, v10, v12
	v_addc_co_u32_e32 v11, vcc, v11, v13, vcc
	global_load_dwordx2 v[12:13], v[10:11], off
	s_waitcnt vmcnt(0)
	v_xor_b32_e32 v13, 0x80000000, v13
	s_or_b64 exec, exec, s[8:9]
	s_xor_b64 s[0:1], s[0:1], -1
	s_and_saveexec_b64 s[2:3], s[10:11]
	s_cbranch_execnz .LBB32_57
	s_branch .LBB32_58
.LBB32_1140:
	s_mov_b64 s[4:5], 0
                                        ; implicit-def: $vgpr4_vgpr5
	s_cbranch_execz .LBB32_1167
.LBB32_1141:
	v_mov_b32_e32 v1, 0x7800
	v_lshl_add_u32 v1, v0, 3, v1
	v_mov_b32_e32 v3, 63
	v_mov_b32_e32 v2, 0
	s_branch .LBB32_1143
.LBB32_1142:                            ;   in Loop: Header=BB32_1143 Depth=1
	s_or_b64 exec, exec, s[6:7]
	v_subrev_co_u32_e32 v3, vcc, 1, v3
	s_andn2_b64 vcc, exec, vcc
	v_add_u32_e32 v1, 0xfffff800, v1
	s_barrier
	s_cbranch_vccz .LBB32_1159
.LBB32_1143:                            ; =>This Inner Loop Header: Depth=1
	v_cmp_eq_u32_e32 vcc, v0, v3
	s_and_b64 s[8:9], s[2:3], vcc
	s_and_saveexec_b64 s[6:7], s[8:9]
; %bb.1144:                             ;   in Loop: Header=BB32_1143 Depth=1
	ds_write_b64 v2, v[10:11] offset:41472
; %bb.1145:                             ;   in Loop: Header=BB32_1143 Depth=1
	s_or_b64 exec, exec, s[6:7]
	v_cmp_lt_u32_e32 vcc, v0, v3
	s_and_b64 s[8:9], s[2:3], vcc
	s_waitcnt lgkmcnt(0)
	s_barrier
	s_and_saveexec_b64 s[6:7], s[8:9]
	s_cbranch_execz .LBB32_1147
; %bb.1146:                             ;   in Loop: Header=BB32_1143 Depth=1
	ds_read_b64 v[4:5], v1 offset:1536
	ds_read_b64 v[6:7], v2 offset:41472
	s_waitcnt lgkmcnt(0)
	v_fma_f64 v[10:11], v[4:5], v[6:7], v[10:11]
.LBB32_1147:                            ;   in Loop: Header=BB32_1143 Depth=1
	s_or_b64 exec, exec, s[6:7]
	v_add_u32_e32 v3, -1, v3
	v_cmp_eq_u32_e32 vcc, v0, v3
	s_and_b64 s[8:9], s[2:3], vcc
	s_barrier
	s_and_saveexec_b64 s[6:7], s[8:9]
; %bb.1148:                             ;   in Loop: Header=BB32_1143 Depth=1
	ds_write_b64 v2, v[10:11] offset:41472
; %bb.1149:                             ;   in Loop: Header=BB32_1143 Depth=1
	s_or_b64 exec, exec, s[6:7]
	v_cmp_lt_u32_e32 vcc, v0, v3
	s_and_b64 s[8:9], s[2:3], vcc
	s_waitcnt lgkmcnt(0)
	s_barrier
	s_and_saveexec_b64 s[6:7], s[8:9]
	s_cbranch_execz .LBB32_1151
; %bb.1150:                             ;   in Loop: Header=BB32_1143 Depth=1
	ds_read_b64 v[4:5], v1 offset:1024
	ds_read_b64 v[6:7], v2 offset:41472
	s_waitcnt lgkmcnt(0)
	v_fma_f64 v[10:11], v[4:5], v[6:7], v[10:11]
.LBB32_1151:                            ;   in Loop: Header=BB32_1143 Depth=1
	s_or_b64 exec, exec, s[6:7]
	v_add_u32_e32 v3, -1, v3
	v_cmp_eq_u32_e32 vcc, v0, v3
	s_and_b64 s[8:9], s[2:3], vcc
	s_barrier
	;; [unrolled: 22-line block ×3, first 2 shown]
	s_and_saveexec_b64 s[6:7], s[8:9]
; %bb.1156:                             ;   in Loop: Header=BB32_1143 Depth=1
	ds_write_b64 v2, v[10:11] offset:41472
; %bb.1157:                             ;   in Loop: Header=BB32_1143 Depth=1
	s_or_b64 exec, exec, s[6:7]
	v_cmp_lt_u32_e32 vcc, v0, v3
	s_and_b64 s[8:9], s[2:3], vcc
	s_waitcnt lgkmcnt(0)
	s_barrier
	s_and_saveexec_b64 s[6:7], s[8:9]
	s_cbranch_execz .LBB32_1142
; %bb.1158:                             ;   in Loop: Header=BB32_1143 Depth=1
	ds_read_b64 v[4:5], v1
	ds_read_b64 v[6:7], v2 offset:41472
	s_waitcnt lgkmcnt(0)
	v_fma_f64 v[10:11], v[4:5], v[6:7], v[10:11]
	s_branch .LBB32_1142
.LBB32_1159:
	s_mov_b64 s[6:7], -1
	s_and_b64 vcc, exec, s[0:1]
	s_cbranch_vccnz .LBB32_1168
; %bb.1160:
	s_andn2_b64 vcc, exec, s[6:7]
	s_cbranch_vccz .LBB32_1169
.LBB32_1161:
	s_and_saveexec_b64 s[0:1], s[4:5]
	s_cbranch_execz .LBB32_1163
.LBB32_1162:
	s_lshl_b32 s2, s33, 6
	s_ashr_i32 s3, s2, 31
	v_mov_b32_e32 v0, s3
	v_add_co_u32_e32 v1, vcc, s2, v17
	v_addc_co_u32_e32 v0, vcc, 0, v0, vcc
	v_mul_lo_u32 v2, v0, s50
	v_mul_lo_u32 v3, v1, s51
	v_mad_u64_u32 v[0:1], s[2:3], v1, s50, 0
	v_add3_u32 v1, v1, v3, v2
	v_lshlrev_b64 v[0:1], 3, v[0:1]
	v_mov_b32_e32 v2, s21
	v_add_co_u32_e32 v0, vcc, s20, v0
	v_addc_co_u32_e32 v1, vcc, v2, v1, vcc
	global_store_dwordx2 v[0:1], v[10:11], off
.LBB32_1163:
	s_or_b64 exec, exec, s[0:1]
	v_cmp_eq_u32_e32 vcc, 0, v17
	s_waitcnt vmcnt(0)
	buffer_wbinvl1_vol
	s_barrier
	s_and_saveexec_b64 s[0:1], vcc
	s_cbranch_execz .LBB32_1165
; %bb.1164:
	s_lshl_b64 s[2:3], s[22:23], 2
	s_add_u32 s2, s14, s2
	s_addc_u32 s3, s15, s3
	v_mov_b32_e32 v0, 0
	global_load_dword v1, v0, s[2:3]
	s_waitcnt vmcnt(0)
	v_add_u32_e32 v1, 1, v1
	global_store_dword v0, v1, s[2:3]
.LBB32_1165:
	s_or_b64 exec, exec, s[0:1]
	s_waitcnt vmcnt(0)
	buffer_wbinvl1_vol
	s_endpgm
.LBB32_1166:
	s_or_b64 exec, exec, s[8:9]
	s_and_b64 vcc, exec, s[6:7]
	s_cbranch_vccnz .LBB32_1141
.LBB32_1167:
	v_mov_b32_e32 v11, v5
	v_mov_b32_e32 v10, v4
	s_and_saveexec_b64 s[0:1], s[4:5]
	s_cbranch_execnz .LBB32_1162
	s_branch .LBB32_1163
.LBB32_1168:
	s_andn2_b64 s[0:1], s[4:5], exec
	s_and_b64 s[4:5], s[2:3], exec
	s_or_b64 s[4:5], s[0:1], s[4:5]
	s_cbranch_execnz .LBB32_1161
.LBB32_1169:
	v_cmp_gt_i32_e32 vcc, s90, v0
	s_and_b64 s[0:1], s[2:3], vcc
	s_andn2_b64 s[2:3], s[4:5], exec
	s_and_b64 s[0:1], s[0:1], exec
	s_or_b64 s[4:5], s[2:3], s[0:1]
	s_and_saveexec_b64 s[0:1], s[4:5]
	s_cbranch_execnz .LBB32_1162
	s_branch .LBB32_1163
.LBB32_1170:
	v_lshlrev_b32_e32 v21, 3, v20
	v_sub_u32_e32 v21, v18, v21
	v_lshl_add_u32 v21, v19, 3, v21
	ds_read_b64 v[21:22], v21 offset:544
	ds_read_b64 v[23:24], v18 offset:8
	s_waitcnt lgkmcnt(0)
	v_fma_f64 v[10:11], v[21:22], v[23:24], v[10:11]
	s_or_b64 exec, exec, s[14:15]
	v_cmp_gt_u32_e64 s[10:11], 8, v14
	s_and_saveexec_b64 s[14:15], s[10:11]
	s_cbranch_execz .LBB32_80
.LBB32_1171:
	ds_read_b64 v[21:22], v16 offset:1056
	ds_read_b64 v[23:24], v18 offset:16
	s_waitcnt lgkmcnt(0)
	v_fma_f64 v[10:11], v[21:22], v[23:24], v[10:11]
	s_or_b64 exec, exec, s[14:15]
	v_cmp_gt_u32_e64 s[10:11], 4, v14
	s_and_saveexec_b64 s[14:15], s[10:11]
	s_cbranch_execnz .LBB32_81
	s_branch .LBB32_82
.LBB32_1172:
	v_lshlrev_b32_e32 v26, 3, v25
	v_sub_u32_e32 v26, v23, v26
	v_lshl_add_u32 v26, v24, 3, v26
	ds_read_b64 v[26:27], v26 offset:576
	ds_read_b64 v[28:29], v23 offset:8
	s_waitcnt lgkmcnt(0)
	v_fma_f64 v[10:11], v[26:27], v[28:29], v[10:11]
	s_or_b64 exec, exec, s[16:17]
	v_cmp_gt_u32_e64 s[14:15], 48, v14
	s_and_saveexec_b64 s[16:17], s[14:15]
	s_cbranch_execz .LBB32_122
.LBB32_1173:
	v_lshlrev_b32_e32 v26, 3, v25
	v_sub_u32_e32 v26, v23, v26
	v_lshl_add_u32 v26, v24, 3, v26
	ds_read_b64 v[26:27], v26 offset:1088
	ds_read_b64 v[28:29], v23 offset:16
	s_waitcnt lgkmcnt(0)
	v_fma_f64 v[10:11], v[26:27], v[28:29], v[10:11]
	s_or_b64 exec, exec, s[16:17]
	v_cmp_gt_u32_e64 s[14:15], 40, v14
	s_and_saveexec_b64 s[16:17], s[14:15]
	s_cbranch_execz .LBB32_123
.LBB32_1174:
	v_lshlrev_b32_e32 v26, 3, v25
	v_sub_u32_e32 v26, v23, v26
	v_lshl_add_u32 v26, v24, 3, v26
	ds_read_b64 v[26:27], v26 offset:1600
	ds_read_b64 v[28:29], v23 offset:24
	s_waitcnt lgkmcnt(0)
	v_fma_f64 v[10:11], v[26:27], v[28:29], v[10:11]
	s_or_b64 exec, exec, s[16:17]
	v_cmp_gt_u32_e64 s[14:15], 32, v14
	s_and_saveexec_b64 s[16:17], s[14:15]
	s_cbranch_execz .LBB32_124
.LBB32_1175:
	ds_read_b64 v[26:27], v21 offset:2112
	ds_read_b64 v[28:29], v23 offset:32
	s_waitcnt lgkmcnt(0)
	v_fma_f64 v[10:11], v[26:27], v[28:29], v[10:11]
	s_or_b64 exec, exec, s[16:17]
	v_cmp_gt_u32_e64 s[14:15], 24, v14
	s_and_saveexec_b64 s[16:17], s[14:15]
	s_cbranch_execz .LBB32_125
.LBB32_1176:
	v_lshlrev_b32_e32 v26, 3, v25
	v_sub_u32_e32 v26, v23, v26
	v_lshl_add_u32 v26, v24, 3, v26
	ds_read_b64 v[26:27], v26 offset:2624
	ds_read_b64 v[28:29], v23 offset:40
	s_waitcnt lgkmcnt(0)
	v_fma_f64 v[10:11], v[26:27], v[28:29], v[10:11]
	s_or_b64 exec, exec, s[16:17]
	v_cmp_gt_u32_e64 s[14:15], 16, v14
	s_and_saveexec_b64 s[16:17], s[14:15]
	s_cbranch_execz .LBB32_126
.LBB32_1177:
	ds_read_b64 v[26:27], v21 offset:3136
	ds_read_b64 v[28:29], v23 offset:48
	s_waitcnt lgkmcnt(0)
	v_fma_f64 v[10:11], v[26:27], v[28:29], v[10:11]
	s_or_b64 exec, exec, s[16:17]
	v_cmp_gt_u32_e64 s[14:15], 8, v14
	s_and_saveexec_b64 s[16:17], s[14:15]
	s_cbranch_execnz .LBB32_127
	s_branch .LBB32_128
.LBB32_1178:
	v_lshlrev_b32_e32 v27, 3, v20
	v_sub_u32_e32 v27, v26, v27
	v_lshl_add_u32 v27, v19, 3, v27
	ds_read_b64 v[27:28], v27 offset:4704
	ds_read_b64 v[29:30], v26 offset:4168
	s_waitcnt lgkmcnt(0)
	v_fma_f64 v[10:11], v[27:28], v[29:30], v[10:11]
	s_or_b64 exec, exec, s[14:15]
	v_cmp_gt_u32_e64 s[10:11], 8, v14
	s_and_saveexec_b64 s[14:15], s[10:11]
	s_cbranch_execz .LBB32_184
.LBB32_1179:
	ds_read_b64 v[27:28], v16 offset:5216
	ds_read_b64 v[29:30], v26 offset:4176
	s_waitcnt lgkmcnt(0)
	v_fma_f64 v[10:11], v[27:28], v[29:30], v[10:11]
	s_or_b64 exec, exec, s[14:15]
	v_cmp_gt_u32_e64 s[10:11], 4, v14
	s_and_saveexec_b64 s[14:15], s[10:11]
	s_cbranch_execnz .LBB32_185
	s_branch .LBB32_186
.LBB32_1180:
	v_lshlrev_b32_e32 v31, 3, v27
	v_lshl_add_u32 v31, v29, 3, v31
	ds_read_b64 v[31:32], v31 offset:5760
	ds_read_b64 v[33:34], v28 offset:88
	s_waitcnt lgkmcnt(0)
	v_fma_f64 v[10:11], v[31:32], v[33:34], v[10:11]
	s_or_b64 exec, exec, s[20:21]
	v_cmp_gt_u32_e64 s[16:17], 64, v14
	s_and_saveexec_b64 s[20:21], s[16:17]
	s_cbranch_execz .LBB32_246
.LBB32_1181:
	ds_read_b64 v[31:32], v26 offset:6272
	ds_read_b64 v[33:34], v28 offset:96
	s_waitcnt lgkmcnt(0)
	v_fma_f64 v[10:11], v[31:32], v[33:34], v[10:11]
	s_or_b64 exec, exec, s[20:21]
	v_cmp_gt_u32_e64 s[16:17], 48, v14
	s_and_saveexec_b64 s[20:21], s[16:17]
	s_cbranch_execz .LBB32_247
.LBB32_1182:
	v_lshlrev_b32_e32 v31, 3, v27
	v_lshl_add_u32 v31, v29, 3, v31
	ds_read_b64 v[31:32], v31 offset:6784
	ds_read_b64 v[33:34], v28 offset:104
	s_waitcnt lgkmcnt(0)
	v_fma_f64 v[10:11], v[31:32], v[33:34], v[10:11]
	s_or_b64 exec, exec, s[20:21]
	v_cmp_gt_u32_e64 s[16:17], 32, v14
	s_and_saveexec_b64 s[20:21], s[16:17]
	s_cbranch_execz .LBB32_248
.LBB32_1183:
	ds_read_b64 v[31:32], v26 offset:7296
	ds_read_b64 v[33:34], v28 offset:112
	s_waitcnt lgkmcnt(0)
	v_fma_f64 v[10:11], v[31:32], v[33:34], v[10:11]
	s_or_b64 exec, exec, s[20:21]
	v_cmp_gt_u32_e64 s[16:17], 16, v14
	s_and_saveexec_b64 s[20:21], s[16:17]
	s_cbranch_execnz .LBB32_249
	s_branch .LBB32_250
.LBB32_1184:
	v_lshlrev_b32_e32 v32, 3, v20
	v_sub_u32_e32 v32, v31, v32
	v_lshl_add_u32 v32, v19, 3, v32
	ds_read_b64 v[32:33], v32 offset:8864
	ds_read_b64 v[34:35], v31 offset:8328
	s_waitcnt lgkmcnt(0)
	v_fma_f64 v[10:11], v[32:33], v[34:35], v[10:11]
	s_or_b64 exec, exec, s[20:21]
	v_cmp_gt_u32_e64 s[14:15], 8, v14
	s_and_saveexec_b64 s[0:1], s[14:15]
	s_cbranch_execz .LBB32_338
.LBB32_1185:
	ds_read_b64 v[32:33], v16 offset:9376
	ds_read_b64 v[34:35], v31 offset:8336
	s_waitcnt lgkmcnt(0)
	v_fma_f64 v[10:11], v[32:33], v[34:35], v[10:11]
	s_or_b64 exec, exec, s[0:1]
	v_cmp_gt_u32_e64 s[14:15], 4, v14
	s_and_saveexec_b64 s[20:21], s[14:15]
	s_cbranch_execnz .LBB32_339
	s_branch .LBB32_340
.LBB32_1186:
	v_lshlrev_b32_e32 v32, 3, v25
	v_sub_u32_e32 v32, v31, v32
	v_lshl_add_u32 v32, v24, 3, v32
	ds_read_b64 v[32:33], v32 offset:8896
	ds_read_b64 v[34:35], v31 offset:8328
	s_waitcnt lgkmcnt(0)
	v_fma_f64 v[10:11], v[32:33], v[34:35], v[10:11]
	s_or_b64 exec, exec, s[20:21]
	v_cmp_gt_u32_e64 s[14:15], 48, v14
	s_and_saveexec_b64 s[20:21], s[14:15]
	s_cbranch_execz .LBB32_380
.LBB32_1187:
	v_lshlrev_b32_e32 v32, 3, v25
	v_sub_u32_e32 v32, v31, v32
	v_lshl_add_u32 v32, v24, 3, v32
	ds_read_b64 v[32:33], v32 offset:9408
	ds_read_b64 v[34:35], v31 offset:8336
	s_waitcnt lgkmcnt(0)
	v_fma_f64 v[10:11], v[32:33], v[34:35], v[10:11]
	s_or_b64 exec, exec, s[20:21]
	v_cmp_gt_u32_e64 s[14:15], 40, v14
	s_and_saveexec_b64 s[20:21], s[14:15]
	s_cbranch_execz .LBB32_381
.LBB32_1188:
	v_lshlrev_b32_e32 v32, 3, v25
	v_sub_u32_e32 v32, v31, v32
	v_lshl_add_u32 v32, v24, 3, v32
	ds_read_b64 v[32:33], v32 offset:9920
	ds_read_b64 v[34:35], v31 offset:8344
	s_waitcnt lgkmcnt(0)
	v_fma_f64 v[10:11], v[32:33], v[34:35], v[10:11]
	s_or_b64 exec, exec, s[20:21]
	v_cmp_gt_u32_e64 s[14:15], 32, v14
	s_and_saveexec_b64 s[0:1], s[14:15]
	s_cbranch_execz .LBB32_382
.LBB32_1189:
	ds_read_b64 v[32:33], v21 offset:10432
	ds_read_b64 v[34:35], v31 offset:8352
	s_waitcnt lgkmcnt(0)
	v_fma_f64 v[10:11], v[32:33], v[34:35], v[10:11]
	s_or_b64 exec, exec, s[0:1]
	v_cmp_gt_u32_e64 s[14:15], 24, v14
	s_and_saveexec_b64 s[20:21], s[14:15]
	s_cbranch_execz .LBB32_383
.LBB32_1190:
	v_lshlrev_b32_e32 v32, 3, v25
	v_sub_u32_e32 v32, v31, v32
	v_lshl_add_u32 v32, v24, 3, v32
	ds_read_b64 v[32:33], v32 offset:10944
	ds_read_b64 v[34:35], v31 offset:8360
	s_waitcnt lgkmcnt(0)
	v_fma_f64 v[10:11], v[32:33], v[34:35], v[10:11]
	s_or_b64 exec, exec, s[20:21]
	v_cmp_gt_u32_e64 s[14:15], 16, v14
	s_and_saveexec_b64 s[0:1], s[14:15]
	s_cbranch_execz .LBB32_384
.LBB32_1191:
	ds_read_b64 v[32:33], v21 offset:11456
	ds_read_b64 v[34:35], v31 offset:8368
	s_waitcnt lgkmcnt(0)
	v_fma_f64 v[10:11], v[32:33], v[34:35], v[10:11]
	s_or_b64 exec, exec, s[0:1]
	v_cmp_gt_u32_e64 s[14:15], 8, v14
	s_and_saveexec_b64 s[20:21], s[14:15]
	s_cbranch_execnz .LBB32_385
	s_branch .LBB32_386
.LBB32_1192:
	v_lshlrev_b32_e32 v32, 3, v20
	v_sub_u32_e32 v32, v31, v32
	v_lshl_add_u32 v32, v19, 3, v32
	ds_read_b64 v[32:33], v32 offset:13024
	ds_read_b64 v[34:35], v31 offset:12488
	s_waitcnt lgkmcnt(0)
	v_fma_f64 v[10:11], v[32:33], v[34:35], v[10:11]
	s_or_b64 exec, exec, s[20:21]
	v_cmp_gt_u32_e64 s[14:15], 8, v14
	s_and_saveexec_b64 s[0:1], s[14:15]
	s_cbranch_execz .LBB32_442
.LBB32_1193:
	ds_read_b64 v[32:33], v16 offset:13536
	ds_read_b64 v[34:35], v31 offset:12496
	s_waitcnt lgkmcnt(0)
	v_fma_f64 v[10:11], v[32:33], v[34:35], v[10:11]
	s_or_b64 exec, exec, s[0:1]
	v_cmp_gt_u32_e64 s[14:15], 4, v14
	s_and_saveexec_b64 s[20:21], s[14:15]
	s_cbranch_execnz .LBB32_443
	s_branch .LBB32_444
.LBB32_1194:
	ds_read_b64 v[36:37], v31 offset:15104
	ds_read_b64 v[38:39], v35 offset:232
	s_waitcnt lgkmcnt(0)
	v_fma_f64 v[10:11], v[36:37], v[38:39], v[10:11]
	s_or_b64 exec, exec, s[0:1]
	v_cmp_gt_u32_e64 s[20:21], 64, v14
	s_and_saveexec_b64 s[0:1], s[20:21]
	s_cbranch_execz .LBB32_540
.LBB32_1195:
	ds_read_b64 v[36:37], v31 offset:15616
	ds_read_b64 v[38:39], v35 offset:240
	s_waitcnt lgkmcnt(0)
	v_fma_f64 v[10:11], v[36:37], v[38:39], v[10:11]
	s_or_b64 exec, exec, s[0:1]
	v_cmp_gt_u32_e64 s[20:21], 32, v14
	s_and_saveexec_b64 s[0:1], s[20:21]
	s_cbranch_execnz .LBB32_541
	s_branch .LBB32_542
.LBB32_1196:
	v_lshlrev_b32_e32 v32, 3, v20
	v_sub_u32_e32 v32, v31, v32
	v_lshl_add_u32 v32, v19, 3, v32
	ds_read_b64 v[32:33], v32 offset:17184
	ds_read_b64 v[34:35], v31 offset:16648
	s_waitcnt lgkmcnt(0)
	v_fma_f64 v[10:11], v[32:33], v[34:35], v[10:11]
	s_or_b64 exec, exec, s[16:17]
	v_cmp_gt_u32_e64 s[12:13], 8, v14
	s_and_saveexec_b64 s[0:1], s[12:13]
	s_cbranch_execz .LBB32_694
.LBB32_1197:
	ds_read_b64 v[32:33], v16 offset:17696
	ds_read_b64 v[34:35], v31 offset:16656
	s_waitcnt lgkmcnt(0)
	v_fma_f64 v[10:11], v[32:33], v[34:35], v[10:11]
	s_or_b64 exec, exec, s[0:1]
	v_cmp_gt_u32_e64 s[12:13], 4, v14
	s_and_saveexec_b64 s[0:1], s[12:13]
	s_cbranch_execnz .LBB32_695
	s_branch .LBB32_696
.LBB32_1198:
	v_lshlrev_b32_e32 v32, 3, v25
	v_sub_u32_e32 v32, v31, v32
	v_lshl_add_u32 v32, v24, 3, v32
	ds_read_b64 v[32:33], v32 offset:17216
	ds_read_b64 v[34:35], v31 offset:16648
	s_waitcnt lgkmcnt(0)
	v_fma_f64 v[10:11], v[32:33], v[34:35], v[10:11]
	s_or_b64 exec, exec, s[16:17]
	v_cmp_gt_u32_e64 s[12:13], 48, v14
	s_and_saveexec_b64 s[0:1], s[12:13]
	s_cbranch_execz .LBB32_736
.LBB32_1199:
	v_lshlrev_b32_e32 v32, 3, v25
	v_sub_u32_e32 v32, v31, v32
	v_lshl_add_u32 v32, v24, 3, v32
	ds_read_b64 v[32:33], v32 offset:17728
	ds_read_b64 v[34:35], v31 offset:16656
	s_waitcnt lgkmcnt(0)
	v_fma_f64 v[10:11], v[32:33], v[34:35], v[10:11]
	s_or_b64 exec, exec, s[0:1]
	v_cmp_gt_u32_e64 s[12:13], 40, v14
	s_and_saveexec_b64 s[0:1], s[12:13]
	s_cbranch_execz .LBB32_737
.LBB32_1200:
	v_lshlrev_b32_e32 v32, 3, v25
	v_sub_u32_e32 v32, v31, v32
	v_lshl_add_u32 v32, v24, 3, v32
	ds_read_b64 v[32:33], v32 offset:18240
	ds_read_b64 v[34:35], v31 offset:16664
	s_waitcnt lgkmcnt(0)
	v_fma_f64 v[10:11], v[32:33], v[34:35], v[10:11]
	s_or_b64 exec, exec, s[0:1]
	v_cmp_gt_u32_e64 s[12:13], 32, v14
	s_and_saveexec_b64 s[0:1], s[12:13]
	s_cbranch_execz .LBB32_738
.LBB32_1201:
	ds_read_b64 v[32:33], v21 offset:18752
	ds_read_b64 v[34:35], v31 offset:16672
	s_waitcnt lgkmcnt(0)
	v_fma_f64 v[10:11], v[32:33], v[34:35], v[10:11]
	s_or_b64 exec, exec, s[0:1]
	v_cmp_gt_u32_e64 s[12:13], 24, v14
	s_and_saveexec_b64 s[0:1], s[12:13]
	s_cbranch_execz .LBB32_739
.LBB32_1202:
	v_lshlrev_b32_e32 v32, 3, v25
	v_sub_u32_e32 v32, v31, v32
	v_lshl_add_u32 v32, v24, 3, v32
	ds_read_b64 v[32:33], v32 offset:19264
	ds_read_b64 v[34:35], v31 offset:16680
	s_waitcnt lgkmcnt(0)
	v_fma_f64 v[10:11], v[32:33], v[34:35], v[10:11]
	s_or_b64 exec, exec, s[0:1]
	v_cmp_gt_u32_e64 s[12:13], 16, v14
	s_and_saveexec_b64 s[0:1], s[12:13]
	s_cbranch_execz .LBB32_740
.LBB32_1203:
	ds_read_b64 v[32:33], v21 offset:19776
	ds_read_b64 v[34:35], v31 offset:16688
	s_waitcnt lgkmcnt(0)
	v_fma_f64 v[10:11], v[32:33], v[34:35], v[10:11]
	s_or_b64 exec, exec, s[0:1]
	v_cmp_gt_u32_e64 s[12:13], 8, v14
	s_and_saveexec_b64 s[0:1], s[12:13]
	s_cbranch_execnz .LBB32_741
	s_branch .LBB32_742
.LBB32_1204:
	v_lshlrev_b32_e32 v32, 3, v20
	v_sub_u32_e32 v32, v31, v32
	v_lshl_add_u32 v32, v19, 3, v32
	ds_read_b64 v[32:33], v32 offset:21344
	ds_read_b64 v[34:35], v31 offset:20808
	s_waitcnt lgkmcnt(0)
	v_fma_f64 v[10:11], v[32:33], v[34:35], v[10:11]
	s_or_b64 exec, exec, s[16:17]
	v_cmp_gt_u32_e64 s[12:13], 8, v14
	s_and_saveexec_b64 s[0:1], s[12:13]
	s_cbranch_execz .LBB32_798
.LBB32_1205:
	ds_read_b64 v[32:33], v16 offset:21856
	ds_read_b64 v[34:35], v31 offset:20816
	s_waitcnt lgkmcnt(0)
	v_fma_f64 v[10:11], v[32:33], v[34:35], v[10:11]
	s_or_b64 exec, exec, s[0:1]
	v_cmp_gt_u32_e64 s[12:13], 4, v14
	s_and_saveexec_b64 s[0:1], s[12:13]
	s_cbranch_execnz .LBB32_799
	s_branch .LBB32_800
.LBB32_1206:
	v_lshlrev_b32_e32 v30, 3, v27
	v_lshl_add_u32 v30, v29, 3, v30
	ds_read_b64 v[32:33], v30 offset:22400
	ds_read_b64 v[34:35], v31 offset:16728
	s_waitcnt lgkmcnt(0)
	v_fma_f64 v[10:11], v[32:33], v[34:35], v[10:11]
	s_or_b64 exec, exec, s[0:1]
	v_cmp_gt_u32_e64 s[12:13], 64, v14
	s_and_saveexec_b64 s[0:1], s[12:13]
	s_cbranch_execz .LBB32_860
.LBB32_1207:
	ds_read_b64 v[32:33], v26 offset:22912
	ds_read_b64 v[34:35], v31 offset:16736
	s_waitcnt lgkmcnt(0)
	v_fma_f64 v[10:11], v[32:33], v[34:35], v[10:11]
	s_or_b64 exec, exec, s[0:1]
	v_cmp_gt_u32_e64 s[12:13], 48, v14
	s_and_saveexec_b64 s[0:1], s[12:13]
	s_cbranch_execz .LBB32_861
.LBB32_1208:
	v_lshlrev_b32_e32 v30, 3, v27
	v_lshl_add_u32 v29, v29, 3, v30
	ds_read_b64 v[29:30], v29 offset:23424
	ds_read_b64 v[32:33], v31 offset:16744
	s_waitcnt lgkmcnt(0)
	v_fma_f64 v[10:11], v[29:30], v[32:33], v[10:11]
	s_or_b64 exec, exec, s[0:1]
	v_cmp_gt_u32_e64 s[12:13], 32, v14
	s_and_saveexec_b64 s[0:1], s[12:13]
	s_cbranch_execz .LBB32_862
.LBB32_1209:
	ds_read_b64 v[29:30], v26 offset:23936
	ds_read_b64 v[31:32], v31 offset:16752
	s_waitcnt lgkmcnt(0)
	v_fma_f64 v[10:11], v[29:30], v[31:32], v[10:11]
	s_or_b64 exec, exec, s[0:1]
	v_cmp_gt_u32_e64 s[12:13], 16, v14
	s_and_saveexec_b64 s[0:1], s[12:13]
	s_cbranch_execnz .LBB32_863
	s_branch .LBB32_864
.LBB32_1210:
	v_lshlrev_b32_e32 v27, 3, v20
	v_sub_u32_e32 v27, v26, v27
	v_lshl_add_u32 v27, v19, 3, v27
	ds_read_b64 v[27:28], v27 offset:25504
	ds_read_b64 v[29:30], v26 offset:24968
	s_waitcnt lgkmcnt(0)
	v_fma_f64 v[10:11], v[27:28], v[29:30], v[10:11]
	s_or_b64 exec, exec, s[12:13]
	v_cmp_gt_u32_e64 s[10:11], 8, v14
	s_and_saveexec_b64 s[12:13], s[10:11]
	s_cbranch_execz .LBB32_952
.LBB32_1211:
	ds_read_b64 v[27:28], v16 offset:26016
	ds_read_b64 v[29:30], v26 offset:24976
	s_waitcnt lgkmcnt(0)
	v_fma_f64 v[10:11], v[27:28], v[29:30], v[10:11]
	s_or_b64 exec, exec, s[12:13]
	v_cmp_gt_u32_e64 s[10:11], 4, v14
	s_and_saveexec_b64 s[12:13], s[10:11]
	s_cbranch_execnz .LBB32_953
	s_branch .LBB32_954
.LBB32_1212:
	v_lshlrev_b32_e32 v27, 3, v25
	v_sub_u32_e32 v27, v26, v27
	v_lshl_add_u32 v27, v24, 3, v27
	ds_read_b64 v[27:28], v27 offset:25536
	ds_read_b64 v[29:30], v26 offset:24968
	s_waitcnt lgkmcnt(0)
	v_fma_f64 v[10:11], v[27:28], v[29:30], v[10:11]
	s_or_b64 exec, exec, s[12:13]
	v_cmp_gt_u32_e64 s[10:11], 48, v14
	s_and_saveexec_b64 s[12:13], s[10:11]
	s_cbranch_execz .LBB32_994
.LBB32_1213:
	v_lshlrev_b32_e32 v27, 3, v25
	v_sub_u32_e32 v27, v26, v27
	v_lshl_add_u32 v27, v24, 3, v27
	ds_read_b64 v[27:28], v27 offset:26048
	ds_read_b64 v[29:30], v26 offset:24976
	s_waitcnt lgkmcnt(0)
	v_fma_f64 v[10:11], v[27:28], v[29:30], v[10:11]
	s_or_b64 exec, exec, s[12:13]
	v_cmp_gt_u32_e64 s[10:11], 40, v14
	s_and_saveexec_b64 s[12:13], s[10:11]
	s_cbranch_execz .LBB32_995
.LBB32_1214:
	v_lshlrev_b32_e32 v27, 3, v25
	v_sub_u32_e32 v27, v26, v27
	v_lshl_add_u32 v27, v24, 3, v27
	ds_read_b64 v[27:28], v27 offset:26560
	ds_read_b64 v[29:30], v26 offset:24984
	s_waitcnt lgkmcnt(0)
	v_fma_f64 v[10:11], v[27:28], v[29:30], v[10:11]
	s_or_b64 exec, exec, s[12:13]
	v_cmp_gt_u32_e64 s[10:11], 32, v14
	s_and_saveexec_b64 s[12:13], s[10:11]
	s_cbranch_execz .LBB32_996
.LBB32_1215:
	ds_read_b64 v[27:28], v21 offset:27072
	ds_read_b64 v[29:30], v26 offset:24992
	s_waitcnt lgkmcnt(0)
	v_fma_f64 v[10:11], v[27:28], v[29:30], v[10:11]
	s_or_b64 exec, exec, s[12:13]
	v_cmp_gt_u32_e64 s[10:11], 24, v14
	s_and_saveexec_b64 s[12:13], s[10:11]
	s_cbranch_execz .LBB32_997
.LBB32_1216:
	v_lshlrev_b32_e32 v25, 3, v25
	v_sub_u32_e32 v25, v26, v25
	v_lshl_add_u32 v24, v24, 3, v25
	ds_read_b64 v[24:25], v24 offset:27584
	ds_read_b64 v[27:28], v26 offset:25000
	s_waitcnt lgkmcnt(0)
	v_fma_f64 v[10:11], v[24:25], v[27:28], v[10:11]
	s_or_b64 exec, exec, s[12:13]
	v_cmp_gt_u32_e64 s[10:11], 16, v14
	s_and_saveexec_b64 s[12:13], s[10:11]
	s_cbranch_execz .LBB32_998
.LBB32_1217:
	ds_read_b64 v[24:25], v21 offset:28096
	ds_read_b64 v[26:27], v26 offset:25008
	s_waitcnt lgkmcnt(0)
	v_fma_f64 v[10:11], v[24:25], v[26:27], v[10:11]
	s_or_b64 exec, exec, s[12:13]
	v_cmp_gt_u32_e64 s[10:11], 8, v14
	s_and_saveexec_b64 s[12:13], s[10:11]
	s_cbranch_execnz .LBB32_999
	s_branch .LBB32_1000
.LBB32_1218:
	v_lshlrev_b32_e32 v20, 3, v20
	v_sub_u32_e32 v20, v21, v20
	v_lshl_add_u32 v19, v19, 3, v20
	ds_read_b64 v[19:20], v19 offset:29664
	ds_read_b64 v[22:23], v21 offset:29128
	s_waitcnt lgkmcnt(0)
	v_fma_f64 v[10:11], v[19:20], v[22:23], v[10:11]
	s_or_b64 exec, exec, s[10:11]
	v_cmp_gt_u32_e64 s[8:9], 8, v14
	s_and_saveexec_b64 s[10:11], s[8:9]
	s_cbranch_execz .LBB32_1056
.LBB32_1219:
	ds_read_b64 v[19:20], v16 offset:30176
	ds_read_b64 v[21:22], v21 offset:29136
	s_waitcnt lgkmcnt(0)
	v_fma_f64 v[10:11], v[19:20], v[21:22], v[10:11]
	s_or_b64 exec, exec, s[10:11]
	v_cmp_gt_u32_e64 s[8:9], 4, v14
	s_and_saveexec_b64 s[10:11], s[8:9]
	s_cbranch_execnz .LBB32_1057
	s_branch .LBB32_1058
	.section	.rodata,"a",@progbits
	.p2align	6, 0x0
	.amdhsa_kernel _ZL19rocblas_trsv_deviceILi64ELi16ELb1ELb1ELb0ELb1EdPKdS1_PdEviT7_lllT6_T8_lllPii
		.amdhsa_group_segment_fixed_size 41480
		.amdhsa_private_segment_fixed_size 0
		.amdhsa_kernarg_size 352
		.amdhsa_user_sgpr_count 6
		.amdhsa_user_sgpr_private_segment_buffer 1
		.amdhsa_user_sgpr_dispatch_ptr 0
		.amdhsa_user_sgpr_queue_ptr 0
		.amdhsa_user_sgpr_kernarg_segment_ptr 1
		.amdhsa_user_sgpr_dispatch_id 0
		.amdhsa_user_sgpr_flat_scratch_init 0
		.amdhsa_user_sgpr_private_segment_size 0
		.amdhsa_uses_dynamic_stack 0
		.amdhsa_system_sgpr_private_segment_wavefront_offset 0
		.amdhsa_system_sgpr_workgroup_id_x 1
		.amdhsa_system_sgpr_workgroup_id_y 0
		.amdhsa_system_sgpr_workgroup_id_z 1
		.amdhsa_system_sgpr_workgroup_info 0
		.amdhsa_system_vgpr_workitem_id 1
		.amdhsa_next_free_vgpr 49
		.amdhsa_next_free_sgpr 98
		.amdhsa_reserve_vcc 1
		.amdhsa_reserve_flat_scratch 0
		.amdhsa_float_round_mode_32 0
		.amdhsa_float_round_mode_16_64 0
		.amdhsa_float_denorm_mode_32 3
		.amdhsa_float_denorm_mode_16_64 3
		.amdhsa_dx10_clamp 1
		.amdhsa_ieee_mode 1
		.amdhsa_fp16_overflow 0
		.amdhsa_exception_fp_ieee_invalid_op 0
		.amdhsa_exception_fp_denorm_src 0
		.amdhsa_exception_fp_ieee_div_zero 0
		.amdhsa_exception_fp_ieee_overflow 0
		.amdhsa_exception_fp_ieee_underflow 0
		.amdhsa_exception_fp_ieee_inexact 0
		.amdhsa_exception_int_div_zero 0
	.end_amdhsa_kernel
	.section	.text._ZL19rocblas_trsv_deviceILi64ELi16ELb1ELb1ELb0ELb1EdPKdS1_PdEviT7_lllT6_T8_lllPii,"axG",@progbits,_ZL19rocblas_trsv_deviceILi64ELi16ELb1ELb1ELb0ELb1EdPKdS1_PdEviT7_lllT6_T8_lllPii,comdat
.Lfunc_end32:
	.size	_ZL19rocblas_trsv_deviceILi64ELi16ELb1ELb1ELb0ELb1EdPKdS1_PdEviT7_lllT6_T8_lllPii, .Lfunc_end32-_ZL19rocblas_trsv_deviceILi64ELi16ELb1ELb1ELb0ELb1EdPKdS1_PdEviT7_lllT6_T8_lllPii
                                        ; -- End function
	.set _ZL19rocblas_trsv_deviceILi64ELi16ELb1ELb1ELb0ELb1EdPKdS1_PdEviT7_lllT6_T8_lllPii.num_vgpr, 41
	.set _ZL19rocblas_trsv_deviceILi64ELi16ELb1ELb1ELb0ELb1EdPKdS1_PdEviT7_lllT6_T8_lllPii.num_agpr, 0
	.set _ZL19rocblas_trsv_deviceILi64ELi16ELb1ELb1ELb0ELb1EdPKdS1_PdEviT7_lllT6_T8_lllPii.numbered_sgpr, 96
	.set _ZL19rocblas_trsv_deviceILi64ELi16ELb1ELb1ELb0ELb1EdPKdS1_PdEviT7_lllT6_T8_lllPii.num_named_barrier, 0
	.set _ZL19rocblas_trsv_deviceILi64ELi16ELb1ELb1ELb0ELb1EdPKdS1_PdEviT7_lllT6_T8_lllPii.private_seg_size, 0
	.set _ZL19rocblas_trsv_deviceILi64ELi16ELb1ELb1ELb0ELb1EdPKdS1_PdEviT7_lllT6_T8_lllPii.uses_vcc, 1
	.set _ZL19rocblas_trsv_deviceILi64ELi16ELb1ELb1ELb0ELb1EdPKdS1_PdEviT7_lllT6_T8_lllPii.uses_flat_scratch, 0
	.set _ZL19rocblas_trsv_deviceILi64ELi16ELb1ELb1ELb0ELb1EdPKdS1_PdEviT7_lllT6_T8_lllPii.has_dyn_sized_stack, 0
	.set _ZL19rocblas_trsv_deviceILi64ELi16ELb1ELb1ELb0ELb1EdPKdS1_PdEviT7_lllT6_T8_lllPii.has_recursion, 0
	.set _ZL19rocblas_trsv_deviceILi64ELi16ELb1ELb1ELb0ELb1EdPKdS1_PdEviT7_lllT6_T8_lllPii.has_indirect_call, 0
	.section	.AMDGPU.csdata,"",@progbits
; Kernel info:
; codeLenInByte = 35280
; TotalNumSgprs: 100
; NumVgprs: 41
; ScratchSize: 0
; MemoryBound: 0
; FloatMode: 240
; IeeeMode: 1
; LDSByteSize: 41480 bytes/workgroup (compile time only)
; SGPRBlocks: 12
; VGPRBlocks: 12
; NumSGPRsForWavesPerEU: 102
; NumVGPRsForWavesPerEU: 49
; Occupancy: 4
; WaveLimiterHint : 0
; COMPUTE_PGM_RSRC2:SCRATCH_EN: 0
; COMPUTE_PGM_RSRC2:USER_SGPR: 6
; COMPUTE_PGM_RSRC2:TRAP_HANDLER: 0
; COMPUTE_PGM_RSRC2:TGID_X_EN: 1
; COMPUTE_PGM_RSRC2:TGID_Y_EN: 0
; COMPUTE_PGM_RSRC2:TGID_Z_EN: 1
; COMPUTE_PGM_RSRC2:TIDIG_COMP_CNT: 1
	.section	.text._ZL19rocblas_trsv_deviceILi64ELi16ELb1ELb1ELb1ELb1EdPKdS1_PdEviT7_lllT6_T8_lllPii,"axG",@progbits,_ZL19rocblas_trsv_deviceILi64ELi16ELb1ELb1ELb1ELb1EdPKdS1_PdEviT7_lllT6_T8_lllPii,comdat
	.globl	_ZL19rocblas_trsv_deviceILi64ELi16ELb1ELb1ELb1ELb1EdPKdS1_PdEviT7_lllT6_T8_lllPii ; -- Begin function _ZL19rocblas_trsv_deviceILi64ELi16ELb1ELb1ELb1ELb1EdPKdS1_PdEviT7_lllT6_T8_lllPii
	.p2align	8
	.type	_ZL19rocblas_trsv_deviceILi64ELi16ELb1ELb1ELb1ELb1EdPKdS1_PdEviT7_lllT6_T8_lllPii,@function
_ZL19rocblas_trsv_deviceILi64ELi16ELb1ELb1ELb1ELb1EdPKdS1_PdEviT7_lllT6_T8_lllPii: ; @_ZL19rocblas_trsv_deviceILi64ELi16ELb1ELb1ELb1ELb1EdPKdS1_PdEviT7_lllT6_T8_lllPii
; %bb.0:
	s_load_dwordx16 s[36:51], s[4:5], 0x8
	s_load_dword s24, s[4:5], 0x0
	s_mov_b32 s22, s7
	s_mov_b32 s23, 0
	s_waitcnt lgkmcnt(0)
	s_mul_i32 s0, s43, s7
	s_mul_hi_u32 s1, s42, s7
	s_add_i32 s1, s1, s0
	s_mul_i32 s0, s42, s7
	s_load_dword s7, s[4:5], 0x60
	s_lshl_b64 s[0:1], s[0:1], 3
	s_add_u32 s2, s36, s0
	s_addc_u32 s3, s37, s1
	s_lshl_b64 s[0:1], s[38:39], 3
	s_load_dwordx2 s[18:19], s[44:45], 0x0
	s_load_dword s95, s[4:5], 0x6c
	s_add_u32 s91, s2, s0
	s_addc_u32 s94, s3, s1
	s_waitcnt lgkmcnt(0)
	s_add_i32 s7, s7, -1
	s_sub_i32 s33, s7, s6
	s_cmp_eq_u32 s6, 0
	s_cbranch_scc1 .LBB33_10
; %bb.1:
	s_lshl_b32 s2, s33, 6
	v_add_u32_e32 v4, s2, v0
	v_ashrrev_i32_e32 v2, 31, v4
	v_mul_lo_u32 v5, s40, v2
	v_mul_lo_u32 v6, s41, v4
	v_mad_u64_u32 v[2:3], s[0:1], s40, v4, 0
	v_add3_u32 v10, v1, s2, 64
	v_ashrrev_i32_e32 v11, 31, v10
	v_add3_u32 v3, v3, v5, v6
	v_lshlrev_b64 v[2:3], 3, v[2:3]
	v_cmp_gt_i32_e32 vcc, s24, v4
	v_mov_b32_e32 v4, s94
	v_add_co_u32_e64 v5, s[0:1], s91, v2
	v_addc_co_u32_e64 v4, s[0:1], v4, v3, s[0:1]
	v_lshlrev_b64 v[2:3], 3, v[10:11]
	v_add_co_u32_e64 v11, s[0:1], v5, v2
	v_addc_co_u32_e64 v12, s[0:1], v4, v3, s[0:1]
	v_cmp_gt_i32_e64 s[0:1], s24, v10
	v_mov_b32_e32 v2, 0
	v_mov_b32_e32 v4, 0
	;; [unrolled: 1-line block ×4, first 2 shown]
	s_and_b64 s[2:3], s[0:1], vcc
	s_barrier
	s_and_saveexec_b64 s[0:1], s[2:3]
	s_cbranch_execz .LBB33_3
; %bb.2:
	global_load_dwordx2 v[4:5], v[11:12], off
.LBB33_3:
	s_or_b64 exec, exec, s[0:1]
	v_add_u32_e32 v6, 16, v10
	v_cmp_gt_i32_e64 s[0:1], s24, v6
	s_and_b64 s[2:3], s[0:1], vcc
	s_waitcnt vmcnt(0)
	s_barrier
	s_and_saveexec_b64 s[0:1], s[2:3]
	s_cbranch_execz .LBB33_5
; %bb.4:
	global_load_dwordx2 v[2:3], v[11:12], off offset:128
.LBB33_5:
	s_or_b64 exec, exec, s[0:1]
	v_add_u32_e32 v6, 32, v10
	v_cmp_gt_i32_e64 s[0:1], s24, v6
	v_mov_b32_e32 v6, 0
	v_mov_b32_e32 v8, 0
	;; [unrolled: 1-line block ×4, first 2 shown]
	s_and_b64 s[2:3], s[0:1], vcc
	s_waitcnt vmcnt(0)
	s_barrier
	s_and_saveexec_b64 s[0:1], s[2:3]
	s_cbranch_execz .LBB33_7
; %bb.6:
	global_load_dwordx2 v[8:9], v[11:12], off offset:256
.LBB33_7:
	s_or_b64 exec, exec, s[0:1]
	v_add_u32_e32 v10, 48, v10
	v_cmp_gt_i32_e64 s[0:1], s24, v10
	s_and_b64 s[2:3], s[0:1], vcc
	s_waitcnt vmcnt(0)
	s_barrier
	s_and_saveexec_b64 s[0:1], s[2:3]
	s_cbranch_execz .LBB33_9
; %bb.8:
	global_load_dwordx2 v[6:7], v[11:12], off offset:384
.LBB33_9:
	s_or_b64 exec, exec, s[0:1]
	s_branch .LBB33_11
.LBB33_10:
                                        ; implicit-def: $vgpr6_vgpr7
                                        ; implicit-def: $vgpr8_vgpr9
                                        ; implicit-def: $vgpr2_vgpr3
                                        ; implicit-def: $vgpr4_vgpr5
.LBB33_11:
	s_ashr_i32 s25, s24, 31
	s_lshr_b32 s0, s25, 26
	s_add_i32 s0, s24, s0
	s_andn2_b32 s0, s0, 63
	s_sub_i32 s90, s24, s0
	s_add_i32 s0, s24, -1
	s_ashr_i32 s1, s0, 31
	s_lshr_b32 s1, s1, 26
	s_add_i32 s0, s0, s1
	s_ashr_i32 s0, s0, 6
	s_cmp_eq_u32 s0, s33
	s_cselect_b64 s[0:1], -1, 0
	s_cmp_lg_u32 s90, 0
	s_cselect_b64 s[2:3], -1, 0
	s_and_b64 s[26:27], s[2:3], s[0:1]
	s_cmp_lt_i32 s6, 5
	s_cselect_b64 s[2:3], -1, 0
	s_mov_b64 s[12:13], -1
	s_or_b64 s[0:1], s[2:3], s[26:27]
	v_lshlrev_b32_e32 v14, 6, v0
	s_and_b64 vcc, exec, s[26:27]
	v_cmp_le_u32_e64 s[8:9], v0, v1
	s_cbranch_vccnz .LBB33_33
; %bb.12:
	s_add_u32 s10, s40, 1
	s_addc_u32 s11, s41, 0
	s_lshl_b32 s12, s33, 6
	s_ashr_i32 s13, s12, 31
	s_mul_hi_u32 s14, s10, s12
	s_mul_i32 s13, s10, s13
	s_add_i32 s13, s14, s13
	s_mul_i32 s11, s11, s12
	s_add_i32 s11, s13, s11
	s_mul_i32 s10, s10, s12
	s_lshl_b64 s[10:11], s[10:11], 3
	s_add_u32 s10, s91, s10
	s_addc_u32 s11, s94, s11
	v_lshlrev_b32_e32 v10, 3, v0
	v_mov_b32_e32 v11, s11
	v_add_co_u32_e32 v10, vcc, s10, v10
	v_addc_co_u32_e32 v11, vcc, 0, v11, vcc
	s_mov_b64 s[10:11], 0
	s_and_saveexec_b64 s[12:13], s[8:9]
	s_xor_b64 s[8:9], exec, s[12:13]
; %bb.13:
	v_or_b32_e32 v12, v1, v0
	v_cmp_gt_u32_e32 vcc, 64, v12
	s_and_b64 s[10:11], vcc, exec
; %bb.14:
	s_or_saveexec_b64 s[8:9], s[8:9]
	v_mov_b32_e32 v12, 0
	v_mov_b32_e32 v13, 0
	s_xor_b64 exec, exec, s[8:9]
	s_cbranch_execz .LBB33_16
; %bb.15:
	v_mad_u64_u32 v[12:13], s[12:13], s40, v1, 0
	s_or_b64 s[10:11], s[10:11], exec
	v_mad_u64_u32 v[15:16], s[12:13], s41, v1, v[13:14]
	v_mov_b32_e32 v13, v15
	v_lshlrev_b64 v[12:13], 3, v[12:13]
	v_add_co_u32_e32 v12, vcc, v10, v12
	v_addc_co_u32_e32 v13, vcc, v11, v13, vcc
	global_load_dwordx2 v[12:13], v[12:13], off
	s_waitcnt vmcnt(0)
	v_xor_b32_e32 v13, 0x80000000, v13
.LBB33_16:
	s_or_b64 exec, exec, s[8:9]
	s_and_saveexec_b64 s[8:9], s[10:11]
; %bb.17:
	v_add_u32_e32 v15, v1, v14
	v_lshl_add_u32 v16, v1, 6, v0
	v_cndmask_b32_e64 v15, v16, v15, s[2:3]
	v_lshlrev_b32_e32 v15, 3, v15
	ds_write_b64 v15, v[12:13]
; %bb.18:
	s_or_b64 exec, exec, s[8:9]
	v_add_u32_e32 v15, 16, v1
	v_cmp_le_u32_e32 vcc, v0, v15
	s_mov_b64 s[2:3], 0
	s_and_saveexec_b64 s[8:9], vcc
	s_xor_b64 s[8:9], exec, s[8:9]
; %bb.19:
	v_or_b32_e32 v12, v15, v0
	v_cmp_gt_u32_e32 vcc, 64, v12
	s_and_b64 s[2:3], vcc, exec
; %bb.20:
	s_or_saveexec_b64 s[8:9], s[8:9]
	v_mov_b32_e32 v12, 0
	v_mov_b32_e32 v13, 0
	s_xor_b64 exec, exec, s[8:9]
	s_cbranch_execz .LBB33_22
; %bb.21:
	v_mad_u64_u32 v[12:13], s[10:11], s40, v15, 0
	s_or_b64 s[2:3], s[2:3], exec
	v_mad_u64_u32 v[16:17], s[10:11], s41, v15, v[13:14]
	v_mov_b32_e32 v13, v16
	v_lshlrev_b64 v[12:13], 3, v[12:13]
	v_add_co_u32_e32 v12, vcc, v10, v12
	v_addc_co_u32_e32 v13, vcc, v11, v13, vcc
	global_load_dwordx2 v[12:13], v[12:13], off
	s_waitcnt vmcnt(0)
	v_xor_b32_e32 v13, 0x80000000, v13
.LBB33_22:
	s_or_b64 exec, exec, s[8:9]
	s_and_saveexec_b64 s[8:9], s[2:3]
; %bb.23:
	v_add_u32_e32 v16, v15, v14
	v_lshl_add_u32 v15, v15, 6, v0
	v_cndmask_b32_e64 v15, v15, v16, s[0:1]
	v_lshlrev_b32_e32 v15, 3, v15
	ds_write_b64 v15, v[12:13]
; %bb.24:
	s_or_b64 exec, exec, s[8:9]
	v_add_u32_e32 v15, 32, v1
	v_cmp_le_u32_e32 vcc, v0, v15
	s_mov_b64 s[2:3], 0
	s_and_saveexec_b64 s[8:9], vcc
	s_xor_b64 s[8:9], exec, s[8:9]
; %bb.25:
	v_or_b32_e32 v12, v15, v0
	v_cmp_gt_u32_e32 vcc, 64, v12
	s_and_b64 s[2:3], vcc, exec
; %bb.26:
	s_or_saveexec_b64 s[8:9], s[8:9]
	v_mov_b32_e32 v12, 0
	v_mov_b32_e32 v13, 0
	s_xor_b64 exec, exec, s[8:9]
	s_cbranch_execz .LBB33_28
; %bb.27:
	v_mad_u64_u32 v[12:13], s[10:11], s40, v15, 0
	s_or_b64 s[2:3], s[2:3], exec
	v_mad_u64_u32 v[16:17], s[10:11], s41, v15, v[13:14]
	v_mov_b32_e32 v13, v16
	v_lshlrev_b64 v[12:13], 3, v[12:13]
	v_add_co_u32_e32 v12, vcc, v10, v12
	v_addc_co_u32_e32 v13, vcc, v11, v13, vcc
	global_load_dwordx2 v[12:13], v[12:13], off
	s_waitcnt vmcnt(0)
	v_xor_b32_e32 v13, 0x80000000, v13
.LBB33_28:
	s_or_b64 exec, exec, s[8:9]
	s_and_saveexec_b64 s[8:9], s[2:3]
; %bb.29:
	v_add_u32_e32 v16, v15, v14
	v_lshl_add_u32 v15, v15, 6, v0
	v_cndmask_b32_e64 v15, v15, v16, s[0:1]
	v_lshlrev_b32_e32 v15, 3, v15
	ds_write_b64 v15, v[12:13]
; %bb.30:
	s_or_b64 exec, exec, s[8:9]
	v_add_u32_e32 v15, 48, v1
	v_add_u32_e32 v12, v15, v14
	v_lshl_add_u32 v13, v15, 6, v0
	v_cmp_le_u32_e32 vcc, v0, v15
	s_mov_b64 s[2:3], -1
	s_mov_b64 s[12:13], 0
	s_mov_b64 s[10:11], 0
	s_and_saveexec_b64 s[8:9], vcc
	s_xor_b64 s[8:9], exec, s[8:9]
; %bb.31:
	v_or_b32_e32 v16, v15, v0
	v_cmp_gt_u32_e32 vcc, 64, v16
	s_and_b64 s[10:11], vcc, exec
	s_xor_b64 s[2:3], exec, -1
; %bb.32:
	s_or_b64 exec, exec, s[8:9]
	v_cndmask_b32_e64 v16, v13, v12, s[0:1]
	s_and_b64 vcc, exec, s[12:13]
	s_cbranch_vccnz .LBB33_34
	s_branch .LBB33_55
.LBB33_33:
	s_mov_b64 s[2:3], 0
	s_mov_b64 s[10:11], 0
                                        ; implicit-def: $vgpr16
                                        ; implicit-def: $vgpr10_vgpr11
                                        ; implicit-def: $vgpr15
	s_and_b64 vcc, exec, s[12:13]
	s_cbranch_vccz .LBB33_55
.LBB33_34:
	s_add_u32 s2, s40, 1
	s_addc_u32 s3, s41, 0
	s_lshl_b32 s8, s33, 6
	s_ashr_i32 s9, s8, 31
	s_mul_hi_u32 s12, s2, s8
	s_mul_i32 s9, s2, s9
	s_add_i32 s9, s12, s9
	s_mul_i32 s3, s3, s8
	s_add_i32 s3, s9, s3
	s_mul_i32 s2, s2, s8
	s_lshl_b64 s[2:3], s[2:3], 3
	s_add_u32 s2, s91, s2
	s_addc_u32 s3, s94, s3
	v_lshlrev_b32_e32 v10, 3, v0
	v_mov_b32_e32 v11, s3
	v_add_co_u32_e64 v10, s[2:3], s2, v10
	v_addc_co_u32_e64 v11, s[2:3], 0, v11, s[2:3]
	v_max_i32_e32 v12, v1, v0
	v_cmp_le_u32_e64 s[2:3], v0, v1
	v_cmp_le_i32_e64 s[8:9], s90, v12
	v_cmp_gt_i32_e32 vcc, s90, v0
	s_or_b64 s[2:3], s[8:9], s[2:3]
	s_mov_b64 s[8:9], 0
	s_and_saveexec_b64 s[12:13], s[2:3]
	s_xor_b64 s[12:13], exec, s[12:13]
; %bb.35:
	v_or_b32_e32 v12, v1, v0
	v_cmp_gt_u32_e64 s[2:3], 64, v12
	s_and_b64 s[8:9], s[2:3], exec
; %bb.36:
	s_or_saveexec_b64 s[12:13], s[12:13]
	v_mov_b32_e32 v12, 0
	v_mov_b32_e32 v13, 0
	s_xor_b64 exec, exec, s[12:13]
	s_cbranch_execz .LBB33_38
; %bb.37:
	v_mad_u64_u32 v[12:13], s[2:3], s40, v1, 0
	s_or_b64 s[8:9], s[8:9], exec
	v_mad_u64_u32 v[15:16], s[2:3], s41, v1, v[13:14]
	v_mov_b32_e32 v13, v15
	v_lshlrev_b64 v[12:13], 3, v[12:13]
	v_add_co_u32_e64 v12, s[2:3], v10, v12
	v_addc_co_u32_e64 v13, s[2:3], v11, v13, s[2:3]
	global_load_dwordx2 v[12:13], v[12:13], off
	s_waitcnt vmcnt(0)
	v_xor_b32_e32 v13, 0x80000000, v13
.LBB33_38:
	s_or_b64 exec, exec, s[12:13]
	s_and_saveexec_b64 s[2:3], s[8:9]
; %bb.39:
	v_lshlrev_b32_e32 v15, 3, v14
	v_lshl_add_u32 v15, v1, 3, v15
	ds_write_b64 v15, v[12:13]
; %bb.40:
	s_or_b64 exec, exec, s[2:3]
	v_add_u32_e32 v15, 16, v1
	v_cmp_gt_u32_e64 s[2:3], v0, v15
	v_cmp_gt_i32_e64 s[8:9], s90, v15
	s_and_b64 s[2:3], s[2:3], s[8:9]
	s_and_b64 s[2:3], s[2:3], vcc
	s_xor_b64 s[2:3], s[2:3], -1
	s_mov_b64 s[8:9], 0
	s_and_saveexec_b64 s[12:13], s[2:3]
	s_xor_b64 s[12:13], exec, s[12:13]
; %bb.41:
	v_or_b32_e32 v12, v15, v0
	v_cmp_gt_u32_e64 s[2:3], 64, v12
	s_and_b64 s[8:9], s[2:3], exec
; %bb.42:
	s_or_saveexec_b64 s[12:13], s[12:13]
	v_mov_b32_e32 v12, 0
	v_mov_b32_e32 v13, 0
	s_xor_b64 exec, exec, s[12:13]
	s_cbranch_execz .LBB33_44
; %bb.43:
	v_mad_u64_u32 v[12:13], s[2:3], s40, v15, 0
	s_or_b64 s[8:9], s[8:9], exec
	v_mad_u64_u32 v[16:17], s[2:3], s41, v15, v[13:14]
	v_mov_b32_e32 v13, v16
	v_lshlrev_b64 v[12:13], 3, v[12:13]
	v_add_co_u32_e64 v12, s[2:3], v10, v12
	v_addc_co_u32_e64 v13, s[2:3], v11, v13, s[2:3]
	global_load_dwordx2 v[12:13], v[12:13], off
	s_waitcnt vmcnt(0)
	v_xor_b32_e32 v13, 0x80000000, v13
.LBB33_44:
	s_or_b64 exec, exec, s[12:13]
	s_and_saveexec_b64 s[2:3], s[8:9]
; %bb.45:
	v_add_u32_e32 v16, v15, v14
	v_lshl_add_u32 v15, v15, 6, v0
	v_cndmask_b32_e64 v15, v15, v16, s[0:1]
	v_lshlrev_b32_e32 v15, 3, v15
	ds_write_b64 v15, v[12:13]
; %bb.46:
	s_or_b64 exec, exec, s[2:3]
	v_add_u32_e32 v15, 32, v1
	v_cmp_gt_u32_e64 s[2:3], v0, v15
	v_cmp_gt_i32_e64 s[8:9], s90, v15
	s_and_b64 s[2:3], s[2:3], s[8:9]
	s_and_b64 s[2:3], s[2:3], vcc
	s_xor_b64 s[2:3], s[2:3], -1
	s_mov_b64 s[8:9], 0
	s_and_saveexec_b64 s[12:13], s[2:3]
	s_xor_b64 s[12:13], exec, s[12:13]
; %bb.47:
	v_or_b32_e32 v12, v15, v0
	v_cmp_gt_u32_e64 s[2:3], 64, v12
	s_and_b64 s[8:9], s[2:3], exec
; %bb.48:
	s_or_saveexec_b64 s[12:13], s[12:13]
	v_mov_b32_e32 v12, 0
	v_mov_b32_e32 v13, 0
	s_xor_b64 exec, exec, s[12:13]
	s_cbranch_execz .LBB33_50
; %bb.49:
	v_mad_u64_u32 v[12:13], s[2:3], s40, v15, 0
	s_or_b64 s[8:9], s[8:9], exec
	v_mad_u64_u32 v[16:17], s[2:3], s41, v15, v[13:14]
	v_mov_b32_e32 v13, v16
	v_lshlrev_b64 v[12:13], 3, v[12:13]
	v_add_co_u32_e64 v12, s[2:3], v10, v12
	v_addc_co_u32_e64 v13, s[2:3], v11, v13, s[2:3]
	global_load_dwordx2 v[12:13], v[12:13], off
	s_waitcnt vmcnt(0)
	v_xor_b32_e32 v13, 0x80000000, v13
.LBB33_50:
	s_or_b64 exec, exec, s[12:13]
	s_and_saveexec_b64 s[2:3], s[8:9]
; %bb.51:
	v_add_u32_e32 v16, v15, v14
	v_lshl_add_u32 v15, v15, 6, v0
	v_cndmask_b32_e64 v15, v15, v16, s[0:1]
	v_lshlrev_b32_e32 v15, 3, v15
	ds_write_b64 v15, v[12:13]
; %bb.52:
	s_or_b64 exec, exec, s[2:3]
	v_add_u32_e32 v15, 48, v1
	v_cmp_gt_u32_e64 s[2:3], v0, v15
	v_cmp_gt_i32_e64 s[8:9], s90, v15
	s_and_b64 s[2:3], s[2:3], s[8:9]
	s_and_b64 s[8:9], s[2:3], vcc
	v_add_u32_e32 v12, v15, v14
	v_lshl_add_u32 v13, v15, 6, v0
	s_mov_b64 s[2:3], -1
	s_xor_b64 s[12:13], s[8:9], -1
	s_and_saveexec_b64 s[8:9], s[12:13]
; %bb.53:
	v_or_b32_e32 v14, v15, v0
	v_cmp_gt_u32_e32 vcc, 64, v14
	s_andn2_b64 s[2:3], s[10:11], exec
	s_and_b64 s[10:11], vcc, exec
	s_or_b64 s[10:11], s[2:3], s[10:11]
	s_xor_b64 s[2:3], exec, -1
; %bb.54:
	s_or_b64 exec, exec, s[8:9]
	v_cndmask_b32_e64 v16, v13, v12, s[0:1]
.LBB33_55:
	v_mov_b32_e32 v12, 0
	v_mov_b32_e32 v13, 0
	s_and_saveexec_b64 s[8:9], s[2:3]
	s_cbranch_execnz .LBB33_1139
; %bb.56:
	s_or_b64 exec, exec, s[8:9]
	s_xor_b64 s[0:1], s[0:1], -1
	s_and_saveexec_b64 s[2:3], s[10:11]
.LBB33_57:
	v_lshlrev_b32_e32 v10, 3, v16
	ds_write_b64 v10, v[12:13]
.LBB33_58:
	s_or_b64 exec, exec, s[2:3]
	v_cndmask_b32_e64 v10, 0, 1, s[0:1]
	v_cmp_ne_u32_e64 s[42:43], 1, v10
	s_andn2_b64 vcc, exec, s[0:1]
	s_waitcnt vmcnt(0) lgkmcnt(0)
	s_barrier
	s_cbranch_vccnz .LBB33_1096
; %bb.59:
	v_or_b32_e32 v10, v0, v1
	v_cmp_eq_u32_e32 vcc, 0, v10
	s_and_saveexec_b64 s[0:1], vcc
	s_cbranch_execz .LBB33_61
; %bb.60:
	v_mov_b32_e32 v12, 0
	ds_read_b64 v[10:11], v12 offset:8
	v_mov_b32_e32 v13, 0x3ff00000
	ds_write_b64 v12, v[12:13]
	s_waitcnt lgkmcnt(1)
	ds_write_b128 v12, v[10:13] offset:512
.LBB33_61:
	s_or_b64 exec, exec, s[0:1]
	v_lshl_add_u32 v14, v1, 6, v0
	v_and_b32_e32 v16, 1, v0
	v_lshrrev_b32_e32 v15, 1, v14
	v_lshlrev_b32_e32 v12, 3, v16
	v_mov_b32_e32 v10, 0
	v_cmp_lt_u32_e64 s[8:9], 3, v14
	v_cmp_gt_u32_e64 s[2:3], 4, v14
	v_mov_b32_e32 v11, 0
	v_lshl_or_b32 v12, v15, 9, v12
	s_waitcnt lgkmcnt(0)
	s_barrier
	s_and_saveexec_b64 s[0:1], s[2:3]
	s_cbranch_execz .LBB33_65
; %bb.62:
	v_mul_u32_u24_e32 v13, 0x208, v15
	ds_read_b64 v[10:11], v12 offset:16
	ds_read_b64 v[17:18], v13
	v_cmp_gt_u32_e64 s[10:11], 2, v14
	s_waitcnt lgkmcnt(0)
	v_fma_f64 v[10:11], v[10:11], v[17:18], 0
	s_and_saveexec_b64 s[12:13], s[10:11]
	s_cbranch_execz .LBB33_64
; %bb.63:
	v_lshlrev_b32_e32 v13, 3, v0
	v_mov_b32_e32 v19, 0
	ds_read_b64 v[17:18], v13 offset:528
	ds_read_b64 v[19:20], v19 offset:8
	s_waitcnt lgkmcnt(0)
	v_fma_f64 v[10:11], v[17:18], v[19:20], v[10:11]
.LBB33_64:
	s_or_b64 exec, exec, s[12:13]
	v_xor_b32_e32 v11, 0x80000000, v11
.LBB33_65:
                                        ; implicit-def: $vgpr40 : SGPR spill to VGPR lane
	v_writelane_b32 v40, s18, 0
	v_writelane_b32 v40, s19, 1
	s_or_b64 exec, exec, s[0:1]
	v_mov_b32_e32 v13, 0x8000
	v_cmp_eq_u32_e64 s[10:11], 0, v16
	s_xor_b64 s[0:1], s[8:9], -1
	v_lshl_add_u32 v13, v15, 3, v13
	s_and_b64 s[34:35], s[10:11], s[0:1]
	s_and_saveexec_b64 s[8:9], s[34:35]
; %bb.66:
	ds_write_b64 v13, v[10:11]
; %bb.67:
	s_or_b64 exec, exec, s[8:9]
	v_cmp_ne_u32_e64 s[8:9], 0, v16
	s_and_b64 s[30:31], s[8:9], s[0:1]
	s_waitcnt lgkmcnt(0)
	s_barrier
	s_and_saveexec_b64 s[0:1], s[30:31]
	s_cbranch_execz .LBB33_69
; %bb.68:
	v_mov_b32_e32 v16, 0
	ds_read_b64 v[16:17], v16 offset:1048
	ds_read_b64 v[18:19], v13
	s_waitcnt lgkmcnt(0)
	v_fma_f64 v[10:11], v[16:17], v[18:19], v[10:11]
.LBB33_69:
	s_or_b64 exec, exec, s[0:1]
	s_barrier
	s_and_saveexec_b64 s[0:1], s[30:31]
; %bb.70:
	ds_write_b64 v13, v[10:11]
; %bb.71:
	s_or_b64 exec, exec, s[0:1]
	s_waitcnt lgkmcnt(0)
	s_barrier
	s_barrier
	s_and_saveexec_b64 s[0:1], s[2:3]
; %bb.72:
	v_xor_b32_e32 v11, 0x80000000, v11
	ds_write_b64 v12, v[10:11] offset:16
; %bb.73:
	s_or_b64 exec, exec, s[0:1]
	v_cmp_eq_u32_e64 s[12:13], 0, v1
	v_cmp_gt_u32_e64 s[8:9], 2, v0
	s_and_b64 s[36:37], s[12:13], s[8:9]
	s_waitcnt lgkmcnt(0)
	s_barrier
	s_barrier
	s_and_saveexec_b64 s[0:1], s[36:37]
	s_cbranch_execz .LBB33_75
; %bb.74:
	v_lshlrev_b32_e32 v16, 3, v0
	s_movk_i32 s8, 0x1f8
	v_mad_u32_u24 v17, v0, s8, v16
	ds_read_b64 v[10:11], v17 offset:16
	s_waitcnt lgkmcnt(0)
	ds_write_b64 v16, v[10:11] offset:1024
	ds_read_b64 v[10:11], v17 offset:24
	s_waitcnt lgkmcnt(0)
	ds_write_b64 v16, v[10:11] offset:1536
.LBB33_75:
	s_or_b64 exec, exec, s[0:1]
	s_waitcnt lgkmcnt(0)
	s_barrier
	s_and_saveexec_b64 s[0:1], vcc
	s_cbranch_execz .LBB33_77
; %bb.76:
	v_mov_b32_e32 v18, 0
	ds_read_b64 v[16:17], v18 offset:1048
	v_mov_b32_e32 v19, 0x3ff00000
	ds_write_b64 v18, v[18:19] offset:1040
	s_waitcnt lgkmcnt(1)
	ds_write_b128 v18, v[16:19] offset:1552
.LBB33_77:
	s_or_b64 exec, exec, s[0:1]
	v_and_b32_e32 v19, 3, v0
	v_lshrrev_b32_e32 v20, 2, v14
	v_lshlrev_b32_e32 v17, 3, v19
	v_mov_b32_e32 v10, 0
	v_cmp_lt_u32_e64 s[8:9], 15, v14
	v_cmp_gt_u32_e64 s[18:19], 16, v14
	v_mov_b32_e32 v11, 0
	v_lshl_or_b32 v16, v20, 9, v17
	s_waitcnt lgkmcnt(0)
	s_barrier
	s_and_saveexec_b64 s[0:1], s[18:19]
	s_cbranch_execz .LBB33_83
; %bb.78:
	v_mul_u32_u24_e32 v18, 0x208, v20
	ds_read_b64 v[10:11], v16 offset:32
	ds_read_b64 v[21:22], v18
	v_cmp_gt_u32_e64 s[10:11], 12, v14
	s_waitcnt lgkmcnt(0)
	v_fma_f64 v[10:11], v[10:11], v[21:22], 0
	s_and_saveexec_b64 s[14:15], s[10:11]
	s_cbranch_execnz .LBB33_1170
; %bb.79:
	s_or_b64 exec, exec, s[14:15]
	v_cmp_gt_u32_e64 s[10:11], 8, v14
	s_and_saveexec_b64 s[14:15], s[10:11]
	s_cbranch_execnz .LBB33_1171
.LBB33_80:
	s_or_b64 exec, exec, s[14:15]
	v_cmp_gt_u32_e64 s[10:11], 4, v14
	s_and_saveexec_b64 s[14:15], s[10:11]
	s_cbranch_execz .LBB33_82
.LBB33_81:
	v_lshlrev_b32_e32 v18, 3, v0
	v_mov_b32_e32 v23, 0
	ds_read_b64 v[21:22], v18 offset:1568
	ds_read_b64 v[23:24], v23 offset:24
	s_waitcnt lgkmcnt(0)
	v_fma_f64 v[10:11], v[21:22], v[23:24], v[10:11]
.LBB33_82:
	s_or_b64 exec, exec, s[14:15]
	v_xor_b32_e32 v11, 0x80000000, v11
.LBB33_83:
	v_writelane_b32 v40, s42, 2
	v_writelane_b32 v40, s43, 3
	s_or_b64 exec, exec, s[0:1]
	v_mov_b32_e32 v18, 0x8000
	v_cmp_eq_u32_e64 s[10:11], 0, v19
	s_xor_b64 s[0:1], s[8:9], -1
	v_lshl_add_u32 v18, v20, 3, v18
	s_and_b64 s[42:43], s[10:11], s[0:1]
	s_and_saveexec_b64 s[8:9], s[42:43]
; %bb.84:
	ds_write_b64 v18, v[10:11]
; %bb.85:
	s_or_b64 exec, exec, s[8:9]
	v_cmp_ne_u32_e64 s[8:9], 0, v19
	s_and_b64 s[44:45], s[8:9], s[0:1]
	s_waitcnt lgkmcnt(0)
	s_barrier
	s_and_saveexec_b64 s[8:9], s[44:45]
	s_cbranch_execz .LBB33_87
; %bb.86:
	ds_read_b64 v[21:22], v17 offset:2080
	ds_read_b64 v[23:24], v18
	s_waitcnt lgkmcnt(0)
	v_fma_f64 v[10:11], v[21:22], v[23:24], v[10:11]
.LBB33_87:
	s_or_b64 exec, exec, s[8:9]
	v_cmp_eq_u32_e64 s[8:9], 1, v19
	s_and_b64 s[52:53], s[8:9], s[0:1]
	s_barrier
	s_and_saveexec_b64 s[8:9], s[52:53]
; %bb.88:
	ds_write_b64 v18, v[10:11]
; %bb.89:
	s_or_b64 exec, exec, s[8:9]
	v_cmp_lt_u32_e64 s[8:9], 1, v19
	s_and_b64 s[54:55], s[8:9], s[0:1]
	s_waitcnt lgkmcnt(0)
	s_barrier
	s_and_saveexec_b64 s[8:9], s[54:55]
	s_cbranch_execz .LBB33_91
; %bb.90:
	ds_read_b64 v[21:22], v17 offset:2592
	ds_read_b64 v[23:24], v18
	s_waitcnt lgkmcnt(0)
	v_fma_f64 v[10:11], v[21:22], v[23:24], v[10:11]
.LBB33_91:
	s_or_b64 exec, exec, s[8:9]
	v_cmp_eq_u32_e64 s[8:9], 2, v19
	s_and_b64 s[56:57], s[8:9], s[0:1]
	s_barrier
	s_and_saveexec_b64 s[8:9], s[56:57]
; %bb.92:
	ds_write_b64 v18, v[10:11]
; %bb.93:
	s_or_b64 exec, exec, s[8:9]
	v_cmp_eq_u32_e64 s[8:9], 3, v19
	s_and_b64 s[38:39], s[8:9], s[0:1]
	s_waitcnt lgkmcnt(0)
	s_barrier
	s_and_saveexec_b64 s[0:1], s[38:39]
	s_cbranch_execz .LBB33_95
; %bb.94:
	v_mov_b32_e32 v21, 0
	ds_read_b64 v[21:22], v21 offset:3128
	ds_read_b64 v[23:24], v18
	s_waitcnt lgkmcnt(0)
	v_fma_f64 v[10:11], v[21:22], v[23:24], v[10:11]
.LBB33_95:
	s_or_b64 exec, exec, s[0:1]
	s_barrier
	s_and_saveexec_b64 s[0:1], s[38:39]
; %bb.96:
	ds_write_b64 v18, v[10:11]
; %bb.97:
	s_or_b64 exec, exec, s[0:1]
	s_waitcnt lgkmcnt(0)
	s_barrier
	s_barrier
	s_and_saveexec_b64 s[0:1], s[18:19]
; %bb.98:
	v_xor_b32_e32 v11, 0x80000000, v11
	ds_write_b64 v16, v[10:11] offset:32
; %bb.99:
	s_or_b64 exec, exec, s[0:1]
	v_cmp_gt_u32_e64 s[8:9], 4, v0
	s_and_b64 s[58:59], s[12:13], s[8:9]
	s_waitcnt lgkmcnt(0)
	s_barrier
	s_barrier
	s_and_saveexec_b64 s[0:1], s[58:59]
	s_cbranch_execz .LBB33_101
; %bb.100:
	v_lshlrev_b32_e32 v21, 9, v0
	ds_read_b64 v[10:11], v21 offset:32
	s_movk_i32 s8, 0xfe08
	v_mad_i32_i24 v22, v0, s8, v21
	s_waitcnt lgkmcnt(0)
	ds_write_b64 v22, v[10:11] offset:2048
	ds_read_b64 v[10:11], v21 offset:40
	s_waitcnt lgkmcnt(0)
	ds_write_b64 v22, v[10:11] offset:2560
	ds_read_b64 v[10:11], v21 offset:48
	;; [unrolled: 3-line block ×3, first 2 shown]
	s_waitcnt lgkmcnt(0)
	ds_write_b64 v22, v[10:11] offset:3584
.LBB33_101:
	s_or_b64 exec, exec, s[0:1]
	s_waitcnt lgkmcnt(0)
	s_barrier
	s_and_saveexec_b64 s[0:1], vcc
	s_cbranch_execz .LBB33_103
; %bb.102:
	v_mov_b32_e32 v23, 0
	ds_read_b64 v[21:22], v23 offset:2088
	v_mov_b32_e32 v24, 0x3ff00000
	ds_write_b64 v23, v[23:24] offset:2080
	s_waitcnt lgkmcnt(1)
	ds_write_b128 v23, v[21:24] offset:2592
.LBB33_103:
	s_or_b64 exec, exec, s[0:1]
	v_mov_b32_e32 v10, 0
	v_mov_b32_e32 v11, 0
	s_waitcnt lgkmcnt(0)
	s_barrier
	s_and_saveexec_b64 s[0:1], s[2:3]
	s_cbranch_execz .LBB33_107
; %bb.104:
	v_mul_u32_u24_e32 v21, 0x208, v15
	ds_read_b64 v[10:11], v12 offset:2096
	ds_read_b64 v[21:22], v21 offset:2080
	v_cmp_gt_u32_e64 s[8:9], 2, v14
	s_waitcnt lgkmcnt(0)
	v_fma_f64 v[10:11], v[10:11], v[21:22], 0
	s_and_saveexec_b64 s[10:11], s[8:9]
	s_cbranch_execz .LBB33_106
; %bb.105:
	v_lshlrev_b32_e32 v21, 3, v0
	v_mov_b32_e32 v23, 0
	ds_read_b64 v[21:22], v21 offset:2608
	ds_read_b64 v[23:24], v23 offset:2088
	s_waitcnt lgkmcnt(0)
	v_fma_f64 v[10:11], v[21:22], v[23:24], v[10:11]
.LBB33_106:
	s_or_b64 exec, exec, s[10:11]
	v_xor_b32_e32 v11, 0x80000000, v11
.LBB33_107:
	s_or_b64 exec, exec, s[0:1]
	s_and_saveexec_b64 s[0:1], s[34:35]
; %bb.108:
	ds_write_b64 v13, v[10:11]
; %bb.109:
	s_or_b64 exec, exec, s[0:1]
	s_waitcnt lgkmcnt(0)
	s_barrier
	s_and_saveexec_b64 s[0:1], s[30:31]
	s_cbranch_execz .LBB33_111
; %bb.110:
	v_mov_b32_e32 v21, 0
	ds_read_b64 v[21:22], v21 offset:3128
	ds_read_b64 v[23:24], v13
	s_waitcnt lgkmcnt(0)
	v_fma_f64 v[10:11], v[21:22], v[23:24], v[10:11]
.LBB33_111:
	s_or_b64 exec, exec, s[0:1]
	s_barrier
	s_and_saveexec_b64 s[0:1], s[30:31]
; %bb.112:
	ds_write_b64 v13, v[10:11]
; %bb.113:
	s_or_b64 exec, exec, s[0:1]
	s_waitcnt lgkmcnt(0)
	s_barrier
	s_barrier
	s_and_saveexec_b64 s[0:1], s[2:3]
; %bb.114:
	v_xor_b32_e32 v11, 0x80000000, v11
	ds_write_b64 v12, v[10:11] offset:2096
; %bb.115:
	s_or_b64 exec, exec, s[0:1]
	s_waitcnt lgkmcnt(0)
	s_barrier
	s_barrier
	s_and_saveexec_b64 s[0:1], s[36:37]
	s_cbranch_execz .LBB33_117
; %bb.116:
	v_lshlrev_b32_e32 v21, 3, v0
	s_movk_i32 s8, 0x1f8
	v_mad_u32_u24 v22, v0, s8, v21
	ds_read_b64 v[10:11], v22 offset:2096
	s_waitcnt lgkmcnt(0)
	ds_write_b64 v21, v[10:11] offset:3104
	ds_read_b64 v[10:11], v22 offset:2104
	s_waitcnt lgkmcnt(0)
	ds_write_b64 v21, v[10:11] offset:3616
.LBB33_117:
	s_or_b64 exec, exec, s[0:1]
	s_waitcnt lgkmcnt(0)
	s_barrier
	s_and_saveexec_b64 s[0:1], vcc
	s_cbranch_execz .LBB33_119
; %bb.118:
	v_mov_b32_e32 v23, 0
	ds_read_b64 v[21:22], v23 offset:3128
	v_mov_b32_e32 v24, 0x3ff00000
	ds_write_b64 v23, v[23:24] offset:3120
	s_waitcnt lgkmcnt(1)
	ds_write_b128 v23, v[21:24] offset:3632
.LBB33_119:
	s_or_b64 exec, exec, s[0:1]
	v_and_b32_e32 v24, 7, v0
	v_lshrrev_b32_e32 v25, 3, v14
	v_lshlrev_b32_e32 v22, 3, v24
	v_mov_b32_e32 v10, 0
	v_cmp_lt_u32_e64 s[10:11], 63, v14
	v_cmp_gt_u32_e64 s[8:9], 64, v14
	v_mov_b32_e32 v11, 0
	v_lshl_or_b32 v21, v25, 9, v22
	s_waitcnt lgkmcnt(0)
	s_barrier
	s_and_saveexec_b64 s[0:1], s[8:9]
	s_cbranch_execz .LBB33_129
; %bb.120:
	v_mul_u32_u24_e32 v23, 0x208, v25
	ds_read_b64 v[10:11], v21 offset:64
	ds_read_b64 v[26:27], v23
	v_cmp_gt_u32_e64 s[14:15], 56, v14
	s_waitcnt lgkmcnt(0)
	v_fma_f64 v[10:11], v[10:11], v[26:27], 0
	s_and_saveexec_b64 s[16:17], s[14:15]
	s_cbranch_execnz .LBB33_1172
; %bb.121:
	s_or_b64 exec, exec, s[16:17]
	v_cmp_gt_u32_e64 s[14:15], 48, v14
	s_and_saveexec_b64 s[16:17], s[14:15]
	s_cbranch_execnz .LBB33_1173
.LBB33_122:
	s_or_b64 exec, exec, s[16:17]
	v_cmp_gt_u32_e64 s[14:15], 40, v14
	s_and_saveexec_b64 s[16:17], s[14:15]
	s_cbranch_execnz .LBB33_1174
.LBB33_123:
	s_or_b64 exec, exec, s[16:17]
	v_cmp_gt_u32_e64 s[14:15], 32, v14
	s_and_saveexec_b64 s[16:17], s[14:15]
	s_cbranch_execnz .LBB33_1175
.LBB33_124:
	s_or_b64 exec, exec, s[16:17]
	v_cmp_gt_u32_e64 s[14:15], 24, v14
	s_and_saveexec_b64 s[16:17], s[14:15]
	s_cbranch_execnz .LBB33_1176
.LBB33_125:
	s_or_b64 exec, exec, s[16:17]
	v_cmp_gt_u32_e64 s[14:15], 16, v14
	s_and_saveexec_b64 s[16:17], s[14:15]
	s_cbranch_execnz .LBB33_1177
.LBB33_126:
	s_or_b64 exec, exec, s[16:17]
	v_cmp_gt_u32_e64 s[14:15], 8, v14
	s_and_saveexec_b64 s[16:17], s[14:15]
	s_cbranch_execz .LBB33_128
.LBB33_127:
	v_lshlrev_b32_e32 v23, 3, v0
	v_mov_b32_e32 v28, 0
	ds_read_b64 v[26:27], v23 offset:3648
	ds_read_b64 v[28:29], v28 offset:56
	s_waitcnt lgkmcnt(0)
	v_fma_f64 v[10:11], v[26:27], v[28:29], v[10:11]
.LBB33_128:
	s_or_b64 exec, exec, s[16:17]
	v_xor_b32_e32 v11, 0x80000000, v11
.LBB33_129:
	s_or_b64 exec, exec, s[0:1]
	v_mov_b32_e32 v23, 0x8000
	v_cmp_eq_u32_e64 s[14:15], 0, v24
	s_xor_b64 s[0:1], s[10:11], -1
	v_lshl_add_u32 v23, v25, 3, v23
	s_and_b64 s[60:61], s[14:15], s[0:1]
	s_and_saveexec_b64 s[10:11], s[60:61]
; %bb.130:
	ds_write_b64 v23, v[10:11]
; %bb.131:
	s_or_b64 exec, exec, s[10:11]
	v_cmp_ne_u32_e64 s[10:11], 0, v24
	s_and_b64 s[62:63], s[10:11], s[0:1]
	s_waitcnt lgkmcnt(0)
	s_barrier
	s_and_saveexec_b64 s[10:11], s[62:63]
	s_cbranch_execz .LBB33_133
; %bb.132:
	ds_read_b64 v[26:27], v22 offset:4160
	ds_read_b64 v[28:29], v23
	s_waitcnt lgkmcnt(0)
	v_fma_f64 v[10:11], v[26:27], v[28:29], v[10:11]
.LBB33_133:
	s_or_b64 exec, exec, s[10:11]
	v_cmp_eq_u32_e64 s[10:11], 1, v24
	s_and_b64 s[64:65], s[10:11], s[0:1]
	s_barrier
	s_and_saveexec_b64 s[10:11], s[64:65]
; %bb.134:
	ds_write_b64 v23, v[10:11]
; %bb.135:
	s_or_b64 exec, exec, s[10:11]
	v_cmp_lt_u32_e64 s[10:11], 1, v24
	s_and_b64 s[66:67], s[10:11], s[0:1]
	s_waitcnt lgkmcnt(0)
	s_barrier
	s_and_saveexec_b64 s[10:11], s[66:67]
	s_cbranch_execz .LBB33_137
; %bb.136:
	ds_read_b64 v[26:27], v22 offset:4672
	ds_read_b64 v[28:29], v23
	s_waitcnt lgkmcnt(0)
	v_fma_f64 v[10:11], v[26:27], v[28:29], v[10:11]
.LBB33_137:
	s_or_b64 exec, exec, s[10:11]
	v_cmp_eq_u32_e64 s[10:11], 2, v24
	s_and_b64 s[68:69], s[10:11], s[0:1]
	s_barrier
	s_and_saveexec_b64 s[10:11], s[68:69]
; %bb.138:
	ds_write_b64 v23, v[10:11]
; %bb.139:
	s_or_b64 exec, exec, s[10:11]
	v_cmp_lt_u32_e64 s[10:11], 2, v24
	;; [unrolled: 21-line block ×5, first 2 shown]
	s_and_b64 s[84:85], s[10:11], s[0:1]
	s_waitcnt lgkmcnt(0)
	s_barrier
	s_and_saveexec_b64 s[10:11], s[84:85]
	s_cbranch_execz .LBB33_153
; %bb.152:
	ds_read_b64 v[26:27], v22 offset:6720
	ds_read_b64 v[28:29], v23
	s_waitcnt lgkmcnt(0)
	v_fma_f64 v[10:11], v[26:27], v[28:29], v[10:11]
.LBB33_153:
	s_or_b64 exec, exec, s[10:11]
	v_cmp_eq_u32_e64 s[10:11], 6, v24
	s_and_b64 s[86:87], s[10:11], s[0:1]
	s_barrier
	s_and_saveexec_b64 s[10:11], s[86:87]
; %bb.154:
	ds_write_b64 v23, v[10:11]
; %bb.155:
	s_or_b64 exec, exec, s[10:11]
	v_cmp_eq_u32_e64 s[10:11], 7, v24
	s_and_b64 s[70:71], s[10:11], s[0:1]
	s_waitcnt lgkmcnt(0)
	s_barrier
	s_and_saveexec_b64 s[0:1], s[70:71]
	s_cbranch_execz .LBB33_157
; %bb.156:
	v_mov_b32_e32 v26, 0
	ds_read_b64 v[26:27], v26 offset:7288
	ds_read_b64 v[28:29], v23
	s_waitcnt lgkmcnt(0)
	v_fma_f64 v[10:11], v[26:27], v[28:29], v[10:11]
.LBB33_157:
	s_or_b64 exec, exec, s[0:1]
	s_barrier
	s_and_saveexec_b64 s[0:1], s[70:71]
; %bb.158:
	ds_write_b64 v23, v[10:11]
; %bb.159:
	s_or_b64 exec, exec, s[0:1]
	s_waitcnt lgkmcnt(0)
	s_barrier
	s_barrier
	s_and_saveexec_b64 s[0:1], s[8:9]
; %bb.160:
	v_xor_b32_e32 v11, 0x80000000, v11
	ds_write_b64 v21, v[10:11] offset:64
; %bb.161:
	s_or_b64 exec, exec, s[0:1]
	v_cmp_gt_u32_e64 s[10:11], 8, v0
	s_and_b64 s[88:89], s[12:13], s[10:11]
	s_waitcnt lgkmcnt(0)
	s_barrier
	s_barrier
	s_and_saveexec_b64 s[0:1], s[88:89]
	s_cbranch_execz .LBB33_163
; %bb.162:
	v_lshlrev_b32_e32 v26, 9, v0
	ds_read_b64 v[10:11], v26 offset:64
	s_movk_i32 s10, 0xfe08
	v_mad_i32_i24 v27, v0, s10, v26
	s_waitcnt lgkmcnt(0)
	ds_write_b64 v27, v[10:11] offset:4096
	ds_read_b64 v[10:11], v26 offset:72
	s_waitcnt lgkmcnt(0)
	ds_write_b64 v27, v[10:11] offset:4608
	ds_read_b64 v[10:11], v26 offset:80
	;; [unrolled: 3-line block ×7, first 2 shown]
	s_waitcnt lgkmcnt(0)
	ds_write_b64 v27, v[10:11] offset:7680
.LBB33_163:
	s_or_b64 exec, exec, s[0:1]
	s_waitcnt lgkmcnt(0)
	s_barrier
	s_and_saveexec_b64 s[0:1], vcc
	s_cbranch_execz .LBB33_165
; %bb.164:
	v_mov_b32_e32 v28, 0
	ds_read_b64 v[26:27], v28 offset:4168
	v_mov_b32_e32 v29, 0x3ff00000
	ds_write_b64 v28, v[28:29] offset:4160
	s_waitcnt lgkmcnt(1)
	ds_write_b128 v28, v[26:29] offset:4672
.LBB33_165:
	s_or_b64 exec, exec, s[0:1]
	v_mov_b32_e32 v10, 0
	v_mov_b32_e32 v11, 0
	s_waitcnt lgkmcnt(0)
	s_barrier
	s_and_saveexec_b64 s[0:1], s[2:3]
	s_cbranch_execz .LBB33_169
; %bb.166:
	v_mul_u32_u24_e32 v26, 0x208, v15
	ds_read_b64 v[10:11], v12 offset:4176
	ds_read_b64 v[26:27], v26 offset:4160
	v_cmp_gt_u32_e64 s[10:11], 2, v14
	s_waitcnt lgkmcnt(0)
	v_fma_f64 v[10:11], v[10:11], v[26:27], 0
	s_and_saveexec_b64 s[14:15], s[10:11]
	s_cbranch_execz .LBB33_168
; %bb.167:
	v_lshlrev_b32_e32 v26, 3, v0
	v_mov_b32_e32 v28, 0
	ds_read_b64 v[26:27], v26 offset:4688
	ds_read_b64 v[28:29], v28 offset:4168
	s_waitcnt lgkmcnt(0)
	v_fma_f64 v[10:11], v[26:27], v[28:29], v[10:11]
.LBB33_168:
	s_or_b64 exec, exec, s[14:15]
	v_xor_b32_e32 v11, 0x80000000, v11
.LBB33_169:
	s_or_b64 exec, exec, s[0:1]
	s_and_saveexec_b64 s[0:1], s[34:35]
; %bb.170:
	ds_write_b64 v13, v[10:11]
; %bb.171:
	s_or_b64 exec, exec, s[0:1]
	s_waitcnt lgkmcnt(0)
	s_barrier
	s_and_saveexec_b64 s[0:1], s[30:31]
	s_cbranch_execz .LBB33_173
; %bb.172:
	v_mov_b32_e32 v26, 0
	ds_read_b64 v[26:27], v26 offset:5208
	ds_read_b64 v[28:29], v13
	s_waitcnt lgkmcnt(0)
	v_fma_f64 v[10:11], v[26:27], v[28:29], v[10:11]
.LBB33_173:
	s_or_b64 exec, exec, s[0:1]
	s_barrier
	s_and_saveexec_b64 s[0:1], s[30:31]
; %bb.174:
	ds_write_b64 v13, v[10:11]
; %bb.175:
	s_or_b64 exec, exec, s[0:1]
	s_waitcnt lgkmcnt(0)
	s_barrier
	s_barrier
	s_and_saveexec_b64 s[0:1], s[2:3]
; %bb.176:
	v_xor_b32_e32 v11, 0x80000000, v11
	ds_write_b64 v12, v[10:11] offset:4176
; %bb.177:
	s_or_b64 exec, exec, s[0:1]
	s_waitcnt lgkmcnt(0)
	s_barrier
	s_barrier
	s_and_saveexec_b64 s[0:1], s[36:37]
	s_cbranch_execz .LBB33_179
; %bb.178:
	v_lshlrev_b32_e32 v26, 3, v0
	s_movk_i32 s10, 0x1f8
	v_mad_u32_u24 v27, v0, s10, v26
	ds_read_b64 v[10:11], v27 offset:4176
	s_waitcnt lgkmcnt(0)
	ds_write_b64 v26, v[10:11] offset:5184
	ds_read_b64 v[10:11], v27 offset:4184
	s_waitcnt lgkmcnt(0)
	ds_write_b64 v26, v[10:11] offset:5696
.LBB33_179:
	s_or_b64 exec, exec, s[0:1]
	s_waitcnt lgkmcnt(0)
	s_barrier
	s_and_saveexec_b64 s[0:1], vcc
	s_cbranch_execz .LBB33_181
; %bb.180:
	v_mov_b32_e32 v28, 0
	ds_read_b64 v[26:27], v28 offset:5208
	v_mov_b32_e32 v29, 0x3ff00000
	ds_write_b64 v28, v[28:29] offset:5200
	s_waitcnt lgkmcnt(1)
	ds_write_b128 v28, v[26:29] offset:5712
.LBB33_181:
	s_or_b64 exec, exec, s[0:1]
	v_mov_b32_e32 v10, 0
	v_mov_b32_e32 v11, 0
	s_waitcnt lgkmcnt(0)
	s_barrier
	s_and_saveexec_b64 s[0:1], s[18:19]
	s_cbranch_execz .LBB33_187
; %bb.182:
	v_mul_u32_u24_e32 v26, 0x208, v20
	ds_read_b64 v[10:11], v16 offset:4192
	ds_read_b64 v[27:28], v26 offset:4160
	v_cmp_gt_u32_e64 s[10:11], 12, v14
	s_waitcnt lgkmcnt(0)
	v_fma_f64 v[10:11], v[10:11], v[27:28], 0
	s_and_saveexec_b64 s[14:15], s[10:11]
	s_cbranch_execnz .LBB33_1178
; %bb.183:
	s_or_b64 exec, exec, s[14:15]
	v_cmp_gt_u32_e64 s[10:11], 8, v14
	s_and_saveexec_b64 s[14:15], s[10:11]
	s_cbranch_execnz .LBB33_1179
.LBB33_184:
	s_or_b64 exec, exec, s[14:15]
	v_cmp_gt_u32_e64 s[10:11], 4, v14
	s_and_saveexec_b64 s[14:15], s[10:11]
	s_cbranch_execz .LBB33_186
.LBB33_185:
	v_lshlrev_b32_e32 v26, 3, v0
	v_mov_b32_e32 v28, 0
	ds_read_b64 v[26:27], v26 offset:5728
	ds_read_b64 v[28:29], v28 offset:4184
	s_waitcnt lgkmcnt(0)
	v_fma_f64 v[10:11], v[26:27], v[28:29], v[10:11]
.LBB33_186:
	s_or_b64 exec, exec, s[14:15]
	v_xor_b32_e32 v11, 0x80000000, v11
.LBB33_187:
	s_or_b64 exec, exec, s[0:1]
	s_and_saveexec_b64 s[0:1], s[42:43]
; %bb.188:
	ds_write_b64 v18, v[10:11]
; %bb.189:
	s_or_b64 exec, exec, s[0:1]
	s_waitcnt lgkmcnt(0)
	s_barrier
	s_and_saveexec_b64 s[0:1], s[44:45]
	s_cbranch_execz .LBB33_191
; %bb.190:
	ds_read_b64 v[26:27], v17 offset:6240
	ds_read_b64 v[28:29], v18
	s_waitcnt lgkmcnt(0)
	v_fma_f64 v[10:11], v[26:27], v[28:29], v[10:11]
.LBB33_191:
	s_or_b64 exec, exec, s[0:1]
	s_barrier
	s_and_saveexec_b64 s[0:1], s[52:53]
; %bb.192:
	ds_write_b64 v18, v[10:11]
; %bb.193:
	s_or_b64 exec, exec, s[0:1]
	s_waitcnt lgkmcnt(0)
	s_barrier
	s_and_saveexec_b64 s[0:1], s[54:55]
	s_cbranch_execz .LBB33_195
; %bb.194:
	ds_read_b64 v[26:27], v17 offset:6752
	ds_read_b64 v[28:29], v18
	s_waitcnt lgkmcnt(0)
	v_fma_f64 v[10:11], v[26:27], v[28:29], v[10:11]
.LBB33_195:
	s_or_b64 exec, exec, s[0:1]
	s_barrier
	s_and_saveexec_b64 s[0:1], s[56:57]
; %bb.196:
	ds_write_b64 v18, v[10:11]
; %bb.197:
	s_or_b64 exec, exec, s[0:1]
	s_waitcnt lgkmcnt(0)
	s_barrier
	s_and_saveexec_b64 s[0:1], s[38:39]
	s_cbranch_execz .LBB33_199
; %bb.198:
	v_mov_b32_e32 v26, 0
	ds_read_b64 v[26:27], v26 offset:7288
	ds_read_b64 v[28:29], v18
	s_waitcnt lgkmcnt(0)
	v_fma_f64 v[10:11], v[26:27], v[28:29], v[10:11]
.LBB33_199:
	s_or_b64 exec, exec, s[0:1]
	s_barrier
	s_and_saveexec_b64 s[0:1], s[38:39]
; %bb.200:
	ds_write_b64 v18, v[10:11]
; %bb.201:
	s_or_b64 exec, exec, s[0:1]
	s_waitcnt lgkmcnt(0)
	s_barrier
	s_barrier
	s_and_saveexec_b64 s[0:1], s[18:19]
; %bb.202:
	v_xor_b32_e32 v11, 0x80000000, v11
	ds_write_b64 v16, v[10:11] offset:4192
; %bb.203:
	s_or_b64 exec, exec, s[0:1]
	s_waitcnt lgkmcnt(0)
	s_barrier
	s_barrier
	s_and_saveexec_b64 s[0:1], s[58:59]
	s_cbranch_execz .LBB33_205
; %bb.204:
	v_lshlrev_b32_e32 v26, 9, v0
	ds_read_b64 v[10:11], v26 offset:4192
	s_movk_i32 s10, 0xfe08
	v_mad_i32_i24 v27, v0, s10, v26
	s_waitcnt lgkmcnt(0)
	ds_write_b64 v27, v[10:11] offset:6208
	ds_read_b64 v[10:11], v26 offset:4200
	s_waitcnt lgkmcnt(0)
	ds_write_b64 v27, v[10:11] offset:6720
	ds_read_b64 v[10:11], v26 offset:4208
	;; [unrolled: 3-line block ×3, first 2 shown]
	s_waitcnt lgkmcnt(0)
	ds_write_b64 v27, v[10:11] offset:7744
.LBB33_205:
	s_or_b64 exec, exec, s[0:1]
	s_waitcnt lgkmcnt(0)
	s_barrier
	s_and_saveexec_b64 s[0:1], vcc
	s_cbranch_execz .LBB33_207
; %bb.206:
	v_mov_b32_e32 v28, 0
	ds_read_b64 v[26:27], v28 offset:6248
	v_mov_b32_e32 v29, 0x3ff00000
	ds_write_b64 v28, v[28:29] offset:6240
	s_waitcnt lgkmcnt(1)
	ds_write_b128 v28, v[26:29] offset:6752
.LBB33_207:
	s_or_b64 exec, exec, s[0:1]
	v_mov_b32_e32 v10, 0
	v_mov_b32_e32 v11, 0
	s_waitcnt lgkmcnt(0)
	s_barrier
	s_and_saveexec_b64 s[0:1], s[2:3]
	s_cbranch_execz .LBB33_211
; %bb.208:
	v_mul_u32_u24_e32 v26, 0x208, v15
	ds_read_b64 v[10:11], v12 offset:6256
	ds_read_b64 v[26:27], v26 offset:6240
	v_cmp_gt_u32_e64 s[10:11], 2, v14
	s_waitcnt lgkmcnt(0)
	v_fma_f64 v[10:11], v[10:11], v[26:27], 0
	s_and_saveexec_b64 s[14:15], s[10:11]
	s_cbranch_execz .LBB33_210
; %bb.209:
	v_lshlrev_b32_e32 v26, 3, v0
	v_mov_b32_e32 v28, 0
	ds_read_b64 v[26:27], v26 offset:6768
	ds_read_b64 v[28:29], v28 offset:6248
	s_waitcnt lgkmcnt(0)
	v_fma_f64 v[10:11], v[26:27], v[28:29], v[10:11]
.LBB33_210:
	s_or_b64 exec, exec, s[14:15]
	v_xor_b32_e32 v11, 0x80000000, v11
.LBB33_211:
	s_or_b64 exec, exec, s[0:1]
	s_and_saveexec_b64 s[0:1], s[34:35]
; %bb.212:
	ds_write_b64 v13, v[10:11]
; %bb.213:
	s_or_b64 exec, exec, s[0:1]
	s_waitcnt lgkmcnt(0)
	s_barrier
	s_and_saveexec_b64 s[0:1], s[30:31]
	s_cbranch_execz .LBB33_215
; %bb.214:
	v_mov_b32_e32 v26, 0
	ds_read_b64 v[26:27], v26 offset:7288
	ds_read_b64 v[28:29], v13
	s_waitcnt lgkmcnt(0)
	v_fma_f64 v[10:11], v[26:27], v[28:29], v[10:11]
.LBB33_215:
	s_or_b64 exec, exec, s[0:1]
	s_barrier
	s_and_saveexec_b64 s[0:1], s[30:31]
; %bb.216:
	ds_write_b64 v13, v[10:11]
; %bb.217:
	s_or_b64 exec, exec, s[0:1]
	s_waitcnt lgkmcnt(0)
	s_barrier
	s_barrier
	s_and_saveexec_b64 s[0:1], s[2:3]
; %bb.218:
	v_xor_b32_e32 v11, 0x80000000, v11
	ds_write_b64 v12, v[10:11] offset:6256
; %bb.219:
	s_or_b64 exec, exec, s[0:1]
	s_waitcnt lgkmcnt(0)
	s_barrier
	s_barrier
	s_and_saveexec_b64 s[0:1], s[36:37]
	s_cbranch_execz .LBB33_221
; %bb.220:
	v_lshlrev_b32_e32 v26, 3, v0
	s_movk_i32 s10, 0x1f8
	v_mad_u32_u24 v27, v0, s10, v26
	ds_read_b64 v[10:11], v27 offset:6256
	s_waitcnt lgkmcnt(0)
	ds_write_b64 v26, v[10:11] offset:7264
	ds_read_b64 v[10:11], v27 offset:6264
	s_waitcnt lgkmcnt(0)
	ds_write_b64 v26, v[10:11] offset:7776
.LBB33_221:
	s_or_b64 exec, exec, s[0:1]
	s_waitcnt lgkmcnt(0)
	s_barrier
	s_and_saveexec_b64 s[0:1], vcc
	s_cbranch_execz .LBB33_223
; %bb.222:
	v_mov_b32_e32 v28, 0
	ds_read_b64 v[26:27], v28 offset:7288
	v_mov_b32_e32 v29, 0x3ff00000
	ds_write_b64 v28, v[28:29] offset:7280
	s_waitcnt lgkmcnt(1)
	ds_write_b128 v28, v[26:29] offset:7792
.LBB33_223:
	s_or_b64 exec, exec, s[0:1]
	v_lshrrev_b32_e32 v30, 4, v14
	v_and_b32_e32 v27, 15, v0
	s_movk_i32 s0, 0xff
	v_lshlrev_b32_e32 v29, 6, v30
	v_cmp_lt_u32_e64 s[14:15], s0, v14
	s_movk_i32 s0, 0x100
	v_or_b32_e32 v26, v29, v27
	v_mov_b32_e32 v10, 0
	v_cmp_gt_u32_e64 s[10:11], s0, v14
	v_mov_b32_e32 v11, 0
	v_lshlrev_b32_e32 v26, 3, v26
	s_waitcnt lgkmcnt(0)
	s_barrier
	s_and_saveexec_b64 s[0:1], s[10:11]
	s_cbranch_execz .LBB33_251
; %bb.224:
	v_mul_u32_u24_e32 v28, 0x208, v30
	ds_read_b64 v[10:11], v26 offset:128
	ds_read_b64 v[31:32], v28
	s_movk_i32 s16, 0xf0
	v_cmp_gt_u32_e64 s[16:17], s16, v14
	s_waitcnt lgkmcnt(0)
	v_fma_f64 v[10:11], v[10:11], v[31:32], 0
	s_and_saveexec_b64 s[20:21], s[16:17]
	s_cbranch_execz .LBB33_226
; %bb.225:
	v_lshlrev_b32_e32 v31, 3, v30
	v_sub_u32_e32 v31, v28, v31
	v_lshl_add_u32 v31, v27, 3, v31
	ds_read_b64 v[31:32], v31 offset:640
	ds_read_b64 v[33:34], v28 offset:8
	s_waitcnt lgkmcnt(0)
	v_fma_f64 v[10:11], v[31:32], v[33:34], v[10:11]
.LBB33_226:
	s_or_b64 exec, exec, s[20:21]
	s_movk_i32 s16, 0xe0
	v_cmp_gt_u32_e64 s[16:17], s16, v14
	s_and_saveexec_b64 s[20:21], s[16:17]
	s_cbranch_execz .LBB33_228
; %bb.227:
	v_lshlrev_b32_e32 v31, 3, v30
	v_sub_u32_e32 v31, v28, v31
	v_lshl_add_u32 v31, v27, 3, v31
	ds_read_b64 v[31:32], v31 offset:1152
	ds_read_b64 v[33:34], v28 offset:16
	s_waitcnt lgkmcnt(0)
	v_fma_f64 v[10:11], v[31:32], v[33:34], v[10:11]
.LBB33_228:
	s_or_b64 exec, exec, s[20:21]
	s_movk_i32 s16, 0xd0
	v_cmp_gt_u32_e64 s[16:17], s16, v14
	;; [unrolled: 14-line block ×7, first 2 shown]
	s_and_saveexec_b64 s[20:21], s[16:17]
	s_cbranch_execz .LBB33_240
; %bb.239:
	ds_read_b64 v[31:32], v26 offset:4224
	ds_read_b64 v[33:34], v28 offset:64
	s_waitcnt lgkmcnt(0)
	v_fma_f64 v[10:11], v[31:32], v[33:34], v[10:11]
.LBB33_240:
	s_or_b64 exec, exec, s[20:21]
	s_movk_i32 s16, 0x70
	v_cmp_gt_u32_e64 s[16:17], s16, v14
	s_and_saveexec_b64 s[20:21], s[16:17]
	s_cbranch_execz .LBB33_242
; %bb.241:
	v_lshlrev_b32_e32 v31, 3, v30
	v_sub_u32_e32 v31, v28, v31
	v_lshl_add_u32 v31, v27, 3, v31
	ds_read_b64 v[31:32], v31 offset:4736
	ds_read_b64 v[33:34], v28 offset:72
	s_waitcnt lgkmcnt(0)
	v_fma_f64 v[10:11], v[31:32], v[33:34], v[10:11]
.LBB33_242:
	s_or_b64 exec, exec, s[20:21]
	s_movk_i32 s16, 0x60
	v_cmp_gt_u32_e64 s[16:17], s16, v14
	s_and_saveexec_b64 s[20:21], s[16:17]
	s_cbranch_execz .LBB33_244
; %bb.243:
	v_lshlrev_b32_e32 v31, 3, v27
	v_lshl_add_u32 v31, v29, 3, v31
	ds_read_b64 v[31:32], v31 offset:5248
	ds_read_b64 v[33:34], v28 offset:80
	s_waitcnt lgkmcnt(0)
	v_fma_f64 v[10:11], v[31:32], v[33:34], v[10:11]
.LBB33_244:
	s_or_b64 exec, exec, s[20:21]
	s_movk_i32 s16, 0x50
	v_cmp_gt_u32_e64 s[16:17], s16, v14
	s_and_saveexec_b64 s[20:21], s[16:17]
	s_cbranch_execnz .LBB33_1180
; %bb.245:
	s_or_b64 exec, exec, s[20:21]
	v_cmp_gt_u32_e64 s[16:17], 64, v14
	s_and_saveexec_b64 s[20:21], s[16:17]
	s_cbranch_execnz .LBB33_1181
.LBB33_246:
	s_or_b64 exec, exec, s[20:21]
	v_cmp_gt_u32_e64 s[16:17], 48, v14
	s_and_saveexec_b64 s[20:21], s[16:17]
	s_cbranch_execnz .LBB33_1182
.LBB33_247:
	s_or_b64 exec, exec, s[20:21]
	v_cmp_gt_u32_e64 s[16:17], 32, v14
	s_and_saveexec_b64 s[20:21], s[16:17]
	s_cbranch_execnz .LBB33_1183
.LBB33_248:
	s_or_b64 exec, exec, s[20:21]
	v_cmp_gt_u32_e64 s[16:17], 16, v14
	s_and_saveexec_b64 s[20:21], s[16:17]
	s_cbranch_execz .LBB33_250
.LBB33_249:
	v_lshlrev_b32_e32 v28, 3, v0
	v_mov_b32_e32 v33, 0
	ds_read_b64 v[31:32], v28 offset:7808
	ds_read_b64 v[33:34], v33 offset:120
	s_waitcnt lgkmcnt(0)
	v_fma_f64 v[10:11], v[31:32], v[33:34], v[10:11]
.LBB33_250:
	s_or_b64 exec, exec, s[20:21]
	v_xor_b32_e32 v11, 0x80000000, v11
.LBB33_251:
	s_or_b64 exec, exec, s[0:1]
	v_mov_b32_e32 v28, 0x8000
	v_lshl_add_u32 v28, v30, 3, v28
	v_cmp_eq_u32_e64 s[16:17], 0, v27
	s_xor_b64 s[20:21], s[14:15], -1
	s_and_b64 s[14:15], s[16:17], s[20:21]
	s_mov_b64 s[0:1], exec
	v_writelane_b32 v40, s14, 4
	v_writelane_b32 v40, s15, 5
	s_and_b64 s[14:15], s[0:1], s[14:15]
	s_mov_b64 exec, s[14:15]
; %bb.252:
	ds_write_b64 v28, v[10:11]
; %bb.253:
	s_or_b64 exec, exec, s[0:1]
	v_cmp_ne_u32_e64 s[14:15], 0, v27
	s_waitcnt lgkmcnt(0)
	s_barrier
	s_and_b64 s[14:15], s[14:15], s[20:21]
	s_mov_b64 s[0:1], exec
	v_writelane_b32 v40, s14, 6
	v_writelane_b32 v40, s15, 7
	s_and_b64 s[14:15], s[0:1], s[14:15]
	s_mov_b64 exec, s[14:15]
	s_cbranch_execz .LBB33_255
; %bb.254:
	v_lshlrev_b32_e32 v31, 3, v27
	ds_read_b64 v[31:32], v31 offset:8320
	ds_read_b64 v[33:34], v28
	s_waitcnt lgkmcnt(0)
	v_fma_f64 v[10:11], v[31:32], v[33:34], v[10:11]
.LBB33_255:
	s_or_b64 exec, exec, s[0:1]
	v_cmp_eq_u32_e64 s[14:15], 1, v27
	s_barrier
	s_and_b64 s[14:15], s[14:15], s[20:21]
	s_mov_b64 s[0:1], exec
	v_writelane_b32 v40, s14, 8
	v_writelane_b32 v40, s15, 9
	s_and_b64 s[14:15], s[0:1], s[14:15]
	s_mov_b64 exec, s[14:15]
; %bb.256:
	ds_write_b64 v28, v[10:11]
; %bb.257:
	s_or_b64 exec, exec, s[0:1]
	v_cmp_lt_u32_e64 s[14:15], 1, v27
	s_waitcnt lgkmcnt(0)
	s_barrier
	s_and_b64 s[14:15], s[14:15], s[20:21]
	s_mov_b64 s[0:1], exec
	v_writelane_b32 v40, s14, 10
	v_writelane_b32 v40, s15, 11
	s_and_b64 s[14:15], s[0:1], s[14:15]
	s_mov_b64 exec, s[14:15]
	s_cbranch_execz .LBB33_259
; %bb.258:
	v_lshlrev_b32_e32 v31, 3, v27
	ds_read_b64 v[31:32], v31 offset:8832
	ds_read_b64 v[33:34], v28
	s_waitcnt lgkmcnt(0)
	v_fma_f64 v[10:11], v[31:32], v[33:34], v[10:11]
.LBB33_259:
	s_or_b64 exec, exec, s[0:1]
	v_cmp_eq_u32_e64 s[14:15], 2, v27
	s_barrier
	s_and_b64 s[14:15], s[14:15], s[20:21]
	s_mov_b64 s[0:1], exec
	v_writelane_b32 v40, s14, 12
	v_writelane_b32 v40, s15, 13
	s_and_b64 s[14:15], s[0:1], s[14:15]
	s_mov_b64 exec, s[14:15]
; %bb.260:
	ds_write_b64 v28, v[10:11]
; %bb.261:
	s_or_b64 exec, exec, s[0:1]
	v_cmp_lt_u32_e64 s[14:15], 2, v27
	;; [unrolled: 30-line block ×13, first 2 shown]
	s_waitcnt lgkmcnt(0)
	s_barrier
	s_and_b64 s[14:15], s[14:15], s[20:21]
	s_mov_b64 s[0:1], exec
	v_writelane_b32 v40, s14, 58
	v_writelane_b32 v40, s15, 59
	s_and_b64 s[14:15], s[0:1], s[14:15]
	s_mov_b64 exec, s[14:15]
	s_cbranch_execz .LBB33_307
; %bb.306:
	v_lshlrev_b32_e32 v31, 3, v27
	ds_read_b64 v[31:32], v31 offset:14976
	ds_read_b64 v[33:34], v28
	s_waitcnt lgkmcnt(0)
	v_fma_f64 v[10:11], v[31:32], v[33:34], v[10:11]
.LBB33_307:
	s_or_b64 exec, exec, s[0:1]
	v_cmp_eq_u32_e64 s[14:15], 14, v27
	s_barrier
	s_and_b64 s[14:15], s[14:15], s[20:21]
	s_mov_b64 s[0:1], exec
	v_writelane_b32 v40, s14, 60
	v_writelane_b32 v40, s15, 61
	s_and_b64 s[14:15], s[0:1], s[14:15]
	s_mov_b64 exec, s[14:15]
; %bb.308:
	ds_write_b64 v28, v[10:11]
; %bb.309:
	s_or_b64 exec, exec, s[0:1]
	v_cmp_eq_u32_e64 s[14:15], 15, v27
	s_and_b64 s[92:93], s[14:15], s[20:21]
	s_waitcnt lgkmcnt(0)
	s_barrier
	s_and_saveexec_b64 s[0:1], s[92:93]
	s_cbranch_execz .LBB33_311
; %bb.310:
	v_mov_b32_e32 v31, 0
	ds_read_b64 v[31:32], v31 offset:15608
	ds_read_b64 v[33:34], v28
	s_waitcnt lgkmcnt(0)
	v_fma_f64 v[10:11], v[31:32], v[33:34], v[10:11]
.LBB33_311:
	s_or_b64 exec, exec, s[0:1]
	s_barrier
	s_and_saveexec_b64 s[0:1], s[92:93]
; %bb.312:
	ds_write_b64 v28, v[10:11]
; %bb.313:
	s_or_b64 exec, exec, s[0:1]
	s_waitcnt lgkmcnt(0)
	s_barrier
	s_barrier
	s_and_saveexec_b64 s[0:1], s[10:11]
; %bb.314:
	v_xor_b32_e32 v11, 0x80000000, v11
	ds_write_b64 v26, v[10:11] offset:128
; %bb.315:
	s_or_b64 exec, exec, s[0:1]
	v_cmp_gt_u32_e64 s[14:15], 16, v0
	s_waitcnt lgkmcnt(0)
	s_barrier
	s_barrier
	s_and_b64 s[0:1], s[12:13], s[14:15]
	s_mov_b64 s[14:15], exec
	v_writelane_b32 v40, s0, 62
	v_writelane_b32 v40, s1, 63
	s_and_b64 s[0:1], s[14:15], s[0:1]
	s_mov_b64 exec, s[0:1]
	s_cbranch_execz .LBB33_317
; %bb.316:
	v_lshlrev_b32_e32 v31, 9, v0
	ds_read_b64 v[10:11], v31 offset:128
	s_movk_i32 s0, 0xfe08
	v_mad_i32_i24 v32, v0, s0, v31
	s_waitcnt lgkmcnt(0)
	ds_write_b64 v32, v[10:11] offset:8192
	ds_read_b64 v[10:11], v31 offset:136
	s_waitcnt lgkmcnt(0)
	ds_write_b64 v32, v[10:11] offset:8704
	ds_read_b64 v[10:11], v31 offset:144
	;; [unrolled: 3-line block ×15, first 2 shown]
	s_waitcnt lgkmcnt(0)
	ds_write_b64 v32, v[10:11] offset:15872
.LBB33_317:
	s_or_b64 exec, exec, s[14:15]
	s_waitcnt lgkmcnt(0)
	s_barrier
	s_and_saveexec_b64 s[14:15], vcc
	s_cbranch_execz .LBB33_319
; %bb.318:
	v_mov_b32_e32 v33, 0
	ds_read_b64 v[31:32], v33 offset:8328
	v_mov_b32_e32 v34, 0x3ff00000
	ds_write_b64 v33, v[33:34] offset:8320
	s_waitcnt lgkmcnt(1)
	ds_write_b128 v33, v[31:34] offset:8832
.LBB33_319:
	s_or_b64 exec, exec, s[14:15]
	v_mov_b32_e32 v10, 0
	v_mov_b32_e32 v11, 0
	s_waitcnt lgkmcnt(0)
	s_barrier
	s_and_saveexec_b64 s[16:17], s[2:3]
	s_cbranch_execz .LBB33_323
; %bb.320:
	v_mul_u32_u24_e32 v31, 0x208, v15
	ds_read_b64 v[10:11], v12 offset:8336
	ds_read_b64 v[31:32], v31 offset:8320
	v_cmp_gt_u32_e64 s[14:15], 2, v14
	s_waitcnt lgkmcnt(0)
	v_fma_f64 v[10:11], v[10:11], v[31:32], 0
	s_and_saveexec_b64 s[20:21], s[14:15]
	s_cbranch_execz .LBB33_322
; %bb.321:
	v_lshlrev_b32_e32 v31, 3, v0
	v_mov_b32_e32 v33, 0
	ds_read_b64 v[31:32], v31 offset:8848
	ds_read_b64 v[33:34], v33 offset:8328
	s_waitcnt lgkmcnt(0)
	v_fma_f64 v[10:11], v[31:32], v[33:34], v[10:11]
.LBB33_322:
	s_or_b64 exec, exec, s[20:21]
	v_xor_b32_e32 v11, 0x80000000, v11
.LBB33_323:
	s_or_b64 exec, exec, s[16:17]
	s_and_saveexec_b64 s[0:1], s[34:35]
; %bb.324:
	ds_write_b64 v13, v[10:11]
; %bb.325:
	s_or_b64 exec, exec, s[0:1]
	s_waitcnt lgkmcnt(0)
	s_barrier
	s_and_saveexec_b64 s[0:1], s[30:31]
	s_cbranch_execz .LBB33_327
; %bb.326:
	v_mov_b32_e32 v31, 0
	ds_read_b64 v[31:32], v31 offset:9368
	ds_read_b64 v[33:34], v13
	s_waitcnt lgkmcnt(0)
	v_fma_f64 v[10:11], v[31:32], v[33:34], v[10:11]
.LBB33_327:
	s_or_b64 exec, exec, s[0:1]
	s_barrier
	s_and_saveexec_b64 s[0:1], s[30:31]
; %bb.328:
	ds_write_b64 v13, v[10:11]
; %bb.329:
	s_or_b64 exec, exec, s[0:1]
	s_waitcnt lgkmcnt(0)
	s_barrier
	s_barrier
	s_and_saveexec_b64 s[0:1], s[2:3]
; %bb.330:
	v_xor_b32_e32 v11, 0x80000000, v11
	ds_write_b64 v12, v[10:11] offset:8336
; %bb.331:
	s_or_b64 exec, exec, s[0:1]
	s_waitcnt lgkmcnt(0)
	s_barrier
	s_barrier
	s_and_saveexec_b64 s[14:15], s[36:37]
	s_cbranch_execz .LBB33_333
; %bb.332:
	v_lshlrev_b32_e32 v31, 3, v0
	s_movk_i32 s0, 0x1f8
	v_mad_u32_u24 v32, v0, s0, v31
	ds_read_b64 v[10:11], v32 offset:8336
	s_waitcnt lgkmcnt(0)
	ds_write_b64 v31, v[10:11] offset:9344
	ds_read_b64 v[10:11], v32 offset:8344
	s_waitcnt lgkmcnt(0)
	ds_write_b64 v31, v[10:11] offset:9856
.LBB33_333:
	s_or_b64 exec, exec, s[14:15]
	s_waitcnt lgkmcnt(0)
	s_barrier
	s_and_saveexec_b64 s[14:15], vcc
	s_cbranch_execz .LBB33_335
; %bb.334:
	v_mov_b32_e32 v33, 0
	ds_read_b64 v[31:32], v33 offset:9368
	v_mov_b32_e32 v34, 0x3ff00000
	ds_write_b64 v33, v[33:34] offset:9360
	s_waitcnt lgkmcnt(1)
	ds_write_b128 v33, v[31:34] offset:9872
.LBB33_335:
	s_or_b64 exec, exec, s[14:15]
	v_mov_b32_e32 v10, 0
	v_mov_b32_e32 v11, 0
	s_waitcnt lgkmcnt(0)
	s_barrier
	s_and_saveexec_b64 s[16:17], s[18:19]
	s_cbranch_execz .LBB33_341
; %bb.336:
	v_mul_u32_u24_e32 v31, 0x208, v20
	ds_read_b64 v[10:11], v16 offset:8352
	ds_read_b64 v[32:33], v31 offset:8320
	v_cmp_gt_u32_e64 s[14:15], 12, v14
	s_waitcnt lgkmcnt(0)
	v_fma_f64 v[10:11], v[10:11], v[32:33], 0
	s_and_saveexec_b64 s[20:21], s[14:15]
	s_cbranch_execnz .LBB33_1184
; %bb.337:
	s_or_b64 exec, exec, s[20:21]
	v_cmp_gt_u32_e64 s[14:15], 8, v14
	s_and_saveexec_b64 s[0:1], s[14:15]
	s_cbranch_execnz .LBB33_1185
.LBB33_338:
	s_or_b64 exec, exec, s[0:1]
	v_cmp_gt_u32_e64 s[14:15], 4, v14
	s_and_saveexec_b64 s[20:21], s[14:15]
	s_cbranch_execz .LBB33_340
.LBB33_339:
	v_lshlrev_b32_e32 v31, 3, v0
	v_mov_b32_e32 v33, 0
	ds_read_b64 v[31:32], v31 offset:9888
	ds_read_b64 v[33:34], v33 offset:8344
	s_waitcnt lgkmcnt(0)
	v_fma_f64 v[10:11], v[31:32], v[33:34], v[10:11]
.LBB33_340:
	s_or_b64 exec, exec, s[20:21]
	v_xor_b32_e32 v11, 0x80000000, v11
.LBB33_341:
	s_or_b64 exec, exec, s[16:17]
	s_and_saveexec_b64 s[0:1], s[42:43]
; %bb.342:
	ds_write_b64 v18, v[10:11]
; %bb.343:
	s_or_b64 exec, exec, s[0:1]
	s_waitcnt lgkmcnt(0)
	s_barrier
	s_and_saveexec_b64 s[0:1], s[44:45]
	s_cbranch_execz .LBB33_345
; %bb.344:
	ds_read_b64 v[31:32], v17 offset:10400
	ds_read_b64 v[33:34], v18
	s_waitcnt lgkmcnt(0)
	v_fma_f64 v[10:11], v[31:32], v[33:34], v[10:11]
.LBB33_345:
	s_or_b64 exec, exec, s[0:1]
	s_barrier
	s_and_saveexec_b64 s[0:1], s[52:53]
; %bb.346:
	ds_write_b64 v18, v[10:11]
; %bb.347:
	s_or_b64 exec, exec, s[0:1]
	s_waitcnt lgkmcnt(0)
	s_barrier
	s_and_saveexec_b64 s[0:1], s[54:55]
	s_cbranch_execz .LBB33_349
; %bb.348:
	ds_read_b64 v[31:32], v17 offset:10912
	ds_read_b64 v[33:34], v18
	s_waitcnt lgkmcnt(0)
	v_fma_f64 v[10:11], v[31:32], v[33:34], v[10:11]
.LBB33_349:
	s_or_b64 exec, exec, s[0:1]
	s_barrier
	s_and_saveexec_b64 s[0:1], s[56:57]
; %bb.350:
	ds_write_b64 v18, v[10:11]
; %bb.351:
	s_or_b64 exec, exec, s[0:1]
	s_waitcnt lgkmcnt(0)
	s_barrier
	s_and_saveexec_b64 s[0:1], s[38:39]
	s_cbranch_execz .LBB33_353
; %bb.352:
	v_mov_b32_e32 v31, 0
	ds_read_b64 v[31:32], v31 offset:11448
	ds_read_b64 v[33:34], v18
	s_waitcnt lgkmcnt(0)
	v_fma_f64 v[10:11], v[31:32], v[33:34], v[10:11]
.LBB33_353:
	s_or_b64 exec, exec, s[0:1]
	s_barrier
	s_and_saveexec_b64 s[0:1], s[38:39]
; %bb.354:
	ds_write_b64 v18, v[10:11]
; %bb.355:
	s_or_b64 exec, exec, s[0:1]
	s_waitcnt lgkmcnt(0)
	s_barrier
	s_barrier
	s_and_saveexec_b64 s[0:1], s[18:19]
; %bb.356:
	v_xor_b32_e32 v11, 0x80000000, v11
	ds_write_b64 v16, v[10:11] offset:8352
; %bb.357:
	s_or_b64 exec, exec, s[0:1]
	s_waitcnt lgkmcnt(0)
	s_barrier
	s_barrier
	s_and_saveexec_b64 s[14:15], s[58:59]
	s_cbranch_execz .LBB33_359
; %bb.358:
	v_lshlrev_b32_e32 v31, 9, v0
	ds_read_b64 v[10:11], v31 offset:8352
	s_movk_i32 s0, 0xfe08
	v_mad_i32_i24 v32, v0, s0, v31
	s_waitcnt lgkmcnt(0)
	ds_write_b64 v32, v[10:11] offset:10368
	ds_read_b64 v[10:11], v31 offset:8360
	s_waitcnt lgkmcnt(0)
	ds_write_b64 v32, v[10:11] offset:10880
	ds_read_b64 v[10:11], v31 offset:8368
	;; [unrolled: 3-line block ×3, first 2 shown]
	s_waitcnt lgkmcnt(0)
	ds_write_b64 v32, v[10:11] offset:11904
.LBB33_359:
	s_or_b64 exec, exec, s[14:15]
	s_waitcnt lgkmcnt(0)
	s_barrier
	s_and_saveexec_b64 s[14:15], vcc
	s_cbranch_execz .LBB33_361
; %bb.360:
	v_mov_b32_e32 v33, 0
	ds_read_b64 v[31:32], v33 offset:10408
	v_mov_b32_e32 v34, 0x3ff00000
	ds_write_b64 v33, v[33:34] offset:10400
	s_waitcnt lgkmcnt(1)
	ds_write_b128 v33, v[31:34] offset:10912
.LBB33_361:
	s_or_b64 exec, exec, s[14:15]
	v_mov_b32_e32 v10, 0
	v_mov_b32_e32 v11, 0
	s_waitcnt lgkmcnt(0)
	s_barrier
	s_and_saveexec_b64 s[16:17], s[2:3]
	s_cbranch_execz .LBB33_365
; %bb.362:
	v_mul_u32_u24_e32 v31, 0x208, v15
	ds_read_b64 v[10:11], v12 offset:10416
	ds_read_b64 v[31:32], v31 offset:10400
	v_cmp_gt_u32_e64 s[14:15], 2, v14
	s_waitcnt lgkmcnt(0)
	v_fma_f64 v[10:11], v[10:11], v[31:32], 0
	s_and_saveexec_b64 s[20:21], s[14:15]
	s_cbranch_execz .LBB33_364
; %bb.363:
	v_lshlrev_b32_e32 v31, 3, v0
	v_mov_b32_e32 v33, 0
	ds_read_b64 v[31:32], v31 offset:10928
	ds_read_b64 v[33:34], v33 offset:10408
	s_waitcnt lgkmcnt(0)
	v_fma_f64 v[10:11], v[31:32], v[33:34], v[10:11]
.LBB33_364:
	s_or_b64 exec, exec, s[20:21]
	v_xor_b32_e32 v11, 0x80000000, v11
.LBB33_365:
	s_or_b64 exec, exec, s[16:17]
	s_and_saveexec_b64 s[0:1], s[34:35]
; %bb.366:
	ds_write_b64 v13, v[10:11]
; %bb.367:
	s_or_b64 exec, exec, s[0:1]
	s_waitcnt lgkmcnt(0)
	s_barrier
	s_and_saveexec_b64 s[0:1], s[30:31]
	s_cbranch_execz .LBB33_369
; %bb.368:
	v_mov_b32_e32 v31, 0
	ds_read_b64 v[31:32], v31 offset:11448
	ds_read_b64 v[33:34], v13
	s_waitcnt lgkmcnt(0)
	v_fma_f64 v[10:11], v[31:32], v[33:34], v[10:11]
.LBB33_369:
	s_or_b64 exec, exec, s[0:1]
	s_barrier
	s_and_saveexec_b64 s[0:1], s[30:31]
; %bb.370:
	ds_write_b64 v13, v[10:11]
; %bb.371:
	s_or_b64 exec, exec, s[0:1]
	s_waitcnt lgkmcnt(0)
	s_barrier
	s_barrier
	s_and_saveexec_b64 s[0:1], s[2:3]
; %bb.372:
	v_xor_b32_e32 v11, 0x80000000, v11
	ds_write_b64 v12, v[10:11] offset:10416
; %bb.373:
	s_or_b64 exec, exec, s[0:1]
	s_waitcnt lgkmcnt(0)
	s_barrier
	s_barrier
	s_and_saveexec_b64 s[14:15], s[36:37]
	s_cbranch_execz .LBB33_375
; %bb.374:
	v_lshlrev_b32_e32 v31, 3, v0
	s_movk_i32 s0, 0x1f8
	v_mad_u32_u24 v32, v0, s0, v31
	ds_read_b64 v[10:11], v32 offset:10416
	s_waitcnt lgkmcnt(0)
	ds_write_b64 v31, v[10:11] offset:11424
	ds_read_b64 v[10:11], v32 offset:10424
	s_waitcnt lgkmcnt(0)
	ds_write_b64 v31, v[10:11] offset:11936
.LBB33_375:
	s_or_b64 exec, exec, s[14:15]
	s_waitcnt lgkmcnt(0)
	s_barrier
	s_and_saveexec_b64 s[14:15], vcc
	s_cbranch_execz .LBB33_377
; %bb.376:
	v_mov_b32_e32 v33, 0
	ds_read_b64 v[31:32], v33 offset:11448
	v_mov_b32_e32 v34, 0x3ff00000
	ds_write_b64 v33, v[33:34] offset:11440
	s_waitcnt lgkmcnt(1)
	ds_write_b128 v33, v[31:34] offset:11952
.LBB33_377:
	s_or_b64 exec, exec, s[14:15]
	v_mov_b32_e32 v10, 0
	v_mov_b32_e32 v11, 0
	s_waitcnt lgkmcnt(0)
	s_barrier
	s_and_saveexec_b64 s[16:17], s[8:9]
	s_cbranch_execz .LBB33_387
; %bb.378:
	v_mul_u32_u24_e32 v31, 0x208, v25
	ds_read_b64 v[10:11], v21 offset:8384
	ds_read_b64 v[32:33], v31 offset:8320
	v_cmp_gt_u32_e64 s[14:15], 56, v14
	s_waitcnt lgkmcnt(0)
	v_fma_f64 v[10:11], v[10:11], v[32:33], 0
	s_and_saveexec_b64 s[20:21], s[14:15]
	s_cbranch_execnz .LBB33_1186
; %bb.379:
	s_or_b64 exec, exec, s[20:21]
	v_cmp_gt_u32_e64 s[14:15], 48, v14
	s_and_saveexec_b64 s[20:21], s[14:15]
	s_cbranch_execnz .LBB33_1187
.LBB33_380:
	s_or_b64 exec, exec, s[20:21]
	v_cmp_gt_u32_e64 s[14:15], 40, v14
	s_and_saveexec_b64 s[20:21], s[14:15]
	s_cbranch_execnz .LBB33_1188
.LBB33_381:
	s_or_b64 exec, exec, s[20:21]
	v_cmp_gt_u32_e64 s[14:15], 32, v14
	s_and_saveexec_b64 s[0:1], s[14:15]
	s_cbranch_execnz .LBB33_1189
.LBB33_382:
	s_or_b64 exec, exec, s[0:1]
	v_cmp_gt_u32_e64 s[14:15], 24, v14
	s_and_saveexec_b64 s[20:21], s[14:15]
	s_cbranch_execnz .LBB33_1190
.LBB33_383:
	s_or_b64 exec, exec, s[20:21]
	v_cmp_gt_u32_e64 s[14:15], 16, v14
	s_and_saveexec_b64 s[0:1], s[14:15]
	s_cbranch_execnz .LBB33_1191
.LBB33_384:
	s_or_b64 exec, exec, s[0:1]
	v_cmp_gt_u32_e64 s[14:15], 8, v14
	s_and_saveexec_b64 s[20:21], s[14:15]
	s_cbranch_execz .LBB33_386
.LBB33_385:
	v_lshlrev_b32_e32 v31, 3, v0
	v_mov_b32_e32 v33, 0
	ds_read_b64 v[31:32], v31 offset:11968
	ds_read_b64 v[33:34], v33 offset:8376
	s_waitcnt lgkmcnt(0)
	v_fma_f64 v[10:11], v[31:32], v[33:34], v[10:11]
.LBB33_386:
	s_or_b64 exec, exec, s[20:21]
	v_xor_b32_e32 v11, 0x80000000, v11
.LBB33_387:
	s_or_b64 exec, exec, s[16:17]
	s_and_saveexec_b64 s[0:1], s[60:61]
; %bb.388:
	ds_write_b64 v23, v[10:11]
; %bb.389:
	s_or_b64 exec, exec, s[0:1]
	s_waitcnt lgkmcnt(0)
	s_barrier
	s_and_saveexec_b64 s[0:1], s[62:63]
	s_cbranch_execz .LBB33_391
; %bb.390:
	ds_read_b64 v[31:32], v22 offset:12480
	ds_read_b64 v[33:34], v23
	s_waitcnt lgkmcnt(0)
	v_fma_f64 v[10:11], v[31:32], v[33:34], v[10:11]
.LBB33_391:
	s_or_b64 exec, exec, s[0:1]
	s_barrier
	s_and_saveexec_b64 s[0:1], s[64:65]
; %bb.392:
	ds_write_b64 v23, v[10:11]
; %bb.393:
	s_or_b64 exec, exec, s[0:1]
	s_waitcnt lgkmcnt(0)
	s_barrier
	s_and_saveexec_b64 s[0:1], s[66:67]
	s_cbranch_execz .LBB33_395
; %bb.394:
	ds_read_b64 v[31:32], v22 offset:12992
	ds_read_b64 v[33:34], v23
	s_waitcnt lgkmcnt(0)
	v_fma_f64 v[10:11], v[31:32], v[33:34], v[10:11]
.LBB33_395:
	s_or_b64 exec, exec, s[0:1]
	s_barrier
	;; [unrolled: 17-line block ×6, first 2 shown]
	s_and_saveexec_b64 s[0:1], s[86:87]
; %bb.412:
	ds_write_b64 v23, v[10:11]
; %bb.413:
	s_or_b64 exec, exec, s[0:1]
	s_waitcnt lgkmcnt(0)
	s_barrier
	s_and_saveexec_b64 s[0:1], s[70:71]
	s_cbranch_execz .LBB33_415
; %bb.414:
	v_mov_b32_e32 v31, 0
	ds_read_b64 v[31:32], v31 offset:15608
	ds_read_b64 v[33:34], v23
	s_waitcnt lgkmcnt(0)
	v_fma_f64 v[10:11], v[31:32], v[33:34], v[10:11]
.LBB33_415:
	s_or_b64 exec, exec, s[0:1]
	s_barrier
	s_and_saveexec_b64 s[0:1], s[70:71]
; %bb.416:
	ds_write_b64 v23, v[10:11]
; %bb.417:
	s_or_b64 exec, exec, s[0:1]
	s_waitcnt lgkmcnt(0)
	s_barrier
	s_barrier
	s_and_saveexec_b64 s[0:1], s[8:9]
; %bb.418:
	v_xor_b32_e32 v11, 0x80000000, v11
	ds_write_b64 v21, v[10:11] offset:8384
; %bb.419:
	s_or_b64 exec, exec, s[0:1]
	s_waitcnt lgkmcnt(0)
	s_barrier
	s_barrier
	s_and_saveexec_b64 s[14:15], s[88:89]
	s_cbranch_execz .LBB33_421
; %bb.420:
	v_lshlrev_b32_e32 v31, 9, v0
	ds_read_b64 v[10:11], v31 offset:8384
	s_movk_i32 s0, 0xfe08
	v_mad_i32_i24 v32, v0, s0, v31
	s_waitcnt lgkmcnt(0)
	ds_write_b64 v32, v[10:11] offset:12416
	ds_read_b64 v[10:11], v31 offset:8392
	s_waitcnt lgkmcnt(0)
	ds_write_b64 v32, v[10:11] offset:12928
	ds_read_b64 v[10:11], v31 offset:8400
	;; [unrolled: 3-line block ×7, first 2 shown]
	s_waitcnt lgkmcnt(0)
	ds_write_b64 v32, v[10:11] offset:16000
.LBB33_421:
	s_or_b64 exec, exec, s[14:15]
	s_waitcnt lgkmcnt(0)
	s_barrier
	s_and_saveexec_b64 s[14:15], vcc
	s_cbranch_execz .LBB33_423
; %bb.422:
	v_mov_b32_e32 v33, 0
	ds_read_b64 v[31:32], v33 offset:12488
	v_mov_b32_e32 v34, 0x3ff00000
	ds_write_b64 v33, v[33:34] offset:12480
	s_waitcnt lgkmcnt(1)
	ds_write_b128 v33, v[31:34] offset:12992
.LBB33_423:
	s_or_b64 exec, exec, s[14:15]
	v_mov_b32_e32 v10, 0
	v_mov_b32_e32 v11, 0
	s_waitcnt lgkmcnt(0)
	s_barrier
	s_and_saveexec_b64 s[16:17], s[2:3]
	s_cbranch_execz .LBB33_427
; %bb.424:
	v_mul_u32_u24_e32 v31, 0x208, v15
	ds_read_b64 v[10:11], v12 offset:12496
	ds_read_b64 v[31:32], v31 offset:12480
	v_cmp_gt_u32_e64 s[14:15], 2, v14
	s_waitcnt lgkmcnt(0)
	v_fma_f64 v[10:11], v[10:11], v[31:32], 0
	s_and_saveexec_b64 s[20:21], s[14:15]
	s_cbranch_execz .LBB33_426
; %bb.425:
	v_lshlrev_b32_e32 v31, 3, v0
	v_mov_b32_e32 v33, 0
	ds_read_b64 v[31:32], v31 offset:13008
	ds_read_b64 v[33:34], v33 offset:12488
	s_waitcnt lgkmcnt(0)
	v_fma_f64 v[10:11], v[31:32], v[33:34], v[10:11]
.LBB33_426:
	s_or_b64 exec, exec, s[20:21]
	v_xor_b32_e32 v11, 0x80000000, v11
.LBB33_427:
	s_or_b64 exec, exec, s[16:17]
	s_and_saveexec_b64 s[0:1], s[34:35]
; %bb.428:
	ds_write_b64 v13, v[10:11]
; %bb.429:
	s_or_b64 exec, exec, s[0:1]
	s_waitcnt lgkmcnt(0)
	s_barrier
	s_and_saveexec_b64 s[0:1], s[30:31]
	s_cbranch_execz .LBB33_431
; %bb.430:
	v_mov_b32_e32 v31, 0
	ds_read_b64 v[31:32], v31 offset:13528
	ds_read_b64 v[33:34], v13
	s_waitcnt lgkmcnt(0)
	v_fma_f64 v[10:11], v[31:32], v[33:34], v[10:11]
.LBB33_431:
	s_or_b64 exec, exec, s[0:1]
	s_barrier
	s_and_saveexec_b64 s[0:1], s[30:31]
; %bb.432:
	ds_write_b64 v13, v[10:11]
; %bb.433:
	s_or_b64 exec, exec, s[0:1]
	s_waitcnt lgkmcnt(0)
	s_barrier
	s_barrier
	s_and_saveexec_b64 s[0:1], s[2:3]
; %bb.434:
	v_xor_b32_e32 v11, 0x80000000, v11
	ds_write_b64 v12, v[10:11] offset:12496
; %bb.435:
	s_or_b64 exec, exec, s[0:1]
	s_waitcnt lgkmcnt(0)
	s_barrier
	s_barrier
	s_and_saveexec_b64 s[14:15], s[36:37]
	s_cbranch_execz .LBB33_437
; %bb.436:
	v_lshlrev_b32_e32 v31, 3, v0
	s_movk_i32 s0, 0x1f8
	v_mad_u32_u24 v32, v0, s0, v31
	ds_read_b64 v[10:11], v32 offset:12496
	s_waitcnt lgkmcnt(0)
	ds_write_b64 v31, v[10:11] offset:13504
	ds_read_b64 v[10:11], v32 offset:12504
	s_waitcnt lgkmcnt(0)
	ds_write_b64 v31, v[10:11] offset:14016
.LBB33_437:
	s_or_b64 exec, exec, s[14:15]
	s_waitcnt lgkmcnt(0)
	s_barrier
	s_and_saveexec_b64 s[14:15], vcc
	s_cbranch_execz .LBB33_439
; %bb.438:
	v_mov_b32_e32 v33, 0
	ds_read_b64 v[31:32], v33 offset:13528
	v_mov_b32_e32 v34, 0x3ff00000
	ds_write_b64 v33, v[33:34] offset:13520
	s_waitcnt lgkmcnt(1)
	ds_write_b128 v33, v[31:34] offset:14032
.LBB33_439:
	s_or_b64 exec, exec, s[14:15]
	v_mov_b32_e32 v10, 0
	v_mov_b32_e32 v11, 0
	s_waitcnt lgkmcnt(0)
	s_barrier
	s_and_saveexec_b64 s[16:17], s[18:19]
	s_cbranch_execz .LBB33_445
; %bb.440:
	v_mul_u32_u24_e32 v31, 0x208, v20
	ds_read_b64 v[10:11], v16 offset:12512
	ds_read_b64 v[32:33], v31 offset:12480
	v_cmp_gt_u32_e64 s[14:15], 12, v14
	s_waitcnt lgkmcnt(0)
	v_fma_f64 v[10:11], v[10:11], v[32:33], 0
	s_and_saveexec_b64 s[20:21], s[14:15]
	s_cbranch_execnz .LBB33_1192
; %bb.441:
	s_or_b64 exec, exec, s[20:21]
	v_cmp_gt_u32_e64 s[14:15], 8, v14
	s_and_saveexec_b64 s[0:1], s[14:15]
	s_cbranch_execnz .LBB33_1193
.LBB33_442:
	s_or_b64 exec, exec, s[0:1]
	v_cmp_gt_u32_e64 s[14:15], 4, v14
	s_and_saveexec_b64 s[20:21], s[14:15]
	s_cbranch_execz .LBB33_444
.LBB33_443:
	v_lshlrev_b32_e32 v31, 3, v0
	v_mov_b32_e32 v33, 0
	ds_read_b64 v[31:32], v31 offset:14048
	ds_read_b64 v[33:34], v33 offset:12504
	s_waitcnt lgkmcnt(0)
	v_fma_f64 v[10:11], v[31:32], v[33:34], v[10:11]
.LBB33_444:
	s_or_b64 exec, exec, s[20:21]
	v_xor_b32_e32 v11, 0x80000000, v11
.LBB33_445:
	s_or_b64 exec, exec, s[16:17]
	s_and_saveexec_b64 s[0:1], s[42:43]
; %bb.446:
	ds_write_b64 v18, v[10:11]
; %bb.447:
	s_or_b64 exec, exec, s[0:1]
	s_waitcnt lgkmcnt(0)
	s_barrier
	s_and_saveexec_b64 s[0:1], s[44:45]
	s_cbranch_execz .LBB33_449
; %bb.448:
	ds_read_b64 v[31:32], v17 offset:14560
	ds_read_b64 v[33:34], v18
	s_waitcnt lgkmcnt(0)
	v_fma_f64 v[10:11], v[31:32], v[33:34], v[10:11]
.LBB33_449:
	s_or_b64 exec, exec, s[0:1]
	s_barrier
	s_and_saveexec_b64 s[0:1], s[52:53]
; %bb.450:
	ds_write_b64 v18, v[10:11]
; %bb.451:
	s_or_b64 exec, exec, s[0:1]
	s_waitcnt lgkmcnt(0)
	s_barrier
	s_and_saveexec_b64 s[0:1], s[54:55]
	s_cbranch_execz .LBB33_453
; %bb.452:
	ds_read_b64 v[31:32], v17 offset:15072
	ds_read_b64 v[33:34], v18
	s_waitcnt lgkmcnt(0)
	v_fma_f64 v[10:11], v[31:32], v[33:34], v[10:11]
.LBB33_453:
	s_or_b64 exec, exec, s[0:1]
	s_barrier
	s_and_saveexec_b64 s[0:1], s[56:57]
; %bb.454:
	ds_write_b64 v18, v[10:11]
; %bb.455:
	s_or_b64 exec, exec, s[0:1]
	s_waitcnt lgkmcnt(0)
	s_barrier
	s_and_saveexec_b64 s[0:1], s[38:39]
	s_cbranch_execz .LBB33_457
; %bb.456:
	v_mov_b32_e32 v31, 0
	ds_read_b64 v[31:32], v31 offset:15608
	ds_read_b64 v[33:34], v18
	s_waitcnt lgkmcnt(0)
	v_fma_f64 v[10:11], v[31:32], v[33:34], v[10:11]
.LBB33_457:
	s_or_b64 exec, exec, s[0:1]
	s_barrier
	s_and_saveexec_b64 s[0:1], s[38:39]
; %bb.458:
	ds_write_b64 v18, v[10:11]
; %bb.459:
	s_or_b64 exec, exec, s[0:1]
	s_waitcnt lgkmcnt(0)
	s_barrier
	s_barrier
	s_and_saveexec_b64 s[0:1], s[18:19]
; %bb.460:
	v_xor_b32_e32 v11, 0x80000000, v11
	ds_write_b64 v16, v[10:11] offset:12512
; %bb.461:
	s_or_b64 exec, exec, s[0:1]
	s_waitcnt lgkmcnt(0)
	s_barrier
	s_barrier
	s_and_saveexec_b64 s[14:15], s[58:59]
	s_cbranch_execz .LBB33_463
; %bb.462:
	v_lshlrev_b32_e32 v31, 9, v0
	ds_read_b64 v[10:11], v31 offset:12512
	s_movk_i32 s0, 0xfe08
	v_mad_i32_i24 v32, v0, s0, v31
	s_waitcnt lgkmcnt(0)
	ds_write_b64 v32, v[10:11] offset:14528
	ds_read_b64 v[10:11], v31 offset:12520
	s_waitcnt lgkmcnt(0)
	ds_write_b64 v32, v[10:11] offset:15040
	ds_read_b64 v[10:11], v31 offset:12528
	;; [unrolled: 3-line block ×3, first 2 shown]
	s_waitcnt lgkmcnt(0)
	ds_write_b64 v32, v[10:11] offset:16064
.LBB33_463:
	s_or_b64 exec, exec, s[14:15]
	s_waitcnt lgkmcnt(0)
	s_barrier
	s_and_saveexec_b64 s[14:15], vcc
	s_cbranch_execz .LBB33_465
; %bb.464:
	v_mov_b32_e32 v33, 0
	ds_read_b64 v[31:32], v33 offset:14568
	v_mov_b32_e32 v34, 0x3ff00000
	ds_write_b64 v33, v[33:34] offset:14560
	s_waitcnt lgkmcnt(1)
	ds_write_b128 v33, v[31:34] offset:15072
.LBB33_465:
	s_or_b64 exec, exec, s[14:15]
	v_mov_b32_e32 v10, 0
	v_mov_b32_e32 v11, 0
	s_waitcnt lgkmcnt(0)
	s_barrier
	s_and_saveexec_b64 s[16:17], s[2:3]
	s_cbranch_execz .LBB33_469
; %bb.466:
	v_mul_u32_u24_e32 v31, 0x208, v15
	ds_read_b64 v[10:11], v12 offset:14576
	ds_read_b64 v[31:32], v31 offset:14560
	v_cmp_gt_u32_e64 s[14:15], 2, v14
	s_waitcnt lgkmcnt(0)
	v_fma_f64 v[10:11], v[10:11], v[31:32], 0
	s_and_saveexec_b64 s[20:21], s[14:15]
	s_cbranch_execz .LBB33_468
; %bb.467:
	v_lshlrev_b32_e32 v31, 3, v0
	v_mov_b32_e32 v33, 0
	ds_read_b64 v[31:32], v31 offset:15088
	ds_read_b64 v[33:34], v33 offset:14568
	s_waitcnt lgkmcnt(0)
	v_fma_f64 v[10:11], v[31:32], v[33:34], v[10:11]
.LBB33_468:
	s_or_b64 exec, exec, s[20:21]
	v_xor_b32_e32 v11, 0x80000000, v11
.LBB33_469:
	s_or_b64 exec, exec, s[16:17]
	s_and_saveexec_b64 s[0:1], s[34:35]
; %bb.470:
	ds_write_b64 v13, v[10:11]
; %bb.471:
	s_or_b64 exec, exec, s[0:1]
	s_waitcnt lgkmcnt(0)
	s_barrier
	s_and_saveexec_b64 s[0:1], s[30:31]
	s_cbranch_execz .LBB33_473
; %bb.472:
	v_mov_b32_e32 v31, 0
	ds_read_b64 v[31:32], v31 offset:15608
	ds_read_b64 v[33:34], v13
	s_waitcnt lgkmcnt(0)
	v_fma_f64 v[10:11], v[31:32], v[33:34], v[10:11]
.LBB33_473:
	s_or_b64 exec, exec, s[0:1]
	s_barrier
	s_and_saveexec_b64 s[0:1], s[30:31]
; %bb.474:
	ds_write_b64 v13, v[10:11]
; %bb.475:
	s_or_b64 exec, exec, s[0:1]
	s_waitcnt lgkmcnt(0)
	s_barrier
	s_barrier
	s_and_saveexec_b64 s[0:1], s[2:3]
; %bb.476:
	v_xor_b32_e32 v11, 0x80000000, v11
	ds_write_b64 v12, v[10:11] offset:14576
; %bb.477:
	s_or_b64 exec, exec, s[0:1]
	s_waitcnt lgkmcnt(0)
	s_barrier
	s_barrier
	s_and_saveexec_b64 s[14:15], s[36:37]
	s_cbranch_execz .LBB33_479
; %bb.478:
	v_lshlrev_b32_e32 v31, 3, v0
	s_movk_i32 s0, 0x1f8
	v_mad_u32_u24 v32, v0, s0, v31
	ds_read_b64 v[10:11], v32 offset:14576
	s_waitcnt lgkmcnt(0)
	ds_write_b64 v31, v[10:11] offset:15584
	ds_read_b64 v[10:11], v32 offset:14584
	s_waitcnt lgkmcnt(0)
	ds_write_b64 v31, v[10:11] offset:16096
.LBB33_479:
	s_or_b64 exec, exec, s[14:15]
	s_waitcnt lgkmcnt(0)
	s_barrier
	s_and_saveexec_b64 s[14:15], vcc
	s_cbranch_execz .LBB33_481
; %bb.480:
	v_mov_b32_e32 v33, 0
	ds_read_b64 v[31:32], v33 offset:15608
	v_mov_b32_e32 v34, 0x3ff00000
	ds_write_b64 v33, v[33:34] offset:15600
	s_waitcnt lgkmcnt(1)
	ds_write_b128 v33, v[31:34] offset:16112
.LBB33_481:
	s_or_b64 exec, exec, s[14:15]
	v_and_b32_e32 v33, 31, v0
	s_movk_i32 s0, 0x3ff
	v_lshrrev_b32_e32 v34, 5, v14
	v_cmp_lt_u32_e64 s[16:17], s0, v14
	s_movk_i32 s0, 0x400
	v_lshlrev_b32_e32 v32, 3, v33
	v_mov_b32_e32 v10, 0
	v_cmp_gt_u32_e64 s[14:15], s0, v14
	v_mov_b32_e32 v11, 0
	v_lshl_or_b32 v31, v34, 9, v32
	s_waitcnt lgkmcnt(0)
	s_barrier
	s_and_saveexec_b64 s[28:29], s[14:15]
	s_cbranch_execz .LBB33_543
; %bb.482:
	v_mul_u32_u24_e32 v35, 0x208, v34
	ds_read_b64 v[10:11], v31 offset:256
	ds_read_b64 v[36:37], v35
	s_movk_i32 s0, 0x3e0
	v_cmp_gt_u32_e64 s[20:21], s0, v14
	s_waitcnt lgkmcnt(0)
	v_fma_f64 v[10:11], v[10:11], v[36:37], 0
	s_and_saveexec_b64 s[0:1], s[20:21]
	s_cbranch_execz .LBB33_484
; %bb.483:
	ds_read_b64 v[36:37], v31 offset:768
	ds_read_b64 v[38:39], v35 offset:8
	s_waitcnt lgkmcnt(0)
	v_fma_f64 v[10:11], v[36:37], v[38:39], v[10:11]
.LBB33_484:
	s_or_b64 exec, exec, s[0:1]
	s_movk_i32 s0, 0x3c0
	v_cmp_gt_u32_e64 s[20:21], s0, v14
	s_and_saveexec_b64 s[0:1], s[20:21]
	s_cbranch_execz .LBB33_486
; %bb.485:
	ds_read_b64 v[36:37], v31 offset:1280
	ds_read_b64 v[38:39], v35 offset:16
	s_waitcnt lgkmcnt(0)
	v_fma_f64 v[10:11], v[36:37], v[38:39], v[10:11]
.LBB33_486:
	s_or_b64 exec, exec, s[0:1]
	s_movk_i32 s0, 0x3a0
	v_cmp_gt_u32_e64 s[20:21], s0, v14
	;; [unrolled: 11-line block ×28, first 2 shown]
	s_and_saveexec_b64 s[0:1], s[20:21]
	s_cbranch_execnz .LBB33_1194
; %bb.539:
	s_or_b64 exec, exec, s[0:1]
	v_cmp_gt_u32_e64 s[20:21], 64, v14
	s_and_saveexec_b64 s[0:1], s[20:21]
	s_cbranch_execnz .LBB33_1195
.LBB33_540:
	s_or_b64 exec, exec, s[0:1]
	v_cmp_gt_u32_e64 s[20:21], 32, v14
	s_and_saveexec_b64 s[0:1], s[20:21]
	s_cbranch_execz .LBB33_542
.LBB33_541:
	v_lshlrev_b32_e32 v35, 3, v0
	v_mov_b32_e32 v37, 0
	ds_read_b64 v[35:36], v35 offset:16128
	ds_read_b64 v[37:38], v37 offset:248
	s_waitcnt lgkmcnt(0)
	v_fma_f64 v[10:11], v[35:36], v[37:38], v[10:11]
.LBB33_542:
	s_or_b64 exec, exec, s[0:1]
	v_xor_b32_e32 v11, 0x80000000, v11
.LBB33_543:
	s_or_b64 exec, exec, s[28:29]
	v_mov_b32_e32 v35, 0x8000
	v_cmp_eq_u32_e64 s[20:21], 0, v33
	s_xor_b64 s[28:29], s[16:17], -1
	v_lshl_or_b32 v34, v34, 3, v35
	s_and_b64 s[16:17], s[28:29], s[20:21]
	s_and_saveexec_b64 s[0:1], s[16:17]
; %bb.544:
	ds_write_b64 v34, v[10:11]
; %bb.545:
	s_or_b64 exec, exec, s[0:1]
	v_cmp_ne_u32_e64 s[16:17], 0, v33
	s_and_b64 s[16:17], s[28:29], s[16:17]
	s_waitcnt lgkmcnt(0)
	s_barrier
	s_and_saveexec_b64 s[0:1], s[16:17]
	s_cbranch_execz .LBB33_547
; %bb.546:
	ds_read_b64 v[35:36], v32 offset:16640
	ds_read_b64 v[37:38], v34
	s_waitcnt lgkmcnt(0)
	v_fma_f64 v[10:11], v[35:36], v[37:38], v[10:11]
.LBB33_547:
	s_or_b64 exec, exec, s[0:1]
	v_cmp_eq_u32_e64 s[16:17], 1, v33
	s_and_b64 s[16:17], s[28:29], s[16:17]
	s_barrier
	s_and_saveexec_b64 s[0:1], s[16:17]
; %bb.548:
	ds_write_b64 v34, v[10:11]
; %bb.549:
	s_or_b64 exec, exec, s[0:1]
	v_cmp_lt_u32_e64 s[16:17], 1, v33
	s_and_b64 s[16:17], s[28:29], s[16:17]
	s_waitcnt lgkmcnt(0)
	s_barrier
	s_and_saveexec_b64 s[0:1], s[16:17]
	s_cbranch_execz .LBB33_551
; %bb.550:
	ds_read_b64 v[35:36], v32 offset:17152
	ds_read_b64 v[37:38], v34
	s_waitcnt lgkmcnt(0)
	v_fma_f64 v[10:11], v[35:36], v[37:38], v[10:11]
.LBB33_551:
	s_or_b64 exec, exec, s[0:1]
	v_cmp_eq_u32_e64 s[16:17], 2, v33
	s_and_b64 s[16:17], s[28:29], s[16:17]
	s_barrier
	s_and_saveexec_b64 s[0:1], s[16:17]
; %bb.552:
	ds_write_b64 v34, v[10:11]
; %bb.553:
	s_or_b64 exec, exec, s[0:1]
	v_cmp_lt_u32_e64 s[16:17], 2, v33
	;; [unrolled: 21-line block ×29, first 2 shown]
	s_and_b64 s[16:17], s[28:29], s[16:17]
	s_waitcnt lgkmcnt(0)
	s_barrier
	s_and_saveexec_b64 s[0:1], s[16:17]
	s_cbranch_execz .LBB33_663
; %bb.662:
	ds_read_b64 v[35:36], v32 offset:31488
	ds_read_b64 v[37:38], v34
	s_waitcnt lgkmcnt(0)
	v_fma_f64 v[10:11], v[35:36], v[37:38], v[10:11]
.LBB33_663:
	s_or_b64 exec, exec, s[0:1]
	v_cmp_eq_u32_e64 s[16:17], 30, v33
	s_and_b64 s[16:17], s[28:29], s[16:17]
	s_barrier
	s_and_saveexec_b64 s[0:1], s[16:17]
; %bb.664:
	ds_write_b64 v34, v[10:11]
; %bb.665:
	s_or_b64 exec, exec, s[0:1]
	v_cmp_eq_u32_e64 s[16:17], 31, v33
	s_and_b64 s[16:17], s[28:29], s[16:17]
	s_waitcnt lgkmcnt(0)
	s_barrier
	s_and_saveexec_b64 s[0:1], s[16:17]
	s_cbranch_execz .LBB33_667
; %bb.666:
	ds_read_b64 v[32:33], v32 offset:32000
	ds_read_b64 v[35:36], v34
	s_waitcnt lgkmcnt(0)
	v_fma_f64 v[10:11], v[32:33], v[35:36], v[10:11]
.LBB33_667:
	s_or_b64 exec, exec, s[0:1]
	s_barrier
	s_and_saveexec_b64 s[0:1], s[16:17]
; %bb.668:
	ds_write_b64 v34, v[10:11]
; %bb.669:
	s_or_b64 exec, exec, s[0:1]
	s_waitcnt lgkmcnt(0)
	s_barrier
	s_barrier
	s_and_saveexec_b64 s[0:1], s[14:15]
; %bb.670:
	v_xor_b32_e32 v11, 0x80000000, v11
	ds_write_b64 v31, v[10:11] offset:256
; %bb.671:
	s_or_b64 exec, exec, s[0:1]
	v_cmp_gt_u32_e64 s[14:15], 32, v0
	s_and_b64 s[0:1], s[12:13], s[14:15]
	s_waitcnt lgkmcnt(0)
	s_barrier
	s_barrier
	s_and_saveexec_b64 s[12:13], s[0:1]
	s_cbranch_execz .LBB33_673
; %bb.672:
	v_lshlrev_b32_e32 v31, 9, v0
	ds_read_b64 v[10:11], v31 offset:256
	s_movk_i32 s0, 0xfe08
	v_mad_i32_i24 v32, v0, s0, v31
	s_waitcnt lgkmcnt(0)
	ds_write_b64 v32, v[10:11] offset:16384
	ds_read_b64 v[10:11], v31 offset:264
	s_waitcnt lgkmcnt(0)
	ds_write_b64 v32, v[10:11] offset:16896
	ds_read_b64 v[10:11], v31 offset:272
	;; [unrolled: 3-line block ×31, first 2 shown]
	s_waitcnt lgkmcnt(0)
	ds_write_b64 v32, v[10:11] offset:32256
.LBB33_673:
	s_or_b64 exec, exec, s[12:13]
	s_waitcnt lgkmcnt(0)
	s_barrier
	s_and_saveexec_b64 s[12:13], vcc
	s_cbranch_execz .LBB33_675
; %bb.674:
	v_mov_b32_e32 v33, 0
	ds_read_b64 v[31:32], v33 offset:16648
	v_mov_b32_e32 v34, 0x3ff00000
	ds_write_b64 v33, v[33:34] offset:16640
	s_waitcnt lgkmcnt(1)
	ds_write_b128 v33, v[31:34] offset:17152
.LBB33_675:
	s_or_b64 exec, exec, s[12:13]
	v_mov_b32_e32 v10, 0
	v_mov_b32_e32 v11, 0
	s_waitcnt lgkmcnt(0)
	s_barrier
	s_and_saveexec_b64 s[14:15], s[2:3]
	s_cbranch_execz .LBB33_679
; %bb.676:
	v_mul_u32_u24_e32 v31, 0x208, v15
	ds_read_b64 v[10:11], v12 offset:16656
	ds_read_b64 v[31:32], v31 offset:16640
	v_cmp_gt_u32_e64 s[12:13], 2, v14
	s_waitcnt lgkmcnt(0)
	v_fma_f64 v[10:11], v[10:11], v[31:32], 0
	s_and_saveexec_b64 s[16:17], s[12:13]
	s_cbranch_execz .LBB33_678
; %bb.677:
	v_lshlrev_b32_e32 v31, 3, v0
	v_mov_b32_e32 v33, 0
	ds_read_b64 v[31:32], v31 offset:17168
	ds_read_b64 v[33:34], v33 offset:16648
	s_waitcnt lgkmcnt(0)
	v_fma_f64 v[10:11], v[31:32], v[33:34], v[10:11]
.LBB33_678:
	s_or_b64 exec, exec, s[16:17]
	v_xor_b32_e32 v11, 0x80000000, v11
.LBB33_679:
	s_or_b64 exec, exec, s[14:15]
	s_and_saveexec_b64 s[0:1], s[34:35]
; %bb.680:
	ds_write_b64 v13, v[10:11]
; %bb.681:
	s_or_b64 exec, exec, s[0:1]
	s_waitcnt lgkmcnt(0)
	s_barrier
	s_and_saveexec_b64 s[0:1], s[30:31]
	s_cbranch_execz .LBB33_683
; %bb.682:
	v_mov_b32_e32 v31, 0
	ds_read_b64 v[31:32], v31 offset:17688
	ds_read_b64 v[33:34], v13
	s_waitcnt lgkmcnt(0)
	v_fma_f64 v[10:11], v[31:32], v[33:34], v[10:11]
.LBB33_683:
	s_or_b64 exec, exec, s[0:1]
	s_barrier
	s_and_saveexec_b64 s[0:1], s[30:31]
; %bb.684:
	ds_write_b64 v13, v[10:11]
; %bb.685:
	s_or_b64 exec, exec, s[0:1]
	s_waitcnt lgkmcnt(0)
	s_barrier
	s_barrier
	s_and_saveexec_b64 s[0:1], s[2:3]
; %bb.686:
	v_xor_b32_e32 v11, 0x80000000, v11
	ds_write_b64 v12, v[10:11] offset:16656
; %bb.687:
	s_or_b64 exec, exec, s[0:1]
	s_waitcnt lgkmcnt(0)
	s_barrier
	s_barrier
	s_and_saveexec_b64 s[0:1], s[36:37]
	s_cbranch_execz .LBB33_689
; %bb.688:
	v_lshlrev_b32_e32 v31, 3, v0
	s_movk_i32 s12, 0x1f8
	v_mad_u32_u24 v32, v0, s12, v31
	ds_read_b64 v[10:11], v32 offset:16656
	s_waitcnt lgkmcnt(0)
	ds_write_b64 v31, v[10:11] offset:17664
	ds_read_b64 v[10:11], v32 offset:16664
	s_waitcnt lgkmcnt(0)
	ds_write_b64 v31, v[10:11] offset:18176
.LBB33_689:
	s_or_b64 exec, exec, s[0:1]
	s_waitcnt lgkmcnt(0)
	s_barrier
	s_and_saveexec_b64 s[12:13], vcc
	s_cbranch_execz .LBB33_691
; %bb.690:
	v_mov_b32_e32 v33, 0
	ds_read_b64 v[31:32], v33 offset:17688
	v_mov_b32_e32 v34, 0x3ff00000
	ds_write_b64 v33, v[33:34] offset:17680
	s_waitcnt lgkmcnt(1)
	ds_write_b128 v33, v[31:34] offset:18192
.LBB33_691:
	s_or_b64 exec, exec, s[12:13]
	v_mov_b32_e32 v10, 0
	v_mov_b32_e32 v11, 0
	s_waitcnt lgkmcnt(0)
	s_barrier
	s_and_saveexec_b64 s[14:15], s[18:19]
	s_cbranch_execz .LBB33_697
; %bb.692:
	v_mul_u32_u24_e32 v31, 0x208, v20
	ds_read_b64 v[10:11], v16 offset:16672
	ds_read_b64 v[32:33], v31 offset:16640
	v_cmp_gt_u32_e64 s[12:13], 12, v14
	s_waitcnt lgkmcnt(0)
	v_fma_f64 v[10:11], v[10:11], v[32:33], 0
	s_and_saveexec_b64 s[16:17], s[12:13]
	s_cbranch_execnz .LBB33_1196
; %bb.693:
	s_or_b64 exec, exec, s[16:17]
	v_cmp_gt_u32_e64 s[12:13], 8, v14
	s_and_saveexec_b64 s[0:1], s[12:13]
	s_cbranch_execnz .LBB33_1197
.LBB33_694:
	s_or_b64 exec, exec, s[0:1]
	v_cmp_gt_u32_e64 s[12:13], 4, v14
	s_and_saveexec_b64 s[0:1], s[12:13]
	s_cbranch_execz .LBB33_696
.LBB33_695:
	v_lshlrev_b32_e32 v31, 3, v0
	v_mov_b32_e32 v33, 0
	ds_read_b64 v[31:32], v31 offset:18208
	ds_read_b64 v[33:34], v33 offset:16664
	s_waitcnt lgkmcnt(0)
	v_fma_f64 v[10:11], v[31:32], v[33:34], v[10:11]
.LBB33_696:
	s_or_b64 exec, exec, s[0:1]
	v_xor_b32_e32 v11, 0x80000000, v11
.LBB33_697:
	s_or_b64 exec, exec, s[14:15]
	s_and_saveexec_b64 s[0:1], s[42:43]
; %bb.698:
	ds_write_b64 v18, v[10:11]
; %bb.699:
	s_or_b64 exec, exec, s[0:1]
	s_waitcnt lgkmcnt(0)
	s_barrier
	s_and_saveexec_b64 s[0:1], s[44:45]
	s_cbranch_execz .LBB33_701
; %bb.700:
	ds_read_b64 v[31:32], v17 offset:18720
	ds_read_b64 v[33:34], v18
	s_waitcnt lgkmcnt(0)
	v_fma_f64 v[10:11], v[31:32], v[33:34], v[10:11]
.LBB33_701:
	s_or_b64 exec, exec, s[0:1]
	s_barrier
	s_and_saveexec_b64 s[0:1], s[52:53]
; %bb.702:
	ds_write_b64 v18, v[10:11]
; %bb.703:
	s_or_b64 exec, exec, s[0:1]
	s_waitcnt lgkmcnt(0)
	s_barrier
	s_and_saveexec_b64 s[0:1], s[54:55]
	s_cbranch_execz .LBB33_705
; %bb.704:
	ds_read_b64 v[31:32], v17 offset:19232
	ds_read_b64 v[33:34], v18
	s_waitcnt lgkmcnt(0)
	v_fma_f64 v[10:11], v[31:32], v[33:34], v[10:11]
.LBB33_705:
	s_or_b64 exec, exec, s[0:1]
	s_barrier
	s_and_saveexec_b64 s[0:1], s[56:57]
; %bb.706:
	ds_write_b64 v18, v[10:11]
; %bb.707:
	s_or_b64 exec, exec, s[0:1]
	s_waitcnt lgkmcnt(0)
	s_barrier
	s_and_saveexec_b64 s[0:1], s[38:39]
	s_cbranch_execz .LBB33_709
; %bb.708:
	v_mov_b32_e32 v31, 0
	ds_read_b64 v[31:32], v31 offset:19768
	ds_read_b64 v[33:34], v18
	s_waitcnt lgkmcnt(0)
	v_fma_f64 v[10:11], v[31:32], v[33:34], v[10:11]
.LBB33_709:
	s_or_b64 exec, exec, s[0:1]
	s_barrier
	s_and_saveexec_b64 s[0:1], s[38:39]
; %bb.710:
	ds_write_b64 v18, v[10:11]
; %bb.711:
	s_or_b64 exec, exec, s[0:1]
	s_waitcnt lgkmcnt(0)
	s_barrier
	s_barrier
	s_and_saveexec_b64 s[0:1], s[18:19]
; %bb.712:
	v_xor_b32_e32 v11, 0x80000000, v11
	ds_write_b64 v16, v[10:11] offset:16672
; %bb.713:
	s_or_b64 exec, exec, s[0:1]
	s_waitcnt lgkmcnt(0)
	s_barrier
	s_barrier
	s_and_saveexec_b64 s[12:13], s[58:59]
	s_cbranch_execz .LBB33_715
; %bb.714:
	v_lshlrev_b32_e32 v31, 9, v0
	ds_read_b64 v[10:11], v31 offset:16672
	s_movk_i32 s0, 0xfe08
	v_mad_i32_i24 v32, v0, s0, v31
	s_waitcnt lgkmcnt(0)
	ds_write_b64 v32, v[10:11] offset:18688
	ds_read_b64 v[10:11], v31 offset:16680
	s_waitcnt lgkmcnt(0)
	ds_write_b64 v32, v[10:11] offset:19200
	ds_read_b64 v[10:11], v31 offset:16688
	;; [unrolled: 3-line block ×3, first 2 shown]
	s_waitcnt lgkmcnt(0)
	ds_write_b64 v32, v[10:11] offset:20224
.LBB33_715:
	s_or_b64 exec, exec, s[12:13]
	s_waitcnt lgkmcnt(0)
	s_barrier
	s_and_saveexec_b64 s[12:13], vcc
	s_cbranch_execz .LBB33_717
; %bb.716:
	v_mov_b32_e32 v33, 0
	ds_read_b64 v[31:32], v33 offset:18728
	v_mov_b32_e32 v34, 0x3ff00000
	ds_write_b64 v33, v[33:34] offset:18720
	s_waitcnt lgkmcnt(1)
	ds_write_b128 v33, v[31:34] offset:19232
.LBB33_717:
	s_or_b64 exec, exec, s[12:13]
	v_mov_b32_e32 v10, 0
	v_mov_b32_e32 v11, 0
	s_waitcnt lgkmcnt(0)
	s_barrier
	s_and_saveexec_b64 s[14:15], s[2:3]
	s_cbranch_execz .LBB33_721
; %bb.718:
	v_mul_u32_u24_e32 v31, 0x208, v15
	ds_read_b64 v[10:11], v12 offset:18736
	ds_read_b64 v[31:32], v31 offset:18720
	v_cmp_gt_u32_e64 s[12:13], 2, v14
	s_waitcnt lgkmcnt(0)
	v_fma_f64 v[10:11], v[10:11], v[31:32], 0
	s_and_saveexec_b64 s[16:17], s[12:13]
	s_cbranch_execz .LBB33_720
; %bb.719:
	v_lshlrev_b32_e32 v31, 3, v0
	v_mov_b32_e32 v33, 0
	ds_read_b64 v[31:32], v31 offset:19248
	ds_read_b64 v[33:34], v33 offset:18728
	s_waitcnt lgkmcnt(0)
	v_fma_f64 v[10:11], v[31:32], v[33:34], v[10:11]
.LBB33_720:
	s_or_b64 exec, exec, s[16:17]
	v_xor_b32_e32 v11, 0x80000000, v11
.LBB33_721:
	s_or_b64 exec, exec, s[14:15]
	s_and_saveexec_b64 s[0:1], s[34:35]
; %bb.722:
	ds_write_b64 v13, v[10:11]
; %bb.723:
	s_or_b64 exec, exec, s[0:1]
	s_waitcnt lgkmcnt(0)
	s_barrier
	s_and_saveexec_b64 s[0:1], s[30:31]
	s_cbranch_execz .LBB33_725
; %bb.724:
	v_mov_b32_e32 v31, 0
	ds_read_b64 v[31:32], v31 offset:19768
	ds_read_b64 v[33:34], v13
	s_waitcnt lgkmcnt(0)
	v_fma_f64 v[10:11], v[31:32], v[33:34], v[10:11]
.LBB33_725:
	s_or_b64 exec, exec, s[0:1]
	s_barrier
	s_and_saveexec_b64 s[0:1], s[30:31]
; %bb.726:
	ds_write_b64 v13, v[10:11]
; %bb.727:
	s_or_b64 exec, exec, s[0:1]
	s_waitcnt lgkmcnt(0)
	s_barrier
	s_barrier
	s_and_saveexec_b64 s[0:1], s[2:3]
; %bb.728:
	v_xor_b32_e32 v11, 0x80000000, v11
	ds_write_b64 v12, v[10:11] offset:18736
; %bb.729:
	s_or_b64 exec, exec, s[0:1]
	s_waitcnt lgkmcnt(0)
	s_barrier
	s_barrier
	s_and_saveexec_b64 s[0:1], s[36:37]
	s_cbranch_execz .LBB33_731
; %bb.730:
	v_lshlrev_b32_e32 v31, 3, v0
	s_movk_i32 s12, 0x1f8
	v_mad_u32_u24 v32, v0, s12, v31
	ds_read_b64 v[10:11], v32 offset:18736
	s_waitcnt lgkmcnt(0)
	ds_write_b64 v31, v[10:11] offset:19744
	ds_read_b64 v[10:11], v32 offset:18744
	s_waitcnt lgkmcnt(0)
	ds_write_b64 v31, v[10:11] offset:20256
.LBB33_731:
	s_or_b64 exec, exec, s[0:1]
	s_waitcnt lgkmcnt(0)
	s_barrier
	s_and_saveexec_b64 s[12:13], vcc
	s_cbranch_execz .LBB33_733
; %bb.732:
	v_mov_b32_e32 v33, 0
	ds_read_b64 v[31:32], v33 offset:19768
	v_mov_b32_e32 v34, 0x3ff00000
	ds_write_b64 v33, v[33:34] offset:19760
	s_waitcnt lgkmcnt(1)
	ds_write_b128 v33, v[31:34] offset:20272
.LBB33_733:
	s_or_b64 exec, exec, s[12:13]
	v_mov_b32_e32 v10, 0
	v_mov_b32_e32 v11, 0
	s_waitcnt lgkmcnt(0)
	s_barrier
	s_and_saveexec_b64 s[14:15], s[8:9]
	s_cbranch_execz .LBB33_743
; %bb.734:
	v_mul_u32_u24_e32 v31, 0x208, v25
	ds_read_b64 v[10:11], v21 offset:16704
	ds_read_b64 v[32:33], v31 offset:16640
	v_cmp_gt_u32_e64 s[12:13], 56, v14
	s_waitcnt lgkmcnt(0)
	v_fma_f64 v[10:11], v[10:11], v[32:33], 0
	s_and_saveexec_b64 s[16:17], s[12:13]
	s_cbranch_execnz .LBB33_1198
; %bb.735:
	s_or_b64 exec, exec, s[16:17]
	v_cmp_gt_u32_e64 s[12:13], 48, v14
	s_and_saveexec_b64 s[0:1], s[12:13]
	s_cbranch_execnz .LBB33_1199
.LBB33_736:
	s_or_b64 exec, exec, s[0:1]
	v_cmp_gt_u32_e64 s[12:13], 40, v14
	s_and_saveexec_b64 s[0:1], s[12:13]
	s_cbranch_execnz .LBB33_1200
.LBB33_737:
	s_or_b64 exec, exec, s[0:1]
	v_cmp_gt_u32_e64 s[12:13], 32, v14
	s_and_saveexec_b64 s[0:1], s[12:13]
	s_cbranch_execnz .LBB33_1201
.LBB33_738:
	s_or_b64 exec, exec, s[0:1]
	v_cmp_gt_u32_e64 s[12:13], 24, v14
	s_and_saveexec_b64 s[0:1], s[12:13]
	s_cbranch_execnz .LBB33_1202
.LBB33_739:
	s_or_b64 exec, exec, s[0:1]
	v_cmp_gt_u32_e64 s[12:13], 16, v14
	s_and_saveexec_b64 s[0:1], s[12:13]
	s_cbranch_execnz .LBB33_1203
.LBB33_740:
	s_or_b64 exec, exec, s[0:1]
	v_cmp_gt_u32_e64 s[12:13], 8, v14
	s_and_saveexec_b64 s[0:1], s[12:13]
	s_cbranch_execz .LBB33_742
.LBB33_741:
	v_lshlrev_b32_e32 v31, 3, v0
	v_mov_b32_e32 v33, 0
	ds_read_b64 v[31:32], v31 offset:20288
	ds_read_b64 v[33:34], v33 offset:16696
	s_waitcnt lgkmcnt(0)
	v_fma_f64 v[10:11], v[31:32], v[33:34], v[10:11]
.LBB33_742:
	s_or_b64 exec, exec, s[0:1]
	v_xor_b32_e32 v11, 0x80000000, v11
.LBB33_743:
	s_or_b64 exec, exec, s[14:15]
	s_and_saveexec_b64 s[0:1], s[60:61]
; %bb.744:
	ds_write_b64 v23, v[10:11]
; %bb.745:
	s_or_b64 exec, exec, s[0:1]
	s_waitcnt lgkmcnt(0)
	s_barrier
	s_and_saveexec_b64 s[0:1], s[62:63]
	s_cbranch_execz .LBB33_747
; %bb.746:
	ds_read_b64 v[31:32], v22 offset:20800
	ds_read_b64 v[33:34], v23
	s_waitcnt lgkmcnt(0)
	v_fma_f64 v[10:11], v[31:32], v[33:34], v[10:11]
.LBB33_747:
	s_or_b64 exec, exec, s[0:1]
	s_barrier
	s_and_saveexec_b64 s[0:1], s[64:65]
; %bb.748:
	ds_write_b64 v23, v[10:11]
; %bb.749:
	s_or_b64 exec, exec, s[0:1]
	s_waitcnt lgkmcnt(0)
	s_barrier
	s_and_saveexec_b64 s[0:1], s[66:67]
	s_cbranch_execz .LBB33_751
; %bb.750:
	ds_read_b64 v[31:32], v22 offset:21312
	ds_read_b64 v[33:34], v23
	s_waitcnt lgkmcnt(0)
	v_fma_f64 v[10:11], v[31:32], v[33:34], v[10:11]
.LBB33_751:
	s_or_b64 exec, exec, s[0:1]
	s_barrier
	;; [unrolled: 17-line block ×6, first 2 shown]
	s_and_saveexec_b64 s[0:1], s[86:87]
; %bb.768:
	ds_write_b64 v23, v[10:11]
; %bb.769:
	s_or_b64 exec, exec, s[0:1]
	s_waitcnt lgkmcnt(0)
	s_barrier
	s_and_saveexec_b64 s[0:1], s[70:71]
	s_cbranch_execz .LBB33_771
; %bb.770:
	v_mov_b32_e32 v31, 0
	ds_read_b64 v[31:32], v31 offset:23928
	ds_read_b64 v[33:34], v23
	s_waitcnt lgkmcnt(0)
	v_fma_f64 v[10:11], v[31:32], v[33:34], v[10:11]
.LBB33_771:
	s_or_b64 exec, exec, s[0:1]
	s_barrier
	s_and_saveexec_b64 s[0:1], s[70:71]
; %bb.772:
	ds_write_b64 v23, v[10:11]
; %bb.773:
	s_or_b64 exec, exec, s[0:1]
	s_waitcnt lgkmcnt(0)
	s_barrier
	s_barrier
	s_and_saveexec_b64 s[0:1], s[8:9]
; %bb.774:
	v_xor_b32_e32 v11, 0x80000000, v11
	ds_write_b64 v21, v[10:11] offset:16704
; %bb.775:
	s_or_b64 exec, exec, s[0:1]
	s_waitcnt lgkmcnt(0)
	s_barrier
	s_barrier
	s_and_saveexec_b64 s[12:13], s[88:89]
	s_cbranch_execz .LBB33_777
; %bb.776:
	v_lshlrev_b32_e32 v31, 9, v0
	ds_read_b64 v[10:11], v31 offset:16704
	s_movk_i32 s0, 0xfe08
	v_mad_i32_i24 v32, v0, s0, v31
	s_waitcnt lgkmcnt(0)
	ds_write_b64 v32, v[10:11] offset:20736
	ds_read_b64 v[10:11], v31 offset:16712
	s_waitcnt lgkmcnt(0)
	ds_write_b64 v32, v[10:11] offset:21248
	ds_read_b64 v[10:11], v31 offset:16720
	;; [unrolled: 3-line block ×7, first 2 shown]
	s_waitcnt lgkmcnt(0)
	ds_write_b64 v32, v[10:11] offset:24320
.LBB33_777:
	s_or_b64 exec, exec, s[12:13]
	s_waitcnt lgkmcnt(0)
	s_barrier
	s_and_saveexec_b64 s[12:13], vcc
	s_cbranch_execz .LBB33_779
; %bb.778:
	v_mov_b32_e32 v33, 0
	ds_read_b64 v[31:32], v33 offset:20808
	v_mov_b32_e32 v34, 0x3ff00000
	ds_write_b64 v33, v[33:34] offset:20800
	s_waitcnt lgkmcnt(1)
	ds_write_b128 v33, v[31:34] offset:21312
.LBB33_779:
	s_or_b64 exec, exec, s[12:13]
	v_mov_b32_e32 v10, 0
	v_mov_b32_e32 v11, 0
	s_waitcnt lgkmcnt(0)
	s_barrier
	s_and_saveexec_b64 s[14:15], s[2:3]
	s_cbranch_execz .LBB33_783
; %bb.780:
	v_mul_u32_u24_e32 v31, 0x208, v15
	ds_read_b64 v[10:11], v12 offset:20816
	ds_read_b64 v[31:32], v31 offset:20800
	v_cmp_gt_u32_e64 s[12:13], 2, v14
	s_waitcnt lgkmcnt(0)
	v_fma_f64 v[10:11], v[10:11], v[31:32], 0
	s_and_saveexec_b64 s[16:17], s[12:13]
	s_cbranch_execz .LBB33_782
; %bb.781:
	v_lshlrev_b32_e32 v31, 3, v0
	v_mov_b32_e32 v33, 0
	ds_read_b64 v[31:32], v31 offset:21328
	ds_read_b64 v[33:34], v33 offset:20808
	s_waitcnt lgkmcnt(0)
	v_fma_f64 v[10:11], v[31:32], v[33:34], v[10:11]
.LBB33_782:
	s_or_b64 exec, exec, s[16:17]
	v_xor_b32_e32 v11, 0x80000000, v11
.LBB33_783:
	s_or_b64 exec, exec, s[14:15]
	s_and_saveexec_b64 s[0:1], s[34:35]
; %bb.784:
	ds_write_b64 v13, v[10:11]
; %bb.785:
	s_or_b64 exec, exec, s[0:1]
	s_waitcnt lgkmcnt(0)
	s_barrier
	s_and_saveexec_b64 s[0:1], s[30:31]
	s_cbranch_execz .LBB33_787
; %bb.786:
	v_mov_b32_e32 v31, 0
	ds_read_b64 v[31:32], v31 offset:21848
	ds_read_b64 v[33:34], v13
	s_waitcnt lgkmcnt(0)
	v_fma_f64 v[10:11], v[31:32], v[33:34], v[10:11]
.LBB33_787:
	s_or_b64 exec, exec, s[0:1]
	s_barrier
	s_and_saveexec_b64 s[0:1], s[30:31]
; %bb.788:
	ds_write_b64 v13, v[10:11]
; %bb.789:
	s_or_b64 exec, exec, s[0:1]
	s_waitcnt lgkmcnt(0)
	s_barrier
	s_barrier
	s_and_saveexec_b64 s[0:1], s[2:3]
; %bb.790:
	v_xor_b32_e32 v11, 0x80000000, v11
	ds_write_b64 v12, v[10:11] offset:20816
; %bb.791:
	s_or_b64 exec, exec, s[0:1]
	s_waitcnt lgkmcnt(0)
	s_barrier
	s_barrier
	s_and_saveexec_b64 s[0:1], s[36:37]
	s_cbranch_execz .LBB33_793
; %bb.792:
	v_lshlrev_b32_e32 v31, 3, v0
	s_movk_i32 s12, 0x1f8
	v_mad_u32_u24 v32, v0, s12, v31
	ds_read_b64 v[10:11], v32 offset:20816
	s_waitcnt lgkmcnt(0)
	ds_write_b64 v31, v[10:11] offset:21824
	ds_read_b64 v[10:11], v32 offset:20824
	s_waitcnt lgkmcnt(0)
	ds_write_b64 v31, v[10:11] offset:22336
.LBB33_793:
	s_or_b64 exec, exec, s[0:1]
	s_waitcnt lgkmcnt(0)
	s_barrier
	s_and_saveexec_b64 s[12:13], vcc
	s_cbranch_execz .LBB33_795
; %bb.794:
	v_mov_b32_e32 v33, 0
	ds_read_b64 v[31:32], v33 offset:21848
	v_mov_b32_e32 v34, 0x3ff00000
	ds_write_b64 v33, v[33:34] offset:21840
	s_waitcnt lgkmcnt(1)
	ds_write_b128 v33, v[31:34] offset:22352
.LBB33_795:
	s_or_b64 exec, exec, s[12:13]
	v_mov_b32_e32 v10, 0
	v_mov_b32_e32 v11, 0
	s_waitcnt lgkmcnt(0)
	s_barrier
	s_and_saveexec_b64 s[14:15], s[18:19]
	s_cbranch_execz .LBB33_801
; %bb.796:
	v_mul_u32_u24_e32 v31, 0x208, v20
	ds_read_b64 v[10:11], v16 offset:20832
	ds_read_b64 v[32:33], v31 offset:20800
	v_cmp_gt_u32_e64 s[12:13], 12, v14
	s_waitcnt lgkmcnt(0)
	v_fma_f64 v[10:11], v[10:11], v[32:33], 0
	s_and_saveexec_b64 s[16:17], s[12:13]
	s_cbranch_execnz .LBB33_1204
; %bb.797:
	s_or_b64 exec, exec, s[16:17]
	v_cmp_gt_u32_e64 s[12:13], 8, v14
	s_and_saveexec_b64 s[0:1], s[12:13]
	s_cbranch_execnz .LBB33_1205
.LBB33_798:
	s_or_b64 exec, exec, s[0:1]
	v_cmp_gt_u32_e64 s[12:13], 4, v14
	s_and_saveexec_b64 s[0:1], s[12:13]
	s_cbranch_execz .LBB33_800
.LBB33_799:
	v_lshlrev_b32_e32 v31, 3, v0
	v_mov_b32_e32 v33, 0
	ds_read_b64 v[31:32], v31 offset:22368
	ds_read_b64 v[33:34], v33 offset:20824
	s_waitcnt lgkmcnt(0)
	v_fma_f64 v[10:11], v[31:32], v[33:34], v[10:11]
.LBB33_800:
	s_or_b64 exec, exec, s[0:1]
	v_xor_b32_e32 v11, 0x80000000, v11
.LBB33_801:
	s_or_b64 exec, exec, s[14:15]
	s_and_saveexec_b64 s[0:1], s[42:43]
; %bb.802:
	ds_write_b64 v18, v[10:11]
; %bb.803:
	s_or_b64 exec, exec, s[0:1]
	s_waitcnt lgkmcnt(0)
	s_barrier
	s_and_saveexec_b64 s[0:1], s[44:45]
	s_cbranch_execz .LBB33_805
; %bb.804:
	ds_read_b64 v[31:32], v17 offset:22880
	ds_read_b64 v[33:34], v18
	s_waitcnt lgkmcnt(0)
	v_fma_f64 v[10:11], v[31:32], v[33:34], v[10:11]
.LBB33_805:
	s_or_b64 exec, exec, s[0:1]
	s_barrier
	s_and_saveexec_b64 s[0:1], s[52:53]
; %bb.806:
	ds_write_b64 v18, v[10:11]
; %bb.807:
	s_or_b64 exec, exec, s[0:1]
	s_waitcnt lgkmcnt(0)
	s_barrier
	s_and_saveexec_b64 s[0:1], s[54:55]
	s_cbranch_execz .LBB33_809
; %bb.808:
	ds_read_b64 v[31:32], v17 offset:23392
	ds_read_b64 v[33:34], v18
	s_waitcnt lgkmcnt(0)
	v_fma_f64 v[10:11], v[31:32], v[33:34], v[10:11]
.LBB33_809:
	s_or_b64 exec, exec, s[0:1]
	s_barrier
	s_and_saveexec_b64 s[0:1], s[56:57]
; %bb.810:
	ds_write_b64 v18, v[10:11]
; %bb.811:
	s_or_b64 exec, exec, s[0:1]
	s_waitcnt lgkmcnt(0)
	s_barrier
	s_and_saveexec_b64 s[0:1], s[38:39]
	s_cbranch_execz .LBB33_813
; %bb.812:
	v_mov_b32_e32 v31, 0
	ds_read_b64 v[31:32], v31 offset:23928
	ds_read_b64 v[33:34], v18
	s_waitcnt lgkmcnt(0)
	v_fma_f64 v[10:11], v[31:32], v[33:34], v[10:11]
.LBB33_813:
	s_or_b64 exec, exec, s[0:1]
	s_barrier
	s_and_saveexec_b64 s[0:1], s[38:39]
; %bb.814:
	ds_write_b64 v18, v[10:11]
; %bb.815:
	s_or_b64 exec, exec, s[0:1]
	s_waitcnt lgkmcnt(0)
	s_barrier
	s_barrier
	s_and_saveexec_b64 s[0:1], s[18:19]
; %bb.816:
	v_xor_b32_e32 v11, 0x80000000, v11
	ds_write_b64 v16, v[10:11] offset:20832
; %bb.817:
	s_or_b64 exec, exec, s[0:1]
	s_waitcnt lgkmcnt(0)
	s_barrier
	s_barrier
	s_and_saveexec_b64 s[12:13], s[58:59]
	s_cbranch_execz .LBB33_819
; %bb.818:
	v_lshlrev_b32_e32 v31, 9, v0
	ds_read_b64 v[10:11], v31 offset:20832
	s_movk_i32 s0, 0xfe08
	v_mad_i32_i24 v32, v0, s0, v31
	s_waitcnt lgkmcnt(0)
	ds_write_b64 v32, v[10:11] offset:22848
	ds_read_b64 v[10:11], v31 offset:20840
	s_waitcnt lgkmcnt(0)
	ds_write_b64 v32, v[10:11] offset:23360
	ds_read_b64 v[10:11], v31 offset:20848
	;; [unrolled: 3-line block ×3, first 2 shown]
	s_waitcnt lgkmcnt(0)
	ds_write_b64 v32, v[10:11] offset:24384
.LBB33_819:
	s_or_b64 exec, exec, s[12:13]
	s_waitcnt lgkmcnt(0)
	s_barrier
	s_and_saveexec_b64 s[12:13], vcc
	s_cbranch_execz .LBB33_821
; %bb.820:
	v_mov_b32_e32 v33, 0
	ds_read_b64 v[31:32], v33 offset:22888
	v_mov_b32_e32 v34, 0x3ff00000
	ds_write_b64 v33, v[33:34] offset:22880
	s_waitcnt lgkmcnt(1)
	ds_write_b128 v33, v[31:34] offset:23392
.LBB33_821:
	s_or_b64 exec, exec, s[12:13]
	v_mov_b32_e32 v10, 0
	v_mov_b32_e32 v11, 0
	s_waitcnt lgkmcnt(0)
	s_barrier
	s_and_saveexec_b64 s[14:15], s[2:3]
	s_cbranch_execz .LBB33_825
; %bb.822:
	v_mul_u32_u24_e32 v31, 0x208, v15
	ds_read_b64 v[10:11], v12 offset:22896
	ds_read_b64 v[31:32], v31 offset:22880
	v_cmp_gt_u32_e64 s[12:13], 2, v14
	s_waitcnt lgkmcnt(0)
	v_fma_f64 v[10:11], v[10:11], v[31:32], 0
	s_and_saveexec_b64 s[16:17], s[12:13]
	s_cbranch_execz .LBB33_824
; %bb.823:
	v_lshlrev_b32_e32 v31, 3, v0
	v_mov_b32_e32 v33, 0
	ds_read_b64 v[31:32], v31 offset:23408
	ds_read_b64 v[33:34], v33 offset:22888
	s_waitcnt lgkmcnt(0)
	v_fma_f64 v[10:11], v[31:32], v[33:34], v[10:11]
.LBB33_824:
	s_or_b64 exec, exec, s[16:17]
	v_xor_b32_e32 v11, 0x80000000, v11
.LBB33_825:
	s_or_b64 exec, exec, s[14:15]
	s_and_saveexec_b64 s[0:1], s[34:35]
; %bb.826:
	ds_write_b64 v13, v[10:11]
; %bb.827:
	s_or_b64 exec, exec, s[0:1]
	s_waitcnt lgkmcnt(0)
	s_barrier
	s_and_saveexec_b64 s[0:1], s[30:31]
	s_cbranch_execz .LBB33_829
; %bb.828:
	v_mov_b32_e32 v31, 0
	ds_read_b64 v[31:32], v31 offset:23928
	ds_read_b64 v[33:34], v13
	s_waitcnt lgkmcnt(0)
	v_fma_f64 v[10:11], v[31:32], v[33:34], v[10:11]
.LBB33_829:
	s_or_b64 exec, exec, s[0:1]
	s_barrier
	s_and_saveexec_b64 s[0:1], s[30:31]
; %bb.830:
	ds_write_b64 v13, v[10:11]
; %bb.831:
	s_or_b64 exec, exec, s[0:1]
	s_waitcnt lgkmcnt(0)
	s_barrier
	s_barrier
	s_and_saveexec_b64 s[0:1], s[2:3]
; %bb.832:
	v_xor_b32_e32 v11, 0x80000000, v11
	ds_write_b64 v12, v[10:11] offset:22896
; %bb.833:
	s_or_b64 exec, exec, s[0:1]
	s_waitcnt lgkmcnt(0)
	s_barrier
	s_barrier
	s_and_saveexec_b64 s[0:1], s[36:37]
	s_cbranch_execz .LBB33_835
; %bb.834:
	v_lshlrev_b32_e32 v31, 3, v0
	s_movk_i32 s12, 0x1f8
	v_mad_u32_u24 v32, v0, s12, v31
	ds_read_b64 v[10:11], v32 offset:22896
	s_waitcnt lgkmcnt(0)
	ds_write_b64 v31, v[10:11] offset:23904
	ds_read_b64 v[10:11], v32 offset:22904
	s_waitcnt lgkmcnt(0)
	ds_write_b64 v31, v[10:11] offset:24416
.LBB33_835:
	s_or_b64 exec, exec, s[0:1]
	s_waitcnt lgkmcnt(0)
	s_barrier
	s_and_saveexec_b64 s[12:13], vcc
	s_cbranch_execz .LBB33_837
; %bb.836:
	v_mov_b32_e32 v33, 0
	ds_read_b64 v[31:32], v33 offset:23928
	v_mov_b32_e32 v34, 0x3ff00000
	ds_write_b64 v33, v[33:34] offset:23920
	s_waitcnt lgkmcnt(1)
	ds_write_b128 v33, v[31:34] offset:24432
.LBB33_837:
	s_or_b64 exec, exec, s[12:13]
	v_mov_b32_e32 v10, 0
	v_mov_b32_e32 v11, 0
	s_waitcnt lgkmcnt(0)
	s_barrier
	s_and_saveexec_b64 s[14:15], s[10:11]
	s_cbranch_execz .LBB33_865
; %bb.838:
	v_mul_u32_u24_e32 v31, 0x208, v30
	ds_read_b64 v[10:11], v26 offset:16768
	ds_read_b64 v[32:33], v31 offset:16640
	s_movk_i32 s0, 0xf0
	v_cmp_gt_u32_e64 s[12:13], s0, v14
	s_waitcnt lgkmcnt(0)
	v_fma_f64 v[10:11], v[10:11], v[32:33], 0
	s_and_saveexec_b64 s[16:17], s[12:13]
	s_cbranch_execz .LBB33_840
; %bb.839:
	v_lshlrev_b32_e32 v32, 3, v30
	v_sub_u32_e32 v32, v31, v32
	v_lshl_add_u32 v32, v27, 3, v32
	ds_read_b64 v[32:33], v32 offset:17280
	ds_read_b64 v[34:35], v31 offset:16648
	s_waitcnt lgkmcnt(0)
	v_fma_f64 v[10:11], v[32:33], v[34:35], v[10:11]
.LBB33_840:
	s_or_b64 exec, exec, s[16:17]
	s_movk_i32 s0, 0xe0
	v_cmp_gt_u32_e64 s[12:13], s0, v14
	s_and_saveexec_b64 s[0:1], s[12:13]
	s_cbranch_execz .LBB33_842
; %bb.841:
	v_lshlrev_b32_e32 v32, 3, v30
	v_sub_u32_e32 v32, v31, v32
	v_lshl_add_u32 v32, v27, 3, v32
	ds_read_b64 v[32:33], v32 offset:17792
	ds_read_b64 v[34:35], v31 offset:16656
	s_waitcnt lgkmcnt(0)
	v_fma_f64 v[10:11], v[32:33], v[34:35], v[10:11]
.LBB33_842:
	s_or_b64 exec, exec, s[0:1]
	s_movk_i32 s0, 0xd0
	v_cmp_gt_u32_e64 s[12:13], s0, v14
	;; [unrolled: 14-line block ×7, first 2 shown]
	s_and_saveexec_b64 s[0:1], s[12:13]
	s_cbranch_execz .LBB33_854
; %bb.853:
	ds_read_b64 v[32:33], v26 offset:20864
	ds_read_b64 v[34:35], v31 offset:16704
	s_waitcnt lgkmcnt(0)
	v_fma_f64 v[10:11], v[32:33], v[34:35], v[10:11]
.LBB33_854:
	s_or_b64 exec, exec, s[0:1]
	s_movk_i32 s0, 0x70
	v_cmp_gt_u32_e64 s[12:13], s0, v14
	s_and_saveexec_b64 s[0:1], s[12:13]
	s_cbranch_execz .LBB33_856
; %bb.855:
	v_lshlrev_b32_e32 v30, 3, v27
	v_lshl_add_u32 v30, v29, 3, v30
	ds_read_b64 v[32:33], v30 offset:21376
	ds_read_b64 v[34:35], v31 offset:16712
	s_waitcnt lgkmcnt(0)
	v_fma_f64 v[10:11], v[32:33], v[34:35], v[10:11]
.LBB33_856:
	s_or_b64 exec, exec, s[0:1]
	s_movk_i32 s0, 0x60
	v_cmp_gt_u32_e64 s[12:13], s0, v14
	s_and_saveexec_b64 s[0:1], s[12:13]
	s_cbranch_execz .LBB33_858
; %bb.857:
	v_lshlrev_b32_e32 v30, 3, v27
	v_lshl_add_u32 v30, v29, 3, v30
	ds_read_b64 v[32:33], v30 offset:21888
	ds_read_b64 v[34:35], v31 offset:16720
	s_waitcnt lgkmcnt(0)
	v_fma_f64 v[10:11], v[32:33], v[34:35], v[10:11]
.LBB33_858:
	s_or_b64 exec, exec, s[0:1]
	s_movk_i32 s0, 0x50
	v_cmp_gt_u32_e64 s[12:13], s0, v14
	s_and_saveexec_b64 s[0:1], s[12:13]
	s_cbranch_execnz .LBB33_1206
; %bb.859:
	s_or_b64 exec, exec, s[0:1]
	v_cmp_gt_u32_e64 s[12:13], 64, v14
	s_and_saveexec_b64 s[0:1], s[12:13]
	s_cbranch_execnz .LBB33_1207
.LBB33_860:
	s_or_b64 exec, exec, s[0:1]
	v_cmp_gt_u32_e64 s[12:13], 48, v14
	s_and_saveexec_b64 s[0:1], s[12:13]
	s_cbranch_execnz .LBB33_1208
.LBB33_861:
	s_or_b64 exec, exec, s[0:1]
	v_cmp_gt_u32_e64 s[12:13], 32, v14
	s_and_saveexec_b64 s[0:1], s[12:13]
	s_cbranch_execnz .LBB33_1209
.LBB33_862:
	s_or_b64 exec, exec, s[0:1]
	v_cmp_gt_u32_e64 s[12:13], 16, v14
	s_and_saveexec_b64 s[0:1], s[12:13]
	s_cbranch_execz .LBB33_864
.LBB33_863:
	v_lshlrev_b32_e32 v29, 3, v0
	v_mov_b32_e32 v31, 0
	ds_read_b64 v[29:30], v29 offset:24448
	ds_read_b64 v[31:32], v31 offset:16760
	s_waitcnt lgkmcnt(0)
	v_fma_f64 v[10:11], v[29:30], v[31:32], v[10:11]
.LBB33_864:
	s_or_b64 exec, exec, s[0:1]
	v_xor_b32_e32 v11, 0x80000000, v11
.LBB33_865:
	s_or_b64 exec, exec, s[14:15]
	s_mov_b64 s[0:1], exec
	v_readlane_b32 s12, v40, 4
	v_readlane_b32 s13, v40, 5
	s_and_b64 s[12:13], s[0:1], s[12:13]
	s_mov_b64 exec, s[12:13]
; %bb.866:
	ds_write_b64 v28, v[10:11]
; %bb.867:
	s_or_b64 exec, exec, s[0:1]
	s_waitcnt lgkmcnt(0)
	s_barrier
	s_mov_b64 s[0:1], exec
	v_readlane_b32 s12, v40, 6
	v_readlane_b32 s13, v40, 7
	s_and_b64 s[12:13], s[0:1], s[12:13]
	s_mov_b64 exec, s[12:13]
	s_cbranch_execz .LBB33_869
; %bb.868:
	v_lshlrev_b32_e32 v29, 3, v27
	ds_read_b64 v[29:30], v29 offset:24960
	ds_read_b64 v[31:32], v28
	s_waitcnt lgkmcnt(0)
	v_fma_f64 v[10:11], v[29:30], v[31:32], v[10:11]
.LBB33_869:
	s_or_b64 exec, exec, s[0:1]
	s_barrier
	s_mov_b64 s[0:1], exec
	v_readlane_b32 s12, v40, 8
	v_readlane_b32 s13, v40, 9
	s_and_b64 s[12:13], s[0:1], s[12:13]
	s_mov_b64 exec, s[12:13]
; %bb.870:
	ds_write_b64 v28, v[10:11]
; %bb.871:
	s_or_b64 exec, exec, s[0:1]
	s_waitcnt lgkmcnt(0)
	s_barrier
	s_mov_b64 s[0:1], exec
	v_readlane_b32 s12, v40, 10
	v_readlane_b32 s13, v40, 11
	s_and_b64 s[12:13], s[0:1], s[12:13]
	s_mov_b64 exec, s[12:13]
	s_cbranch_execz .LBB33_873
; %bb.872:
	v_lshlrev_b32_e32 v29, 3, v27
	ds_read_b64 v[29:30], v29 offset:25472
	ds_read_b64 v[31:32], v28
	s_waitcnt lgkmcnt(0)
	v_fma_f64 v[10:11], v[29:30], v[31:32], v[10:11]
.LBB33_873:
	s_or_b64 exec, exec, s[0:1]
	s_barrier
	s_mov_b64 s[0:1], exec
	v_readlane_b32 s12, v40, 12
	v_readlane_b32 s13, v40, 13
	s_and_b64 s[12:13], s[0:1], s[12:13]
	s_mov_b64 exec, s[12:13]
; %bb.874:
	ds_write_b64 v28, v[10:11]
; %bb.875:
	s_or_b64 exec, exec, s[0:1]
	s_waitcnt lgkmcnt(0)
	s_barrier
	s_mov_b64 s[0:1], exec
	v_readlane_b32 s12, v40, 14
	v_readlane_b32 s13, v40, 15
	s_and_b64 s[12:13], s[0:1], s[12:13]
	s_mov_b64 exec, s[12:13]
	s_cbranch_execz .LBB33_877
; %bb.876:
	v_lshlrev_b32_e32 v29, 3, v27
	ds_read_b64 v[29:30], v29 offset:25984
	ds_read_b64 v[31:32], v28
	s_waitcnt lgkmcnt(0)
	v_fma_f64 v[10:11], v[29:30], v[31:32], v[10:11]
.LBB33_877:
	s_or_b64 exec, exec, s[0:1]
	s_barrier
	s_mov_b64 s[0:1], exec
	v_readlane_b32 s12, v40, 16
	v_readlane_b32 s13, v40, 17
	s_and_b64 s[12:13], s[0:1], s[12:13]
	s_mov_b64 exec, s[12:13]
; %bb.878:
	ds_write_b64 v28, v[10:11]
; %bb.879:
	s_or_b64 exec, exec, s[0:1]
	s_waitcnt lgkmcnt(0)
	s_barrier
	s_mov_b64 s[0:1], exec
	v_readlane_b32 s12, v40, 18
	v_readlane_b32 s13, v40, 19
	s_and_b64 s[12:13], s[0:1], s[12:13]
	s_mov_b64 exec, s[12:13]
	s_cbranch_execz .LBB33_881
; %bb.880:
	v_lshlrev_b32_e32 v29, 3, v27
	ds_read_b64 v[29:30], v29 offset:26496
	ds_read_b64 v[31:32], v28
	s_waitcnt lgkmcnt(0)
	v_fma_f64 v[10:11], v[29:30], v[31:32], v[10:11]
.LBB33_881:
	s_or_b64 exec, exec, s[0:1]
	s_barrier
	s_mov_b64 s[0:1], exec
	v_readlane_b32 s12, v40, 20
	v_readlane_b32 s13, v40, 21
	s_and_b64 s[12:13], s[0:1], s[12:13]
	s_mov_b64 exec, s[12:13]
; %bb.882:
	ds_write_b64 v28, v[10:11]
; %bb.883:
	s_or_b64 exec, exec, s[0:1]
	s_waitcnt lgkmcnt(0)
	s_barrier
	s_mov_b64 s[0:1], exec
	v_readlane_b32 s12, v40, 22
	v_readlane_b32 s13, v40, 23
	s_and_b64 s[12:13], s[0:1], s[12:13]
	s_mov_b64 exec, s[12:13]
	s_cbranch_execz .LBB33_885
; %bb.884:
	v_lshlrev_b32_e32 v29, 3, v27
	ds_read_b64 v[29:30], v29 offset:27008
	ds_read_b64 v[31:32], v28
	s_waitcnt lgkmcnt(0)
	v_fma_f64 v[10:11], v[29:30], v[31:32], v[10:11]
.LBB33_885:
	s_or_b64 exec, exec, s[0:1]
	s_barrier
	s_mov_b64 s[0:1], exec
	v_readlane_b32 s12, v40, 24
	v_readlane_b32 s13, v40, 25
	s_and_b64 s[12:13], s[0:1], s[12:13]
	s_mov_b64 exec, s[12:13]
; %bb.886:
	ds_write_b64 v28, v[10:11]
; %bb.887:
	s_or_b64 exec, exec, s[0:1]
	s_waitcnt lgkmcnt(0)
	s_barrier
	s_mov_b64 s[0:1], exec
	v_readlane_b32 s12, v40, 26
	v_readlane_b32 s13, v40, 27
	s_and_b64 s[12:13], s[0:1], s[12:13]
	s_mov_b64 exec, s[12:13]
	s_cbranch_execz .LBB33_889
; %bb.888:
	v_lshlrev_b32_e32 v29, 3, v27
	ds_read_b64 v[29:30], v29 offset:27520
	ds_read_b64 v[31:32], v28
	s_waitcnt lgkmcnt(0)
	v_fma_f64 v[10:11], v[29:30], v[31:32], v[10:11]
.LBB33_889:
	s_or_b64 exec, exec, s[0:1]
	s_barrier
	s_mov_b64 s[0:1], exec
	v_readlane_b32 s12, v40, 28
	v_readlane_b32 s13, v40, 29
	s_and_b64 s[12:13], s[0:1], s[12:13]
	s_mov_b64 exec, s[12:13]
; %bb.890:
	ds_write_b64 v28, v[10:11]
; %bb.891:
	s_or_b64 exec, exec, s[0:1]
	s_waitcnt lgkmcnt(0)
	s_barrier
	s_mov_b64 s[0:1], exec
	v_readlane_b32 s12, v40, 30
	v_readlane_b32 s13, v40, 31
	s_and_b64 s[12:13], s[0:1], s[12:13]
	s_mov_b64 exec, s[12:13]
	s_cbranch_execz .LBB33_893
; %bb.892:
	v_lshlrev_b32_e32 v29, 3, v27
	ds_read_b64 v[29:30], v29 offset:28032
	ds_read_b64 v[31:32], v28
	s_waitcnt lgkmcnt(0)
	v_fma_f64 v[10:11], v[29:30], v[31:32], v[10:11]
.LBB33_893:
	s_or_b64 exec, exec, s[0:1]
	s_barrier
	s_mov_b64 s[0:1], exec
	v_readlane_b32 s12, v40, 32
	v_readlane_b32 s13, v40, 33
	s_and_b64 s[12:13], s[0:1], s[12:13]
	s_mov_b64 exec, s[12:13]
; %bb.894:
	ds_write_b64 v28, v[10:11]
; %bb.895:
	s_or_b64 exec, exec, s[0:1]
	s_waitcnt lgkmcnt(0)
	s_barrier
	s_mov_b64 s[0:1], exec
	v_readlane_b32 s12, v40, 34
	v_readlane_b32 s13, v40, 35
	s_and_b64 s[12:13], s[0:1], s[12:13]
	s_mov_b64 exec, s[12:13]
	s_cbranch_execz .LBB33_897
; %bb.896:
	v_lshlrev_b32_e32 v29, 3, v27
	ds_read_b64 v[29:30], v29 offset:28544
	ds_read_b64 v[31:32], v28
	s_waitcnt lgkmcnt(0)
	v_fma_f64 v[10:11], v[29:30], v[31:32], v[10:11]
.LBB33_897:
	s_or_b64 exec, exec, s[0:1]
	s_barrier
	s_mov_b64 s[0:1], exec
	v_readlane_b32 s12, v40, 36
	v_readlane_b32 s13, v40, 37
	s_and_b64 s[12:13], s[0:1], s[12:13]
	s_mov_b64 exec, s[12:13]
; %bb.898:
	ds_write_b64 v28, v[10:11]
; %bb.899:
	s_or_b64 exec, exec, s[0:1]
	s_waitcnt lgkmcnt(0)
	s_barrier
	s_mov_b64 s[0:1], exec
	v_readlane_b32 s12, v40, 38
	v_readlane_b32 s13, v40, 39
	s_and_b64 s[12:13], s[0:1], s[12:13]
	s_mov_b64 exec, s[12:13]
	s_cbranch_execz .LBB33_901
; %bb.900:
	v_lshlrev_b32_e32 v29, 3, v27
	ds_read_b64 v[29:30], v29 offset:29056
	ds_read_b64 v[31:32], v28
	s_waitcnt lgkmcnt(0)
	v_fma_f64 v[10:11], v[29:30], v[31:32], v[10:11]
.LBB33_901:
	s_or_b64 exec, exec, s[0:1]
	s_barrier
	s_mov_b64 s[0:1], exec
	v_readlane_b32 s12, v40, 40
	v_readlane_b32 s13, v40, 41
	s_and_b64 s[12:13], s[0:1], s[12:13]
	s_mov_b64 exec, s[12:13]
; %bb.902:
	ds_write_b64 v28, v[10:11]
; %bb.903:
	s_or_b64 exec, exec, s[0:1]
	s_waitcnt lgkmcnt(0)
	s_barrier
	s_mov_b64 s[0:1], exec
	v_readlane_b32 s12, v40, 42
	v_readlane_b32 s13, v40, 43
	s_and_b64 s[12:13], s[0:1], s[12:13]
	s_mov_b64 exec, s[12:13]
	s_cbranch_execz .LBB33_905
; %bb.904:
	v_lshlrev_b32_e32 v29, 3, v27
	ds_read_b64 v[29:30], v29 offset:29568
	ds_read_b64 v[31:32], v28
	s_waitcnt lgkmcnt(0)
	v_fma_f64 v[10:11], v[29:30], v[31:32], v[10:11]
.LBB33_905:
	s_or_b64 exec, exec, s[0:1]
	s_barrier
	s_mov_b64 s[0:1], exec
	v_readlane_b32 s12, v40, 44
	v_readlane_b32 s13, v40, 45
	s_and_b64 s[12:13], s[0:1], s[12:13]
	s_mov_b64 exec, s[12:13]
; %bb.906:
	ds_write_b64 v28, v[10:11]
; %bb.907:
	s_or_b64 exec, exec, s[0:1]
	s_waitcnt lgkmcnt(0)
	s_barrier
	s_mov_b64 s[0:1], exec
	v_readlane_b32 s12, v40, 46
	v_readlane_b32 s13, v40, 47
	s_and_b64 s[12:13], s[0:1], s[12:13]
	s_mov_b64 exec, s[12:13]
	s_cbranch_execz .LBB33_909
; %bb.908:
	v_lshlrev_b32_e32 v29, 3, v27
	ds_read_b64 v[29:30], v29 offset:30080
	ds_read_b64 v[31:32], v28
	s_waitcnt lgkmcnt(0)
	v_fma_f64 v[10:11], v[29:30], v[31:32], v[10:11]
.LBB33_909:
	s_or_b64 exec, exec, s[0:1]
	s_barrier
	s_mov_b64 s[0:1], exec
	v_readlane_b32 s12, v40, 48
	v_readlane_b32 s13, v40, 49
	s_and_b64 s[12:13], s[0:1], s[12:13]
	s_mov_b64 exec, s[12:13]
; %bb.910:
	ds_write_b64 v28, v[10:11]
; %bb.911:
	s_or_b64 exec, exec, s[0:1]
	s_waitcnt lgkmcnt(0)
	s_barrier
	s_mov_b64 s[0:1], exec
	v_readlane_b32 s12, v40, 50
	v_readlane_b32 s13, v40, 51
	s_and_b64 s[12:13], s[0:1], s[12:13]
	s_mov_b64 exec, s[12:13]
	s_cbranch_execz .LBB33_913
; %bb.912:
	v_lshlrev_b32_e32 v29, 3, v27
	ds_read_b64 v[29:30], v29 offset:30592
	ds_read_b64 v[31:32], v28
	s_waitcnt lgkmcnt(0)
	v_fma_f64 v[10:11], v[29:30], v[31:32], v[10:11]
.LBB33_913:
	s_or_b64 exec, exec, s[0:1]
	s_barrier
	s_mov_b64 s[0:1], exec
	v_readlane_b32 s12, v40, 52
	v_readlane_b32 s13, v40, 53
	s_and_b64 s[12:13], s[0:1], s[12:13]
	s_mov_b64 exec, s[12:13]
; %bb.914:
	ds_write_b64 v28, v[10:11]
; %bb.915:
	s_or_b64 exec, exec, s[0:1]
	s_waitcnt lgkmcnt(0)
	s_barrier
	s_mov_b64 s[0:1], exec
	v_readlane_b32 s12, v40, 54
	v_readlane_b32 s13, v40, 55
	s_and_b64 s[12:13], s[0:1], s[12:13]
	s_mov_b64 exec, s[12:13]
	s_cbranch_execz .LBB33_917
; %bb.916:
	v_lshlrev_b32_e32 v29, 3, v27
	ds_read_b64 v[29:30], v29 offset:31104
	ds_read_b64 v[31:32], v28
	s_waitcnt lgkmcnt(0)
	v_fma_f64 v[10:11], v[29:30], v[31:32], v[10:11]
.LBB33_917:
	s_or_b64 exec, exec, s[0:1]
	s_barrier
	s_mov_b64 s[0:1], exec
	v_readlane_b32 s12, v40, 56
	v_readlane_b32 s13, v40, 57
	s_and_b64 s[12:13], s[0:1], s[12:13]
	s_mov_b64 exec, s[12:13]
; %bb.918:
	ds_write_b64 v28, v[10:11]
; %bb.919:
	s_or_b64 exec, exec, s[0:1]
	s_waitcnt lgkmcnt(0)
	s_barrier
	s_mov_b64 s[0:1], exec
	v_readlane_b32 s12, v40, 58
	v_readlane_b32 s13, v40, 59
	s_and_b64 s[12:13], s[0:1], s[12:13]
	s_mov_b64 exec, s[12:13]
	s_cbranch_execz .LBB33_921
; %bb.920:
	v_lshlrev_b32_e32 v27, 3, v27
	ds_read_b64 v[29:30], v27 offset:31616
	ds_read_b64 v[31:32], v28
	s_waitcnt lgkmcnt(0)
	v_fma_f64 v[10:11], v[29:30], v[31:32], v[10:11]
.LBB33_921:
	s_or_b64 exec, exec, s[0:1]
	s_barrier
	s_mov_b64 s[0:1], exec
	v_readlane_b32 s12, v40, 60
	v_readlane_b32 s13, v40, 61
	s_and_b64 s[12:13], s[0:1], s[12:13]
	s_mov_b64 exec, s[12:13]
; %bb.922:
	ds_write_b64 v28, v[10:11]
; %bb.923:
	s_or_b64 exec, exec, s[0:1]
	s_waitcnt lgkmcnt(0)
	s_barrier
	s_and_saveexec_b64 s[0:1], s[92:93]
	s_cbranch_execz .LBB33_925
; %bb.924:
	v_mov_b32_e32 v27, 0
	ds_read_b64 v[29:30], v27 offset:32248
	ds_read_b64 v[31:32], v28
	s_waitcnt lgkmcnt(0)
	v_fma_f64 v[10:11], v[29:30], v[31:32], v[10:11]
.LBB33_925:
	s_or_b64 exec, exec, s[0:1]
	s_barrier
	s_and_saveexec_b64 s[0:1], s[92:93]
; %bb.926:
	ds_write_b64 v28, v[10:11]
; %bb.927:
	s_or_b64 exec, exec, s[0:1]
	s_waitcnt lgkmcnt(0)
	s_barrier
	s_barrier
	s_and_saveexec_b64 s[0:1], s[10:11]
; %bb.928:
	v_xor_b32_e32 v11, 0x80000000, v11
	ds_write_b64 v26, v[10:11] offset:16768
; %bb.929:
	s_or_b64 exec, exec, s[0:1]
	s_waitcnt lgkmcnt(0)
	s_barrier
	s_barrier
	s_mov_b64 s[0:1], exec
	v_readlane_b32 s10, v40, 62
	v_readlane_b32 s11, v40, 63
	s_and_b64 s[10:11], s[0:1], s[10:11]
	s_mov_b64 exec, s[10:11]
	s_cbranch_execz .LBB33_931
; %bb.930:
	v_lshlrev_b32_e32 v26, 9, v0
	ds_read_b64 v[10:11], v26 offset:16768
	s_movk_i32 s10, 0xfe08
	v_mad_i32_i24 v27, v0, s10, v26
	s_waitcnt lgkmcnt(0)
	ds_write_b64 v27, v[10:11] offset:24832
	ds_read_b64 v[10:11], v26 offset:16776
	s_waitcnt lgkmcnt(0)
	ds_write_b64 v27, v[10:11] offset:25344
	ds_read_b64 v[10:11], v26 offset:16784
	;; [unrolled: 3-line block ×15, first 2 shown]
	s_waitcnt lgkmcnt(0)
	ds_write_b64 v27, v[10:11] offset:32512
.LBB33_931:
	s_or_b64 exec, exec, s[0:1]
	s_waitcnt lgkmcnt(0)
	s_barrier
	s_and_saveexec_b64 s[0:1], vcc
	s_cbranch_execz .LBB33_933
; %bb.932:
	v_mov_b32_e32 v28, 0
	ds_read_b64 v[26:27], v28 offset:24968
	v_mov_b32_e32 v29, 0x3ff00000
	ds_write_b64 v28, v[28:29] offset:24960
	s_waitcnt lgkmcnt(1)
	ds_write_b128 v28, v[26:29] offset:25472
.LBB33_933:
	s_or_b64 exec, exec, s[0:1]
	v_mov_b32_e32 v10, 0
	v_mov_b32_e32 v11, 0
	s_waitcnt lgkmcnt(0)
	s_barrier
	s_and_saveexec_b64 s[0:1], s[2:3]
	s_cbranch_execz .LBB33_937
; %bb.934:
	v_mul_u32_u24_e32 v26, 0x208, v15
	ds_read_b64 v[10:11], v12 offset:24976
	ds_read_b64 v[26:27], v26 offset:24960
	v_cmp_gt_u32_e64 s[10:11], 2, v14
	s_waitcnt lgkmcnt(0)
	v_fma_f64 v[10:11], v[10:11], v[26:27], 0
	s_and_saveexec_b64 s[12:13], s[10:11]
	s_cbranch_execz .LBB33_936
; %bb.935:
	v_lshlrev_b32_e32 v26, 3, v0
	v_mov_b32_e32 v28, 0
	ds_read_b64 v[26:27], v26 offset:25488
	ds_read_b64 v[28:29], v28 offset:24968
	s_waitcnt lgkmcnt(0)
	v_fma_f64 v[10:11], v[26:27], v[28:29], v[10:11]
.LBB33_936:
	s_or_b64 exec, exec, s[12:13]
	v_xor_b32_e32 v11, 0x80000000, v11
.LBB33_937:
	s_or_b64 exec, exec, s[0:1]
	s_and_saveexec_b64 s[0:1], s[34:35]
; %bb.938:
	ds_write_b64 v13, v[10:11]
; %bb.939:
	s_or_b64 exec, exec, s[0:1]
	s_waitcnt lgkmcnt(0)
	s_barrier
	s_and_saveexec_b64 s[0:1], s[30:31]
	s_cbranch_execz .LBB33_941
; %bb.940:
	v_mov_b32_e32 v26, 0
	ds_read_b64 v[26:27], v26 offset:26008
	ds_read_b64 v[28:29], v13
	s_waitcnt lgkmcnt(0)
	v_fma_f64 v[10:11], v[26:27], v[28:29], v[10:11]
.LBB33_941:
	s_or_b64 exec, exec, s[0:1]
	s_barrier
	s_and_saveexec_b64 s[0:1], s[30:31]
; %bb.942:
	ds_write_b64 v13, v[10:11]
; %bb.943:
	s_or_b64 exec, exec, s[0:1]
	s_waitcnt lgkmcnt(0)
	s_barrier
	s_barrier
	s_and_saveexec_b64 s[0:1], s[2:3]
; %bb.944:
	v_xor_b32_e32 v11, 0x80000000, v11
	ds_write_b64 v12, v[10:11] offset:24976
; %bb.945:
	s_or_b64 exec, exec, s[0:1]
	s_waitcnt lgkmcnt(0)
	s_barrier
	s_barrier
	s_and_saveexec_b64 s[0:1], s[36:37]
	s_cbranch_execz .LBB33_947
; %bb.946:
	v_lshlrev_b32_e32 v26, 3, v0
	s_movk_i32 s10, 0x1f8
	v_mad_u32_u24 v27, v0, s10, v26
	ds_read_b64 v[10:11], v27 offset:24976
	s_waitcnt lgkmcnt(0)
	ds_write_b64 v26, v[10:11] offset:25984
	ds_read_b64 v[10:11], v27 offset:24984
	s_waitcnt lgkmcnt(0)
	ds_write_b64 v26, v[10:11] offset:26496
.LBB33_947:
	s_or_b64 exec, exec, s[0:1]
	s_waitcnt lgkmcnt(0)
	s_barrier
	s_and_saveexec_b64 s[0:1], vcc
	s_cbranch_execz .LBB33_949
; %bb.948:
	v_mov_b32_e32 v28, 0
	ds_read_b64 v[26:27], v28 offset:26008
	v_mov_b32_e32 v29, 0x3ff00000
	ds_write_b64 v28, v[28:29] offset:26000
	s_waitcnt lgkmcnt(1)
	ds_write_b128 v28, v[26:29] offset:26512
.LBB33_949:
	s_or_b64 exec, exec, s[0:1]
	v_mov_b32_e32 v10, 0
	v_mov_b32_e32 v11, 0
	s_waitcnt lgkmcnt(0)
	s_barrier
	s_and_saveexec_b64 s[0:1], s[18:19]
	s_cbranch_execz .LBB33_955
; %bb.950:
	v_mul_u32_u24_e32 v26, 0x208, v20
	ds_read_b64 v[10:11], v16 offset:24992
	ds_read_b64 v[27:28], v26 offset:24960
	v_cmp_gt_u32_e64 s[10:11], 12, v14
	s_waitcnt lgkmcnt(0)
	v_fma_f64 v[10:11], v[10:11], v[27:28], 0
	s_and_saveexec_b64 s[12:13], s[10:11]
	s_cbranch_execnz .LBB33_1210
; %bb.951:
	s_or_b64 exec, exec, s[12:13]
	v_cmp_gt_u32_e64 s[10:11], 8, v14
	s_and_saveexec_b64 s[12:13], s[10:11]
	s_cbranch_execnz .LBB33_1211
.LBB33_952:
	s_or_b64 exec, exec, s[12:13]
	v_cmp_gt_u32_e64 s[10:11], 4, v14
	s_and_saveexec_b64 s[12:13], s[10:11]
	s_cbranch_execz .LBB33_954
.LBB33_953:
	v_lshlrev_b32_e32 v26, 3, v0
	v_mov_b32_e32 v28, 0
	ds_read_b64 v[26:27], v26 offset:26528
	ds_read_b64 v[28:29], v28 offset:24984
	s_waitcnt lgkmcnt(0)
	v_fma_f64 v[10:11], v[26:27], v[28:29], v[10:11]
.LBB33_954:
	s_or_b64 exec, exec, s[12:13]
	v_xor_b32_e32 v11, 0x80000000, v11
.LBB33_955:
	s_or_b64 exec, exec, s[0:1]
	s_and_saveexec_b64 s[0:1], s[42:43]
; %bb.956:
	ds_write_b64 v18, v[10:11]
; %bb.957:
	s_or_b64 exec, exec, s[0:1]
	s_waitcnt lgkmcnt(0)
	s_barrier
	s_and_saveexec_b64 s[0:1], s[44:45]
	s_cbranch_execz .LBB33_959
; %bb.958:
	ds_read_b64 v[26:27], v17 offset:27040
	ds_read_b64 v[28:29], v18
	s_waitcnt lgkmcnt(0)
	v_fma_f64 v[10:11], v[26:27], v[28:29], v[10:11]
.LBB33_959:
	s_or_b64 exec, exec, s[0:1]
	s_barrier
	s_and_saveexec_b64 s[0:1], s[52:53]
; %bb.960:
	ds_write_b64 v18, v[10:11]
; %bb.961:
	s_or_b64 exec, exec, s[0:1]
	s_waitcnt lgkmcnt(0)
	s_barrier
	s_and_saveexec_b64 s[0:1], s[54:55]
	s_cbranch_execz .LBB33_963
; %bb.962:
	ds_read_b64 v[26:27], v17 offset:27552
	ds_read_b64 v[28:29], v18
	s_waitcnt lgkmcnt(0)
	v_fma_f64 v[10:11], v[26:27], v[28:29], v[10:11]
.LBB33_963:
	s_or_b64 exec, exec, s[0:1]
	s_barrier
	s_and_saveexec_b64 s[0:1], s[56:57]
; %bb.964:
	ds_write_b64 v18, v[10:11]
; %bb.965:
	s_or_b64 exec, exec, s[0:1]
	s_waitcnt lgkmcnt(0)
	s_barrier
	s_and_saveexec_b64 s[0:1], s[38:39]
	s_cbranch_execz .LBB33_967
; %bb.966:
	v_mov_b32_e32 v26, 0
	ds_read_b64 v[26:27], v26 offset:28088
	ds_read_b64 v[28:29], v18
	s_waitcnt lgkmcnt(0)
	v_fma_f64 v[10:11], v[26:27], v[28:29], v[10:11]
.LBB33_967:
	s_or_b64 exec, exec, s[0:1]
	s_barrier
	s_and_saveexec_b64 s[0:1], s[38:39]
; %bb.968:
	ds_write_b64 v18, v[10:11]
; %bb.969:
	s_or_b64 exec, exec, s[0:1]
	s_waitcnt lgkmcnt(0)
	s_barrier
	s_barrier
	s_and_saveexec_b64 s[0:1], s[18:19]
; %bb.970:
	v_xor_b32_e32 v11, 0x80000000, v11
	ds_write_b64 v16, v[10:11] offset:24992
; %bb.971:
	s_or_b64 exec, exec, s[0:1]
	s_waitcnt lgkmcnt(0)
	s_barrier
	s_barrier
	s_and_saveexec_b64 s[0:1], s[58:59]
	s_cbranch_execz .LBB33_973
; %bb.972:
	v_lshlrev_b32_e32 v26, 9, v0
	ds_read_b64 v[10:11], v26 offset:24992
	s_movk_i32 s10, 0xfe08
	v_mad_i32_i24 v27, v0, s10, v26
	s_waitcnt lgkmcnt(0)
	ds_write_b64 v27, v[10:11] offset:27008
	ds_read_b64 v[10:11], v26 offset:25000
	s_waitcnt lgkmcnt(0)
	ds_write_b64 v27, v[10:11] offset:27520
	ds_read_b64 v[10:11], v26 offset:25008
	;; [unrolled: 3-line block ×3, first 2 shown]
	s_waitcnt lgkmcnt(0)
	ds_write_b64 v27, v[10:11] offset:28544
.LBB33_973:
	s_or_b64 exec, exec, s[0:1]
	s_waitcnt lgkmcnt(0)
	s_barrier
	s_and_saveexec_b64 s[0:1], vcc
	s_cbranch_execz .LBB33_975
; %bb.974:
	v_mov_b32_e32 v28, 0
	ds_read_b64 v[26:27], v28 offset:27048
	v_mov_b32_e32 v29, 0x3ff00000
	ds_write_b64 v28, v[28:29] offset:27040
	s_waitcnt lgkmcnt(1)
	ds_write_b128 v28, v[26:29] offset:27552
.LBB33_975:
	s_or_b64 exec, exec, s[0:1]
	v_mov_b32_e32 v10, 0
	v_mov_b32_e32 v11, 0
	s_waitcnt lgkmcnt(0)
	s_barrier
	s_and_saveexec_b64 s[0:1], s[2:3]
	s_cbranch_execz .LBB33_979
; %bb.976:
	v_mul_u32_u24_e32 v26, 0x208, v15
	ds_read_b64 v[10:11], v12 offset:27056
	ds_read_b64 v[26:27], v26 offset:27040
	v_cmp_gt_u32_e64 s[10:11], 2, v14
	s_waitcnt lgkmcnt(0)
	v_fma_f64 v[10:11], v[10:11], v[26:27], 0
	s_and_saveexec_b64 s[12:13], s[10:11]
	s_cbranch_execz .LBB33_978
; %bb.977:
	v_lshlrev_b32_e32 v26, 3, v0
	v_mov_b32_e32 v28, 0
	ds_read_b64 v[26:27], v26 offset:27568
	ds_read_b64 v[28:29], v28 offset:27048
	s_waitcnt lgkmcnt(0)
	v_fma_f64 v[10:11], v[26:27], v[28:29], v[10:11]
.LBB33_978:
	s_or_b64 exec, exec, s[12:13]
	v_xor_b32_e32 v11, 0x80000000, v11
.LBB33_979:
	s_or_b64 exec, exec, s[0:1]
	s_and_saveexec_b64 s[0:1], s[34:35]
; %bb.980:
	ds_write_b64 v13, v[10:11]
; %bb.981:
	s_or_b64 exec, exec, s[0:1]
	s_waitcnt lgkmcnt(0)
	s_barrier
	s_and_saveexec_b64 s[0:1], s[30:31]
	s_cbranch_execz .LBB33_983
; %bb.982:
	v_mov_b32_e32 v26, 0
	ds_read_b64 v[26:27], v26 offset:28088
	ds_read_b64 v[28:29], v13
	s_waitcnt lgkmcnt(0)
	v_fma_f64 v[10:11], v[26:27], v[28:29], v[10:11]
.LBB33_983:
	s_or_b64 exec, exec, s[0:1]
	s_barrier
	s_and_saveexec_b64 s[0:1], s[30:31]
; %bb.984:
	ds_write_b64 v13, v[10:11]
; %bb.985:
	s_or_b64 exec, exec, s[0:1]
	s_waitcnt lgkmcnt(0)
	s_barrier
	s_barrier
	s_and_saveexec_b64 s[0:1], s[2:3]
; %bb.986:
	v_xor_b32_e32 v11, 0x80000000, v11
	ds_write_b64 v12, v[10:11] offset:27056
; %bb.987:
	s_or_b64 exec, exec, s[0:1]
	s_waitcnt lgkmcnt(0)
	s_barrier
	s_barrier
	s_and_saveexec_b64 s[0:1], s[36:37]
	s_cbranch_execz .LBB33_989
; %bb.988:
	v_lshlrev_b32_e32 v26, 3, v0
	s_movk_i32 s10, 0x1f8
	v_mad_u32_u24 v27, v0, s10, v26
	ds_read_b64 v[10:11], v27 offset:27056
	s_waitcnt lgkmcnt(0)
	ds_write_b64 v26, v[10:11] offset:28064
	ds_read_b64 v[10:11], v27 offset:27064
	s_waitcnt lgkmcnt(0)
	ds_write_b64 v26, v[10:11] offset:28576
.LBB33_989:
	s_or_b64 exec, exec, s[0:1]
	s_waitcnt lgkmcnt(0)
	s_barrier
	s_and_saveexec_b64 s[0:1], vcc
	s_cbranch_execz .LBB33_991
; %bb.990:
	v_mov_b32_e32 v28, 0
	ds_read_b64 v[26:27], v28 offset:28088
	v_mov_b32_e32 v29, 0x3ff00000
	ds_write_b64 v28, v[28:29] offset:28080
	s_waitcnt lgkmcnt(1)
	ds_write_b128 v28, v[26:29] offset:28592
.LBB33_991:
	s_or_b64 exec, exec, s[0:1]
	v_mov_b32_e32 v10, 0
	v_mov_b32_e32 v11, 0
	s_waitcnt lgkmcnt(0)
	s_barrier
	s_and_saveexec_b64 s[0:1], s[8:9]
	s_cbranch_execz .LBB33_1001
; %bb.992:
	v_mul_u32_u24_e32 v26, 0x208, v25
	ds_read_b64 v[10:11], v21 offset:25024
	ds_read_b64 v[27:28], v26 offset:24960
	v_cmp_gt_u32_e64 s[10:11], 56, v14
	s_waitcnt lgkmcnt(0)
	v_fma_f64 v[10:11], v[10:11], v[27:28], 0
	s_and_saveexec_b64 s[12:13], s[10:11]
	s_cbranch_execnz .LBB33_1212
; %bb.993:
	s_or_b64 exec, exec, s[12:13]
	v_cmp_gt_u32_e64 s[10:11], 48, v14
	s_and_saveexec_b64 s[12:13], s[10:11]
	s_cbranch_execnz .LBB33_1213
.LBB33_994:
	s_or_b64 exec, exec, s[12:13]
	v_cmp_gt_u32_e64 s[10:11], 40, v14
	s_and_saveexec_b64 s[12:13], s[10:11]
	s_cbranch_execnz .LBB33_1214
.LBB33_995:
	s_or_b64 exec, exec, s[12:13]
	v_cmp_gt_u32_e64 s[10:11], 32, v14
	s_and_saveexec_b64 s[12:13], s[10:11]
	s_cbranch_execnz .LBB33_1215
.LBB33_996:
	s_or_b64 exec, exec, s[12:13]
	v_cmp_gt_u32_e64 s[10:11], 24, v14
	s_and_saveexec_b64 s[12:13], s[10:11]
	s_cbranch_execnz .LBB33_1216
.LBB33_997:
	s_or_b64 exec, exec, s[12:13]
	v_cmp_gt_u32_e64 s[10:11], 16, v14
	s_and_saveexec_b64 s[12:13], s[10:11]
	s_cbranch_execnz .LBB33_1217
.LBB33_998:
	s_or_b64 exec, exec, s[12:13]
	v_cmp_gt_u32_e64 s[10:11], 8, v14
	s_and_saveexec_b64 s[12:13], s[10:11]
	s_cbranch_execz .LBB33_1000
.LBB33_999:
	v_lshlrev_b32_e32 v24, 3, v0
	v_mov_b32_e32 v26, 0
	ds_read_b64 v[24:25], v24 offset:28608
	ds_read_b64 v[26:27], v26 offset:25016
	s_waitcnt lgkmcnt(0)
	v_fma_f64 v[10:11], v[24:25], v[26:27], v[10:11]
.LBB33_1000:
	s_or_b64 exec, exec, s[12:13]
	v_xor_b32_e32 v11, 0x80000000, v11
.LBB33_1001:
	s_or_b64 exec, exec, s[0:1]
	s_and_saveexec_b64 s[0:1], s[60:61]
; %bb.1002:
	ds_write_b64 v23, v[10:11]
; %bb.1003:
	s_or_b64 exec, exec, s[0:1]
	s_waitcnt lgkmcnt(0)
	s_barrier
	s_and_saveexec_b64 s[0:1], s[62:63]
	s_cbranch_execz .LBB33_1005
; %bb.1004:
	ds_read_b64 v[24:25], v22 offset:29120
	ds_read_b64 v[26:27], v23
	s_waitcnt lgkmcnt(0)
	v_fma_f64 v[10:11], v[24:25], v[26:27], v[10:11]
.LBB33_1005:
	s_or_b64 exec, exec, s[0:1]
	s_barrier
	s_and_saveexec_b64 s[0:1], s[64:65]
; %bb.1006:
	ds_write_b64 v23, v[10:11]
; %bb.1007:
	s_or_b64 exec, exec, s[0:1]
	s_waitcnt lgkmcnt(0)
	s_barrier
	s_and_saveexec_b64 s[0:1], s[66:67]
	s_cbranch_execz .LBB33_1009
; %bb.1008:
	ds_read_b64 v[24:25], v22 offset:29632
	ds_read_b64 v[26:27], v23
	s_waitcnt lgkmcnt(0)
	v_fma_f64 v[10:11], v[24:25], v[26:27], v[10:11]
.LBB33_1009:
	s_or_b64 exec, exec, s[0:1]
	s_barrier
	;; [unrolled: 17-line block ×6, first 2 shown]
	s_and_saveexec_b64 s[0:1], s[86:87]
; %bb.1026:
	ds_write_b64 v23, v[10:11]
; %bb.1027:
	s_or_b64 exec, exec, s[0:1]
	s_waitcnt lgkmcnt(0)
	s_barrier
	s_and_saveexec_b64 s[0:1], s[70:71]
	s_cbranch_execz .LBB33_1029
; %bb.1028:
	v_mov_b32_e32 v22, 0
	ds_read_b64 v[24:25], v22 offset:32248
	ds_read_b64 v[26:27], v23
	s_waitcnt lgkmcnt(0)
	v_fma_f64 v[10:11], v[24:25], v[26:27], v[10:11]
.LBB33_1029:
	s_or_b64 exec, exec, s[0:1]
	s_barrier
	s_and_saveexec_b64 s[0:1], s[70:71]
; %bb.1030:
	ds_write_b64 v23, v[10:11]
; %bb.1031:
	s_or_b64 exec, exec, s[0:1]
	s_waitcnt lgkmcnt(0)
	s_barrier
	s_barrier
	s_and_saveexec_b64 s[0:1], s[8:9]
; %bb.1032:
	v_xor_b32_e32 v11, 0x80000000, v11
	ds_write_b64 v21, v[10:11] offset:25024
; %bb.1033:
	s_or_b64 exec, exec, s[0:1]
	s_waitcnt lgkmcnt(0)
	s_barrier
	s_barrier
	s_and_saveexec_b64 s[0:1], s[88:89]
	s_cbranch_execz .LBB33_1035
; %bb.1034:
	v_lshlrev_b32_e32 v21, 9, v0
	ds_read_b64 v[10:11], v21 offset:25024
	s_movk_i32 s8, 0xfe08
	v_mad_i32_i24 v22, v0, s8, v21
	s_waitcnt lgkmcnt(0)
	ds_write_b64 v22, v[10:11] offset:29056
	ds_read_b64 v[10:11], v21 offset:25032
	s_waitcnt lgkmcnt(0)
	ds_write_b64 v22, v[10:11] offset:29568
	ds_read_b64 v[10:11], v21 offset:25040
	;; [unrolled: 3-line block ×7, first 2 shown]
	s_waitcnt lgkmcnt(0)
	ds_write_b64 v22, v[10:11] offset:32640
.LBB33_1035:
	s_or_b64 exec, exec, s[0:1]
	s_waitcnt lgkmcnt(0)
	s_barrier
	s_and_saveexec_b64 s[0:1], vcc
	s_cbranch_execz .LBB33_1037
; %bb.1036:
	v_mov_b32_e32 v23, 0
	ds_read_b64 v[21:22], v23 offset:29128
	v_mov_b32_e32 v24, 0x3ff00000
	ds_write_b64 v23, v[23:24] offset:29120
	s_waitcnt lgkmcnt(1)
	ds_write_b128 v23, v[21:24] offset:29632
.LBB33_1037:
	s_or_b64 exec, exec, s[0:1]
	v_mov_b32_e32 v10, 0
	v_mov_b32_e32 v11, 0
	s_waitcnt lgkmcnt(0)
	s_barrier
	s_and_saveexec_b64 s[0:1], s[2:3]
	s_cbranch_execz .LBB33_1041
; %bb.1038:
	v_mul_u32_u24_e32 v21, 0x208, v15
	ds_read_b64 v[10:11], v12 offset:29136
	ds_read_b64 v[21:22], v21 offset:29120
	v_cmp_gt_u32_e64 s[8:9], 2, v14
	s_waitcnt lgkmcnt(0)
	v_fma_f64 v[10:11], v[10:11], v[21:22], 0
	s_and_saveexec_b64 s[10:11], s[8:9]
	s_cbranch_execz .LBB33_1040
; %bb.1039:
	v_lshlrev_b32_e32 v21, 3, v0
	v_mov_b32_e32 v23, 0
	ds_read_b64 v[21:22], v21 offset:29648
	ds_read_b64 v[23:24], v23 offset:29128
	s_waitcnt lgkmcnt(0)
	v_fma_f64 v[10:11], v[21:22], v[23:24], v[10:11]
.LBB33_1040:
	s_or_b64 exec, exec, s[10:11]
	v_xor_b32_e32 v11, 0x80000000, v11
.LBB33_1041:
	s_or_b64 exec, exec, s[0:1]
	s_and_saveexec_b64 s[0:1], s[34:35]
; %bb.1042:
	ds_write_b64 v13, v[10:11]
; %bb.1043:
	s_or_b64 exec, exec, s[0:1]
	s_waitcnt lgkmcnt(0)
	s_barrier
	s_and_saveexec_b64 s[0:1], s[30:31]
	s_cbranch_execz .LBB33_1045
; %bb.1044:
	v_mov_b32_e32 v21, 0
	ds_read_b64 v[21:22], v21 offset:30168
	ds_read_b64 v[23:24], v13
	s_waitcnt lgkmcnt(0)
	v_fma_f64 v[10:11], v[21:22], v[23:24], v[10:11]
.LBB33_1045:
	s_or_b64 exec, exec, s[0:1]
	s_barrier
	s_and_saveexec_b64 s[0:1], s[30:31]
; %bb.1046:
	ds_write_b64 v13, v[10:11]
; %bb.1047:
	s_or_b64 exec, exec, s[0:1]
	s_waitcnt lgkmcnt(0)
	s_barrier
	s_barrier
	s_and_saveexec_b64 s[0:1], s[2:3]
; %bb.1048:
	v_xor_b32_e32 v11, 0x80000000, v11
	ds_write_b64 v12, v[10:11] offset:29136
; %bb.1049:
	s_or_b64 exec, exec, s[0:1]
	s_waitcnt lgkmcnt(0)
	s_barrier
	s_barrier
	s_and_saveexec_b64 s[0:1], s[36:37]
	s_cbranch_execz .LBB33_1051
; %bb.1050:
	v_lshlrev_b32_e32 v21, 3, v0
	s_movk_i32 s8, 0x1f8
	v_mad_u32_u24 v22, v0, s8, v21
	ds_read_b64 v[10:11], v22 offset:29136
	s_waitcnt lgkmcnt(0)
	ds_write_b64 v21, v[10:11] offset:30144
	ds_read_b64 v[10:11], v22 offset:29144
	s_waitcnt lgkmcnt(0)
	ds_write_b64 v21, v[10:11] offset:30656
.LBB33_1051:
	s_or_b64 exec, exec, s[0:1]
	s_waitcnt lgkmcnt(0)
	s_barrier
	s_and_saveexec_b64 s[0:1], vcc
	s_cbranch_execz .LBB33_1053
; %bb.1052:
	v_mov_b32_e32 v23, 0
	ds_read_b64 v[21:22], v23 offset:30168
	v_mov_b32_e32 v24, 0x3ff00000
	ds_write_b64 v23, v[23:24] offset:30160
	s_waitcnt lgkmcnt(1)
	ds_write_b128 v23, v[21:24] offset:30672
.LBB33_1053:
	s_or_b64 exec, exec, s[0:1]
	v_mov_b32_e32 v10, 0
	v_mov_b32_e32 v11, 0
	s_waitcnt lgkmcnt(0)
	s_barrier
	s_and_saveexec_b64 s[0:1], s[18:19]
	s_cbranch_execz .LBB33_1059
; %bb.1054:
	v_mul_u32_u24_e32 v21, 0x208, v20
	ds_read_b64 v[10:11], v16 offset:29152
	ds_read_b64 v[22:23], v21 offset:29120
	v_cmp_gt_u32_e64 s[8:9], 12, v14
	s_waitcnt lgkmcnt(0)
	v_fma_f64 v[10:11], v[10:11], v[22:23], 0
	s_and_saveexec_b64 s[10:11], s[8:9]
	s_cbranch_execnz .LBB33_1218
; %bb.1055:
	s_or_b64 exec, exec, s[10:11]
	v_cmp_gt_u32_e64 s[8:9], 8, v14
	s_and_saveexec_b64 s[10:11], s[8:9]
	s_cbranch_execnz .LBB33_1219
.LBB33_1056:
	s_or_b64 exec, exec, s[10:11]
	v_cmp_gt_u32_e64 s[8:9], 4, v14
	s_and_saveexec_b64 s[10:11], s[8:9]
	s_cbranch_execz .LBB33_1058
.LBB33_1057:
	v_lshlrev_b32_e32 v19, 3, v0
	v_mov_b32_e32 v21, 0
	ds_read_b64 v[19:20], v19 offset:30688
	ds_read_b64 v[21:22], v21 offset:29144
	s_waitcnt lgkmcnt(0)
	v_fma_f64 v[10:11], v[19:20], v[21:22], v[10:11]
.LBB33_1058:
	s_or_b64 exec, exec, s[10:11]
	v_xor_b32_e32 v11, 0x80000000, v11
.LBB33_1059:
	s_or_b64 exec, exec, s[0:1]
	s_and_saveexec_b64 s[0:1], s[42:43]
; %bb.1060:
	ds_write_b64 v18, v[10:11]
; %bb.1061:
	s_or_b64 exec, exec, s[0:1]
	s_waitcnt lgkmcnt(0)
	s_barrier
	s_and_saveexec_b64 s[0:1], s[44:45]
	v_readlane_b32 s42, v40, 2
	v_readlane_b32 s43, v40, 3
	s_cbranch_execz .LBB33_1063
; %bb.1062:
	ds_read_b64 v[19:20], v17 offset:31200
	ds_read_b64 v[21:22], v18
	s_waitcnt lgkmcnt(0)
	v_fma_f64 v[10:11], v[19:20], v[21:22], v[10:11]
.LBB33_1063:
	s_or_b64 exec, exec, s[0:1]
	s_barrier
	s_and_saveexec_b64 s[0:1], s[52:53]
; %bb.1064:
	ds_write_b64 v18, v[10:11]
; %bb.1065:
	s_or_b64 exec, exec, s[0:1]
	s_waitcnt lgkmcnt(0)
	s_barrier
	s_and_saveexec_b64 s[0:1], s[54:55]
	s_cbranch_execz .LBB33_1067
; %bb.1066:
	ds_read_b64 v[19:20], v17 offset:31712
	ds_read_b64 v[21:22], v18
	s_waitcnt lgkmcnt(0)
	v_fma_f64 v[10:11], v[19:20], v[21:22], v[10:11]
.LBB33_1067:
	s_or_b64 exec, exec, s[0:1]
	s_barrier
	s_and_saveexec_b64 s[0:1], s[56:57]
; %bb.1068:
	ds_write_b64 v18, v[10:11]
; %bb.1069:
	s_or_b64 exec, exec, s[0:1]
	s_waitcnt lgkmcnt(0)
	s_barrier
	s_and_saveexec_b64 s[0:1], s[38:39]
	s_cbranch_execz .LBB33_1071
; %bb.1070:
	v_mov_b32_e32 v17, 0
	ds_read_b64 v[19:20], v17 offset:32248
	ds_read_b64 v[21:22], v18
	s_waitcnt lgkmcnt(0)
	v_fma_f64 v[10:11], v[19:20], v[21:22], v[10:11]
.LBB33_1071:
	s_or_b64 exec, exec, s[0:1]
	s_barrier
	s_and_saveexec_b64 s[0:1], s[38:39]
; %bb.1072:
	ds_write_b64 v18, v[10:11]
; %bb.1073:
	s_or_b64 exec, exec, s[0:1]
	s_waitcnt lgkmcnt(0)
	s_barrier
	s_barrier
	s_and_saveexec_b64 s[0:1], s[18:19]
; %bb.1074:
	v_xor_b32_e32 v11, 0x80000000, v11
	ds_write_b64 v16, v[10:11] offset:29152
; %bb.1075:
	s_or_b64 exec, exec, s[0:1]
	s_waitcnt lgkmcnt(0)
	s_barrier
	s_barrier
	s_and_saveexec_b64 s[0:1], s[58:59]
	s_cbranch_execz .LBB33_1077
; %bb.1076:
	v_lshlrev_b32_e32 v16, 9, v0
	ds_read_b64 v[10:11], v16 offset:29152
	s_movk_i32 s8, 0xfe08
	v_mad_i32_i24 v17, v0, s8, v16
	s_waitcnt lgkmcnt(0)
	ds_write_b64 v17, v[10:11] offset:31168
	ds_read_b64 v[10:11], v16 offset:29160
	s_waitcnt lgkmcnt(0)
	ds_write_b64 v17, v[10:11] offset:31680
	ds_read_b64 v[10:11], v16 offset:29168
	;; [unrolled: 3-line block ×3, first 2 shown]
	s_waitcnt lgkmcnt(0)
	ds_write_b64 v17, v[10:11] offset:32704
.LBB33_1077:
	s_or_b64 exec, exec, s[0:1]
	s_waitcnt lgkmcnt(0)
	s_barrier
	s_and_saveexec_b64 s[0:1], vcc
	s_cbranch_execz .LBB33_1079
; %bb.1078:
	v_mov_b32_e32 v18, 0
	ds_read_b64 v[16:17], v18 offset:31208
	v_mov_b32_e32 v19, 0x3ff00000
	ds_write_b64 v18, v[18:19] offset:31200
	s_waitcnt lgkmcnt(1)
	ds_write_b128 v18, v[16:19] offset:31712
.LBB33_1079:
	s_or_b64 exec, exec, s[0:1]
	v_mov_b32_e32 v10, 0
	v_mov_b32_e32 v11, 0
	s_waitcnt lgkmcnt(0)
	s_barrier
	s_and_saveexec_b64 s[0:1], s[2:3]
	s_cbranch_execz .LBB33_1083
; %bb.1080:
	v_mul_u32_u24_e32 v15, 0x208, v15
	ds_read_b64 v[10:11], v12 offset:31216
	ds_read_b64 v[15:16], v15 offset:31200
	v_cmp_gt_u32_e64 s[8:9], 2, v14
	s_waitcnt lgkmcnt(0)
	v_fma_f64 v[10:11], v[10:11], v[15:16], 0
	s_and_saveexec_b64 s[10:11], s[8:9]
	s_cbranch_execz .LBB33_1082
; %bb.1081:
	v_lshlrev_b32_e32 v14, 3, v0
	v_mov_b32_e32 v16, 0
	ds_read_b64 v[14:15], v14 offset:31728
	ds_read_b64 v[16:17], v16 offset:31208
	s_waitcnt lgkmcnt(0)
	v_fma_f64 v[10:11], v[14:15], v[16:17], v[10:11]
.LBB33_1082:
	s_or_b64 exec, exec, s[10:11]
	v_xor_b32_e32 v11, 0x80000000, v11
.LBB33_1083:
	s_or_b64 exec, exec, s[0:1]
	s_and_saveexec_b64 s[0:1], s[34:35]
; %bb.1084:
	ds_write_b64 v13, v[10:11]
; %bb.1085:
	s_or_b64 exec, exec, s[0:1]
	s_waitcnt lgkmcnt(0)
	s_barrier
	s_and_saveexec_b64 s[0:1], s[30:31]
	v_readlane_b32 s18, v40, 0
	v_readlane_b32 s19, v40, 1
	s_cbranch_execz .LBB33_1087
; %bb.1086:
	v_mov_b32_e32 v14, 0
	ds_read_b64 v[14:15], v14 offset:32248
	ds_read_b64 v[16:17], v13
	s_waitcnt lgkmcnt(0)
	v_fma_f64 v[10:11], v[14:15], v[16:17], v[10:11]
.LBB33_1087:
	s_or_b64 exec, exec, s[0:1]
	s_barrier
	s_and_saveexec_b64 s[0:1], s[30:31]
; %bb.1088:
	ds_write_b64 v13, v[10:11]
; %bb.1089:
	s_or_b64 exec, exec, s[0:1]
	s_waitcnt lgkmcnt(0)
	s_barrier
	s_barrier
	s_and_saveexec_b64 s[0:1], s[2:3]
; %bb.1090:
	v_xor_b32_e32 v11, 0x80000000, v11
	ds_write_b64 v12, v[10:11] offset:31216
; %bb.1091:
	s_or_b64 exec, exec, s[0:1]
	s_waitcnt lgkmcnt(0)
	s_barrier
	s_barrier
	s_and_saveexec_b64 s[0:1], s[36:37]
	s_cbranch_execz .LBB33_1093
; %bb.1092:
	v_lshlrev_b32_e32 v12, 3, v0
	s_movk_i32 s2, 0x1f8
	v_mad_u32_u24 v13, v0, s2, v12
	ds_read_b64 v[10:11], v13 offset:31216
	s_waitcnt lgkmcnt(0)
	ds_write_b64 v12, v[10:11] offset:32224
	ds_read_b64 v[10:11], v13 offset:31224
	s_waitcnt lgkmcnt(0)
	ds_write_b64 v12, v[10:11] offset:32736
.LBB33_1093:
	s_or_b64 exec, exec, s[0:1]
	s_waitcnt lgkmcnt(0)
	s_barrier
	s_and_saveexec_b64 s[0:1], vcc
	s_cbranch_execz .LBB33_1095
; %bb.1094:
	v_mov_b32_e32 v12, 0
	ds_read_b64 v[10:11], v12 offset:32248
	v_mov_b32_e32 v13, 0x3ff00000
	ds_write_b64 v12, v[12:13] offset:32240
	s_waitcnt lgkmcnt(1)
	ds_write_b128 v12, v[10:13] offset:32752
.LBB33_1095:
	s_or_b64 exec, exec, s[0:1]
.LBB33_1096:
	s_load_dwordx4 s[12:15], s[4:5], 0x48
	v_cmp_le_i32_e32 vcc, s90, v0
	v_mov_b32_e32 v10, 0
	v_mov_b32_e32 v11, 0
	v_lshl_add_u32 v12, s33, 6, v0
	s_waitcnt lgkmcnt(0)
	s_mul_i32 s1, s13, s22
	s_mul_hi_u32 s2, s12, s22
	s_mul_i32 s0, s12, s22
	s_add_i32 s1, s2, s1
	s_lshl_b64 s[0:1], s[0:1], 3
	s_add_u32 s2, s46, s0
	s_addc_u32 s3, s47, s1
	s_lshl_b64 s[0:1], s[48:49], 3
	s_add_u32 s20, s2, s0
	s_addc_u32 s21, s3, s1
	s_and_b64 s[16:17], vcc, s[26:27]
	v_cmp_eq_u32_e64 s[2:3], 0, v1
	s_xor_b64 s[0:1], s[16:17], -1
	s_and_b64 s[4:5], s[2:3], s[0:1]
	s_barrier
	s_and_saveexec_b64 s[0:1], s[4:5]
	s_cbranch_execz .LBB33_1098
; %bb.1097:
	v_ashrrev_i32_e32 v13, 31, v12
	v_mul_lo_u32 v14, s51, v12
	v_mad_u64_u32 v[10:11], s[4:5], s50, v12, 0
	v_mul_lo_u32 v13, s50, v13
	v_add3_u32 v11, v11, v13, v14
	v_lshlrev_b64 v[10:11], 3, v[10:11]
	v_mov_b32_e32 v13, s21
	v_add_co_u32_e32 v10, vcc, s20, v10
	v_addc_co_u32_e32 v11, vcc, v13, v11, vcc
	global_load_dwordx2 v[10:11], v[10:11], off
	s_waitcnt vmcnt(0)
	v_mul_f64 v[10:11], v[10:11], -s[18:19]
.LBB33_1098:
	s_or_b64 exec, exec, s[0:1]
	s_and_b32 s0, 0xffff, s95
	v_mad_u32_u24 v17, v1, s0, v0
	v_mov_b32_e32 v18, 0
	s_cmp_lt_i32 s6, 1
	v_cmp_eq_u32_e64 s[4:5], 0, v17
	s_cbranch_scc1 .LBB33_1124
; %bb.1099:
	v_ashrrev_i32_e32 v15, 31, v12
	v_mul_lo_u32 v16, s41, v12
	v_mad_u64_u32 v[13:14], s[0:1], s40, v12, 0
	v_mul_lo_u32 v15, s40, v15
	v_cmp_gt_i32_e64 s[8:9], s24, v12
	s_lshl_b64 s[0:1], s[22:23], 2
	s_add_u32 s0, s14, s0
	v_add3_u32 v14, v14, v15, v16
	v_lshlrev_b64 v[12:13], 3, v[13:14]
	v_mov_b32_e32 v15, 0xa000
	v_mov_b32_e32 v14, s94
	v_add_co_u32_e32 v21, vcc, s91, v12
	s_mov_b32 s28, 0
	s_addc_u32 s1, s15, s1
	v_cmp_gt_u32_e64 s[12:13], 64, v17
	v_lshl_add_u32 v19, v17, 3, v15
	v_lshl_or_b32 v20, v1, 3, v15
	s_add_i32 s29, s33, 1
	v_addc_co_u32_e32 v22, vcc, v14, v13, vcc
	v_mov_b32_e32 v23, -1
	s_branch .LBB33_1102
.LBB33_1100:                            ;   in Loop: Header=BB33_1102 Depth=1
	ds_read_b64 v[12:13], v20 offset:384
	s_waitcnt vmcnt(0) lgkmcnt(0)
	v_fma_f64 v[10:11], v[14:15], v[12:13], v[10:11]
.LBB33_1101:                            ;   in Loop: Header=BB33_1102 Depth=1
	s_or_b64 exec, exec, s[18:19]
	s_add_i32 s28, s28, 1
	s_cmp_eq_u32 s28, s6
	s_cbranch_scc1 .LBB33_1124
.LBB33_1102:                            ; =>This Loop Header: Depth=1
                                        ;     Child Loop BB33_1104 Depth 2
	v_cmp_gt_i32_e32 vcc, s28, v23
	s_and_b64 s[18:19], s[4:5], vcc
	s_and_saveexec_b64 s[10:11], s[18:19]
	s_cbranch_execz .LBB33_1105
; %bb.1103:                             ;   in Loop: Header=BB33_1102 Depth=1
	global_load_dword v23, v18, s[0:1]
	s_waitcnt vmcnt(0)
	v_cmp_le_i32_e32 vcc, s28, v23
	s_cbranch_vccnz .LBB33_1105
.LBB33_1104:                            ;   Parent Loop BB33_1102 Depth=1
                                        ; =>  This Inner Loop Header: Depth=2
	buffer_wbinvl1_vol
	global_load_dword v23, v18, s[0:1]
	s_waitcnt vmcnt(0)
	v_cmp_gt_i32_e32 vcc, s28, v23
	s_cbranch_vccnz .LBB33_1104
.LBB33_1105:                            ;   in Loop: Header=BB33_1102 Depth=1
	s_or_b64 exec, exec, s[10:11]
	s_sub_i32 s30, s7, s28
	s_lshl_b32 s31, s30, 6
	buffer_wbinvl1_vol
	s_barrier
	s_and_saveexec_b64 s[10:11], s[12:13]
	s_cbranch_execz .LBB33_1109
; %bb.1106:                             ;   in Loop: Header=BB33_1102 Depth=1
	s_ashr_i32 s18, s31, 31
	v_mov_b32_e32 v13, s18
	v_or_b32_e32 v12, s31, v17
	v_cmp_gt_i64_e32 vcc, s[24:25], v[12:13]
	v_mov_b32_e32 v14, 0
	v_mov_b32_e32 v15, 0
	s_and_saveexec_b64 s[18:19], vcc
	s_cbranch_execz .LBB33_1108
; %bb.1107:                             ;   in Loop: Header=BB33_1102 Depth=1
	v_mul_lo_u32 v14, v13, s50
	v_mul_lo_u32 v15, v12, s51
	v_mad_u64_u32 v[12:13], s[34:35], v12, s50, 0
	v_add3_u32 v13, v13, v15, v14
	v_lshlrev_b64 v[12:13], 3, v[12:13]
	v_mov_b32_e32 v14, s21
	v_add_co_u32_e32 v12, vcc, s20, v12
	v_addc_co_u32_e32 v13, vcc, v14, v13, vcc
	global_load_dwordx2 v[14:15], v[12:13], off
.LBB33_1108:                            ;   in Loop: Header=BB33_1102 Depth=1
	s_or_b64 exec, exec, s[18:19]
	s_waitcnt vmcnt(0)
	ds_write_b64 v19, v[14:15]
.LBB33_1109:                            ;   in Loop: Header=BB33_1102 Depth=1
	s_or_b64 exec, exec, s[10:11]
	v_add_u32_e32 v14, s31, v1
	v_ashrrev_i32_e32 v15, 31, v14
	v_lshlrev_b64 v[12:13], 3, v[14:15]
	s_cmp_lg_u32 s30, s29
	v_add_co_u32_e32 v12, vcc, v21, v12
	s_cselect_b64 s[10:11], -1, 0
	v_addc_co_u32_e32 v13, vcc, v22, v13, vcc
	v_cmp_gt_i32_e32 vcc, s24, v14
	v_cndmask_b32_e64 v15, 0, 1, s[10:11]
	s_and_b64 s[30:31], vcc, s[8:9]
	v_cmp_ne_u32_e64 s[10:11], 1, v15
	s_waitcnt lgkmcnt(0)
	s_barrier
	s_and_saveexec_b64 s[18:19], s[30:31]
	s_cbranch_execz .LBB33_1113
; %bb.1110:                             ;   in Loop: Header=BB33_1102 Depth=1
	v_mov_b32_e32 v16, v5
	s_and_b64 vcc, exec, s[10:11]
	v_mov_b32_e32 v15, v4
	s_cbranch_vccnz .LBB33_1112
; %bb.1111:                             ;   in Loop: Header=BB33_1102 Depth=1
	global_load_dwordx2 v[15:16], v[12:13], off
.LBB33_1112:                            ;   in Loop: Header=BB33_1102 Depth=1
	ds_read_b64 v[24:25], v20
	s_waitcnt vmcnt(0) lgkmcnt(0)
	v_fma_f64 v[10:11], v[15:16], v[24:25], v[10:11]
.LBB33_1113:                            ;   in Loop: Header=BB33_1102 Depth=1
	s_or_b64 exec, exec, s[18:19]
	v_add_u32_e32 v15, 16, v14
	v_cmp_gt_i32_e32 vcc, s24, v15
	s_and_b64 s[30:31], vcc, s[8:9]
	s_and_saveexec_b64 s[18:19], s[30:31]
	s_cbranch_execz .LBB33_1117
; %bb.1114:                             ;   in Loop: Header=BB33_1102 Depth=1
	v_mov_b32_e32 v16, v3
	s_and_b64 vcc, exec, s[10:11]
	v_mov_b32_e32 v15, v2
	s_cbranch_vccnz .LBB33_1116
; %bb.1115:                             ;   in Loop: Header=BB33_1102 Depth=1
	global_load_dwordx2 v[15:16], v[12:13], off offset:128
.LBB33_1116:                            ;   in Loop: Header=BB33_1102 Depth=1
	ds_read_b64 v[24:25], v20 offset:128
	s_waitcnt vmcnt(0) lgkmcnt(0)
	v_fma_f64 v[10:11], v[15:16], v[24:25], v[10:11]
.LBB33_1117:                            ;   in Loop: Header=BB33_1102 Depth=1
	s_or_b64 exec, exec, s[18:19]
	v_add_u32_e32 v15, 32, v14
	v_cmp_gt_i32_e32 vcc, s24, v15
	s_and_b64 s[30:31], vcc, s[8:9]
	s_and_saveexec_b64 s[18:19], s[30:31]
	s_cbranch_execz .LBB33_1121
; %bb.1118:                             ;   in Loop: Header=BB33_1102 Depth=1
	v_mov_b32_e32 v16, v9
	s_and_b64 vcc, exec, s[10:11]
	v_mov_b32_e32 v15, v8
	s_cbranch_vccnz .LBB33_1120
; %bb.1119:                             ;   in Loop: Header=BB33_1102 Depth=1
	global_load_dwordx2 v[15:16], v[12:13], off offset:256
.LBB33_1120:                            ;   in Loop: Header=BB33_1102 Depth=1
	ds_read_b64 v[24:25], v20 offset:256
	s_waitcnt vmcnt(0) lgkmcnt(0)
	v_fma_f64 v[10:11], v[15:16], v[24:25], v[10:11]
.LBB33_1121:                            ;   in Loop: Header=BB33_1102 Depth=1
	s_or_b64 exec, exec, s[18:19]
	v_add_u32_e32 v14, 48, v14
	v_cmp_gt_i32_e32 vcc, s24, v14
	s_and_b64 s[30:31], vcc, s[8:9]
	s_and_saveexec_b64 s[18:19], s[30:31]
	s_cbranch_execz .LBB33_1101
; %bb.1122:                             ;   in Loop: Header=BB33_1102 Depth=1
	v_mov_b32_e32 v15, v7
	s_and_b64 vcc, exec, s[10:11]
	v_mov_b32_e32 v14, v6
	s_cbranch_vccnz .LBB33_1100
; %bb.1123:                             ;   in Loop: Header=BB33_1102 Depth=1
	global_load_dwordx2 v[14:15], v[12:13], off offset:384
	s_branch .LBB33_1100
.LBB33_1124:
	v_lshl_add_u32 v2, v1, 6, v0
	s_xor_b64 s[0:1], s[26:27], -1
	v_lshlrev_b32_e32 v4, 3, v2
	ds_write_b64 v4, v[10:11] offset:32768
	s_waitcnt lgkmcnt(0)
	s_barrier
	s_and_saveexec_b64 s[4:5], s[2:3]
	s_cbranch_execz .LBB33_1126
; %bb.1125:
	v_lshlrev_b32_e32 v15, 3, v0
	ds_read2st64_b64 v[5:8], v15 offset0:65 offset1:66
	ds_read_b64 v[2:3], v15 offset:40448
	s_waitcnt lgkmcnt(1)
	v_add_f64 v[5:6], v[10:11], v[5:6]
	v_add_f64 v[13:14], v[5:6], v[7:8]
	ds_read2st64_b64 v[5:8], v15 offset0:67 offset1:68
	ds_read2st64_b64 v[9:12], v15 offset0:69 offset1:70
	s_waitcnt lgkmcnt(1)
	v_add_f64 v[5:6], v[13:14], v[5:6]
	v_add_f64 v[5:6], v[5:6], v[7:8]
	s_waitcnt lgkmcnt(0)
	v_add_f64 v[5:6], v[5:6], v[9:10]
	v_add_f64 v[13:14], v[5:6], v[11:12]
	ds_read2st64_b64 v[5:8], v15 offset0:71 offset1:72
	ds_read2st64_b64 v[9:12], v15 offset0:73 offset1:74
	s_waitcnt lgkmcnt(1)
	v_add_f64 v[5:6], v[13:14], v[5:6]
	v_add_f64 v[5:6], v[5:6], v[7:8]
	s_waitcnt lgkmcnt(0)
	v_add_f64 v[5:6], v[5:6], v[9:10]
	v_add_f64 v[13:14], v[5:6], v[11:12]
	ds_read2st64_b64 v[5:8], v15 offset0:75 offset1:76
	ds_read2st64_b64 v[9:12], v15 offset0:77 offset1:78
	s_waitcnt lgkmcnt(1)
	v_add_f64 v[5:6], v[13:14], v[5:6]
	v_add_f64 v[5:6], v[5:6], v[7:8]
	s_waitcnt lgkmcnt(0)
	v_add_f64 v[5:6], v[5:6], v[9:10]
	v_add_f64 v[5:6], v[5:6], v[11:12]
	;; [unrolled: 1-line block ×3, first 2 shown]
	v_xor_b32_e32 v3, 0x80000000, v3
	v_cndmask_b32_e64 v11, v3, 0, s[16:17]
	v_cndmask_b32_e64 v10, v2, 0, s[16:17]
.LBB33_1126:
	s_or_b64 exec, exec, s[4:5]
	s_and_b64 vcc, exec, s[42:43]
	s_cbranch_vccnz .LBB33_1140
; %bb.1127:
	v_mov_b32_e32 v2, 0xa000
	v_lshl_or_b32 v5, v1, 3, v2
	s_and_saveexec_b64 s[4:5], s[2:3]
; %bb.1128:
	v_lshl_add_u32 v2, v0, 3, v5
	ds_write_b64 v2, v[10:11]
; %bb.1129:
	s_or_b64 exec, exec, s[4:5]
	v_mov_b32_e32 v2, 0
	v_mov_b32_e32 v3, 0
	v_cmp_le_u32_e32 vcc, v0, v1
	s_waitcnt lgkmcnt(0)
	s_barrier
	s_and_saveexec_b64 s[4:5], vcc
	s_cbranch_execz .LBB33_1131
; %bb.1130:
	ds_read_b64 v[2:3], v4
	ds_read_b64 v[6:7], v5
	s_waitcnt lgkmcnt(0)
	v_fma_f64 v[2:3], v[2:3], v[6:7], 0
.LBB33_1131:
	s_or_b64 exec, exec, s[4:5]
	v_add_u32_e32 v6, 16, v1
	v_cmp_le_u32_e32 vcc, v0, v6
	s_and_saveexec_b64 s[4:5], vcc
	s_cbranch_execz .LBB33_1133
; %bb.1132:
	ds_read_b64 v[6:7], v4 offset:8192
	ds_read_b64 v[8:9], v5 offset:128
	s_waitcnt lgkmcnt(0)
	v_fma_f64 v[2:3], v[6:7], v[8:9], v[2:3]
.LBB33_1133:
	s_or_b64 exec, exec, s[4:5]
	v_add_u32_e32 v6, 32, v1
	v_cmp_le_u32_e32 vcc, v0, v6
	s_and_saveexec_b64 s[4:5], vcc
	s_cbranch_execz .LBB33_1135
; %bb.1134:
	ds_read_b64 v[6:7], v4 offset:16384
	ds_read_b64 v[8:9], v5 offset:256
	s_waitcnt lgkmcnt(0)
	v_fma_f64 v[2:3], v[6:7], v[8:9], v[2:3]
.LBB33_1135:
	s_or_b64 exec, exec, s[4:5]
	v_add_u32_e32 v1, 48, v1
	v_add_u32_e32 v6, 0x8000, v4
	v_cmp_le_u32_e32 vcc, v0, v1
	s_and_saveexec_b64 s[4:5], vcc
	s_cbranch_execz .LBB33_1137
; %bb.1136:
	ds_read_b64 v[7:8], v4 offset:24576
	ds_read_b64 v[4:5], v5 offset:384
	s_waitcnt lgkmcnt(0)
	v_fma_f64 v[2:3], v[7:8], v[4:5], v[2:3]
.LBB33_1137:
	s_or_b64 exec, exec, s[4:5]
	s_mov_b64 s[6:7], 0
	s_mov_b64 s[4:5], 0
	ds_write_b64 v6, v[2:3]
	s_waitcnt lgkmcnt(0)
	s_barrier
                                        ; implicit-def: $vgpr4_vgpr5
	s_and_saveexec_b64 s[8:9], s[2:3]
	s_cbranch_execz .LBB33_1166
; %bb.1138:
	v_lshlrev_b32_e32 v9, 3, v0
	ds_read2st64_b64 v[4:7], v9 offset0:65 offset1:66
	ds_read_b64 v[12:13], v9 offset:40448
	s_mov_b64 s[4:5], exec
	s_waitcnt lgkmcnt(1)
	v_add_f64 v[1:2], v[2:3], v[4:5]
	v_add_f64 v[14:15], v[6:7], v[1:2]
	ds_read2st64_b64 v[1:4], v9 offset0:67 offset1:68
	ds_read2st64_b64 v[5:8], v9 offset0:69 offset1:70
	s_waitcnt lgkmcnt(1)
	v_add_f64 v[1:2], v[1:2], v[14:15]
	v_add_f64 v[1:2], v[3:4], v[1:2]
	s_waitcnt lgkmcnt(0)
	v_add_f64 v[1:2], v[5:6], v[1:2]
	v_add_f64 v[14:15], v[7:8], v[1:2]
	ds_read2st64_b64 v[1:4], v9 offset0:71 offset1:72
	ds_read2st64_b64 v[5:8], v9 offset0:73 offset1:74
	s_waitcnt lgkmcnt(1)
	v_add_f64 v[1:2], v[1:2], v[14:15]
	v_add_f64 v[1:2], v[3:4], v[1:2]
	;; [unrolled: 8-line block ×3, first 2 shown]
	s_waitcnt lgkmcnt(0)
	v_add_f64 v[1:2], v[5:6], v[1:2]
	v_add_f64 v[1:2], v[7:8], v[1:2]
	;; [unrolled: 1-line block ×3, first 2 shown]
	s_or_b64 exec, exec, s[8:9]
	s_and_b64 vcc, exec, s[6:7]
	s_cbranch_vccnz .LBB33_1141
	s_branch .LBB33_1167
.LBB33_1139:
	v_mad_u64_u32 v[12:13], s[2:3], s40, v15, 0
	s_or_b64 s[10:11], s[10:11], exec
	v_mad_u64_u32 v[13:14], s[2:3], s41, v15, v[13:14]
	v_lshlrev_b64 v[12:13], 3, v[12:13]
	v_add_co_u32_e32 v10, vcc, v10, v12
	v_addc_co_u32_e32 v11, vcc, v11, v13, vcc
	global_load_dwordx2 v[12:13], v[10:11], off
	s_waitcnt vmcnt(0)
	v_xor_b32_e32 v13, 0x80000000, v13
	s_or_b64 exec, exec, s[8:9]
	s_xor_b64 s[0:1], s[0:1], -1
	s_and_saveexec_b64 s[2:3], s[10:11]
	s_cbranch_execnz .LBB33_57
	s_branch .LBB33_58
.LBB33_1140:
	s_mov_b64 s[4:5], 0
                                        ; implicit-def: $vgpr4_vgpr5
	s_cbranch_execz .LBB33_1167
.LBB33_1141:
	v_mov_b32_e32 v1, 0x7800
	v_lshl_add_u32 v1, v0, 3, v1
	v_mov_b32_e32 v3, 63
	v_mov_b32_e32 v2, 0
	s_branch .LBB33_1143
.LBB33_1142:                            ;   in Loop: Header=BB33_1143 Depth=1
	s_or_b64 exec, exec, s[6:7]
	v_subrev_co_u32_e32 v3, vcc, 1, v3
	s_andn2_b64 vcc, exec, vcc
	v_add_u32_e32 v1, 0xfffff800, v1
	s_barrier
	s_cbranch_vccz .LBB33_1159
.LBB33_1143:                            ; =>This Inner Loop Header: Depth=1
	v_cmp_eq_u32_e32 vcc, v0, v3
	s_and_b64 s[8:9], s[2:3], vcc
	s_and_saveexec_b64 s[6:7], s[8:9]
; %bb.1144:                             ;   in Loop: Header=BB33_1143 Depth=1
	ds_write_b64 v2, v[10:11] offset:41472
; %bb.1145:                             ;   in Loop: Header=BB33_1143 Depth=1
	s_or_b64 exec, exec, s[6:7]
	v_cmp_lt_u32_e32 vcc, v0, v3
	s_and_b64 s[8:9], s[2:3], vcc
	s_waitcnt lgkmcnt(0)
	s_barrier
	s_and_saveexec_b64 s[6:7], s[8:9]
	s_cbranch_execz .LBB33_1147
; %bb.1146:                             ;   in Loop: Header=BB33_1143 Depth=1
	ds_read_b64 v[4:5], v1 offset:1536
	ds_read_b64 v[6:7], v2 offset:41472
	s_waitcnt lgkmcnt(0)
	v_fma_f64 v[10:11], v[4:5], v[6:7], v[10:11]
.LBB33_1147:                            ;   in Loop: Header=BB33_1143 Depth=1
	s_or_b64 exec, exec, s[6:7]
	v_add_u32_e32 v3, -1, v3
	v_cmp_eq_u32_e32 vcc, v0, v3
	s_and_b64 s[8:9], s[2:3], vcc
	s_barrier
	s_and_saveexec_b64 s[6:7], s[8:9]
; %bb.1148:                             ;   in Loop: Header=BB33_1143 Depth=1
	ds_write_b64 v2, v[10:11] offset:41472
; %bb.1149:                             ;   in Loop: Header=BB33_1143 Depth=1
	s_or_b64 exec, exec, s[6:7]
	v_cmp_lt_u32_e32 vcc, v0, v3
	s_and_b64 s[8:9], s[2:3], vcc
	s_waitcnt lgkmcnt(0)
	s_barrier
	s_and_saveexec_b64 s[6:7], s[8:9]
	s_cbranch_execz .LBB33_1151
; %bb.1150:                             ;   in Loop: Header=BB33_1143 Depth=1
	ds_read_b64 v[4:5], v1 offset:1024
	ds_read_b64 v[6:7], v2 offset:41472
	s_waitcnt lgkmcnt(0)
	v_fma_f64 v[10:11], v[4:5], v[6:7], v[10:11]
.LBB33_1151:                            ;   in Loop: Header=BB33_1143 Depth=1
	s_or_b64 exec, exec, s[6:7]
	v_add_u32_e32 v3, -1, v3
	v_cmp_eq_u32_e32 vcc, v0, v3
	s_and_b64 s[8:9], s[2:3], vcc
	s_barrier
	;; [unrolled: 22-line block ×3, first 2 shown]
	s_and_saveexec_b64 s[6:7], s[8:9]
; %bb.1156:                             ;   in Loop: Header=BB33_1143 Depth=1
	ds_write_b64 v2, v[10:11] offset:41472
; %bb.1157:                             ;   in Loop: Header=BB33_1143 Depth=1
	s_or_b64 exec, exec, s[6:7]
	v_cmp_lt_u32_e32 vcc, v0, v3
	s_and_b64 s[8:9], s[2:3], vcc
	s_waitcnt lgkmcnt(0)
	s_barrier
	s_and_saveexec_b64 s[6:7], s[8:9]
	s_cbranch_execz .LBB33_1142
; %bb.1158:                             ;   in Loop: Header=BB33_1143 Depth=1
	ds_read_b64 v[4:5], v1
	ds_read_b64 v[6:7], v2 offset:41472
	s_waitcnt lgkmcnt(0)
	v_fma_f64 v[10:11], v[4:5], v[6:7], v[10:11]
	s_branch .LBB33_1142
.LBB33_1159:
	s_mov_b64 s[6:7], -1
	s_and_b64 vcc, exec, s[0:1]
	s_cbranch_vccnz .LBB33_1168
; %bb.1160:
	s_andn2_b64 vcc, exec, s[6:7]
	s_cbranch_vccz .LBB33_1169
.LBB33_1161:
	s_and_saveexec_b64 s[0:1], s[4:5]
	s_cbranch_execz .LBB33_1163
.LBB33_1162:
	s_lshl_b32 s2, s33, 6
	s_ashr_i32 s3, s2, 31
	v_mov_b32_e32 v0, s3
	v_add_co_u32_e32 v1, vcc, s2, v17
	v_addc_co_u32_e32 v0, vcc, 0, v0, vcc
	v_mul_lo_u32 v2, v0, s50
	v_mul_lo_u32 v3, v1, s51
	v_mad_u64_u32 v[0:1], s[2:3], v1, s50, 0
	v_add3_u32 v1, v1, v3, v2
	v_lshlrev_b64 v[0:1], 3, v[0:1]
	v_mov_b32_e32 v2, s21
	v_add_co_u32_e32 v0, vcc, s20, v0
	v_addc_co_u32_e32 v1, vcc, v2, v1, vcc
	global_store_dwordx2 v[0:1], v[10:11], off
.LBB33_1163:
	s_or_b64 exec, exec, s[0:1]
	v_cmp_eq_u32_e32 vcc, 0, v17
	s_waitcnt vmcnt(0)
	buffer_wbinvl1_vol
	s_barrier
	s_and_saveexec_b64 s[0:1], vcc
	s_cbranch_execz .LBB33_1165
; %bb.1164:
	s_lshl_b64 s[2:3], s[22:23], 2
	s_add_u32 s2, s14, s2
	s_addc_u32 s3, s15, s3
	v_mov_b32_e32 v0, 0
	global_load_dword v1, v0, s[2:3]
	s_waitcnt vmcnt(0)
	v_add_u32_e32 v1, 1, v1
	global_store_dword v0, v1, s[2:3]
.LBB33_1165:
	s_or_b64 exec, exec, s[0:1]
	s_waitcnt vmcnt(0)
	buffer_wbinvl1_vol
	s_endpgm
.LBB33_1166:
	s_or_b64 exec, exec, s[8:9]
	s_and_b64 vcc, exec, s[6:7]
	s_cbranch_vccnz .LBB33_1141
.LBB33_1167:
	v_mov_b32_e32 v11, v5
	v_mov_b32_e32 v10, v4
	s_and_saveexec_b64 s[0:1], s[4:5]
	s_cbranch_execnz .LBB33_1162
	s_branch .LBB33_1163
.LBB33_1168:
	s_andn2_b64 s[0:1], s[4:5], exec
	s_and_b64 s[4:5], s[2:3], exec
	s_or_b64 s[4:5], s[0:1], s[4:5]
	s_cbranch_execnz .LBB33_1161
.LBB33_1169:
	v_cmp_gt_i32_e32 vcc, s90, v0
	s_and_b64 s[0:1], s[2:3], vcc
	s_andn2_b64 s[2:3], s[4:5], exec
	s_and_b64 s[0:1], s[0:1], exec
	s_or_b64 s[4:5], s[2:3], s[0:1]
	s_and_saveexec_b64 s[0:1], s[4:5]
	s_cbranch_execnz .LBB33_1162
	s_branch .LBB33_1163
.LBB33_1170:
	v_lshlrev_b32_e32 v21, 3, v20
	v_sub_u32_e32 v21, v18, v21
	v_lshl_add_u32 v21, v19, 3, v21
	ds_read_b64 v[21:22], v21 offset:544
	ds_read_b64 v[23:24], v18 offset:8
	s_waitcnt lgkmcnt(0)
	v_fma_f64 v[10:11], v[21:22], v[23:24], v[10:11]
	s_or_b64 exec, exec, s[14:15]
	v_cmp_gt_u32_e64 s[10:11], 8, v14
	s_and_saveexec_b64 s[14:15], s[10:11]
	s_cbranch_execz .LBB33_80
.LBB33_1171:
	ds_read_b64 v[21:22], v16 offset:1056
	ds_read_b64 v[23:24], v18 offset:16
	s_waitcnt lgkmcnt(0)
	v_fma_f64 v[10:11], v[21:22], v[23:24], v[10:11]
	s_or_b64 exec, exec, s[14:15]
	v_cmp_gt_u32_e64 s[10:11], 4, v14
	s_and_saveexec_b64 s[14:15], s[10:11]
	s_cbranch_execnz .LBB33_81
	s_branch .LBB33_82
.LBB33_1172:
	v_lshlrev_b32_e32 v26, 3, v25
	v_sub_u32_e32 v26, v23, v26
	v_lshl_add_u32 v26, v24, 3, v26
	ds_read_b64 v[26:27], v26 offset:576
	ds_read_b64 v[28:29], v23 offset:8
	s_waitcnt lgkmcnt(0)
	v_fma_f64 v[10:11], v[26:27], v[28:29], v[10:11]
	s_or_b64 exec, exec, s[16:17]
	v_cmp_gt_u32_e64 s[14:15], 48, v14
	s_and_saveexec_b64 s[16:17], s[14:15]
	s_cbranch_execz .LBB33_122
.LBB33_1173:
	v_lshlrev_b32_e32 v26, 3, v25
	v_sub_u32_e32 v26, v23, v26
	v_lshl_add_u32 v26, v24, 3, v26
	ds_read_b64 v[26:27], v26 offset:1088
	ds_read_b64 v[28:29], v23 offset:16
	s_waitcnt lgkmcnt(0)
	v_fma_f64 v[10:11], v[26:27], v[28:29], v[10:11]
	s_or_b64 exec, exec, s[16:17]
	v_cmp_gt_u32_e64 s[14:15], 40, v14
	s_and_saveexec_b64 s[16:17], s[14:15]
	s_cbranch_execz .LBB33_123
.LBB33_1174:
	v_lshlrev_b32_e32 v26, 3, v25
	v_sub_u32_e32 v26, v23, v26
	v_lshl_add_u32 v26, v24, 3, v26
	ds_read_b64 v[26:27], v26 offset:1600
	ds_read_b64 v[28:29], v23 offset:24
	s_waitcnt lgkmcnt(0)
	v_fma_f64 v[10:11], v[26:27], v[28:29], v[10:11]
	s_or_b64 exec, exec, s[16:17]
	v_cmp_gt_u32_e64 s[14:15], 32, v14
	s_and_saveexec_b64 s[16:17], s[14:15]
	s_cbranch_execz .LBB33_124
.LBB33_1175:
	ds_read_b64 v[26:27], v21 offset:2112
	ds_read_b64 v[28:29], v23 offset:32
	s_waitcnt lgkmcnt(0)
	v_fma_f64 v[10:11], v[26:27], v[28:29], v[10:11]
	s_or_b64 exec, exec, s[16:17]
	v_cmp_gt_u32_e64 s[14:15], 24, v14
	s_and_saveexec_b64 s[16:17], s[14:15]
	s_cbranch_execz .LBB33_125
.LBB33_1176:
	v_lshlrev_b32_e32 v26, 3, v25
	v_sub_u32_e32 v26, v23, v26
	v_lshl_add_u32 v26, v24, 3, v26
	ds_read_b64 v[26:27], v26 offset:2624
	ds_read_b64 v[28:29], v23 offset:40
	s_waitcnt lgkmcnt(0)
	v_fma_f64 v[10:11], v[26:27], v[28:29], v[10:11]
	s_or_b64 exec, exec, s[16:17]
	v_cmp_gt_u32_e64 s[14:15], 16, v14
	s_and_saveexec_b64 s[16:17], s[14:15]
	s_cbranch_execz .LBB33_126
.LBB33_1177:
	ds_read_b64 v[26:27], v21 offset:3136
	ds_read_b64 v[28:29], v23 offset:48
	s_waitcnt lgkmcnt(0)
	v_fma_f64 v[10:11], v[26:27], v[28:29], v[10:11]
	s_or_b64 exec, exec, s[16:17]
	v_cmp_gt_u32_e64 s[14:15], 8, v14
	s_and_saveexec_b64 s[16:17], s[14:15]
	s_cbranch_execnz .LBB33_127
	s_branch .LBB33_128
.LBB33_1178:
	v_lshlrev_b32_e32 v27, 3, v20
	v_sub_u32_e32 v27, v26, v27
	v_lshl_add_u32 v27, v19, 3, v27
	ds_read_b64 v[27:28], v27 offset:4704
	ds_read_b64 v[29:30], v26 offset:4168
	s_waitcnt lgkmcnt(0)
	v_fma_f64 v[10:11], v[27:28], v[29:30], v[10:11]
	s_or_b64 exec, exec, s[14:15]
	v_cmp_gt_u32_e64 s[10:11], 8, v14
	s_and_saveexec_b64 s[14:15], s[10:11]
	s_cbranch_execz .LBB33_184
.LBB33_1179:
	ds_read_b64 v[27:28], v16 offset:5216
	ds_read_b64 v[29:30], v26 offset:4176
	s_waitcnt lgkmcnt(0)
	v_fma_f64 v[10:11], v[27:28], v[29:30], v[10:11]
	s_or_b64 exec, exec, s[14:15]
	v_cmp_gt_u32_e64 s[10:11], 4, v14
	s_and_saveexec_b64 s[14:15], s[10:11]
	s_cbranch_execnz .LBB33_185
	s_branch .LBB33_186
.LBB33_1180:
	v_lshlrev_b32_e32 v31, 3, v27
	v_lshl_add_u32 v31, v29, 3, v31
	ds_read_b64 v[31:32], v31 offset:5760
	ds_read_b64 v[33:34], v28 offset:88
	s_waitcnt lgkmcnt(0)
	v_fma_f64 v[10:11], v[31:32], v[33:34], v[10:11]
	s_or_b64 exec, exec, s[20:21]
	v_cmp_gt_u32_e64 s[16:17], 64, v14
	s_and_saveexec_b64 s[20:21], s[16:17]
	s_cbranch_execz .LBB33_246
.LBB33_1181:
	ds_read_b64 v[31:32], v26 offset:6272
	ds_read_b64 v[33:34], v28 offset:96
	s_waitcnt lgkmcnt(0)
	v_fma_f64 v[10:11], v[31:32], v[33:34], v[10:11]
	s_or_b64 exec, exec, s[20:21]
	v_cmp_gt_u32_e64 s[16:17], 48, v14
	s_and_saveexec_b64 s[20:21], s[16:17]
	s_cbranch_execz .LBB33_247
.LBB33_1182:
	v_lshlrev_b32_e32 v31, 3, v27
	v_lshl_add_u32 v31, v29, 3, v31
	ds_read_b64 v[31:32], v31 offset:6784
	ds_read_b64 v[33:34], v28 offset:104
	s_waitcnt lgkmcnt(0)
	v_fma_f64 v[10:11], v[31:32], v[33:34], v[10:11]
	s_or_b64 exec, exec, s[20:21]
	v_cmp_gt_u32_e64 s[16:17], 32, v14
	s_and_saveexec_b64 s[20:21], s[16:17]
	s_cbranch_execz .LBB33_248
.LBB33_1183:
	ds_read_b64 v[31:32], v26 offset:7296
	ds_read_b64 v[33:34], v28 offset:112
	s_waitcnt lgkmcnt(0)
	v_fma_f64 v[10:11], v[31:32], v[33:34], v[10:11]
	s_or_b64 exec, exec, s[20:21]
	v_cmp_gt_u32_e64 s[16:17], 16, v14
	s_and_saveexec_b64 s[20:21], s[16:17]
	s_cbranch_execnz .LBB33_249
	s_branch .LBB33_250
.LBB33_1184:
	v_lshlrev_b32_e32 v32, 3, v20
	v_sub_u32_e32 v32, v31, v32
	v_lshl_add_u32 v32, v19, 3, v32
	ds_read_b64 v[32:33], v32 offset:8864
	ds_read_b64 v[34:35], v31 offset:8328
	s_waitcnt lgkmcnt(0)
	v_fma_f64 v[10:11], v[32:33], v[34:35], v[10:11]
	s_or_b64 exec, exec, s[20:21]
	v_cmp_gt_u32_e64 s[14:15], 8, v14
	s_and_saveexec_b64 s[0:1], s[14:15]
	s_cbranch_execz .LBB33_338
.LBB33_1185:
	ds_read_b64 v[32:33], v16 offset:9376
	ds_read_b64 v[34:35], v31 offset:8336
	s_waitcnt lgkmcnt(0)
	v_fma_f64 v[10:11], v[32:33], v[34:35], v[10:11]
	s_or_b64 exec, exec, s[0:1]
	v_cmp_gt_u32_e64 s[14:15], 4, v14
	s_and_saveexec_b64 s[20:21], s[14:15]
	s_cbranch_execnz .LBB33_339
	s_branch .LBB33_340
.LBB33_1186:
	v_lshlrev_b32_e32 v32, 3, v25
	v_sub_u32_e32 v32, v31, v32
	v_lshl_add_u32 v32, v24, 3, v32
	ds_read_b64 v[32:33], v32 offset:8896
	ds_read_b64 v[34:35], v31 offset:8328
	s_waitcnt lgkmcnt(0)
	v_fma_f64 v[10:11], v[32:33], v[34:35], v[10:11]
	s_or_b64 exec, exec, s[20:21]
	v_cmp_gt_u32_e64 s[14:15], 48, v14
	s_and_saveexec_b64 s[20:21], s[14:15]
	s_cbranch_execz .LBB33_380
.LBB33_1187:
	v_lshlrev_b32_e32 v32, 3, v25
	v_sub_u32_e32 v32, v31, v32
	v_lshl_add_u32 v32, v24, 3, v32
	ds_read_b64 v[32:33], v32 offset:9408
	ds_read_b64 v[34:35], v31 offset:8336
	s_waitcnt lgkmcnt(0)
	v_fma_f64 v[10:11], v[32:33], v[34:35], v[10:11]
	s_or_b64 exec, exec, s[20:21]
	v_cmp_gt_u32_e64 s[14:15], 40, v14
	s_and_saveexec_b64 s[20:21], s[14:15]
	s_cbranch_execz .LBB33_381
.LBB33_1188:
	v_lshlrev_b32_e32 v32, 3, v25
	v_sub_u32_e32 v32, v31, v32
	v_lshl_add_u32 v32, v24, 3, v32
	ds_read_b64 v[32:33], v32 offset:9920
	ds_read_b64 v[34:35], v31 offset:8344
	s_waitcnt lgkmcnt(0)
	v_fma_f64 v[10:11], v[32:33], v[34:35], v[10:11]
	s_or_b64 exec, exec, s[20:21]
	v_cmp_gt_u32_e64 s[14:15], 32, v14
	s_and_saveexec_b64 s[0:1], s[14:15]
	s_cbranch_execz .LBB33_382
.LBB33_1189:
	ds_read_b64 v[32:33], v21 offset:10432
	ds_read_b64 v[34:35], v31 offset:8352
	s_waitcnt lgkmcnt(0)
	v_fma_f64 v[10:11], v[32:33], v[34:35], v[10:11]
	s_or_b64 exec, exec, s[0:1]
	v_cmp_gt_u32_e64 s[14:15], 24, v14
	s_and_saveexec_b64 s[20:21], s[14:15]
	s_cbranch_execz .LBB33_383
.LBB33_1190:
	v_lshlrev_b32_e32 v32, 3, v25
	v_sub_u32_e32 v32, v31, v32
	v_lshl_add_u32 v32, v24, 3, v32
	ds_read_b64 v[32:33], v32 offset:10944
	ds_read_b64 v[34:35], v31 offset:8360
	s_waitcnt lgkmcnt(0)
	v_fma_f64 v[10:11], v[32:33], v[34:35], v[10:11]
	s_or_b64 exec, exec, s[20:21]
	v_cmp_gt_u32_e64 s[14:15], 16, v14
	s_and_saveexec_b64 s[0:1], s[14:15]
	s_cbranch_execz .LBB33_384
.LBB33_1191:
	ds_read_b64 v[32:33], v21 offset:11456
	ds_read_b64 v[34:35], v31 offset:8368
	s_waitcnt lgkmcnt(0)
	v_fma_f64 v[10:11], v[32:33], v[34:35], v[10:11]
	s_or_b64 exec, exec, s[0:1]
	v_cmp_gt_u32_e64 s[14:15], 8, v14
	s_and_saveexec_b64 s[20:21], s[14:15]
	s_cbranch_execnz .LBB33_385
	s_branch .LBB33_386
.LBB33_1192:
	v_lshlrev_b32_e32 v32, 3, v20
	v_sub_u32_e32 v32, v31, v32
	v_lshl_add_u32 v32, v19, 3, v32
	ds_read_b64 v[32:33], v32 offset:13024
	ds_read_b64 v[34:35], v31 offset:12488
	s_waitcnt lgkmcnt(0)
	v_fma_f64 v[10:11], v[32:33], v[34:35], v[10:11]
	s_or_b64 exec, exec, s[20:21]
	v_cmp_gt_u32_e64 s[14:15], 8, v14
	s_and_saveexec_b64 s[0:1], s[14:15]
	s_cbranch_execz .LBB33_442
.LBB33_1193:
	ds_read_b64 v[32:33], v16 offset:13536
	ds_read_b64 v[34:35], v31 offset:12496
	s_waitcnt lgkmcnt(0)
	v_fma_f64 v[10:11], v[32:33], v[34:35], v[10:11]
	s_or_b64 exec, exec, s[0:1]
	v_cmp_gt_u32_e64 s[14:15], 4, v14
	s_and_saveexec_b64 s[20:21], s[14:15]
	s_cbranch_execnz .LBB33_443
	s_branch .LBB33_444
.LBB33_1194:
	ds_read_b64 v[36:37], v31 offset:15104
	ds_read_b64 v[38:39], v35 offset:232
	s_waitcnt lgkmcnt(0)
	v_fma_f64 v[10:11], v[36:37], v[38:39], v[10:11]
	s_or_b64 exec, exec, s[0:1]
	v_cmp_gt_u32_e64 s[20:21], 64, v14
	s_and_saveexec_b64 s[0:1], s[20:21]
	s_cbranch_execz .LBB33_540
.LBB33_1195:
	ds_read_b64 v[36:37], v31 offset:15616
	ds_read_b64 v[38:39], v35 offset:240
	s_waitcnt lgkmcnt(0)
	v_fma_f64 v[10:11], v[36:37], v[38:39], v[10:11]
	s_or_b64 exec, exec, s[0:1]
	v_cmp_gt_u32_e64 s[20:21], 32, v14
	s_and_saveexec_b64 s[0:1], s[20:21]
	s_cbranch_execnz .LBB33_541
	s_branch .LBB33_542
.LBB33_1196:
	v_lshlrev_b32_e32 v32, 3, v20
	v_sub_u32_e32 v32, v31, v32
	v_lshl_add_u32 v32, v19, 3, v32
	ds_read_b64 v[32:33], v32 offset:17184
	ds_read_b64 v[34:35], v31 offset:16648
	s_waitcnt lgkmcnt(0)
	v_fma_f64 v[10:11], v[32:33], v[34:35], v[10:11]
	s_or_b64 exec, exec, s[16:17]
	v_cmp_gt_u32_e64 s[12:13], 8, v14
	s_and_saveexec_b64 s[0:1], s[12:13]
	s_cbranch_execz .LBB33_694
.LBB33_1197:
	ds_read_b64 v[32:33], v16 offset:17696
	ds_read_b64 v[34:35], v31 offset:16656
	s_waitcnt lgkmcnt(0)
	v_fma_f64 v[10:11], v[32:33], v[34:35], v[10:11]
	s_or_b64 exec, exec, s[0:1]
	v_cmp_gt_u32_e64 s[12:13], 4, v14
	s_and_saveexec_b64 s[0:1], s[12:13]
	s_cbranch_execnz .LBB33_695
	s_branch .LBB33_696
.LBB33_1198:
	v_lshlrev_b32_e32 v32, 3, v25
	v_sub_u32_e32 v32, v31, v32
	v_lshl_add_u32 v32, v24, 3, v32
	ds_read_b64 v[32:33], v32 offset:17216
	ds_read_b64 v[34:35], v31 offset:16648
	s_waitcnt lgkmcnt(0)
	v_fma_f64 v[10:11], v[32:33], v[34:35], v[10:11]
	s_or_b64 exec, exec, s[16:17]
	v_cmp_gt_u32_e64 s[12:13], 48, v14
	s_and_saveexec_b64 s[0:1], s[12:13]
	s_cbranch_execz .LBB33_736
.LBB33_1199:
	v_lshlrev_b32_e32 v32, 3, v25
	v_sub_u32_e32 v32, v31, v32
	v_lshl_add_u32 v32, v24, 3, v32
	ds_read_b64 v[32:33], v32 offset:17728
	ds_read_b64 v[34:35], v31 offset:16656
	s_waitcnt lgkmcnt(0)
	v_fma_f64 v[10:11], v[32:33], v[34:35], v[10:11]
	s_or_b64 exec, exec, s[0:1]
	v_cmp_gt_u32_e64 s[12:13], 40, v14
	s_and_saveexec_b64 s[0:1], s[12:13]
	s_cbranch_execz .LBB33_737
.LBB33_1200:
	v_lshlrev_b32_e32 v32, 3, v25
	v_sub_u32_e32 v32, v31, v32
	v_lshl_add_u32 v32, v24, 3, v32
	ds_read_b64 v[32:33], v32 offset:18240
	ds_read_b64 v[34:35], v31 offset:16664
	s_waitcnt lgkmcnt(0)
	v_fma_f64 v[10:11], v[32:33], v[34:35], v[10:11]
	s_or_b64 exec, exec, s[0:1]
	v_cmp_gt_u32_e64 s[12:13], 32, v14
	s_and_saveexec_b64 s[0:1], s[12:13]
	s_cbranch_execz .LBB33_738
.LBB33_1201:
	ds_read_b64 v[32:33], v21 offset:18752
	ds_read_b64 v[34:35], v31 offset:16672
	s_waitcnt lgkmcnt(0)
	v_fma_f64 v[10:11], v[32:33], v[34:35], v[10:11]
	s_or_b64 exec, exec, s[0:1]
	v_cmp_gt_u32_e64 s[12:13], 24, v14
	s_and_saveexec_b64 s[0:1], s[12:13]
	s_cbranch_execz .LBB33_739
.LBB33_1202:
	v_lshlrev_b32_e32 v32, 3, v25
	v_sub_u32_e32 v32, v31, v32
	v_lshl_add_u32 v32, v24, 3, v32
	ds_read_b64 v[32:33], v32 offset:19264
	ds_read_b64 v[34:35], v31 offset:16680
	s_waitcnt lgkmcnt(0)
	v_fma_f64 v[10:11], v[32:33], v[34:35], v[10:11]
	s_or_b64 exec, exec, s[0:1]
	v_cmp_gt_u32_e64 s[12:13], 16, v14
	s_and_saveexec_b64 s[0:1], s[12:13]
	s_cbranch_execz .LBB33_740
.LBB33_1203:
	ds_read_b64 v[32:33], v21 offset:19776
	ds_read_b64 v[34:35], v31 offset:16688
	s_waitcnt lgkmcnt(0)
	v_fma_f64 v[10:11], v[32:33], v[34:35], v[10:11]
	s_or_b64 exec, exec, s[0:1]
	v_cmp_gt_u32_e64 s[12:13], 8, v14
	s_and_saveexec_b64 s[0:1], s[12:13]
	s_cbranch_execnz .LBB33_741
	s_branch .LBB33_742
.LBB33_1204:
	v_lshlrev_b32_e32 v32, 3, v20
	v_sub_u32_e32 v32, v31, v32
	v_lshl_add_u32 v32, v19, 3, v32
	ds_read_b64 v[32:33], v32 offset:21344
	ds_read_b64 v[34:35], v31 offset:20808
	s_waitcnt lgkmcnt(0)
	v_fma_f64 v[10:11], v[32:33], v[34:35], v[10:11]
	s_or_b64 exec, exec, s[16:17]
	v_cmp_gt_u32_e64 s[12:13], 8, v14
	s_and_saveexec_b64 s[0:1], s[12:13]
	s_cbranch_execz .LBB33_798
.LBB33_1205:
	ds_read_b64 v[32:33], v16 offset:21856
	ds_read_b64 v[34:35], v31 offset:20816
	s_waitcnt lgkmcnt(0)
	v_fma_f64 v[10:11], v[32:33], v[34:35], v[10:11]
	s_or_b64 exec, exec, s[0:1]
	v_cmp_gt_u32_e64 s[12:13], 4, v14
	s_and_saveexec_b64 s[0:1], s[12:13]
	s_cbranch_execnz .LBB33_799
	s_branch .LBB33_800
.LBB33_1206:
	v_lshlrev_b32_e32 v30, 3, v27
	v_lshl_add_u32 v30, v29, 3, v30
	ds_read_b64 v[32:33], v30 offset:22400
	ds_read_b64 v[34:35], v31 offset:16728
	s_waitcnt lgkmcnt(0)
	v_fma_f64 v[10:11], v[32:33], v[34:35], v[10:11]
	s_or_b64 exec, exec, s[0:1]
	v_cmp_gt_u32_e64 s[12:13], 64, v14
	s_and_saveexec_b64 s[0:1], s[12:13]
	s_cbranch_execz .LBB33_860
.LBB33_1207:
	ds_read_b64 v[32:33], v26 offset:22912
	ds_read_b64 v[34:35], v31 offset:16736
	s_waitcnt lgkmcnt(0)
	v_fma_f64 v[10:11], v[32:33], v[34:35], v[10:11]
	s_or_b64 exec, exec, s[0:1]
	v_cmp_gt_u32_e64 s[12:13], 48, v14
	s_and_saveexec_b64 s[0:1], s[12:13]
	s_cbranch_execz .LBB33_861
.LBB33_1208:
	v_lshlrev_b32_e32 v30, 3, v27
	v_lshl_add_u32 v29, v29, 3, v30
	ds_read_b64 v[29:30], v29 offset:23424
	ds_read_b64 v[32:33], v31 offset:16744
	s_waitcnt lgkmcnt(0)
	v_fma_f64 v[10:11], v[29:30], v[32:33], v[10:11]
	s_or_b64 exec, exec, s[0:1]
	v_cmp_gt_u32_e64 s[12:13], 32, v14
	s_and_saveexec_b64 s[0:1], s[12:13]
	s_cbranch_execz .LBB33_862
.LBB33_1209:
	ds_read_b64 v[29:30], v26 offset:23936
	ds_read_b64 v[31:32], v31 offset:16752
	s_waitcnt lgkmcnt(0)
	v_fma_f64 v[10:11], v[29:30], v[31:32], v[10:11]
	s_or_b64 exec, exec, s[0:1]
	v_cmp_gt_u32_e64 s[12:13], 16, v14
	s_and_saveexec_b64 s[0:1], s[12:13]
	s_cbranch_execnz .LBB33_863
	s_branch .LBB33_864
.LBB33_1210:
	v_lshlrev_b32_e32 v27, 3, v20
	v_sub_u32_e32 v27, v26, v27
	v_lshl_add_u32 v27, v19, 3, v27
	ds_read_b64 v[27:28], v27 offset:25504
	ds_read_b64 v[29:30], v26 offset:24968
	s_waitcnt lgkmcnt(0)
	v_fma_f64 v[10:11], v[27:28], v[29:30], v[10:11]
	s_or_b64 exec, exec, s[12:13]
	v_cmp_gt_u32_e64 s[10:11], 8, v14
	s_and_saveexec_b64 s[12:13], s[10:11]
	s_cbranch_execz .LBB33_952
.LBB33_1211:
	ds_read_b64 v[27:28], v16 offset:26016
	ds_read_b64 v[29:30], v26 offset:24976
	s_waitcnt lgkmcnt(0)
	v_fma_f64 v[10:11], v[27:28], v[29:30], v[10:11]
	s_or_b64 exec, exec, s[12:13]
	v_cmp_gt_u32_e64 s[10:11], 4, v14
	s_and_saveexec_b64 s[12:13], s[10:11]
	s_cbranch_execnz .LBB33_953
	s_branch .LBB33_954
.LBB33_1212:
	v_lshlrev_b32_e32 v27, 3, v25
	v_sub_u32_e32 v27, v26, v27
	v_lshl_add_u32 v27, v24, 3, v27
	ds_read_b64 v[27:28], v27 offset:25536
	ds_read_b64 v[29:30], v26 offset:24968
	s_waitcnt lgkmcnt(0)
	v_fma_f64 v[10:11], v[27:28], v[29:30], v[10:11]
	s_or_b64 exec, exec, s[12:13]
	v_cmp_gt_u32_e64 s[10:11], 48, v14
	s_and_saveexec_b64 s[12:13], s[10:11]
	s_cbranch_execz .LBB33_994
.LBB33_1213:
	v_lshlrev_b32_e32 v27, 3, v25
	v_sub_u32_e32 v27, v26, v27
	v_lshl_add_u32 v27, v24, 3, v27
	ds_read_b64 v[27:28], v27 offset:26048
	ds_read_b64 v[29:30], v26 offset:24976
	s_waitcnt lgkmcnt(0)
	v_fma_f64 v[10:11], v[27:28], v[29:30], v[10:11]
	s_or_b64 exec, exec, s[12:13]
	v_cmp_gt_u32_e64 s[10:11], 40, v14
	s_and_saveexec_b64 s[12:13], s[10:11]
	s_cbranch_execz .LBB33_995
.LBB33_1214:
	v_lshlrev_b32_e32 v27, 3, v25
	v_sub_u32_e32 v27, v26, v27
	v_lshl_add_u32 v27, v24, 3, v27
	ds_read_b64 v[27:28], v27 offset:26560
	ds_read_b64 v[29:30], v26 offset:24984
	s_waitcnt lgkmcnt(0)
	v_fma_f64 v[10:11], v[27:28], v[29:30], v[10:11]
	s_or_b64 exec, exec, s[12:13]
	v_cmp_gt_u32_e64 s[10:11], 32, v14
	s_and_saveexec_b64 s[12:13], s[10:11]
	s_cbranch_execz .LBB33_996
.LBB33_1215:
	ds_read_b64 v[27:28], v21 offset:27072
	ds_read_b64 v[29:30], v26 offset:24992
	s_waitcnt lgkmcnt(0)
	v_fma_f64 v[10:11], v[27:28], v[29:30], v[10:11]
	s_or_b64 exec, exec, s[12:13]
	v_cmp_gt_u32_e64 s[10:11], 24, v14
	s_and_saveexec_b64 s[12:13], s[10:11]
	s_cbranch_execz .LBB33_997
.LBB33_1216:
	v_lshlrev_b32_e32 v25, 3, v25
	v_sub_u32_e32 v25, v26, v25
	v_lshl_add_u32 v24, v24, 3, v25
	ds_read_b64 v[24:25], v24 offset:27584
	ds_read_b64 v[27:28], v26 offset:25000
	s_waitcnt lgkmcnt(0)
	v_fma_f64 v[10:11], v[24:25], v[27:28], v[10:11]
	s_or_b64 exec, exec, s[12:13]
	v_cmp_gt_u32_e64 s[10:11], 16, v14
	s_and_saveexec_b64 s[12:13], s[10:11]
	s_cbranch_execz .LBB33_998
.LBB33_1217:
	ds_read_b64 v[24:25], v21 offset:28096
	ds_read_b64 v[26:27], v26 offset:25008
	s_waitcnt lgkmcnt(0)
	v_fma_f64 v[10:11], v[24:25], v[26:27], v[10:11]
	s_or_b64 exec, exec, s[12:13]
	v_cmp_gt_u32_e64 s[10:11], 8, v14
	s_and_saveexec_b64 s[12:13], s[10:11]
	s_cbranch_execnz .LBB33_999
	s_branch .LBB33_1000
.LBB33_1218:
	v_lshlrev_b32_e32 v20, 3, v20
	v_sub_u32_e32 v20, v21, v20
	v_lshl_add_u32 v19, v19, 3, v20
	ds_read_b64 v[19:20], v19 offset:29664
	ds_read_b64 v[22:23], v21 offset:29128
	s_waitcnt lgkmcnt(0)
	v_fma_f64 v[10:11], v[19:20], v[22:23], v[10:11]
	s_or_b64 exec, exec, s[10:11]
	v_cmp_gt_u32_e64 s[8:9], 8, v14
	s_and_saveexec_b64 s[10:11], s[8:9]
	s_cbranch_execz .LBB33_1056
.LBB33_1219:
	ds_read_b64 v[19:20], v16 offset:30176
	ds_read_b64 v[21:22], v21 offset:29136
	s_waitcnt lgkmcnt(0)
	v_fma_f64 v[10:11], v[19:20], v[21:22], v[10:11]
	s_or_b64 exec, exec, s[10:11]
	v_cmp_gt_u32_e64 s[8:9], 4, v14
	s_and_saveexec_b64 s[10:11], s[8:9]
	s_cbranch_execnz .LBB33_1057
	s_branch .LBB33_1058
	.section	.rodata,"a",@progbits
	.p2align	6, 0x0
	.amdhsa_kernel _ZL19rocblas_trsv_deviceILi64ELi16ELb1ELb1ELb1ELb1EdPKdS1_PdEviT7_lllT6_T8_lllPii
		.amdhsa_group_segment_fixed_size 41480
		.amdhsa_private_segment_fixed_size 0
		.amdhsa_kernarg_size 352
		.amdhsa_user_sgpr_count 6
		.amdhsa_user_sgpr_private_segment_buffer 1
		.amdhsa_user_sgpr_dispatch_ptr 0
		.amdhsa_user_sgpr_queue_ptr 0
		.amdhsa_user_sgpr_kernarg_segment_ptr 1
		.amdhsa_user_sgpr_dispatch_id 0
		.amdhsa_user_sgpr_flat_scratch_init 0
		.amdhsa_user_sgpr_private_segment_size 0
		.amdhsa_uses_dynamic_stack 0
		.amdhsa_system_sgpr_private_segment_wavefront_offset 0
		.amdhsa_system_sgpr_workgroup_id_x 1
		.amdhsa_system_sgpr_workgroup_id_y 0
		.amdhsa_system_sgpr_workgroup_id_z 1
		.amdhsa_system_sgpr_workgroup_info 0
		.amdhsa_system_vgpr_workitem_id 1
		.amdhsa_next_free_vgpr 49
		.amdhsa_next_free_sgpr 98
		.amdhsa_reserve_vcc 1
		.amdhsa_reserve_flat_scratch 0
		.amdhsa_float_round_mode_32 0
		.amdhsa_float_round_mode_16_64 0
		.amdhsa_float_denorm_mode_32 3
		.amdhsa_float_denorm_mode_16_64 3
		.amdhsa_dx10_clamp 1
		.amdhsa_ieee_mode 1
		.amdhsa_fp16_overflow 0
		.amdhsa_exception_fp_ieee_invalid_op 0
		.amdhsa_exception_fp_denorm_src 0
		.amdhsa_exception_fp_ieee_div_zero 0
		.amdhsa_exception_fp_ieee_overflow 0
		.amdhsa_exception_fp_ieee_underflow 0
		.amdhsa_exception_fp_ieee_inexact 0
		.amdhsa_exception_int_div_zero 0
	.end_amdhsa_kernel
	.section	.text._ZL19rocblas_trsv_deviceILi64ELi16ELb1ELb1ELb1ELb1EdPKdS1_PdEviT7_lllT6_T8_lllPii,"axG",@progbits,_ZL19rocblas_trsv_deviceILi64ELi16ELb1ELb1ELb1ELb1EdPKdS1_PdEviT7_lllT6_T8_lllPii,comdat
.Lfunc_end33:
	.size	_ZL19rocblas_trsv_deviceILi64ELi16ELb1ELb1ELb1ELb1EdPKdS1_PdEviT7_lllT6_T8_lllPii, .Lfunc_end33-_ZL19rocblas_trsv_deviceILi64ELi16ELb1ELb1ELb1ELb1EdPKdS1_PdEviT7_lllT6_T8_lllPii
                                        ; -- End function
	.set _ZL19rocblas_trsv_deviceILi64ELi16ELb1ELb1ELb1ELb1EdPKdS1_PdEviT7_lllT6_T8_lllPii.num_vgpr, 41
	.set _ZL19rocblas_trsv_deviceILi64ELi16ELb1ELb1ELb1ELb1EdPKdS1_PdEviT7_lllT6_T8_lllPii.num_agpr, 0
	.set _ZL19rocblas_trsv_deviceILi64ELi16ELb1ELb1ELb1ELb1EdPKdS1_PdEviT7_lllT6_T8_lllPii.numbered_sgpr, 96
	.set _ZL19rocblas_trsv_deviceILi64ELi16ELb1ELb1ELb1ELb1EdPKdS1_PdEviT7_lllT6_T8_lllPii.num_named_barrier, 0
	.set _ZL19rocblas_trsv_deviceILi64ELi16ELb1ELb1ELb1ELb1EdPKdS1_PdEviT7_lllT6_T8_lllPii.private_seg_size, 0
	.set _ZL19rocblas_trsv_deviceILi64ELi16ELb1ELb1ELb1ELb1EdPKdS1_PdEviT7_lllT6_T8_lllPii.uses_vcc, 1
	.set _ZL19rocblas_trsv_deviceILi64ELi16ELb1ELb1ELb1ELb1EdPKdS1_PdEviT7_lllT6_T8_lllPii.uses_flat_scratch, 0
	.set _ZL19rocblas_trsv_deviceILi64ELi16ELb1ELb1ELb1ELb1EdPKdS1_PdEviT7_lllT6_T8_lllPii.has_dyn_sized_stack, 0
	.set _ZL19rocblas_trsv_deviceILi64ELi16ELb1ELb1ELb1ELb1EdPKdS1_PdEviT7_lllT6_T8_lllPii.has_recursion, 0
	.set _ZL19rocblas_trsv_deviceILi64ELi16ELb1ELb1ELb1ELb1EdPKdS1_PdEviT7_lllT6_T8_lllPii.has_indirect_call, 0
	.section	.AMDGPU.csdata,"",@progbits
; Kernel info:
; codeLenInByte = 35280
; TotalNumSgprs: 100
; NumVgprs: 41
; ScratchSize: 0
; MemoryBound: 0
; FloatMode: 240
; IeeeMode: 1
; LDSByteSize: 41480 bytes/workgroup (compile time only)
; SGPRBlocks: 12
; VGPRBlocks: 12
; NumSGPRsForWavesPerEU: 102
; NumVGPRsForWavesPerEU: 49
; Occupancy: 4
; WaveLimiterHint : 0
; COMPUTE_PGM_RSRC2:SCRATCH_EN: 0
; COMPUTE_PGM_RSRC2:USER_SGPR: 6
; COMPUTE_PGM_RSRC2:TRAP_HANDLER: 0
; COMPUTE_PGM_RSRC2:TGID_X_EN: 1
; COMPUTE_PGM_RSRC2:TGID_Y_EN: 0
; COMPUTE_PGM_RSRC2:TGID_Z_EN: 1
; COMPUTE_PGM_RSRC2:TIDIG_COMP_CNT: 1
	.section	.text._ZL19rocblas_trsv_deviceILi64ELi16ELb1ELb0ELb0ELb0EdPKdS1_PdEviT7_lllT6_T8_lllPii,"axG",@progbits,_ZL19rocblas_trsv_deviceILi64ELi16ELb1ELb0ELb0ELb0EdPKdS1_PdEviT7_lllT6_T8_lllPii,comdat
	.globl	_ZL19rocblas_trsv_deviceILi64ELi16ELb1ELb0ELb0ELb0EdPKdS1_PdEviT7_lllT6_T8_lllPii ; -- Begin function _ZL19rocblas_trsv_deviceILi64ELi16ELb1ELb0ELb0ELb0EdPKdS1_PdEviT7_lllT6_T8_lllPii
	.p2align	8
	.type	_ZL19rocblas_trsv_deviceILi64ELi16ELb1ELb0ELb0ELb0EdPKdS1_PdEviT7_lllT6_T8_lllPii,@function
_ZL19rocblas_trsv_deviceILi64ELi16ELb1ELb0ELb0ELb0EdPKdS1_PdEviT7_lllT6_T8_lllPii: ; @_ZL19rocblas_trsv_deviceILi64ELi16ELb1ELb0ELb0ELb0EdPKdS1_PdEviT7_lllT6_T8_lllPii
; %bb.0:
	s_mov_b32 s34, s7
	s_load_dwordx16 s[16:31], s[4:5], 0x8
	s_load_dword s7, s[4:5], 0x0
	v_mov_b32_e32 v2, v1
	s_mov_b32 s35, 0
	s_waitcnt lgkmcnt(0)
	s_mul_i32 s0, s23, s34
	s_mul_hi_u32 s1, s22, s34
	s_add_i32 s1, s1, s0
	s_mul_i32 s0, s22, s34
	s_lshl_b64 s[0:1], s[0:1], 3
	s_add_u32 s2, s16, s0
	s_load_dwordx2 s[22:23], s[24:25], 0x0
	s_load_dword s95, s[4:5], 0x6c
	s_addc_u32 s3, s17, s1
	s_lshl_b64 s[0:1], s[18:19], 3
	s_add_u32 s93, s2, s0
	s_addc_u32 s94, s3, s1
	s_cmp_eq_u32 s6, 0
	s_cbranch_scc1 .LBB34_10
; %bb.1:
	s_lshl_b32 s33, s6, 6
	v_add_u32_e32 v1, s33, v2
	v_subrev_u32_e32 v1, 64, v1
	v_ashrrev_i32_e32 v3, 31, v1
	v_mul_lo_u32 v7, s20, v3
	v_mul_lo_u32 v8, s21, v1
	v_mad_u64_u32 v[3:4], s[0:1], s20, v1, 0
	v_add_u32_e32 v5, s33, v0
	v_ashrrev_i32_e32 v6, 31, v5
	v_add3_u32 v4, v4, v7, v8
	v_lshlrev_b64 v[3:4], 3, v[3:4]
	v_mov_b32_e32 v7, s94
	v_add_co_u32_e64 v8, s[0:1], s93, v3
	v_addc_co_u32_e64 v7, s[0:1], v7, v4, s[0:1]
	v_lshlrev_b64 v[3:4], 3, v[5:6]
	v_cmp_gt_i32_e32 vcc, s7, v5
	v_add_co_u32_e64 v11, s[0:1], v8, v3
	v_addc_co_u32_e64 v12, s[0:1], v7, v4, s[0:1]
	v_cmp_gt_i32_e64 s[0:1], s7, v1
	v_mov_b32_e32 v5, 0
	v_mov_b32_e32 v3, 0
	;; [unrolled: 1-line block ×4, first 2 shown]
	s_and_b64 s[2:3], vcc, s[0:1]
	s_waitcnt lgkmcnt(0)
	s_barrier
	s_and_saveexec_b64 s[0:1], s[2:3]
	s_cbranch_execz .LBB34_3
; %bb.2:
	global_load_dwordx2 v[3:4], v[11:12], off
.LBB34_3:
	s_or_b64 exec, exec, s[0:1]
	v_add_u32_e32 v7, 16, v1
	v_cmp_gt_i32_e64 s[0:1], s7, v7
	s_and_b64 s[0:1], vcc, s[0:1]
	s_waitcnt vmcnt(0)
	s_barrier
	s_and_saveexec_b64 s[2:3], s[0:1]
	s_cbranch_execz .LBB34_5
; %bb.4:
	s_lshl_b64 s[0:1], s[20:21], 7
	v_mov_b32_e32 v6, s1
	v_add_co_u32_e64 v5, s[0:1], s0, v11
	v_addc_co_u32_e64 v6, s[0:1], v12, v6, s[0:1]
	global_load_dwordx2 v[5:6], v[5:6], off
.LBB34_5:
	s_or_b64 exec, exec, s[2:3]
	v_add_u32_e32 v7, 32, v1
	v_cmp_gt_i32_e64 s[0:1], s7, v7
	v_mov_b32_e32 v7, 0
	v_mov_b32_e32 v9, 0
	;; [unrolled: 1-line block ×4, first 2 shown]
	s_and_b64 s[0:1], vcc, s[0:1]
	s_waitcnt vmcnt(0)
	s_barrier
	s_and_saveexec_b64 s[2:3], s[0:1]
	s_cbranch_execz .LBB34_7
; %bb.6:
	s_lshl_b64 s[0:1], s[20:21], 8
	v_mov_b32_e32 v10, s1
	v_add_co_u32_e64 v9, s[0:1], s0, v11
	v_addc_co_u32_e64 v10, s[0:1], v12, v10, s[0:1]
	global_load_dwordx2 v[9:10], v[9:10], off
.LBB34_7:
	s_or_b64 exec, exec, s[2:3]
	v_add_u32_e32 v1, 48, v1
	v_cmp_gt_i32_e64 s[0:1], s7, v1
	s_and_b64 s[2:3], vcc, s[0:1]
	s_waitcnt vmcnt(0)
	s_barrier
	s_and_saveexec_b64 s[0:1], s[2:3]
	s_cbranch_execz .LBB34_9
; %bb.8:
	v_mov_b32_e32 v1, 0x180
	v_mad_u64_u32 v[7:8], s[2:3], s20, v1, v[11:12]
	s_mul_i32 s2, s21, 0x180
	v_add_u32_e32 v8, s2, v8
	global_load_dwordx2 v[7:8], v[7:8], off
.LBB34_9:
	s_or_b64 exec, exec, s[0:1]
	s_branch .LBB34_11
.LBB34_10:
                                        ; implicit-def: $vgpr7_vgpr8
                                        ; implicit-def: $vgpr9_vgpr10
                                        ; implicit-def: $vgpr5_vgpr6
                                        ; implicit-def: $vgpr3_vgpr4
	s_mov_b32 s33, s35
.LBB34_11:
	s_ashr_i32 s0, s7, 31
	s_lshr_b32 s0, s0, 26
	s_add_i32 s0, s7, s0
	s_andn2_b32 s0, s0, 63
	s_sub_i32 s92, s7, s0
	s_add_i32 s0, s7, -1
	s_ashr_i32 s1, s0, 31
	s_lshr_b32 s1, s1, 26
	s_add_i32 s0, s0, s1
	s_ashr_i32 s0, s0, 6
	s_cmp_eq_u32 s0, s6
	s_cselect_b64 s[0:1], -1, 0
	s_cmp_lg_u32 s92, 0
	s_cselect_b64 s[2:3], -1, 0
	s_and_b64 s[18:19], s[2:3], s[0:1]
	s_ashr_i32 s52, s33, 31
	s_add_u32 s8, s20, 1
	v_mov_b32_e32 v1, 0
	v_mov_b32_e32 v11, s33
	v_mad_u64_u32 v[11:12], s[0:1], s8, v11, v[0:1]
	s_addc_u32 s9, s21, 0
	s_mul_i32 s0, s8, s52
	s_mul_i32 s9, s9, s33
	s_add_i32 s0, s0, s9
	s_mov_b64 s[2:3], -1
	v_add_u32_e32 v12, s0, v12
	s_and_b64 vcc, exec, s[18:19]
	v_cmp_le_u32_e64 s[0:1], v0, v2
	s_cbranch_vccnz .LBB34_33
; %bb.12:
	v_mad_u64_u32 v[15:16], s[2:3], s20, v2, v[11:12]
	v_mov_b32_e32 v1, v16
	v_mad_u64_u32 v[13:14], s[2:3], s21, v2, v[1:2]
	s_mov_b64 s[2:3], 0
	v_mov_b32_e32 v16, v13
                                        ; implicit-def: $vgpr13_vgpr14
	s_and_saveexec_b64 s[8:9], s[0:1]
	s_xor_b64 s[0:1], exec, s[8:9]
	s_cbranch_execnz .LBB34_989
; %bb.13:
	s_andn2_saveexec_b64 s[0:1], s[0:1]
	s_cbranch_execnz .LBB34_994
.LBB34_14:
	s_or_b64 exec, exec, s[0:1]
	s_and_saveexec_b64 s[0:1], s[2:3]
.LBB34_15:
	v_lshlrev_b32_e32 v1, 3, v0
	v_lshl_add_u32 v1, v2, 9, v1
	ds_write_b64 v1, v[13:14]
.LBB34_16:
	s_or_b64 exec, exec, s[0:1]
	v_add_u32_e32 v1, 16, v2
	v_mad_u64_u32 v[15:16], s[0:1], s20, v1, v[11:12]
	v_cmp_le_u32_e32 vcc, v0, v1
	s_mov_b64 s[2:3], 0
	v_mov_b32_e32 v13, v16
	v_mad_u64_u32 v[13:14], s[0:1], s21, v1, v[13:14]
	v_mov_b32_e32 v16, v13
                                        ; implicit-def: $vgpr13_vgpr14
	s_and_saveexec_b64 s[0:1], vcc
	s_xor_b64 s[0:1], exec, s[0:1]
	s_cbranch_execnz .LBB34_995
; %bb.17:
	s_andn2_saveexec_b64 s[0:1], s[0:1]
	s_cbranch_execnz .LBB34_1000
.LBB34_18:
	s_or_b64 exec, exec, s[0:1]
	s_and_saveexec_b64 s[0:1], s[2:3]
.LBB34_19:
	v_lshlrev_b32_e32 v15, 3, v0
	v_lshl_add_u32 v1, v1, 9, v15
	ds_write_b64 v1, v[13:14]
.LBB34_20:
	s_or_b64 exec, exec, s[0:1]
	v_add_u32_e32 v1, 32, v2
	v_mad_u64_u32 v[15:16], s[0:1], s20, v1, v[11:12]
	v_cmp_le_u32_e32 vcc, v0, v1
	s_mov_b64 s[2:3], 0
	v_mov_b32_e32 v13, v16
	v_mad_u64_u32 v[13:14], s[0:1], s21, v1, v[13:14]
	v_mov_b32_e32 v16, v13
                                        ; implicit-def: $vgpr13_vgpr14
	s_and_saveexec_b64 s[0:1], vcc
	s_xor_b64 s[0:1], exec, s[0:1]
	s_cbranch_execnz .LBB34_1001
; %bb.21:
	s_andn2_saveexec_b64 s[0:1], s[0:1]
	s_cbranch_execnz .LBB34_1006
.LBB34_22:
	s_or_b64 exec, exec, s[0:1]
	s_and_saveexec_b64 s[0:1], s[2:3]
.LBB34_23:
	v_lshlrev_b32_e32 v15, 3, v0
	v_lshl_add_u32 v1, v1, 9, v15
	ds_write_b64 v1, v[13:14]
.LBB34_24:
	s_or_b64 exec, exec, s[0:1]
	v_add_u32_e32 v1, 48, v2
	v_mad_u64_u32 v[15:16], s[0:1], s20, v1, v[11:12]
	v_cmp_le_u32_e32 vcc, v0, v1
	s_mov_b64 s[8:9], 0
	v_mov_b32_e32 v13, v16
	v_mad_u64_u32 v[13:14], s[0:1], s21, v1, v[13:14]
	v_mov_b32_e32 v16, v13
                                        ; implicit-def: $vgpr13_vgpr14
	s_and_saveexec_b64 s[0:1], vcc
	s_xor_b64 s[0:1], exec, s[0:1]
	s_cbranch_execz .LBB34_30
; %bb.25:
	v_cmp_ne_u32_e32 vcc, v0, v1
	s_mov_b64 s[2:3], 0
	s_and_saveexec_b64 s[8:9], vcc
	s_xor_b64 s[8:9], exec, s[8:9]
; %bb.26:
	v_or_b32_e32 v13, v1, v0
	v_cmp_gt_u32_e32 vcc, 64, v13
	s_and_b64 s[2:3], vcc, exec
                                        ; implicit-def: $vgpr15_vgpr16
; %bb.27:
	s_or_saveexec_b64 s[8:9], s[8:9]
	v_mov_b32_e32 v13, 0
	v_mov_b32_e32 v14, 0
	s_xor_b64 exec, exec, s[8:9]
	s_cbranch_execz .LBB34_29
; %bb.28:
	v_lshlrev_b64 v[13:14], 3, v[15:16]
	v_mov_b32_e32 v1, s94
	v_add_co_u32_e32 v13, vcc, s93, v13
	v_addc_co_u32_e32 v14, vcc, v1, v14, vcc
	global_load_dwordx2 v[13:14], v[13:14], off
	s_or_b64 s[2:3], s[2:3], exec
	v_mov_b32_e32 v1, v0
	s_waitcnt vmcnt(0)
	v_div_scale_f64 v[15:16], s[10:11], v[13:14], v[13:14], 1.0
	v_div_scale_f64 v[21:22], vcc, 1.0, v[13:14], 1.0
	v_rcp_f64_e32 v[17:18], v[15:16]
	v_fma_f64 v[19:20], -v[15:16], v[17:18], 1.0
	v_fma_f64 v[17:18], v[17:18], v[19:20], v[17:18]
	v_fma_f64 v[19:20], -v[15:16], v[17:18], 1.0
	v_fma_f64 v[17:18], v[17:18], v[19:20], v[17:18]
	v_mul_f64 v[19:20], v[21:22], v[17:18]
	v_fma_f64 v[15:16], -v[15:16], v[19:20], v[21:22]
	v_div_fmas_f64 v[15:16], v[15:16], v[17:18], v[19:20]
	v_div_fixup_f64 v[13:14], v[15:16], v[13:14], 1.0
.LBB34_29:
	s_or_b64 exec, exec, s[8:9]
	s_and_b64 s[8:9], s[2:3], exec
                                        ; implicit-def: $vgpr15_vgpr16
.LBB34_30:
	s_andn2_saveexec_b64 s[0:1], s[0:1]
	s_cbranch_execz .LBB34_32
; %bb.31:
	v_lshlrev_b64 v[13:14], 3, v[15:16]
	v_mov_b32_e32 v15, s94
	v_add_co_u32_e32 v13, vcc, s93, v13
	v_addc_co_u32_e32 v14, vcc, v15, v14, vcc
	global_load_dwordx2 v[13:14], v[13:14], off
	s_or_b64 s[8:9], s[8:9], exec
	s_waitcnt vmcnt(0)
	v_xor_b32_e32 v14, 0x80000000, v14
.LBB34_32:
	s_or_b64 exec, exec, s[0:1]
	s_branch .LBB34_55
.LBB34_33:
	s_mov_b64 s[8:9], 0
                                        ; implicit-def: $vgpr13_vgpr14
                                        ; implicit-def: $vgpr1
	s_and_b64 vcc, exec, s[2:3]
	s_cbranch_vccz .LBB34_55
; %bb.34:
	v_mad_u64_u32 v[13:14], s[0:1], s20, v2, v[11:12]
	v_cmp_le_u32_e32 vcc, v0, v2
	v_cmp_gt_i32_e64 s[0:1], s92, v0
	v_mov_b32_e32 v1, v14
	v_mad_u64_u32 v[14:15], s[2:3], s21, v2, v[1:2]
	v_max_i32_e32 v1, v2, v0
	v_cmp_le_i32_e64 s[2:3], s92, v1
	s_or_b64 s[2:3], s[2:3], vcc
	s_mov_b64 s[10:11], 0
                                        ; implicit-def: $vgpr15_vgpr16
	s_and_saveexec_b64 s[12:13], s[2:3]
	s_xor_b64 s[2:3], exec, s[12:13]
	s_cbranch_execnz .LBB34_1007
; %bb.35:
	s_andn2_saveexec_b64 s[2:3], s[2:3]
	s_cbranch_execnz .LBB34_1012
.LBB34_36:
	s_or_b64 exec, exec, s[2:3]
	s_and_saveexec_b64 s[2:3], s[10:11]
.LBB34_37:
	v_lshlrev_b32_e32 v1, 3, v0
	v_lshl_add_u32 v1, v2, 9, v1
	ds_write_b64 v1, v[15:16]
.LBB34_38:
	s_or_b64 exec, exec, s[2:3]
	v_add_u32_e32 v1, 16, v2
	v_mad_u64_u32 v[13:14], s[2:3], s20, v1, v[11:12]
	v_cmp_gt_u32_e32 vcc, v0, v1
	s_mov_b64 s[10:11], 0
	v_mad_u64_u32 v[14:15], s[2:3], s21, v1, v[14:15]
	v_cmp_gt_i32_e64 s[2:3], s92, v1
	s_and_b64 s[2:3], vcc, s[2:3]
	s_and_b64 s[2:3], s[0:1], s[2:3]
	s_xor_b64 s[2:3], s[2:3], -1
                                        ; implicit-def: $vgpr15_vgpr16
	s_and_saveexec_b64 s[12:13], s[2:3]
	s_xor_b64 s[2:3], exec, s[12:13]
	s_cbranch_execnz .LBB34_1013
; %bb.39:
	s_andn2_saveexec_b64 s[2:3], s[2:3]
	s_cbranch_execnz .LBB34_1018
.LBB34_40:
	s_or_b64 exec, exec, s[2:3]
	s_and_saveexec_b64 s[2:3], s[10:11]
.LBB34_41:
	v_lshlrev_b32_e32 v13, 3, v0
	v_lshl_add_u32 v1, v1, 9, v13
	ds_write_b64 v1, v[15:16]
.LBB34_42:
	s_or_b64 exec, exec, s[2:3]
	v_add_u32_e32 v1, 32, v2
	v_mad_u64_u32 v[13:14], s[2:3], s20, v1, v[11:12]
	v_cmp_gt_u32_e32 vcc, v0, v1
	s_mov_b64 s[10:11], 0
	v_mad_u64_u32 v[14:15], s[2:3], s21, v1, v[14:15]
	v_cmp_gt_i32_e64 s[2:3], s92, v1
	s_and_b64 s[2:3], vcc, s[2:3]
	s_and_b64 s[2:3], s[0:1], s[2:3]
	s_xor_b64 s[2:3], s[2:3], -1
                                        ; implicit-def: $vgpr15_vgpr16
	s_and_saveexec_b64 s[12:13], s[2:3]
	s_xor_b64 s[2:3], exec, s[12:13]
	s_cbranch_execnz .LBB34_1019
; %bb.43:
	s_andn2_saveexec_b64 s[2:3], s[2:3]
	s_cbranch_execnz .LBB34_1024
.LBB34_44:
	s_or_b64 exec, exec, s[2:3]
	s_and_saveexec_b64 s[2:3], s[10:11]
.LBB34_45:
	v_lshlrev_b32_e32 v13, 3, v0
	v_lshl_add_u32 v1, v1, 9, v13
	ds_write_b64 v1, v[15:16]
.LBB34_46:
	s_or_b64 exec, exec, s[2:3]
	v_add_u32_e32 v1, 48, v2
	v_mad_u64_u32 v[11:12], s[2:3], s20, v1, v[11:12]
	v_cmp_gt_u32_e32 vcc, v0, v1
	v_mad_u64_u32 v[12:13], s[2:3], s21, v1, v[12:13]
	v_cmp_gt_i32_e64 s[2:3], s92, v1
	s_and_b64 s[2:3], vcc, s[2:3]
	s_and_b64 s[2:3], s[0:1], s[2:3]
	s_xor_b64 s[2:3], s[2:3], -1
                                        ; implicit-def: $vgpr13_vgpr14
	s_and_saveexec_b64 s[10:11], s[2:3]
	s_xor_b64 s[2:3], exec, s[10:11]
	s_cbranch_execz .LBB34_52
; %bb.47:
	v_cmp_ne_u32_e32 vcc, v0, v1
	s_xor_b64 s[0:1], s[0:1], -1
	s_or_b64 s[10:11], s[0:1], vcc
	s_mov_b64 s[0:1], s[8:9]
	s_and_saveexec_b64 s[12:13], s[10:11]
	s_xor_b64 s[10:11], exec, s[12:13]
; %bb.48:
	v_or_b32_e32 v11, v1, v0
	v_cmp_gt_u32_e32 vcc, 64, v11
	s_andn2_b64 s[0:1], s[8:9], exec
	s_and_b64 s[12:13], vcc, exec
	s_or_b64 s[0:1], s[0:1], s[12:13]
                                        ; implicit-def: $vgpr11_vgpr12
; %bb.49:
	s_or_saveexec_b64 s[10:11], s[10:11]
	v_mov_b32_e32 v13, 0
	v_mov_b32_e32 v14, 0
	s_xor_b64 exec, exec, s[10:11]
	s_cbranch_execz .LBB34_51
; %bb.50:
	v_lshlrev_b64 v[11:12], 3, v[11:12]
	v_mov_b32_e32 v1, s94
	v_add_co_u32_e32 v11, vcc, s93, v11
	v_addc_co_u32_e32 v12, vcc, v1, v12, vcc
	global_load_dwordx2 v[11:12], v[11:12], off
	s_or_b64 s[0:1], s[0:1], exec
	v_mov_b32_e32 v1, v0
	s_waitcnt vmcnt(0)
	v_div_scale_f64 v[13:14], s[12:13], v[11:12], v[11:12], 1.0
	v_div_scale_f64 v[19:20], vcc, 1.0, v[11:12], 1.0
	v_rcp_f64_e32 v[15:16], v[13:14]
	v_fma_f64 v[17:18], -v[13:14], v[15:16], 1.0
	v_fma_f64 v[15:16], v[15:16], v[17:18], v[15:16]
	v_fma_f64 v[17:18], -v[13:14], v[15:16], 1.0
	v_fma_f64 v[15:16], v[15:16], v[17:18], v[15:16]
	v_mul_f64 v[17:18], v[19:20], v[15:16]
	v_fma_f64 v[13:14], -v[13:14], v[17:18], v[19:20]
	v_div_fmas_f64 v[13:14], v[13:14], v[15:16], v[17:18]
	v_div_fixup_f64 v[13:14], v[13:14], v[11:12], 1.0
.LBB34_51:
	s_or_b64 exec, exec, s[10:11]
	s_andn2_b64 s[8:9], s[8:9], exec
	s_and_b64 s[0:1], s[0:1], exec
	s_or_b64 s[8:9], s[8:9], s[0:1]
                                        ; implicit-def: $vgpr11_vgpr12
.LBB34_52:
	s_andn2_saveexec_b64 s[0:1], s[2:3]
	s_cbranch_execz .LBB34_54
; %bb.53:
	v_lshlrev_b64 v[11:12], 3, v[11:12]
	v_mov_b32_e32 v13, s94
	v_add_co_u32_e32 v11, vcc, s93, v11
	v_addc_co_u32_e32 v12, vcc, v13, v12, vcc
	global_load_dwordx2 v[13:14], v[11:12], off
	s_or_b64 s[8:9], s[8:9], exec
	s_waitcnt vmcnt(0)
	v_xor_b32_e32 v14, 0x80000000, v14
.LBB34_54:
	s_or_b64 exec, exec, s[0:1]
.LBB34_55:
	s_and_saveexec_b64 s[0:1], s[8:9]
; %bb.56:
	v_lshlrev_b32_e32 v11, 3, v0
	v_lshl_add_u32 v1, v1, 9, v11
	ds_write_b64 v1, v[13:14]
; %bb.57:
	s_or_b64 exec, exec, s[0:1]
	s_cmp_lt_i32 s6, 5
	s_cselect_b64 s[0:1], -1, 0
	s_or_b64 s[24:25], s[0:1], s[18:19]
	s_and_b64 vcc, exec, s[24:25]
	s_waitcnt vmcnt(0) lgkmcnt(0)
	s_barrier
	s_cbranch_vccnz .LBB34_925
; %bb.58:
	v_or_b32_e32 v1, v0, v2
	v_cmp_eq_u32_e32 vcc, 0, v1
	s_and_saveexec_b64 s[0:1], vcc
	s_cbranch_execz .LBB34_60
; %bb.59:
	v_mov_b32_e32 v1, 0
	ds_read_b128 v[11:14], v1
	ds_read_b64 v[15:16], v1 offset:520
	s_waitcnt lgkmcnt(0)
	v_mul_f64 v[11:12], v[11:12], v[15:16]
	v_mul_f64 v[11:12], v[13:14], v[11:12]
	ds_write_b64 v1, v[11:12] offset:8
.LBB34_60:
	s_or_b64 exec, exec, s[0:1]
	v_lshl_add_u32 v14, v2, 6, v0
	v_and_b32_e32 v16, 1, v0
	v_lshrrev_b32_e32 v15, 1, v14
	v_lshlrev_b32_e32 v1, 3, v16
	v_mov_b32_e32 v11, 0
	v_cmp_lt_u32_e64 s[2:3], 3, v14
	v_cmp_gt_u32_e64 s[0:1], 4, v14
	v_mov_b32_e32 v12, 0
	v_lshl_or_b32 v1, v15, 9, v1
	s_waitcnt lgkmcnt(0)
	s_barrier
	s_and_saveexec_b64 s[10:11], s[0:1]
	s_cbranch_execz .LBB34_64
; %bb.61:
	v_mul_u32_u24_e32 v13, 0x208, v15
	ds_read_b64 v[11:12], v1 offset:16
	ds_read_b64 v[17:18], v13
	v_cmp_gt_u32_e64 s[8:9], 2, v14
	s_waitcnt lgkmcnt(0)
	v_fma_f64 v[11:12], v[11:12], v[17:18], 0
	s_and_saveexec_b64 s[12:13], s[8:9]
	s_cbranch_execz .LBB34_63
; %bb.62:
	v_lshlrev_b32_e32 v13, 3, v0
	v_mov_b32_e32 v19, 0
	ds_read_b64 v[17:18], v13 offset:528
	ds_read_b64 v[19:20], v19 offset:8
	s_waitcnt lgkmcnt(0)
	v_fma_f64 v[11:12], v[17:18], v[19:20], v[11:12]
.LBB34_63:
	s_or_b64 exec, exec, s[12:13]
	v_xor_b32_e32 v12, 0x80000000, v12
.LBB34_64:
                                        ; implicit-def: $vgpr41 : SGPR spill to VGPR lane
	v_writelane_b32 v41, s22, 0
	v_writelane_b32 v41, s23, 1
	s_or_b64 exec, exec, s[10:11]
	v_mov_b32_e32 v13, 0x8000
	v_cmp_eq_u32_e64 s[8:9], 0, v16
	s_xor_b64 s[10:11], s[2:3], -1
	v_lshl_add_u32 v13, v15, 3, v13
	s_and_b64 s[38:39], s[8:9], s[10:11]
	s_and_saveexec_b64 s[2:3], s[38:39]
	s_cbranch_execz .LBB34_66
; %bb.65:
	v_mov_b32_e32 v17, 0
	ds_read_b64 v[17:18], v17 offset:1040
	s_waitcnt lgkmcnt(0)
	v_mul_f64 v[11:12], v[11:12], v[17:18]
	ds_write_b64 v13, v[11:12]
.LBB34_66:
	s_or_b64 exec, exec, s[2:3]
	v_cmp_ne_u32_e64 s[2:3], 0, v16
	s_and_b64 s[36:37], s[2:3], s[10:11]
	s_waitcnt lgkmcnt(0)
	s_barrier
	s_and_saveexec_b64 s[2:3], s[36:37]
	s_cbranch_execz .LBB34_68
; %bb.67:
	v_mov_b32_e32 v16, 0
	ds_read_b64 v[16:17], v16 offset:1048
	ds_read_b64 v[18:19], v13
	s_waitcnt lgkmcnt(0)
	v_fma_f64 v[11:12], v[16:17], v[18:19], v[11:12]
.LBB34_68:
	s_or_b64 exec, exec, s[2:3]
	s_barrier
	s_and_saveexec_b64 s[2:3], s[36:37]
	s_cbranch_execz .LBB34_70
; %bb.69:
	v_mov_b32_e32 v16, 0
	ds_read_b64 v[16:17], v16 offset:1560
	s_waitcnt lgkmcnt(0)
	v_mul_f64 v[11:12], v[11:12], v[16:17]
	ds_write_b64 v13, v[11:12]
.LBB34_70:
	s_or_b64 exec, exec, s[2:3]
	s_waitcnt lgkmcnt(0)
	s_barrier
	s_barrier
	s_and_saveexec_b64 s[2:3], s[0:1]
; %bb.71:
	v_xor_b32_e32 v12, 0x80000000, v12
	ds_write_b64 v1, v[11:12] offset:16
; %bb.72:
	s_or_b64 exec, exec, s[2:3]
	s_waitcnt lgkmcnt(0)
	s_barrier
	s_barrier
	s_and_saveexec_b64 s[2:3], vcc
	s_cbranch_execz .LBB34_74
; %bb.73:
	v_mov_b32_e32 v20, 0
	ds_read_b128 v[16:19], v20 offset:1040
	ds_read_b64 v[11:12], v20 offset:1560
	s_waitcnt lgkmcnt(0)
	v_mul_f64 v[11:12], v[16:17], v[11:12]
	v_mul_f64 v[11:12], v[18:19], v[11:12]
	ds_write_b64 v20, v[11:12] offset:1048
.LBB34_74:
	s_or_b64 exec, exec, s[2:3]
	v_and_b32_e32 v19, 3, v0
	v_lshrrev_b32_e32 v20, 2, v14
	v_lshlrev_b32_e32 v17, 3, v19
	v_mov_b32_e32 v11, 0
	v_cmp_lt_u32_e64 s[8:9], 15, v14
	v_cmp_gt_u32_e64 s[2:3], 16, v14
	v_mov_b32_e32 v12, 0
	v_lshl_or_b32 v16, v20, 9, v17
	s_waitcnt lgkmcnt(0)
	s_barrier
	s_and_saveexec_b64 s[12:13], s[2:3]
	s_cbranch_execz .LBB34_80
; %bb.75:
	v_mul_u32_u24_e32 v18, 0x208, v20
	ds_read_b64 v[11:12], v16 offset:32
	ds_read_b64 v[21:22], v18
	v_cmp_gt_u32_e64 s[10:11], 12, v14
	s_waitcnt lgkmcnt(0)
	v_fma_f64 v[11:12], v[11:12], v[21:22], 0
	s_and_saveexec_b64 s[14:15], s[10:11]
	s_cbranch_execnz .LBB34_1036
; %bb.76:
	s_or_b64 exec, exec, s[14:15]
	v_cmp_gt_u32_e64 s[10:11], 8, v14
	s_and_saveexec_b64 s[14:15], s[10:11]
	s_cbranch_execnz .LBB34_1037
.LBB34_77:
	s_or_b64 exec, exec, s[14:15]
	v_cmp_gt_u32_e64 s[10:11], 4, v14
	s_and_saveexec_b64 s[14:15], s[10:11]
	s_cbranch_execz .LBB34_79
.LBB34_78:
	v_lshlrev_b32_e32 v18, 3, v0
	v_mov_b32_e32 v23, 0
	ds_read_b64 v[21:22], v18 offset:1568
	ds_read_b64 v[23:24], v23 offset:24
	s_waitcnt lgkmcnt(0)
	v_fma_f64 v[11:12], v[21:22], v[23:24], v[11:12]
.LBB34_79:
	s_or_b64 exec, exec, s[14:15]
	v_xor_b32_e32 v12, 0x80000000, v12
.LBB34_80:
	s_or_b64 exec, exec, s[12:13]
	v_mov_b32_e32 v18, 0x8000
	v_cmp_eq_u32_e64 s[10:11], 0, v19
	s_xor_b64 s[12:13], s[8:9], -1
	v_lshl_add_u32 v18, v20, 3, v18
	s_and_b64 s[42:43], s[10:11], s[12:13]
	s_and_saveexec_b64 s[8:9], s[42:43]
	s_cbranch_execz .LBB34_82
; %bb.81:
	v_mov_b32_e32 v21, 0
	ds_read_b64 v[21:22], v21 offset:2080
	s_waitcnt lgkmcnt(0)
	v_mul_f64 v[11:12], v[11:12], v[21:22]
	ds_write_b64 v18, v[11:12]
.LBB34_82:
	s_or_b64 exec, exec, s[8:9]
	v_cmp_ne_u32_e64 s[8:9], 0, v19
	s_and_b64 s[44:45], s[8:9], s[12:13]
	s_waitcnt lgkmcnt(0)
	s_barrier
	s_and_saveexec_b64 s[8:9], s[44:45]
	s_cbranch_execz .LBB34_84
; %bb.83:
	ds_read_b64 v[21:22], v17 offset:2080
	ds_read_b64 v[23:24], v18
	s_waitcnt lgkmcnt(0)
	v_fma_f64 v[11:12], v[21:22], v[23:24], v[11:12]
.LBB34_84:
	s_or_b64 exec, exec, s[8:9]
	v_cmp_eq_u32_e64 s[8:9], 1, v19
	s_and_b64 s[46:47], s[8:9], s[12:13]
	s_barrier
	s_and_saveexec_b64 s[8:9], s[46:47]
	s_cbranch_execz .LBB34_86
; %bb.85:
	v_mov_b32_e32 v21, 0
	ds_read_b64 v[21:22], v21 offset:2600
	s_waitcnt lgkmcnt(0)
	v_mul_f64 v[11:12], v[11:12], v[21:22]
	ds_write_b64 v18, v[11:12]
.LBB34_86:
	s_or_b64 exec, exec, s[8:9]
	v_cmp_lt_u32_e64 s[8:9], 1, v19
	s_and_b64 s[48:49], s[8:9], s[12:13]
	s_waitcnt lgkmcnt(0)
	s_barrier
	s_and_saveexec_b64 s[8:9], s[48:49]
	s_cbranch_execz .LBB34_88
; %bb.87:
	ds_read_b64 v[21:22], v17 offset:2592
	ds_read_b64 v[23:24], v18
	s_waitcnt lgkmcnt(0)
	v_fma_f64 v[11:12], v[21:22], v[23:24], v[11:12]
.LBB34_88:
	s_or_b64 exec, exec, s[8:9]
	v_cmp_eq_u32_e64 s[8:9], 2, v19
	s_and_b64 s[50:51], s[8:9], s[12:13]
	s_barrier
	s_and_saveexec_b64 s[8:9], s[50:51]
	s_cbranch_execz .LBB34_90
; %bb.89:
	v_mov_b32_e32 v21, 0
	ds_read_b64 v[21:22], v21 offset:3120
	s_waitcnt lgkmcnt(0)
	v_mul_f64 v[11:12], v[11:12], v[21:22]
	ds_write_b64 v18, v[11:12]
.LBB34_90:
	s_or_b64 exec, exec, s[8:9]
	v_cmp_eq_u32_e64 s[8:9], 3, v19
	s_and_b64 s[40:41], s[8:9], s[12:13]
	s_waitcnt lgkmcnt(0)
	s_barrier
	s_and_saveexec_b64 s[8:9], s[40:41]
	s_cbranch_execz .LBB34_92
; %bb.91:
	v_mov_b32_e32 v21, 0
	ds_read_b64 v[21:22], v21 offset:3128
	ds_read_b64 v[23:24], v18
	s_waitcnt lgkmcnt(0)
	v_fma_f64 v[11:12], v[21:22], v[23:24], v[11:12]
.LBB34_92:
	s_or_b64 exec, exec, s[8:9]
	s_barrier
	s_and_saveexec_b64 s[8:9], s[40:41]
	s_cbranch_execz .LBB34_94
; %bb.93:
	v_mov_b32_e32 v21, 0
	ds_read_b64 v[21:22], v21 offset:3640
	s_waitcnt lgkmcnt(0)
	v_mul_f64 v[11:12], v[11:12], v[21:22]
	ds_write_b64 v18, v[11:12]
.LBB34_94:
	s_or_b64 exec, exec, s[8:9]
	s_waitcnt lgkmcnt(0)
	s_barrier
	s_barrier
	s_and_saveexec_b64 s[8:9], s[2:3]
; %bb.95:
	v_xor_b32_e32 v12, 0x80000000, v12
	ds_write_b64 v16, v[11:12] offset:32
; %bb.96:
	s_or_b64 exec, exec, s[8:9]
	s_waitcnt lgkmcnt(0)
	s_barrier
	s_barrier
	s_and_saveexec_b64 s[8:9], vcc
	s_cbranch_execz .LBB34_98
; %bb.97:
	v_mov_b32_e32 v25, 0
	ds_read_b128 v[21:24], v25 offset:2080
	ds_read_b64 v[11:12], v25 offset:2600
	s_waitcnt lgkmcnt(0)
	v_mul_f64 v[11:12], v[21:22], v[11:12]
	v_mul_f64 v[11:12], v[23:24], v[11:12]
	ds_write_b64 v25, v[11:12] offset:2088
.LBB34_98:
	s_or_b64 exec, exec, s[8:9]
	v_mov_b32_e32 v11, 0
	v_mov_b32_e32 v12, 0
	s_waitcnt lgkmcnt(0)
	s_barrier
	s_and_saveexec_b64 s[10:11], s[0:1]
	s_cbranch_execz .LBB34_102
; %bb.99:
	v_mul_u32_u24_e32 v21, 0x208, v15
	ds_read_b64 v[11:12], v1 offset:2096
	ds_read_b64 v[21:22], v21 offset:2080
	v_cmp_gt_u32_e64 s[8:9], 2, v14
	s_waitcnt lgkmcnt(0)
	v_fma_f64 v[11:12], v[11:12], v[21:22], 0
	s_and_saveexec_b64 s[12:13], s[8:9]
	s_cbranch_execz .LBB34_101
; %bb.100:
	v_lshlrev_b32_e32 v21, 3, v0
	v_mov_b32_e32 v23, 0
	ds_read_b64 v[21:22], v21 offset:2608
	ds_read_b64 v[23:24], v23 offset:2088
	s_waitcnt lgkmcnt(0)
	v_fma_f64 v[11:12], v[21:22], v[23:24], v[11:12]
.LBB34_101:
	s_or_b64 exec, exec, s[12:13]
	v_xor_b32_e32 v12, 0x80000000, v12
.LBB34_102:
	s_or_b64 exec, exec, s[10:11]
	s_and_saveexec_b64 s[8:9], s[38:39]
	s_cbranch_execz .LBB34_104
; %bb.103:
	v_mov_b32_e32 v21, 0
	ds_read_b64 v[21:22], v21 offset:3120
	s_waitcnt lgkmcnt(0)
	v_mul_f64 v[11:12], v[11:12], v[21:22]
	ds_write_b64 v13, v[11:12]
.LBB34_104:
	s_or_b64 exec, exec, s[8:9]
	s_waitcnt lgkmcnt(0)
	s_barrier
	s_and_saveexec_b64 s[8:9], s[36:37]
	s_cbranch_execz .LBB34_106
; %bb.105:
	v_mov_b32_e32 v21, 0
	ds_read_b64 v[21:22], v21 offset:3128
	ds_read_b64 v[23:24], v13
	s_waitcnt lgkmcnt(0)
	v_fma_f64 v[11:12], v[21:22], v[23:24], v[11:12]
.LBB34_106:
	s_or_b64 exec, exec, s[8:9]
	s_barrier
	s_and_saveexec_b64 s[8:9], s[36:37]
	s_cbranch_execz .LBB34_108
; %bb.107:
	v_mov_b32_e32 v21, 0
	ds_read_b64 v[21:22], v21 offset:3640
	s_waitcnt lgkmcnt(0)
	v_mul_f64 v[11:12], v[11:12], v[21:22]
	ds_write_b64 v13, v[11:12]
.LBB34_108:
	s_or_b64 exec, exec, s[8:9]
	s_waitcnt lgkmcnt(0)
	s_barrier
	s_barrier
	s_and_saveexec_b64 s[8:9], s[0:1]
; %bb.109:
	v_xor_b32_e32 v12, 0x80000000, v12
	ds_write_b64 v1, v[11:12] offset:2096
; %bb.110:
	s_or_b64 exec, exec, s[8:9]
	s_waitcnt lgkmcnt(0)
	s_barrier
	s_barrier
	s_and_saveexec_b64 s[8:9], vcc
	s_cbranch_execz .LBB34_112
; %bb.111:
	v_mov_b32_e32 v25, 0
	ds_read_b128 v[21:24], v25 offset:3120
	ds_read_b64 v[11:12], v25 offset:3640
	s_waitcnt lgkmcnt(0)
	v_mul_f64 v[11:12], v[21:22], v[11:12]
	v_mul_f64 v[11:12], v[23:24], v[11:12]
	ds_write_b64 v25, v[11:12] offset:3128
.LBB34_112:
	s_or_b64 exec, exec, s[8:9]
	v_and_b32_e32 v24, 7, v0
	v_lshrrev_b32_e32 v25, 3, v14
	v_lshlrev_b32_e32 v22, 3, v24
	v_mov_b32_e32 v11, 0
	v_cmp_lt_u32_e64 s[8:9], 63, v14
	v_cmp_gt_u32_e64 s[14:15], 64, v14
	v_mov_b32_e32 v12, 0
	v_lshl_or_b32 v21, v25, 9, v22
	s_waitcnt lgkmcnt(0)
	s_barrier
	s_and_saveexec_b64 s[12:13], s[14:15]
	s_cbranch_execz .LBB34_122
; %bb.113:
	v_mul_u32_u24_e32 v23, 0x208, v25
	ds_read_b64 v[11:12], v21 offset:64
	ds_read_b64 v[26:27], v23
	v_cmp_gt_u32_e64 s[10:11], 56, v14
	s_waitcnt lgkmcnt(0)
	v_fma_f64 v[11:12], v[11:12], v[26:27], 0
	s_and_saveexec_b64 s[16:17], s[10:11]
	s_cbranch_execnz .LBB34_1038
; %bb.114:
	s_or_b64 exec, exec, s[16:17]
	v_cmp_gt_u32_e64 s[10:11], 48, v14
	s_and_saveexec_b64 s[16:17], s[10:11]
	s_cbranch_execnz .LBB34_1039
.LBB34_115:
	s_or_b64 exec, exec, s[16:17]
	v_cmp_gt_u32_e64 s[10:11], 40, v14
	s_and_saveexec_b64 s[16:17], s[10:11]
	s_cbranch_execnz .LBB34_1040
.LBB34_116:
	s_or_b64 exec, exec, s[16:17]
	v_cmp_gt_u32_e64 s[10:11], 32, v14
	s_and_saveexec_b64 s[16:17], s[10:11]
	s_cbranch_execnz .LBB34_1041
.LBB34_117:
	s_or_b64 exec, exec, s[16:17]
	v_cmp_gt_u32_e64 s[10:11], 24, v14
	s_and_saveexec_b64 s[16:17], s[10:11]
	s_cbranch_execnz .LBB34_1042
.LBB34_118:
	s_or_b64 exec, exec, s[16:17]
	v_cmp_gt_u32_e64 s[10:11], 16, v14
	s_and_saveexec_b64 s[16:17], s[10:11]
	s_cbranch_execnz .LBB34_1043
.LBB34_119:
	s_or_b64 exec, exec, s[16:17]
	v_cmp_gt_u32_e64 s[10:11], 8, v14
	s_and_saveexec_b64 s[16:17], s[10:11]
	s_cbranch_execz .LBB34_121
.LBB34_120:
	v_lshlrev_b32_e32 v23, 3, v0
	v_mov_b32_e32 v28, 0
	ds_read_b64 v[26:27], v23 offset:3648
	ds_read_b64 v[28:29], v28 offset:56
	s_waitcnt lgkmcnt(0)
	v_fma_f64 v[11:12], v[26:27], v[28:29], v[11:12]
.LBB34_121:
	s_or_b64 exec, exec, s[16:17]
	v_xor_b32_e32 v12, 0x80000000, v12
.LBB34_122:
	v_writelane_b32 v41, s52, 2
	s_or_b64 exec, exec, s[12:13]
	v_mov_b32_e32 v23, 0x8000
	v_cmp_eq_u32_e64 s[10:11], 0, v24
	s_xor_b64 s[12:13], s[8:9], -1
	v_lshl_add_u32 v23, v25, 3, v23
	s_and_b64 s[52:53], s[10:11], s[12:13]
	s_and_saveexec_b64 s[8:9], s[52:53]
	s_cbranch_execz .LBB34_124
; %bb.123:
	v_mov_b32_e32 v26, 0
	ds_read_b64 v[26:27], v26 offset:4160
	s_waitcnt lgkmcnt(0)
	v_mul_f64 v[11:12], v[11:12], v[26:27]
	ds_write_b64 v23, v[11:12]
.LBB34_124:
	s_or_b64 exec, exec, s[8:9]
	v_cmp_ne_u32_e64 s[8:9], 0, v24
	s_and_b64 s[54:55], s[8:9], s[12:13]
	s_waitcnt lgkmcnt(0)
	s_barrier
	s_and_saveexec_b64 s[8:9], s[54:55]
	s_cbranch_execz .LBB34_126
; %bb.125:
	ds_read_b64 v[26:27], v22 offset:4160
	ds_read_b64 v[28:29], v23
	s_waitcnt lgkmcnt(0)
	v_fma_f64 v[11:12], v[26:27], v[28:29], v[11:12]
.LBB34_126:
	s_or_b64 exec, exec, s[8:9]
	v_cmp_eq_u32_e64 s[8:9], 1, v24
	s_and_b64 s[56:57], s[8:9], s[12:13]
	s_barrier
	s_and_saveexec_b64 s[8:9], s[56:57]
	s_cbranch_execz .LBB34_128
; %bb.127:
	v_mov_b32_e32 v26, 0
	ds_read_b64 v[26:27], v26 offset:4680
	s_waitcnt lgkmcnt(0)
	v_mul_f64 v[11:12], v[11:12], v[26:27]
	ds_write_b64 v23, v[11:12]
.LBB34_128:
	s_or_b64 exec, exec, s[8:9]
	v_cmp_lt_u32_e64 s[8:9], 1, v24
	s_and_b64 s[58:59], s[8:9], s[12:13]
	s_waitcnt lgkmcnt(0)
	s_barrier
	s_and_saveexec_b64 s[8:9], s[58:59]
	s_cbranch_execz .LBB34_130
; %bb.129:
	ds_read_b64 v[26:27], v22 offset:4672
	ds_read_b64 v[28:29], v23
	s_waitcnt lgkmcnt(0)
	v_fma_f64 v[11:12], v[26:27], v[28:29], v[11:12]
.LBB34_130:
	s_or_b64 exec, exec, s[8:9]
	v_cmp_eq_u32_e64 s[8:9], 2, v24
	s_and_b64 s[60:61], s[8:9], s[12:13]
	s_barrier
	s_and_saveexec_b64 s[8:9], s[60:61]
	s_cbranch_execz .LBB34_132
; %bb.131:
	v_mov_b32_e32 v26, 0
	ds_read_b64 v[26:27], v26 offset:5200
	s_waitcnt lgkmcnt(0)
	v_mul_f64 v[11:12], v[11:12], v[26:27]
	ds_write_b64 v23, v[11:12]
.LBB34_132:
	s_or_b64 exec, exec, s[8:9]
	v_cmp_lt_u32_e64 s[8:9], 2, v24
	;; [unrolled: 26-line block ×5, first 2 shown]
	s_and_b64 s[76:77], s[8:9], s[12:13]
	s_waitcnt lgkmcnt(0)
	s_barrier
	s_and_saveexec_b64 s[8:9], s[76:77]
	s_cbranch_execz .LBB34_146
; %bb.145:
	ds_read_b64 v[26:27], v22 offset:6720
	ds_read_b64 v[28:29], v23
	s_waitcnt lgkmcnt(0)
	v_fma_f64 v[11:12], v[26:27], v[28:29], v[11:12]
.LBB34_146:
	s_or_b64 exec, exec, s[8:9]
	v_cmp_eq_u32_e64 s[8:9], 6, v24
	s_and_b64 s[78:79], s[8:9], s[12:13]
	s_barrier
	s_and_saveexec_b64 s[8:9], s[78:79]
	s_cbranch_execz .LBB34_148
; %bb.147:
	v_mov_b32_e32 v26, 0
	ds_read_b64 v[26:27], v26 offset:7280
	s_waitcnt lgkmcnt(0)
	v_mul_f64 v[11:12], v[11:12], v[26:27]
	ds_write_b64 v23, v[11:12]
.LBB34_148:
	s_or_b64 exec, exec, s[8:9]
	v_cmp_eq_u32_e64 s[8:9], 7, v24
	s_and_b64 s[62:63], s[8:9], s[12:13]
	s_waitcnt lgkmcnt(0)
	s_barrier
	s_and_saveexec_b64 s[8:9], s[62:63]
	s_cbranch_execz .LBB34_150
; %bb.149:
	v_mov_b32_e32 v26, 0
	ds_read_b64 v[26:27], v26 offset:7288
	ds_read_b64 v[28:29], v23
	s_waitcnt lgkmcnt(0)
	v_fma_f64 v[11:12], v[26:27], v[28:29], v[11:12]
.LBB34_150:
	s_or_b64 exec, exec, s[8:9]
	s_barrier
	s_and_saveexec_b64 s[8:9], s[62:63]
	s_cbranch_execz .LBB34_152
; %bb.151:
	v_mov_b32_e32 v26, 0
	ds_read_b64 v[26:27], v26 offset:7800
	s_waitcnt lgkmcnt(0)
	v_mul_f64 v[11:12], v[11:12], v[26:27]
	ds_write_b64 v23, v[11:12]
.LBB34_152:
	s_or_b64 exec, exec, s[8:9]
	s_waitcnt lgkmcnt(0)
	s_barrier
	s_barrier
	s_and_saveexec_b64 s[8:9], s[14:15]
; %bb.153:
	v_xor_b32_e32 v12, 0x80000000, v12
	ds_write_b64 v21, v[11:12] offset:64
; %bb.154:
	s_or_b64 exec, exec, s[8:9]
	s_waitcnt lgkmcnt(0)
	s_barrier
	s_barrier
	s_and_saveexec_b64 s[8:9], vcc
	s_cbranch_execz .LBB34_156
; %bb.155:
	v_mov_b32_e32 v30, 0
	ds_read_b128 v[26:29], v30 offset:4160
	ds_read_b64 v[11:12], v30 offset:4680
	s_waitcnt lgkmcnt(0)
	v_mul_f64 v[11:12], v[26:27], v[11:12]
	v_mul_f64 v[11:12], v[28:29], v[11:12]
	ds_write_b64 v30, v[11:12] offset:4168
.LBB34_156:
	s_or_b64 exec, exec, s[8:9]
	v_mov_b32_e32 v11, 0
	v_mov_b32_e32 v12, 0
	s_waitcnt lgkmcnt(0)
	s_barrier
	s_and_saveexec_b64 s[10:11], s[0:1]
	s_cbranch_execz .LBB34_160
; %bb.157:
	v_mul_u32_u24_e32 v26, 0x208, v15
	ds_read_b64 v[11:12], v1 offset:4176
	ds_read_b64 v[26:27], v26 offset:4160
	v_cmp_gt_u32_e64 s[8:9], 2, v14
	s_waitcnt lgkmcnt(0)
	v_fma_f64 v[11:12], v[11:12], v[26:27], 0
	s_and_saveexec_b64 s[12:13], s[8:9]
	s_cbranch_execz .LBB34_159
; %bb.158:
	v_lshlrev_b32_e32 v26, 3, v0
	v_mov_b32_e32 v28, 0
	ds_read_b64 v[26:27], v26 offset:4688
	ds_read_b64 v[28:29], v28 offset:4168
	s_waitcnt lgkmcnt(0)
	v_fma_f64 v[11:12], v[26:27], v[28:29], v[11:12]
.LBB34_159:
	s_or_b64 exec, exec, s[12:13]
	v_xor_b32_e32 v12, 0x80000000, v12
.LBB34_160:
	s_or_b64 exec, exec, s[10:11]
	s_and_saveexec_b64 s[8:9], s[38:39]
	s_cbranch_execz .LBB34_162
; %bb.161:
	v_mov_b32_e32 v26, 0
	ds_read_b64 v[26:27], v26 offset:5200
	s_waitcnt lgkmcnt(0)
	v_mul_f64 v[11:12], v[11:12], v[26:27]
	ds_write_b64 v13, v[11:12]
.LBB34_162:
	s_or_b64 exec, exec, s[8:9]
	s_waitcnt lgkmcnt(0)
	s_barrier
	s_and_saveexec_b64 s[8:9], s[36:37]
	s_cbranch_execz .LBB34_164
; %bb.163:
	v_mov_b32_e32 v26, 0
	ds_read_b64 v[26:27], v26 offset:5208
	ds_read_b64 v[28:29], v13
	s_waitcnt lgkmcnt(0)
	v_fma_f64 v[11:12], v[26:27], v[28:29], v[11:12]
.LBB34_164:
	s_or_b64 exec, exec, s[8:9]
	s_barrier
	s_and_saveexec_b64 s[8:9], s[36:37]
	s_cbranch_execz .LBB34_166
; %bb.165:
	v_mov_b32_e32 v26, 0
	ds_read_b64 v[26:27], v26 offset:5720
	s_waitcnt lgkmcnt(0)
	v_mul_f64 v[11:12], v[11:12], v[26:27]
	ds_write_b64 v13, v[11:12]
.LBB34_166:
	s_or_b64 exec, exec, s[8:9]
	s_waitcnt lgkmcnt(0)
	s_barrier
	s_barrier
	s_and_saveexec_b64 s[8:9], s[0:1]
; %bb.167:
	v_xor_b32_e32 v12, 0x80000000, v12
	ds_write_b64 v1, v[11:12] offset:4176
; %bb.168:
	s_or_b64 exec, exec, s[8:9]
	s_waitcnt lgkmcnt(0)
	s_barrier
	s_barrier
	s_and_saveexec_b64 s[8:9], vcc
	s_cbranch_execz .LBB34_170
; %bb.169:
	v_mov_b32_e32 v30, 0
	ds_read_b128 v[26:29], v30 offset:5200
	ds_read_b64 v[11:12], v30 offset:5720
	s_waitcnt lgkmcnt(0)
	v_mul_f64 v[11:12], v[26:27], v[11:12]
	v_mul_f64 v[11:12], v[28:29], v[11:12]
	ds_write_b64 v30, v[11:12] offset:5208
.LBB34_170:
	s_or_b64 exec, exec, s[8:9]
	v_mov_b32_e32 v11, 0
	v_mov_b32_e32 v12, 0
	s_waitcnt lgkmcnt(0)
	s_barrier
	s_and_saveexec_b64 s[10:11], s[2:3]
	s_cbranch_execz .LBB34_176
; %bb.171:
	v_mul_u32_u24_e32 v26, 0x208, v20
	ds_read_b64 v[11:12], v16 offset:4192
	ds_read_b64 v[27:28], v26 offset:4160
	v_cmp_gt_u32_e64 s[8:9], 12, v14
	s_waitcnt lgkmcnt(0)
	v_fma_f64 v[11:12], v[11:12], v[27:28], 0
	s_and_saveexec_b64 s[12:13], s[8:9]
	s_cbranch_execnz .LBB34_1044
; %bb.172:
	s_or_b64 exec, exec, s[12:13]
	v_cmp_gt_u32_e64 s[8:9], 8, v14
	s_and_saveexec_b64 s[12:13], s[8:9]
	s_cbranch_execnz .LBB34_1045
.LBB34_173:
	s_or_b64 exec, exec, s[12:13]
	v_cmp_gt_u32_e64 s[8:9], 4, v14
	s_and_saveexec_b64 s[12:13], s[8:9]
	s_cbranch_execz .LBB34_175
.LBB34_174:
	v_lshlrev_b32_e32 v26, 3, v0
	v_mov_b32_e32 v28, 0
	ds_read_b64 v[26:27], v26 offset:5728
	ds_read_b64 v[28:29], v28 offset:4184
	s_waitcnt lgkmcnt(0)
	v_fma_f64 v[11:12], v[26:27], v[28:29], v[11:12]
.LBB34_175:
	s_or_b64 exec, exec, s[12:13]
	v_xor_b32_e32 v12, 0x80000000, v12
.LBB34_176:
	s_or_b64 exec, exec, s[10:11]
	s_and_saveexec_b64 s[8:9], s[42:43]
	s_cbranch_execz .LBB34_178
; %bb.177:
	v_mov_b32_e32 v26, 0
	ds_read_b64 v[26:27], v26 offset:6240
	s_waitcnt lgkmcnt(0)
	v_mul_f64 v[11:12], v[11:12], v[26:27]
	ds_write_b64 v18, v[11:12]
.LBB34_178:
	s_or_b64 exec, exec, s[8:9]
	s_waitcnt lgkmcnt(0)
	s_barrier
	s_and_saveexec_b64 s[8:9], s[44:45]
	s_cbranch_execz .LBB34_180
; %bb.179:
	ds_read_b64 v[26:27], v17 offset:6240
	ds_read_b64 v[28:29], v18
	s_waitcnt lgkmcnt(0)
	v_fma_f64 v[11:12], v[26:27], v[28:29], v[11:12]
.LBB34_180:
	s_or_b64 exec, exec, s[8:9]
	s_barrier
	s_and_saveexec_b64 s[8:9], s[46:47]
	s_cbranch_execz .LBB34_182
; %bb.181:
	v_mov_b32_e32 v26, 0
	ds_read_b64 v[26:27], v26 offset:6760
	s_waitcnt lgkmcnt(0)
	v_mul_f64 v[11:12], v[11:12], v[26:27]
	ds_write_b64 v18, v[11:12]
.LBB34_182:
	s_or_b64 exec, exec, s[8:9]
	s_waitcnt lgkmcnt(0)
	s_barrier
	s_and_saveexec_b64 s[8:9], s[48:49]
	s_cbranch_execz .LBB34_184
; %bb.183:
	ds_read_b64 v[26:27], v17 offset:6752
	ds_read_b64 v[28:29], v18
	s_waitcnt lgkmcnt(0)
	v_fma_f64 v[11:12], v[26:27], v[28:29], v[11:12]
.LBB34_184:
	s_or_b64 exec, exec, s[8:9]
	s_barrier
	s_and_saveexec_b64 s[8:9], s[50:51]
	s_cbranch_execz .LBB34_186
; %bb.185:
	v_mov_b32_e32 v26, 0
	ds_read_b64 v[26:27], v26 offset:7280
	s_waitcnt lgkmcnt(0)
	v_mul_f64 v[11:12], v[11:12], v[26:27]
	ds_write_b64 v18, v[11:12]
.LBB34_186:
	s_or_b64 exec, exec, s[8:9]
	s_waitcnt lgkmcnt(0)
	s_barrier
	s_and_saveexec_b64 s[8:9], s[40:41]
	s_cbranch_execz .LBB34_188
; %bb.187:
	v_mov_b32_e32 v26, 0
	ds_read_b64 v[26:27], v26 offset:7288
	ds_read_b64 v[28:29], v18
	s_waitcnt lgkmcnt(0)
	v_fma_f64 v[11:12], v[26:27], v[28:29], v[11:12]
.LBB34_188:
	s_or_b64 exec, exec, s[8:9]
	s_barrier
	s_and_saveexec_b64 s[8:9], s[40:41]
	s_cbranch_execz .LBB34_190
; %bb.189:
	v_mov_b32_e32 v26, 0
	ds_read_b64 v[26:27], v26 offset:7800
	s_waitcnt lgkmcnt(0)
	v_mul_f64 v[11:12], v[11:12], v[26:27]
	ds_write_b64 v18, v[11:12]
.LBB34_190:
	s_or_b64 exec, exec, s[8:9]
	s_waitcnt lgkmcnt(0)
	s_barrier
	s_barrier
	s_and_saveexec_b64 s[8:9], s[2:3]
; %bb.191:
	v_xor_b32_e32 v12, 0x80000000, v12
	ds_write_b64 v16, v[11:12] offset:4192
; %bb.192:
	s_or_b64 exec, exec, s[8:9]
	s_waitcnt lgkmcnt(0)
	s_barrier
	s_barrier
	s_and_saveexec_b64 s[8:9], vcc
	s_cbranch_execz .LBB34_194
; %bb.193:
	v_mov_b32_e32 v30, 0
	ds_read_b128 v[26:29], v30 offset:6240
	ds_read_b64 v[11:12], v30 offset:6760
	s_waitcnt lgkmcnt(0)
	v_mul_f64 v[11:12], v[26:27], v[11:12]
	v_mul_f64 v[11:12], v[28:29], v[11:12]
	ds_write_b64 v30, v[11:12] offset:6248
.LBB34_194:
	s_or_b64 exec, exec, s[8:9]
	v_mov_b32_e32 v11, 0
	v_mov_b32_e32 v12, 0
	s_waitcnt lgkmcnt(0)
	s_barrier
	s_and_saveexec_b64 s[10:11], s[0:1]
	s_cbranch_execz .LBB34_198
; %bb.195:
	v_mul_u32_u24_e32 v26, 0x208, v15
	ds_read_b64 v[11:12], v1 offset:6256
	ds_read_b64 v[26:27], v26 offset:6240
	v_cmp_gt_u32_e64 s[8:9], 2, v14
	s_waitcnt lgkmcnt(0)
	v_fma_f64 v[11:12], v[11:12], v[26:27], 0
	s_and_saveexec_b64 s[12:13], s[8:9]
	s_cbranch_execz .LBB34_197
; %bb.196:
	v_lshlrev_b32_e32 v26, 3, v0
	v_mov_b32_e32 v28, 0
	ds_read_b64 v[26:27], v26 offset:6768
	ds_read_b64 v[28:29], v28 offset:6248
	s_waitcnt lgkmcnt(0)
	v_fma_f64 v[11:12], v[26:27], v[28:29], v[11:12]
.LBB34_197:
	s_or_b64 exec, exec, s[12:13]
	v_xor_b32_e32 v12, 0x80000000, v12
.LBB34_198:
	s_or_b64 exec, exec, s[10:11]
	s_and_saveexec_b64 s[8:9], s[38:39]
	s_cbranch_execz .LBB34_200
; %bb.199:
	v_mov_b32_e32 v26, 0
	ds_read_b64 v[26:27], v26 offset:7280
	s_waitcnt lgkmcnt(0)
	v_mul_f64 v[11:12], v[11:12], v[26:27]
	ds_write_b64 v13, v[11:12]
.LBB34_200:
	s_or_b64 exec, exec, s[8:9]
	s_waitcnt lgkmcnt(0)
	s_barrier
	s_and_saveexec_b64 s[8:9], s[36:37]
	s_cbranch_execz .LBB34_202
; %bb.201:
	v_mov_b32_e32 v26, 0
	ds_read_b64 v[26:27], v26 offset:7288
	ds_read_b64 v[28:29], v13
	s_waitcnt lgkmcnt(0)
	v_fma_f64 v[11:12], v[26:27], v[28:29], v[11:12]
.LBB34_202:
	s_or_b64 exec, exec, s[8:9]
	s_barrier
	s_and_saveexec_b64 s[8:9], s[36:37]
	s_cbranch_execz .LBB34_204
; %bb.203:
	v_mov_b32_e32 v26, 0
	ds_read_b64 v[26:27], v26 offset:7800
	s_waitcnt lgkmcnt(0)
	v_mul_f64 v[11:12], v[11:12], v[26:27]
	ds_write_b64 v13, v[11:12]
.LBB34_204:
	s_or_b64 exec, exec, s[8:9]
	s_waitcnt lgkmcnt(0)
	s_barrier
	s_barrier
	s_and_saveexec_b64 s[8:9], s[0:1]
; %bb.205:
	v_xor_b32_e32 v12, 0x80000000, v12
	ds_write_b64 v1, v[11:12] offset:6256
; %bb.206:
	s_or_b64 exec, exec, s[8:9]
	s_waitcnt lgkmcnt(0)
	s_barrier
	s_barrier
	s_and_saveexec_b64 s[8:9], vcc
	s_cbranch_execz .LBB34_208
; %bb.207:
	v_mov_b32_e32 v30, 0
	ds_read_b128 v[26:29], v30 offset:7280
	ds_read_b64 v[11:12], v30 offset:7800
	s_waitcnt lgkmcnt(0)
	v_mul_f64 v[11:12], v[26:27], v[11:12]
	v_mul_f64 v[11:12], v[28:29], v[11:12]
	ds_write_b64 v30, v[11:12] offset:7288
.LBB34_208:
	s_or_b64 exec, exec, s[8:9]
	v_lshrrev_b32_e32 v30, 4, v14
	v_and_b32_e32 v27, 15, v0
	s_movk_i32 s8, 0xff
	v_lshlrev_b32_e32 v29, 6, v30
	v_cmp_lt_u32_e64 s[10:11], s8, v14
	s_movk_i32 s8, 0x100
	v_or_b32_e32 v26, v29, v27
	v_mov_b32_e32 v11, 0
	v_cmp_gt_u32_e64 s[8:9], s8, v14
	v_mov_b32_e32 v12, 0
	v_lshlrev_b32_e32 v26, 3, v26
	s_waitcnt lgkmcnt(0)
	s_barrier
	s_and_saveexec_b64 s[16:17], s[8:9]
	s_cbranch_execz .LBB34_236
; %bb.209:
	v_mul_u32_u24_e32 v28, 0x208, v30
	ds_read_b64 v[11:12], v26 offset:128
	ds_read_b64 v[31:32], v28
	s_movk_i32 s12, 0xf0
	v_cmp_gt_u32_e64 s[12:13], s12, v14
	s_waitcnt lgkmcnt(0)
	v_fma_f64 v[11:12], v[11:12], v[31:32], 0
	s_and_saveexec_b64 s[22:23], s[12:13]
	s_cbranch_execz .LBB34_211
; %bb.210:
	v_lshlrev_b32_e32 v31, 3, v30
	v_sub_u32_e32 v31, v28, v31
	v_lshl_add_u32 v31, v27, 3, v31
	ds_read_b64 v[31:32], v31 offset:640
	ds_read_b64 v[33:34], v28 offset:8
	s_waitcnt lgkmcnt(0)
	v_fma_f64 v[11:12], v[31:32], v[33:34], v[11:12]
.LBB34_211:
	s_or_b64 exec, exec, s[22:23]
	s_movk_i32 s12, 0xe0
	v_cmp_gt_u32_e64 s[12:13], s12, v14
	s_and_saveexec_b64 s[22:23], s[12:13]
	s_cbranch_execz .LBB34_213
; %bb.212:
	v_lshlrev_b32_e32 v31, 3, v30
	v_sub_u32_e32 v31, v28, v31
	v_lshl_add_u32 v31, v27, 3, v31
	ds_read_b64 v[31:32], v31 offset:1152
	ds_read_b64 v[33:34], v28 offset:16
	s_waitcnt lgkmcnt(0)
	v_fma_f64 v[11:12], v[31:32], v[33:34], v[11:12]
.LBB34_213:
	s_or_b64 exec, exec, s[22:23]
	s_movk_i32 s12, 0xd0
	v_cmp_gt_u32_e64 s[12:13], s12, v14
	;; [unrolled: 14-line block ×7, first 2 shown]
	s_and_saveexec_b64 s[22:23], s[12:13]
	s_cbranch_execz .LBB34_225
; %bb.224:
	ds_read_b64 v[31:32], v26 offset:4224
	ds_read_b64 v[33:34], v28 offset:64
	s_waitcnt lgkmcnt(0)
	v_fma_f64 v[11:12], v[31:32], v[33:34], v[11:12]
.LBB34_225:
	s_or_b64 exec, exec, s[22:23]
	s_movk_i32 s12, 0x70
	v_cmp_gt_u32_e64 s[12:13], s12, v14
	s_and_saveexec_b64 s[22:23], s[12:13]
	s_cbranch_execz .LBB34_227
; %bb.226:
	v_lshlrev_b32_e32 v31, 3, v30
	v_sub_u32_e32 v31, v28, v31
	v_lshl_add_u32 v31, v27, 3, v31
	ds_read_b64 v[31:32], v31 offset:4736
	ds_read_b64 v[33:34], v28 offset:72
	s_waitcnt lgkmcnt(0)
	v_fma_f64 v[11:12], v[31:32], v[33:34], v[11:12]
.LBB34_227:
	s_or_b64 exec, exec, s[22:23]
	s_movk_i32 s12, 0x60
	v_cmp_gt_u32_e64 s[12:13], s12, v14
	s_and_saveexec_b64 s[22:23], s[12:13]
	s_cbranch_execz .LBB34_229
; %bb.228:
	v_lshlrev_b32_e32 v31, 3, v27
	v_lshl_add_u32 v31, v29, 3, v31
	ds_read_b64 v[31:32], v31 offset:5248
	ds_read_b64 v[33:34], v28 offset:80
	s_waitcnt lgkmcnt(0)
	v_fma_f64 v[11:12], v[31:32], v[33:34], v[11:12]
.LBB34_229:
	s_or_b64 exec, exec, s[22:23]
	s_movk_i32 s12, 0x50
	v_cmp_gt_u32_e64 s[12:13], s12, v14
	s_and_saveexec_b64 s[22:23], s[12:13]
	s_cbranch_execnz .LBB34_1046
; %bb.230:
	s_or_b64 exec, exec, s[22:23]
	v_cmp_gt_u32_e64 s[12:13], 64, v14
	s_and_saveexec_b64 s[22:23], s[12:13]
	s_cbranch_execnz .LBB34_1047
.LBB34_231:
	s_or_b64 exec, exec, s[22:23]
	v_cmp_gt_u32_e64 s[12:13], 48, v14
	s_and_saveexec_b64 s[22:23], s[12:13]
	s_cbranch_execnz .LBB34_1048
.LBB34_232:
	s_or_b64 exec, exec, s[22:23]
	v_cmp_gt_u32_e64 s[12:13], 32, v14
	s_and_saveexec_b64 s[22:23], s[12:13]
	s_cbranch_execnz .LBB34_1049
.LBB34_233:
	s_or_b64 exec, exec, s[22:23]
	v_cmp_gt_u32_e64 s[12:13], 16, v14
	s_and_saveexec_b64 s[22:23], s[12:13]
	s_cbranch_execz .LBB34_235
.LBB34_234:
	v_lshlrev_b32_e32 v28, 3, v0
	v_mov_b32_e32 v33, 0
	ds_read_b64 v[31:32], v28 offset:7808
	ds_read_b64 v[33:34], v33 offset:120
	s_waitcnt lgkmcnt(0)
	v_fma_f64 v[11:12], v[31:32], v[33:34], v[11:12]
.LBB34_235:
	s_or_b64 exec, exec, s[22:23]
	v_xor_b32_e32 v12, 0x80000000, v12
.LBB34_236:
	s_or_b64 exec, exec, s[16:17]
	v_mov_b32_e32 v28, 0x8000
	v_lshl_add_u32 v28, v30, 3, v28
	v_cmp_eq_u32_e64 s[12:13], 0, v27
	s_xor_b64 s[16:17], s[10:11], -1
	s_and_b64 s[12:13], s[12:13], s[16:17]
	s_mov_b64 s[10:11], exec
	v_writelane_b32 v41, s12, 3
	v_writelane_b32 v41, s13, 4
	s_and_b64 s[12:13], s[10:11], s[12:13]
	s_mov_b64 exec, s[12:13]
	s_cbranch_execz .LBB34_238
; %bb.237:
	v_mov_b32_e32 v31, 0
	ds_read_b64 v[31:32], v31 offset:8320
	s_waitcnt lgkmcnt(0)
	v_mul_f64 v[11:12], v[11:12], v[31:32]
	ds_write_b64 v28, v[11:12]
.LBB34_238:
	s_or_b64 exec, exec, s[10:11]
	v_cmp_ne_u32_e64 s[10:11], 0, v27
	s_waitcnt lgkmcnt(0)
	s_barrier
	s_and_b64 s[12:13], s[10:11], s[16:17]
	s_mov_b64 s[10:11], exec
	v_writelane_b32 v41, s12, 5
	v_writelane_b32 v41, s13, 6
	s_and_b64 s[12:13], s[10:11], s[12:13]
	s_mov_b64 exec, s[12:13]
	s_cbranch_execz .LBB34_240
; %bb.239:
	v_lshlrev_b32_e32 v31, 3, v27
	ds_read_b64 v[31:32], v31 offset:8320
	ds_read_b64 v[33:34], v28
	s_waitcnt lgkmcnt(0)
	v_fma_f64 v[11:12], v[31:32], v[33:34], v[11:12]
.LBB34_240:
	s_or_b64 exec, exec, s[10:11]
	v_cmp_eq_u32_e64 s[10:11], 1, v27
	s_barrier
	s_and_b64 s[12:13], s[10:11], s[16:17]
	s_mov_b64 s[10:11], exec
	v_writelane_b32 v41, s12, 7
	v_writelane_b32 v41, s13, 8
	s_and_b64 s[12:13], s[10:11], s[12:13]
	s_mov_b64 exec, s[12:13]
	s_cbranch_execz .LBB34_242
; %bb.241:
	v_mov_b32_e32 v31, 0
	ds_read_b64 v[31:32], v31 offset:8840
	s_waitcnt lgkmcnt(0)
	v_mul_f64 v[11:12], v[11:12], v[31:32]
	ds_write_b64 v28, v[11:12]
.LBB34_242:
	s_or_b64 exec, exec, s[10:11]
	v_cmp_lt_u32_e64 s[10:11], 1, v27
	s_waitcnt lgkmcnt(0)
	s_barrier
	s_and_b64 s[12:13], s[10:11], s[16:17]
	s_mov_b64 s[10:11], exec
	v_writelane_b32 v41, s12, 9
	v_writelane_b32 v41, s13, 10
	s_and_b64 s[12:13], s[10:11], s[12:13]
	s_mov_b64 exec, s[12:13]
	s_cbranch_execz .LBB34_244
; %bb.243:
	v_lshlrev_b32_e32 v31, 3, v27
	ds_read_b64 v[31:32], v31 offset:8832
	ds_read_b64 v[33:34], v28
	s_waitcnt lgkmcnt(0)
	v_fma_f64 v[11:12], v[31:32], v[33:34], v[11:12]
.LBB34_244:
	s_or_b64 exec, exec, s[10:11]
	v_cmp_eq_u32_e64 s[10:11], 2, v27
	s_barrier
	s_and_b64 s[12:13], s[10:11], s[16:17]
	s_mov_b64 s[10:11], exec
	v_writelane_b32 v41, s12, 11
	v_writelane_b32 v41, s13, 12
	s_and_b64 s[12:13], s[10:11], s[12:13]
	s_mov_b64 exec, s[12:13]
	s_cbranch_execz .LBB34_246
; %bb.245:
	v_mov_b32_e32 v31, 0
	ds_read_b64 v[31:32], v31 offset:9360
	s_waitcnt lgkmcnt(0)
	v_mul_f64 v[11:12], v[11:12], v[31:32]
	ds_write_b64 v28, v[11:12]
.LBB34_246:
	s_or_b64 exec, exec, s[10:11]
	v_cmp_lt_u32_e64 s[10:11], 2, v27
	s_waitcnt lgkmcnt(0)
	s_barrier
	s_and_b64 s[12:13], s[10:11], s[16:17]
	s_mov_b64 s[10:11], exec
	v_writelane_b32 v41, s12, 13
	v_writelane_b32 v41, s13, 14
	s_and_b64 s[12:13], s[10:11], s[12:13]
	s_mov_b64 exec, s[12:13]
	s_cbranch_execz .LBB34_248
; %bb.247:
	v_lshlrev_b32_e32 v31, 3, v27
	ds_read_b64 v[31:32], v31 offset:9344
	ds_read_b64 v[33:34], v28
	s_waitcnt lgkmcnt(0)
	v_fma_f64 v[11:12], v[31:32], v[33:34], v[11:12]
.LBB34_248:
	s_or_b64 exec, exec, s[10:11]
	v_cmp_eq_u32_e64 s[10:11], 3, v27
	s_barrier
	s_and_b64 s[12:13], s[10:11], s[16:17]
	s_mov_b64 s[10:11], exec
	v_writelane_b32 v41, s12, 15
	v_writelane_b32 v41, s13, 16
	s_and_b64 s[12:13], s[10:11], s[12:13]
	s_mov_b64 exec, s[12:13]
	s_cbranch_execz .LBB34_250
; %bb.249:
	v_mov_b32_e32 v31, 0
	ds_read_b64 v[31:32], v31 offset:9880
	s_waitcnt lgkmcnt(0)
	v_mul_f64 v[11:12], v[11:12], v[31:32]
	ds_write_b64 v28, v[11:12]
.LBB34_250:
	s_or_b64 exec, exec, s[10:11]
	v_cmp_lt_u32_e64 s[10:11], 3, v27
	s_waitcnt lgkmcnt(0)
	s_barrier
	s_and_b64 s[12:13], s[10:11], s[16:17]
	s_mov_b64 s[10:11], exec
	v_writelane_b32 v41, s12, 17
	v_writelane_b32 v41, s13, 18
	s_and_b64 s[12:13], s[10:11], s[12:13]
	s_mov_b64 exec, s[12:13]
	s_cbranch_execz .LBB34_252
; %bb.251:
	v_lshlrev_b32_e32 v31, 3, v27
	ds_read_b64 v[31:32], v31 offset:9856
	ds_read_b64 v[33:34], v28
	s_waitcnt lgkmcnt(0)
	v_fma_f64 v[11:12], v[31:32], v[33:34], v[11:12]
.LBB34_252:
	s_or_b64 exec, exec, s[10:11]
	v_cmp_eq_u32_e64 s[10:11], 4, v27
	s_barrier
	s_and_b64 s[12:13], s[10:11], s[16:17]
	s_mov_b64 s[10:11], exec
	v_writelane_b32 v41, s12, 19
	v_writelane_b32 v41, s13, 20
	s_and_b64 s[12:13], s[10:11], s[12:13]
	s_mov_b64 exec, s[12:13]
	s_cbranch_execz .LBB34_254
; %bb.253:
	v_mov_b32_e32 v31, 0
	ds_read_b64 v[31:32], v31 offset:10400
	s_waitcnt lgkmcnt(0)
	v_mul_f64 v[11:12], v[11:12], v[31:32]
	ds_write_b64 v28, v[11:12]
.LBB34_254:
	s_or_b64 exec, exec, s[10:11]
	v_cmp_lt_u32_e64 s[10:11], 4, v27
	s_waitcnt lgkmcnt(0)
	s_barrier
	s_and_b64 s[12:13], s[10:11], s[16:17]
	s_mov_b64 s[10:11], exec
	v_writelane_b32 v41, s12, 21
	v_writelane_b32 v41, s13, 22
	s_and_b64 s[12:13], s[10:11], s[12:13]
	s_mov_b64 exec, s[12:13]
	s_cbranch_execz .LBB34_256
; %bb.255:
	v_lshlrev_b32_e32 v31, 3, v27
	ds_read_b64 v[31:32], v31 offset:10368
	ds_read_b64 v[33:34], v28
	s_waitcnt lgkmcnt(0)
	v_fma_f64 v[11:12], v[31:32], v[33:34], v[11:12]
.LBB34_256:
	s_or_b64 exec, exec, s[10:11]
	v_cmp_eq_u32_e64 s[10:11], 5, v27
	s_barrier
	s_and_b64 s[12:13], s[10:11], s[16:17]
	s_mov_b64 s[10:11], exec
	v_writelane_b32 v41, s12, 23
	v_writelane_b32 v41, s13, 24
	s_and_b64 s[12:13], s[10:11], s[12:13]
	s_mov_b64 exec, s[12:13]
	s_cbranch_execz .LBB34_258
; %bb.257:
	v_mov_b32_e32 v31, 0
	ds_read_b64 v[31:32], v31 offset:10920
	s_waitcnt lgkmcnt(0)
	v_mul_f64 v[11:12], v[11:12], v[31:32]
	ds_write_b64 v28, v[11:12]
.LBB34_258:
	s_or_b64 exec, exec, s[10:11]
	v_cmp_lt_u32_e64 s[10:11], 5, v27
	s_waitcnt lgkmcnt(0)
	s_barrier
	s_and_b64 s[12:13], s[10:11], s[16:17]
	s_mov_b64 s[10:11], exec
	v_writelane_b32 v41, s12, 25
	v_writelane_b32 v41, s13, 26
	s_and_b64 s[12:13], s[10:11], s[12:13]
	s_mov_b64 exec, s[12:13]
	s_cbranch_execz .LBB34_260
; %bb.259:
	v_lshlrev_b32_e32 v31, 3, v27
	ds_read_b64 v[31:32], v31 offset:10880
	ds_read_b64 v[33:34], v28
	s_waitcnt lgkmcnt(0)
	v_fma_f64 v[11:12], v[31:32], v[33:34], v[11:12]
.LBB34_260:
	s_or_b64 exec, exec, s[10:11]
	v_cmp_eq_u32_e64 s[10:11], 6, v27
	s_barrier
	s_and_b64 s[12:13], s[10:11], s[16:17]
	s_mov_b64 s[10:11], exec
	v_writelane_b32 v41, s12, 27
	v_writelane_b32 v41, s13, 28
	s_and_b64 s[12:13], s[10:11], s[12:13]
	s_mov_b64 exec, s[12:13]
	s_cbranch_execz .LBB34_262
; %bb.261:
	v_mov_b32_e32 v31, 0
	ds_read_b64 v[31:32], v31 offset:11440
	s_waitcnt lgkmcnt(0)
	v_mul_f64 v[11:12], v[11:12], v[31:32]
	ds_write_b64 v28, v[11:12]
.LBB34_262:
	s_or_b64 exec, exec, s[10:11]
	v_cmp_lt_u32_e64 s[10:11], 6, v27
	s_waitcnt lgkmcnt(0)
	s_barrier
	s_and_b64 s[12:13], s[10:11], s[16:17]
	s_mov_b64 s[10:11], exec
	v_writelane_b32 v41, s12, 29
	v_writelane_b32 v41, s13, 30
	s_and_b64 s[12:13], s[10:11], s[12:13]
	s_mov_b64 exec, s[12:13]
	s_cbranch_execz .LBB34_264
; %bb.263:
	v_lshlrev_b32_e32 v31, 3, v27
	ds_read_b64 v[31:32], v31 offset:11392
	ds_read_b64 v[33:34], v28
	s_waitcnt lgkmcnt(0)
	v_fma_f64 v[11:12], v[31:32], v[33:34], v[11:12]
.LBB34_264:
	s_or_b64 exec, exec, s[10:11]
	v_cmp_eq_u32_e64 s[10:11], 7, v27
	s_barrier
	s_and_b64 s[12:13], s[10:11], s[16:17]
	s_mov_b64 s[10:11], exec
	v_writelane_b32 v41, s12, 31
	v_writelane_b32 v41, s13, 32
	s_and_b64 s[12:13], s[10:11], s[12:13]
	s_mov_b64 exec, s[12:13]
	s_cbranch_execz .LBB34_266
; %bb.265:
	v_mov_b32_e32 v31, 0
	ds_read_b64 v[31:32], v31 offset:11960
	s_waitcnt lgkmcnt(0)
	v_mul_f64 v[11:12], v[11:12], v[31:32]
	ds_write_b64 v28, v[11:12]
.LBB34_266:
	s_or_b64 exec, exec, s[10:11]
	v_cmp_lt_u32_e64 s[10:11], 7, v27
	s_waitcnt lgkmcnt(0)
	s_barrier
	s_and_b64 s[12:13], s[10:11], s[16:17]
	s_mov_b64 s[10:11], exec
	v_writelane_b32 v41, s12, 33
	v_writelane_b32 v41, s13, 34
	s_and_b64 s[12:13], s[10:11], s[12:13]
	s_mov_b64 exec, s[12:13]
	s_cbranch_execz .LBB34_268
; %bb.267:
	v_lshlrev_b32_e32 v31, 3, v27
	ds_read_b64 v[31:32], v31 offset:11904
	ds_read_b64 v[33:34], v28
	s_waitcnt lgkmcnt(0)
	v_fma_f64 v[11:12], v[31:32], v[33:34], v[11:12]
.LBB34_268:
	s_or_b64 exec, exec, s[10:11]
	v_cmp_eq_u32_e64 s[10:11], 8, v27
	s_barrier
	s_and_b64 s[12:13], s[10:11], s[16:17]
	s_mov_b64 s[10:11], exec
	v_writelane_b32 v41, s12, 35
	v_writelane_b32 v41, s13, 36
	s_and_b64 s[12:13], s[10:11], s[12:13]
	s_mov_b64 exec, s[12:13]
	s_cbranch_execz .LBB34_270
; %bb.269:
	v_mov_b32_e32 v31, 0
	ds_read_b64 v[31:32], v31 offset:12480
	s_waitcnt lgkmcnt(0)
	v_mul_f64 v[11:12], v[11:12], v[31:32]
	ds_write_b64 v28, v[11:12]
.LBB34_270:
	s_or_b64 exec, exec, s[10:11]
	v_cmp_lt_u32_e64 s[10:11], 8, v27
	s_waitcnt lgkmcnt(0)
	s_barrier
	s_and_b64 s[12:13], s[10:11], s[16:17]
	s_mov_b64 s[10:11], exec
	v_writelane_b32 v41, s12, 37
	v_writelane_b32 v41, s13, 38
	s_and_b64 s[12:13], s[10:11], s[12:13]
	s_mov_b64 exec, s[12:13]
	s_cbranch_execz .LBB34_272
; %bb.271:
	v_lshlrev_b32_e32 v31, 3, v27
	ds_read_b64 v[31:32], v31 offset:12416
	ds_read_b64 v[33:34], v28
	s_waitcnt lgkmcnt(0)
	v_fma_f64 v[11:12], v[31:32], v[33:34], v[11:12]
.LBB34_272:
	s_or_b64 exec, exec, s[10:11]
	v_cmp_eq_u32_e64 s[10:11], 9, v27
	s_barrier
	s_and_b64 s[12:13], s[10:11], s[16:17]
	s_mov_b64 s[10:11], exec
	v_writelane_b32 v41, s12, 39
	v_writelane_b32 v41, s13, 40
	s_and_b64 s[12:13], s[10:11], s[12:13]
	s_mov_b64 exec, s[12:13]
	s_cbranch_execz .LBB34_274
; %bb.273:
	v_mov_b32_e32 v31, 0
	ds_read_b64 v[31:32], v31 offset:13000
	s_waitcnt lgkmcnt(0)
	v_mul_f64 v[11:12], v[11:12], v[31:32]
	ds_write_b64 v28, v[11:12]
.LBB34_274:
	s_or_b64 exec, exec, s[10:11]
	v_cmp_lt_u32_e64 s[10:11], 9, v27
	s_waitcnt lgkmcnt(0)
	s_barrier
	s_and_b64 s[12:13], s[10:11], s[16:17]
	s_mov_b64 s[10:11], exec
	v_writelane_b32 v41, s12, 41
	v_writelane_b32 v41, s13, 42
	s_and_b64 s[12:13], s[10:11], s[12:13]
	s_mov_b64 exec, s[12:13]
	s_cbranch_execz .LBB34_276
; %bb.275:
	v_lshlrev_b32_e32 v31, 3, v27
	ds_read_b64 v[31:32], v31 offset:12928
	ds_read_b64 v[33:34], v28
	s_waitcnt lgkmcnt(0)
	v_fma_f64 v[11:12], v[31:32], v[33:34], v[11:12]
.LBB34_276:
	s_or_b64 exec, exec, s[10:11]
	v_cmp_eq_u32_e64 s[10:11], 10, v27
	s_barrier
	s_and_b64 s[12:13], s[10:11], s[16:17]
	s_mov_b64 s[10:11], exec
	v_writelane_b32 v41, s12, 43
	v_writelane_b32 v41, s13, 44
	s_and_b64 s[12:13], s[10:11], s[12:13]
	s_mov_b64 exec, s[12:13]
	s_cbranch_execz .LBB34_278
; %bb.277:
	v_mov_b32_e32 v31, 0
	ds_read_b64 v[31:32], v31 offset:13520
	s_waitcnt lgkmcnt(0)
	v_mul_f64 v[11:12], v[11:12], v[31:32]
	ds_write_b64 v28, v[11:12]
.LBB34_278:
	s_or_b64 exec, exec, s[10:11]
	v_cmp_lt_u32_e64 s[10:11], 10, v27
	s_waitcnt lgkmcnt(0)
	s_barrier
	s_and_b64 s[12:13], s[10:11], s[16:17]
	s_mov_b64 s[10:11], exec
	v_writelane_b32 v41, s12, 45
	v_writelane_b32 v41, s13, 46
	s_and_b64 s[12:13], s[10:11], s[12:13]
	s_mov_b64 exec, s[12:13]
	s_cbranch_execz .LBB34_280
; %bb.279:
	v_lshlrev_b32_e32 v31, 3, v27
	ds_read_b64 v[31:32], v31 offset:13440
	ds_read_b64 v[33:34], v28
	s_waitcnt lgkmcnt(0)
	v_fma_f64 v[11:12], v[31:32], v[33:34], v[11:12]
.LBB34_280:
	s_or_b64 exec, exec, s[10:11]
	v_cmp_eq_u32_e64 s[10:11], 11, v27
	s_barrier
	s_and_b64 s[12:13], s[10:11], s[16:17]
	s_mov_b64 s[10:11], exec
	v_writelane_b32 v41, s12, 47
	v_writelane_b32 v41, s13, 48
	s_and_b64 s[12:13], s[10:11], s[12:13]
	s_mov_b64 exec, s[12:13]
	s_cbranch_execz .LBB34_282
; %bb.281:
	v_mov_b32_e32 v31, 0
	ds_read_b64 v[31:32], v31 offset:14040
	s_waitcnt lgkmcnt(0)
	v_mul_f64 v[11:12], v[11:12], v[31:32]
	ds_write_b64 v28, v[11:12]
.LBB34_282:
	s_or_b64 exec, exec, s[10:11]
	v_cmp_lt_u32_e64 s[10:11], 11, v27
	s_waitcnt lgkmcnt(0)
	s_barrier
	s_and_b64 s[12:13], s[10:11], s[16:17]
	s_mov_b64 s[10:11], exec
	v_writelane_b32 v41, s12, 49
	v_writelane_b32 v41, s13, 50
	s_and_b64 s[12:13], s[10:11], s[12:13]
	s_mov_b64 exec, s[12:13]
	s_cbranch_execz .LBB34_284
; %bb.283:
	v_lshlrev_b32_e32 v31, 3, v27
	ds_read_b64 v[31:32], v31 offset:13952
	ds_read_b64 v[33:34], v28
	s_waitcnt lgkmcnt(0)
	v_fma_f64 v[11:12], v[31:32], v[33:34], v[11:12]
.LBB34_284:
	s_or_b64 exec, exec, s[10:11]
	v_cmp_eq_u32_e64 s[10:11], 12, v27
	s_barrier
	s_and_b64 s[12:13], s[10:11], s[16:17]
	s_mov_b64 s[10:11], exec
	v_writelane_b32 v41, s12, 51
	v_writelane_b32 v41, s13, 52
	s_and_b64 s[12:13], s[10:11], s[12:13]
	s_mov_b64 exec, s[12:13]
	s_cbranch_execz .LBB34_286
; %bb.285:
	v_mov_b32_e32 v31, 0
	ds_read_b64 v[31:32], v31 offset:14560
	s_waitcnt lgkmcnt(0)
	v_mul_f64 v[11:12], v[11:12], v[31:32]
	ds_write_b64 v28, v[11:12]
.LBB34_286:
	s_or_b64 exec, exec, s[10:11]
	v_cmp_lt_u32_e64 s[10:11], 12, v27
	s_and_b64 s[22:23], s[10:11], s[16:17]
	s_waitcnt lgkmcnt(0)
	s_barrier
	s_and_saveexec_b64 s[10:11], s[22:23]
	s_cbranch_execz .LBB34_288
; %bb.287:
	v_lshlrev_b32_e32 v31, 3, v27
	ds_read_b64 v[31:32], v31 offset:14464
	ds_read_b64 v[33:34], v28
	s_waitcnt lgkmcnt(0)
	v_fma_f64 v[11:12], v[31:32], v[33:34], v[11:12]
.LBB34_288:
	s_or_b64 exec, exec, s[10:11]
	v_cmp_eq_u32_e64 s[10:11], 13, v27
	s_and_b64 s[80:81], s[10:11], s[16:17]
	s_barrier
	s_and_saveexec_b64 s[10:11], s[80:81]
	s_cbranch_execz .LBB34_290
; %bb.289:
	v_mov_b32_e32 v31, 0
	ds_read_b64 v[31:32], v31 offset:15080
	s_waitcnt lgkmcnt(0)
	v_mul_f64 v[11:12], v[11:12], v[31:32]
	ds_write_b64 v28, v[11:12]
.LBB34_290:
	s_or_b64 exec, exec, s[10:11]
	v_cmp_lt_u32_e64 s[10:11], 13, v27
	s_and_b64 s[82:83], s[10:11], s[16:17]
	s_waitcnt lgkmcnt(0)
	s_barrier
	s_and_saveexec_b64 s[10:11], s[82:83]
	s_cbranch_execz .LBB34_292
; %bb.291:
	v_lshlrev_b32_e32 v31, 3, v27
	ds_read_b64 v[31:32], v31 offset:14976
	ds_read_b64 v[33:34], v28
	s_waitcnt lgkmcnt(0)
	v_fma_f64 v[11:12], v[31:32], v[33:34], v[11:12]
.LBB34_292:
	s_or_b64 exec, exec, s[10:11]
	v_cmp_eq_u32_e64 s[10:11], 14, v27
	s_and_b64 s[84:85], s[10:11], s[16:17]
	s_barrier
	s_and_saveexec_b64 s[10:11], s[84:85]
	s_cbranch_execz .LBB34_294
; %bb.293:
	v_mov_b32_e32 v31, 0
	ds_read_b64 v[31:32], v31 offset:15600
	s_waitcnt lgkmcnt(0)
	v_mul_f64 v[11:12], v[11:12], v[31:32]
	ds_write_b64 v28, v[11:12]
.LBB34_294:
	s_or_b64 exec, exec, s[10:11]
	v_cmp_eq_u32_e64 s[10:11], 15, v27
	s_and_b64 s[86:87], s[10:11], s[16:17]
	s_waitcnt lgkmcnt(0)
	s_barrier
	s_and_saveexec_b64 s[10:11], s[86:87]
	s_cbranch_execz .LBB34_296
; %bb.295:
	v_mov_b32_e32 v31, 0
	ds_read_b64 v[31:32], v31 offset:15608
	ds_read_b64 v[33:34], v28
	s_waitcnt lgkmcnt(0)
	v_fma_f64 v[11:12], v[31:32], v[33:34], v[11:12]
.LBB34_296:
	s_or_b64 exec, exec, s[10:11]
	s_barrier
	s_and_saveexec_b64 s[10:11], s[86:87]
	s_cbranch_execz .LBB34_298
; %bb.297:
	v_mov_b32_e32 v31, 0
	ds_read_b64 v[31:32], v31 offset:16120
	s_waitcnt lgkmcnt(0)
	v_mul_f64 v[11:12], v[11:12], v[31:32]
	ds_write_b64 v28, v[11:12]
.LBB34_298:
	s_or_b64 exec, exec, s[10:11]
	s_waitcnt lgkmcnt(0)
	s_barrier
	s_barrier
	s_and_saveexec_b64 s[10:11], s[8:9]
; %bb.299:
	v_xor_b32_e32 v12, 0x80000000, v12
	ds_write_b64 v26, v[11:12] offset:128
; %bb.300:
	s_or_b64 exec, exec, s[10:11]
	s_waitcnt lgkmcnt(0)
	s_barrier
	s_barrier
	s_and_saveexec_b64 s[10:11], vcc
	s_cbranch_execz .LBB34_302
; %bb.301:
	v_mov_b32_e32 v35, 0
	ds_read_b128 v[31:34], v35 offset:8320
	ds_read_b64 v[11:12], v35 offset:8840
	s_waitcnt lgkmcnt(0)
	v_mul_f64 v[11:12], v[31:32], v[11:12]
	v_mul_f64 v[11:12], v[33:34], v[11:12]
	ds_write_b64 v35, v[11:12] offset:8328
.LBB34_302:
	s_or_b64 exec, exec, s[10:11]
	v_mov_b32_e32 v11, 0
	v_mov_b32_e32 v12, 0
	s_waitcnt lgkmcnt(0)
	s_barrier
	s_and_saveexec_b64 s[12:13], s[0:1]
	s_cbranch_execz .LBB34_306
; %bb.303:
	v_mul_u32_u24_e32 v31, 0x208, v15
	ds_read_b64 v[11:12], v1 offset:8336
	ds_read_b64 v[31:32], v31 offset:8320
	v_cmp_gt_u32_e64 s[10:11], 2, v14
	s_waitcnt lgkmcnt(0)
	v_fma_f64 v[11:12], v[11:12], v[31:32], 0
	s_and_saveexec_b64 s[16:17], s[10:11]
	s_cbranch_execz .LBB34_305
; %bb.304:
	v_lshlrev_b32_e32 v31, 3, v0
	v_mov_b32_e32 v33, 0
	ds_read_b64 v[31:32], v31 offset:8848
	ds_read_b64 v[33:34], v33 offset:8328
	s_waitcnt lgkmcnt(0)
	v_fma_f64 v[11:12], v[31:32], v[33:34], v[11:12]
.LBB34_305:
	s_or_b64 exec, exec, s[16:17]
	v_xor_b32_e32 v12, 0x80000000, v12
.LBB34_306:
	s_or_b64 exec, exec, s[12:13]
	s_and_saveexec_b64 s[10:11], s[38:39]
	s_cbranch_execz .LBB34_308
; %bb.307:
	v_mov_b32_e32 v31, 0
	ds_read_b64 v[31:32], v31 offset:9360
	s_waitcnt lgkmcnt(0)
	v_mul_f64 v[11:12], v[11:12], v[31:32]
	ds_write_b64 v13, v[11:12]
.LBB34_308:
	s_or_b64 exec, exec, s[10:11]
	s_waitcnt lgkmcnt(0)
	s_barrier
	s_and_saveexec_b64 s[10:11], s[36:37]
	s_cbranch_execz .LBB34_310
; %bb.309:
	v_mov_b32_e32 v31, 0
	ds_read_b64 v[31:32], v31 offset:9368
	ds_read_b64 v[33:34], v13
	s_waitcnt lgkmcnt(0)
	v_fma_f64 v[11:12], v[31:32], v[33:34], v[11:12]
.LBB34_310:
	s_or_b64 exec, exec, s[10:11]
	s_barrier
	s_and_saveexec_b64 s[10:11], s[36:37]
	s_cbranch_execz .LBB34_312
; %bb.311:
	v_mov_b32_e32 v31, 0
	ds_read_b64 v[31:32], v31 offset:9880
	s_waitcnt lgkmcnt(0)
	v_mul_f64 v[11:12], v[11:12], v[31:32]
	ds_write_b64 v13, v[11:12]
.LBB34_312:
	s_or_b64 exec, exec, s[10:11]
	s_waitcnt lgkmcnt(0)
	s_barrier
	s_barrier
	s_and_saveexec_b64 s[10:11], s[0:1]
; %bb.313:
	v_xor_b32_e32 v12, 0x80000000, v12
	ds_write_b64 v1, v[11:12] offset:8336
; %bb.314:
	s_or_b64 exec, exec, s[10:11]
	s_waitcnt lgkmcnt(0)
	s_barrier
	s_barrier
	s_and_saveexec_b64 s[10:11], vcc
	s_cbranch_execz .LBB34_316
; %bb.315:
	v_mov_b32_e32 v35, 0
	ds_read_b128 v[31:34], v35 offset:9360
	ds_read_b64 v[11:12], v35 offset:9880
	s_waitcnt lgkmcnt(0)
	v_mul_f64 v[11:12], v[31:32], v[11:12]
	v_mul_f64 v[11:12], v[33:34], v[11:12]
	ds_write_b64 v35, v[11:12] offset:9368
.LBB34_316:
	s_or_b64 exec, exec, s[10:11]
	v_mov_b32_e32 v11, 0
	v_mov_b32_e32 v12, 0
	s_waitcnt lgkmcnt(0)
	s_barrier
	s_and_saveexec_b64 s[12:13], s[2:3]
	s_cbranch_execz .LBB34_322
; %bb.317:
	v_mul_u32_u24_e32 v31, 0x208, v20
	ds_read_b64 v[11:12], v16 offset:8352
	ds_read_b64 v[32:33], v31 offset:8320
	v_cmp_gt_u32_e64 s[10:11], 12, v14
	s_waitcnt lgkmcnt(0)
	v_fma_f64 v[11:12], v[11:12], v[32:33], 0
	s_and_saveexec_b64 s[16:17], s[10:11]
	s_cbranch_execnz .LBB34_1050
; %bb.318:
	s_or_b64 exec, exec, s[16:17]
	v_cmp_gt_u32_e64 s[10:11], 8, v14
	s_and_saveexec_b64 s[16:17], s[10:11]
	s_cbranch_execnz .LBB34_1051
.LBB34_319:
	s_or_b64 exec, exec, s[16:17]
	v_cmp_gt_u32_e64 s[10:11], 4, v14
	s_and_saveexec_b64 s[16:17], s[10:11]
	s_cbranch_execz .LBB34_321
.LBB34_320:
	v_lshlrev_b32_e32 v31, 3, v0
	v_mov_b32_e32 v33, 0
	ds_read_b64 v[31:32], v31 offset:9888
	ds_read_b64 v[33:34], v33 offset:8344
	s_waitcnt lgkmcnt(0)
	v_fma_f64 v[11:12], v[31:32], v[33:34], v[11:12]
.LBB34_321:
	s_or_b64 exec, exec, s[16:17]
	v_xor_b32_e32 v12, 0x80000000, v12
.LBB34_322:
	s_or_b64 exec, exec, s[12:13]
	s_and_saveexec_b64 s[10:11], s[42:43]
	s_cbranch_execz .LBB34_324
; %bb.323:
	v_mov_b32_e32 v31, 0
	ds_read_b64 v[31:32], v31 offset:10400
	s_waitcnt lgkmcnt(0)
	v_mul_f64 v[11:12], v[11:12], v[31:32]
	ds_write_b64 v18, v[11:12]
.LBB34_324:
	s_or_b64 exec, exec, s[10:11]
	s_waitcnt lgkmcnt(0)
	s_barrier
	s_and_saveexec_b64 s[10:11], s[44:45]
	s_cbranch_execz .LBB34_326
; %bb.325:
	ds_read_b64 v[31:32], v17 offset:10400
	ds_read_b64 v[33:34], v18
	s_waitcnt lgkmcnt(0)
	v_fma_f64 v[11:12], v[31:32], v[33:34], v[11:12]
.LBB34_326:
	s_or_b64 exec, exec, s[10:11]
	s_barrier
	s_and_saveexec_b64 s[10:11], s[46:47]
	s_cbranch_execz .LBB34_328
; %bb.327:
	v_mov_b32_e32 v31, 0
	ds_read_b64 v[31:32], v31 offset:10920
	s_waitcnt lgkmcnt(0)
	v_mul_f64 v[11:12], v[11:12], v[31:32]
	ds_write_b64 v18, v[11:12]
.LBB34_328:
	s_or_b64 exec, exec, s[10:11]
	s_waitcnt lgkmcnt(0)
	s_barrier
	s_and_saveexec_b64 s[10:11], s[48:49]
	s_cbranch_execz .LBB34_330
; %bb.329:
	ds_read_b64 v[31:32], v17 offset:10912
	ds_read_b64 v[33:34], v18
	s_waitcnt lgkmcnt(0)
	v_fma_f64 v[11:12], v[31:32], v[33:34], v[11:12]
.LBB34_330:
	s_or_b64 exec, exec, s[10:11]
	s_barrier
	s_and_saveexec_b64 s[10:11], s[50:51]
	s_cbranch_execz .LBB34_332
; %bb.331:
	v_mov_b32_e32 v31, 0
	ds_read_b64 v[31:32], v31 offset:11440
	s_waitcnt lgkmcnt(0)
	v_mul_f64 v[11:12], v[11:12], v[31:32]
	ds_write_b64 v18, v[11:12]
.LBB34_332:
	s_or_b64 exec, exec, s[10:11]
	s_waitcnt lgkmcnt(0)
	s_barrier
	s_and_saveexec_b64 s[10:11], s[40:41]
	s_cbranch_execz .LBB34_334
; %bb.333:
	v_mov_b32_e32 v31, 0
	ds_read_b64 v[31:32], v31 offset:11448
	ds_read_b64 v[33:34], v18
	s_waitcnt lgkmcnt(0)
	v_fma_f64 v[11:12], v[31:32], v[33:34], v[11:12]
.LBB34_334:
	s_or_b64 exec, exec, s[10:11]
	s_barrier
	s_and_saveexec_b64 s[10:11], s[40:41]
	s_cbranch_execz .LBB34_336
; %bb.335:
	v_mov_b32_e32 v31, 0
	ds_read_b64 v[31:32], v31 offset:11960
	s_waitcnt lgkmcnt(0)
	v_mul_f64 v[11:12], v[11:12], v[31:32]
	ds_write_b64 v18, v[11:12]
.LBB34_336:
	s_or_b64 exec, exec, s[10:11]
	s_waitcnt lgkmcnt(0)
	s_barrier
	s_barrier
	s_and_saveexec_b64 s[10:11], s[2:3]
; %bb.337:
	v_xor_b32_e32 v12, 0x80000000, v12
	ds_write_b64 v16, v[11:12] offset:8352
; %bb.338:
	s_or_b64 exec, exec, s[10:11]
	s_waitcnt lgkmcnt(0)
	s_barrier
	s_barrier
	s_and_saveexec_b64 s[10:11], vcc
	s_cbranch_execz .LBB34_340
; %bb.339:
	v_mov_b32_e32 v35, 0
	ds_read_b128 v[31:34], v35 offset:10400
	ds_read_b64 v[11:12], v35 offset:10920
	s_waitcnt lgkmcnt(0)
	v_mul_f64 v[11:12], v[31:32], v[11:12]
	v_mul_f64 v[11:12], v[33:34], v[11:12]
	ds_write_b64 v35, v[11:12] offset:10408
.LBB34_340:
	s_or_b64 exec, exec, s[10:11]
	v_mov_b32_e32 v11, 0
	v_mov_b32_e32 v12, 0
	s_waitcnt lgkmcnt(0)
	s_barrier
	s_and_saveexec_b64 s[12:13], s[0:1]
	s_cbranch_execz .LBB34_344
; %bb.341:
	v_mul_u32_u24_e32 v31, 0x208, v15
	ds_read_b64 v[11:12], v1 offset:10416
	ds_read_b64 v[31:32], v31 offset:10400
	v_cmp_gt_u32_e64 s[10:11], 2, v14
	s_waitcnt lgkmcnt(0)
	v_fma_f64 v[11:12], v[11:12], v[31:32], 0
	s_and_saveexec_b64 s[16:17], s[10:11]
	s_cbranch_execz .LBB34_343
; %bb.342:
	v_lshlrev_b32_e32 v31, 3, v0
	v_mov_b32_e32 v33, 0
	ds_read_b64 v[31:32], v31 offset:10928
	ds_read_b64 v[33:34], v33 offset:10408
	s_waitcnt lgkmcnt(0)
	v_fma_f64 v[11:12], v[31:32], v[33:34], v[11:12]
.LBB34_343:
	s_or_b64 exec, exec, s[16:17]
	v_xor_b32_e32 v12, 0x80000000, v12
.LBB34_344:
	s_or_b64 exec, exec, s[12:13]
	s_and_saveexec_b64 s[10:11], s[38:39]
	s_cbranch_execz .LBB34_346
; %bb.345:
	v_mov_b32_e32 v31, 0
	ds_read_b64 v[31:32], v31 offset:11440
	s_waitcnt lgkmcnt(0)
	v_mul_f64 v[11:12], v[11:12], v[31:32]
	ds_write_b64 v13, v[11:12]
.LBB34_346:
	s_or_b64 exec, exec, s[10:11]
	s_waitcnt lgkmcnt(0)
	s_barrier
	s_and_saveexec_b64 s[10:11], s[36:37]
	s_cbranch_execz .LBB34_348
; %bb.347:
	v_mov_b32_e32 v31, 0
	ds_read_b64 v[31:32], v31 offset:11448
	ds_read_b64 v[33:34], v13
	s_waitcnt lgkmcnt(0)
	v_fma_f64 v[11:12], v[31:32], v[33:34], v[11:12]
.LBB34_348:
	s_or_b64 exec, exec, s[10:11]
	s_barrier
	s_and_saveexec_b64 s[10:11], s[36:37]
	s_cbranch_execz .LBB34_350
; %bb.349:
	v_mov_b32_e32 v31, 0
	ds_read_b64 v[31:32], v31 offset:11960
	s_waitcnt lgkmcnt(0)
	v_mul_f64 v[11:12], v[11:12], v[31:32]
	ds_write_b64 v13, v[11:12]
.LBB34_350:
	s_or_b64 exec, exec, s[10:11]
	s_waitcnt lgkmcnt(0)
	s_barrier
	s_barrier
	s_and_saveexec_b64 s[10:11], s[0:1]
; %bb.351:
	v_xor_b32_e32 v12, 0x80000000, v12
	ds_write_b64 v1, v[11:12] offset:10416
; %bb.352:
	s_or_b64 exec, exec, s[10:11]
	s_waitcnt lgkmcnt(0)
	s_barrier
	s_barrier
	s_and_saveexec_b64 s[10:11], vcc
	s_cbranch_execz .LBB34_354
; %bb.353:
	v_mov_b32_e32 v35, 0
	ds_read_b128 v[31:34], v35 offset:11440
	ds_read_b64 v[11:12], v35 offset:11960
	s_waitcnt lgkmcnt(0)
	v_mul_f64 v[11:12], v[31:32], v[11:12]
	v_mul_f64 v[11:12], v[33:34], v[11:12]
	ds_write_b64 v35, v[11:12] offset:11448
.LBB34_354:
	s_or_b64 exec, exec, s[10:11]
	v_mov_b32_e32 v11, 0
	v_mov_b32_e32 v12, 0
	s_waitcnt lgkmcnt(0)
	s_barrier
	s_and_saveexec_b64 s[12:13], s[14:15]
	s_cbranch_execz .LBB34_364
; %bb.355:
	v_mul_u32_u24_e32 v31, 0x208, v25
	ds_read_b64 v[11:12], v21 offset:8384
	ds_read_b64 v[32:33], v31 offset:8320
	v_cmp_gt_u32_e64 s[10:11], 56, v14
	s_waitcnt lgkmcnt(0)
	v_fma_f64 v[11:12], v[11:12], v[32:33], 0
	s_and_saveexec_b64 s[16:17], s[10:11]
	s_cbranch_execnz .LBB34_1052
; %bb.356:
	s_or_b64 exec, exec, s[16:17]
	v_cmp_gt_u32_e64 s[10:11], 48, v14
	s_and_saveexec_b64 s[16:17], s[10:11]
	s_cbranch_execnz .LBB34_1053
.LBB34_357:
	s_or_b64 exec, exec, s[16:17]
	v_cmp_gt_u32_e64 s[10:11], 40, v14
	s_and_saveexec_b64 s[16:17], s[10:11]
	s_cbranch_execnz .LBB34_1054
.LBB34_358:
	s_or_b64 exec, exec, s[16:17]
	v_cmp_gt_u32_e64 s[10:11], 32, v14
	s_and_saveexec_b64 s[16:17], s[10:11]
	s_cbranch_execnz .LBB34_1055
.LBB34_359:
	s_or_b64 exec, exec, s[16:17]
	v_cmp_gt_u32_e64 s[10:11], 24, v14
	s_and_saveexec_b64 s[16:17], s[10:11]
	s_cbranch_execnz .LBB34_1056
.LBB34_360:
	s_or_b64 exec, exec, s[16:17]
	v_cmp_gt_u32_e64 s[10:11], 16, v14
	s_and_saveexec_b64 s[16:17], s[10:11]
	s_cbranch_execnz .LBB34_1057
.LBB34_361:
	s_or_b64 exec, exec, s[16:17]
	v_cmp_gt_u32_e64 s[10:11], 8, v14
	s_and_saveexec_b64 s[16:17], s[10:11]
	s_cbranch_execz .LBB34_363
.LBB34_362:
	v_lshlrev_b32_e32 v31, 3, v0
	v_mov_b32_e32 v33, 0
	ds_read_b64 v[31:32], v31 offset:11968
	ds_read_b64 v[33:34], v33 offset:8376
	s_waitcnt lgkmcnt(0)
	v_fma_f64 v[11:12], v[31:32], v[33:34], v[11:12]
.LBB34_363:
	s_or_b64 exec, exec, s[16:17]
	v_xor_b32_e32 v12, 0x80000000, v12
.LBB34_364:
	s_or_b64 exec, exec, s[12:13]
	s_and_saveexec_b64 s[10:11], s[52:53]
	s_cbranch_execz .LBB34_366
; %bb.365:
	v_mov_b32_e32 v31, 0
	ds_read_b64 v[31:32], v31 offset:12480
	s_waitcnt lgkmcnt(0)
	v_mul_f64 v[11:12], v[11:12], v[31:32]
	ds_write_b64 v23, v[11:12]
.LBB34_366:
	s_or_b64 exec, exec, s[10:11]
	s_waitcnt lgkmcnt(0)
	s_barrier
	s_and_saveexec_b64 s[10:11], s[54:55]
	s_cbranch_execz .LBB34_368
; %bb.367:
	ds_read_b64 v[31:32], v22 offset:12480
	ds_read_b64 v[33:34], v23
	s_waitcnt lgkmcnt(0)
	v_fma_f64 v[11:12], v[31:32], v[33:34], v[11:12]
.LBB34_368:
	s_or_b64 exec, exec, s[10:11]
	s_barrier
	s_and_saveexec_b64 s[10:11], s[56:57]
	s_cbranch_execz .LBB34_370
; %bb.369:
	v_mov_b32_e32 v31, 0
	ds_read_b64 v[31:32], v31 offset:13000
	s_waitcnt lgkmcnt(0)
	v_mul_f64 v[11:12], v[11:12], v[31:32]
	ds_write_b64 v23, v[11:12]
.LBB34_370:
	s_or_b64 exec, exec, s[10:11]
	s_waitcnt lgkmcnt(0)
	s_barrier
	s_and_saveexec_b64 s[10:11], s[58:59]
	s_cbranch_execz .LBB34_372
; %bb.371:
	ds_read_b64 v[31:32], v22 offset:12992
	ds_read_b64 v[33:34], v23
	s_waitcnt lgkmcnt(0)
	v_fma_f64 v[11:12], v[31:32], v[33:34], v[11:12]
.LBB34_372:
	s_or_b64 exec, exec, s[10:11]
	s_barrier
	;; [unrolled: 22-line block ×6, first 2 shown]
	s_and_saveexec_b64 s[10:11], s[78:79]
	s_cbranch_execz .LBB34_390
; %bb.389:
	v_mov_b32_e32 v31, 0
	ds_read_b64 v[31:32], v31 offset:15600
	s_waitcnt lgkmcnt(0)
	v_mul_f64 v[11:12], v[11:12], v[31:32]
	ds_write_b64 v23, v[11:12]
.LBB34_390:
	s_or_b64 exec, exec, s[10:11]
	s_waitcnt lgkmcnt(0)
	s_barrier
	s_and_saveexec_b64 s[10:11], s[62:63]
	s_cbranch_execz .LBB34_392
; %bb.391:
	v_mov_b32_e32 v31, 0
	ds_read_b64 v[31:32], v31 offset:15608
	ds_read_b64 v[33:34], v23
	s_waitcnt lgkmcnt(0)
	v_fma_f64 v[11:12], v[31:32], v[33:34], v[11:12]
.LBB34_392:
	s_or_b64 exec, exec, s[10:11]
	s_barrier
	s_and_saveexec_b64 s[10:11], s[62:63]
	s_cbranch_execz .LBB34_394
; %bb.393:
	v_mov_b32_e32 v31, 0
	ds_read_b64 v[31:32], v31 offset:16120
	s_waitcnt lgkmcnt(0)
	v_mul_f64 v[11:12], v[11:12], v[31:32]
	ds_write_b64 v23, v[11:12]
.LBB34_394:
	s_or_b64 exec, exec, s[10:11]
	s_waitcnt lgkmcnt(0)
	s_barrier
	s_barrier
	s_and_saveexec_b64 s[10:11], s[14:15]
; %bb.395:
	v_xor_b32_e32 v12, 0x80000000, v12
	ds_write_b64 v21, v[11:12] offset:8384
; %bb.396:
	s_or_b64 exec, exec, s[10:11]
	s_waitcnt lgkmcnt(0)
	s_barrier
	s_barrier
	s_and_saveexec_b64 s[10:11], vcc
	s_cbranch_execz .LBB34_398
; %bb.397:
	v_mov_b32_e32 v35, 0
	ds_read_b128 v[31:34], v35 offset:12480
	ds_read_b64 v[11:12], v35 offset:13000
	s_waitcnt lgkmcnt(0)
	v_mul_f64 v[11:12], v[31:32], v[11:12]
	v_mul_f64 v[11:12], v[33:34], v[11:12]
	ds_write_b64 v35, v[11:12] offset:12488
.LBB34_398:
	s_or_b64 exec, exec, s[10:11]
	v_mov_b32_e32 v11, 0
	v_mov_b32_e32 v12, 0
	s_waitcnt lgkmcnt(0)
	s_barrier
	s_and_saveexec_b64 s[12:13], s[0:1]
	s_cbranch_execz .LBB34_402
; %bb.399:
	v_mul_u32_u24_e32 v31, 0x208, v15
	ds_read_b64 v[11:12], v1 offset:12496
	ds_read_b64 v[31:32], v31 offset:12480
	v_cmp_gt_u32_e64 s[10:11], 2, v14
	s_waitcnt lgkmcnt(0)
	v_fma_f64 v[11:12], v[11:12], v[31:32], 0
	s_and_saveexec_b64 s[16:17], s[10:11]
	s_cbranch_execz .LBB34_401
; %bb.400:
	v_lshlrev_b32_e32 v31, 3, v0
	v_mov_b32_e32 v33, 0
	ds_read_b64 v[31:32], v31 offset:13008
	ds_read_b64 v[33:34], v33 offset:12488
	s_waitcnt lgkmcnt(0)
	v_fma_f64 v[11:12], v[31:32], v[33:34], v[11:12]
.LBB34_401:
	s_or_b64 exec, exec, s[16:17]
	v_xor_b32_e32 v12, 0x80000000, v12
.LBB34_402:
	s_or_b64 exec, exec, s[12:13]
	s_and_saveexec_b64 s[10:11], s[38:39]
	s_cbranch_execz .LBB34_404
; %bb.403:
	v_mov_b32_e32 v31, 0
	ds_read_b64 v[31:32], v31 offset:13520
	s_waitcnt lgkmcnt(0)
	v_mul_f64 v[11:12], v[11:12], v[31:32]
	ds_write_b64 v13, v[11:12]
.LBB34_404:
	s_or_b64 exec, exec, s[10:11]
	s_waitcnt lgkmcnt(0)
	s_barrier
	s_and_saveexec_b64 s[10:11], s[36:37]
	s_cbranch_execz .LBB34_406
; %bb.405:
	v_mov_b32_e32 v31, 0
	ds_read_b64 v[31:32], v31 offset:13528
	ds_read_b64 v[33:34], v13
	s_waitcnt lgkmcnt(0)
	v_fma_f64 v[11:12], v[31:32], v[33:34], v[11:12]
.LBB34_406:
	s_or_b64 exec, exec, s[10:11]
	s_barrier
	s_and_saveexec_b64 s[10:11], s[36:37]
	s_cbranch_execz .LBB34_408
; %bb.407:
	v_mov_b32_e32 v31, 0
	ds_read_b64 v[31:32], v31 offset:14040
	s_waitcnt lgkmcnt(0)
	v_mul_f64 v[11:12], v[11:12], v[31:32]
	ds_write_b64 v13, v[11:12]
.LBB34_408:
	s_or_b64 exec, exec, s[10:11]
	s_waitcnt lgkmcnt(0)
	s_barrier
	s_barrier
	s_and_saveexec_b64 s[10:11], s[0:1]
; %bb.409:
	v_xor_b32_e32 v12, 0x80000000, v12
	ds_write_b64 v1, v[11:12] offset:12496
; %bb.410:
	s_or_b64 exec, exec, s[10:11]
	s_waitcnt lgkmcnt(0)
	s_barrier
	s_barrier
	s_and_saveexec_b64 s[10:11], vcc
	s_cbranch_execz .LBB34_412
; %bb.411:
	v_mov_b32_e32 v35, 0
	ds_read_b128 v[31:34], v35 offset:13520
	ds_read_b64 v[11:12], v35 offset:14040
	s_waitcnt lgkmcnt(0)
	v_mul_f64 v[11:12], v[31:32], v[11:12]
	v_mul_f64 v[11:12], v[33:34], v[11:12]
	ds_write_b64 v35, v[11:12] offset:13528
.LBB34_412:
	s_or_b64 exec, exec, s[10:11]
	v_mov_b32_e32 v11, 0
	v_mov_b32_e32 v12, 0
	s_waitcnt lgkmcnt(0)
	s_barrier
	s_and_saveexec_b64 s[12:13], s[2:3]
	s_cbranch_execz .LBB34_418
; %bb.413:
	v_mul_u32_u24_e32 v31, 0x208, v20
	ds_read_b64 v[11:12], v16 offset:12512
	ds_read_b64 v[32:33], v31 offset:12480
	v_cmp_gt_u32_e64 s[10:11], 12, v14
	s_waitcnt lgkmcnt(0)
	v_fma_f64 v[11:12], v[11:12], v[32:33], 0
	s_and_saveexec_b64 s[16:17], s[10:11]
	s_cbranch_execnz .LBB34_1058
; %bb.414:
	s_or_b64 exec, exec, s[16:17]
	v_cmp_gt_u32_e64 s[10:11], 8, v14
	s_and_saveexec_b64 s[16:17], s[10:11]
	s_cbranch_execnz .LBB34_1059
.LBB34_415:
	s_or_b64 exec, exec, s[16:17]
	v_cmp_gt_u32_e64 s[10:11], 4, v14
	s_and_saveexec_b64 s[16:17], s[10:11]
	s_cbranch_execz .LBB34_417
.LBB34_416:
	v_lshlrev_b32_e32 v31, 3, v0
	v_mov_b32_e32 v33, 0
	ds_read_b64 v[31:32], v31 offset:14048
	ds_read_b64 v[33:34], v33 offset:12504
	s_waitcnt lgkmcnt(0)
	v_fma_f64 v[11:12], v[31:32], v[33:34], v[11:12]
.LBB34_417:
	s_or_b64 exec, exec, s[16:17]
	v_xor_b32_e32 v12, 0x80000000, v12
.LBB34_418:
	s_or_b64 exec, exec, s[12:13]
	s_and_saveexec_b64 s[10:11], s[42:43]
	s_cbranch_execz .LBB34_420
; %bb.419:
	v_mov_b32_e32 v31, 0
	ds_read_b64 v[31:32], v31 offset:14560
	s_waitcnt lgkmcnt(0)
	v_mul_f64 v[11:12], v[11:12], v[31:32]
	ds_write_b64 v18, v[11:12]
.LBB34_420:
	s_or_b64 exec, exec, s[10:11]
	s_waitcnt lgkmcnt(0)
	s_barrier
	s_and_saveexec_b64 s[10:11], s[44:45]
	s_cbranch_execz .LBB34_422
; %bb.421:
	ds_read_b64 v[31:32], v17 offset:14560
	ds_read_b64 v[33:34], v18
	s_waitcnt lgkmcnt(0)
	v_fma_f64 v[11:12], v[31:32], v[33:34], v[11:12]
.LBB34_422:
	s_or_b64 exec, exec, s[10:11]
	s_barrier
	s_and_saveexec_b64 s[10:11], s[46:47]
	s_cbranch_execz .LBB34_424
; %bb.423:
	v_mov_b32_e32 v31, 0
	ds_read_b64 v[31:32], v31 offset:15080
	s_waitcnt lgkmcnt(0)
	v_mul_f64 v[11:12], v[11:12], v[31:32]
	ds_write_b64 v18, v[11:12]
.LBB34_424:
	s_or_b64 exec, exec, s[10:11]
	s_waitcnt lgkmcnt(0)
	s_barrier
	s_and_saveexec_b64 s[10:11], s[48:49]
	s_cbranch_execz .LBB34_426
; %bb.425:
	ds_read_b64 v[31:32], v17 offset:15072
	ds_read_b64 v[33:34], v18
	s_waitcnt lgkmcnt(0)
	v_fma_f64 v[11:12], v[31:32], v[33:34], v[11:12]
.LBB34_426:
	s_or_b64 exec, exec, s[10:11]
	s_barrier
	s_and_saveexec_b64 s[10:11], s[50:51]
	s_cbranch_execz .LBB34_428
; %bb.427:
	v_mov_b32_e32 v31, 0
	ds_read_b64 v[31:32], v31 offset:15600
	s_waitcnt lgkmcnt(0)
	v_mul_f64 v[11:12], v[11:12], v[31:32]
	ds_write_b64 v18, v[11:12]
.LBB34_428:
	s_or_b64 exec, exec, s[10:11]
	s_waitcnt lgkmcnt(0)
	s_barrier
	s_and_saveexec_b64 s[10:11], s[40:41]
	s_cbranch_execz .LBB34_430
; %bb.429:
	v_mov_b32_e32 v31, 0
	ds_read_b64 v[31:32], v31 offset:15608
	ds_read_b64 v[33:34], v18
	s_waitcnt lgkmcnt(0)
	v_fma_f64 v[11:12], v[31:32], v[33:34], v[11:12]
.LBB34_430:
	s_or_b64 exec, exec, s[10:11]
	s_barrier
	s_and_saveexec_b64 s[10:11], s[40:41]
	s_cbranch_execz .LBB34_432
; %bb.431:
	v_mov_b32_e32 v31, 0
	ds_read_b64 v[31:32], v31 offset:16120
	s_waitcnt lgkmcnt(0)
	v_mul_f64 v[11:12], v[11:12], v[31:32]
	ds_write_b64 v18, v[11:12]
.LBB34_432:
	s_or_b64 exec, exec, s[10:11]
	s_waitcnt lgkmcnt(0)
	s_barrier
	s_barrier
	s_and_saveexec_b64 s[10:11], s[2:3]
; %bb.433:
	v_xor_b32_e32 v12, 0x80000000, v12
	ds_write_b64 v16, v[11:12] offset:12512
; %bb.434:
	s_or_b64 exec, exec, s[10:11]
	s_waitcnt lgkmcnt(0)
	s_barrier
	s_barrier
	s_and_saveexec_b64 s[10:11], vcc
	s_cbranch_execz .LBB34_436
; %bb.435:
	v_mov_b32_e32 v35, 0
	ds_read_b128 v[31:34], v35 offset:14560
	ds_read_b64 v[11:12], v35 offset:15080
	s_waitcnt lgkmcnt(0)
	v_mul_f64 v[11:12], v[31:32], v[11:12]
	v_mul_f64 v[11:12], v[33:34], v[11:12]
	ds_write_b64 v35, v[11:12] offset:14568
.LBB34_436:
	s_or_b64 exec, exec, s[10:11]
	v_mov_b32_e32 v11, 0
	v_mov_b32_e32 v12, 0
	s_waitcnt lgkmcnt(0)
	s_barrier
	s_and_saveexec_b64 s[12:13], s[0:1]
	s_cbranch_execz .LBB34_440
; %bb.437:
	v_mul_u32_u24_e32 v31, 0x208, v15
	ds_read_b64 v[11:12], v1 offset:14576
	ds_read_b64 v[31:32], v31 offset:14560
	v_cmp_gt_u32_e64 s[10:11], 2, v14
	s_waitcnt lgkmcnt(0)
	v_fma_f64 v[11:12], v[11:12], v[31:32], 0
	s_and_saveexec_b64 s[16:17], s[10:11]
	s_cbranch_execz .LBB34_439
; %bb.438:
	v_lshlrev_b32_e32 v31, 3, v0
	v_mov_b32_e32 v33, 0
	ds_read_b64 v[31:32], v31 offset:15088
	ds_read_b64 v[33:34], v33 offset:14568
	s_waitcnt lgkmcnt(0)
	v_fma_f64 v[11:12], v[31:32], v[33:34], v[11:12]
.LBB34_439:
	s_or_b64 exec, exec, s[16:17]
	v_xor_b32_e32 v12, 0x80000000, v12
.LBB34_440:
	s_or_b64 exec, exec, s[12:13]
	s_and_saveexec_b64 s[10:11], s[38:39]
	s_cbranch_execz .LBB34_442
; %bb.441:
	v_mov_b32_e32 v31, 0
	ds_read_b64 v[31:32], v31 offset:15600
	s_waitcnt lgkmcnt(0)
	v_mul_f64 v[11:12], v[11:12], v[31:32]
	ds_write_b64 v13, v[11:12]
.LBB34_442:
	s_or_b64 exec, exec, s[10:11]
	s_waitcnt lgkmcnt(0)
	s_barrier
	s_and_saveexec_b64 s[10:11], s[36:37]
	s_cbranch_execz .LBB34_444
; %bb.443:
	v_mov_b32_e32 v31, 0
	ds_read_b64 v[31:32], v31 offset:15608
	ds_read_b64 v[33:34], v13
	s_waitcnt lgkmcnt(0)
	v_fma_f64 v[11:12], v[31:32], v[33:34], v[11:12]
.LBB34_444:
	s_or_b64 exec, exec, s[10:11]
	s_barrier
	s_and_saveexec_b64 s[10:11], s[36:37]
	s_cbranch_execz .LBB34_446
; %bb.445:
	v_mov_b32_e32 v31, 0
	ds_read_b64 v[31:32], v31 offset:16120
	s_waitcnt lgkmcnt(0)
	v_mul_f64 v[11:12], v[11:12], v[31:32]
	ds_write_b64 v13, v[11:12]
.LBB34_446:
	s_or_b64 exec, exec, s[10:11]
	s_waitcnt lgkmcnt(0)
	s_barrier
	s_barrier
	s_and_saveexec_b64 s[10:11], s[0:1]
; %bb.447:
	v_xor_b32_e32 v12, 0x80000000, v12
	ds_write_b64 v1, v[11:12] offset:14576
; %bb.448:
	s_or_b64 exec, exec, s[10:11]
	s_waitcnt lgkmcnt(0)
	s_barrier
	s_barrier
	s_and_saveexec_b64 s[10:11], vcc
	s_cbranch_execz .LBB34_450
; %bb.449:
	v_mov_b32_e32 v35, 0
	ds_read_b128 v[31:34], v35 offset:15600
	ds_read_b64 v[11:12], v35 offset:16120
	s_waitcnt lgkmcnt(0)
	v_mul_f64 v[11:12], v[31:32], v[11:12]
	v_mul_f64 v[11:12], v[33:34], v[11:12]
	ds_write_b64 v35, v[11:12] offset:15608
.LBB34_450:
	s_or_b64 exec, exec, s[10:11]
	v_and_b32_e32 v32, 31, v0
	v_lshrrev_b32_e32 v33, 5, v14
	s_movk_i32 s10, 0x3ff
	v_lshlrev_b32_e32 v11, 3, v32
	v_cmp_lt_u32_e64 s[12:13], s10, v14
	s_movk_i32 s10, 0x400
	v_lshl_or_b32 v31, v33, 9, v11
	v_mov_b32_e32 v11, 0
	v_cmp_gt_u32_e64 s[10:11], s10, v14
	v_mov_b32_e32 v12, 0
	s_waitcnt lgkmcnt(0)
	s_barrier
	s_and_saveexec_b64 s[88:89], s[10:11]
	s_cbranch_execz .LBB34_512
; %bb.451:
	v_mul_u32_u24_e32 v34, 0x208, v33
	ds_read_b64 v[11:12], v31 offset:256
	ds_read_b64 v[35:36], v34
	s_movk_i32 s16, 0x3e0
	v_cmp_gt_u32_e64 s[16:17], s16, v14
	s_waitcnt lgkmcnt(0)
	v_fma_f64 v[11:12], v[11:12], v[35:36], 0
	s_and_saveexec_b64 s[90:91], s[16:17]
	s_cbranch_execz .LBB34_453
; %bb.452:
	ds_read_b64 v[35:36], v31 offset:768
	ds_read_b64 v[37:38], v34 offset:8
	s_waitcnt lgkmcnt(0)
	v_fma_f64 v[11:12], v[35:36], v[37:38], v[11:12]
.LBB34_453:
	s_or_b64 exec, exec, s[90:91]
	s_movk_i32 s16, 0x3c0
	v_cmp_gt_u32_e64 s[16:17], s16, v14
	s_and_saveexec_b64 s[90:91], s[16:17]
	s_cbranch_execz .LBB34_455
; %bb.454:
	ds_read_b64 v[35:36], v31 offset:1280
	ds_read_b64 v[37:38], v34 offset:16
	s_waitcnt lgkmcnt(0)
	v_fma_f64 v[11:12], v[35:36], v[37:38], v[11:12]
.LBB34_455:
	s_or_b64 exec, exec, s[90:91]
	s_movk_i32 s16, 0x3a0
	v_cmp_gt_u32_e64 s[16:17], s16, v14
	;; [unrolled: 11-line block ×28, first 2 shown]
	s_and_saveexec_b64 s[90:91], s[16:17]
	s_cbranch_execnz .LBB34_1060
; %bb.508:
	s_or_b64 exec, exec, s[90:91]
	v_cmp_gt_u32_e64 s[16:17], 64, v14
	s_and_saveexec_b64 s[90:91], s[16:17]
	s_cbranch_execnz .LBB34_1061
.LBB34_509:
	s_or_b64 exec, exec, s[90:91]
	v_cmp_gt_u32_e64 s[16:17], 32, v14
	s_and_saveexec_b64 s[90:91], s[16:17]
	s_cbranch_execz .LBB34_511
.LBB34_510:
	v_lshlrev_b32_e32 v34, 3, v0
	v_mov_b32_e32 v36, 0
	ds_read_b64 v[34:35], v34 offset:16128
	ds_read_b64 v[36:37], v36 offset:248
	s_waitcnt lgkmcnt(0)
	v_fma_f64 v[11:12], v[34:35], v[36:37], v[11:12]
.LBB34_511:
	s_or_b64 exec, exec, s[90:91]
	v_xor_b32_e32 v12, 0x80000000, v12
.LBB34_512:
	s_or_b64 exec, exec, s[88:89]
	v_mov_b32_e32 v34, 0x8000
	v_lshl_or_b32 v33, v33, 3, v34
	v_mul_u32_u24_e32 v34, 0x208, v32
	v_lshlrev_b32_e32 v35, 9, v32
	v_sub_u32_e32 v35, v34, v35
	v_add_u32_e32 v35, 0x4100, v35
	s_mov_b32 s88, 0
	s_xor_b64 s[16:17], s[12:13], -1
	v_mov_b32_e32 v36, v32
	s_branch .LBB34_514
.LBB34_513:                             ;   in Loop: Header=BB34_514 Depth=1
	s_or_b64 exec, exec, s[12:13]
	s_add_i32 s88, s88, 4
	v_add_u32_e32 v35, 0x800, v35
	s_cmp_eq_u32 s88, 32
	v_add_u32_e32 v36, -4, v36
	s_barrier
	s_cbranch_scc1 .LBB34_530
.LBB34_514:                             ; =>This Inner Loop Header: Depth=1
	v_cmp_eq_u32_e64 s[12:13], 0, v36
	s_and_b64 s[90:91], s[16:17], s[12:13]
	s_and_saveexec_b64 s[12:13], s[90:91]
	s_cbranch_execz .LBB34_516
; %bb.515:                              ;   in Loop: Header=BB34_514 Depth=1
	ds_read_b64 v[37:38], v34 offset:16640
	s_waitcnt lgkmcnt(0)
	v_mul_f64 v[11:12], v[11:12], v[37:38]
	ds_write_b64 v33, v[11:12]
.LBB34_516:                             ;   in Loop: Header=BB34_514 Depth=1
	s_or_b64 exec, exec, s[12:13]
	v_cmp_lt_u32_e64 s[12:13], s88, v32
	s_and_b64 s[90:91], s[16:17], s[12:13]
	s_waitcnt lgkmcnt(0)
	s_barrier
	s_and_saveexec_b64 s[12:13], s[90:91]
	s_cbranch_execz .LBB34_518
; %bb.517:                              ;   in Loop: Header=BB34_514 Depth=1
	ds_read_b64 v[37:38], v35
	ds_read_b64 v[39:40], v33
	s_waitcnt lgkmcnt(0)
	v_fma_f64 v[11:12], v[37:38], v[39:40], v[11:12]
.LBB34_518:                             ;   in Loop: Header=BB34_514 Depth=1
	s_or_b64 exec, exec, s[12:13]
	s_or_b32 s89, s88, 1
	v_cmp_eq_u32_e64 s[12:13], s89, v32
	s_and_b64 s[90:91], s[16:17], s[12:13]
	s_barrier
	s_and_saveexec_b64 s[12:13], s[90:91]
	s_cbranch_execz .LBB34_520
; %bb.519:                              ;   in Loop: Header=BB34_514 Depth=1
	ds_read_b64 v[37:38], v34 offset:16640
	s_waitcnt lgkmcnt(0)
	v_mul_f64 v[11:12], v[11:12], v[37:38]
	ds_write_b64 v33, v[11:12]
.LBB34_520:                             ;   in Loop: Header=BB34_514 Depth=1
	s_or_b64 exec, exec, s[12:13]
	v_cmp_lt_u32_e64 s[12:13], s89, v32
	s_and_b64 s[90:91], s[16:17], s[12:13]
	s_waitcnt lgkmcnt(0)
	s_barrier
	s_and_saveexec_b64 s[12:13], s[90:91]
	s_cbranch_execz .LBB34_522
; %bb.521:                              ;   in Loop: Header=BB34_514 Depth=1
	ds_read_b64 v[37:38], v35 offset:512
	ds_read_b64 v[39:40], v33
	s_waitcnt lgkmcnt(0)
	v_fma_f64 v[11:12], v[37:38], v[39:40], v[11:12]
.LBB34_522:                             ;   in Loop: Header=BB34_514 Depth=1
	s_or_b64 exec, exec, s[12:13]
	s_or_b32 s89, s88, 2
	v_cmp_eq_u32_e64 s[12:13], s89, v32
	s_and_b64 s[90:91], s[16:17], s[12:13]
	s_barrier
	s_and_saveexec_b64 s[12:13], s[90:91]
	s_cbranch_execz .LBB34_524
; %bb.523:                              ;   in Loop: Header=BB34_514 Depth=1
	ds_read_b64 v[37:38], v34 offset:16640
	s_waitcnt lgkmcnt(0)
	v_mul_f64 v[11:12], v[11:12], v[37:38]
	ds_write_b64 v33, v[11:12]
.LBB34_524:                             ;   in Loop: Header=BB34_514 Depth=1
	s_or_b64 exec, exec, s[12:13]
	v_cmp_lt_u32_e64 s[12:13], s89, v32
	s_and_b64 s[90:91], s[16:17], s[12:13]
	s_waitcnt lgkmcnt(0)
	s_barrier
	s_and_saveexec_b64 s[12:13], s[90:91]
	s_cbranch_execz .LBB34_526
; %bb.525:                              ;   in Loop: Header=BB34_514 Depth=1
	ds_read_b64 v[37:38], v35 offset:1024
	ds_read_b64 v[39:40], v33
	s_waitcnt lgkmcnt(0)
	v_fma_f64 v[11:12], v[37:38], v[39:40], v[11:12]
.LBB34_526:                             ;   in Loop: Header=BB34_514 Depth=1
	s_or_b64 exec, exec, s[12:13]
	s_or_b32 s89, s88, 3
	v_cmp_eq_u32_e64 s[12:13], s89, v32
	s_and_b64 s[90:91], s[16:17], s[12:13]
	s_barrier
	s_and_saveexec_b64 s[12:13], s[90:91]
	s_cbranch_execz .LBB34_528
; %bb.527:                              ;   in Loop: Header=BB34_514 Depth=1
	ds_read_b64 v[37:38], v34 offset:16640
	s_waitcnt lgkmcnt(0)
	v_mul_f64 v[11:12], v[11:12], v[37:38]
	ds_write_b64 v33, v[11:12]
.LBB34_528:                             ;   in Loop: Header=BB34_514 Depth=1
	s_or_b64 exec, exec, s[12:13]
	v_cmp_lt_u32_e64 s[12:13], s89, v32
	s_and_b64 s[90:91], s[16:17], s[12:13]
	s_waitcnt lgkmcnt(0)
	s_barrier
	s_and_saveexec_b64 s[12:13], s[90:91]
	s_cbranch_execz .LBB34_513
; %bb.529:                              ;   in Loop: Header=BB34_514 Depth=1
	ds_read_b64 v[37:38], v35 offset:1536
	ds_read_b64 v[39:40], v33
	s_waitcnt lgkmcnt(0)
	v_fma_f64 v[11:12], v[37:38], v[39:40], v[11:12]
	s_branch .LBB34_513
.LBB34_530:
	s_and_saveexec_b64 s[12:13], s[10:11]
; %bb.531:
	v_xor_b32_e32 v12, 0x80000000, v12
	ds_write_b64 v31, v[11:12] offset:256
; %bb.532:
	s_or_b64 exec, exec, s[12:13]
	s_waitcnt lgkmcnt(0)
	s_barrier
	s_barrier
	s_and_saveexec_b64 s[10:11], vcc
	s_cbranch_execz .LBB34_534
; %bb.533:
	v_mov_b32_e32 v35, 0
	ds_read_b128 v[31:34], v35 offset:16640
	ds_read_b64 v[11:12], v35 offset:17160
	s_waitcnt lgkmcnt(0)
	v_mul_f64 v[11:12], v[31:32], v[11:12]
	v_mul_f64 v[11:12], v[33:34], v[11:12]
	ds_write_b64 v35, v[11:12] offset:16648
.LBB34_534:
	s_or_b64 exec, exec, s[10:11]
	v_mov_b32_e32 v11, 0
	v_mov_b32_e32 v12, 0
	s_waitcnt lgkmcnt(0)
	s_barrier
	s_and_saveexec_b64 s[12:13], s[0:1]
	s_cbranch_execz .LBB34_538
; %bb.535:
	v_mul_u32_u24_e32 v31, 0x208, v15
	ds_read_b64 v[11:12], v1 offset:16656
	ds_read_b64 v[31:32], v31 offset:16640
	v_cmp_gt_u32_e64 s[10:11], 2, v14
	s_waitcnt lgkmcnt(0)
	v_fma_f64 v[11:12], v[11:12], v[31:32], 0
	s_and_saveexec_b64 s[16:17], s[10:11]
	s_cbranch_execz .LBB34_537
; %bb.536:
	v_lshlrev_b32_e32 v31, 3, v0
	v_mov_b32_e32 v33, 0
	ds_read_b64 v[31:32], v31 offset:17168
	ds_read_b64 v[33:34], v33 offset:16648
	s_waitcnt lgkmcnt(0)
	v_fma_f64 v[11:12], v[31:32], v[33:34], v[11:12]
.LBB34_537:
	s_or_b64 exec, exec, s[16:17]
	v_xor_b32_e32 v12, 0x80000000, v12
.LBB34_538:
	s_or_b64 exec, exec, s[12:13]
	s_and_saveexec_b64 s[10:11], s[38:39]
	s_cbranch_execz .LBB34_540
; %bb.539:
	v_mov_b32_e32 v31, 0
	ds_read_b64 v[31:32], v31 offset:17680
	s_waitcnt lgkmcnt(0)
	v_mul_f64 v[11:12], v[11:12], v[31:32]
	ds_write_b64 v13, v[11:12]
.LBB34_540:
	s_or_b64 exec, exec, s[10:11]
	s_waitcnt lgkmcnt(0)
	s_barrier
	s_and_saveexec_b64 s[10:11], s[36:37]
	s_cbranch_execz .LBB34_542
; %bb.541:
	v_mov_b32_e32 v31, 0
	ds_read_b64 v[31:32], v31 offset:17688
	ds_read_b64 v[33:34], v13
	s_waitcnt lgkmcnt(0)
	v_fma_f64 v[11:12], v[31:32], v[33:34], v[11:12]
.LBB34_542:
	s_or_b64 exec, exec, s[10:11]
	s_barrier
	s_and_saveexec_b64 s[10:11], s[36:37]
	s_cbranch_execz .LBB34_544
; %bb.543:
	v_mov_b32_e32 v31, 0
	ds_read_b64 v[31:32], v31 offset:18200
	s_waitcnt lgkmcnt(0)
	v_mul_f64 v[11:12], v[11:12], v[31:32]
	ds_write_b64 v13, v[11:12]
.LBB34_544:
	s_or_b64 exec, exec, s[10:11]
	s_waitcnt lgkmcnt(0)
	s_barrier
	s_barrier
	s_and_saveexec_b64 s[10:11], s[0:1]
; %bb.545:
	v_xor_b32_e32 v12, 0x80000000, v12
	ds_write_b64 v1, v[11:12] offset:16656
; %bb.546:
	s_or_b64 exec, exec, s[10:11]
	s_waitcnt lgkmcnt(0)
	s_barrier
	s_barrier
	s_and_saveexec_b64 s[10:11], vcc
	s_cbranch_execz .LBB34_548
; %bb.547:
	v_mov_b32_e32 v35, 0
	ds_read_b128 v[31:34], v35 offset:17680
	ds_read_b64 v[11:12], v35 offset:18200
	s_waitcnt lgkmcnt(0)
	v_mul_f64 v[11:12], v[31:32], v[11:12]
	v_mul_f64 v[11:12], v[33:34], v[11:12]
	ds_write_b64 v35, v[11:12] offset:17688
.LBB34_548:
	s_or_b64 exec, exec, s[10:11]
	v_mov_b32_e32 v11, 0
	v_mov_b32_e32 v12, 0
	s_waitcnt lgkmcnt(0)
	s_barrier
	s_and_saveexec_b64 s[12:13], s[2:3]
	s_cbranch_execz .LBB34_554
; %bb.549:
	v_mul_u32_u24_e32 v31, 0x208, v20
	ds_read_b64 v[11:12], v16 offset:16672
	ds_read_b64 v[32:33], v31 offset:16640
	v_cmp_gt_u32_e64 s[10:11], 12, v14
	s_waitcnt lgkmcnt(0)
	v_fma_f64 v[11:12], v[11:12], v[32:33], 0
	s_and_saveexec_b64 s[16:17], s[10:11]
	s_cbranch_execnz .LBB34_1062
; %bb.550:
	s_or_b64 exec, exec, s[16:17]
	v_cmp_gt_u32_e64 s[10:11], 8, v14
	s_and_saveexec_b64 s[16:17], s[10:11]
	s_cbranch_execnz .LBB34_1063
.LBB34_551:
	s_or_b64 exec, exec, s[16:17]
	v_cmp_gt_u32_e64 s[10:11], 4, v14
	s_and_saveexec_b64 s[16:17], s[10:11]
	s_cbranch_execz .LBB34_553
.LBB34_552:
	v_lshlrev_b32_e32 v31, 3, v0
	v_mov_b32_e32 v33, 0
	ds_read_b64 v[31:32], v31 offset:18208
	ds_read_b64 v[33:34], v33 offset:16664
	s_waitcnt lgkmcnt(0)
	v_fma_f64 v[11:12], v[31:32], v[33:34], v[11:12]
.LBB34_553:
	s_or_b64 exec, exec, s[16:17]
	v_xor_b32_e32 v12, 0x80000000, v12
.LBB34_554:
	s_or_b64 exec, exec, s[12:13]
	s_and_saveexec_b64 s[10:11], s[42:43]
	s_cbranch_execz .LBB34_556
; %bb.555:
	v_mov_b32_e32 v31, 0
	ds_read_b64 v[31:32], v31 offset:18720
	s_waitcnt lgkmcnt(0)
	v_mul_f64 v[11:12], v[11:12], v[31:32]
	ds_write_b64 v18, v[11:12]
.LBB34_556:
	s_or_b64 exec, exec, s[10:11]
	s_waitcnt lgkmcnt(0)
	s_barrier
	s_and_saveexec_b64 s[10:11], s[44:45]
	s_cbranch_execz .LBB34_558
; %bb.557:
	ds_read_b64 v[31:32], v17 offset:18720
	ds_read_b64 v[33:34], v18
	s_waitcnt lgkmcnt(0)
	v_fma_f64 v[11:12], v[31:32], v[33:34], v[11:12]
.LBB34_558:
	s_or_b64 exec, exec, s[10:11]
	s_barrier
	s_and_saveexec_b64 s[10:11], s[46:47]
	s_cbranch_execz .LBB34_560
; %bb.559:
	v_mov_b32_e32 v31, 0
	ds_read_b64 v[31:32], v31 offset:19240
	s_waitcnt lgkmcnt(0)
	v_mul_f64 v[11:12], v[11:12], v[31:32]
	ds_write_b64 v18, v[11:12]
.LBB34_560:
	s_or_b64 exec, exec, s[10:11]
	s_waitcnt lgkmcnt(0)
	s_barrier
	s_and_saveexec_b64 s[10:11], s[48:49]
	s_cbranch_execz .LBB34_562
; %bb.561:
	ds_read_b64 v[31:32], v17 offset:19232
	ds_read_b64 v[33:34], v18
	s_waitcnt lgkmcnt(0)
	v_fma_f64 v[11:12], v[31:32], v[33:34], v[11:12]
.LBB34_562:
	s_or_b64 exec, exec, s[10:11]
	s_barrier
	s_and_saveexec_b64 s[10:11], s[50:51]
	s_cbranch_execz .LBB34_564
; %bb.563:
	v_mov_b32_e32 v31, 0
	ds_read_b64 v[31:32], v31 offset:19760
	s_waitcnt lgkmcnt(0)
	v_mul_f64 v[11:12], v[11:12], v[31:32]
	ds_write_b64 v18, v[11:12]
.LBB34_564:
	s_or_b64 exec, exec, s[10:11]
	s_waitcnt lgkmcnt(0)
	s_barrier
	s_and_saveexec_b64 s[10:11], s[40:41]
	s_cbranch_execz .LBB34_566
; %bb.565:
	v_mov_b32_e32 v31, 0
	ds_read_b64 v[31:32], v31 offset:19768
	ds_read_b64 v[33:34], v18
	s_waitcnt lgkmcnt(0)
	v_fma_f64 v[11:12], v[31:32], v[33:34], v[11:12]
.LBB34_566:
	s_or_b64 exec, exec, s[10:11]
	s_barrier
	s_and_saveexec_b64 s[10:11], s[40:41]
	s_cbranch_execz .LBB34_568
; %bb.567:
	v_mov_b32_e32 v31, 0
	ds_read_b64 v[31:32], v31 offset:20280
	s_waitcnt lgkmcnt(0)
	v_mul_f64 v[11:12], v[11:12], v[31:32]
	ds_write_b64 v18, v[11:12]
.LBB34_568:
	s_or_b64 exec, exec, s[10:11]
	s_waitcnt lgkmcnt(0)
	s_barrier
	s_barrier
	s_and_saveexec_b64 s[10:11], s[2:3]
; %bb.569:
	v_xor_b32_e32 v12, 0x80000000, v12
	ds_write_b64 v16, v[11:12] offset:16672
; %bb.570:
	s_or_b64 exec, exec, s[10:11]
	s_waitcnt lgkmcnt(0)
	s_barrier
	s_barrier
	s_and_saveexec_b64 s[10:11], vcc
	s_cbranch_execz .LBB34_572
; %bb.571:
	v_mov_b32_e32 v35, 0
	ds_read_b128 v[31:34], v35 offset:18720
	ds_read_b64 v[11:12], v35 offset:19240
	s_waitcnt lgkmcnt(0)
	v_mul_f64 v[11:12], v[31:32], v[11:12]
	v_mul_f64 v[11:12], v[33:34], v[11:12]
	ds_write_b64 v35, v[11:12] offset:18728
.LBB34_572:
	s_or_b64 exec, exec, s[10:11]
	v_mov_b32_e32 v11, 0
	v_mov_b32_e32 v12, 0
	s_waitcnt lgkmcnt(0)
	s_barrier
	s_and_saveexec_b64 s[12:13], s[0:1]
	s_cbranch_execz .LBB34_576
; %bb.573:
	v_mul_u32_u24_e32 v31, 0x208, v15
	ds_read_b64 v[11:12], v1 offset:18736
	ds_read_b64 v[31:32], v31 offset:18720
	v_cmp_gt_u32_e64 s[10:11], 2, v14
	s_waitcnt lgkmcnt(0)
	v_fma_f64 v[11:12], v[11:12], v[31:32], 0
	s_and_saveexec_b64 s[16:17], s[10:11]
	s_cbranch_execz .LBB34_575
; %bb.574:
	v_lshlrev_b32_e32 v31, 3, v0
	v_mov_b32_e32 v33, 0
	ds_read_b64 v[31:32], v31 offset:19248
	ds_read_b64 v[33:34], v33 offset:18728
	s_waitcnt lgkmcnt(0)
	v_fma_f64 v[11:12], v[31:32], v[33:34], v[11:12]
.LBB34_575:
	s_or_b64 exec, exec, s[16:17]
	v_xor_b32_e32 v12, 0x80000000, v12
.LBB34_576:
	s_or_b64 exec, exec, s[12:13]
	s_and_saveexec_b64 s[10:11], s[38:39]
	s_cbranch_execz .LBB34_578
; %bb.577:
	v_mov_b32_e32 v31, 0
	ds_read_b64 v[31:32], v31 offset:19760
	s_waitcnt lgkmcnt(0)
	v_mul_f64 v[11:12], v[11:12], v[31:32]
	ds_write_b64 v13, v[11:12]
.LBB34_578:
	s_or_b64 exec, exec, s[10:11]
	s_waitcnt lgkmcnt(0)
	s_barrier
	s_and_saveexec_b64 s[10:11], s[36:37]
	s_cbranch_execz .LBB34_580
; %bb.579:
	v_mov_b32_e32 v31, 0
	ds_read_b64 v[31:32], v31 offset:19768
	ds_read_b64 v[33:34], v13
	s_waitcnt lgkmcnt(0)
	v_fma_f64 v[11:12], v[31:32], v[33:34], v[11:12]
.LBB34_580:
	s_or_b64 exec, exec, s[10:11]
	s_barrier
	s_and_saveexec_b64 s[10:11], s[36:37]
	s_cbranch_execz .LBB34_582
; %bb.581:
	v_mov_b32_e32 v31, 0
	ds_read_b64 v[31:32], v31 offset:20280
	s_waitcnt lgkmcnt(0)
	v_mul_f64 v[11:12], v[11:12], v[31:32]
	ds_write_b64 v13, v[11:12]
.LBB34_582:
	s_or_b64 exec, exec, s[10:11]
	s_waitcnt lgkmcnt(0)
	s_barrier
	s_barrier
	s_and_saveexec_b64 s[10:11], s[0:1]
; %bb.583:
	v_xor_b32_e32 v12, 0x80000000, v12
	ds_write_b64 v1, v[11:12] offset:18736
; %bb.584:
	s_or_b64 exec, exec, s[10:11]
	s_waitcnt lgkmcnt(0)
	s_barrier
	s_barrier
	s_and_saveexec_b64 s[10:11], vcc
	s_cbranch_execz .LBB34_586
; %bb.585:
	v_mov_b32_e32 v35, 0
	ds_read_b128 v[31:34], v35 offset:19760
	ds_read_b64 v[11:12], v35 offset:20280
	s_waitcnt lgkmcnt(0)
	v_mul_f64 v[11:12], v[31:32], v[11:12]
	v_mul_f64 v[11:12], v[33:34], v[11:12]
	ds_write_b64 v35, v[11:12] offset:19768
.LBB34_586:
	s_or_b64 exec, exec, s[10:11]
	v_mov_b32_e32 v11, 0
	v_mov_b32_e32 v12, 0
	s_waitcnt lgkmcnt(0)
	s_barrier
	s_and_saveexec_b64 s[12:13], s[14:15]
	s_cbranch_execz .LBB34_596
; %bb.587:
	v_mul_u32_u24_e32 v31, 0x208, v25
	ds_read_b64 v[11:12], v21 offset:16704
	ds_read_b64 v[32:33], v31 offset:16640
	v_cmp_gt_u32_e64 s[10:11], 56, v14
	s_waitcnt lgkmcnt(0)
	v_fma_f64 v[11:12], v[11:12], v[32:33], 0
	s_and_saveexec_b64 s[16:17], s[10:11]
	s_cbranch_execnz .LBB34_1064
; %bb.588:
	s_or_b64 exec, exec, s[16:17]
	v_cmp_gt_u32_e64 s[10:11], 48, v14
	s_and_saveexec_b64 s[16:17], s[10:11]
	s_cbranch_execnz .LBB34_1065
.LBB34_589:
	s_or_b64 exec, exec, s[16:17]
	v_cmp_gt_u32_e64 s[10:11], 40, v14
	s_and_saveexec_b64 s[16:17], s[10:11]
	s_cbranch_execnz .LBB34_1066
.LBB34_590:
	s_or_b64 exec, exec, s[16:17]
	v_cmp_gt_u32_e64 s[10:11], 32, v14
	s_and_saveexec_b64 s[16:17], s[10:11]
	s_cbranch_execnz .LBB34_1067
.LBB34_591:
	s_or_b64 exec, exec, s[16:17]
	v_cmp_gt_u32_e64 s[10:11], 24, v14
	s_and_saveexec_b64 s[16:17], s[10:11]
	s_cbranch_execnz .LBB34_1068
.LBB34_592:
	s_or_b64 exec, exec, s[16:17]
	v_cmp_gt_u32_e64 s[10:11], 16, v14
	s_and_saveexec_b64 s[16:17], s[10:11]
	s_cbranch_execnz .LBB34_1069
.LBB34_593:
	s_or_b64 exec, exec, s[16:17]
	v_cmp_gt_u32_e64 s[10:11], 8, v14
	s_and_saveexec_b64 s[16:17], s[10:11]
	s_cbranch_execz .LBB34_595
.LBB34_594:
	v_lshlrev_b32_e32 v31, 3, v0
	v_mov_b32_e32 v33, 0
	ds_read_b64 v[31:32], v31 offset:20288
	ds_read_b64 v[33:34], v33 offset:16696
	s_waitcnt lgkmcnt(0)
	v_fma_f64 v[11:12], v[31:32], v[33:34], v[11:12]
.LBB34_595:
	s_or_b64 exec, exec, s[16:17]
	v_xor_b32_e32 v12, 0x80000000, v12
.LBB34_596:
	s_or_b64 exec, exec, s[12:13]
	s_and_saveexec_b64 s[10:11], s[52:53]
	s_cbranch_execz .LBB34_598
; %bb.597:
	v_mov_b32_e32 v31, 0
	ds_read_b64 v[31:32], v31 offset:20800
	s_waitcnt lgkmcnt(0)
	v_mul_f64 v[11:12], v[11:12], v[31:32]
	ds_write_b64 v23, v[11:12]
.LBB34_598:
	s_or_b64 exec, exec, s[10:11]
	s_waitcnt lgkmcnt(0)
	s_barrier
	s_and_saveexec_b64 s[10:11], s[54:55]
	s_cbranch_execz .LBB34_600
; %bb.599:
	ds_read_b64 v[31:32], v22 offset:20800
	ds_read_b64 v[33:34], v23
	s_waitcnt lgkmcnt(0)
	v_fma_f64 v[11:12], v[31:32], v[33:34], v[11:12]
.LBB34_600:
	s_or_b64 exec, exec, s[10:11]
	s_barrier
	s_and_saveexec_b64 s[10:11], s[56:57]
	s_cbranch_execz .LBB34_602
; %bb.601:
	v_mov_b32_e32 v31, 0
	ds_read_b64 v[31:32], v31 offset:21320
	s_waitcnt lgkmcnt(0)
	v_mul_f64 v[11:12], v[11:12], v[31:32]
	ds_write_b64 v23, v[11:12]
.LBB34_602:
	s_or_b64 exec, exec, s[10:11]
	s_waitcnt lgkmcnt(0)
	s_barrier
	s_and_saveexec_b64 s[10:11], s[58:59]
	s_cbranch_execz .LBB34_604
; %bb.603:
	ds_read_b64 v[31:32], v22 offset:21312
	ds_read_b64 v[33:34], v23
	s_waitcnt lgkmcnt(0)
	v_fma_f64 v[11:12], v[31:32], v[33:34], v[11:12]
.LBB34_604:
	s_or_b64 exec, exec, s[10:11]
	s_barrier
	;; [unrolled: 22-line block ×6, first 2 shown]
	s_and_saveexec_b64 s[10:11], s[78:79]
	s_cbranch_execz .LBB34_622
; %bb.621:
	v_mov_b32_e32 v31, 0
	ds_read_b64 v[31:32], v31 offset:23920
	s_waitcnt lgkmcnt(0)
	v_mul_f64 v[11:12], v[11:12], v[31:32]
	ds_write_b64 v23, v[11:12]
.LBB34_622:
	s_or_b64 exec, exec, s[10:11]
	s_waitcnt lgkmcnt(0)
	s_barrier
	s_and_saveexec_b64 s[10:11], s[62:63]
	s_cbranch_execz .LBB34_624
; %bb.623:
	v_mov_b32_e32 v31, 0
	ds_read_b64 v[31:32], v31 offset:23928
	ds_read_b64 v[33:34], v23
	s_waitcnt lgkmcnt(0)
	v_fma_f64 v[11:12], v[31:32], v[33:34], v[11:12]
.LBB34_624:
	s_or_b64 exec, exec, s[10:11]
	s_barrier
	s_and_saveexec_b64 s[10:11], s[62:63]
	s_cbranch_execz .LBB34_626
; %bb.625:
	v_mov_b32_e32 v31, 0
	ds_read_b64 v[31:32], v31 offset:24440
	s_waitcnt lgkmcnt(0)
	v_mul_f64 v[11:12], v[11:12], v[31:32]
	ds_write_b64 v23, v[11:12]
.LBB34_626:
	s_or_b64 exec, exec, s[10:11]
	s_waitcnt lgkmcnt(0)
	s_barrier
	s_barrier
	s_and_saveexec_b64 s[10:11], s[14:15]
; %bb.627:
	v_xor_b32_e32 v12, 0x80000000, v12
	ds_write_b64 v21, v[11:12] offset:16704
; %bb.628:
	s_or_b64 exec, exec, s[10:11]
	s_waitcnt lgkmcnt(0)
	s_barrier
	s_barrier
	s_and_saveexec_b64 s[10:11], vcc
	s_cbranch_execz .LBB34_630
; %bb.629:
	v_mov_b32_e32 v35, 0
	ds_read_b128 v[31:34], v35 offset:20800
	ds_read_b64 v[11:12], v35 offset:21320
	s_waitcnt lgkmcnt(0)
	v_mul_f64 v[11:12], v[31:32], v[11:12]
	v_mul_f64 v[11:12], v[33:34], v[11:12]
	ds_write_b64 v35, v[11:12] offset:20808
.LBB34_630:
	s_or_b64 exec, exec, s[10:11]
	v_mov_b32_e32 v11, 0
	v_mov_b32_e32 v12, 0
	s_waitcnt lgkmcnt(0)
	s_barrier
	s_and_saveexec_b64 s[12:13], s[0:1]
	s_cbranch_execz .LBB34_634
; %bb.631:
	v_mul_u32_u24_e32 v31, 0x208, v15
	ds_read_b64 v[11:12], v1 offset:20816
	ds_read_b64 v[31:32], v31 offset:20800
	v_cmp_gt_u32_e64 s[10:11], 2, v14
	s_waitcnt lgkmcnt(0)
	v_fma_f64 v[11:12], v[11:12], v[31:32], 0
	s_and_saveexec_b64 s[16:17], s[10:11]
	s_cbranch_execz .LBB34_633
; %bb.632:
	v_lshlrev_b32_e32 v31, 3, v0
	v_mov_b32_e32 v33, 0
	ds_read_b64 v[31:32], v31 offset:21328
	ds_read_b64 v[33:34], v33 offset:20808
	s_waitcnt lgkmcnt(0)
	v_fma_f64 v[11:12], v[31:32], v[33:34], v[11:12]
.LBB34_633:
	s_or_b64 exec, exec, s[16:17]
	v_xor_b32_e32 v12, 0x80000000, v12
.LBB34_634:
	s_or_b64 exec, exec, s[12:13]
	s_and_saveexec_b64 s[10:11], s[38:39]
	s_cbranch_execz .LBB34_636
; %bb.635:
	v_mov_b32_e32 v31, 0
	ds_read_b64 v[31:32], v31 offset:21840
	s_waitcnt lgkmcnt(0)
	v_mul_f64 v[11:12], v[11:12], v[31:32]
	ds_write_b64 v13, v[11:12]
.LBB34_636:
	s_or_b64 exec, exec, s[10:11]
	s_waitcnt lgkmcnt(0)
	s_barrier
	s_and_saveexec_b64 s[10:11], s[36:37]
	s_cbranch_execz .LBB34_638
; %bb.637:
	v_mov_b32_e32 v31, 0
	ds_read_b64 v[31:32], v31 offset:21848
	ds_read_b64 v[33:34], v13
	s_waitcnt lgkmcnt(0)
	v_fma_f64 v[11:12], v[31:32], v[33:34], v[11:12]
.LBB34_638:
	s_or_b64 exec, exec, s[10:11]
	s_barrier
	s_and_saveexec_b64 s[10:11], s[36:37]
	s_cbranch_execz .LBB34_640
; %bb.639:
	v_mov_b32_e32 v31, 0
	ds_read_b64 v[31:32], v31 offset:22360
	s_waitcnt lgkmcnt(0)
	v_mul_f64 v[11:12], v[11:12], v[31:32]
	ds_write_b64 v13, v[11:12]
.LBB34_640:
	s_or_b64 exec, exec, s[10:11]
	s_waitcnt lgkmcnt(0)
	s_barrier
	s_barrier
	s_and_saveexec_b64 s[10:11], s[0:1]
; %bb.641:
	v_xor_b32_e32 v12, 0x80000000, v12
	ds_write_b64 v1, v[11:12] offset:20816
; %bb.642:
	s_or_b64 exec, exec, s[10:11]
	s_waitcnt lgkmcnt(0)
	s_barrier
	s_barrier
	s_and_saveexec_b64 s[10:11], vcc
	s_cbranch_execz .LBB34_644
; %bb.643:
	v_mov_b32_e32 v35, 0
	ds_read_b128 v[31:34], v35 offset:21840
	ds_read_b64 v[11:12], v35 offset:22360
	s_waitcnt lgkmcnt(0)
	v_mul_f64 v[11:12], v[31:32], v[11:12]
	v_mul_f64 v[11:12], v[33:34], v[11:12]
	ds_write_b64 v35, v[11:12] offset:21848
.LBB34_644:
	s_or_b64 exec, exec, s[10:11]
	v_mov_b32_e32 v11, 0
	v_mov_b32_e32 v12, 0
	s_waitcnt lgkmcnt(0)
	s_barrier
	s_and_saveexec_b64 s[12:13], s[2:3]
	s_cbranch_execz .LBB34_650
; %bb.645:
	v_mul_u32_u24_e32 v31, 0x208, v20
	ds_read_b64 v[11:12], v16 offset:20832
	ds_read_b64 v[32:33], v31 offset:20800
	v_cmp_gt_u32_e64 s[10:11], 12, v14
	s_waitcnt lgkmcnt(0)
	v_fma_f64 v[11:12], v[11:12], v[32:33], 0
	s_and_saveexec_b64 s[16:17], s[10:11]
	s_cbranch_execnz .LBB34_1070
; %bb.646:
	s_or_b64 exec, exec, s[16:17]
	v_cmp_gt_u32_e64 s[10:11], 8, v14
	s_and_saveexec_b64 s[16:17], s[10:11]
	s_cbranch_execnz .LBB34_1071
.LBB34_647:
	s_or_b64 exec, exec, s[16:17]
	v_cmp_gt_u32_e64 s[10:11], 4, v14
	s_and_saveexec_b64 s[16:17], s[10:11]
	s_cbranch_execz .LBB34_649
.LBB34_648:
	v_lshlrev_b32_e32 v31, 3, v0
	v_mov_b32_e32 v33, 0
	ds_read_b64 v[31:32], v31 offset:22368
	ds_read_b64 v[33:34], v33 offset:20824
	s_waitcnt lgkmcnt(0)
	v_fma_f64 v[11:12], v[31:32], v[33:34], v[11:12]
.LBB34_649:
	s_or_b64 exec, exec, s[16:17]
	v_xor_b32_e32 v12, 0x80000000, v12
.LBB34_650:
	s_or_b64 exec, exec, s[12:13]
	s_and_saveexec_b64 s[10:11], s[42:43]
	s_cbranch_execz .LBB34_652
; %bb.651:
	v_mov_b32_e32 v31, 0
	ds_read_b64 v[31:32], v31 offset:22880
	s_waitcnt lgkmcnt(0)
	v_mul_f64 v[11:12], v[11:12], v[31:32]
	ds_write_b64 v18, v[11:12]
.LBB34_652:
	s_or_b64 exec, exec, s[10:11]
	s_waitcnt lgkmcnt(0)
	s_barrier
	s_and_saveexec_b64 s[10:11], s[44:45]
	s_cbranch_execz .LBB34_654
; %bb.653:
	ds_read_b64 v[31:32], v17 offset:22880
	ds_read_b64 v[33:34], v18
	s_waitcnt lgkmcnt(0)
	v_fma_f64 v[11:12], v[31:32], v[33:34], v[11:12]
.LBB34_654:
	s_or_b64 exec, exec, s[10:11]
	s_barrier
	s_and_saveexec_b64 s[10:11], s[46:47]
	s_cbranch_execz .LBB34_656
; %bb.655:
	v_mov_b32_e32 v31, 0
	ds_read_b64 v[31:32], v31 offset:23400
	s_waitcnt lgkmcnt(0)
	v_mul_f64 v[11:12], v[11:12], v[31:32]
	ds_write_b64 v18, v[11:12]
.LBB34_656:
	s_or_b64 exec, exec, s[10:11]
	s_waitcnt lgkmcnt(0)
	s_barrier
	s_and_saveexec_b64 s[10:11], s[48:49]
	s_cbranch_execz .LBB34_658
; %bb.657:
	ds_read_b64 v[31:32], v17 offset:23392
	ds_read_b64 v[33:34], v18
	s_waitcnt lgkmcnt(0)
	v_fma_f64 v[11:12], v[31:32], v[33:34], v[11:12]
.LBB34_658:
	s_or_b64 exec, exec, s[10:11]
	s_barrier
	s_and_saveexec_b64 s[10:11], s[50:51]
	s_cbranch_execz .LBB34_660
; %bb.659:
	v_mov_b32_e32 v31, 0
	ds_read_b64 v[31:32], v31 offset:23920
	s_waitcnt lgkmcnt(0)
	v_mul_f64 v[11:12], v[11:12], v[31:32]
	ds_write_b64 v18, v[11:12]
.LBB34_660:
	s_or_b64 exec, exec, s[10:11]
	s_waitcnt lgkmcnt(0)
	s_barrier
	s_and_saveexec_b64 s[10:11], s[40:41]
	s_cbranch_execz .LBB34_662
; %bb.661:
	v_mov_b32_e32 v31, 0
	ds_read_b64 v[31:32], v31 offset:23928
	ds_read_b64 v[33:34], v18
	s_waitcnt lgkmcnt(0)
	v_fma_f64 v[11:12], v[31:32], v[33:34], v[11:12]
.LBB34_662:
	s_or_b64 exec, exec, s[10:11]
	s_barrier
	s_and_saveexec_b64 s[10:11], s[40:41]
	s_cbranch_execz .LBB34_664
; %bb.663:
	v_mov_b32_e32 v31, 0
	ds_read_b64 v[31:32], v31 offset:24440
	s_waitcnt lgkmcnt(0)
	v_mul_f64 v[11:12], v[11:12], v[31:32]
	ds_write_b64 v18, v[11:12]
.LBB34_664:
	s_or_b64 exec, exec, s[10:11]
	s_waitcnt lgkmcnt(0)
	s_barrier
	s_barrier
	s_and_saveexec_b64 s[10:11], s[2:3]
; %bb.665:
	v_xor_b32_e32 v12, 0x80000000, v12
	ds_write_b64 v16, v[11:12] offset:20832
; %bb.666:
	s_or_b64 exec, exec, s[10:11]
	s_waitcnt lgkmcnt(0)
	s_barrier
	s_barrier
	s_and_saveexec_b64 s[10:11], vcc
	s_cbranch_execz .LBB34_668
; %bb.667:
	v_mov_b32_e32 v35, 0
	ds_read_b128 v[31:34], v35 offset:22880
	ds_read_b64 v[11:12], v35 offset:23400
	s_waitcnt lgkmcnt(0)
	v_mul_f64 v[11:12], v[31:32], v[11:12]
	v_mul_f64 v[11:12], v[33:34], v[11:12]
	ds_write_b64 v35, v[11:12] offset:22888
.LBB34_668:
	s_or_b64 exec, exec, s[10:11]
	v_mov_b32_e32 v11, 0
	v_mov_b32_e32 v12, 0
	s_waitcnt lgkmcnt(0)
	s_barrier
	s_and_saveexec_b64 s[12:13], s[0:1]
	s_cbranch_execz .LBB34_672
; %bb.669:
	v_mul_u32_u24_e32 v31, 0x208, v15
	ds_read_b64 v[11:12], v1 offset:22896
	ds_read_b64 v[31:32], v31 offset:22880
	v_cmp_gt_u32_e64 s[10:11], 2, v14
	s_waitcnt lgkmcnt(0)
	v_fma_f64 v[11:12], v[11:12], v[31:32], 0
	s_and_saveexec_b64 s[16:17], s[10:11]
	s_cbranch_execz .LBB34_671
; %bb.670:
	v_lshlrev_b32_e32 v31, 3, v0
	v_mov_b32_e32 v33, 0
	ds_read_b64 v[31:32], v31 offset:23408
	ds_read_b64 v[33:34], v33 offset:22888
	s_waitcnt lgkmcnt(0)
	v_fma_f64 v[11:12], v[31:32], v[33:34], v[11:12]
.LBB34_671:
	s_or_b64 exec, exec, s[16:17]
	v_xor_b32_e32 v12, 0x80000000, v12
.LBB34_672:
	s_or_b64 exec, exec, s[12:13]
	s_and_saveexec_b64 s[10:11], s[38:39]
	s_cbranch_execz .LBB34_674
; %bb.673:
	v_mov_b32_e32 v31, 0
	ds_read_b64 v[31:32], v31 offset:23920
	s_waitcnt lgkmcnt(0)
	v_mul_f64 v[11:12], v[11:12], v[31:32]
	ds_write_b64 v13, v[11:12]
.LBB34_674:
	s_or_b64 exec, exec, s[10:11]
	s_waitcnt lgkmcnt(0)
	s_barrier
	s_and_saveexec_b64 s[10:11], s[36:37]
	s_cbranch_execz .LBB34_676
; %bb.675:
	v_mov_b32_e32 v31, 0
	ds_read_b64 v[31:32], v31 offset:23928
	ds_read_b64 v[33:34], v13
	s_waitcnt lgkmcnt(0)
	v_fma_f64 v[11:12], v[31:32], v[33:34], v[11:12]
.LBB34_676:
	s_or_b64 exec, exec, s[10:11]
	s_barrier
	s_and_saveexec_b64 s[10:11], s[36:37]
	s_cbranch_execz .LBB34_678
; %bb.677:
	v_mov_b32_e32 v31, 0
	ds_read_b64 v[31:32], v31 offset:24440
	s_waitcnt lgkmcnt(0)
	v_mul_f64 v[11:12], v[11:12], v[31:32]
	ds_write_b64 v13, v[11:12]
.LBB34_678:
	s_or_b64 exec, exec, s[10:11]
	s_waitcnt lgkmcnt(0)
	s_barrier
	s_barrier
	s_and_saveexec_b64 s[10:11], s[0:1]
; %bb.679:
	v_xor_b32_e32 v12, 0x80000000, v12
	ds_write_b64 v1, v[11:12] offset:22896
; %bb.680:
	s_or_b64 exec, exec, s[10:11]
	s_waitcnt lgkmcnt(0)
	s_barrier
	s_barrier
	s_and_saveexec_b64 s[10:11], vcc
	s_cbranch_execz .LBB34_682
; %bb.681:
	v_mov_b32_e32 v35, 0
	ds_read_b128 v[31:34], v35 offset:23920
	ds_read_b64 v[11:12], v35 offset:24440
	s_waitcnt lgkmcnt(0)
	v_mul_f64 v[11:12], v[31:32], v[11:12]
	v_mul_f64 v[11:12], v[33:34], v[11:12]
	ds_write_b64 v35, v[11:12] offset:23928
.LBB34_682:
	s_or_b64 exec, exec, s[10:11]
	v_mov_b32_e32 v11, 0
	v_mov_b32_e32 v12, 0
	s_waitcnt lgkmcnt(0)
	s_barrier
	s_and_saveexec_b64 s[12:13], s[8:9]
	s_cbranch_execz .LBB34_710
; %bb.683:
	v_mul_u32_u24_e32 v31, 0x208, v30
	ds_read_b64 v[11:12], v26 offset:16768
	ds_read_b64 v[32:33], v31 offset:16640
	s_movk_i32 s10, 0xf0
	v_cmp_gt_u32_e64 s[10:11], s10, v14
	s_waitcnt lgkmcnt(0)
	v_fma_f64 v[11:12], v[11:12], v[32:33], 0
	s_and_saveexec_b64 s[16:17], s[10:11]
	s_cbranch_execz .LBB34_685
; %bb.684:
	v_lshlrev_b32_e32 v32, 3, v30
	v_sub_u32_e32 v32, v31, v32
	v_lshl_add_u32 v32, v27, 3, v32
	ds_read_b64 v[32:33], v32 offset:17280
	ds_read_b64 v[34:35], v31 offset:16648
	s_waitcnt lgkmcnt(0)
	v_fma_f64 v[11:12], v[32:33], v[34:35], v[11:12]
.LBB34_685:
	s_or_b64 exec, exec, s[16:17]
	s_movk_i32 s10, 0xe0
	v_cmp_gt_u32_e64 s[10:11], s10, v14
	s_and_saveexec_b64 s[16:17], s[10:11]
	s_cbranch_execz .LBB34_687
; %bb.686:
	v_lshlrev_b32_e32 v32, 3, v30
	v_sub_u32_e32 v32, v31, v32
	v_lshl_add_u32 v32, v27, 3, v32
	ds_read_b64 v[32:33], v32 offset:17792
	ds_read_b64 v[34:35], v31 offset:16656
	s_waitcnt lgkmcnt(0)
	v_fma_f64 v[11:12], v[32:33], v[34:35], v[11:12]
.LBB34_687:
	s_or_b64 exec, exec, s[16:17]
	s_movk_i32 s10, 0xd0
	v_cmp_gt_u32_e64 s[10:11], s10, v14
	;; [unrolled: 14-line block ×7, first 2 shown]
	s_and_saveexec_b64 s[16:17], s[10:11]
	s_cbranch_execz .LBB34_699
; %bb.698:
	ds_read_b64 v[32:33], v26 offset:20864
	ds_read_b64 v[34:35], v31 offset:16704
	s_waitcnt lgkmcnt(0)
	v_fma_f64 v[11:12], v[32:33], v[34:35], v[11:12]
.LBB34_699:
	s_or_b64 exec, exec, s[16:17]
	s_movk_i32 s10, 0x70
	v_cmp_gt_u32_e64 s[10:11], s10, v14
	s_and_saveexec_b64 s[16:17], s[10:11]
	s_cbranch_execz .LBB34_701
; %bb.700:
	v_lshlrev_b32_e32 v30, 3, v27
	v_lshl_add_u32 v30, v29, 3, v30
	ds_read_b64 v[32:33], v30 offset:21376
	ds_read_b64 v[34:35], v31 offset:16712
	s_waitcnt lgkmcnt(0)
	v_fma_f64 v[11:12], v[32:33], v[34:35], v[11:12]
.LBB34_701:
	s_or_b64 exec, exec, s[16:17]
	s_movk_i32 s10, 0x60
	v_cmp_gt_u32_e64 s[10:11], s10, v14
	s_and_saveexec_b64 s[16:17], s[10:11]
	s_cbranch_execz .LBB34_703
; %bb.702:
	v_lshlrev_b32_e32 v30, 3, v27
	v_lshl_add_u32 v30, v29, 3, v30
	ds_read_b64 v[32:33], v30 offset:21888
	ds_read_b64 v[34:35], v31 offset:16720
	s_waitcnt lgkmcnt(0)
	v_fma_f64 v[11:12], v[32:33], v[34:35], v[11:12]
.LBB34_703:
	s_or_b64 exec, exec, s[16:17]
	s_movk_i32 s10, 0x50
	v_cmp_gt_u32_e64 s[10:11], s10, v14
	s_and_saveexec_b64 s[16:17], s[10:11]
	s_cbranch_execnz .LBB34_1072
; %bb.704:
	s_or_b64 exec, exec, s[16:17]
	v_cmp_gt_u32_e64 s[10:11], 64, v14
	s_and_saveexec_b64 s[16:17], s[10:11]
	s_cbranch_execnz .LBB34_1073
.LBB34_705:
	s_or_b64 exec, exec, s[16:17]
	v_cmp_gt_u32_e64 s[10:11], 48, v14
	s_and_saveexec_b64 s[16:17], s[10:11]
	s_cbranch_execnz .LBB34_1074
.LBB34_706:
	s_or_b64 exec, exec, s[16:17]
	v_cmp_gt_u32_e64 s[10:11], 32, v14
	s_and_saveexec_b64 s[16:17], s[10:11]
	s_cbranch_execnz .LBB34_1075
.LBB34_707:
	s_or_b64 exec, exec, s[16:17]
	v_cmp_gt_u32_e64 s[10:11], 16, v14
	s_and_saveexec_b64 s[16:17], s[10:11]
	s_cbranch_execz .LBB34_709
.LBB34_708:
	v_lshlrev_b32_e32 v29, 3, v0
	v_mov_b32_e32 v31, 0
	ds_read_b64 v[29:30], v29 offset:24448
	ds_read_b64 v[31:32], v31 offset:16760
	s_waitcnt lgkmcnt(0)
	v_fma_f64 v[11:12], v[29:30], v[31:32], v[11:12]
.LBB34_709:
	s_or_b64 exec, exec, s[16:17]
	v_xor_b32_e32 v12, 0x80000000, v12
.LBB34_710:
	s_or_b64 exec, exec, s[12:13]
	s_mov_b64 s[10:11], exec
	v_readlane_b32 s12, v41, 3
	v_readlane_b32 s13, v41, 4
	s_and_b64 s[12:13], s[10:11], s[12:13]
	s_mov_b64 exec, s[12:13]
	s_cbranch_execz .LBB34_712
; %bb.711:
	v_mov_b32_e32 v29, 0
	ds_read_b64 v[29:30], v29 offset:24960
	s_waitcnt lgkmcnt(0)
	v_mul_f64 v[11:12], v[11:12], v[29:30]
	ds_write_b64 v28, v[11:12]
.LBB34_712:
	s_or_b64 exec, exec, s[10:11]
	s_waitcnt lgkmcnt(0)
	s_barrier
	s_mov_b64 s[10:11], exec
	v_readlane_b32 s12, v41, 5
	v_readlane_b32 s13, v41, 6
	s_and_b64 s[12:13], s[10:11], s[12:13]
	s_mov_b64 exec, s[12:13]
	s_cbranch_execz .LBB34_714
; %bb.713:
	v_lshlrev_b32_e32 v29, 3, v27
	ds_read_b64 v[29:30], v29 offset:24960
	ds_read_b64 v[31:32], v28
	s_waitcnt lgkmcnt(0)
	v_fma_f64 v[11:12], v[29:30], v[31:32], v[11:12]
.LBB34_714:
	s_or_b64 exec, exec, s[10:11]
	s_barrier
	s_mov_b64 s[10:11], exec
	v_readlane_b32 s12, v41, 7
	v_readlane_b32 s13, v41, 8
	s_and_b64 s[12:13], s[10:11], s[12:13]
	s_mov_b64 exec, s[12:13]
	s_cbranch_execz .LBB34_716
; %bb.715:
	v_mov_b32_e32 v29, 0
	ds_read_b64 v[29:30], v29 offset:25480
	s_waitcnt lgkmcnt(0)
	v_mul_f64 v[11:12], v[11:12], v[29:30]
	ds_write_b64 v28, v[11:12]
.LBB34_716:
	s_or_b64 exec, exec, s[10:11]
	s_waitcnt lgkmcnt(0)
	s_barrier
	s_mov_b64 s[10:11], exec
	v_readlane_b32 s12, v41, 9
	v_readlane_b32 s13, v41, 10
	s_and_b64 s[12:13], s[10:11], s[12:13]
	s_mov_b64 exec, s[12:13]
	s_cbranch_execz .LBB34_718
; %bb.717:
	v_lshlrev_b32_e32 v29, 3, v27
	ds_read_b64 v[29:30], v29 offset:25472
	ds_read_b64 v[31:32], v28
	s_waitcnt lgkmcnt(0)
	v_fma_f64 v[11:12], v[29:30], v[31:32], v[11:12]
.LBB34_718:
	s_or_b64 exec, exec, s[10:11]
	s_barrier
	;; [unrolled: 31-line block ×12, first 2 shown]
	s_mov_b64 s[10:11], exec
	v_readlane_b32 s12, v41, 51
	v_readlane_b32 s13, v41, 52
	s_and_b64 s[12:13], s[10:11], s[12:13]
	s_mov_b64 exec, s[12:13]
	s_cbranch_execz .LBB34_760
; %bb.759:
	v_mov_b32_e32 v29, 0
	ds_read_b64 v[29:30], v29 offset:31200
	s_waitcnt lgkmcnt(0)
	v_mul_f64 v[11:12], v[11:12], v[29:30]
	ds_write_b64 v28, v[11:12]
.LBB34_760:
	s_or_b64 exec, exec, s[10:11]
	s_waitcnt lgkmcnt(0)
	s_barrier
	s_and_saveexec_b64 s[10:11], s[22:23]
	s_cbranch_execz .LBB34_762
; %bb.761:
	v_lshlrev_b32_e32 v29, 3, v27
	ds_read_b64 v[29:30], v29 offset:31104
	ds_read_b64 v[31:32], v28
	s_waitcnt lgkmcnt(0)
	v_fma_f64 v[11:12], v[29:30], v[31:32], v[11:12]
.LBB34_762:
	s_or_b64 exec, exec, s[10:11]
	s_barrier
	s_and_saveexec_b64 s[10:11], s[80:81]
	s_cbranch_execz .LBB34_764
; %bb.763:
	v_mov_b32_e32 v29, 0
	ds_read_b64 v[29:30], v29 offset:31720
	s_waitcnt lgkmcnt(0)
	v_mul_f64 v[11:12], v[11:12], v[29:30]
	ds_write_b64 v28, v[11:12]
.LBB34_764:
	s_or_b64 exec, exec, s[10:11]
	s_waitcnt lgkmcnt(0)
	s_barrier
	s_and_saveexec_b64 s[10:11], s[82:83]
	s_cbranch_execz .LBB34_766
; %bb.765:
	v_lshlrev_b32_e32 v27, 3, v27
	ds_read_b64 v[29:30], v27 offset:31616
	ds_read_b64 v[31:32], v28
	s_waitcnt lgkmcnt(0)
	v_fma_f64 v[11:12], v[29:30], v[31:32], v[11:12]
.LBB34_766:
	s_or_b64 exec, exec, s[10:11]
	s_barrier
	s_and_saveexec_b64 s[10:11], s[84:85]
	s_cbranch_execz .LBB34_768
; %bb.767:
	v_mov_b32_e32 v27, 0
	ds_read_b64 v[29:30], v27 offset:32240
	s_waitcnt lgkmcnt(0)
	v_mul_f64 v[11:12], v[11:12], v[29:30]
	ds_write_b64 v28, v[11:12]
.LBB34_768:
	s_or_b64 exec, exec, s[10:11]
	s_waitcnt lgkmcnt(0)
	s_barrier
	s_and_saveexec_b64 s[10:11], s[86:87]
	s_cbranch_execz .LBB34_770
; %bb.769:
	v_mov_b32_e32 v27, 0
	ds_read_b64 v[29:30], v27 offset:32248
	ds_read_b64 v[31:32], v28
	s_waitcnt lgkmcnt(0)
	v_fma_f64 v[11:12], v[29:30], v[31:32], v[11:12]
.LBB34_770:
	s_or_b64 exec, exec, s[10:11]
	s_barrier
	s_and_saveexec_b64 s[10:11], s[86:87]
	s_cbranch_execz .LBB34_772
; %bb.771:
	v_mov_b32_e32 v27, 0
	ds_read_b64 v[29:30], v27 offset:32760
	s_waitcnt lgkmcnt(0)
	v_mul_f64 v[11:12], v[11:12], v[29:30]
	ds_write_b64 v28, v[11:12]
.LBB34_772:
	s_or_b64 exec, exec, s[10:11]
	s_waitcnt lgkmcnt(0)
	s_barrier
	s_barrier
	s_and_saveexec_b64 s[10:11], s[8:9]
; %bb.773:
	v_xor_b32_e32 v12, 0x80000000, v12
	ds_write_b64 v26, v[11:12] offset:16768
; %bb.774:
	s_or_b64 exec, exec, s[10:11]
	s_waitcnt lgkmcnt(0)
	s_barrier
	s_barrier
	s_and_saveexec_b64 s[8:9], vcc
	s_cbranch_execz .LBB34_776
; %bb.775:
	v_mov_b32_e32 v30, 0
	ds_read_b128 v[26:29], v30 offset:24960
	ds_read_b64 v[11:12], v30 offset:25480
	s_waitcnt lgkmcnt(0)
	v_mul_f64 v[11:12], v[26:27], v[11:12]
	v_mul_f64 v[11:12], v[28:29], v[11:12]
	ds_write_b64 v30, v[11:12] offset:24968
.LBB34_776:
	s_or_b64 exec, exec, s[8:9]
	v_mov_b32_e32 v11, 0
	v_mov_b32_e32 v12, 0
	s_waitcnt lgkmcnt(0)
	s_barrier
	s_and_saveexec_b64 s[10:11], s[0:1]
	s_cbranch_execz .LBB34_780
; %bb.777:
	v_mul_u32_u24_e32 v26, 0x208, v15
	ds_read_b64 v[11:12], v1 offset:24976
	ds_read_b64 v[26:27], v26 offset:24960
	v_cmp_gt_u32_e64 s[8:9], 2, v14
	s_waitcnt lgkmcnt(0)
	v_fma_f64 v[11:12], v[11:12], v[26:27], 0
	s_and_saveexec_b64 s[12:13], s[8:9]
	s_cbranch_execz .LBB34_779
; %bb.778:
	v_lshlrev_b32_e32 v26, 3, v0
	v_mov_b32_e32 v28, 0
	ds_read_b64 v[26:27], v26 offset:25488
	ds_read_b64 v[28:29], v28 offset:24968
	s_waitcnt lgkmcnt(0)
	v_fma_f64 v[11:12], v[26:27], v[28:29], v[11:12]
.LBB34_779:
	s_or_b64 exec, exec, s[12:13]
	v_xor_b32_e32 v12, 0x80000000, v12
.LBB34_780:
	s_or_b64 exec, exec, s[10:11]
	s_and_saveexec_b64 s[8:9], s[38:39]
	s_cbranch_execz .LBB34_782
; %bb.781:
	v_mov_b32_e32 v26, 0
	ds_read_b64 v[26:27], v26 offset:26000
	s_waitcnt lgkmcnt(0)
	v_mul_f64 v[11:12], v[11:12], v[26:27]
	ds_write_b64 v13, v[11:12]
.LBB34_782:
	s_or_b64 exec, exec, s[8:9]
	s_waitcnt lgkmcnt(0)
	s_barrier
	s_and_saveexec_b64 s[8:9], s[36:37]
	s_cbranch_execz .LBB34_784
; %bb.783:
	v_mov_b32_e32 v26, 0
	ds_read_b64 v[26:27], v26 offset:26008
	ds_read_b64 v[28:29], v13
	s_waitcnt lgkmcnt(0)
	v_fma_f64 v[11:12], v[26:27], v[28:29], v[11:12]
.LBB34_784:
	s_or_b64 exec, exec, s[8:9]
	s_barrier
	s_and_saveexec_b64 s[8:9], s[36:37]
	s_cbranch_execz .LBB34_786
; %bb.785:
	v_mov_b32_e32 v26, 0
	ds_read_b64 v[26:27], v26 offset:26520
	s_waitcnt lgkmcnt(0)
	v_mul_f64 v[11:12], v[11:12], v[26:27]
	ds_write_b64 v13, v[11:12]
.LBB34_786:
	s_or_b64 exec, exec, s[8:9]
	s_waitcnt lgkmcnt(0)
	s_barrier
	s_barrier
	s_and_saveexec_b64 s[8:9], s[0:1]
; %bb.787:
	v_xor_b32_e32 v12, 0x80000000, v12
	ds_write_b64 v1, v[11:12] offset:24976
; %bb.788:
	s_or_b64 exec, exec, s[8:9]
	s_waitcnt lgkmcnt(0)
	s_barrier
	s_barrier
	s_and_saveexec_b64 s[8:9], vcc
	s_cbranch_execz .LBB34_790
; %bb.789:
	v_mov_b32_e32 v30, 0
	ds_read_b128 v[26:29], v30 offset:26000
	ds_read_b64 v[11:12], v30 offset:26520
	s_waitcnt lgkmcnt(0)
	v_mul_f64 v[11:12], v[26:27], v[11:12]
	v_mul_f64 v[11:12], v[28:29], v[11:12]
	ds_write_b64 v30, v[11:12] offset:26008
.LBB34_790:
	s_or_b64 exec, exec, s[8:9]
	v_mov_b32_e32 v11, 0
	v_mov_b32_e32 v12, 0
	s_waitcnt lgkmcnt(0)
	s_barrier
	s_and_saveexec_b64 s[10:11], s[2:3]
	s_cbranch_execz .LBB34_796
; %bb.791:
	v_mul_u32_u24_e32 v26, 0x208, v20
	ds_read_b64 v[11:12], v16 offset:24992
	ds_read_b64 v[27:28], v26 offset:24960
	v_cmp_gt_u32_e64 s[8:9], 12, v14
	s_waitcnt lgkmcnt(0)
	v_fma_f64 v[11:12], v[11:12], v[27:28], 0
	s_and_saveexec_b64 s[12:13], s[8:9]
	s_cbranch_execnz .LBB34_1076
; %bb.792:
	s_or_b64 exec, exec, s[12:13]
	v_cmp_gt_u32_e64 s[8:9], 8, v14
	s_and_saveexec_b64 s[12:13], s[8:9]
	s_cbranch_execnz .LBB34_1077
.LBB34_793:
	s_or_b64 exec, exec, s[12:13]
	v_cmp_gt_u32_e64 s[8:9], 4, v14
	s_and_saveexec_b64 s[12:13], s[8:9]
	s_cbranch_execz .LBB34_795
.LBB34_794:
	v_lshlrev_b32_e32 v26, 3, v0
	v_mov_b32_e32 v28, 0
	ds_read_b64 v[26:27], v26 offset:26528
	ds_read_b64 v[28:29], v28 offset:24984
	s_waitcnt lgkmcnt(0)
	v_fma_f64 v[11:12], v[26:27], v[28:29], v[11:12]
.LBB34_795:
	s_or_b64 exec, exec, s[12:13]
	v_xor_b32_e32 v12, 0x80000000, v12
.LBB34_796:
	s_or_b64 exec, exec, s[10:11]
	s_and_saveexec_b64 s[8:9], s[42:43]
	s_cbranch_execz .LBB34_798
; %bb.797:
	v_mov_b32_e32 v26, 0
	ds_read_b64 v[26:27], v26 offset:27040
	s_waitcnt lgkmcnt(0)
	v_mul_f64 v[11:12], v[11:12], v[26:27]
	ds_write_b64 v18, v[11:12]
.LBB34_798:
	s_or_b64 exec, exec, s[8:9]
	s_waitcnt lgkmcnt(0)
	s_barrier
	s_and_saveexec_b64 s[8:9], s[44:45]
	s_cbranch_execz .LBB34_800
; %bb.799:
	ds_read_b64 v[26:27], v17 offset:27040
	ds_read_b64 v[28:29], v18
	s_waitcnt lgkmcnt(0)
	v_fma_f64 v[11:12], v[26:27], v[28:29], v[11:12]
.LBB34_800:
	s_or_b64 exec, exec, s[8:9]
	s_barrier
	s_and_saveexec_b64 s[8:9], s[46:47]
	s_cbranch_execz .LBB34_802
; %bb.801:
	v_mov_b32_e32 v26, 0
	ds_read_b64 v[26:27], v26 offset:27560
	s_waitcnt lgkmcnt(0)
	v_mul_f64 v[11:12], v[11:12], v[26:27]
	ds_write_b64 v18, v[11:12]
.LBB34_802:
	s_or_b64 exec, exec, s[8:9]
	s_waitcnt lgkmcnt(0)
	s_barrier
	s_and_saveexec_b64 s[8:9], s[48:49]
	s_cbranch_execz .LBB34_804
; %bb.803:
	ds_read_b64 v[26:27], v17 offset:27552
	ds_read_b64 v[28:29], v18
	s_waitcnt lgkmcnt(0)
	v_fma_f64 v[11:12], v[26:27], v[28:29], v[11:12]
.LBB34_804:
	s_or_b64 exec, exec, s[8:9]
	s_barrier
	s_and_saveexec_b64 s[8:9], s[50:51]
	s_cbranch_execz .LBB34_806
; %bb.805:
	v_mov_b32_e32 v26, 0
	ds_read_b64 v[26:27], v26 offset:28080
	s_waitcnt lgkmcnt(0)
	v_mul_f64 v[11:12], v[11:12], v[26:27]
	ds_write_b64 v18, v[11:12]
.LBB34_806:
	s_or_b64 exec, exec, s[8:9]
	s_waitcnt lgkmcnt(0)
	s_barrier
	s_and_saveexec_b64 s[8:9], s[40:41]
	s_cbranch_execz .LBB34_808
; %bb.807:
	v_mov_b32_e32 v26, 0
	ds_read_b64 v[26:27], v26 offset:28088
	ds_read_b64 v[28:29], v18
	s_waitcnt lgkmcnt(0)
	v_fma_f64 v[11:12], v[26:27], v[28:29], v[11:12]
.LBB34_808:
	s_or_b64 exec, exec, s[8:9]
	s_barrier
	s_and_saveexec_b64 s[8:9], s[40:41]
	s_cbranch_execz .LBB34_810
; %bb.809:
	v_mov_b32_e32 v26, 0
	ds_read_b64 v[26:27], v26 offset:28600
	s_waitcnt lgkmcnt(0)
	v_mul_f64 v[11:12], v[11:12], v[26:27]
	ds_write_b64 v18, v[11:12]
.LBB34_810:
	s_or_b64 exec, exec, s[8:9]
	s_waitcnt lgkmcnt(0)
	s_barrier
	s_barrier
	s_and_saveexec_b64 s[8:9], s[2:3]
; %bb.811:
	v_xor_b32_e32 v12, 0x80000000, v12
	ds_write_b64 v16, v[11:12] offset:24992
; %bb.812:
	s_or_b64 exec, exec, s[8:9]
	s_waitcnt lgkmcnt(0)
	s_barrier
	s_barrier
	s_and_saveexec_b64 s[8:9], vcc
	s_cbranch_execz .LBB34_814
; %bb.813:
	v_mov_b32_e32 v30, 0
	ds_read_b128 v[26:29], v30 offset:27040
	ds_read_b64 v[11:12], v30 offset:27560
	s_waitcnt lgkmcnt(0)
	v_mul_f64 v[11:12], v[26:27], v[11:12]
	v_mul_f64 v[11:12], v[28:29], v[11:12]
	ds_write_b64 v30, v[11:12] offset:27048
.LBB34_814:
	s_or_b64 exec, exec, s[8:9]
	v_mov_b32_e32 v11, 0
	v_mov_b32_e32 v12, 0
	s_waitcnt lgkmcnt(0)
	s_barrier
	s_and_saveexec_b64 s[10:11], s[0:1]
	s_cbranch_execz .LBB34_818
; %bb.815:
	v_mul_u32_u24_e32 v26, 0x208, v15
	ds_read_b64 v[11:12], v1 offset:27056
	ds_read_b64 v[26:27], v26 offset:27040
	v_cmp_gt_u32_e64 s[8:9], 2, v14
	s_waitcnt lgkmcnt(0)
	v_fma_f64 v[11:12], v[11:12], v[26:27], 0
	s_and_saveexec_b64 s[12:13], s[8:9]
	s_cbranch_execz .LBB34_817
; %bb.816:
	v_lshlrev_b32_e32 v26, 3, v0
	v_mov_b32_e32 v28, 0
	ds_read_b64 v[26:27], v26 offset:27568
	ds_read_b64 v[28:29], v28 offset:27048
	s_waitcnt lgkmcnt(0)
	v_fma_f64 v[11:12], v[26:27], v[28:29], v[11:12]
.LBB34_817:
	s_or_b64 exec, exec, s[12:13]
	v_xor_b32_e32 v12, 0x80000000, v12
.LBB34_818:
	s_or_b64 exec, exec, s[10:11]
	s_and_saveexec_b64 s[8:9], s[38:39]
	s_cbranch_execz .LBB34_820
; %bb.819:
	v_mov_b32_e32 v26, 0
	ds_read_b64 v[26:27], v26 offset:28080
	s_waitcnt lgkmcnt(0)
	v_mul_f64 v[11:12], v[11:12], v[26:27]
	ds_write_b64 v13, v[11:12]
.LBB34_820:
	s_or_b64 exec, exec, s[8:9]
	s_waitcnt lgkmcnt(0)
	s_barrier
	s_and_saveexec_b64 s[8:9], s[36:37]
	s_cbranch_execz .LBB34_822
; %bb.821:
	v_mov_b32_e32 v26, 0
	ds_read_b64 v[26:27], v26 offset:28088
	ds_read_b64 v[28:29], v13
	s_waitcnt lgkmcnt(0)
	v_fma_f64 v[11:12], v[26:27], v[28:29], v[11:12]
.LBB34_822:
	s_or_b64 exec, exec, s[8:9]
	s_barrier
	s_and_saveexec_b64 s[8:9], s[36:37]
	s_cbranch_execz .LBB34_824
; %bb.823:
	v_mov_b32_e32 v26, 0
	ds_read_b64 v[26:27], v26 offset:28600
	s_waitcnt lgkmcnt(0)
	v_mul_f64 v[11:12], v[11:12], v[26:27]
	ds_write_b64 v13, v[11:12]
.LBB34_824:
	s_or_b64 exec, exec, s[8:9]
	s_waitcnt lgkmcnt(0)
	s_barrier
	s_barrier
	s_and_saveexec_b64 s[8:9], s[0:1]
; %bb.825:
	v_xor_b32_e32 v12, 0x80000000, v12
	ds_write_b64 v1, v[11:12] offset:27056
; %bb.826:
	s_or_b64 exec, exec, s[8:9]
	s_waitcnt lgkmcnt(0)
	s_barrier
	s_barrier
	s_and_saveexec_b64 s[8:9], vcc
	s_cbranch_execz .LBB34_828
; %bb.827:
	v_mov_b32_e32 v30, 0
	ds_read_b128 v[26:29], v30 offset:28080
	ds_read_b64 v[11:12], v30 offset:28600
	s_waitcnt lgkmcnt(0)
	v_mul_f64 v[11:12], v[26:27], v[11:12]
	v_mul_f64 v[11:12], v[28:29], v[11:12]
	ds_write_b64 v30, v[11:12] offset:28088
.LBB34_828:
	s_or_b64 exec, exec, s[8:9]
	v_mov_b32_e32 v11, 0
	v_mov_b32_e32 v12, 0
	s_waitcnt lgkmcnt(0)
	s_barrier
	s_and_saveexec_b64 s[10:11], s[14:15]
	s_cbranch_execz .LBB34_838
; %bb.829:
	v_mul_u32_u24_e32 v26, 0x208, v25
	ds_read_b64 v[11:12], v21 offset:25024
	ds_read_b64 v[27:28], v26 offset:24960
	v_cmp_gt_u32_e64 s[8:9], 56, v14
	s_waitcnt lgkmcnt(0)
	v_fma_f64 v[11:12], v[11:12], v[27:28], 0
	s_and_saveexec_b64 s[12:13], s[8:9]
	s_cbranch_execnz .LBB34_1078
; %bb.830:
	s_or_b64 exec, exec, s[12:13]
	v_cmp_gt_u32_e64 s[8:9], 48, v14
	s_and_saveexec_b64 s[12:13], s[8:9]
	s_cbranch_execnz .LBB34_1079
.LBB34_831:
	s_or_b64 exec, exec, s[12:13]
	v_cmp_gt_u32_e64 s[8:9], 40, v14
	s_and_saveexec_b64 s[12:13], s[8:9]
	s_cbranch_execnz .LBB34_1080
.LBB34_832:
	s_or_b64 exec, exec, s[12:13]
	v_cmp_gt_u32_e64 s[8:9], 32, v14
	s_and_saveexec_b64 s[12:13], s[8:9]
	s_cbranch_execnz .LBB34_1081
.LBB34_833:
	s_or_b64 exec, exec, s[12:13]
	v_cmp_gt_u32_e64 s[8:9], 24, v14
	s_and_saveexec_b64 s[12:13], s[8:9]
	s_cbranch_execnz .LBB34_1082
.LBB34_834:
	s_or_b64 exec, exec, s[12:13]
	v_cmp_gt_u32_e64 s[8:9], 16, v14
	s_and_saveexec_b64 s[12:13], s[8:9]
	s_cbranch_execnz .LBB34_1083
.LBB34_835:
	s_or_b64 exec, exec, s[12:13]
	v_cmp_gt_u32_e64 s[8:9], 8, v14
	s_and_saveexec_b64 s[12:13], s[8:9]
	s_cbranch_execz .LBB34_837
.LBB34_836:
	v_lshlrev_b32_e32 v24, 3, v0
	v_mov_b32_e32 v26, 0
	ds_read_b64 v[24:25], v24 offset:28608
	ds_read_b64 v[26:27], v26 offset:25016
	s_waitcnt lgkmcnt(0)
	v_fma_f64 v[11:12], v[24:25], v[26:27], v[11:12]
.LBB34_837:
	s_or_b64 exec, exec, s[12:13]
	v_xor_b32_e32 v12, 0x80000000, v12
.LBB34_838:
	s_or_b64 exec, exec, s[10:11]
	s_and_saveexec_b64 s[8:9], s[52:53]
	s_cbranch_execz .LBB34_840
; %bb.839:
	v_mov_b32_e32 v24, 0
	ds_read_b64 v[24:25], v24 offset:29120
	s_waitcnt lgkmcnt(0)
	v_mul_f64 v[11:12], v[11:12], v[24:25]
	ds_write_b64 v23, v[11:12]
.LBB34_840:
	s_or_b64 exec, exec, s[8:9]
	s_waitcnt lgkmcnt(0)
	s_barrier
	s_and_saveexec_b64 s[8:9], s[54:55]
	v_readlane_b32 s52, v41, 2
	s_cbranch_execz .LBB34_842
; %bb.841:
	ds_read_b64 v[24:25], v22 offset:29120
	ds_read_b64 v[26:27], v23
	s_waitcnt lgkmcnt(0)
	v_fma_f64 v[11:12], v[24:25], v[26:27], v[11:12]
.LBB34_842:
	s_or_b64 exec, exec, s[8:9]
	s_barrier
	s_and_saveexec_b64 s[8:9], s[56:57]
	s_cbranch_execz .LBB34_844
; %bb.843:
	v_mov_b32_e32 v24, 0
	ds_read_b64 v[24:25], v24 offset:29640
	s_waitcnt lgkmcnt(0)
	v_mul_f64 v[11:12], v[11:12], v[24:25]
	ds_write_b64 v23, v[11:12]
.LBB34_844:
	s_or_b64 exec, exec, s[8:9]
	s_waitcnt lgkmcnt(0)
	s_barrier
	s_and_saveexec_b64 s[8:9], s[58:59]
	s_cbranch_execz .LBB34_846
; %bb.845:
	ds_read_b64 v[24:25], v22 offset:29632
	ds_read_b64 v[26:27], v23
	s_waitcnt lgkmcnt(0)
	v_fma_f64 v[11:12], v[24:25], v[26:27], v[11:12]
.LBB34_846:
	s_or_b64 exec, exec, s[8:9]
	s_barrier
	s_and_saveexec_b64 s[8:9], s[60:61]
	s_cbranch_execz .LBB34_848
; %bb.847:
	v_mov_b32_e32 v24, 0
	ds_read_b64 v[24:25], v24 offset:30160
	s_waitcnt lgkmcnt(0)
	v_mul_f64 v[11:12], v[11:12], v[24:25]
	ds_write_b64 v23, v[11:12]
.LBB34_848:
	s_or_b64 exec, exec, s[8:9]
	s_waitcnt lgkmcnt(0)
	s_barrier
	s_and_saveexec_b64 s[8:9], s[64:65]
	;; [unrolled: 22-line block ×6, first 2 shown]
	s_cbranch_execz .LBB34_866
; %bb.865:
	v_mov_b32_e32 v22, 0
	ds_read_b64 v[24:25], v22 offset:32248
	ds_read_b64 v[26:27], v23
	s_waitcnt lgkmcnt(0)
	v_fma_f64 v[11:12], v[24:25], v[26:27], v[11:12]
.LBB34_866:
	s_or_b64 exec, exec, s[8:9]
	s_barrier
	s_and_saveexec_b64 s[8:9], s[62:63]
	s_cbranch_execz .LBB34_868
; %bb.867:
	v_mov_b32_e32 v22, 0
	ds_read_b64 v[24:25], v22 offset:32760
	s_waitcnt lgkmcnt(0)
	v_mul_f64 v[11:12], v[11:12], v[24:25]
	ds_write_b64 v23, v[11:12]
.LBB34_868:
	s_or_b64 exec, exec, s[8:9]
	s_waitcnt lgkmcnt(0)
	s_barrier
	s_barrier
	s_and_saveexec_b64 s[8:9], s[14:15]
; %bb.869:
	v_xor_b32_e32 v12, 0x80000000, v12
	ds_write_b64 v21, v[11:12] offset:25024
; %bb.870:
	s_or_b64 exec, exec, s[8:9]
	s_waitcnt lgkmcnt(0)
	s_barrier
	s_barrier
	s_and_saveexec_b64 s[8:9], vcc
	s_cbranch_execz .LBB34_872
; %bb.871:
	v_mov_b32_e32 v25, 0
	ds_read_b128 v[21:24], v25 offset:29120
	ds_read_b64 v[11:12], v25 offset:29640
	s_waitcnt lgkmcnt(0)
	v_mul_f64 v[11:12], v[21:22], v[11:12]
	v_mul_f64 v[11:12], v[23:24], v[11:12]
	ds_write_b64 v25, v[11:12] offset:29128
.LBB34_872:
	s_or_b64 exec, exec, s[8:9]
	v_mov_b32_e32 v11, 0
	v_mov_b32_e32 v12, 0
	s_waitcnt lgkmcnt(0)
	s_barrier
	s_and_saveexec_b64 s[10:11], s[0:1]
	s_cbranch_execz .LBB34_876
; %bb.873:
	v_mul_u32_u24_e32 v21, 0x208, v15
	ds_read_b64 v[11:12], v1 offset:29136
	ds_read_b64 v[21:22], v21 offset:29120
	v_cmp_gt_u32_e64 s[8:9], 2, v14
	s_waitcnt lgkmcnt(0)
	v_fma_f64 v[11:12], v[11:12], v[21:22], 0
	s_and_saveexec_b64 s[12:13], s[8:9]
	s_cbranch_execz .LBB34_875
; %bb.874:
	v_lshlrev_b32_e32 v21, 3, v0
	v_mov_b32_e32 v23, 0
	ds_read_b64 v[21:22], v21 offset:29648
	ds_read_b64 v[23:24], v23 offset:29128
	s_waitcnt lgkmcnt(0)
	v_fma_f64 v[11:12], v[21:22], v[23:24], v[11:12]
.LBB34_875:
	s_or_b64 exec, exec, s[12:13]
	v_xor_b32_e32 v12, 0x80000000, v12
.LBB34_876:
	s_or_b64 exec, exec, s[10:11]
	s_and_saveexec_b64 s[8:9], s[38:39]
	s_cbranch_execz .LBB34_878
; %bb.877:
	v_mov_b32_e32 v21, 0
	ds_read_b64 v[21:22], v21 offset:30160
	s_waitcnt lgkmcnt(0)
	v_mul_f64 v[11:12], v[11:12], v[21:22]
	ds_write_b64 v13, v[11:12]
.LBB34_878:
	s_or_b64 exec, exec, s[8:9]
	s_waitcnt lgkmcnt(0)
	s_barrier
	s_and_saveexec_b64 s[8:9], s[36:37]
	s_cbranch_execz .LBB34_880
; %bb.879:
	v_mov_b32_e32 v21, 0
	ds_read_b64 v[21:22], v21 offset:30168
	ds_read_b64 v[23:24], v13
	s_waitcnt lgkmcnt(0)
	v_fma_f64 v[11:12], v[21:22], v[23:24], v[11:12]
.LBB34_880:
	s_or_b64 exec, exec, s[8:9]
	s_barrier
	s_and_saveexec_b64 s[8:9], s[36:37]
	s_cbranch_execz .LBB34_882
; %bb.881:
	v_mov_b32_e32 v21, 0
	ds_read_b64 v[21:22], v21 offset:30680
	s_waitcnt lgkmcnt(0)
	v_mul_f64 v[11:12], v[11:12], v[21:22]
	ds_write_b64 v13, v[11:12]
.LBB34_882:
	s_or_b64 exec, exec, s[8:9]
	s_waitcnt lgkmcnt(0)
	s_barrier
	s_barrier
	s_and_saveexec_b64 s[8:9], s[0:1]
; %bb.883:
	v_xor_b32_e32 v12, 0x80000000, v12
	ds_write_b64 v1, v[11:12] offset:29136
; %bb.884:
	s_or_b64 exec, exec, s[8:9]
	s_waitcnt lgkmcnt(0)
	s_barrier
	s_barrier
	s_and_saveexec_b64 s[8:9], vcc
	s_cbranch_execz .LBB34_886
; %bb.885:
	v_mov_b32_e32 v25, 0
	ds_read_b128 v[21:24], v25 offset:30160
	ds_read_b64 v[11:12], v25 offset:30680
	s_waitcnt lgkmcnt(0)
	v_mul_f64 v[11:12], v[21:22], v[11:12]
	v_mul_f64 v[11:12], v[23:24], v[11:12]
	ds_write_b64 v25, v[11:12] offset:30168
.LBB34_886:
	s_or_b64 exec, exec, s[8:9]
	v_mov_b32_e32 v11, 0
	v_mov_b32_e32 v12, 0
	s_waitcnt lgkmcnt(0)
	s_barrier
	s_and_saveexec_b64 s[10:11], s[2:3]
	s_cbranch_execz .LBB34_892
; %bb.887:
	v_mul_u32_u24_e32 v21, 0x208, v20
	ds_read_b64 v[11:12], v16 offset:29152
	ds_read_b64 v[22:23], v21 offset:29120
	v_cmp_gt_u32_e64 s[8:9], 12, v14
	s_waitcnt lgkmcnt(0)
	v_fma_f64 v[11:12], v[11:12], v[22:23], 0
	s_and_saveexec_b64 s[12:13], s[8:9]
	s_cbranch_execnz .LBB34_1084
; %bb.888:
	s_or_b64 exec, exec, s[12:13]
	v_cmp_gt_u32_e64 s[8:9], 8, v14
	s_and_saveexec_b64 s[12:13], s[8:9]
	s_cbranch_execnz .LBB34_1085
.LBB34_889:
	s_or_b64 exec, exec, s[12:13]
	v_cmp_gt_u32_e64 s[8:9], 4, v14
	s_and_saveexec_b64 s[12:13], s[8:9]
	s_cbranch_execz .LBB34_891
.LBB34_890:
	v_lshlrev_b32_e32 v19, 3, v0
	v_mov_b32_e32 v21, 0
	ds_read_b64 v[19:20], v19 offset:30688
	ds_read_b64 v[21:22], v21 offset:29144
	s_waitcnt lgkmcnt(0)
	v_fma_f64 v[11:12], v[19:20], v[21:22], v[11:12]
.LBB34_891:
	s_or_b64 exec, exec, s[12:13]
	v_xor_b32_e32 v12, 0x80000000, v12
.LBB34_892:
	s_or_b64 exec, exec, s[10:11]
	s_and_saveexec_b64 s[8:9], s[42:43]
	s_cbranch_execz .LBB34_894
; %bb.893:
	v_mov_b32_e32 v19, 0
	ds_read_b64 v[19:20], v19 offset:31200
	s_waitcnt lgkmcnt(0)
	v_mul_f64 v[11:12], v[11:12], v[19:20]
	ds_write_b64 v18, v[11:12]
.LBB34_894:
	s_or_b64 exec, exec, s[8:9]
	s_waitcnt lgkmcnt(0)
	s_barrier
	s_and_saveexec_b64 s[8:9], s[44:45]
	s_cbranch_execz .LBB34_896
; %bb.895:
	ds_read_b64 v[19:20], v17 offset:31200
	ds_read_b64 v[21:22], v18
	s_waitcnt lgkmcnt(0)
	v_fma_f64 v[11:12], v[19:20], v[21:22], v[11:12]
.LBB34_896:
	s_or_b64 exec, exec, s[8:9]
	s_barrier
	s_and_saveexec_b64 s[8:9], s[46:47]
	s_cbranch_execz .LBB34_898
; %bb.897:
	v_mov_b32_e32 v19, 0
	ds_read_b64 v[19:20], v19 offset:31720
	s_waitcnt lgkmcnt(0)
	v_mul_f64 v[11:12], v[11:12], v[19:20]
	ds_write_b64 v18, v[11:12]
.LBB34_898:
	s_or_b64 exec, exec, s[8:9]
	s_waitcnt lgkmcnt(0)
	s_barrier
	s_and_saveexec_b64 s[8:9], s[48:49]
	s_cbranch_execz .LBB34_900
; %bb.899:
	ds_read_b64 v[19:20], v17 offset:31712
	ds_read_b64 v[21:22], v18
	s_waitcnt lgkmcnt(0)
	v_fma_f64 v[11:12], v[19:20], v[21:22], v[11:12]
.LBB34_900:
	s_or_b64 exec, exec, s[8:9]
	s_barrier
	s_and_saveexec_b64 s[8:9], s[50:51]
	s_cbranch_execz .LBB34_902
; %bb.901:
	v_mov_b32_e32 v17, 0
	ds_read_b64 v[19:20], v17 offset:32240
	s_waitcnt lgkmcnt(0)
	v_mul_f64 v[11:12], v[11:12], v[19:20]
	ds_write_b64 v18, v[11:12]
.LBB34_902:
	s_or_b64 exec, exec, s[8:9]
	s_waitcnt lgkmcnt(0)
	s_barrier
	s_and_saveexec_b64 s[8:9], s[40:41]
	s_cbranch_execz .LBB34_904
; %bb.903:
	v_mov_b32_e32 v17, 0
	ds_read_b64 v[19:20], v17 offset:32248
	ds_read_b64 v[21:22], v18
	s_waitcnt lgkmcnt(0)
	v_fma_f64 v[11:12], v[19:20], v[21:22], v[11:12]
.LBB34_904:
	s_or_b64 exec, exec, s[8:9]
	s_barrier
	s_and_saveexec_b64 s[8:9], s[40:41]
	s_cbranch_execz .LBB34_906
; %bb.905:
	v_mov_b32_e32 v17, 0
	ds_read_b64 v[19:20], v17 offset:32760
	s_waitcnt lgkmcnt(0)
	v_mul_f64 v[11:12], v[11:12], v[19:20]
	ds_write_b64 v18, v[11:12]
.LBB34_906:
	s_or_b64 exec, exec, s[8:9]
	s_waitcnt lgkmcnt(0)
	s_barrier
	s_barrier
	s_and_saveexec_b64 s[8:9], s[2:3]
; %bb.907:
	v_xor_b32_e32 v12, 0x80000000, v12
	ds_write_b64 v16, v[11:12] offset:29152
; %bb.908:
	s_or_b64 exec, exec, s[8:9]
	s_waitcnt lgkmcnt(0)
	s_barrier
	s_barrier
	s_and_saveexec_b64 s[2:3], vcc
	s_cbranch_execz .LBB34_910
; %bb.909:
	v_mov_b32_e32 v20, 0
	ds_read_b128 v[16:19], v20 offset:31200
	ds_read_b64 v[11:12], v20 offset:31720
	s_waitcnt lgkmcnt(0)
	v_mul_f64 v[11:12], v[16:17], v[11:12]
	v_mul_f64 v[11:12], v[18:19], v[11:12]
	ds_write_b64 v20, v[11:12] offset:31208
.LBB34_910:
	s_or_b64 exec, exec, s[2:3]
	v_mov_b32_e32 v11, 0
	v_mov_b32_e32 v12, 0
	s_waitcnt lgkmcnt(0)
	s_barrier
	s_and_saveexec_b64 s[8:9], s[0:1]
	s_cbranch_execz .LBB34_914
; %bb.911:
	v_mul_u32_u24_e32 v15, 0x208, v15
	ds_read_b64 v[11:12], v1 offset:31216
	ds_read_b64 v[15:16], v15 offset:31200
	v_cmp_gt_u32_e64 s[2:3], 2, v14
	s_waitcnt lgkmcnt(0)
	v_fma_f64 v[11:12], v[11:12], v[15:16], 0
	s_and_saveexec_b64 s[10:11], s[2:3]
	s_cbranch_execz .LBB34_913
; %bb.912:
	v_lshlrev_b32_e32 v14, 3, v0
	v_mov_b32_e32 v16, 0
	ds_read_b64 v[14:15], v14 offset:31728
	ds_read_b64 v[16:17], v16 offset:31208
	s_waitcnt lgkmcnt(0)
	v_fma_f64 v[11:12], v[14:15], v[16:17], v[11:12]
.LBB34_913:
	s_or_b64 exec, exec, s[10:11]
	v_xor_b32_e32 v12, 0x80000000, v12
.LBB34_914:
	s_or_b64 exec, exec, s[8:9]
	s_and_saveexec_b64 s[2:3], s[38:39]
	s_cbranch_execz .LBB34_916
; %bb.915:
	v_mov_b32_e32 v14, 0
	ds_read_b64 v[14:15], v14 offset:32240
	s_waitcnt lgkmcnt(0)
	v_mul_f64 v[11:12], v[11:12], v[14:15]
	ds_write_b64 v13, v[11:12]
.LBB34_916:
	s_or_b64 exec, exec, s[2:3]
	s_waitcnt lgkmcnt(0)
	s_barrier
	s_and_saveexec_b64 s[2:3], s[36:37]
	v_readlane_b32 s22, v41, 0
	v_readlane_b32 s23, v41, 1
	s_cbranch_execz .LBB34_918
; %bb.917:
	v_mov_b32_e32 v14, 0
	ds_read_b64 v[14:15], v14 offset:32248
	ds_read_b64 v[16:17], v13
	s_waitcnt lgkmcnt(0)
	v_fma_f64 v[11:12], v[14:15], v[16:17], v[11:12]
.LBB34_918:
	s_or_b64 exec, exec, s[2:3]
	s_barrier
	s_and_saveexec_b64 s[2:3], s[36:37]
	s_cbranch_execz .LBB34_920
; %bb.919:
	v_mov_b32_e32 v14, 0
	ds_read_b64 v[14:15], v14 offset:32760
	s_waitcnt lgkmcnt(0)
	v_mul_f64 v[11:12], v[11:12], v[14:15]
	ds_write_b64 v13, v[11:12]
.LBB34_920:
	s_or_b64 exec, exec, s[2:3]
	s_waitcnt lgkmcnt(0)
	s_barrier
	s_barrier
	s_and_saveexec_b64 s[2:3], s[0:1]
; %bb.921:
	v_xor_b32_e32 v12, 0x80000000, v12
	ds_write_b64 v1, v[11:12] offset:31216
; %bb.922:
	s_or_b64 exec, exec, s[2:3]
	s_waitcnt lgkmcnt(0)
	s_barrier
	s_barrier
	s_and_saveexec_b64 s[0:1], vcc
	s_cbranch_execz .LBB34_924
; %bb.923:
	v_mov_b32_e32 v1, 0
	ds_read_b128 v[11:14], v1 offset:32240
	ds_read_b64 v[15:16], v1 offset:32760
	s_waitcnt lgkmcnt(0)
	v_mul_f64 v[11:12], v[11:12], v[15:16]
	v_mul_f64 v[11:12], v[13:14], v[11:12]
	ds_write_b64 v1, v[11:12] offset:32248
.LBB34_924:
	s_or_b64 exec, exec, s[0:1]
.LBB34_925:
	s_load_dwordx4 s[12:15], s[4:5], 0x48
	v_cmp_le_i32_e32 vcc, s92, v0
	v_mov_b32_e32 v11, 0
	v_mov_b32_e32 v12, 0
	v_add_u32_e32 v13, s33, v0
	s_waitcnt lgkmcnt(0)
	s_mul_i32 s1, s13, s34
	s_mul_hi_u32 s2, s12, s34
	s_mul_i32 s0, s12, s34
	s_add_i32 s1, s2, s1
	s_lshl_b64 s[0:1], s[0:1], 3
	s_add_u32 s2, s26, s0
	s_addc_u32 s3, s27, s1
	s_lshl_b64 s[0:1], s[28:29], 3
	s_add_u32 s36, s2, s0
	s_addc_u32 s37, s3, s1
	s_and_b64 s[12:13], vcc, s[18:19]
	v_cmp_eq_u32_e64 s[0:1], 0, v2
	s_xor_b64 s[2:3], s[12:13], -1
	s_and_b64 s[4:5], s[0:1], s[2:3]
	s_barrier
	s_and_saveexec_b64 s[2:3], s[4:5]
	s_cbranch_execz .LBB34_927
; %bb.926:
	v_ashrrev_i32_e32 v1, 31, v13
	v_mul_lo_u32 v14, s31, v13
	v_mad_u64_u32 v[11:12], s[4:5], s30, v13, 0
	v_mul_lo_u32 v1, s30, v1
	v_add3_u32 v12, v12, v1, v14
	v_lshlrev_b64 v[11:12], 3, v[11:12]
	v_mov_b32_e32 v1, s37
	v_add_co_u32_e32 v11, vcc, s36, v11
	v_addc_co_u32_e32 v12, vcc, v1, v12, vcc
	global_load_dwordx2 v[11:12], v[11:12], off
	s_waitcnt vmcnt(0)
	v_mul_f64 v[11:12], v[11:12], -s[22:23]
.LBB34_927:
	s_or_b64 exec, exec, s[2:3]
	s_and_b32 s2, 0xffff, s95
	v_mad_u32_u24 v19, v2, s2, v0
	v_mov_b32_e32 v14, 0
	s_cmp_lt_i32 s6, 1
	v_cmp_eq_u32_e64 s[2:3], 0, v19
	s_cbranch_scc1 .LBB34_953
; %bb.928:
	v_mov_b32_e32 v15, 0xa000
	v_lshl_add_u32 v1, v19, 3, v15
	v_lshl_or_b32 v20, v2, 3, v15
	v_lshlrev_b64 v[15:16], 3, v[13:14]
	s_lshl_b64 s[4:5], s[34:35], 2
	s_add_u32 s16, s14, s4
	v_cmp_gt_i32_e64 s[10:11], s7, v13
	v_mov_b32_e32 v17, s94
	v_add_co_u32_e32 v13, vcc, s93, v15
	s_mul_i32 s8, s21, 0x180
	s_mul_hi_u32 s9, s20, 0x180
	s_mov_b32 s38, 0
	s_addc_u32 s17, s15, s5
	v_cmp_gt_u32_e64 s[4:5], 64, v19
	s_add_i32 s39, s6, -1
	v_addc_co_u32_e32 v21, vcc, v17, v16, vcc
	s_lshl_b64 s[22:23], s[20:21], 7
	s_lshl_b64 s[26:27], s[20:21], 8
	s_add_i32 s40, s9, s8
	s_mul_i32 s41, s20, 0x180
	v_mov_b32_e32 v22, -1
	s_branch .LBB34_931
.LBB34_929:                             ;   in Loop: Header=BB34_931 Depth=1
	ds_read_b64 v[15:16], v20 offset:384
	s_waitcnt vmcnt(0) lgkmcnt(0)
	v_fma_f64 v[11:12], v[17:18], v[15:16], v[11:12]
.LBB34_930:                             ;   in Loop: Header=BB34_931 Depth=1
	s_or_b64 exec, exec, s[28:29]
	s_add_i32 s38, s38, 1
	s_cmp_eq_u32 s38, s6
	s_cbranch_scc1 .LBB34_953
.LBB34_931:                             ; =>This Loop Header: Depth=1
                                        ;     Child Loop BB34_933 Depth 2
	v_cmp_gt_i32_e32 vcc, s38, v22
	s_and_b64 s[28:29], s[2:3], vcc
	s_and_saveexec_b64 s[8:9], s[28:29]
	s_cbranch_execz .LBB34_934
; %bb.932:                              ;   in Loop: Header=BB34_931 Depth=1
	global_load_dword v22, v14, s[16:17]
	s_waitcnt vmcnt(0)
	v_cmp_le_i32_e32 vcc, s38, v22
	s_cbranch_vccnz .LBB34_934
.LBB34_933:                             ;   Parent Loop BB34_931 Depth=1
                                        ; =>  This Inner Loop Header: Depth=2
	buffer_wbinvl1_vol
	global_load_dword v22, v14, s[16:17]
	s_waitcnt vmcnt(0)
	v_cmp_gt_i32_e32 vcc, s38, v22
	s_cbranch_vccnz .LBB34_933
.LBB34_934:                             ;   in Loop: Header=BB34_931 Depth=1
	s_or_b64 exec, exec, s[8:9]
	s_lshl_b32 s42, s38, 6
	buffer_wbinvl1_vol
	s_barrier
	s_and_saveexec_b64 s[8:9], s[4:5]
	s_cbranch_execz .LBB34_938
; %bb.935:                              ;   in Loop: Header=BB34_931 Depth=1
	v_or_b32_e32 v17, s42, v19
	v_mov_b32_e32 v15, 0
	v_mov_b32_e32 v16, 0
	v_cmp_gt_i32_e32 vcc, s7, v17
	s_and_saveexec_b64 s[28:29], vcc
	s_cbranch_execz .LBB34_937
; %bb.936:                              ;   in Loop: Header=BB34_931 Depth=1
	v_mad_u64_u32 v[15:16], s[44:45], s30, v17, 0
	v_mad_u64_u32 v[16:17], s[44:45], s31, v17, v[16:17]
	v_mov_b32_e32 v17, s37
	v_lshlrev_b64 v[15:16], 3, v[15:16]
	v_add_co_u32_e32 v15, vcc, s36, v15
	v_addc_co_u32_e32 v16, vcc, v17, v16, vcc
	global_load_dwordx2 v[15:16], v[15:16], off
.LBB34_937:                             ;   in Loop: Header=BB34_931 Depth=1
	s_or_b64 exec, exec, s[28:29]
	s_waitcnt vmcnt(0)
	ds_write_b64 v1, v[15:16]
.LBB34_938:                             ;   in Loop: Header=BB34_931 Depth=1
	s_or_b64 exec, exec, s[8:9]
	v_add_u32_e32 v23, s42, v2
	v_mad_u64_u32 v[15:16], s[8:9], s20, v23, 0
	s_cmp_lg_u32 s38, s39
	s_waitcnt lgkmcnt(0)
	v_mad_u64_u32 v[16:17], s[8:9], s21, v23, v[16:17]
	s_cselect_b64 s[8:9], -1, 0
	v_cndmask_b32_e64 v17, 0, 1, s[8:9]
	v_lshlrev_b64 v[15:16], 3, v[15:16]
	v_cmp_ne_u32_e64 s[8:9], 1, v17
	v_add_co_u32_e32 v15, vcc, v13, v15
	v_addc_co_u32_e32 v16, vcc, v21, v16, vcc
	v_cmp_gt_i32_e32 vcc, s7, v23
	s_and_b64 s[42:43], s[10:11], vcc
	s_barrier
	s_and_saveexec_b64 s[28:29], s[42:43]
	s_cbranch_execz .LBB34_942
; %bb.939:                              ;   in Loop: Header=BB34_931 Depth=1
	v_mov_b32_e32 v18, v4
	s_and_b64 vcc, exec, s[8:9]
	v_mov_b32_e32 v17, v3
	s_cbranch_vccnz .LBB34_941
; %bb.940:                              ;   in Loop: Header=BB34_931 Depth=1
	global_load_dwordx2 v[17:18], v[15:16], off
.LBB34_941:                             ;   in Loop: Header=BB34_931 Depth=1
	ds_read_b64 v[24:25], v20
	s_waitcnt vmcnt(0) lgkmcnt(0)
	v_fma_f64 v[11:12], v[17:18], v[24:25], v[11:12]
.LBB34_942:                             ;   in Loop: Header=BB34_931 Depth=1
	s_or_b64 exec, exec, s[28:29]
	v_add_u32_e32 v17, 16, v23
	v_cmp_gt_i32_e32 vcc, s7, v17
	s_and_b64 s[42:43], s[10:11], vcc
	s_and_saveexec_b64 s[28:29], s[42:43]
	s_cbranch_execz .LBB34_946
; %bb.943:                              ;   in Loop: Header=BB34_931 Depth=1
	v_mov_b32_e32 v18, v6
	s_and_b64 vcc, exec, s[8:9]
	v_mov_b32_e32 v17, v5
	s_cbranch_vccnz .LBB34_945
; %bb.944:                              ;   in Loop: Header=BB34_931 Depth=1
	v_mov_b32_e32 v18, s23
	v_add_co_u32_e32 v17, vcc, s22, v15
	v_addc_co_u32_e32 v18, vcc, v16, v18, vcc
	global_load_dwordx2 v[17:18], v[17:18], off
.LBB34_945:                             ;   in Loop: Header=BB34_931 Depth=1
	ds_read_b64 v[24:25], v20 offset:128
	s_waitcnt vmcnt(0) lgkmcnt(0)
	v_fma_f64 v[11:12], v[17:18], v[24:25], v[11:12]
.LBB34_946:                             ;   in Loop: Header=BB34_931 Depth=1
	s_or_b64 exec, exec, s[28:29]
	v_add_u32_e32 v17, 32, v23
	v_cmp_gt_i32_e32 vcc, s7, v17
	s_and_b64 s[42:43], s[10:11], vcc
	s_and_saveexec_b64 s[28:29], s[42:43]
	s_cbranch_execz .LBB34_950
; %bb.947:                              ;   in Loop: Header=BB34_931 Depth=1
	v_mov_b32_e32 v18, v10
	s_and_b64 vcc, exec, s[8:9]
	v_mov_b32_e32 v17, v9
	s_cbranch_vccnz .LBB34_949
; %bb.948:                              ;   in Loop: Header=BB34_931 Depth=1
	v_mov_b32_e32 v18, s27
	v_add_co_u32_e32 v17, vcc, s26, v15
	v_addc_co_u32_e32 v18, vcc, v16, v18, vcc
	global_load_dwordx2 v[17:18], v[17:18], off
.LBB34_949:                             ;   in Loop: Header=BB34_931 Depth=1
	ds_read_b64 v[24:25], v20 offset:256
	s_waitcnt vmcnt(0) lgkmcnt(0)
	v_fma_f64 v[11:12], v[17:18], v[24:25], v[11:12]
.LBB34_950:                             ;   in Loop: Header=BB34_931 Depth=1
	s_or_b64 exec, exec, s[28:29]
	v_add_u32_e32 v17, 48, v23
	v_cmp_gt_i32_e32 vcc, s7, v17
	s_and_b64 s[42:43], s[10:11], vcc
	s_and_saveexec_b64 s[28:29], s[42:43]
	s_cbranch_execz .LBB34_930
; %bb.951:                              ;   in Loop: Header=BB34_931 Depth=1
	v_mov_b32_e32 v18, v8
	s_and_b64 vcc, exec, s[8:9]
	v_mov_b32_e32 v17, v7
	s_cbranch_vccnz .LBB34_929
; %bb.952:                              ;   in Loop: Header=BB34_931 Depth=1
	v_mov_b32_e32 v17, s40
	v_add_co_u32_e32 v15, vcc, s41, v15
	v_addc_co_u32_e32 v16, vcc, v16, v17, vcc
	global_load_dwordx2 v[17:18], v[15:16], off
	s_branch .LBB34_929
.LBB34_953:
	v_lshl_add_u32 v1, v2, 6, v0
	s_xor_b64 s[2:3], s[18:19], -1
	s_xor_b64 s[4:5], s[24:25], -1
	v_lshlrev_b32_e32 v1, 3, v1
	ds_write_b64 v1, v[11:12] offset:32768
	s_waitcnt lgkmcnt(0)
	s_barrier
	s_and_saveexec_b64 s[6:7], s[0:1]
	s_cbranch_execz .LBB34_955
; %bb.954:
	v_lshlrev_b32_e32 v15, 3, v0
	ds_read2st64_b64 v[3:6], v15 offset0:65 offset1:66
	ds_read_b64 v[13:14], v15 offset:40448
	s_waitcnt lgkmcnt(1)
	v_add_f64 v[3:4], v[11:12], v[3:4]
	v_add_f64 v[11:12], v[3:4], v[5:6]
	ds_read2st64_b64 v[3:6], v15 offset0:67 offset1:68
	ds_read2st64_b64 v[7:10], v15 offset0:69 offset1:70
	s_waitcnt lgkmcnt(1)
	v_add_f64 v[3:4], v[11:12], v[3:4]
	v_add_f64 v[3:4], v[3:4], v[5:6]
	s_waitcnt lgkmcnt(0)
	v_add_f64 v[3:4], v[3:4], v[7:8]
	v_add_f64 v[11:12], v[3:4], v[9:10]
	ds_read2st64_b64 v[3:6], v15 offset0:71 offset1:72
	ds_read2st64_b64 v[7:10], v15 offset0:73 offset1:74
	s_waitcnt lgkmcnt(1)
	v_add_f64 v[3:4], v[11:12], v[3:4]
	v_add_f64 v[3:4], v[3:4], v[5:6]
	;; [unrolled: 8-line block ×3, first 2 shown]
	s_waitcnt lgkmcnt(0)
	v_add_f64 v[3:4], v[3:4], v[7:8]
	v_add_f64 v[3:4], v[3:4], v[9:10]
	;; [unrolled: 1-line block ×3, first 2 shown]
	v_xor_b32_e32 v4, 0x80000000, v4
	v_cndmask_b32_e64 v12, v4, 0, s[12:13]
	v_cndmask_b32_e64 v11, v3, 0, s[12:13]
.LBB34_955:
	s_or_b64 exec, exec, s[6:7]
	s_andn2_b64 vcc, exec, s[4:5]
	s_cbranch_vccnz .LBB34_968
; %bb.956:
	v_mov_b32_e32 v3, 0xa000
	v_lshl_or_b32 v5, v2, 3, v3
	s_and_saveexec_b64 s[4:5], s[0:1]
; %bb.957:
	v_lshl_add_u32 v3, v0, 3, v5
	ds_write_b64 v3, v[11:12]
; %bb.958:
	s_or_b64 exec, exec, s[4:5]
	v_mov_b32_e32 v3, 0
	v_mov_b32_e32 v4, 0
	v_cmp_ge_u32_e32 vcc, v0, v2
	s_waitcnt lgkmcnt(0)
	s_barrier
	s_and_saveexec_b64 s[4:5], vcc
	s_cbranch_execz .LBB34_960
; %bb.959:
	ds_read_b64 v[3:4], v1
	ds_read_b64 v[6:7], v5
	s_waitcnt lgkmcnt(0)
	v_fma_f64 v[3:4], v[3:4], v[6:7], 0
.LBB34_960:
	s_or_b64 exec, exec, s[4:5]
	v_add_u32_e32 v6, 16, v2
	v_cmp_ge_u32_e32 vcc, v0, v6
	s_and_saveexec_b64 s[4:5], vcc
	s_cbranch_execz .LBB34_962
; %bb.961:
	ds_read_b64 v[6:7], v1 offset:8192
	ds_read_b64 v[8:9], v5 offset:128
	s_waitcnt lgkmcnt(0)
	v_fma_f64 v[3:4], v[6:7], v[8:9], v[3:4]
.LBB34_962:
	s_or_b64 exec, exec, s[4:5]
	v_add_u32_e32 v6, 32, v2
	v_cmp_ge_u32_e32 vcc, v0, v6
	s_and_saveexec_b64 s[4:5], vcc
	s_cbranch_execz .LBB34_964
; %bb.963:
	ds_read_b64 v[6:7], v1 offset:16384
	ds_read_b64 v[8:9], v5 offset:256
	s_waitcnt lgkmcnt(0)
	v_fma_f64 v[3:4], v[6:7], v[8:9], v[3:4]
.LBB34_964:
	s_or_b64 exec, exec, s[4:5]
	v_add_u32_e32 v2, 48, v2
	v_add_u32_e32 v6, 0x8000, v1
	v_cmp_ge_u32_e32 vcc, v0, v2
	s_and_saveexec_b64 s[4:5], vcc
	s_cbranch_execz .LBB34_966
; %bb.965:
	ds_read_b64 v[1:2], v1 offset:24576
	ds_read_b64 v[7:8], v5 offset:384
	s_waitcnt lgkmcnt(0)
	v_fma_f64 v[3:4], v[1:2], v[7:8], v[3:4]
.LBB34_966:
	s_or_b64 exec, exec, s[4:5]
	s_mov_b64 s[6:7], 0
	s_mov_b64 s[4:5], 0
	ds_write_b64 v6, v[3:4]
	s_waitcnt lgkmcnt(0)
	s_barrier
                                        ; implicit-def: $vgpr5_vgpr6
                                        ; implicit-def: $vgpr1_vgpr2
	s_and_saveexec_b64 s[8:9], s[0:1]
	s_cbranch_execz .LBB34_1025
; %bb.967:
	v_lshlrev_b32_e32 v15, 3, v0
	ds_read2st64_b64 v[5:8], v15 offset0:65 offset1:66
	ds_read_b64 v[9:10], v15 offset:40448
	s_mov_b64 s[4:5], exec
	s_waitcnt lgkmcnt(1)
	v_add_f64 v[1:2], v[3:4], v[5:6]
	v_add_f64 v[13:14], v[7:8], v[1:2]
	ds_read2st64_b64 v[1:4], v15 offset0:67 offset1:68
	ds_read2st64_b64 v[5:8], v15 offset0:69 offset1:70
	s_waitcnt lgkmcnt(1)
	v_add_f64 v[1:2], v[1:2], v[13:14]
	v_add_f64 v[1:2], v[3:4], v[1:2]
	s_waitcnt lgkmcnt(0)
	v_add_f64 v[1:2], v[5:6], v[1:2]
	v_add_f64 v[13:14], v[7:8], v[1:2]
	ds_read2st64_b64 v[1:4], v15 offset0:71 offset1:72
	ds_read2st64_b64 v[5:8], v15 offset0:73 offset1:74
	s_waitcnt lgkmcnt(1)
	v_add_f64 v[1:2], v[1:2], v[13:14]
	v_add_f64 v[1:2], v[3:4], v[1:2]
	s_waitcnt lgkmcnt(0)
	v_add_f64 v[1:2], v[5:6], v[1:2]
	v_add_f64 v[13:14], v[7:8], v[1:2]
	ds_read2st64_b64 v[1:4], v15 offset0:75 offset1:76
	ds_read2st64_b64 v[5:8], v15 offset0:77 offset1:78
	s_waitcnt lgkmcnt(1)
	v_add_f64 v[1:2], v[1:2], v[13:14]
	v_add_f64 v[1:2], v[3:4], v[1:2]
	s_waitcnt lgkmcnt(0)
	v_add_f64 v[1:2], v[5:6], v[1:2]
	v_add_f64 v[3:4], v[7:8], v[1:2]
	v_add_u32_e32 v7, s33, v19
	v_mad_u64_u32 v[1:2], s[10:11], s30, v7, 0
	v_add_f64 v[5:6], v[9:10], v[3:4]
	v_mad_u64_u32 v[2:3], s[10:11], s31, v7, v[2:3]
	s_or_b64 exec, exec, s[8:9]
	s_and_b64 vcc, exec, s[6:7]
	s_cbranch_vccnz .LBB34_969
	s_branch .LBB34_1026
.LBB34_968:
	s_mov_b64 s[4:5], 0
                                        ; implicit-def: $vgpr5_vgpr6
                                        ; implicit-def: $vgpr1_vgpr2
	s_cbranch_execz .LBB34_1026
.LBB34_969:
	v_mul_u32_u24_e32 v1, 0x208, v0
	v_lshlrev_b32_e32 v2, 9, v0
	v_sub_u32_e32 v2, v1, v2
	s_mov_b32 s8, 0
	v_mov_b32_e32 v3, 0
	v_mov_b32_e32 v4, v0
	s_branch .LBB34_971
.LBB34_970:                             ;   in Loop: Header=BB34_971 Depth=1
	s_or_b64 exec, exec, s[6:7]
	s_add_i32 s8, s8, 4
	v_add_u32_e32 v2, 0x800, v2
	s_cmp_lg_u32 s8, 64
	v_add_u32_e32 v4, -4, v4
	s_barrier
	s_cbranch_scc0 .LBB34_987
.LBB34_971:                             ; =>This Inner Loop Header: Depth=1
	v_cmp_eq_u32_e32 vcc, 0, v4
	s_and_b64 s[10:11], s[0:1], vcc
	s_and_saveexec_b64 s[6:7], s[10:11]
	s_cbranch_execz .LBB34_973
; %bb.972:                              ;   in Loop: Header=BB34_971 Depth=1
	ds_read_b64 v[5:6], v1
	s_waitcnt lgkmcnt(0)
	v_mul_f64 v[11:12], v[11:12], v[5:6]
	ds_write_b64 v3, v[11:12] offset:41472
.LBB34_973:                             ;   in Loop: Header=BB34_971 Depth=1
	s_or_b64 exec, exec, s[6:7]
	v_cmp_lt_u32_e32 vcc, s8, v0
	s_and_b64 s[10:11], s[0:1], vcc
	s_waitcnt lgkmcnt(0)
	s_barrier
	s_and_saveexec_b64 s[6:7], s[10:11]
	s_cbranch_execz .LBB34_975
; %bb.974:                              ;   in Loop: Header=BB34_971 Depth=1
	ds_read_b64 v[5:6], v2
	ds_read_b64 v[7:8], v3 offset:41472
	s_waitcnt lgkmcnt(0)
	v_fma_f64 v[11:12], v[5:6], v[7:8], v[11:12]
.LBB34_975:                             ;   in Loop: Header=BB34_971 Depth=1
	s_or_b64 exec, exec, s[6:7]
	s_or_b32 s9, s8, 1
	v_cmp_eq_u32_e32 vcc, s9, v0
	s_and_b64 s[10:11], s[0:1], vcc
	s_barrier
	s_and_saveexec_b64 s[6:7], s[10:11]
	s_cbranch_execz .LBB34_977
; %bb.976:                              ;   in Loop: Header=BB34_971 Depth=1
	ds_read_b64 v[5:6], v1
	s_waitcnt lgkmcnt(0)
	v_mul_f64 v[11:12], v[11:12], v[5:6]
	ds_write_b64 v3, v[11:12] offset:41472
.LBB34_977:                             ;   in Loop: Header=BB34_971 Depth=1
	s_or_b64 exec, exec, s[6:7]
	v_cmp_lt_u32_e32 vcc, s9, v0
	s_and_b64 s[10:11], s[0:1], vcc
	s_waitcnt lgkmcnt(0)
	s_barrier
	s_and_saveexec_b64 s[6:7], s[10:11]
	s_cbranch_execz .LBB34_979
; %bb.978:                              ;   in Loop: Header=BB34_971 Depth=1
	ds_read_b64 v[5:6], v2 offset:512
	ds_read_b64 v[7:8], v3 offset:41472
	s_waitcnt lgkmcnt(0)
	v_fma_f64 v[11:12], v[5:6], v[7:8], v[11:12]
.LBB34_979:                             ;   in Loop: Header=BB34_971 Depth=1
	s_or_b64 exec, exec, s[6:7]
	s_or_b32 s9, s8, 2
	v_cmp_eq_u32_e32 vcc, s9, v0
	s_and_b64 s[10:11], s[0:1], vcc
	s_barrier
	s_and_saveexec_b64 s[6:7], s[10:11]
	s_cbranch_execz .LBB34_981
; %bb.980:                              ;   in Loop: Header=BB34_971 Depth=1
	ds_read_b64 v[5:6], v1
	s_waitcnt lgkmcnt(0)
	v_mul_f64 v[11:12], v[11:12], v[5:6]
	ds_write_b64 v3, v[11:12] offset:41472
.LBB34_981:                             ;   in Loop: Header=BB34_971 Depth=1
	s_or_b64 exec, exec, s[6:7]
	v_cmp_lt_u32_e32 vcc, s9, v0
	s_and_b64 s[10:11], s[0:1], vcc
	s_waitcnt lgkmcnt(0)
	s_barrier
	s_and_saveexec_b64 s[6:7], s[10:11]
	s_cbranch_execz .LBB34_983
; %bb.982:                              ;   in Loop: Header=BB34_971 Depth=1
	ds_read_b64 v[5:6], v2 offset:1024
	ds_read_b64 v[7:8], v3 offset:41472
	s_waitcnt lgkmcnt(0)
	v_fma_f64 v[11:12], v[5:6], v[7:8], v[11:12]
.LBB34_983:                             ;   in Loop: Header=BB34_971 Depth=1
	s_or_b64 exec, exec, s[6:7]
	s_or_b32 s9, s8, 3
	v_cmp_eq_u32_e32 vcc, s9, v0
	s_and_b64 s[10:11], s[0:1], vcc
	s_barrier
	s_and_saveexec_b64 s[6:7], s[10:11]
	s_cbranch_execz .LBB34_985
; %bb.984:                              ;   in Loop: Header=BB34_971 Depth=1
	ds_read_b64 v[5:6], v1
	s_waitcnt lgkmcnt(0)
	v_mul_f64 v[11:12], v[11:12], v[5:6]
	ds_write_b64 v3, v[11:12] offset:41472
.LBB34_985:                             ;   in Loop: Header=BB34_971 Depth=1
	s_or_b64 exec, exec, s[6:7]
	v_cmp_lt_u32_e32 vcc, s9, v0
	s_and_b64 s[10:11], s[0:1], vcc
	s_waitcnt lgkmcnt(0)
	s_barrier
	s_and_saveexec_b64 s[6:7], s[10:11]
	s_cbranch_execz .LBB34_970
; %bb.986:                              ;   in Loop: Header=BB34_971 Depth=1
	ds_read_b64 v[5:6], v2 offset:1536
	ds_read_b64 v[7:8], v3 offset:41472
	s_waitcnt lgkmcnt(0)
	v_fma_f64 v[11:12], v[5:6], v[7:8], v[11:12]
	s_branch .LBB34_970
.LBB34_987:
	s_and_b64 vcc, exec, s[2:3]
	s_cbranch_vccz .LBB34_1027
; %bb.988:
	s_and_b64 s[2:3], s[0:1], exec
	s_cbranch_execz .LBB34_1028
	s_branch .LBB34_1029
.LBB34_989:
	v_cmp_ne_u32_e32 vcc, v0, v2
	s_and_saveexec_b64 s[8:9], vcc
	s_xor_b64 s[8:9], exec, s[8:9]
; %bb.990:
	v_or_b32_e32 v1, v2, v0
	v_cmp_gt_u32_e32 vcc, 64, v1
	s_and_b64 s[2:3], vcc, exec
                                        ; implicit-def: $vgpr15_vgpr16
; %bb.991:
	s_or_saveexec_b64 s[8:9], s[8:9]
	v_mov_b32_e32 v13, 0
	v_mov_b32_e32 v14, 0
	s_xor_b64 exec, exec, s[8:9]
	s_cbranch_execz .LBB34_993
; %bb.992:
	v_lshlrev_b64 v[13:14], 3, v[15:16]
	v_mov_b32_e32 v1, s94
	v_add_co_u32_e32 v13, vcc, s93, v13
	v_addc_co_u32_e32 v14, vcc, v1, v14, vcc
	global_load_dwordx2 v[13:14], v[13:14], off
	s_or_b64 s[2:3], s[2:3], exec
	s_waitcnt vmcnt(0)
	v_div_scale_f64 v[15:16], s[10:11], v[13:14], v[13:14], 1.0
	v_div_scale_f64 v[21:22], vcc, 1.0, v[13:14], 1.0
	v_rcp_f64_e32 v[17:18], v[15:16]
	v_fma_f64 v[19:20], -v[15:16], v[17:18], 1.0
	v_fma_f64 v[17:18], v[17:18], v[19:20], v[17:18]
	v_fma_f64 v[19:20], -v[15:16], v[17:18], 1.0
	v_fma_f64 v[17:18], v[17:18], v[19:20], v[17:18]
	v_mul_f64 v[19:20], v[21:22], v[17:18]
	v_fma_f64 v[15:16], -v[15:16], v[19:20], v[21:22]
	v_div_fmas_f64 v[15:16], v[15:16], v[17:18], v[19:20]
	v_div_fixup_f64 v[13:14], v[15:16], v[13:14], 1.0
.LBB34_993:
	s_or_b64 exec, exec, s[8:9]
	s_and_b64 s[2:3], s[2:3], exec
                                        ; implicit-def: $vgpr15_vgpr16
	s_andn2_saveexec_b64 s[0:1], s[0:1]
	s_cbranch_execz .LBB34_14
.LBB34_994:
	v_lshlrev_b64 v[13:14], 3, v[15:16]
	v_mov_b32_e32 v1, s94
	v_add_co_u32_e32 v13, vcc, s93, v13
	v_addc_co_u32_e32 v14, vcc, v1, v14, vcc
	global_load_dwordx2 v[13:14], v[13:14], off
	s_or_b64 s[2:3], s[2:3], exec
	s_waitcnt vmcnt(0)
	v_xor_b32_e32 v14, 0x80000000, v14
	s_or_b64 exec, exec, s[0:1]
	s_and_saveexec_b64 s[0:1], s[2:3]
	s_cbranch_execnz .LBB34_15
	s_branch .LBB34_16
.LBB34_995:
	v_cmp_ne_u32_e32 vcc, v0, v1
	s_and_saveexec_b64 s[8:9], vcc
	s_xor_b64 s[8:9], exec, s[8:9]
; %bb.996:
	v_or_b32_e32 v13, v1, v0
	v_cmp_gt_u32_e32 vcc, 64, v13
	s_and_b64 s[2:3], vcc, exec
                                        ; implicit-def: $vgpr15_vgpr16
; %bb.997:
	s_or_saveexec_b64 s[8:9], s[8:9]
	v_mov_b32_e32 v13, 0
	v_mov_b32_e32 v14, 0
	s_xor_b64 exec, exec, s[8:9]
	s_cbranch_execz .LBB34_999
; %bb.998:
	v_lshlrev_b64 v[13:14], 3, v[15:16]
	v_mov_b32_e32 v15, s94
	v_add_co_u32_e32 v13, vcc, s93, v13
	v_addc_co_u32_e32 v14, vcc, v15, v14, vcc
	global_load_dwordx2 v[13:14], v[13:14], off
	s_or_b64 s[2:3], s[2:3], exec
	s_waitcnt vmcnt(0)
	v_div_scale_f64 v[15:16], s[10:11], v[13:14], v[13:14], 1.0
	v_div_scale_f64 v[21:22], vcc, 1.0, v[13:14], 1.0
	v_rcp_f64_e32 v[17:18], v[15:16]
	v_fma_f64 v[19:20], -v[15:16], v[17:18], 1.0
	v_fma_f64 v[17:18], v[17:18], v[19:20], v[17:18]
	v_fma_f64 v[19:20], -v[15:16], v[17:18], 1.0
	v_fma_f64 v[17:18], v[17:18], v[19:20], v[17:18]
	v_mul_f64 v[19:20], v[21:22], v[17:18]
	v_fma_f64 v[15:16], -v[15:16], v[19:20], v[21:22]
	v_div_fmas_f64 v[15:16], v[15:16], v[17:18], v[19:20]
	v_div_fixup_f64 v[13:14], v[15:16], v[13:14], 1.0
.LBB34_999:
	s_or_b64 exec, exec, s[8:9]
	s_and_b64 s[2:3], s[2:3], exec
                                        ; implicit-def: $vgpr15_vgpr16
	s_andn2_saveexec_b64 s[0:1], s[0:1]
	s_cbranch_execz .LBB34_18
.LBB34_1000:
	v_lshlrev_b64 v[13:14], 3, v[15:16]
	v_mov_b32_e32 v15, s94
	v_add_co_u32_e32 v13, vcc, s93, v13
	v_addc_co_u32_e32 v14, vcc, v15, v14, vcc
	global_load_dwordx2 v[13:14], v[13:14], off
	s_or_b64 s[2:3], s[2:3], exec
	s_waitcnt vmcnt(0)
	v_xor_b32_e32 v14, 0x80000000, v14
	s_or_b64 exec, exec, s[0:1]
	s_and_saveexec_b64 s[0:1], s[2:3]
	s_cbranch_execnz .LBB34_19
	s_branch .LBB34_20
.LBB34_1001:
	v_cmp_ne_u32_e32 vcc, v0, v1
	s_and_saveexec_b64 s[8:9], vcc
	s_xor_b64 s[8:9], exec, s[8:9]
; %bb.1002:
	v_or_b32_e32 v13, v1, v0
	v_cmp_gt_u32_e32 vcc, 64, v13
	s_and_b64 s[2:3], vcc, exec
                                        ; implicit-def: $vgpr15_vgpr16
; %bb.1003:
	s_or_saveexec_b64 s[8:9], s[8:9]
	v_mov_b32_e32 v13, 0
	v_mov_b32_e32 v14, 0
	s_xor_b64 exec, exec, s[8:9]
	s_cbranch_execz .LBB34_1005
; %bb.1004:
	v_lshlrev_b64 v[13:14], 3, v[15:16]
	v_mov_b32_e32 v15, s94
	v_add_co_u32_e32 v13, vcc, s93, v13
	v_addc_co_u32_e32 v14, vcc, v15, v14, vcc
	global_load_dwordx2 v[13:14], v[13:14], off
	s_or_b64 s[2:3], s[2:3], exec
	s_waitcnt vmcnt(0)
	v_div_scale_f64 v[15:16], s[10:11], v[13:14], v[13:14], 1.0
	v_div_scale_f64 v[21:22], vcc, 1.0, v[13:14], 1.0
	v_rcp_f64_e32 v[17:18], v[15:16]
	v_fma_f64 v[19:20], -v[15:16], v[17:18], 1.0
	v_fma_f64 v[17:18], v[17:18], v[19:20], v[17:18]
	v_fma_f64 v[19:20], -v[15:16], v[17:18], 1.0
	v_fma_f64 v[17:18], v[17:18], v[19:20], v[17:18]
	v_mul_f64 v[19:20], v[21:22], v[17:18]
	v_fma_f64 v[15:16], -v[15:16], v[19:20], v[21:22]
	v_div_fmas_f64 v[15:16], v[15:16], v[17:18], v[19:20]
	v_div_fixup_f64 v[13:14], v[15:16], v[13:14], 1.0
.LBB34_1005:
	s_or_b64 exec, exec, s[8:9]
	s_and_b64 s[2:3], s[2:3], exec
                                        ; implicit-def: $vgpr15_vgpr16
	s_andn2_saveexec_b64 s[0:1], s[0:1]
	s_cbranch_execz .LBB34_22
.LBB34_1006:
	v_lshlrev_b64 v[13:14], 3, v[15:16]
	v_mov_b32_e32 v15, s94
	v_add_co_u32_e32 v13, vcc, s93, v13
	v_addc_co_u32_e32 v14, vcc, v15, v14, vcc
	global_load_dwordx2 v[13:14], v[13:14], off
	s_or_b64 s[2:3], s[2:3], exec
	s_waitcnt vmcnt(0)
	v_xor_b32_e32 v14, 0x80000000, v14
	s_or_b64 exec, exec, s[0:1]
	s_and_saveexec_b64 s[0:1], s[2:3]
	s_cbranch_execnz .LBB34_23
	s_branch .LBB34_24
.LBB34_1007:
	v_cmp_ne_u32_e32 vcc, v0, v2
	s_xor_b64 s[10:11], s[0:1], -1
	s_or_b64 s[12:13], s[10:11], vcc
	s_mov_b64 s[10:11], 0
	s_and_saveexec_b64 s[14:15], s[12:13]
	s_xor_b64 s[12:13], exec, s[14:15]
; %bb.1008:
	v_or_b32_e32 v1, v2, v0
	v_cmp_gt_u32_e32 vcc, 64, v1
	s_and_b64 s[10:11], vcc, exec
                                        ; implicit-def: $vgpr13_vgpr14
; %bb.1009:
	s_or_saveexec_b64 s[12:13], s[12:13]
	v_mov_b32_e32 v15, 0
	v_mov_b32_e32 v16, 0
	s_xor_b64 exec, exec, s[12:13]
	s_cbranch_execz .LBB34_1011
; %bb.1010:
	v_lshlrev_b64 v[13:14], 3, v[13:14]
	v_mov_b32_e32 v1, s94
	v_add_co_u32_e32 v13, vcc, s93, v13
	v_addc_co_u32_e32 v14, vcc, v1, v14, vcc
	global_load_dwordx2 v[13:14], v[13:14], off
	s_or_b64 s[10:11], s[10:11], exec
	s_waitcnt vmcnt(0)
	v_div_scale_f64 v[15:16], s[14:15], v[13:14], v[13:14], 1.0
	v_div_scale_f64 v[21:22], vcc, 1.0, v[13:14], 1.0
	v_rcp_f64_e32 v[17:18], v[15:16]
	v_fma_f64 v[19:20], -v[15:16], v[17:18], 1.0
	v_fma_f64 v[17:18], v[17:18], v[19:20], v[17:18]
	v_fma_f64 v[19:20], -v[15:16], v[17:18], 1.0
	v_fma_f64 v[17:18], v[17:18], v[19:20], v[17:18]
	v_mul_f64 v[19:20], v[21:22], v[17:18]
	v_fma_f64 v[15:16], -v[15:16], v[19:20], v[21:22]
	v_div_fmas_f64 v[15:16], v[15:16], v[17:18], v[19:20]
	v_div_fixup_f64 v[15:16], v[15:16], v[13:14], 1.0
.LBB34_1011:
	s_or_b64 exec, exec, s[12:13]
	s_and_b64 s[10:11], s[10:11], exec
                                        ; implicit-def: $vgpr13_vgpr14
	s_andn2_saveexec_b64 s[2:3], s[2:3]
	s_cbranch_execz .LBB34_36
.LBB34_1012:
	v_lshlrev_b64 v[13:14], 3, v[13:14]
	v_mov_b32_e32 v1, s94
	v_add_co_u32_e32 v13, vcc, s93, v13
	v_addc_co_u32_e32 v14, vcc, v1, v14, vcc
	global_load_dwordx2 v[15:16], v[13:14], off
	s_or_b64 s[10:11], s[10:11], exec
	s_waitcnt vmcnt(0)
	v_xor_b32_e32 v16, 0x80000000, v16
	s_or_b64 exec, exec, s[2:3]
	s_and_saveexec_b64 s[2:3], s[10:11]
	s_cbranch_execnz .LBB34_37
	s_branch .LBB34_38
.LBB34_1013:
	v_cmp_ne_u32_e32 vcc, v0, v1
	s_xor_b64 s[10:11], s[0:1], -1
	s_or_b64 s[12:13], s[10:11], vcc
	s_mov_b64 s[10:11], 0
	s_and_saveexec_b64 s[14:15], s[12:13]
	s_xor_b64 s[12:13], exec, s[14:15]
; %bb.1014:
	v_or_b32_e32 v13, v1, v0
	v_cmp_gt_u32_e32 vcc, 64, v13
	s_and_b64 s[10:11], vcc, exec
                                        ; implicit-def: $vgpr13_vgpr14
; %bb.1015:
	s_or_saveexec_b64 s[12:13], s[12:13]
	v_mov_b32_e32 v15, 0
	v_mov_b32_e32 v16, 0
	s_xor_b64 exec, exec, s[12:13]
	s_cbranch_execz .LBB34_1017
; %bb.1016:
	v_lshlrev_b64 v[13:14], 3, v[13:14]
	v_mov_b32_e32 v15, s94
	v_add_co_u32_e32 v13, vcc, s93, v13
	v_addc_co_u32_e32 v14, vcc, v15, v14, vcc
	global_load_dwordx2 v[13:14], v[13:14], off
	s_or_b64 s[10:11], s[10:11], exec
	s_waitcnt vmcnt(0)
	v_div_scale_f64 v[15:16], s[14:15], v[13:14], v[13:14], 1.0
	v_div_scale_f64 v[21:22], vcc, 1.0, v[13:14], 1.0
	v_rcp_f64_e32 v[17:18], v[15:16]
	v_fma_f64 v[19:20], -v[15:16], v[17:18], 1.0
	v_fma_f64 v[17:18], v[17:18], v[19:20], v[17:18]
	v_fma_f64 v[19:20], -v[15:16], v[17:18], 1.0
	v_fma_f64 v[17:18], v[17:18], v[19:20], v[17:18]
	v_mul_f64 v[19:20], v[21:22], v[17:18]
	v_fma_f64 v[15:16], -v[15:16], v[19:20], v[21:22]
	v_div_fmas_f64 v[15:16], v[15:16], v[17:18], v[19:20]
	v_div_fixup_f64 v[15:16], v[15:16], v[13:14], 1.0
.LBB34_1017:
	s_or_b64 exec, exec, s[12:13]
	s_and_b64 s[10:11], s[10:11], exec
                                        ; implicit-def: $vgpr13_vgpr14
	s_andn2_saveexec_b64 s[2:3], s[2:3]
	s_cbranch_execz .LBB34_40
.LBB34_1018:
	v_lshlrev_b64 v[13:14], 3, v[13:14]
	v_mov_b32_e32 v15, s94
	v_add_co_u32_e32 v13, vcc, s93, v13
	v_addc_co_u32_e32 v14, vcc, v15, v14, vcc
	global_load_dwordx2 v[15:16], v[13:14], off
	s_or_b64 s[10:11], s[10:11], exec
	s_waitcnt vmcnt(0)
	v_xor_b32_e32 v16, 0x80000000, v16
	s_or_b64 exec, exec, s[2:3]
	s_and_saveexec_b64 s[2:3], s[10:11]
	s_cbranch_execnz .LBB34_41
	s_branch .LBB34_42
.LBB34_1019:
	v_cmp_ne_u32_e32 vcc, v0, v1
	s_xor_b64 s[10:11], s[0:1], -1
	s_or_b64 s[12:13], s[10:11], vcc
	s_mov_b64 s[10:11], 0
	s_and_saveexec_b64 s[14:15], s[12:13]
	s_xor_b64 s[12:13], exec, s[14:15]
; %bb.1020:
	v_or_b32_e32 v13, v1, v0
	v_cmp_gt_u32_e32 vcc, 64, v13
	s_and_b64 s[10:11], vcc, exec
                                        ; implicit-def: $vgpr13_vgpr14
; %bb.1021:
	s_or_saveexec_b64 s[12:13], s[12:13]
	v_mov_b32_e32 v15, 0
	v_mov_b32_e32 v16, 0
	s_xor_b64 exec, exec, s[12:13]
	s_cbranch_execz .LBB34_1023
; %bb.1022:
	v_lshlrev_b64 v[13:14], 3, v[13:14]
	v_mov_b32_e32 v15, s94
	v_add_co_u32_e32 v13, vcc, s93, v13
	v_addc_co_u32_e32 v14, vcc, v15, v14, vcc
	global_load_dwordx2 v[13:14], v[13:14], off
	s_or_b64 s[10:11], s[10:11], exec
	s_waitcnt vmcnt(0)
	v_div_scale_f64 v[15:16], s[14:15], v[13:14], v[13:14], 1.0
	v_div_scale_f64 v[21:22], vcc, 1.0, v[13:14], 1.0
	v_rcp_f64_e32 v[17:18], v[15:16]
	v_fma_f64 v[19:20], -v[15:16], v[17:18], 1.0
	v_fma_f64 v[17:18], v[17:18], v[19:20], v[17:18]
	v_fma_f64 v[19:20], -v[15:16], v[17:18], 1.0
	v_fma_f64 v[17:18], v[17:18], v[19:20], v[17:18]
	v_mul_f64 v[19:20], v[21:22], v[17:18]
	v_fma_f64 v[15:16], -v[15:16], v[19:20], v[21:22]
	v_div_fmas_f64 v[15:16], v[15:16], v[17:18], v[19:20]
	v_div_fixup_f64 v[15:16], v[15:16], v[13:14], 1.0
.LBB34_1023:
	s_or_b64 exec, exec, s[12:13]
	s_and_b64 s[10:11], s[10:11], exec
                                        ; implicit-def: $vgpr13_vgpr14
	s_andn2_saveexec_b64 s[2:3], s[2:3]
	s_cbranch_execz .LBB34_44
.LBB34_1024:
	v_lshlrev_b64 v[13:14], 3, v[13:14]
	v_mov_b32_e32 v15, s94
	v_add_co_u32_e32 v13, vcc, s93, v13
	v_addc_co_u32_e32 v14, vcc, v15, v14, vcc
	global_load_dwordx2 v[15:16], v[13:14], off
	s_or_b64 s[10:11], s[10:11], exec
	s_waitcnt vmcnt(0)
	v_xor_b32_e32 v16, 0x80000000, v16
	s_or_b64 exec, exec, s[2:3]
	s_and_saveexec_b64 s[2:3], s[10:11]
	s_cbranch_execnz .LBB34_45
	s_branch .LBB34_46
.LBB34_1025:
	s_or_b64 exec, exec, s[8:9]
	s_and_b64 vcc, exec, s[6:7]
	s_cbranch_vccnz .LBB34_969
.LBB34_1026:
	v_mov_b32_e32 v12, v6
	v_mov_b32_e32 v11, v5
	s_and_saveexec_b64 s[0:1], s[4:5]
	s_cbranch_execnz .LBB34_1032
	s_branch .LBB34_1033
.LBB34_1027:
	s_mov_b64 s[2:3], 0
.LBB34_1028:
	v_cmp_gt_i32_e32 vcc, s92, v0
	s_and_b64 s[0:1], s[0:1], vcc
	s_andn2_b64 s[2:3], s[2:3], exec
	s_and_b64 s[0:1], s[0:1], exec
	s_or_b64 s[2:3], s[2:3], s[0:1]
.LBB34_1029:
                                        ; implicit-def: $vgpr1_vgpr2
	s_and_saveexec_b64 s[0:1], s[2:3]
	s_cbranch_execz .LBB34_1031
; %bb.1030:
	v_mov_b32_e32 v0, s52
	v_add_co_u32_e32 v1, vcc, s33, v19
	v_addc_co_u32_e32 v0, vcc, 0, v0, vcc
	v_mul_lo_u32 v0, v0, s30
	v_mul_lo_u32 v3, v1, s31
	v_mad_u64_u32 v[1:2], s[2:3], v1, s30, 0
	s_or_b64 s[4:5], s[4:5], exec
	v_add3_u32 v2, v2, v3, v0
.LBB34_1031:
	s_or_b64 exec, exec, s[0:1]
	s_and_saveexec_b64 s[0:1], s[4:5]
	s_cbranch_execz .LBB34_1033
.LBB34_1032:
	v_lshlrev_b64 v[0:1], 3, v[1:2]
	v_mov_b32_e32 v2, s37
	v_add_co_u32_e32 v0, vcc, s36, v0
	v_addc_co_u32_e32 v1, vcc, v2, v1, vcc
	global_store_dwordx2 v[0:1], v[11:12], off
.LBB34_1033:
	s_or_b64 exec, exec, s[0:1]
	v_cmp_eq_u32_e32 vcc, 0, v19
	s_waitcnt vmcnt(0)
	buffer_wbinvl1_vol
	s_barrier
	s_and_saveexec_b64 s[0:1], vcc
	s_cbranch_execz .LBB34_1035
; %bb.1034:
	s_lshl_b64 s[2:3], s[34:35], 2
	s_add_u32 s2, s14, s2
	s_addc_u32 s3, s15, s3
	v_mov_b32_e32 v0, 0
	global_load_dword v1, v0, s[2:3]
	s_waitcnt vmcnt(0)
	v_add_u32_e32 v1, 1, v1
	global_store_dword v0, v1, s[2:3]
.LBB34_1035:
	s_or_b64 exec, exec, s[0:1]
	s_waitcnt vmcnt(0)
	buffer_wbinvl1_vol
	s_endpgm
.LBB34_1036:
	v_lshlrev_b32_e32 v21, 3, v20
	v_sub_u32_e32 v21, v18, v21
	v_lshl_add_u32 v21, v19, 3, v21
	ds_read_b64 v[21:22], v21 offset:544
	ds_read_b64 v[23:24], v18 offset:8
	s_waitcnt lgkmcnt(0)
	v_fma_f64 v[11:12], v[21:22], v[23:24], v[11:12]
	s_or_b64 exec, exec, s[14:15]
	v_cmp_gt_u32_e64 s[10:11], 8, v14
	s_and_saveexec_b64 s[14:15], s[10:11]
	s_cbranch_execz .LBB34_77
.LBB34_1037:
	ds_read_b64 v[21:22], v16 offset:1056
	ds_read_b64 v[23:24], v18 offset:16
	s_waitcnt lgkmcnt(0)
	v_fma_f64 v[11:12], v[21:22], v[23:24], v[11:12]
	s_or_b64 exec, exec, s[14:15]
	v_cmp_gt_u32_e64 s[10:11], 4, v14
	s_and_saveexec_b64 s[14:15], s[10:11]
	s_cbranch_execnz .LBB34_78
	s_branch .LBB34_79
.LBB34_1038:
	v_lshlrev_b32_e32 v26, 3, v25
	v_sub_u32_e32 v26, v23, v26
	v_lshl_add_u32 v26, v24, 3, v26
	ds_read_b64 v[26:27], v26 offset:576
	ds_read_b64 v[28:29], v23 offset:8
	s_waitcnt lgkmcnt(0)
	v_fma_f64 v[11:12], v[26:27], v[28:29], v[11:12]
	s_or_b64 exec, exec, s[16:17]
	v_cmp_gt_u32_e64 s[10:11], 48, v14
	s_and_saveexec_b64 s[16:17], s[10:11]
	s_cbranch_execz .LBB34_115
.LBB34_1039:
	v_lshlrev_b32_e32 v26, 3, v25
	v_sub_u32_e32 v26, v23, v26
	v_lshl_add_u32 v26, v24, 3, v26
	ds_read_b64 v[26:27], v26 offset:1088
	ds_read_b64 v[28:29], v23 offset:16
	s_waitcnt lgkmcnt(0)
	v_fma_f64 v[11:12], v[26:27], v[28:29], v[11:12]
	s_or_b64 exec, exec, s[16:17]
	v_cmp_gt_u32_e64 s[10:11], 40, v14
	s_and_saveexec_b64 s[16:17], s[10:11]
	s_cbranch_execz .LBB34_116
.LBB34_1040:
	v_lshlrev_b32_e32 v26, 3, v25
	v_sub_u32_e32 v26, v23, v26
	v_lshl_add_u32 v26, v24, 3, v26
	ds_read_b64 v[26:27], v26 offset:1600
	ds_read_b64 v[28:29], v23 offset:24
	s_waitcnt lgkmcnt(0)
	v_fma_f64 v[11:12], v[26:27], v[28:29], v[11:12]
	s_or_b64 exec, exec, s[16:17]
	v_cmp_gt_u32_e64 s[10:11], 32, v14
	s_and_saveexec_b64 s[16:17], s[10:11]
	s_cbranch_execz .LBB34_117
.LBB34_1041:
	ds_read_b64 v[26:27], v21 offset:2112
	ds_read_b64 v[28:29], v23 offset:32
	s_waitcnt lgkmcnt(0)
	v_fma_f64 v[11:12], v[26:27], v[28:29], v[11:12]
	s_or_b64 exec, exec, s[16:17]
	v_cmp_gt_u32_e64 s[10:11], 24, v14
	s_and_saveexec_b64 s[16:17], s[10:11]
	s_cbranch_execz .LBB34_118
.LBB34_1042:
	v_lshlrev_b32_e32 v26, 3, v25
	v_sub_u32_e32 v26, v23, v26
	v_lshl_add_u32 v26, v24, 3, v26
	ds_read_b64 v[26:27], v26 offset:2624
	ds_read_b64 v[28:29], v23 offset:40
	s_waitcnt lgkmcnt(0)
	v_fma_f64 v[11:12], v[26:27], v[28:29], v[11:12]
	s_or_b64 exec, exec, s[16:17]
	v_cmp_gt_u32_e64 s[10:11], 16, v14
	s_and_saveexec_b64 s[16:17], s[10:11]
	s_cbranch_execz .LBB34_119
.LBB34_1043:
	ds_read_b64 v[26:27], v21 offset:3136
	ds_read_b64 v[28:29], v23 offset:48
	s_waitcnt lgkmcnt(0)
	v_fma_f64 v[11:12], v[26:27], v[28:29], v[11:12]
	s_or_b64 exec, exec, s[16:17]
	v_cmp_gt_u32_e64 s[10:11], 8, v14
	s_and_saveexec_b64 s[16:17], s[10:11]
	s_cbranch_execnz .LBB34_120
	s_branch .LBB34_121
.LBB34_1044:
	v_lshlrev_b32_e32 v27, 3, v20
	v_sub_u32_e32 v27, v26, v27
	v_lshl_add_u32 v27, v19, 3, v27
	ds_read_b64 v[27:28], v27 offset:4704
	ds_read_b64 v[29:30], v26 offset:4168
	s_waitcnt lgkmcnt(0)
	v_fma_f64 v[11:12], v[27:28], v[29:30], v[11:12]
	s_or_b64 exec, exec, s[12:13]
	v_cmp_gt_u32_e64 s[8:9], 8, v14
	s_and_saveexec_b64 s[12:13], s[8:9]
	s_cbranch_execz .LBB34_173
.LBB34_1045:
	ds_read_b64 v[27:28], v16 offset:5216
	ds_read_b64 v[29:30], v26 offset:4176
	s_waitcnt lgkmcnt(0)
	v_fma_f64 v[11:12], v[27:28], v[29:30], v[11:12]
	s_or_b64 exec, exec, s[12:13]
	v_cmp_gt_u32_e64 s[8:9], 4, v14
	s_and_saveexec_b64 s[12:13], s[8:9]
	s_cbranch_execnz .LBB34_174
	s_branch .LBB34_175
.LBB34_1046:
	v_lshlrev_b32_e32 v31, 3, v27
	v_lshl_add_u32 v31, v29, 3, v31
	ds_read_b64 v[31:32], v31 offset:5760
	ds_read_b64 v[33:34], v28 offset:88
	s_waitcnt lgkmcnt(0)
	v_fma_f64 v[11:12], v[31:32], v[33:34], v[11:12]
	s_or_b64 exec, exec, s[22:23]
	v_cmp_gt_u32_e64 s[12:13], 64, v14
	s_and_saveexec_b64 s[22:23], s[12:13]
	s_cbranch_execz .LBB34_231
.LBB34_1047:
	ds_read_b64 v[31:32], v26 offset:6272
	ds_read_b64 v[33:34], v28 offset:96
	s_waitcnt lgkmcnt(0)
	v_fma_f64 v[11:12], v[31:32], v[33:34], v[11:12]
	s_or_b64 exec, exec, s[22:23]
	v_cmp_gt_u32_e64 s[12:13], 48, v14
	s_and_saveexec_b64 s[22:23], s[12:13]
	s_cbranch_execz .LBB34_232
.LBB34_1048:
	v_lshlrev_b32_e32 v31, 3, v27
	v_lshl_add_u32 v31, v29, 3, v31
	ds_read_b64 v[31:32], v31 offset:6784
	ds_read_b64 v[33:34], v28 offset:104
	s_waitcnt lgkmcnt(0)
	v_fma_f64 v[11:12], v[31:32], v[33:34], v[11:12]
	s_or_b64 exec, exec, s[22:23]
	v_cmp_gt_u32_e64 s[12:13], 32, v14
	s_and_saveexec_b64 s[22:23], s[12:13]
	s_cbranch_execz .LBB34_233
.LBB34_1049:
	ds_read_b64 v[31:32], v26 offset:7296
	ds_read_b64 v[33:34], v28 offset:112
	s_waitcnt lgkmcnt(0)
	v_fma_f64 v[11:12], v[31:32], v[33:34], v[11:12]
	s_or_b64 exec, exec, s[22:23]
	v_cmp_gt_u32_e64 s[12:13], 16, v14
	s_and_saveexec_b64 s[22:23], s[12:13]
	s_cbranch_execnz .LBB34_234
	s_branch .LBB34_235
.LBB34_1050:
	v_lshlrev_b32_e32 v32, 3, v20
	v_sub_u32_e32 v32, v31, v32
	v_lshl_add_u32 v32, v19, 3, v32
	ds_read_b64 v[32:33], v32 offset:8864
	ds_read_b64 v[34:35], v31 offset:8328
	s_waitcnt lgkmcnt(0)
	v_fma_f64 v[11:12], v[32:33], v[34:35], v[11:12]
	s_or_b64 exec, exec, s[16:17]
	v_cmp_gt_u32_e64 s[10:11], 8, v14
	s_and_saveexec_b64 s[16:17], s[10:11]
	s_cbranch_execz .LBB34_319
.LBB34_1051:
	ds_read_b64 v[32:33], v16 offset:9376
	ds_read_b64 v[34:35], v31 offset:8336
	s_waitcnt lgkmcnt(0)
	v_fma_f64 v[11:12], v[32:33], v[34:35], v[11:12]
	s_or_b64 exec, exec, s[16:17]
	v_cmp_gt_u32_e64 s[10:11], 4, v14
	s_and_saveexec_b64 s[16:17], s[10:11]
	s_cbranch_execnz .LBB34_320
	s_branch .LBB34_321
.LBB34_1052:
	v_lshlrev_b32_e32 v32, 3, v25
	v_sub_u32_e32 v32, v31, v32
	v_lshl_add_u32 v32, v24, 3, v32
	ds_read_b64 v[32:33], v32 offset:8896
	ds_read_b64 v[34:35], v31 offset:8328
	s_waitcnt lgkmcnt(0)
	v_fma_f64 v[11:12], v[32:33], v[34:35], v[11:12]
	s_or_b64 exec, exec, s[16:17]
	v_cmp_gt_u32_e64 s[10:11], 48, v14
	s_and_saveexec_b64 s[16:17], s[10:11]
	s_cbranch_execz .LBB34_357
.LBB34_1053:
	v_lshlrev_b32_e32 v32, 3, v25
	v_sub_u32_e32 v32, v31, v32
	v_lshl_add_u32 v32, v24, 3, v32
	ds_read_b64 v[32:33], v32 offset:9408
	ds_read_b64 v[34:35], v31 offset:8336
	s_waitcnt lgkmcnt(0)
	v_fma_f64 v[11:12], v[32:33], v[34:35], v[11:12]
	s_or_b64 exec, exec, s[16:17]
	v_cmp_gt_u32_e64 s[10:11], 40, v14
	s_and_saveexec_b64 s[16:17], s[10:11]
	s_cbranch_execz .LBB34_358
.LBB34_1054:
	v_lshlrev_b32_e32 v32, 3, v25
	v_sub_u32_e32 v32, v31, v32
	v_lshl_add_u32 v32, v24, 3, v32
	ds_read_b64 v[32:33], v32 offset:9920
	ds_read_b64 v[34:35], v31 offset:8344
	s_waitcnt lgkmcnt(0)
	v_fma_f64 v[11:12], v[32:33], v[34:35], v[11:12]
	s_or_b64 exec, exec, s[16:17]
	v_cmp_gt_u32_e64 s[10:11], 32, v14
	s_and_saveexec_b64 s[16:17], s[10:11]
	s_cbranch_execz .LBB34_359
.LBB34_1055:
	ds_read_b64 v[32:33], v21 offset:10432
	ds_read_b64 v[34:35], v31 offset:8352
	s_waitcnt lgkmcnt(0)
	v_fma_f64 v[11:12], v[32:33], v[34:35], v[11:12]
	s_or_b64 exec, exec, s[16:17]
	v_cmp_gt_u32_e64 s[10:11], 24, v14
	s_and_saveexec_b64 s[16:17], s[10:11]
	s_cbranch_execz .LBB34_360
.LBB34_1056:
	v_lshlrev_b32_e32 v32, 3, v25
	v_sub_u32_e32 v32, v31, v32
	v_lshl_add_u32 v32, v24, 3, v32
	ds_read_b64 v[32:33], v32 offset:10944
	ds_read_b64 v[34:35], v31 offset:8360
	s_waitcnt lgkmcnt(0)
	v_fma_f64 v[11:12], v[32:33], v[34:35], v[11:12]
	s_or_b64 exec, exec, s[16:17]
	v_cmp_gt_u32_e64 s[10:11], 16, v14
	s_and_saveexec_b64 s[16:17], s[10:11]
	s_cbranch_execz .LBB34_361
.LBB34_1057:
	ds_read_b64 v[32:33], v21 offset:11456
	ds_read_b64 v[34:35], v31 offset:8368
	s_waitcnt lgkmcnt(0)
	v_fma_f64 v[11:12], v[32:33], v[34:35], v[11:12]
	s_or_b64 exec, exec, s[16:17]
	v_cmp_gt_u32_e64 s[10:11], 8, v14
	s_and_saveexec_b64 s[16:17], s[10:11]
	s_cbranch_execnz .LBB34_362
	s_branch .LBB34_363
.LBB34_1058:
	v_lshlrev_b32_e32 v32, 3, v20
	v_sub_u32_e32 v32, v31, v32
	v_lshl_add_u32 v32, v19, 3, v32
	ds_read_b64 v[32:33], v32 offset:13024
	ds_read_b64 v[34:35], v31 offset:12488
	s_waitcnt lgkmcnt(0)
	v_fma_f64 v[11:12], v[32:33], v[34:35], v[11:12]
	s_or_b64 exec, exec, s[16:17]
	v_cmp_gt_u32_e64 s[10:11], 8, v14
	s_and_saveexec_b64 s[16:17], s[10:11]
	s_cbranch_execz .LBB34_415
.LBB34_1059:
	ds_read_b64 v[32:33], v16 offset:13536
	ds_read_b64 v[34:35], v31 offset:12496
	s_waitcnt lgkmcnt(0)
	v_fma_f64 v[11:12], v[32:33], v[34:35], v[11:12]
	s_or_b64 exec, exec, s[16:17]
	v_cmp_gt_u32_e64 s[10:11], 4, v14
	s_and_saveexec_b64 s[16:17], s[10:11]
	s_cbranch_execnz .LBB34_416
	s_branch .LBB34_417
.LBB34_1060:
	ds_read_b64 v[35:36], v31 offset:15104
	ds_read_b64 v[37:38], v34 offset:232
	s_waitcnt lgkmcnt(0)
	v_fma_f64 v[11:12], v[35:36], v[37:38], v[11:12]
	s_or_b64 exec, exec, s[90:91]
	v_cmp_gt_u32_e64 s[16:17], 64, v14
	s_and_saveexec_b64 s[90:91], s[16:17]
	s_cbranch_execz .LBB34_509
.LBB34_1061:
	ds_read_b64 v[35:36], v31 offset:15616
	ds_read_b64 v[37:38], v34 offset:240
	s_waitcnt lgkmcnt(0)
	v_fma_f64 v[11:12], v[35:36], v[37:38], v[11:12]
	s_or_b64 exec, exec, s[90:91]
	v_cmp_gt_u32_e64 s[16:17], 32, v14
	s_and_saveexec_b64 s[90:91], s[16:17]
	s_cbranch_execnz .LBB34_510
	s_branch .LBB34_511
.LBB34_1062:
	v_lshlrev_b32_e32 v32, 3, v20
	v_sub_u32_e32 v32, v31, v32
	v_lshl_add_u32 v32, v19, 3, v32
	ds_read_b64 v[32:33], v32 offset:17184
	ds_read_b64 v[34:35], v31 offset:16648
	s_waitcnt lgkmcnt(0)
	v_fma_f64 v[11:12], v[32:33], v[34:35], v[11:12]
	s_or_b64 exec, exec, s[16:17]
	v_cmp_gt_u32_e64 s[10:11], 8, v14
	s_and_saveexec_b64 s[16:17], s[10:11]
	s_cbranch_execz .LBB34_551
.LBB34_1063:
	ds_read_b64 v[32:33], v16 offset:17696
	ds_read_b64 v[34:35], v31 offset:16656
	s_waitcnt lgkmcnt(0)
	v_fma_f64 v[11:12], v[32:33], v[34:35], v[11:12]
	s_or_b64 exec, exec, s[16:17]
	v_cmp_gt_u32_e64 s[10:11], 4, v14
	s_and_saveexec_b64 s[16:17], s[10:11]
	s_cbranch_execnz .LBB34_552
	s_branch .LBB34_553
.LBB34_1064:
	v_lshlrev_b32_e32 v32, 3, v25
	v_sub_u32_e32 v32, v31, v32
	v_lshl_add_u32 v32, v24, 3, v32
	ds_read_b64 v[32:33], v32 offset:17216
	ds_read_b64 v[34:35], v31 offset:16648
	s_waitcnt lgkmcnt(0)
	v_fma_f64 v[11:12], v[32:33], v[34:35], v[11:12]
	s_or_b64 exec, exec, s[16:17]
	v_cmp_gt_u32_e64 s[10:11], 48, v14
	s_and_saveexec_b64 s[16:17], s[10:11]
	s_cbranch_execz .LBB34_589
.LBB34_1065:
	v_lshlrev_b32_e32 v32, 3, v25
	v_sub_u32_e32 v32, v31, v32
	v_lshl_add_u32 v32, v24, 3, v32
	ds_read_b64 v[32:33], v32 offset:17728
	ds_read_b64 v[34:35], v31 offset:16656
	s_waitcnt lgkmcnt(0)
	v_fma_f64 v[11:12], v[32:33], v[34:35], v[11:12]
	s_or_b64 exec, exec, s[16:17]
	v_cmp_gt_u32_e64 s[10:11], 40, v14
	s_and_saveexec_b64 s[16:17], s[10:11]
	s_cbranch_execz .LBB34_590
.LBB34_1066:
	v_lshlrev_b32_e32 v32, 3, v25
	v_sub_u32_e32 v32, v31, v32
	v_lshl_add_u32 v32, v24, 3, v32
	ds_read_b64 v[32:33], v32 offset:18240
	ds_read_b64 v[34:35], v31 offset:16664
	s_waitcnt lgkmcnt(0)
	v_fma_f64 v[11:12], v[32:33], v[34:35], v[11:12]
	s_or_b64 exec, exec, s[16:17]
	v_cmp_gt_u32_e64 s[10:11], 32, v14
	s_and_saveexec_b64 s[16:17], s[10:11]
	s_cbranch_execz .LBB34_591
.LBB34_1067:
	ds_read_b64 v[32:33], v21 offset:18752
	ds_read_b64 v[34:35], v31 offset:16672
	s_waitcnt lgkmcnt(0)
	v_fma_f64 v[11:12], v[32:33], v[34:35], v[11:12]
	s_or_b64 exec, exec, s[16:17]
	v_cmp_gt_u32_e64 s[10:11], 24, v14
	s_and_saveexec_b64 s[16:17], s[10:11]
	s_cbranch_execz .LBB34_592
.LBB34_1068:
	v_lshlrev_b32_e32 v32, 3, v25
	v_sub_u32_e32 v32, v31, v32
	v_lshl_add_u32 v32, v24, 3, v32
	ds_read_b64 v[32:33], v32 offset:19264
	ds_read_b64 v[34:35], v31 offset:16680
	s_waitcnt lgkmcnt(0)
	v_fma_f64 v[11:12], v[32:33], v[34:35], v[11:12]
	s_or_b64 exec, exec, s[16:17]
	v_cmp_gt_u32_e64 s[10:11], 16, v14
	s_and_saveexec_b64 s[16:17], s[10:11]
	s_cbranch_execz .LBB34_593
.LBB34_1069:
	ds_read_b64 v[32:33], v21 offset:19776
	ds_read_b64 v[34:35], v31 offset:16688
	s_waitcnt lgkmcnt(0)
	v_fma_f64 v[11:12], v[32:33], v[34:35], v[11:12]
	s_or_b64 exec, exec, s[16:17]
	v_cmp_gt_u32_e64 s[10:11], 8, v14
	s_and_saveexec_b64 s[16:17], s[10:11]
	s_cbranch_execnz .LBB34_594
	s_branch .LBB34_595
.LBB34_1070:
	v_lshlrev_b32_e32 v32, 3, v20
	v_sub_u32_e32 v32, v31, v32
	v_lshl_add_u32 v32, v19, 3, v32
	ds_read_b64 v[32:33], v32 offset:21344
	ds_read_b64 v[34:35], v31 offset:20808
	s_waitcnt lgkmcnt(0)
	v_fma_f64 v[11:12], v[32:33], v[34:35], v[11:12]
	s_or_b64 exec, exec, s[16:17]
	v_cmp_gt_u32_e64 s[10:11], 8, v14
	s_and_saveexec_b64 s[16:17], s[10:11]
	s_cbranch_execz .LBB34_647
.LBB34_1071:
	ds_read_b64 v[32:33], v16 offset:21856
	ds_read_b64 v[34:35], v31 offset:20816
	s_waitcnt lgkmcnt(0)
	v_fma_f64 v[11:12], v[32:33], v[34:35], v[11:12]
	s_or_b64 exec, exec, s[16:17]
	v_cmp_gt_u32_e64 s[10:11], 4, v14
	s_and_saveexec_b64 s[16:17], s[10:11]
	s_cbranch_execnz .LBB34_648
	s_branch .LBB34_649
.LBB34_1072:
	v_lshlrev_b32_e32 v30, 3, v27
	v_lshl_add_u32 v30, v29, 3, v30
	ds_read_b64 v[32:33], v30 offset:22400
	ds_read_b64 v[34:35], v31 offset:16728
	s_waitcnt lgkmcnt(0)
	v_fma_f64 v[11:12], v[32:33], v[34:35], v[11:12]
	s_or_b64 exec, exec, s[16:17]
	v_cmp_gt_u32_e64 s[10:11], 64, v14
	s_and_saveexec_b64 s[16:17], s[10:11]
	s_cbranch_execz .LBB34_705
.LBB34_1073:
	ds_read_b64 v[32:33], v26 offset:22912
	ds_read_b64 v[34:35], v31 offset:16736
	s_waitcnt lgkmcnt(0)
	v_fma_f64 v[11:12], v[32:33], v[34:35], v[11:12]
	s_or_b64 exec, exec, s[16:17]
	v_cmp_gt_u32_e64 s[10:11], 48, v14
	s_and_saveexec_b64 s[16:17], s[10:11]
	s_cbranch_execz .LBB34_706
.LBB34_1074:
	v_lshlrev_b32_e32 v30, 3, v27
	v_lshl_add_u32 v29, v29, 3, v30
	ds_read_b64 v[29:30], v29 offset:23424
	ds_read_b64 v[32:33], v31 offset:16744
	s_waitcnt lgkmcnt(0)
	v_fma_f64 v[11:12], v[29:30], v[32:33], v[11:12]
	s_or_b64 exec, exec, s[16:17]
	v_cmp_gt_u32_e64 s[10:11], 32, v14
	s_and_saveexec_b64 s[16:17], s[10:11]
	s_cbranch_execz .LBB34_707
.LBB34_1075:
	ds_read_b64 v[29:30], v26 offset:23936
	ds_read_b64 v[31:32], v31 offset:16752
	s_waitcnt lgkmcnt(0)
	v_fma_f64 v[11:12], v[29:30], v[31:32], v[11:12]
	s_or_b64 exec, exec, s[16:17]
	v_cmp_gt_u32_e64 s[10:11], 16, v14
	s_and_saveexec_b64 s[16:17], s[10:11]
	s_cbranch_execnz .LBB34_708
	s_branch .LBB34_709
.LBB34_1076:
	v_lshlrev_b32_e32 v27, 3, v20
	v_sub_u32_e32 v27, v26, v27
	v_lshl_add_u32 v27, v19, 3, v27
	ds_read_b64 v[27:28], v27 offset:25504
	ds_read_b64 v[29:30], v26 offset:24968
	s_waitcnt lgkmcnt(0)
	v_fma_f64 v[11:12], v[27:28], v[29:30], v[11:12]
	s_or_b64 exec, exec, s[12:13]
	v_cmp_gt_u32_e64 s[8:9], 8, v14
	s_and_saveexec_b64 s[12:13], s[8:9]
	s_cbranch_execz .LBB34_793
.LBB34_1077:
	ds_read_b64 v[27:28], v16 offset:26016
	ds_read_b64 v[29:30], v26 offset:24976
	s_waitcnt lgkmcnt(0)
	v_fma_f64 v[11:12], v[27:28], v[29:30], v[11:12]
	s_or_b64 exec, exec, s[12:13]
	v_cmp_gt_u32_e64 s[8:9], 4, v14
	s_and_saveexec_b64 s[12:13], s[8:9]
	s_cbranch_execnz .LBB34_794
	s_branch .LBB34_795
.LBB34_1078:
	v_lshlrev_b32_e32 v27, 3, v25
	v_sub_u32_e32 v27, v26, v27
	v_lshl_add_u32 v27, v24, 3, v27
	ds_read_b64 v[27:28], v27 offset:25536
	ds_read_b64 v[29:30], v26 offset:24968
	s_waitcnt lgkmcnt(0)
	v_fma_f64 v[11:12], v[27:28], v[29:30], v[11:12]
	s_or_b64 exec, exec, s[12:13]
	v_cmp_gt_u32_e64 s[8:9], 48, v14
	s_and_saveexec_b64 s[12:13], s[8:9]
	s_cbranch_execz .LBB34_831
.LBB34_1079:
	v_lshlrev_b32_e32 v27, 3, v25
	v_sub_u32_e32 v27, v26, v27
	v_lshl_add_u32 v27, v24, 3, v27
	ds_read_b64 v[27:28], v27 offset:26048
	ds_read_b64 v[29:30], v26 offset:24976
	s_waitcnt lgkmcnt(0)
	v_fma_f64 v[11:12], v[27:28], v[29:30], v[11:12]
	s_or_b64 exec, exec, s[12:13]
	v_cmp_gt_u32_e64 s[8:9], 40, v14
	s_and_saveexec_b64 s[12:13], s[8:9]
	s_cbranch_execz .LBB34_832
.LBB34_1080:
	v_lshlrev_b32_e32 v27, 3, v25
	v_sub_u32_e32 v27, v26, v27
	v_lshl_add_u32 v27, v24, 3, v27
	ds_read_b64 v[27:28], v27 offset:26560
	ds_read_b64 v[29:30], v26 offset:24984
	s_waitcnt lgkmcnt(0)
	v_fma_f64 v[11:12], v[27:28], v[29:30], v[11:12]
	s_or_b64 exec, exec, s[12:13]
	v_cmp_gt_u32_e64 s[8:9], 32, v14
	s_and_saveexec_b64 s[12:13], s[8:9]
	s_cbranch_execz .LBB34_833
.LBB34_1081:
	ds_read_b64 v[27:28], v21 offset:27072
	ds_read_b64 v[29:30], v26 offset:24992
	s_waitcnt lgkmcnt(0)
	v_fma_f64 v[11:12], v[27:28], v[29:30], v[11:12]
	s_or_b64 exec, exec, s[12:13]
	v_cmp_gt_u32_e64 s[8:9], 24, v14
	s_and_saveexec_b64 s[12:13], s[8:9]
	s_cbranch_execz .LBB34_834
.LBB34_1082:
	v_lshlrev_b32_e32 v25, 3, v25
	v_sub_u32_e32 v25, v26, v25
	v_lshl_add_u32 v24, v24, 3, v25
	ds_read_b64 v[24:25], v24 offset:27584
	ds_read_b64 v[27:28], v26 offset:25000
	s_waitcnt lgkmcnt(0)
	v_fma_f64 v[11:12], v[24:25], v[27:28], v[11:12]
	s_or_b64 exec, exec, s[12:13]
	v_cmp_gt_u32_e64 s[8:9], 16, v14
	s_and_saveexec_b64 s[12:13], s[8:9]
	s_cbranch_execz .LBB34_835
.LBB34_1083:
	ds_read_b64 v[24:25], v21 offset:28096
	ds_read_b64 v[26:27], v26 offset:25008
	s_waitcnt lgkmcnt(0)
	v_fma_f64 v[11:12], v[24:25], v[26:27], v[11:12]
	s_or_b64 exec, exec, s[12:13]
	v_cmp_gt_u32_e64 s[8:9], 8, v14
	s_and_saveexec_b64 s[12:13], s[8:9]
	s_cbranch_execnz .LBB34_836
	s_branch .LBB34_837
.LBB34_1084:
	v_lshlrev_b32_e32 v20, 3, v20
	v_sub_u32_e32 v20, v21, v20
	v_lshl_add_u32 v19, v19, 3, v20
	ds_read_b64 v[19:20], v19 offset:29664
	ds_read_b64 v[22:23], v21 offset:29128
	s_waitcnt lgkmcnt(0)
	v_fma_f64 v[11:12], v[19:20], v[22:23], v[11:12]
	s_or_b64 exec, exec, s[12:13]
	v_cmp_gt_u32_e64 s[8:9], 8, v14
	s_and_saveexec_b64 s[12:13], s[8:9]
	s_cbranch_execz .LBB34_889
.LBB34_1085:
	ds_read_b64 v[19:20], v16 offset:30176
	ds_read_b64 v[21:22], v21 offset:29136
	s_waitcnt lgkmcnt(0)
	v_fma_f64 v[11:12], v[19:20], v[21:22], v[11:12]
	s_or_b64 exec, exec, s[12:13]
	v_cmp_gt_u32_e64 s[8:9], 4, v14
	s_and_saveexec_b64 s[12:13], s[8:9]
	s_cbranch_execnz .LBB34_890
	s_branch .LBB34_891
	.section	.rodata,"a",@progbits
	.p2align	6, 0x0
	.amdhsa_kernel _ZL19rocblas_trsv_deviceILi64ELi16ELb1ELb0ELb0ELb0EdPKdS1_PdEviT7_lllT6_T8_lllPii
		.amdhsa_group_segment_fixed_size 41480
		.amdhsa_private_segment_fixed_size 0
		.amdhsa_kernarg_size 352
		.amdhsa_user_sgpr_count 6
		.amdhsa_user_sgpr_private_segment_buffer 1
		.amdhsa_user_sgpr_dispatch_ptr 0
		.amdhsa_user_sgpr_queue_ptr 0
		.amdhsa_user_sgpr_kernarg_segment_ptr 1
		.amdhsa_user_sgpr_dispatch_id 0
		.amdhsa_user_sgpr_flat_scratch_init 0
		.amdhsa_user_sgpr_private_segment_size 0
		.amdhsa_uses_dynamic_stack 0
		.amdhsa_system_sgpr_private_segment_wavefront_offset 0
		.amdhsa_system_sgpr_workgroup_id_x 1
		.amdhsa_system_sgpr_workgroup_id_y 0
		.amdhsa_system_sgpr_workgroup_id_z 1
		.amdhsa_system_sgpr_workgroup_info 0
		.amdhsa_system_vgpr_workitem_id 1
		.amdhsa_next_free_vgpr 49
		.amdhsa_next_free_sgpr 98
		.amdhsa_reserve_vcc 1
		.amdhsa_reserve_flat_scratch 0
		.amdhsa_float_round_mode_32 0
		.amdhsa_float_round_mode_16_64 0
		.amdhsa_float_denorm_mode_32 3
		.amdhsa_float_denorm_mode_16_64 3
		.amdhsa_dx10_clamp 1
		.amdhsa_ieee_mode 1
		.amdhsa_fp16_overflow 0
		.amdhsa_exception_fp_ieee_invalid_op 0
		.amdhsa_exception_fp_denorm_src 0
		.amdhsa_exception_fp_ieee_div_zero 0
		.amdhsa_exception_fp_ieee_overflow 0
		.amdhsa_exception_fp_ieee_underflow 0
		.amdhsa_exception_fp_ieee_inexact 0
		.amdhsa_exception_int_div_zero 0
	.end_amdhsa_kernel
	.section	.text._ZL19rocblas_trsv_deviceILi64ELi16ELb1ELb0ELb0ELb0EdPKdS1_PdEviT7_lllT6_T8_lllPii,"axG",@progbits,_ZL19rocblas_trsv_deviceILi64ELi16ELb1ELb0ELb0ELb0EdPKdS1_PdEviT7_lllT6_T8_lllPii,comdat
.Lfunc_end34:
	.size	_ZL19rocblas_trsv_deviceILi64ELi16ELb1ELb0ELb0ELb0EdPKdS1_PdEviT7_lllT6_T8_lllPii, .Lfunc_end34-_ZL19rocblas_trsv_deviceILi64ELi16ELb1ELb0ELb0ELb0EdPKdS1_PdEviT7_lllT6_T8_lllPii
                                        ; -- End function
	.set _ZL19rocblas_trsv_deviceILi64ELi16ELb1ELb0ELb0ELb0EdPKdS1_PdEviT7_lllT6_T8_lllPii.num_vgpr, 42
	.set _ZL19rocblas_trsv_deviceILi64ELi16ELb1ELb0ELb0ELb0EdPKdS1_PdEviT7_lllT6_T8_lllPii.num_agpr, 0
	.set _ZL19rocblas_trsv_deviceILi64ELi16ELb1ELb0ELb0ELb0EdPKdS1_PdEviT7_lllT6_T8_lllPii.numbered_sgpr, 96
	.set _ZL19rocblas_trsv_deviceILi64ELi16ELb1ELb0ELb0ELb0EdPKdS1_PdEviT7_lllT6_T8_lllPii.num_named_barrier, 0
	.set _ZL19rocblas_trsv_deviceILi64ELi16ELb1ELb0ELb0ELb0EdPKdS1_PdEviT7_lllT6_T8_lllPii.private_seg_size, 0
	.set _ZL19rocblas_trsv_deviceILi64ELi16ELb1ELb0ELb0ELb0EdPKdS1_PdEviT7_lllT6_T8_lllPii.uses_vcc, 1
	.set _ZL19rocblas_trsv_deviceILi64ELi16ELb1ELb0ELb0ELb0EdPKdS1_PdEviT7_lllT6_T8_lllPii.uses_flat_scratch, 0
	.set _ZL19rocblas_trsv_deviceILi64ELi16ELb1ELb0ELb0ELb0EdPKdS1_PdEviT7_lllT6_T8_lllPii.has_dyn_sized_stack, 0
	.set _ZL19rocblas_trsv_deviceILi64ELi16ELb1ELb0ELb0ELb0EdPKdS1_PdEviT7_lllT6_T8_lllPii.has_recursion, 0
	.set _ZL19rocblas_trsv_deviceILi64ELi16ELb1ELb0ELb0ELb0EdPKdS1_PdEviT7_lllT6_T8_lllPii.has_indirect_call, 0
	.section	.AMDGPU.csdata,"",@progbits
; Kernel info:
; codeLenInByte = 33572
; TotalNumSgprs: 100
; NumVgprs: 42
; ScratchSize: 0
; MemoryBound: 0
; FloatMode: 240
; IeeeMode: 1
; LDSByteSize: 41480 bytes/workgroup (compile time only)
; SGPRBlocks: 12
; VGPRBlocks: 12
; NumSGPRsForWavesPerEU: 102
; NumVGPRsForWavesPerEU: 49
; Occupancy: 4
; WaveLimiterHint : 0
; COMPUTE_PGM_RSRC2:SCRATCH_EN: 0
; COMPUTE_PGM_RSRC2:USER_SGPR: 6
; COMPUTE_PGM_RSRC2:TRAP_HANDLER: 0
; COMPUTE_PGM_RSRC2:TGID_X_EN: 1
; COMPUTE_PGM_RSRC2:TGID_Y_EN: 0
; COMPUTE_PGM_RSRC2:TGID_Z_EN: 1
; COMPUTE_PGM_RSRC2:TIDIG_COMP_CNT: 1
	.section	.text._ZL19rocblas_trsv_deviceILi64ELi16ELb1ELb1ELb0ELb0EdPKdS1_PdEviT7_lllT6_T8_lllPii,"axG",@progbits,_ZL19rocblas_trsv_deviceILi64ELi16ELb1ELb1ELb0ELb0EdPKdS1_PdEviT7_lllT6_T8_lllPii,comdat
	.globl	_ZL19rocblas_trsv_deviceILi64ELi16ELb1ELb1ELb0ELb0EdPKdS1_PdEviT7_lllT6_T8_lllPii ; -- Begin function _ZL19rocblas_trsv_deviceILi64ELi16ELb1ELb1ELb0ELb0EdPKdS1_PdEviT7_lllT6_T8_lllPii
	.p2align	8
	.type	_ZL19rocblas_trsv_deviceILi64ELi16ELb1ELb1ELb0ELb0EdPKdS1_PdEviT7_lllT6_T8_lllPii,@function
_ZL19rocblas_trsv_deviceILi64ELi16ELb1ELb1ELb0ELb0EdPKdS1_PdEviT7_lllT6_T8_lllPii: ; @_ZL19rocblas_trsv_deviceILi64ELi16ELb1ELb1ELb0ELb0EdPKdS1_PdEviT7_lllT6_T8_lllPii
; %bb.0:
	s_load_dwordx16 s[36:51], s[4:5], 0x8
	s_load_dword s24, s[4:5], 0x0
	s_mov_b32 s22, s7
	v_mov_b32_e32 v2, v1
	s_mov_b32 s23, 0
	s_waitcnt lgkmcnt(0)
	s_mul_i32 s0, s43, s7
	s_mul_hi_u32 s1, s42, s7
	s_add_i32 s1, s1, s0
	s_mul_i32 s0, s42, s7
	s_load_dword s7, s[4:5], 0x60
	s_lshl_b64 s[0:1], s[0:1], 3
	s_add_u32 s2, s36, s0
	s_addc_u32 s3, s37, s1
	s_lshl_b64 s[0:1], s[38:39], 3
	s_load_dwordx2 s[34:35], s[44:45], 0x0
	s_load_dword s28, s[4:5], 0x6c
	s_add_u32 s91, s2, s0
	s_addc_u32 s94, s3, s1
	s_waitcnt lgkmcnt(0)
	s_add_i32 s7, s7, -1
	s_sub_i32 s95, s7, s6
	s_cmp_lg_u32 s6, 0
	s_cbranch_scc0 .LBB35_1056
; %bb.1:
	s_lshl_b32 s33, s95, 6
	v_add_u32_e32 v1, s33, v0
	v_ashrrev_i32_e32 v3, 31, v1
	v_mul_lo_u32 v5, s40, v3
	v_mul_lo_u32 v6, s41, v1
	v_mad_u64_u32 v[3:4], s[0:1], s40, v1, 0
	v_add3_u32 v11, v2, s33, 64
	v_ashrrev_i32_e32 v12, 31, v11
	v_add3_u32 v4, v4, v5, v6
	v_lshlrev_b64 v[3:4], 3, v[3:4]
	v_cmp_gt_i32_e32 vcc, s24, v1
	v_mov_b32_e32 v1, s94
	v_add_co_u32_e64 v5, s[0:1], s91, v3
	v_addc_co_u32_e64 v1, s[0:1], v1, v4, s[0:1]
	v_lshlrev_b64 v[3:4], 3, v[11:12]
	v_add_co_u32_e64 v12, s[0:1], v5, v3
	v_addc_co_u32_e64 v13, s[0:1], v1, v4, s[0:1]
	v_cmp_gt_i32_e64 s[0:1], s24, v11
	v_mov_b32_e32 v3, 0
	v_mov_b32_e32 v5, 0
	;; [unrolled: 1-line block ×4, first 2 shown]
	s_and_b64 s[2:3], s[0:1], vcc
	s_barrier
	s_and_saveexec_b64 s[0:1], s[2:3]
	s_cbranch_execz .LBB35_3
; %bb.2:
	global_load_dwordx2 v[5:6], v[12:13], off
.LBB35_3:
	s_or_b64 exec, exec, s[0:1]
	v_add_u32_e32 v1, 16, v11
	v_cmp_gt_i32_e64 s[0:1], s24, v1
	s_and_b64 s[2:3], s[0:1], vcc
	s_waitcnt vmcnt(0)
	s_barrier
	s_and_saveexec_b64 s[0:1], s[2:3]
	s_cbranch_execz .LBB35_5
; %bb.4:
	global_load_dwordx2 v[3:4], v[12:13], off offset:128
.LBB35_5:
	s_or_b64 exec, exec, s[0:1]
	v_add_u32_e32 v1, 32, v11
	v_cmp_gt_i32_e64 s[0:1], s24, v1
	v_mov_b32_e32 v7, 0
	v_mov_b32_e32 v9, 0
	;; [unrolled: 1-line block ×4, first 2 shown]
	s_and_b64 s[2:3], s[0:1], vcc
	s_waitcnt vmcnt(0)
	s_barrier
	s_and_saveexec_b64 s[0:1], s[2:3]
	s_cbranch_execz .LBB35_7
; %bb.6:
	global_load_dwordx2 v[9:10], v[12:13], off offset:256
.LBB35_7:
	s_or_b64 exec, exec, s[0:1]
	v_add_u32_e32 v1, 48, v11
	v_cmp_gt_i32_e64 s[0:1], s24, v1
	s_and_b64 s[2:3], s[0:1], vcc
	s_waitcnt vmcnt(0)
	s_barrier
	s_and_saveexec_b64 s[0:1], s[2:3]
	s_cbranch_execz .LBB35_9
; %bb.8:
	global_load_dwordx2 v[7:8], v[12:13], off offset:384
.LBB35_9:
	s_or_b64 exec, exec, s[0:1]
	s_branch .LBB35_11
.LBB35_10:
	s_lshl_b32 s33, s95, 6
                                        ; implicit-def: $vgpr5_vgpr6
                                        ; implicit-def: $vgpr3_vgpr4
                                        ; implicit-def: $vgpr9_vgpr10
                                        ; implicit-def: $vgpr7_vgpr8
.LBB35_11:
	s_ashr_i32 s25, s24, 31
	s_lshr_b32 s0, s25, 26
	s_add_i32 s0, s24, s0
	s_andn2_b32 s0, s0, 63
	s_sub_i32 s90, s24, s0
	s_add_i32 s0, s24, -1
	s_ashr_i32 s1, s0, 31
	s_lshr_b32 s1, s1, 26
	s_add_i32 s0, s0, s1
	s_ashr_i32 s0, s0, 6
	s_cmp_eq_u32 s0, s95
	s_cselect_b64 s[0:1], -1, 0
	s_cmp_lg_u32 s90, 0
	s_cselect_b64 s[2:3], -1, 0
	s_and_b64 s[26:27], s[2:3], s[0:1]
	s_cmp_lt_i32 s6, 5
	s_cselect_b64 s[2:3], -1, 0
	s_or_b64 s[0:1], s[2:3], s[26:27]
	s_ashr_i32 s42, s33, 31
	s_add_u32 s10, s40, 1
	v_mov_b32_e32 v1, 0
	v_mov_b32_e32 v11, s33
	v_mad_u64_u32 v[11:12], s[8:9], s10, v11, v[0:1]
	s_addc_u32 s11, s41, 0
	s_mul_i32 s8, s10, s42
	s_mul_i32 s11, s11, s33
	s_add_i32 s8, s8, s11
	s_mov_b64 s[12:13], -1
	v_lshlrev_b32_e32 v17, 6, v0
	v_add_u32_e32 v12, s8, v12
	s_and_b64 vcc, exec, s[26:27]
	v_cmp_le_u32_e64 s[8:9], v0, v2
	s_cbranch_vccnz .LBB35_33
; %bb.12:
	v_mad_u64_u32 v[15:16], s[10:11], s40, v2, v[11:12]
	v_mov_b32_e32 v1, v16
	v_mad_u64_u32 v[13:14], s[10:11], s41, v2, v[1:2]
	s_mov_b64 s[10:11], 0
	v_mov_b32_e32 v16, v13
                                        ; implicit-def: $vgpr13_vgpr14
	s_and_saveexec_b64 s[12:13], s[8:9]
	s_xor_b64 s[8:9], exec, s[12:13]
	s_cbranch_execnz .LBB35_1057
; %bb.13:
	s_andn2_saveexec_b64 s[8:9], s[8:9]
	s_cbranch_execnz .LBB35_1062
.LBB35_14:
	s_or_b64 exec, exec, s[8:9]
	s_and_saveexec_b64 s[8:9], s[10:11]
.LBB35_15:
	v_add_u32_e32 v1, v2, v17
	v_lshl_add_u32 v15, v2, 6, v0
	v_cndmask_b32_e64 v1, v15, v1, s[2:3]
	v_lshlrev_b32_e32 v1, 3, v1
	ds_write_b64 v1, v[13:14]
.LBB35_16:
	s_or_b64 exec, exec, s[8:9]
	v_add_u32_e32 v1, 16, v2
	v_mad_u64_u32 v[15:16], s[2:3], s40, v1, v[11:12]
	v_cmp_le_u32_e32 vcc, v0, v1
	s_mov_b64 s[8:9], 0
	v_mov_b32_e32 v13, v16
	v_mad_u64_u32 v[13:14], s[2:3], s41, v1, v[13:14]
	v_mov_b32_e32 v16, v13
                                        ; implicit-def: $vgpr13_vgpr14
	s_and_saveexec_b64 s[2:3], vcc
	s_xor_b64 s[2:3], exec, s[2:3]
	s_cbranch_execnz .LBB35_1063
; %bb.17:
	s_andn2_saveexec_b64 s[2:3], s[2:3]
	s_cbranch_execnz .LBB35_1068
.LBB35_18:
	s_or_b64 exec, exec, s[2:3]
	s_and_saveexec_b64 s[2:3], s[8:9]
.LBB35_19:
	v_add_u32_e32 v15, v1, v17
	v_lshl_add_u32 v1, v1, 6, v0
	v_cndmask_b32_e64 v1, v1, v15, s[0:1]
	v_lshlrev_b32_e32 v1, 3, v1
	ds_write_b64 v1, v[13:14]
.LBB35_20:
	s_or_b64 exec, exec, s[2:3]
	v_add_u32_e32 v1, 32, v2
	v_mad_u64_u32 v[15:16], s[2:3], s40, v1, v[11:12]
	v_cmp_le_u32_e32 vcc, v0, v1
	s_mov_b64 s[8:9], 0
	v_mov_b32_e32 v13, v16
	v_mad_u64_u32 v[13:14], s[2:3], s41, v1, v[13:14]
	v_mov_b32_e32 v16, v13
                                        ; implicit-def: $vgpr13_vgpr14
	s_and_saveexec_b64 s[2:3], vcc
	s_xor_b64 s[2:3], exec, s[2:3]
	s_cbranch_execnz .LBB35_1069
; %bb.21:
	s_andn2_saveexec_b64 s[2:3], s[2:3]
	s_cbranch_execnz .LBB35_1074
.LBB35_22:
	s_or_b64 exec, exec, s[2:3]
	s_and_saveexec_b64 s[2:3], s[8:9]
.LBB35_23:
	v_add_u32_e32 v15, v1, v17
	v_lshl_add_u32 v1, v1, 6, v0
	v_cndmask_b32_e64 v1, v1, v15, s[0:1]
	v_lshlrev_b32_e32 v1, 3, v1
	ds_write_b64 v1, v[13:14]
.LBB35_24:
	s_or_b64 exec, exec, s[2:3]
	v_add_u32_e32 v1, 48, v2
	v_mad_u64_u32 v[15:16], s[2:3], s40, v1, v[11:12]
	v_cmp_le_u32_e32 vcc, v0, v1
	s_mov_b64 s[10:11], 0
	v_mov_b32_e32 v13, v16
	v_mad_u64_u32 v[13:14], s[2:3], s41, v1, v[13:14]
	v_mov_b32_e32 v16, v13
                                        ; implicit-def: $vgpr13_vgpr14
	s_and_saveexec_b64 s[2:3], vcc
	s_xor_b64 s[2:3], exec, s[2:3]
	s_cbranch_execz .LBB35_30
; %bb.25:
	v_cmp_ne_u32_e32 vcc, v0, v1
	s_mov_b64 s[8:9], 0
	s_and_saveexec_b64 s[10:11], vcc
	s_xor_b64 s[10:11], exec, s[10:11]
; %bb.26:
	v_or_b32_e32 v13, v1, v0
	v_cmp_gt_u32_e32 vcc, 64, v13
	s_and_b64 s[8:9], vcc, exec
                                        ; implicit-def: $vgpr15_vgpr16
; %bb.27:
	s_or_saveexec_b64 s[10:11], s[10:11]
	v_mov_b32_e32 v13, 0
	v_mov_b32_e32 v14, 0
	s_xor_b64 exec, exec, s[10:11]
	s_cbranch_execz .LBB35_29
; %bb.28:
	v_lshlrev_b64 v[13:14], 3, v[15:16]
	v_mov_b32_e32 v15, s94
	v_add_co_u32_e32 v13, vcc, s91, v13
	v_addc_co_u32_e32 v14, vcc, v15, v14, vcc
	global_load_dwordx2 v[13:14], v[13:14], off
	s_or_b64 s[8:9], s[8:9], exec
	s_waitcnt vmcnt(0)
	v_div_scale_f64 v[15:16], s[12:13], v[13:14], v[13:14], 1.0
	v_div_scale_f64 v[22:23], vcc, 1.0, v[13:14], 1.0
	v_rcp_f64_e32 v[18:19], v[15:16]
	v_fma_f64 v[20:21], -v[15:16], v[18:19], 1.0
	v_fma_f64 v[18:19], v[18:19], v[20:21], v[18:19]
	v_fma_f64 v[20:21], -v[15:16], v[18:19], 1.0
	v_fma_f64 v[18:19], v[18:19], v[20:21], v[18:19]
	v_mul_f64 v[20:21], v[22:23], v[18:19]
	v_fma_f64 v[15:16], -v[15:16], v[20:21], v[22:23]
	v_div_fmas_f64 v[15:16], v[15:16], v[18:19], v[20:21]
	v_div_fixup_f64 v[13:14], v[15:16], v[13:14], 1.0
.LBB35_29:
	s_or_b64 exec, exec, s[10:11]
	s_and_b64 s[10:11], s[8:9], exec
                                        ; implicit-def: $vgpr15_vgpr16
.LBB35_30:
	s_or_saveexec_b64 s[2:3], s[2:3]
	v_add_u32_e32 v18, v1, v17
	v_lshl_add_u32 v1, v1, 6, v0
	s_xor_b64 exec, exec, s[2:3]
	s_cbranch_execz .LBB35_32
; %bb.31:
	v_lshlrev_b64 v[13:14], 3, v[15:16]
	v_mov_b32_e32 v15, s94
	v_add_co_u32_e32 v13, vcc, s91, v13
	v_addc_co_u32_e32 v14, vcc, v15, v14, vcc
	global_load_dwordx2 v[13:14], v[13:14], off
	s_or_b64 s[10:11], s[10:11], exec
	s_waitcnt vmcnt(0)
	v_xor_b32_e32 v14, 0x80000000, v14
.LBB35_32:
	s_or_b64 exec, exec, s[2:3]
	v_cndmask_b32_e64 v1, v1, v18, s[0:1]
	s_branch .LBB35_55
.LBB35_33:
	s_mov_b64 s[10:11], 0
                                        ; implicit-def: $vgpr13_vgpr14
                                        ; implicit-def: $vgpr1
	s_and_b64 vcc, exec, s[12:13]
	s_cbranch_vccz .LBB35_55
; %bb.34:
	v_mad_u64_u32 v[13:14], s[2:3], s40, v2, v[11:12]
	v_cmp_le_u32_e32 vcc, v0, v2
	v_cmp_gt_i32_e64 s[2:3], s90, v0
	v_mov_b32_e32 v1, v14
	v_mad_u64_u32 v[14:15], s[8:9], s41, v2, v[1:2]
	v_max_i32_e32 v1, v2, v0
	v_cmp_le_i32_e64 s[8:9], s90, v1
	s_or_b64 s[8:9], s[8:9], vcc
	s_mov_b64 s[12:13], 0
                                        ; implicit-def: $vgpr15_vgpr16
	s_and_saveexec_b64 s[14:15], s[8:9]
	s_xor_b64 s[8:9], exec, s[14:15]
	s_cbranch_execnz .LBB35_1075
; %bb.35:
	s_andn2_saveexec_b64 s[8:9], s[8:9]
	s_cbranch_execnz .LBB35_1080
.LBB35_36:
	s_or_b64 exec, exec, s[8:9]
	s_and_saveexec_b64 s[8:9], s[12:13]
.LBB35_37:
	v_lshlrev_b32_e32 v1, 3, v17
	v_lshl_add_u32 v1, v2, 3, v1
	ds_write_b64 v1, v[15:16]
.LBB35_38:
	s_or_b64 exec, exec, s[8:9]
	v_add_u32_e32 v1, 16, v2
	v_mad_u64_u32 v[13:14], s[8:9], s40, v1, v[11:12]
	v_cmp_gt_u32_e32 vcc, v0, v1
	s_mov_b64 s[12:13], 0
	v_mad_u64_u32 v[14:15], s[8:9], s41, v1, v[14:15]
	v_cmp_gt_i32_e64 s[8:9], s90, v1
	s_and_b64 s[8:9], vcc, s[8:9]
	s_and_b64 s[8:9], s[2:3], s[8:9]
	s_xor_b64 s[8:9], s[8:9], -1
                                        ; implicit-def: $vgpr15_vgpr16
	s_and_saveexec_b64 s[14:15], s[8:9]
	s_xor_b64 s[8:9], exec, s[14:15]
	s_cbranch_execnz .LBB35_1081
; %bb.39:
	s_andn2_saveexec_b64 s[8:9], s[8:9]
	s_cbranch_execnz .LBB35_1086
.LBB35_40:
	s_or_b64 exec, exec, s[8:9]
	s_and_saveexec_b64 s[8:9], s[12:13]
.LBB35_41:
	v_add_u32_e32 v13, v1, v17
	v_lshl_add_u32 v1, v1, 6, v0
	v_cndmask_b32_e64 v1, v1, v13, s[0:1]
	v_lshlrev_b32_e32 v1, 3, v1
	ds_write_b64 v1, v[15:16]
.LBB35_42:
	s_or_b64 exec, exec, s[8:9]
	v_add_u32_e32 v1, 32, v2
	v_mad_u64_u32 v[13:14], s[8:9], s40, v1, v[11:12]
	v_cmp_gt_u32_e32 vcc, v0, v1
	s_mov_b64 s[12:13], 0
	v_mad_u64_u32 v[14:15], s[8:9], s41, v1, v[14:15]
	v_cmp_gt_i32_e64 s[8:9], s90, v1
	s_and_b64 s[8:9], vcc, s[8:9]
	s_and_b64 s[8:9], s[2:3], s[8:9]
	s_xor_b64 s[8:9], s[8:9], -1
                                        ; implicit-def: $vgpr15_vgpr16
	s_and_saveexec_b64 s[14:15], s[8:9]
	s_xor_b64 s[8:9], exec, s[14:15]
	s_cbranch_execnz .LBB35_1087
; %bb.43:
	s_andn2_saveexec_b64 s[8:9], s[8:9]
	s_cbranch_execnz .LBB35_1092
.LBB35_44:
	s_or_b64 exec, exec, s[8:9]
	s_and_saveexec_b64 s[8:9], s[12:13]
.LBB35_45:
	v_add_u32_e32 v13, v1, v17
	v_lshl_add_u32 v1, v1, 6, v0
	v_cndmask_b32_e64 v1, v1, v13, s[0:1]
	v_lshlrev_b32_e32 v1, 3, v1
	ds_write_b64 v1, v[15:16]
.LBB35_46:
	s_or_b64 exec, exec, s[8:9]
	v_add_u32_e32 v1, 48, v2
	v_mad_u64_u32 v[11:12], s[8:9], s40, v1, v[11:12]
	v_cmp_gt_u32_e32 vcc, v0, v1
	v_mad_u64_u32 v[12:13], s[8:9], s41, v1, v[12:13]
	v_cmp_gt_i32_e64 s[8:9], s90, v1
	s_and_b64 s[8:9], vcc, s[8:9]
	s_and_b64 s[8:9], s[2:3], s[8:9]
	s_xor_b64 s[8:9], s[8:9], -1
                                        ; implicit-def: $vgpr13_vgpr14
	s_and_saveexec_b64 s[12:13], s[8:9]
	s_xor_b64 s[8:9], exec, s[12:13]
	s_cbranch_execz .LBB35_52
; %bb.47:
	v_cmp_ne_u32_e32 vcc, v0, v1
	s_xor_b64 s[2:3], s[2:3], -1
	s_or_b64 s[12:13], s[2:3], vcc
	s_mov_b64 s[2:3], s[10:11]
	s_and_saveexec_b64 s[14:15], s[12:13]
	s_xor_b64 s[12:13], exec, s[14:15]
; %bb.48:
	v_or_b32_e32 v11, v1, v0
	v_cmp_gt_u32_e32 vcc, 64, v11
	s_andn2_b64 s[2:3], s[10:11], exec
	s_and_b64 s[14:15], vcc, exec
	s_or_b64 s[2:3], s[2:3], s[14:15]
                                        ; implicit-def: $vgpr11_vgpr12
; %bb.49:
	s_or_saveexec_b64 s[12:13], s[12:13]
	v_mov_b32_e32 v13, 0
	v_mov_b32_e32 v14, 0
	s_xor_b64 exec, exec, s[12:13]
	s_cbranch_execz .LBB35_51
; %bb.50:
	v_lshlrev_b64 v[11:12], 3, v[11:12]
	v_mov_b32_e32 v13, s94
	v_add_co_u32_e32 v11, vcc, s91, v11
	v_addc_co_u32_e32 v12, vcc, v13, v12, vcc
	global_load_dwordx2 v[11:12], v[11:12], off
	s_or_b64 s[2:3], s[2:3], exec
	s_waitcnt vmcnt(0)
	v_div_scale_f64 v[13:14], s[14:15], v[11:12], v[11:12], 1.0
	v_div_scale_f64 v[20:21], vcc, 1.0, v[11:12], 1.0
	v_rcp_f64_e32 v[15:16], v[13:14]
	v_fma_f64 v[18:19], -v[13:14], v[15:16], 1.0
	v_fma_f64 v[15:16], v[15:16], v[18:19], v[15:16]
	v_fma_f64 v[18:19], -v[13:14], v[15:16], 1.0
	v_fma_f64 v[15:16], v[15:16], v[18:19], v[15:16]
	v_mul_f64 v[18:19], v[20:21], v[15:16]
	v_fma_f64 v[13:14], -v[13:14], v[18:19], v[20:21]
	v_div_fmas_f64 v[13:14], v[13:14], v[15:16], v[18:19]
	v_div_fixup_f64 v[13:14], v[13:14], v[11:12], 1.0
.LBB35_51:
	s_or_b64 exec, exec, s[12:13]
	s_andn2_b64 s[10:11], s[10:11], exec
	s_and_b64 s[2:3], s[2:3], exec
	s_or_b64 s[10:11], s[10:11], s[2:3]
                                        ; implicit-def: $vgpr11_vgpr12
.LBB35_52:
	s_or_saveexec_b64 s[2:3], s[8:9]
	v_add_u32_e32 v15, v1, v17
	v_lshl_add_u32 v1, v1, 6, v0
	s_xor_b64 exec, exec, s[2:3]
	s_cbranch_execz .LBB35_54
; %bb.53:
	v_lshlrev_b64 v[11:12], 3, v[11:12]
	v_mov_b32_e32 v13, s94
	v_add_co_u32_e32 v11, vcc, s91, v11
	v_addc_co_u32_e32 v12, vcc, v13, v12, vcc
	global_load_dwordx2 v[13:14], v[11:12], off
	s_or_b64 s[10:11], s[10:11], exec
	s_waitcnt vmcnt(0)
	v_xor_b32_e32 v14, 0x80000000, v14
.LBB35_54:
	s_or_b64 exec, exec, s[2:3]
	v_cndmask_b32_e64 v1, v1, v15, s[0:1]
.LBB35_55:
	s_xor_b64 s[0:1], s[0:1], -1
	s_and_saveexec_b64 s[2:3], s[10:11]
; %bb.56:
	v_lshlrev_b32_e32 v1, 3, v1
	ds_write_b64 v1, v[13:14]
; %bb.57:
	s_or_b64 exec, exec, s[2:3]
	v_cndmask_b32_e64 v1, 0, 1, s[0:1]
	v_cmp_ne_u32_e64 s[60:61], 1, v1
	s_andn2_b64 vcc, exec, s[0:1]
	s_waitcnt vmcnt(0) lgkmcnt(0)
	s_barrier
	s_cbranch_vccnz .LBB35_987
; %bb.58:
	v_or_b32_e32 v1, v0, v2
	v_cmp_eq_u32_e32 vcc, 0, v1
	s_and_saveexec_b64 s[0:1], vcc
	s_cbranch_execz .LBB35_60
; %bb.59:
	v_mov_b32_e32 v1, 0
	ds_read_b128 v[11:14], v1
	ds_read_b64 v[15:16], v1 offset:520
	s_waitcnt lgkmcnt(0)
	v_mul_f64 v[11:12], v[11:12], v[15:16]
	v_mul_f64 v[11:12], v[13:14], v[11:12]
	ds_write2_b64 v1, v[11:12], v[11:12] offset0:1 offset1:64
.LBB35_60:
	s_or_b64 exec, exec, s[0:1]
	v_lshl_add_u32 v14, v2, 6, v0
	v_and_b32_e32 v16, 1, v0
	v_lshrrev_b32_e32 v15, 1, v14
	v_lshlrev_b32_e32 v1, 3, v16
	v_mov_b32_e32 v11, 0
	v_cmp_lt_u32_e64 s[8:9], 3, v14
	v_cmp_gt_u32_e64 s[2:3], 4, v14
	v_mov_b32_e32 v12, 0
	v_lshl_or_b32 v1, v15, 9, v1
	s_waitcnt lgkmcnt(0)
	s_barrier
	s_and_saveexec_b64 s[0:1], s[2:3]
	s_cbranch_execz .LBB35_64
; %bb.61:
	v_mul_u32_u24_e32 v13, 0x208, v15
	ds_read_b64 v[11:12], v1 offset:16
	ds_read_b64 v[17:18], v13
	v_cmp_gt_u32_e64 s[10:11], 2, v14
	s_waitcnt lgkmcnt(0)
	v_fma_f64 v[11:12], v[11:12], v[17:18], 0
	s_and_saveexec_b64 s[12:13], s[10:11]
	s_cbranch_execz .LBB35_63
; %bb.62:
	v_lshlrev_b32_e32 v13, 3, v0
	v_mov_b32_e32 v19, 0
	ds_read_b64 v[17:18], v13 offset:528
	ds_read_b64 v[19:20], v19 offset:8
	s_waitcnt lgkmcnt(0)
	v_fma_f64 v[11:12], v[17:18], v[19:20], v[11:12]
.LBB35_63:
	s_or_b64 exec, exec, s[12:13]
	v_xor_b32_e32 v12, 0x80000000, v12
.LBB35_64:
                                        ; implicit-def: $vgpr42 : SGPR spill to VGPR lane
	v_writelane_b32 v42, s34, 0
	v_writelane_b32 v42, s35, 1
	s_or_b64 exec, exec, s[0:1]
	v_mov_b32_e32 v13, 0x8000
	v_cmp_eq_u32_e64 s[10:11], 0, v16
	s_xor_b64 s[0:1], s[8:9], -1
	v_lshl_add_u32 v13, v15, 3, v13
	s_and_b64 s[34:35], s[10:11], s[0:1]
	s_and_saveexec_b64 s[8:9], s[34:35]
	s_cbranch_execz .LBB35_66
; %bb.65:
	v_mov_b32_e32 v17, 0
	ds_read_b64 v[17:18], v17 offset:1040
	s_waitcnt lgkmcnt(0)
	v_mul_f64 v[11:12], v[11:12], v[17:18]
	ds_write_b64 v13, v[11:12]
.LBB35_66:
	s_or_b64 exec, exec, s[8:9]
	v_cmp_ne_u32_e64 s[8:9], 0, v16
	s_and_b64 s[30:31], s[8:9], s[0:1]
	s_waitcnt lgkmcnt(0)
	s_barrier
	s_and_saveexec_b64 s[0:1], s[30:31]
	s_cbranch_execz .LBB35_68
; %bb.67:
	v_mov_b32_e32 v16, 0
	ds_read_b64 v[16:17], v16 offset:1048
	ds_read_b64 v[18:19], v13
	s_waitcnt lgkmcnt(0)
	v_fma_f64 v[11:12], v[16:17], v[18:19], v[11:12]
.LBB35_68:
	s_or_b64 exec, exec, s[0:1]
	s_barrier
	s_and_saveexec_b64 s[0:1], s[30:31]
	s_cbranch_execz .LBB35_70
; %bb.69:
	v_mov_b32_e32 v16, 0
	ds_read_b64 v[16:17], v16 offset:1560
	s_waitcnt lgkmcnt(0)
	v_mul_f64 v[11:12], v[11:12], v[16:17]
	ds_write_b64 v13, v[11:12]
.LBB35_70:
	s_or_b64 exec, exec, s[0:1]
	s_waitcnt lgkmcnt(0)
	s_barrier
	s_barrier
	s_and_saveexec_b64 s[0:1], s[2:3]
; %bb.71:
	v_xor_b32_e32 v12, 0x80000000, v12
	ds_write_b64 v1, v[11:12] offset:16
; %bb.72:
	s_or_b64 exec, exec, s[0:1]
	v_cmp_eq_u32_e64 s[12:13], 0, v2
	v_cmp_gt_u32_e64 s[8:9], 2, v0
	s_and_b64 s[36:37], s[12:13], s[8:9]
	s_waitcnt lgkmcnt(0)
	s_barrier
	s_barrier
	s_and_saveexec_b64 s[0:1], s[36:37]
	s_cbranch_execz .LBB35_74
; %bb.73:
	v_lshlrev_b32_e32 v16, 3, v0
	s_movk_i32 s8, 0x1f8
	v_mad_u32_u24 v17, v0, s8, v16
	ds_read_b64 v[11:12], v17 offset:16
	s_waitcnt lgkmcnt(0)
	ds_write_b64 v16, v[11:12] offset:1024
	ds_read_b64 v[11:12], v17 offset:24
	s_waitcnt lgkmcnt(0)
	ds_write_b64 v16, v[11:12] offset:1536
.LBB35_74:
	s_or_b64 exec, exec, s[0:1]
	s_waitcnt lgkmcnt(0)
	s_barrier
	s_and_saveexec_b64 s[0:1], vcc
	s_cbranch_execz .LBB35_76
; %bb.75:
	v_mov_b32_e32 v20, 0
	ds_read_b128 v[16:19], v20 offset:1040
	ds_read_b64 v[11:12], v20 offset:1560
	s_waitcnt lgkmcnt(0)
	v_mul_f64 v[11:12], v[16:17], v[11:12]
	v_mul_f64 v[11:12], v[18:19], v[11:12]
	ds_write2_b64 v20, v[11:12], v[11:12] offset0:131 offset1:194
.LBB35_76:
	s_or_b64 exec, exec, s[0:1]
	v_and_b32_e32 v19, 3, v0
	v_lshrrev_b32_e32 v20, 2, v14
	v_lshlrev_b32_e32 v17, 3, v19
	v_mov_b32_e32 v11, 0
	v_cmp_lt_u32_e64 s[8:9], 15, v14
	v_cmp_gt_u32_e64 s[18:19], 16, v14
	v_mov_b32_e32 v12, 0
	v_lshl_or_b32 v16, v20, 9, v17
	s_waitcnt lgkmcnt(0)
	s_barrier
	s_and_saveexec_b64 s[0:1], s[18:19]
	s_cbranch_execz .LBB35_82
; %bb.77:
	v_mul_u32_u24_e32 v18, 0x208, v20
	ds_read_b64 v[11:12], v16 offset:32
	ds_read_b64 v[21:22], v18
	v_cmp_gt_u32_e64 s[10:11], 12, v14
	s_waitcnt lgkmcnt(0)
	v_fma_f64 v[11:12], v[11:12], v[21:22], 0
	s_and_saveexec_b64 s[14:15], s[10:11]
	s_cbranch_execnz .LBB35_1097
; %bb.78:
	s_or_b64 exec, exec, s[14:15]
	v_cmp_gt_u32_e64 s[10:11], 8, v14
	s_and_saveexec_b64 s[14:15], s[10:11]
	s_cbranch_execnz .LBB35_1098
.LBB35_79:
	s_or_b64 exec, exec, s[14:15]
	v_cmp_gt_u32_e64 s[10:11], 4, v14
	s_and_saveexec_b64 s[14:15], s[10:11]
	s_cbranch_execz .LBB35_81
.LBB35_80:
	v_lshlrev_b32_e32 v18, 3, v0
	v_mov_b32_e32 v23, 0
	ds_read_b64 v[21:22], v18 offset:1568
	ds_read_b64 v[23:24], v23 offset:24
	s_waitcnt lgkmcnt(0)
	v_fma_f64 v[11:12], v[21:22], v[23:24], v[11:12]
.LBB35_81:
	s_or_b64 exec, exec, s[14:15]
	v_xor_b32_e32 v12, 0x80000000, v12
.LBB35_82:
	v_writelane_b32 v42, s42, 2
	s_or_b64 exec, exec, s[0:1]
	v_mov_b32_e32 v18, 0x8000
	v_cmp_eq_u32_e64 s[10:11], 0, v19
	s_xor_b64 s[0:1], s[8:9], -1
	v_lshl_add_u32 v18, v20, 3, v18
	s_and_b64 s[42:43], s[10:11], s[0:1]
	s_and_saveexec_b64 s[8:9], s[42:43]
	s_cbranch_execz .LBB35_84
; %bb.83:
	v_mov_b32_e32 v21, 0
	ds_read_b64 v[21:22], v21 offset:2080
	s_waitcnt lgkmcnt(0)
	v_mul_f64 v[11:12], v[11:12], v[21:22]
	ds_write_b64 v18, v[11:12]
.LBB35_84:
	s_or_b64 exec, exec, s[8:9]
	v_cmp_ne_u32_e64 s[8:9], 0, v19
	s_and_b64 s[44:45], s[8:9], s[0:1]
	s_waitcnt lgkmcnt(0)
	s_barrier
	s_and_saveexec_b64 s[8:9], s[44:45]
	s_cbranch_execz .LBB35_86
; %bb.85:
	ds_read_b64 v[21:22], v17 offset:2080
	ds_read_b64 v[23:24], v18
	s_waitcnt lgkmcnt(0)
	v_fma_f64 v[11:12], v[21:22], v[23:24], v[11:12]
.LBB35_86:
	s_or_b64 exec, exec, s[8:9]
	v_cmp_eq_u32_e64 s[8:9], 1, v19
	s_and_b64 s[52:53], s[8:9], s[0:1]
	s_barrier
	s_and_saveexec_b64 s[8:9], s[52:53]
	s_cbranch_execz .LBB35_88
; %bb.87:
	v_mov_b32_e32 v21, 0
	ds_read_b64 v[21:22], v21 offset:2600
	s_waitcnt lgkmcnt(0)
	v_mul_f64 v[11:12], v[11:12], v[21:22]
	ds_write_b64 v18, v[11:12]
.LBB35_88:
	s_or_b64 exec, exec, s[8:9]
	v_cmp_lt_u32_e64 s[8:9], 1, v19
	s_and_b64 s[54:55], s[8:9], s[0:1]
	s_waitcnt lgkmcnt(0)
	s_barrier
	s_and_saveexec_b64 s[8:9], s[54:55]
	s_cbranch_execz .LBB35_90
; %bb.89:
	ds_read_b64 v[21:22], v17 offset:2592
	ds_read_b64 v[23:24], v18
	s_waitcnt lgkmcnt(0)
	v_fma_f64 v[11:12], v[21:22], v[23:24], v[11:12]
.LBB35_90:
	s_or_b64 exec, exec, s[8:9]
	v_cmp_eq_u32_e64 s[8:9], 2, v19
	s_and_b64 s[56:57], s[8:9], s[0:1]
	s_barrier
	s_and_saveexec_b64 s[8:9], s[56:57]
	s_cbranch_execz .LBB35_92
; %bb.91:
	v_mov_b32_e32 v21, 0
	ds_read_b64 v[21:22], v21 offset:3120
	s_waitcnt lgkmcnt(0)
	v_mul_f64 v[11:12], v[11:12], v[21:22]
	ds_write_b64 v18, v[11:12]
.LBB35_92:
	s_or_b64 exec, exec, s[8:9]
	v_cmp_eq_u32_e64 s[8:9], 3, v19
	s_and_b64 s[38:39], s[8:9], s[0:1]
	s_waitcnt lgkmcnt(0)
	s_barrier
	s_and_saveexec_b64 s[0:1], s[38:39]
	s_cbranch_execz .LBB35_94
; %bb.93:
	v_mov_b32_e32 v21, 0
	ds_read_b64 v[21:22], v21 offset:3128
	ds_read_b64 v[23:24], v18
	s_waitcnt lgkmcnt(0)
	v_fma_f64 v[11:12], v[21:22], v[23:24], v[11:12]
.LBB35_94:
	s_or_b64 exec, exec, s[0:1]
	s_barrier
	s_and_saveexec_b64 s[0:1], s[38:39]
	s_cbranch_execz .LBB35_96
; %bb.95:
	v_mov_b32_e32 v21, 0
	ds_read_b64 v[21:22], v21 offset:3640
	s_waitcnt lgkmcnt(0)
	v_mul_f64 v[11:12], v[11:12], v[21:22]
	ds_write_b64 v18, v[11:12]
.LBB35_96:
	s_or_b64 exec, exec, s[0:1]
	s_waitcnt lgkmcnt(0)
	s_barrier
	s_barrier
	s_and_saveexec_b64 s[0:1], s[18:19]
; %bb.97:
	v_xor_b32_e32 v12, 0x80000000, v12
	ds_write_b64 v16, v[11:12] offset:32
; %bb.98:
	s_or_b64 exec, exec, s[0:1]
	v_cmp_gt_u32_e64 s[8:9], 4, v0
	s_and_b64 s[58:59], s[12:13], s[8:9]
	s_waitcnt lgkmcnt(0)
	s_barrier
	s_barrier
	s_and_saveexec_b64 s[0:1], s[58:59]
	s_cbranch_execz .LBB35_100
; %bb.99:
	v_lshlrev_b32_e32 v21, 9, v0
	ds_read_b64 v[11:12], v21 offset:32
	s_movk_i32 s8, 0xfe08
	v_mad_i32_i24 v22, v0, s8, v21
	s_waitcnt lgkmcnt(0)
	ds_write_b64 v22, v[11:12] offset:2048
	ds_read_b64 v[11:12], v21 offset:40
	s_waitcnt lgkmcnt(0)
	ds_write_b64 v22, v[11:12] offset:2560
	ds_read_b64 v[11:12], v21 offset:48
	;; [unrolled: 3-line block ×3, first 2 shown]
	s_waitcnt lgkmcnt(0)
	ds_write_b64 v22, v[11:12] offset:3584
.LBB35_100:
	s_or_b64 exec, exec, s[0:1]
	s_waitcnt lgkmcnt(0)
	s_barrier
	s_and_saveexec_b64 s[0:1], vcc
	s_cbranch_execz .LBB35_102
; %bb.101:
	v_mov_b32_e32 v11, 0
	ds_read_b128 v[21:24], v11 offset:2080
	ds_read_b64 v[11:12], v11 offset:2600
	s_movk_i32 s8, 0x800
	s_waitcnt lgkmcnt(0)
	v_mul_f64 v[11:12], v[21:22], v[11:12]
	v_add_u32_e64 v21, s8, 0
	v_mul_f64 v[11:12], v[23:24], v[11:12]
	ds_write2_b64 v21, v[11:12], v[11:12] offset0:5 offset1:68
.LBB35_102:
	s_or_b64 exec, exec, s[0:1]
	v_mov_b32_e32 v11, 0
	v_mov_b32_e32 v12, 0
	s_waitcnt lgkmcnt(0)
	s_barrier
	s_and_saveexec_b64 s[0:1], s[2:3]
	s_cbranch_execz .LBB35_106
; %bb.103:
	v_mul_u32_u24_e32 v21, 0x208, v15
	ds_read_b64 v[11:12], v1 offset:2096
	ds_read_b64 v[21:22], v21 offset:2080
	v_cmp_gt_u32_e64 s[8:9], 2, v14
	s_waitcnt lgkmcnt(0)
	v_fma_f64 v[11:12], v[11:12], v[21:22], 0
	s_and_saveexec_b64 s[10:11], s[8:9]
	s_cbranch_execz .LBB35_105
; %bb.104:
	v_lshlrev_b32_e32 v21, 3, v0
	v_mov_b32_e32 v23, 0
	ds_read_b64 v[21:22], v21 offset:2608
	ds_read_b64 v[23:24], v23 offset:2088
	s_waitcnt lgkmcnt(0)
	v_fma_f64 v[11:12], v[21:22], v[23:24], v[11:12]
.LBB35_105:
	s_or_b64 exec, exec, s[10:11]
	v_xor_b32_e32 v12, 0x80000000, v12
.LBB35_106:
	s_or_b64 exec, exec, s[0:1]
	s_and_saveexec_b64 s[0:1], s[34:35]
	s_cbranch_execz .LBB35_108
; %bb.107:
	v_mov_b32_e32 v21, 0
	ds_read_b64 v[21:22], v21 offset:3120
	s_waitcnt lgkmcnt(0)
	v_mul_f64 v[11:12], v[11:12], v[21:22]
	ds_write_b64 v13, v[11:12]
.LBB35_108:
	s_or_b64 exec, exec, s[0:1]
	s_waitcnt lgkmcnt(0)
	s_barrier
	s_and_saveexec_b64 s[0:1], s[30:31]
	s_cbranch_execz .LBB35_110
; %bb.109:
	v_mov_b32_e32 v21, 0
	ds_read_b64 v[21:22], v21 offset:3128
	ds_read_b64 v[23:24], v13
	s_waitcnt lgkmcnt(0)
	v_fma_f64 v[11:12], v[21:22], v[23:24], v[11:12]
.LBB35_110:
	s_or_b64 exec, exec, s[0:1]
	s_barrier
	s_and_saveexec_b64 s[0:1], s[30:31]
	s_cbranch_execz .LBB35_112
; %bb.111:
	v_mov_b32_e32 v21, 0
	ds_read_b64 v[21:22], v21 offset:3640
	s_waitcnt lgkmcnt(0)
	v_mul_f64 v[11:12], v[11:12], v[21:22]
	ds_write_b64 v13, v[11:12]
.LBB35_112:
	s_or_b64 exec, exec, s[0:1]
	s_waitcnt lgkmcnt(0)
	s_barrier
	s_barrier
	s_and_saveexec_b64 s[0:1], s[2:3]
; %bb.113:
	v_xor_b32_e32 v12, 0x80000000, v12
	ds_write_b64 v1, v[11:12] offset:2096
; %bb.114:
	s_or_b64 exec, exec, s[0:1]
	s_waitcnt lgkmcnt(0)
	s_barrier
	s_barrier
	s_and_saveexec_b64 s[0:1], s[36:37]
	s_cbranch_execz .LBB35_116
; %bb.115:
	v_lshlrev_b32_e32 v21, 3, v0
	s_movk_i32 s8, 0x1f8
	v_mad_u32_u24 v22, v0, s8, v21
	ds_read_b64 v[11:12], v22 offset:2096
	s_waitcnt lgkmcnt(0)
	ds_write_b64 v21, v[11:12] offset:3104
	ds_read_b64 v[11:12], v22 offset:2104
	s_waitcnt lgkmcnt(0)
	ds_write_b64 v21, v[11:12] offset:3616
.LBB35_116:
	s_or_b64 exec, exec, s[0:1]
	s_waitcnt lgkmcnt(0)
	s_barrier
	s_and_saveexec_b64 s[0:1], vcc
	s_cbranch_execz .LBB35_118
; %bb.117:
	v_mov_b32_e32 v11, 0
	ds_read_b128 v[21:24], v11 offset:3120
	ds_read_b64 v[11:12], v11 offset:3640
	s_movk_i32 s8, 0x800
	s_waitcnt lgkmcnt(0)
	v_mul_f64 v[11:12], v[21:22], v[11:12]
	v_add_u32_e64 v21, s8, 0
	v_mul_f64 v[11:12], v[23:24], v[11:12]
	ds_write2_b64 v21, v[11:12], v[11:12] offset0:135 offset1:198
.LBB35_118:
	s_or_b64 exec, exec, s[0:1]
	v_and_b32_e32 v24, 7, v0
	v_lshrrev_b32_e32 v25, 3, v14
	v_lshlrev_b32_e32 v22, 3, v24
	v_mov_b32_e32 v11, 0
	v_cmp_lt_u32_e64 s[10:11], 63, v14
	v_cmp_gt_u32_e64 s[8:9], 64, v14
	v_mov_b32_e32 v12, 0
	v_lshl_or_b32 v21, v25, 9, v22
	s_waitcnt lgkmcnt(0)
	s_barrier
	s_and_saveexec_b64 s[0:1], s[8:9]
	s_cbranch_execz .LBB35_128
; %bb.119:
	v_mul_u32_u24_e32 v23, 0x208, v25
	ds_read_b64 v[11:12], v21 offset:64
	ds_read_b64 v[26:27], v23
	v_cmp_gt_u32_e64 s[14:15], 56, v14
	s_waitcnt lgkmcnt(0)
	v_fma_f64 v[11:12], v[11:12], v[26:27], 0
	s_and_saveexec_b64 s[16:17], s[14:15]
	s_cbranch_execnz .LBB35_1099
; %bb.120:
	s_or_b64 exec, exec, s[16:17]
	v_cmp_gt_u32_e64 s[14:15], 48, v14
	s_and_saveexec_b64 s[16:17], s[14:15]
	s_cbranch_execnz .LBB35_1100
.LBB35_121:
	s_or_b64 exec, exec, s[16:17]
	v_cmp_gt_u32_e64 s[14:15], 40, v14
	s_and_saveexec_b64 s[16:17], s[14:15]
	s_cbranch_execnz .LBB35_1101
.LBB35_122:
	s_or_b64 exec, exec, s[16:17]
	v_cmp_gt_u32_e64 s[14:15], 32, v14
	s_and_saveexec_b64 s[16:17], s[14:15]
	s_cbranch_execnz .LBB35_1102
.LBB35_123:
	s_or_b64 exec, exec, s[16:17]
	v_cmp_gt_u32_e64 s[14:15], 24, v14
	s_and_saveexec_b64 s[16:17], s[14:15]
	s_cbranch_execnz .LBB35_1103
.LBB35_124:
	s_or_b64 exec, exec, s[16:17]
	v_cmp_gt_u32_e64 s[14:15], 16, v14
	s_and_saveexec_b64 s[16:17], s[14:15]
	s_cbranch_execnz .LBB35_1104
.LBB35_125:
	s_or_b64 exec, exec, s[16:17]
	v_cmp_gt_u32_e64 s[14:15], 8, v14
	s_and_saveexec_b64 s[16:17], s[14:15]
	s_cbranch_execz .LBB35_127
.LBB35_126:
	v_lshlrev_b32_e32 v23, 3, v0
	v_mov_b32_e32 v28, 0
	ds_read_b64 v[26:27], v23 offset:3648
	ds_read_b64 v[28:29], v28 offset:56
	s_waitcnt lgkmcnt(0)
	v_fma_f64 v[11:12], v[26:27], v[28:29], v[11:12]
.LBB35_127:
	s_or_b64 exec, exec, s[16:17]
	v_xor_b32_e32 v12, 0x80000000, v12
.LBB35_128:
	v_writelane_b32 v42, s60, 3
	v_writelane_b32 v42, s61, 4
	s_or_b64 exec, exec, s[0:1]
	v_mov_b32_e32 v23, 0x8000
	v_cmp_eq_u32_e64 s[14:15], 0, v24
	s_xor_b64 s[0:1], s[10:11], -1
	v_lshl_add_u32 v23, v25, 3, v23
	s_and_b64 s[60:61], s[14:15], s[0:1]
	s_and_saveexec_b64 s[10:11], s[60:61]
	s_cbranch_execz .LBB35_130
; %bb.129:
	v_mov_b32_e32 v26, 0
	ds_read_b64 v[26:27], v26 offset:4160
	s_waitcnt lgkmcnt(0)
	v_mul_f64 v[11:12], v[11:12], v[26:27]
	ds_write_b64 v23, v[11:12]
.LBB35_130:
	s_or_b64 exec, exec, s[10:11]
	v_cmp_ne_u32_e64 s[10:11], 0, v24
	s_and_b64 s[62:63], s[10:11], s[0:1]
	s_waitcnt lgkmcnt(0)
	s_barrier
	s_and_saveexec_b64 s[10:11], s[62:63]
	s_cbranch_execz .LBB35_132
; %bb.131:
	ds_read_b64 v[26:27], v22 offset:4160
	ds_read_b64 v[28:29], v23
	s_waitcnt lgkmcnt(0)
	v_fma_f64 v[11:12], v[26:27], v[28:29], v[11:12]
.LBB35_132:
	s_or_b64 exec, exec, s[10:11]
	v_cmp_eq_u32_e64 s[10:11], 1, v24
	s_and_b64 s[64:65], s[10:11], s[0:1]
	s_barrier
	s_and_saveexec_b64 s[10:11], s[64:65]
	s_cbranch_execz .LBB35_134
; %bb.133:
	v_mov_b32_e32 v26, 0
	ds_read_b64 v[26:27], v26 offset:4680
	s_waitcnt lgkmcnt(0)
	v_mul_f64 v[11:12], v[11:12], v[26:27]
	ds_write_b64 v23, v[11:12]
.LBB35_134:
	s_or_b64 exec, exec, s[10:11]
	v_cmp_lt_u32_e64 s[10:11], 1, v24
	s_and_b64 s[66:67], s[10:11], s[0:1]
	s_waitcnt lgkmcnt(0)
	s_barrier
	s_and_saveexec_b64 s[10:11], s[66:67]
	s_cbranch_execz .LBB35_136
; %bb.135:
	ds_read_b64 v[26:27], v22 offset:4672
	ds_read_b64 v[28:29], v23
	s_waitcnt lgkmcnt(0)
	v_fma_f64 v[11:12], v[26:27], v[28:29], v[11:12]
.LBB35_136:
	s_or_b64 exec, exec, s[10:11]
	v_cmp_eq_u32_e64 s[10:11], 2, v24
	s_and_b64 s[68:69], s[10:11], s[0:1]
	s_barrier
	s_and_saveexec_b64 s[10:11], s[68:69]
	s_cbranch_execz .LBB35_138
; %bb.137:
	v_mov_b32_e32 v26, 0
	ds_read_b64 v[26:27], v26 offset:5200
	s_waitcnt lgkmcnt(0)
	v_mul_f64 v[11:12], v[11:12], v[26:27]
	ds_write_b64 v23, v[11:12]
.LBB35_138:
	s_or_b64 exec, exec, s[10:11]
	v_cmp_lt_u32_e64 s[10:11], 2, v24
	;; [unrolled: 26-line block ×5, first 2 shown]
	s_and_b64 s[84:85], s[10:11], s[0:1]
	s_waitcnt lgkmcnt(0)
	s_barrier
	s_and_saveexec_b64 s[10:11], s[84:85]
	s_cbranch_execz .LBB35_152
; %bb.151:
	ds_read_b64 v[26:27], v22 offset:6720
	ds_read_b64 v[28:29], v23
	s_waitcnt lgkmcnt(0)
	v_fma_f64 v[11:12], v[26:27], v[28:29], v[11:12]
.LBB35_152:
	s_or_b64 exec, exec, s[10:11]
	v_cmp_eq_u32_e64 s[10:11], 6, v24
	s_and_b64 s[86:87], s[10:11], s[0:1]
	s_barrier
	s_and_saveexec_b64 s[10:11], s[86:87]
	s_cbranch_execz .LBB35_154
; %bb.153:
	v_mov_b32_e32 v26, 0
	ds_read_b64 v[26:27], v26 offset:7280
	s_waitcnt lgkmcnt(0)
	v_mul_f64 v[11:12], v[11:12], v[26:27]
	ds_write_b64 v23, v[11:12]
.LBB35_154:
	s_or_b64 exec, exec, s[10:11]
	v_cmp_eq_u32_e64 s[10:11], 7, v24
	s_and_b64 s[70:71], s[10:11], s[0:1]
	s_waitcnt lgkmcnt(0)
	s_barrier
	s_and_saveexec_b64 s[0:1], s[70:71]
	s_cbranch_execz .LBB35_156
; %bb.155:
	v_mov_b32_e32 v26, 0
	ds_read_b64 v[26:27], v26 offset:7288
	ds_read_b64 v[28:29], v23
	s_waitcnt lgkmcnt(0)
	v_fma_f64 v[11:12], v[26:27], v[28:29], v[11:12]
.LBB35_156:
	s_or_b64 exec, exec, s[0:1]
	s_barrier
	s_and_saveexec_b64 s[0:1], s[70:71]
	s_cbranch_execz .LBB35_158
; %bb.157:
	v_mov_b32_e32 v26, 0
	ds_read_b64 v[26:27], v26 offset:7800
	s_waitcnt lgkmcnt(0)
	v_mul_f64 v[11:12], v[11:12], v[26:27]
	ds_write_b64 v23, v[11:12]
.LBB35_158:
	s_or_b64 exec, exec, s[0:1]
	s_waitcnt lgkmcnt(0)
	s_barrier
	s_barrier
	s_and_saveexec_b64 s[0:1], s[8:9]
; %bb.159:
	v_xor_b32_e32 v12, 0x80000000, v12
	ds_write_b64 v21, v[11:12] offset:64
; %bb.160:
	s_or_b64 exec, exec, s[0:1]
	v_cmp_gt_u32_e64 s[10:11], 8, v0
	s_and_b64 s[88:89], s[12:13], s[10:11]
	s_waitcnt lgkmcnt(0)
	s_barrier
	s_barrier
	s_and_saveexec_b64 s[0:1], s[88:89]
	s_cbranch_execz .LBB35_162
; %bb.161:
	v_lshlrev_b32_e32 v26, 9, v0
	ds_read_b64 v[11:12], v26 offset:64
	s_movk_i32 s10, 0xfe08
	v_mad_i32_i24 v27, v0, s10, v26
	s_waitcnt lgkmcnt(0)
	ds_write_b64 v27, v[11:12] offset:4096
	ds_read_b64 v[11:12], v26 offset:72
	s_waitcnt lgkmcnt(0)
	ds_write_b64 v27, v[11:12] offset:4608
	ds_read_b64 v[11:12], v26 offset:80
	;; [unrolled: 3-line block ×7, first 2 shown]
	s_waitcnt lgkmcnt(0)
	ds_write_b64 v27, v[11:12] offset:7680
.LBB35_162:
	s_or_b64 exec, exec, s[0:1]
	s_waitcnt lgkmcnt(0)
	s_barrier
	s_and_saveexec_b64 s[0:1], vcc
	s_cbranch_execz .LBB35_164
; %bb.163:
	v_mov_b32_e32 v11, 0
	ds_read_b128 v[26:29], v11 offset:4160
	ds_read_b64 v[11:12], v11 offset:4680
	s_movk_i32 s10, 0x1000
	s_waitcnt lgkmcnt(0)
	v_mul_f64 v[11:12], v[26:27], v[11:12]
	v_add_u32_e64 v26, s10, 0
	v_mul_f64 v[11:12], v[28:29], v[11:12]
	ds_write2_b64 v26, v[11:12], v[11:12] offset0:9 offset1:72
.LBB35_164:
	s_or_b64 exec, exec, s[0:1]
	v_mov_b32_e32 v11, 0
	v_mov_b32_e32 v12, 0
	s_waitcnt lgkmcnt(0)
	s_barrier
	s_and_saveexec_b64 s[0:1], s[2:3]
	s_cbranch_execz .LBB35_168
; %bb.165:
	v_mul_u32_u24_e32 v26, 0x208, v15
	ds_read_b64 v[11:12], v1 offset:4176
	ds_read_b64 v[26:27], v26 offset:4160
	v_cmp_gt_u32_e64 s[10:11], 2, v14
	s_waitcnt lgkmcnt(0)
	v_fma_f64 v[11:12], v[11:12], v[26:27], 0
	s_and_saveexec_b64 s[14:15], s[10:11]
	s_cbranch_execz .LBB35_167
; %bb.166:
	v_lshlrev_b32_e32 v26, 3, v0
	v_mov_b32_e32 v28, 0
	ds_read_b64 v[26:27], v26 offset:4688
	ds_read_b64 v[28:29], v28 offset:4168
	s_waitcnt lgkmcnt(0)
	v_fma_f64 v[11:12], v[26:27], v[28:29], v[11:12]
.LBB35_167:
	s_or_b64 exec, exec, s[14:15]
	v_xor_b32_e32 v12, 0x80000000, v12
.LBB35_168:
	s_or_b64 exec, exec, s[0:1]
	s_and_saveexec_b64 s[0:1], s[34:35]
	s_cbranch_execz .LBB35_170
; %bb.169:
	v_mov_b32_e32 v26, 0
	ds_read_b64 v[26:27], v26 offset:5200
	s_waitcnt lgkmcnt(0)
	v_mul_f64 v[11:12], v[11:12], v[26:27]
	ds_write_b64 v13, v[11:12]
.LBB35_170:
	s_or_b64 exec, exec, s[0:1]
	s_waitcnt lgkmcnt(0)
	s_barrier
	s_and_saveexec_b64 s[0:1], s[30:31]
	s_cbranch_execz .LBB35_172
; %bb.171:
	v_mov_b32_e32 v26, 0
	ds_read_b64 v[26:27], v26 offset:5208
	ds_read_b64 v[28:29], v13
	s_waitcnt lgkmcnt(0)
	v_fma_f64 v[11:12], v[26:27], v[28:29], v[11:12]
.LBB35_172:
	s_or_b64 exec, exec, s[0:1]
	s_barrier
	s_and_saveexec_b64 s[0:1], s[30:31]
	s_cbranch_execz .LBB35_174
; %bb.173:
	v_mov_b32_e32 v26, 0
	ds_read_b64 v[26:27], v26 offset:5720
	s_waitcnt lgkmcnt(0)
	v_mul_f64 v[11:12], v[11:12], v[26:27]
	ds_write_b64 v13, v[11:12]
.LBB35_174:
	s_or_b64 exec, exec, s[0:1]
	s_waitcnt lgkmcnt(0)
	s_barrier
	s_barrier
	s_and_saveexec_b64 s[0:1], s[2:3]
; %bb.175:
	v_xor_b32_e32 v12, 0x80000000, v12
	ds_write_b64 v1, v[11:12] offset:4176
; %bb.176:
	s_or_b64 exec, exec, s[0:1]
	s_waitcnt lgkmcnt(0)
	s_barrier
	s_barrier
	s_and_saveexec_b64 s[0:1], s[36:37]
	s_cbranch_execz .LBB35_178
; %bb.177:
	v_lshlrev_b32_e32 v26, 3, v0
	s_movk_i32 s10, 0x1f8
	v_mad_u32_u24 v27, v0, s10, v26
	ds_read_b64 v[11:12], v27 offset:4176
	s_waitcnt lgkmcnt(0)
	ds_write_b64 v26, v[11:12] offset:5184
	ds_read_b64 v[11:12], v27 offset:4184
	s_waitcnt lgkmcnt(0)
	ds_write_b64 v26, v[11:12] offset:5696
.LBB35_178:
	s_or_b64 exec, exec, s[0:1]
	s_waitcnt lgkmcnt(0)
	s_barrier
	s_and_saveexec_b64 s[0:1], vcc
	s_cbranch_execz .LBB35_180
; %bb.179:
	v_mov_b32_e32 v11, 0
	ds_read_b128 v[26:29], v11 offset:5200
	ds_read_b64 v[11:12], v11 offset:5720
	s_movk_i32 s10, 0x1000
	s_waitcnt lgkmcnt(0)
	v_mul_f64 v[11:12], v[26:27], v[11:12]
	v_add_u32_e64 v26, s10, 0
	v_mul_f64 v[11:12], v[28:29], v[11:12]
	ds_write2_b64 v26, v[11:12], v[11:12] offset0:139 offset1:202
.LBB35_180:
	s_or_b64 exec, exec, s[0:1]
	v_mov_b32_e32 v11, 0
	v_mov_b32_e32 v12, 0
	s_waitcnt lgkmcnt(0)
	s_barrier
	s_and_saveexec_b64 s[0:1], s[18:19]
	s_cbranch_execz .LBB35_186
; %bb.181:
	v_mul_u32_u24_e32 v26, 0x208, v20
	ds_read_b64 v[11:12], v16 offset:4192
	ds_read_b64 v[27:28], v26 offset:4160
	v_cmp_gt_u32_e64 s[10:11], 12, v14
	s_waitcnt lgkmcnt(0)
	v_fma_f64 v[11:12], v[11:12], v[27:28], 0
	s_and_saveexec_b64 s[14:15], s[10:11]
	s_cbranch_execnz .LBB35_1105
; %bb.182:
	s_or_b64 exec, exec, s[14:15]
	v_cmp_gt_u32_e64 s[10:11], 8, v14
	s_and_saveexec_b64 s[14:15], s[10:11]
	s_cbranch_execnz .LBB35_1106
.LBB35_183:
	s_or_b64 exec, exec, s[14:15]
	v_cmp_gt_u32_e64 s[10:11], 4, v14
	s_and_saveexec_b64 s[14:15], s[10:11]
	s_cbranch_execz .LBB35_185
.LBB35_184:
	v_lshlrev_b32_e32 v26, 3, v0
	v_mov_b32_e32 v28, 0
	ds_read_b64 v[26:27], v26 offset:5728
	ds_read_b64 v[28:29], v28 offset:4184
	s_waitcnt lgkmcnt(0)
	v_fma_f64 v[11:12], v[26:27], v[28:29], v[11:12]
.LBB35_185:
	s_or_b64 exec, exec, s[14:15]
	v_xor_b32_e32 v12, 0x80000000, v12
.LBB35_186:
	s_or_b64 exec, exec, s[0:1]
	s_and_saveexec_b64 s[0:1], s[42:43]
	s_cbranch_execz .LBB35_188
; %bb.187:
	v_mov_b32_e32 v26, 0
	ds_read_b64 v[26:27], v26 offset:6240
	s_waitcnt lgkmcnt(0)
	v_mul_f64 v[11:12], v[11:12], v[26:27]
	ds_write_b64 v18, v[11:12]
.LBB35_188:
	s_or_b64 exec, exec, s[0:1]
	s_waitcnt lgkmcnt(0)
	s_barrier
	s_and_saveexec_b64 s[0:1], s[44:45]
	s_cbranch_execz .LBB35_190
; %bb.189:
	ds_read_b64 v[26:27], v17 offset:6240
	ds_read_b64 v[28:29], v18
	s_waitcnt lgkmcnt(0)
	v_fma_f64 v[11:12], v[26:27], v[28:29], v[11:12]
.LBB35_190:
	s_or_b64 exec, exec, s[0:1]
	s_barrier
	s_and_saveexec_b64 s[0:1], s[52:53]
	s_cbranch_execz .LBB35_192
; %bb.191:
	v_mov_b32_e32 v26, 0
	ds_read_b64 v[26:27], v26 offset:6760
	s_waitcnt lgkmcnt(0)
	v_mul_f64 v[11:12], v[11:12], v[26:27]
	ds_write_b64 v18, v[11:12]
.LBB35_192:
	s_or_b64 exec, exec, s[0:1]
	s_waitcnt lgkmcnt(0)
	s_barrier
	s_and_saveexec_b64 s[0:1], s[54:55]
	s_cbranch_execz .LBB35_194
; %bb.193:
	ds_read_b64 v[26:27], v17 offset:6752
	ds_read_b64 v[28:29], v18
	s_waitcnt lgkmcnt(0)
	v_fma_f64 v[11:12], v[26:27], v[28:29], v[11:12]
.LBB35_194:
	s_or_b64 exec, exec, s[0:1]
	s_barrier
	s_and_saveexec_b64 s[0:1], s[56:57]
	s_cbranch_execz .LBB35_196
; %bb.195:
	v_mov_b32_e32 v26, 0
	ds_read_b64 v[26:27], v26 offset:7280
	s_waitcnt lgkmcnt(0)
	v_mul_f64 v[11:12], v[11:12], v[26:27]
	ds_write_b64 v18, v[11:12]
.LBB35_196:
	s_or_b64 exec, exec, s[0:1]
	s_waitcnt lgkmcnt(0)
	s_barrier
	s_and_saveexec_b64 s[0:1], s[38:39]
	s_cbranch_execz .LBB35_198
; %bb.197:
	v_mov_b32_e32 v26, 0
	ds_read_b64 v[26:27], v26 offset:7288
	ds_read_b64 v[28:29], v18
	s_waitcnt lgkmcnt(0)
	v_fma_f64 v[11:12], v[26:27], v[28:29], v[11:12]
.LBB35_198:
	s_or_b64 exec, exec, s[0:1]
	s_barrier
	s_and_saveexec_b64 s[0:1], s[38:39]
	s_cbranch_execz .LBB35_200
; %bb.199:
	v_mov_b32_e32 v26, 0
	ds_read_b64 v[26:27], v26 offset:7800
	s_waitcnt lgkmcnt(0)
	v_mul_f64 v[11:12], v[11:12], v[26:27]
	ds_write_b64 v18, v[11:12]
.LBB35_200:
	s_or_b64 exec, exec, s[0:1]
	s_waitcnt lgkmcnt(0)
	s_barrier
	s_barrier
	s_and_saveexec_b64 s[0:1], s[18:19]
; %bb.201:
	v_xor_b32_e32 v12, 0x80000000, v12
	ds_write_b64 v16, v[11:12] offset:4192
; %bb.202:
	s_or_b64 exec, exec, s[0:1]
	s_waitcnt lgkmcnt(0)
	s_barrier
	s_barrier
	s_and_saveexec_b64 s[0:1], s[58:59]
	s_cbranch_execz .LBB35_204
; %bb.203:
	v_lshlrev_b32_e32 v26, 9, v0
	ds_read_b64 v[11:12], v26 offset:4192
	s_movk_i32 s10, 0xfe08
	v_mad_i32_i24 v27, v0, s10, v26
	s_waitcnt lgkmcnt(0)
	ds_write_b64 v27, v[11:12] offset:6208
	ds_read_b64 v[11:12], v26 offset:4200
	s_waitcnt lgkmcnt(0)
	ds_write_b64 v27, v[11:12] offset:6720
	ds_read_b64 v[11:12], v26 offset:4208
	;; [unrolled: 3-line block ×3, first 2 shown]
	s_waitcnt lgkmcnt(0)
	ds_write_b64 v27, v[11:12] offset:7744
.LBB35_204:
	s_or_b64 exec, exec, s[0:1]
	s_waitcnt lgkmcnt(0)
	s_barrier
	s_and_saveexec_b64 s[0:1], vcc
	s_cbranch_execz .LBB35_206
; %bb.205:
	v_mov_b32_e32 v11, 0
	ds_read_b128 v[26:29], v11 offset:6240
	ds_read_b64 v[11:12], v11 offset:6760
	s_movk_i32 s10, 0x1800
	s_waitcnt lgkmcnt(0)
	v_mul_f64 v[11:12], v[26:27], v[11:12]
	v_add_u32_e64 v26, s10, 0
	v_mul_f64 v[11:12], v[28:29], v[11:12]
	ds_write2_b64 v26, v[11:12], v[11:12] offset0:13 offset1:76
.LBB35_206:
	s_or_b64 exec, exec, s[0:1]
	v_mov_b32_e32 v11, 0
	v_mov_b32_e32 v12, 0
	s_waitcnt lgkmcnt(0)
	s_barrier
	s_and_saveexec_b64 s[0:1], s[2:3]
	s_cbranch_execz .LBB35_210
; %bb.207:
	v_mul_u32_u24_e32 v26, 0x208, v15
	ds_read_b64 v[11:12], v1 offset:6256
	ds_read_b64 v[26:27], v26 offset:6240
	v_cmp_gt_u32_e64 s[10:11], 2, v14
	s_waitcnt lgkmcnt(0)
	v_fma_f64 v[11:12], v[11:12], v[26:27], 0
	s_and_saveexec_b64 s[14:15], s[10:11]
	s_cbranch_execz .LBB35_209
; %bb.208:
	v_lshlrev_b32_e32 v26, 3, v0
	v_mov_b32_e32 v28, 0
	ds_read_b64 v[26:27], v26 offset:6768
	ds_read_b64 v[28:29], v28 offset:6248
	s_waitcnt lgkmcnt(0)
	v_fma_f64 v[11:12], v[26:27], v[28:29], v[11:12]
.LBB35_209:
	s_or_b64 exec, exec, s[14:15]
	v_xor_b32_e32 v12, 0x80000000, v12
.LBB35_210:
	s_or_b64 exec, exec, s[0:1]
	s_and_saveexec_b64 s[0:1], s[34:35]
	s_cbranch_execz .LBB35_212
; %bb.211:
	v_mov_b32_e32 v26, 0
	ds_read_b64 v[26:27], v26 offset:7280
	s_waitcnt lgkmcnt(0)
	v_mul_f64 v[11:12], v[11:12], v[26:27]
	ds_write_b64 v13, v[11:12]
.LBB35_212:
	s_or_b64 exec, exec, s[0:1]
	s_waitcnt lgkmcnt(0)
	s_barrier
	s_and_saveexec_b64 s[0:1], s[30:31]
	s_cbranch_execz .LBB35_214
; %bb.213:
	v_mov_b32_e32 v26, 0
	ds_read_b64 v[26:27], v26 offset:7288
	ds_read_b64 v[28:29], v13
	s_waitcnt lgkmcnt(0)
	v_fma_f64 v[11:12], v[26:27], v[28:29], v[11:12]
.LBB35_214:
	s_or_b64 exec, exec, s[0:1]
	s_barrier
	s_and_saveexec_b64 s[0:1], s[30:31]
	s_cbranch_execz .LBB35_216
; %bb.215:
	v_mov_b32_e32 v26, 0
	ds_read_b64 v[26:27], v26 offset:7800
	s_waitcnt lgkmcnt(0)
	v_mul_f64 v[11:12], v[11:12], v[26:27]
	ds_write_b64 v13, v[11:12]
.LBB35_216:
	s_or_b64 exec, exec, s[0:1]
	s_waitcnt lgkmcnt(0)
	s_barrier
	s_barrier
	s_and_saveexec_b64 s[0:1], s[2:3]
; %bb.217:
	v_xor_b32_e32 v12, 0x80000000, v12
	ds_write_b64 v1, v[11:12] offset:6256
; %bb.218:
	s_or_b64 exec, exec, s[0:1]
	s_waitcnt lgkmcnt(0)
	s_barrier
	s_barrier
	s_and_saveexec_b64 s[0:1], s[36:37]
	s_cbranch_execz .LBB35_220
; %bb.219:
	v_lshlrev_b32_e32 v26, 3, v0
	s_movk_i32 s10, 0x1f8
	v_mad_u32_u24 v27, v0, s10, v26
	ds_read_b64 v[11:12], v27 offset:6256
	s_waitcnt lgkmcnt(0)
	ds_write_b64 v26, v[11:12] offset:7264
	ds_read_b64 v[11:12], v27 offset:6264
	s_waitcnt lgkmcnt(0)
	ds_write_b64 v26, v[11:12] offset:7776
.LBB35_220:
	s_or_b64 exec, exec, s[0:1]
	s_waitcnt lgkmcnt(0)
	s_barrier
	s_and_saveexec_b64 s[0:1], vcc
	s_cbranch_execz .LBB35_222
; %bb.221:
	v_mov_b32_e32 v11, 0
	ds_read_b128 v[26:29], v11 offset:7280
	ds_read_b64 v[11:12], v11 offset:7800
	s_movk_i32 s10, 0x1800
	s_waitcnt lgkmcnt(0)
	v_mul_f64 v[11:12], v[26:27], v[11:12]
	v_add_u32_e64 v26, s10, 0
	v_mul_f64 v[11:12], v[28:29], v[11:12]
	ds_write2_b64 v26, v[11:12], v[11:12] offset0:143 offset1:206
.LBB35_222:
	s_or_b64 exec, exec, s[0:1]
	v_lshrrev_b32_e32 v30, 4, v14
	v_and_b32_e32 v27, 15, v0
	s_movk_i32 s0, 0xff
	v_lshlrev_b32_e32 v29, 6, v30
	v_cmp_lt_u32_e64 s[14:15], s0, v14
	s_movk_i32 s0, 0x100
	v_or_b32_e32 v26, v29, v27
	v_mov_b32_e32 v11, 0
	v_cmp_gt_u32_e64 s[10:11], s0, v14
	v_mov_b32_e32 v12, 0
	v_lshlrev_b32_e32 v26, 3, v26
	s_waitcnt lgkmcnt(0)
	s_barrier
	s_and_saveexec_b64 s[0:1], s[10:11]
	s_cbranch_execz .LBB35_250
; %bb.223:
	v_mul_u32_u24_e32 v28, 0x208, v30
	ds_read_b64 v[11:12], v26 offset:128
	ds_read_b64 v[31:32], v28
	s_movk_i32 s16, 0xf0
	v_cmp_gt_u32_e64 s[16:17], s16, v14
	s_waitcnt lgkmcnt(0)
	v_fma_f64 v[11:12], v[11:12], v[31:32], 0
	s_and_saveexec_b64 s[20:21], s[16:17]
	s_cbranch_execz .LBB35_225
; %bb.224:
	v_lshlrev_b32_e32 v31, 3, v30
	v_sub_u32_e32 v31, v28, v31
	v_lshl_add_u32 v31, v27, 3, v31
	ds_read_b64 v[31:32], v31 offset:640
	ds_read_b64 v[33:34], v28 offset:8
	s_waitcnt lgkmcnt(0)
	v_fma_f64 v[11:12], v[31:32], v[33:34], v[11:12]
.LBB35_225:
	s_or_b64 exec, exec, s[20:21]
	s_movk_i32 s16, 0xe0
	v_cmp_gt_u32_e64 s[16:17], s16, v14
	s_and_saveexec_b64 s[20:21], s[16:17]
	s_cbranch_execz .LBB35_227
; %bb.226:
	v_lshlrev_b32_e32 v31, 3, v30
	v_sub_u32_e32 v31, v28, v31
	v_lshl_add_u32 v31, v27, 3, v31
	ds_read_b64 v[31:32], v31 offset:1152
	ds_read_b64 v[33:34], v28 offset:16
	s_waitcnt lgkmcnt(0)
	v_fma_f64 v[11:12], v[31:32], v[33:34], v[11:12]
.LBB35_227:
	s_or_b64 exec, exec, s[20:21]
	s_movk_i32 s16, 0xd0
	v_cmp_gt_u32_e64 s[16:17], s16, v14
	;; [unrolled: 14-line block ×7, first 2 shown]
	s_and_saveexec_b64 s[20:21], s[16:17]
	s_cbranch_execz .LBB35_239
; %bb.238:
	ds_read_b64 v[31:32], v26 offset:4224
	ds_read_b64 v[33:34], v28 offset:64
	s_waitcnt lgkmcnt(0)
	v_fma_f64 v[11:12], v[31:32], v[33:34], v[11:12]
.LBB35_239:
	s_or_b64 exec, exec, s[20:21]
	s_movk_i32 s16, 0x70
	v_cmp_gt_u32_e64 s[16:17], s16, v14
	s_and_saveexec_b64 s[20:21], s[16:17]
	s_cbranch_execz .LBB35_241
; %bb.240:
	v_lshlrev_b32_e32 v31, 3, v30
	v_sub_u32_e32 v31, v28, v31
	v_lshl_add_u32 v31, v27, 3, v31
	ds_read_b64 v[31:32], v31 offset:4736
	ds_read_b64 v[33:34], v28 offset:72
	s_waitcnt lgkmcnt(0)
	v_fma_f64 v[11:12], v[31:32], v[33:34], v[11:12]
.LBB35_241:
	s_or_b64 exec, exec, s[20:21]
	s_movk_i32 s16, 0x60
	v_cmp_gt_u32_e64 s[16:17], s16, v14
	s_and_saveexec_b64 s[20:21], s[16:17]
	s_cbranch_execz .LBB35_243
; %bb.242:
	v_lshlrev_b32_e32 v31, 3, v27
	v_lshl_add_u32 v31, v29, 3, v31
	ds_read_b64 v[31:32], v31 offset:5248
	ds_read_b64 v[33:34], v28 offset:80
	s_waitcnt lgkmcnt(0)
	v_fma_f64 v[11:12], v[31:32], v[33:34], v[11:12]
.LBB35_243:
	s_or_b64 exec, exec, s[20:21]
	s_movk_i32 s16, 0x50
	v_cmp_gt_u32_e64 s[16:17], s16, v14
	s_and_saveexec_b64 s[20:21], s[16:17]
	s_cbranch_execnz .LBB35_1107
; %bb.244:
	s_or_b64 exec, exec, s[20:21]
	v_cmp_gt_u32_e64 s[16:17], 64, v14
	s_and_saveexec_b64 s[20:21], s[16:17]
	s_cbranch_execnz .LBB35_1108
.LBB35_245:
	s_or_b64 exec, exec, s[20:21]
	v_cmp_gt_u32_e64 s[16:17], 48, v14
	s_and_saveexec_b64 s[20:21], s[16:17]
	s_cbranch_execnz .LBB35_1109
.LBB35_246:
	s_or_b64 exec, exec, s[20:21]
	v_cmp_gt_u32_e64 s[16:17], 32, v14
	s_and_saveexec_b64 s[20:21], s[16:17]
	s_cbranch_execnz .LBB35_1110
.LBB35_247:
	s_or_b64 exec, exec, s[20:21]
	v_cmp_gt_u32_e64 s[16:17], 16, v14
	s_and_saveexec_b64 s[20:21], s[16:17]
	s_cbranch_execz .LBB35_249
.LBB35_248:
	v_lshlrev_b32_e32 v28, 3, v0
	v_mov_b32_e32 v33, 0
	ds_read_b64 v[31:32], v28 offset:7808
	ds_read_b64 v[33:34], v33 offset:120
	s_waitcnt lgkmcnt(0)
	v_fma_f64 v[11:12], v[31:32], v[33:34], v[11:12]
.LBB35_249:
	s_or_b64 exec, exec, s[20:21]
	v_xor_b32_e32 v12, 0x80000000, v12
.LBB35_250:
	s_or_b64 exec, exec, s[0:1]
	v_mov_b32_e32 v28, 0x8000
	v_lshl_add_u32 v28, v30, 3, v28
	v_cmp_eq_u32_e64 s[16:17], 0, v27
	s_xor_b64 s[20:21], s[14:15], -1
	s_and_b64 s[14:15], s[16:17], s[20:21]
	s_mov_b64 s[0:1], exec
	v_writelane_b32 v42, s14, 5
	v_writelane_b32 v42, s15, 6
	s_and_b64 s[14:15], s[0:1], s[14:15]
	s_mov_b64 exec, s[14:15]
	s_cbranch_execz .LBB35_252
; %bb.251:
	v_mov_b32_e32 v31, 0
	ds_read_b64 v[31:32], v31 offset:8320
	s_waitcnt lgkmcnt(0)
	v_mul_f64 v[11:12], v[11:12], v[31:32]
	ds_write_b64 v28, v[11:12]
.LBB35_252:
	s_or_b64 exec, exec, s[0:1]
	v_cmp_ne_u32_e64 s[14:15], 0, v27
	s_waitcnt lgkmcnt(0)
	s_barrier
	s_and_b64 s[14:15], s[14:15], s[20:21]
	s_mov_b64 s[0:1], exec
	v_writelane_b32 v42, s14, 7
	v_writelane_b32 v42, s15, 8
	s_and_b64 s[14:15], s[0:1], s[14:15]
	s_mov_b64 exec, s[14:15]
	s_cbranch_execz .LBB35_254
; %bb.253:
	v_lshlrev_b32_e32 v31, 3, v27
	ds_read_b64 v[31:32], v31 offset:8320
	ds_read_b64 v[33:34], v28
	s_waitcnt lgkmcnt(0)
	v_fma_f64 v[11:12], v[31:32], v[33:34], v[11:12]
.LBB35_254:
	s_or_b64 exec, exec, s[0:1]
	v_cmp_eq_u32_e64 s[14:15], 1, v27
	s_barrier
	s_and_b64 s[14:15], s[14:15], s[20:21]
	s_mov_b64 s[0:1], exec
	v_writelane_b32 v42, s14, 9
	v_writelane_b32 v42, s15, 10
	s_and_b64 s[14:15], s[0:1], s[14:15]
	s_mov_b64 exec, s[14:15]
	s_cbranch_execz .LBB35_256
; %bb.255:
	v_mov_b32_e32 v31, 0
	ds_read_b64 v[31:32], v31 offset:8840
	s_waitcnt lgkmcnt(0)
	v_mul_f64 v[11:12], v[11:12], v[31:32]
	ds_write_b64 v28, v[11:12]
.LBB35_256:
	s_or_b64 exec, exec, s[0:1]
	v_cmp_lt_u32_e64 s[14:15], 1, v27
	s_waitcnt lgkmcnt(0)
	s_barrier
	s_and_b64 s[14:15], s[14:15], s[20:21]
	s_mov_b64 s[0:1], exec
	v_writelane_b32 v42, s14, 11
	v_writelane_b32 v42, s15, 12
	s_and_b64 s[14:15], s[0:1], s[14:15]
	s_mov_b64 exec, s[14:15]
	s_cbranch_execz .LBB35_258
; %bb.257:
	v_lshlrev_b32_e32 v31, 3, v27
	ds_read_b64 v[31:32], v31 offset:8832
	ds_read_b64 v[33:34], v28
	s_waitcnt lgkmcnt(0)
	v_fma_f64 v[11:12], v[31:32], v[33:34], v[11:12]
.LBB35_258:
	s_or_b64 exec, exec, s[0:1]
	v_cmp_eq_u32_e64 s[14:15], 2, v27
	s_barrier
	s_and_b64 s[14:15], s[14:15], s[20:21]
	s_mov_b64 s[0:1], exec
	v_writelane_b32 v42, s14, 13
	v_writelane_b32 v42, s15, 14
	s_and_b64 s[14:15], s[0:1], s[14:15]
	s_mov_b64 exec, s[14:15]
	s_cbranch_execz .LBB35_260
; %bb.259:
	v_mov_b32_e32 v31, 0
	ds_read_b64 v[31:32], v31 offset:9360
	s_waitcnt lgkmcnt(0)
	v_mul_f64 v[11:12], v[11:12], v[31:32]
	ds_write_b64 v28, v[11:12]
.LBB35_260:
	s_or_b64 exec, exec, s[0:1]
	v_cmp_lt_u32_e64 s[14:15], 2, v27
	s_waitcnt lgkmcnt(0)
	s_barrier
	s_and_b64 s[14:15], s[14:15], s[20:21]
	s_mov_b64 s[0:1], exec
	v_writelane_b32 v42, s14, 15
	v_writelane_b32 v42, s15, 16
	s_and_b64 s[14:15], s[0:1], s[14:15]
	s_mov_b64 exec, s[14:15]
	s_cbranch_execz .LBB35_262
; %bb.261:
	v_lshlrev_b32_e32 v31, 3, v27
	ds_read_b64 v[31:32], v31 offset:9344
	ds_read_b64 v[33:34], v28
	s_waitcnt lgkmcnt(0)
	v_fma_f64 v[11:12], v[31:32], v[33:34], v[11:12]
.LBB35_262:
	s_or_b64 exec, exec, s[0:1]
	v_cmp_eq_u32_e64 s[14:15], 3, v27
	s_barrier
	s_and_b64 s[14:15], s[14:15], s[20:21]
	s_mov_b64 s[0:1], exec
	v_writelane_b32 v42, s14, 17
	v_writelane_b32 v42, s15, 18
	s_and_b64 s[14:15], s[0:1], s[14:15]
	s_mov_b64 exec, s[14:15]
	s_cbranch_execz .LBB35_264
; %bb.263:
	v_mov_b32_e32 v31, 0
	ds_read_b64 v[31:32], v31 offset:9880
	s_waitcnt lgkmcnt(0)
	v_mul_f64 v[11:12], v[11:12], v[31:32]
	ds_write_b64 v28, v[11:12]
.LBB35_264:
	s_or_b64 exec, exec, s[0:1]
	v_cmp_lt_u32_e64 s[14:15], 3, v27
	s_waitcnt lgkmcnt(0)
	s_barrier
	s_and_b64 s[14:15], s[14:15], s[20:21]
	s_mov_b64 s[0:1], exec
	v_writelane_b32 v42, s14, 19
	v_writelane_b32 v42, s15, 20
	s_and_b64 s[14:15], s[0:1], s[14:15]
	s_mov_b64 exec, s[14:15]
	s_cbranch_execz .LBB35_266
; %bb.265:
	v_lshlrev_b32_e32 v31, 3, v27
	ds_read_b64 v[31:32], v31 offset:9856
	ds_read_b64 v[33:34], v28
	s_waitcnt lgkmcnt(0)
	v_fma_f64 v[11:12], v[31:32], v[33:34], v[11:12]
.LBB35_266:
	s_or_b64 exec, exec, s[0:1]
	v_cmp_eq_u32_e64 s[14:15], 4, v27
	s_barrier
	s_and_b64 s[14:15], s[14:15], s[20:21]
	s_mov_b64 s[0:1], exec
	v_writelane_b32 v42, s14, 21
	v_writelane_b32 v42, s15, 22
	s_and_b64 s[14:15], s[0:1], s[14:15]
	s_mov_b64 exec, s[14:15]
	s_cbranch_execz .LBB35_268
; %bb.267:
	v_mov_b32_e32 v31, 0
	ds_read_b64 v[31:32], v31 offset:10400
	s_waitcnt lgkmcnt(0)
	v_mul_f64 v[11:12], v[11:12], v[31:32]
	ds_write_b64 v28, v[11:12]
.LBB35_268:
	s_or_b64 exec, exec, s[0:1]
	v_cmp_lt_u32_e64 s[14:15], 4, v27
	s_waitcnt lgkmcnt(0)
	s_barrier
	s_and_b64 s[14:15], s[14:15], s[20:21]
	s_mov_b64 s[0:1], exec
	v_writelane_b32 v42, s14, 23
	v_writelane_b32 v42, s15, 24
	s_and_b64 s[14:15], s[0:1], s[14:15]
	s_mov_b64 exec, s[14:15]
	s_cbranch_execz .LBB35_270
; %bb.269:
	v_lshlrev_b32_e32 v31, 3, v27
	ds_read_b64 v[31:32], v31 offset:10368
	ds_read_b64 v[33:34], v28
	s_waitcnt lgkmcnt(0)
	v_fma_f64 v[11:12], v[31:32], v[33:34], v[11:12]
.LBB35_270:
	s_or_b64 exec, exec, s[0:1]
	v_cmp_eq_u32_e64 s[14:15], 5, v27
	s_barrier
	s_and_b64 s[14:15], s[14:15], s[20:21]
	s_mov_b64 s[0:1], exec
	v_writelane_b32 v42, s14, 25
	v_writelane_b32 v42, s15, 26
	s_and_b64 s[14:15], s[0:1], s[14:15]
	s_mov_b64 exec, s[14:15]
	s_cbranch_execz .LBB35_272
; %bb.271:
	v_mov_b32_e32 v31, 0
	ds_read_b64 v[31:32], v31 offset:10920
	s_waitcnt lgkmcnt(0)
	v_mul_f64 v[11:12], v[11:12], v[31:32]
	ds_write_b64 v28, v[11:12]
.LBB35_272:
	s_or_b64 exec, exec, s[0:1]
	v_cmp_lt_u32_e64 s[14:15], 5, v27
	s_waitcnt lgkmcnt(0)
	s_barrier
	s_and_b64 s[14:15], s[14:15], s[20:21]
	s_mov_b64 s[0:1], exec
	v_writelane_b32 v42, s14, 27
	v_writelane_b32 v42, s15, 28
	s_and_b64 s[14:15], s[0:1], s[14:15]
	s_mov_b64 exec, s[14:15]
	s_cbranch_execz .LBB35_274
; %bb.273:
	v_lshlrev_b32_e32 v31, 3, v27
	ds_read_b64 v[31:32], v31 offset:10880
	ds_read_b64 v[33:34], v28
	s_waitcnt lgkmcnt(0)
	v_fma_f64 v[11:12], v[31:32], v[33:34], v[11:12]
.LBB35_274:
	s_or_b64 exec, exec, s[0:1]
	v_cmp_eq_u32_e64 s[14:15], 6, v27
	s_barrier
	s_and_b64 s[14:15], s[14:15], s[20:21]
	s_mov_b64 s[0:1], exec
	v_writelane_b32 v42, s14, 29
	v_writelane_b32 v42, s15, 30
	s_and_b64 s[14:15], s[0:1], s[14:15]
	s_mov_b64 exec, s[14:15]
	s_cbranch_execz .LBB35_276
; %bb.275:
	v_mov_b32_e32 v31, 0
	ds_read_b64 v[31:32], v31 offset:11440
	s_waitcnt lgkmcnt(0)
	v_mul_f64 v[11:12], v[11:12], v[31:32]
	ds_write_b64 v28, v[11:12]
.LBB35_276:
	s_or_b64 exec, exec, s[0:1]
	v_cmp_lt_u32_e64 s[14:15], 6, v27
	s_waitcnt lgkmcnt(0)
	s_barrier
	s_and_b64 s[14:15], s[14:15], s[20:21]
	s_mov_b64 s[0:1], exec
	v_writelane_b32 v42, s14, 31
	v_writelane_b32 v42, s15, 32
	s_and_b64 s[14:15], s[0:1], s[14:15]
	s_mov_b64 exec, s[14:15]
	s_cbranch_execz .LBB35_278
; %bb.277:
	v_lshlrev_b32_e32 v31, 3, v27
	ds_read_b64 v[31:32], v31 offset:11392
	ds_read_b64 v[33:34], v28
	s_waitcnt lgkmcnt(0)
	v_fma_f64 v[11:12], v[31:32], v[33:34], v[11:12]
.LBB35_278:
	s_or_b64 exec, exec, s[0:1]
	v_cmp_eq_u32_e64 s[14:15], 7, v27
	s_barrier
	s_and_b64 s[14:15], s[14:15], s[20:21]
	s_mov_b64 s[0:1], exec
	v_writelane_b32 v42, s14, 33
	v_writelane_b32 v42, s15, 34
	s_and_b64 s[14:15], s[0:1], s[14:15]
	s_mov_b64 exec, s[14:15]
	s_cbranch_execz .LBB35_280
; %bb.279:
	v_mov_b32_e32 v31, 0
	ds_read_b64 v[31:32], v31 offset:11960
	s_waitcnt lgkmcnt(0)
	v_mul_f64 v[11:12], v[11:12], v[31:32]
	ds_write_b64 v28, v[11:12]
.LBB35_280:
	s_or_b64 exec, exec, s[0:1]
	v_cmp_lt_u32_e64 s[14:15], 7, v27
	s_waitcnt lgkmcnt(0)
	s_barrier
	s_and_b64 s[14:15], s[14:15], s[20:21]
	s_mov_b64 s[0:1], exec
	v_writelane_b32 v42, s14, 35
	v_writelane_b32 v42, s15, 36
	s_and_b64 s[14:15], s[0:1], s[14:15]
	s_mov_b64 exec, s[14:15]
	s_cbranch_execz .LBB35_282
; %bb.281:
	v_lshlrev_b32_e32 v31, 3, v27
	ds_read_b64 v[31:32], v31 offset:11904
	ds_read_b64 v[33:34], v28
	s_waitcnt lgkmcnt(0)
	v_fma_f64 v[11:12], v[31:32], v[33:34], v[11:12]
.LBB35_282:
	s_or_b64 exec, exec, s[0:1]
	v_cmp_eq_u32_e64 s[14:15], 8, v27
	s_barrier
	s_and_b64 s[14:15], s[14:15], s[20:21]
	s_mov_b64 s[0:1], exec
	v_writelane_b32 v42, s14, 37
	v_writelane_b32 v42, s15, 38
	s_and_b64 s[14:15], s[0:1], s[14:15]
	s_mov_b64 exec, s[14:15]
	s_cbranch_execz .LBB35_284
; %bb.283:
	v_mov_b32_e32 v31, 0
	ds_read_b64 v[31:32], v31 offset:12480
	s_waitcnt lgkmcnt(0)
	v_mul_f64 v[11:12], v[11:12], v[31:32]
	ds_write_b64 v28, v[11:12]
.LBB35_284:
	s_or_b64 exec, exec, s[0:1]
	v_cmp_lt_u32_e64 s[14:15], 8, v27
	s_waitcnt lgkmcnt(0)
	s_barrier
	s_and_b64 s[14:15], s[14:15], s[20:21]
	s_mov_b64 s[0:1], exec
	v_writelane_b32 v42, s14, 39
	v_writelane_b32 v42, s15, 40
	s_and_b64 s[14:15], s[0:1], s[14:15]
	s_mov_b64 exec, s[14:15]
	s_cbranch_execz .LBB35_286
; %bb.285:
	v_lshlrev_b32_e32 v31, 3, v27
	ds_read_b64 v[31:32], v31 offset:12416
	ds_read_b64 v[33:34], v28
	s_waitcnt lgkmcnt(0)
	v_fma_f64 v[11:12], v[31:32], v[33:34], v[11:12]
.LBB35_286:
	s_or_b64 exec, exec, s[0:1]
	v_cmp_eq_u32_e64 s[14:15], 9, v27
	s_barrier
	s_and_b64 s[14:15], s[14:15], s[20:21]
	s_mov_b64 s[0:1], exec
	v_writelane_b32 v42, s14, 41
	v_writelane_b32 v42, s15, 42
	s_and_b64 s[14:15], s[0:1], s[14:15]
	s_mov_b64 exec, s[14:15]
	s_cbranch_execz .LBB35_288
; %bb.287:
	v_mov_b32_e32 v31, 0
	ds_read_b64 v[31:32], v31 offset:13000
	s_waitcnt lgkmcnt(0)
	v_mul_f64 v[11:12], v[11:12], v[31:32]
	ds_write_b64 v28, v[11:12]
.LBB35_288:
	s_or_b64 exec, exec, s[0:1]
	v_cmp_lt_u32_e64 s[14:15], 9, v27
	s_waitcnt lgkmcnt(0)
	s_barrier
	s_and_b64 s[14:15], s[14:15], s[20:21]
	s_mov_b64 s[0:1], exec
	v_writelane_b32 v42, s14, 43
	v_writelane_b32 v42, s15, 44
	s_and_b64 s[14:15], s[0:1], s[14:15]
	s_mov_b64 exec, s[14:15]
	s_cbranch_execz .LBB35_290
; %bb.289:
	v_lshlrev_b32_e32 v31, 3, v27
	ds_read_b64 v[31:32], v31 offset:12928
	ds_read_b64 v[33:34], v28
	s_waitcnt lgkmcnt(0)
	v_fma_f64 v[11:12], v[31:32], v[33:34], v[11:12]
.LBB35_290:
	s_or_b64 exec, exec, s[0:1]
	v_cmp_eq_u32_e64 s[14:15], 10, v27
	s_barrier
	s_and_b64 s[14:15], s[14:15], s[20:21]
	s_mov_b64 s[0:1], exec
	v_writelane_b32 v42, s14, 45
	v_writelane_b32 v42, s15, 46
	s_and_b64 s[14:15], s[0:1], s[14:15]
	s_mov_b64 exec, s[14:15]
	s_cbranch_execz .LBB35_292
; %bb.291:
	v_mov_b32_e32 v31, 0
	ds_read_b64 v[31:32], v31 offset:13520
	s_waitcnt lgkmcnt(0)
	v_mul_f64 v[11:12], v[11:12], v[31:32]
	ds_write_b64 v28, v[11:12]
.LBB35_292:
	s_or_b64 exec, exec, s[0:1]
	v_cmp_lt_u32_e64 s[14:15], 10, v27
	s_waitcnt lgkmcnt(0)
	s_barrier
	s_and_b64 s[14:15], s[14:15], s[20:21]
	s_mov_b64 s[0:1], exec
	v_writelane_b32 v42, s14, 47
	v_writelane_b32 v42, s15, 48
	s_and_b64 s[14:15], s[0:1], s[14:15]
	s_mov_b64 exec, s[14:15]
	s_cbranch_execz .LBB35_294
; %bb.293:
	v_lshlrev_b32_e32 v31, 3, v27
	ds_read_b64 v[31:32], v31 offset:13440
	ds_read_b64 v[33:34], v28
	s_waitcnt lgkmcnt(0)
	v_fma_f64 v[11:12], v[31:32], v[33:34], v[11:12]
.LBB35_294:
	s_or_b64 exec, exec, s[0:1]
	v_cmp_eq_u32_e64 s[14:15], 11, v27
	s_barrier
	s_and_b64 s[14:15], s[14:15], s[20:21]
	s_mov_b64 s[0:1], exec
	v_writelane_b32 v42, s14, 49
	v_writelane_b32 v42, s15, 50
	s_and_b64 s[14:15], s[0:1], s[14:15]
	s_mov_b64 exec, s[14:15]
	s_cbranch_execz .LBB35_296
; %bb.295:
	v_mov_b32_e32 v31, 0
	ds_read_b64 v[31:32], v31 offset:14040
	s_waitcnt lgkmcnt(0)
	v_mul_f64 v[11:12], v[11:12], v[31:32]
	ds_write_b64 v28, v[11:12]
.LBB35_296:
	s_or_b64 exec, exec, s[0:1]
	v_cmp_lt_u32_e64 s[14:15], 11, v27
	s_waitcnt lgkmcnt(0)
	s_barrier
	s_and_b64 s[14:15], s[14:15], s[20:21]
	s_mov_b64 s[0:1], exec
	v_writelane_b32 v42, s14, 51
	v_writelane_b32 v42, s15, 52
	s_and_b64 s[14:15], s[0:1], s[14:15]
	s_mov_b64 exec, s[14:15]
	s_cbranch_execz .LBB35_298
; %bb.297:
	v_lshlrev_b32_e32 v31, 3, v27
	ds_read_b64 v[31:32], v31 offset:13952
	ds_read_b64 v[33:34], v28
	s_waitcnt lgkmcnt(0)
	v_fma_f64 v[11:12], v[31:32], v[33:34], v[11:12]
.LBB35_298:
	s_or_b64 exec, exec, s[0:1]
	v_cmp_eq_u32_e64 s[14:15], 12, v27
	s_barrier
	s_and_b64 s[14:15], s[14:15], s[20:21]
	s_mov_b64 s[0:1], exec
	v_writelane_b32 v42, s14, 53
	v_writelane_b32 v42, s15, 54
	s_and_b64 s[14:15], s[0:1], s[14:15]
	s_mov_b64 exec, s[14:15]
	s_cbranch_execz .LBB35_300
; %bb.299:
	v_mov_b32_e32 v31, 0
	ds_read_b64 v[31:32], v31 offset:14560
	s_waitcnt lgkmcnt(0)
	v_mul_f64 v[11:12], v[11:12], v[31:32]
	ds_write_b64 v28, v[11:12]
.LBB35_300:
	s_or_b64 exec, exec, s[0:1]
	v_cmp_lt_u32_e64 s[14:15], 12, v27
	s_waitcnt lgkmcnt(0)
	s_barrier
	s_and_b64 s[14:15], s[14:15], s[20:21]
	s_mov_b64 s[0:1], exec
	v_writelane_b32 v42, s14, 55
	v_writelane_b32 v42, s15, 56
	s_and_b64 s[14:15], s[0:1], s[14:15]
	s_mov_b64 exec, s[14:15]
	s_cbranch_execz .LBB35_302
; %bb.301:
	v_lshlrev_b32_e32 v31, 3, v27
	ds_read_b64 v[31:32], v31 offset:14464
	ds_read_b64 v[33:34], v28
	s_waitcnt lgkmcnt(0)
	v_fma_f64 v[11:12], v[31:32], v[33:34], v[11:12]
.LBB35_302:
	s_or_b64 exec, exec, s[0:1]
	v_cmp_eq_u32_e64 s[14:15], 13, v27
	s_barrier
	s_and_b64 s[14:15], s[14:15], s[20:21]
	s_mov_b64 s[0:1], exec
	v_writelane_b32 v42, s14, 57
	v_writelane_b32 v42, s15, 58
	s_and_b64 s[14:15], s[0:1], s[14:15]
	s_mov_b64 exec, s[14:15]
	s_cbranch_execz .LBB35_304
; %bb.303:
	v_mov_b32_e32 v31, 0
	ds_read_b64 v[31:32], v31 offset:15080
	s_waitcnt lgkmcnt(0)
	v_mul_f64 v[11:12], v[11:12], v[31:32]
	ds_write_b64 v28, v[11:12]
.LBB35_304:
	s_or_b64 exec, exec, s[0:1]
	v_cmp_lt_u32_e64 s[14:15], 13, v27
	s_waitcnt lgkmcnt(0)
	s_barrier
	s_and_b64 s[14:15], s[14:15], s[20:21]
	s_mov_b64 s[0:1], exec
	v_writelane_b32 v42, s14, 59
	v_writelane_b32 v42, s15, 60
	s_and_b64 s[14:15], s[0:1], s[14:15]
	s_mov_b64 exec, s[14:15]
	s_cbranch_execz .LBB35_306
; %bb.305:
	v_lshlrev_b32_e32 v31, 3, v27
	ds_read_b64 v[31:32], v31 offset:14976
	ds_read_b64 v[33:34], v28
	s_waitcnt lgkmcnt(0)
	v_fma_f64 v[11:12], v[31:32], v[33:34], v[11:12]
.LBB35_306:
	s_or_b64 exec, exec, s[0:1]
	v_cmp_eq_u32_e64 s[14:15], 14, v27
	s_barrier
	s_and_b64 s[14:15], s[14:15], s[20:21]
	s_mov_b64 s[0:1], exec
	v_writelane_b32 v42, s14, 61
	v_writelane_b32 v42, s15, 62
	s_and_b64 s[14:15], s[0:1], s[14:15]
	s_mov_b64 exec, s[14:15]
	s_cbranch_execz .LBB35_308
; %bb.307:
	v_mov_b32_e32 v31, 0
	ds_read_b64 v[31:32], v31 offset:15600
	s_waitcnt lgkmcnt(0)
	v_mul_f64 v[11:12], v[11:12], v[31:32]
	ds_write_b64 v28, v[11:12]
.LBB35_308:
	s_or_b64 exec, exec, s[0:1]
	v_cmp_eq_u32_e64 s[14:15], 15, v27
	s_and_b64 s[92:93], s[14:15], s[20:21]
	s_waitcnt lgkmcnt(0)
	s_barrier
	s_and_saveexec_b64 s[0:1], s[92:93]
	s_cbranch_execz .LBB35_310
; %bb.309:
	v_mov_b32_e32 v31, 0
	ds_read_b64 v[31:32], v31 offset:15608
	ds_read_b64 v[33:34], v28
	s_waitcnt lgkmcnt(0)
	v_fma_f64 v[11:12], v[31:32], v[33:34], v[11:12]
.LBB35_310:
	s_or_b64 exec, exec, s[0:1]
	s_barrier
	s_and_saveexec_b64 s[0:1], s[92:93]
	s_cbranch_execz .LBB35_312
; %bb.311:
	v_mov_b32_e32 v31, 0
	ds_read_b64 v[31:32], v31 offset:16120
	s_waitcnt lgkmcnt(0)
	v_mul_f64 v[11:12], v[11:12], v[31:32]
	ds_write_b64 v28, v[11:12]
.LBB35_312:
	s_or_b64 exec, exec, s[0:1]
	s_waitcnt lgkmcnt(0)
	s_barrier
	s_barrier
	s_and_saveexec_b64 s[0:1], s[10:11]
; %bb.313:
	v_xor_b32_e32 v12, 0x80000000, v12
	ds_write_b64 v26, v[11:12] offset:128
; %bb.314:
	s_or_b64 exec, exec, s[0:1]
	v_cmp_gt_u32_e64 s[14:15], 16, v0
	s_waitcnt lgkmcnt(0)
	s_barrier
	s_barrier
	s_and_b64 s[0:1], s[12:13], s[14:15]
	s_mov_b64 s[14:15], exec
                                        ; implicit-def: $vgpr41 : SGPR spill to VGPR lane
	v_writelane_b32 v42, s0, 63
	v_writelane_b32 v41, s1, 0
	s_and_b64 s[0:1], s[14:15], s[0:1]
	s_mov_b64 exec, s[0:1]
	s_cbranch_execz .LBB35_316
; %bb.315:
	v_lshlrev_b32_e32 v31, 9, v0
	ds_read_b64 v[11:12], v31 offset:128
	s_movk_i32 s0, 0xfe08
	v_mad_i32_i24 v32, v0, s0, v31
	s_waitcnt lgkmcnt(0)
	ds_write_b64 v32, v[11:12] offset:8192
	ds_read_b64 v[11:12], v31 offset:136
	s_waitcnt lgkmcnt(0)
	ds_write_b64 v32, v[11:12] offset:8704
	ds_read_b64 v[11:12], v31 offset:144
	;; [unrolled: 3-line block ×15, first 2 shown]
	s_waitcnt lgkmcnt(0)
	ds_write_b64 v32, v[11:12] offset:15872
.LBB35_316:
	s_or_b64 exec, exec, s[14:15]
	s_waitcnt lgkmcnt(0)
	s_barrier
	s_and_saveexec_b64 s[14:15], vcc
	s_cbranch_execz .LBB35_318
; %bb.317:
	v_mov_b32_e32 v11, 0
	ds_read_b128 v[31:34], v11 offset:8320
	ds_read_b64 v[11:12], v11 offset:8840
	s_movk_i32 s0, 0x2000
	s_waitcnt lgkmcnt(0)
	v_mul_f64 v[11:12], v[31:32], v[11:12]
	v_add_u32_e64 v31, s0, 0
	v_mul_f64 v[11:12], v[33:34], v[11:12]
	ds_write2_b64 v31, v[11:12], v[11:12] offset0:17 offset1:80
.LBB35_318:
	s_or_b64 exec, exec, s[14:15]
	v_mov_b32_e32 v11, 0
	v_mov_b32_e32 v12, 0
	s_waitcnt lgkmcnt(0)
	s_barrier
	s_and_saveexec_b64 s[16:17], s[2:3]
	s_cbranch_execz .LBB35_322
; %bb.319:
	v_mul_u32_u24_e32 v31, 0x208, v15
	ds_read_b64 v[11:12], v1 offset:8336
	ds_read_b64 v[31:32], v31 offset:8320
	v_cmp_gt_u32_e64 s[14:15], 2, v14
	s_waitcnt lgkmcnt(0)
	v_fma_f64 v[11:12], v[11:12], v[31:32], 0
	s_and_saveexec_b64 s[20:21], s[14:15]
	s_cbranch_execz .LBB35_321
; %bb.320:
	v_lshlrev_b32_e32 v31, 3, v0
	v_mov_b32_e32 v33, 0
	ds_read_b64 v[31:32], v31 offset:8848
	ds_read_b64 v[33:34], v33 offset:8328
	s_waitcnt lgkmcnt(0)
	v_fma_f64 v[11:12], v[31:32], v[33:34], v[11:12]
.LBB35_321:
	s_or_b64 exec, exec, s[20:21]
	v_xor_b32_e32 v12, 0x80000000, v12
.LBB35_322:
	s_or_b64 exec, exec, s[16:17]
	s_and_saveexec_b64 s[0:1], s[34:35]
	s_cbranch_execz .LBB35_324
; %bb.323:
	v_mov_b32_e32 v31, 0
	ds_read_b64 v[31:32], v31 offset:9360
	s_waitcnt lgkmcnt(0)
	v_mul_f64 v[11:12], v[11:12], v[31:32]
	ds_write_b64 v13, v[11:12]
.LBB35_324:
	s_or_b64 exec, exec, s[0:1]
	s_waitcnt lgkmcnt(0)
	s_barrier
	s_and_saveexec_b64 s[0:1], s[30:31]
	s_cbranch_execz .LBB35_326
; %bb.325:
	v_mov_b32_e32 v31, 0
	ds_read_b64 v[31:32], v31 offset:9368
	ds_read_b64 v[33:34], v13
	s_waitcnt lgkmcnt(0)
	v_fma_f64 v[11:12], v[31:32], v[33:34], v[11:12]
.LBB35_326:
	s_or_b64 exec, exec, s[0:1]
	s_barrier
	s_and_saveexec_b64 s[0:1], s[30:31]
	s_cbranch_execz .LBB35_328
; %bb.327:
	v_mov_b32_e32 v31, 0
	ds_read_b64 v[31:32], v31 offset:9880
	s_waitcnt lgkmcnt(0)
	v_mul_f64 v[11:12], v[11:12], v[31:32]
	ds_write_b64 v13, v[11:12]
.LBB35_328:
	s_or_b64 exec, exec, s[0:1]
	s_waitcnt lgkmcnt(0)
	s_barrier
	s_barrier
	s_and_saveexec_b64 s[0:1], s[2:3]
; %bb.329:
	v_xor_b32_e32 v12, 0x80000000, v12
	ds_write_b64 v1, v[11:12] offset:8336
; %bb.330:
	s_or_b64 exec, exec, s[0:1]
	s_waitcnt lgkmcnt(0)
	s_barrier
	s_barrier
	s_and_saveexec_b64 s[14:15], s[36:37]
	s_cbranch_execz .LBB35_332
; %bb.331:
	v_lshlrev_b32_e32 v31, 3, v0
	s_movk_i32 s0, 0x1f8
	v_mad_u32_u24 v32, v0, s0, v31
	ds_read_b64 v[11:12], v32 offset:8336
	s_waitcnt lgkmcnt(0)
	ds_write_b64 v31, v[11:12] offset:9344
	ds_read_b64 v[11:12], v32 offset:8344
	s_waitcnt lgkmcnt(0)
	ds_write_b64 v31, v[11:12] offset:9856
.LBB35_332:
	s_or_b64 exec, exec, s[14:15]
	s_waitcnt lgkmcnt(0)
	s_barrier
	s_and_saveexec_b64 s[14:15], vcc
	s_cbranch_execz .LBB35_334
; %bb.333:
	v_mov_b32_e32 v11, 0
	ds_read_b128 v[31:34], v11 offset:9360
	ds_read_b64 v[11:12], v11 offset:9880
	s_movk_i32 s0, 0x2000
	s_waitcnt lgkmcnt(0)
	v_mul_f64 v[11:12], v[31:32], v[11:12]
	v_add_u32_e64 v31, s0, 0
	v_mul_f64 v[11:12], v[33:34], v[11:12]
	ds_write2_b64 v31, v[11:12], v[11:12] offset0:147 offset1:210
.LBB35_334:
	s_or_b64 exec, exec, s[14:15]
	v_mov_b32_e32 v11, 0
	v_mov_b32_e32 v12, 0
	s_waitcnt lgkmcnt(0)
	s_barrier
	s_and_saveexec_b64 s[16:17], s[18:19]
	s_cbranch_execz .LBB35_340
; %bb.335:
	v_mul_u32_u24_e32 v31, 0x208, v20
	ds_read_b64 v[11:12], v16 offset:8352
	ds_read_b64 v[32:33], v31 offset:8320
	v_cmp_gt_u32_e64 s[14:15], 12, v14
	s_waitcnt lgkmcnt(0)
	v_fma_f64 v[11:12], v[11:12], v[32:33], 0
	s_and_saveexec_b64 s[20:21], s[14:15]
	s_cbranch_execnz .LBB35_1111
; %bb.336:
	s_or_b64 exec, exec, s[20:21]
	v_cmp_gt_u32_e64 s[14:15], 8, v14
	s_and_saveexec_b64 s[0:1], s[14:15]
	s_cbranch_execnz .LBB35_1112
.LBB35_337:
	s_or_b64 exec, exec, s[0:1]
	v_cmp_gt_u32_e64 s[14:15], 4, v14
	s_and_saveexec_b64 s[20:21], s[14:15]
	s_cbranch_execz .LBB35_339
.LBB35_338:
	v_lshlrev_b32_e32 v31, 3, v0
	v_mov_b32_e32 v33, 0
	ds_read_b64 v[31:32], v31 offset:9888
	ds_read_b64 v[33:34], v33 offset:8344
	s_waitcnt lgkmcnt(0)
	v_fma_f64 v[11:12], v[31:32], v[33:34], v[11:12]
.LBB35_339:
	s_or_b64 exec, exec, s[20:21]
	v_xor_b32_e32 v12, 0x80000000, v12
.LBB35_340:
	s_or_b64 exec, exec, s[16:17]
	s_and_saveexec_b64 s[0:1], s[42:43]
	s_cbranch_execz .LBB35_342
; %bb.341:
	v_mov_b32_e32 v31, 0
	ds_read_b64 v[31:32], v31 offset:10400
	s_waitcnt lgkmcnt(0)
	v_mul_f64 v[11:12], v[11:12], v[31:32]
	ds_write_b64 v18, v[11:12]
.LBB35_342:
	s_or_b64 exec, exec, s[0:1]
	s_waitcnt lgkmcnt(0)
	s_barrier
	s_and_saveexec_b64 s[0:1], s[44:45]
	s_cbranch_execz .LBB35_344
; %bb.343:
	ds_read_b64 v[31:32], v17 offset:10400
	ds_read_b64 v[33:34], v18
	s_waitcnt lgkmcnt(0)
	v_fma_f64 v[11:12], v[31:32], v[33:34], v[11:12]
.LBB35_344:
	s_or_b64 exec, exec, s[0:1]
	s_barrier
	s_and_saveexec_b64 s[0:1], s[52:53]
	s_cbranch_execz .LBB35_346
; %bb.345:
	v_mov_b32_e32 v31, 0
	ds_read_b64 v[31:32], v31 offset:10920
	s_waitcnt lgkmcnt(0)
	v_mul_f64 v[11:12], v[11:12], v[31:32]
	ds_write_b64 v18, v[11:12]
.LBB35_346:
	s_or_b64 exec, exec, s[0:1]
	s_waitcnt lgkmcnt(0)
	s_barrier
	s_and_saveexec_b64 s[0:1], s[54:55]
	s_cbranch_execz .LBB35_348
; %bb.347:
	ds_read_b64 v[31:32], v17 offset:10912
	ds_read_b64 v[33:34], v18
	s_waitcnt lgkmcnt(0)
	v_fma_f64 v[11:12], v[31:32], v[33:34], v[11:12]
.LBB35_348:
	s_or_b64 exec, exec, s[0:1]
	s_barrier
	s_and_saveexec_b64 s[0:1], s[56:57]
	s_cbranch_execz .LBB35_350
; %bb.349:
	v_mov_b32_e32 v31, 0
	ds_read_b64 v[31:32], v31 offset:11440
	s_waitcnt lgkmcnt(0)
	v_mul_f64 v[11:12], v[11:12], v[31:32]
	ds_write_b64 v18, v[11:12]
.LBB35_350:
	s_or_b64 exec, exec, s[0:1]
	s_waitcnt lgkmcnt(0)
	s_barrier
	s_and_saveexec_b64 s[0:1], s[38:39]
	s_cbranch_execz .LBB35_352
; %bb.351:
	v_mov_b32_e32 v31, 0
	ds_read_b64 v[31:32], v31 offset:11448
	ds_read_b64 v[33:34], v18
	s_waitcnt lgkmcnt(0)
	v_fma_f64 v[11:12], v[31:32], v[33:34], v[11:12]
.LBB35_352:
	s_or_b64 exec, exec, s[0:1]
	s_barrier
	s_and_saveexec_b64 s[0:1], s[38:39]
	s_cbranch_execz .LBB35_354
; %bb.353:
	v_mov_b32_e32 v31, 0
	ds_read_b64 v[31:32], v31 offset:11960
	s_waitcnt lgkmcnt(0)
	v_mul_f64 v[11:12], v[11:12], v[31:32]
	ds_write_b64 v18, v[11:12]
.LBB35_354:
	s_or_b64 exec, exec, s[0:1]
	s_waitcnt lgkmcnt(0)
	s_barrier
	s_barrier
	s_and_saveexec_b64 s[0:1], s[18:19]
; %bb.355:
	v_xor_b32_e32 v12, 0x80000000, v12
	ds_write_b64 v16, v[11:12] offset:8352
; %bb.356:
	s_or_b64 exec, exec, s[0:1]
	s_waitcnt lgkmcnt(0)
	s_barrier
	s_barrier
	s_and_saveexec_b64 s[14:15], s[58:59]
	s_cbranch_execz .LBB35_358
; %bb.357:
	v_lshlrev_b32_e32 v31, 9, v0
	ds_read_b64 v[11:12], v31 offset:8352
	s_movk_i32 s0, 0xfe08
	v_mad_i32_i24 v32, v0, s0, v31
	s_waitcnt lgkmcnt(0)
	ds_write_b64 v32, v[11:12] offset:10368
	ds_read_b64 v[11:12], v31 offset:8360
	s_waitcnt lgkmcnt(0)
	ds_write_b64 v32, v[11:12] offset:10880
	ds_read_b64 v[11:12], v31 offset:8368
	;; [unrolled: 3-line block ×3, first 2 shown]
	s_waitcnt lgkmcnt(0)
	ds_write_b64 v32, v[11:12] offset:11904
.LBB35_358:
	s_or_b64 exec, exec, s[14:15]
	s_waitcnt lgkmcnt(0)
	s_barrier
	s_and_saveexec_b64 s[14:15], vcc
	s_cbranch_execz .LBB35_360
; %bb.359:
	v_mov_b32_e32 v11, 0
	ds_read_b128 v[31:34], v11 offset:10400
	ds_read_b64 v[11:12], v11 offset:10920
	s_movk_i32 s0, 0x2800
	s_waitcnt lgkmcnt(0)
	v_mul_f64 v[11:12], v[31:32], v[11:12]
	v_add_u32_e64 v31, s0, 0
	v_mul_f64 v[11:12], v[33:34], v[11:12]
	ds_write2_b64 v31, v[11:12], v[11:12] offset0:21 offset1:84
.LBB35_360:
	s_or_b64 exec, exec, s[14:15]
	v_mov_b32_e32 v11, 0
	v_mov_b32_e32 v12, 0
	s_waitcnt lgkmcnt(0)
	s_barrier
	s_and_saveexec_b64 s[16:17], s[2:3]
	s_cbranch_execz .LBB35_364
; %bb.361:
	v_mul_u32_u24_e32 v31, 0x208, v15
	ds_read_b64 v[11:12], v1 offset:10416
	ds_read_b64 v[31:32], v31 offset:10400
	v_cmp_gt_u32_e64 s[14:15], 2, v14
	s_waitcnt lgkmcnt(0)
	v_fma_f64 v[11:12], v[11:12], v[31:32], 0
	s_and_saveexec_b64 s[20:21], s[14:15]
	s_cbranch_execz .LBB35_363
; %bb.362:
	v_lshlrev_b32_e32 v31, 3, v0
	v_mov_b32_e32 v33, 0
	ds_read_b64 v[31:32], v31 offset:10928
	ds_read_b64 v[33:34], v33 offset:10408
	s_waitcnt lgkmcnt(0)
	v_fma_f64 v[11:12], v[31:32], v[33:34], v[11:12]
.LBB35_363:
	s_or_b64 exec, exec, s[20:21]
	v_xor_b32_e32 v12, 0x80000000, v12
.LBB35_364:
	s_or_b64 exec, exec, s[16:17]
	s_and_saveexec_b64 s[0:1], s[34:35]
	s_cbranch_execz .LBB35_366
; %bb.365:
	v_mov_b32_e32 v31, 0
	ds_read_b64 v[31:32], v31 offset:11440
	s_waitcnt lgkmcnt(0)
	v_mul_f64 v[11:12], v[11:12], v[31:32]
	ds_write_b64 v13, v[11:12]
.LBB35_366:
	s_or_b64 exec, exec, s[0:1]
	s_waitcnt lgkmcnt(0)
	s_barrier
	s_and_saveexec_b64 s[0:1], s[30:31]
	s_cbranch_execz .LBB35_368
; %bb.367:
	v_mov_b32_e32 v31, 0
	ds_read_b64 v[31:32], v31 offset:11448
	ds_read_b64 v[33:34], v13
	s_waitcnt lgkmcnt(0)
	v_fma_f64 v[11:12], v[31:32], v[33:34], v[11:12]
.LBB35_368:
	s_or_b64 exec, exec, s[0:1]
	s_barrier
	s_and_saveexec_b64 s[0:1], s[30:31]
	s_cbranch_execz .LBB35_370
; %bb.369:
	v_mov_b32_e32 v31, 0
	ds_read_b64 v[31:32], v31 offset:11960
	s_waitcnt lgkmcnt(0)
	v_mul_f64 v[11:12], v[11:12], v[31:32]
	ds_write_b64 v13, v[11:12]
.LBB35_370:
	s_or_b64 exec, exec, s[0:1]
	s_waitcnt lgkmcnt(0)
	s_barrier
	s_barrier
	s_and_saveexec_b64 s[0:1], s[2:3]
; %bb.371:
	v_xor_b32_e32 v12, 0x80000000, v12
	ds_write_b64 v1, v[11:12] offset:10416
; %bb.372:
	s_or_b64 exec, exec, s[0:1]
	s_waitcnt lgkmcnt(0)
	s_barrier
	s_barrier
	s_and_saveexec_b64 s[14:15], s[36:37]
	s_cbranch_execz .LBB35_374
; %bb.373:
	v_lshlrev_b32_e32 v31, 3, v0
	s_movk_i32 s0, 0x1f8
	v_mad_u32_u24 v32, v0, s0, v31
	ds_read_b64 v[11:12], v32 offset:10416
	s_waitcnt lgkmcnt(0)
	ds_write_b64 v31, v[11:12] offset:11424
	ds_read_b64 v[11:12], v32 offset:10424
	s_waitcnt lgkmcnt(0)
	ds_write_b64 v31, v[11:12] offset:11936
.LBB35_374:
	s_or_b64 exec, exec, s[14:15]
	s_waitcnt lgkmcnt(0)
	s_barrier
	s_and_saveexec_b64 s[14:15], vcc
	s_cbranch_execz .LBB35_376
; %bb.375:
	v_mov_b32_e32 v11, 0
	ds_read_b128 v[31:34], v11 offset:11440
	ds_read_b64 v[11:12], v11 offset:11960
	s_movk_i32 s0, 0x2800
	s_waitcnt lgkmcnt(0)
	v_mul_f64 v[11:12], v[31:32], v[11:12]
	v_add_u32_e64 v31, s0, 0
	v_mul_f64 v[11:12], v[33:34], v[11:12]
	ds_write2_b64 v31, v[11:12], v[11:12] offset0:151 offset1:214
.LBB35_376:
	s_or_b64 exec, exec, s[14:15]
	v_mov_b32_e32 v11, 0
	v_mov_b32_e32 v12, 0
	s_waitcnt lgkmcnt(0)
	s_barrier
	s_and_saveexec_b64 s[16:17], s[8:9]
	s_cbranch_execz .LBB35_386
; %bb.377:
	v_mul_u32_u24_e32 v31, 0x208, v25
	ds_read_b64 v[11:12], v21 offset:8384
	ds_read_b64 v[32:33], v31 offset:8320
	v_cmp_gt_u32_e64 s[14:15], 56, v14
	s_waitcnt lgkmcnt(0)
	v_fma_f64 v[11:12], v[11:12], v[32:33], 0
	s_and_saveexec_b64 s[20:21], s[14:15]
	s_cbranch_execnz .LBB35_1113
; %bb.378:
	s_or_b64 exec, exec, s[20:21]
	v_cmp_gt_u32_e64 s[14:15], 48, v14
	s_and_saveexec_b64 s[20:21], s[14:15]
	s_cbranch_execnz .LBB35_1114
.LBB35_379:
	s_or_b64 exec, exec, s[20:21]
	v_cmp_gt_u32_e64 s[14:15], 40, v14
	s_and_saveexec_b64 s[20:21], s[14:15]
	s_cbranch_execnz .LBB35_1115
.LBB35_380:
	s_or_b64 exec, exec, s[20:21]
	v_cmp_gt_u32_e64 s[14:15], 32, v14
	s_and_saveexec_b64 s[0:1], s[14:15]
	s_cbranch_execnz .LBB35_1116
.LBB35_381:
	s_or_b64 exec, exec, s[0:1]
	v_cmp_gt_u32_e64 s[14:15], 24, v14
	s_and_saveexec_b64 s[20:21], s[14:15]
	s_cbranch_execnz .LBB35_1117
.LBB35_382:
	s_or_b64 exec, exec, s[20:21]
	v_cmp_gt_u32_e64 s[14:15], 16, v14
	s_and_saveexec_b64 s[0:1], s[14:15]
	s_cbranch_execnz .LBB35_1118
.LBB35_383:
	s_or_b64 exec, exec, s[0:1]
	v_cmp_gt_u32_e64 s[14:15], 8, v14
	s_and_saveexec_b64 s[20:21], s[14:15]
	s_cbranch_execz .LBB35_385
.LBB35_384:
	v_lshlrev_b32_e32 v31, 3, v0
	v_mov_b32_e32 v33, 0
	ds_read_b64 v[31:32], v31 offset:11968
	ds_read_b64 v[33:34], v33 offset:8376
	s_waitcnt lgkmcnt(0)
	v_fma_f64 v[11:12], v[31:32], v[33:34], v[11:12]
.LBB35_385:
	s_or_b64 exec, exec, s[20:21]
	v_xor_b32_e32 v12, 0x80000000, v12
.LBB35_386:
	s_or_b64 exec, exec, s[16:17]
	s_and_saveexec_b64 s[0:1], s[60:61]
	s_cbranch_execz .LBB35_388
; %bb.387:
	v_mov_b32_e32 v31, 0
	ds_read_b64 v[31:32], v31 offset:12480
	s_waitcnt lgkmcnt(0)
	v_mul_f64 v[11:12], v[11:12], v[31:32]
	ds_write_b64 v23, v[11:12]
.LBB35_388:
	s_or_b64 exec, exec, s[0:1]
	s_waitcnt lgkmcnt(0)
	s_barrier
	s_and_saveexec_b64 s[0:1], s[62:63]
	s_cbranch_execz .LBB35_390
; %bb.389:
	ds_read_b64 v[31:32], v22 offset:12480
	ds_read_b64 v[33:34], v23
	s_waitcnt lgkmcnt(0)
	v_fma_f64 v[11:12], v[31:32], v[33:34], v[11:12]
.LBB35_390:
	s_or_b64 exec, exec, s[0:1]
	s_barrier
	s_and_saveexec_b64 s[0:1], s[64:65]
	s_cbranch_execz .LBB35_392
; %bb.391:
	v_mov_b32_e32 v31, 0
	ds_read_b64 v[31:32], v31 offset:13000
	s_waitcnt lgkmcnt(0)
	v_mul_f64 v[11:12], v[11:12], v[31:32]
	ds_write_b64 v23, v[11:12]
.LBB35_392:
	s_or_b64 exec, exec, s[0:1]
	s_waitcnt lgkmcnt(0)
	s_barrier
	s_and_saveexec_b64 s[0:1], s[66:67]
	s_cbranch_execz .LBB35_394
; %bb.393:
	ds_read_b64 v[31:32], v22 offset:12992
	ds_read_b64 v[33:34], v23
	s_waitcnt lgkmcnt(0)
	v_fma_f64 v[11:12], v[31:32], v[33:34], v[11:12]
.LBB35_394:
	s_or_b64 exec, exec, s[0:1]
	s_barrier
	;; [unrolled: 22-line block ×6, first 2 shown]
	s_and_saveexec_b64 s[0:1], s[86:87]
	s_cbranch_execz .LBB35_412
; %bb.411:
	v_mov_b32_e32 v31, 0
	ds_read_b64 v[31:32], v31 offset:15600
	s_waitcnt lgkmcnt(0)
	v_mul_f64 v[11:12], v[11:12], v[31:32]
	ds_write_b64 v23, v[11:12]
.LBB35_412:
	s_or_b64 exec, exec, s[0:1]
	s_waitcnt lgkmcnt(0)
	s_barrier
	s_and_saveexec_b64 s[0:1], s[70:71]
	s_cbranch_execz .LBB35_414
; %bb.413:
	v_mov_b32_e32 v31, 0
	ds_read_b64 v[31:32], v31 offset:15608
	ds_read_b64 v[33:34], v23
	s_waitcnt lgkmcnt(0)
	v_fma_f64 v[11:12], v[31:32], v[33:34], v[11:12]
.LBB35_414:
	s_or_b64 exec, exec, s[0:1]
	s_barrier
	s_and_saveexec_b64 s[0:1], s[70:71]
	s_cbranch_execz .LBB35_416
; %bb.415:
	v_mov_b32_e32 v31, 0
	ds_read_b64 v[31:32], v31 offset:16120
	s_waitcnt lgkmcnt(0)
	v_mul_f64 v[11:12], v[11:12], v[31:32]
	ds_write_b64 v23, v[11:12]
.LBB35_416:
	s_or_b64 exec, exec, s[0:1]
	s_waitcnt lgkmcnt(0)
	s_barrier
	s_barrier
	s_and_saveexec_b64 s[0:1], s[8:9]
; %bb.417:
	v_xor_b32_e32 v12, 0x80000000, v12
	ds_write_b64 v21, v[11:12] offset:8384
; %bb.418:
	s_or_b64 exec, exec, s[0:1]
	s_waitcnt lgkmcnt(0)
	s_barrier
	s_barrier
	s_and_saveexec_b64 s[14:15], s[88:89]
	s_cbranch_execz .LBB35_420
; %bb.419:
	v_lshlrev_b32_e32 v31, 9, v0
	ds_read_b64 v[11:12], v31 offset:8384
	s_movk_i32 s0, 0xfe08
	v_mad_i32_i24 v32, v0, s0, v31
	s_waitcnt lgkmcnt(0)
	ds_write_b64 v32, v[11:12] offset:12416
	ds_read_b64 v[11:12], v31 offset:8392
	s_waitcnt lgkmcnt(0)
	ds_write_b64 v32, v[11:12] offset:12928
	ds_read_b64 v[11:12], v31 offset:8400
	;; [unrolled: 3-line block ×7, first 2 shown]
	s_waitcnt lgkmcnt(0)
	ds_write_b64 v32, v[11:12] offset:16000
.LBB35_420:
	s_or_b64 exec, exec, s[14:15]
	s_waitcnt lgkmcnt(0)
	s_barrier
	s_and_saveexec_b64 s[14:15], vcc
	s_cbranch_execz .LBB35_422
; %bb.421:
	v_mov_b32_e32 v11, 0
	ds_read_b128 v[31:34], v11 offset:12480
	ds_read_b64 v[11:12], v11 offset:13000
	s_movk_i32 s0, 0x3000
	s_waitcnt lgkmcnt(0)
	v_mul_f64 v[11:12], v[31:32], v[11:12]
	v_add_u32_e64 v31, s0, 0
	v_mul_f64 v[11:12], v[33:34], v[11:12]
	ds_write2_b64 v31, v[11:12], v[11:12] offset0:25 offset1:88
.LBB35_422:
	s_or_b64 exec, exec, s[14:15]
	v_mov_b32_e32 v11, 0
	v_mov_b32_e32 v12, 0
	s_waitcnt lgkmcnt(0)
	s_barrier
	s_and_saveexec_b64 s[16:17], s[2:3]
	s_cbranch_execz .LBB35_426
; %bb.423:
	v_mul_u32_u24_e32 v31, 0x208, v15
	ds_read_b64 v[11:12], v1 offset:12496
	ds_read_b64 v[31:32], v31 offset:12480
	v_cmp_gt_u32_e64 s[14:15], 2, v14
	s_waitcnt lgkmcnt(0)
	v_fma_f64 v[11:12], v[11:12], v[31:32], 0
	s_and_saveexec_b64 s[20:21], s[14:15]
	s_cbranch_execz .LBB35_425
; %bb.424:
	v_lshlrev_b32_e32 v31, 3, v0
	v_mov_b32_e32 v33, 0
	ds_read_b64 v[31:32], v31 offset:13008
	ds_read_b64 v[33:34], v33 offset:12488
	s_waitcnt lgkmcnt(0)
	v_fma_f64 v[11:12], v[31:32], v[33:34], v[11:12]
.LBB35_425:
	s_or_b64 exec, exec, s[20:21]
	v_xor_b32_e32 v12, 0x80000000, v12
.LBB35_426:
	s_or_b64 exec, exec, s[16:17]
	s_and_saveexec_b64 s[0:1], s[34:35]
	s_cbranch_execz .LBB35_428
; %bb.427:
	v_mov_b32_e32 v31, 0
	ds_read_b64 v[31:32], v31 offset:13520
	s_waitcnt lgkmcnt(0)
	v_mul_f64 v[11:12], v[11:12], v[31:32]
	ds_write_b64 v13, v[11:12]
.LBB35_428:
	s_or_b64 exec, exec, s[0:1]
	s_waitcnt lgkmcnt(0)
	s_barrier
	s_and_saveexec_b64 s[0:1], s[30:31]
	s_cbranch_execz .LBB35_430
; %bb.429:
	v_mov_b32_e32 v31, 0
	ds_read_b64 v[31:32], v31 offset:13528
	ds_read_b64 v[33:34], v13
	s_waitcnt lgkmcnt(0)
	v_fma_f64 v[11:12], v[31:32], v[33:34], v[11:12]
.LBB35_430:
	s_or_b64 exec, exec, s[0:1]
	s_barrier
	s_and_saveexec_b64 s[0:1], s[30:31]
	s_cbranch_execz .LBB35_432
; %bb.431:
	v_mov_b32_e32 v31, 0
	ds_read_b64 v[31:32], v31 offset:14040
	s_waitcnt lgkmcnt(0)
	v_mul_f64 v[11:12], v[11:12], v[31:32]
	ds_write_b64 v13, v[11:12]
.LBB35_432:
	s_or_b64 exec, exec, s[0:1]
	s_waitcnt lgkmcnt(0)
	s_barrier
	s_barrier
	s_and_saveexec_b64 s[0:1], s[2:3]
; %bb.433:
	v_xor_b32_e32 v12, 0x80000000, v12
	ds_write_b64 v1, v[11:12] offset:12496
; %bb.434:
	s_or_b64 exec, exec, s[0:1]
	s_waitcnt lgkmcnt(0)
	s_barrier
	s_barrier
	s_and_saveexec_b64 s[14:15], s[36:37]
	s_cbranch_execz .LBB35_436
; %bb.435:
	v_lshlrev_b32_e32 v31, 3, v0
	s_movk_i32 s0, 0x1f8
	v_mad_u32_u24 v32, v0, s0, v31
	ds_read_b64 v[11:12], v32 offset:12496
	s_waitcnt lgkmcnt(0)
	ds_write_b64 v31, v[11:12] offset:13504
	ds_read_b64 v[11:12], v32 offset:12504
	s_waitcnt lgkmcnt(0)
	ds_write_b64 v31, v[11:12] offset:14016
.LBB35_436:
	s_or_b64 exec, exec, s[14:15]
	s_waitcnt lgkmcnt(0)
	s_barrier
	s_and_saveexec_b64 s[14:15], vcc
	s_cbranch_execz .LBB35_438
; %bb.437:
	v_mov_b32_e32 v11, 0
	ds_read_b128 v[31:34], v11 offset:13520
	ds_read_b64 v[11:12], v11 offset:14040
	s_movk_i32 s0, 0x3000
	s_waitcnt lgkmcnt(0)
	v_mul_f64 v[11:12], v[31:32], v[11:12]
	v_add_u32_e64 v31, s0, 0
	v_mul_f64 v[11:12], v[33:34], v[11:12]
	ds_write2_b64 v31, v[11:12], v[11:12] offset0:155 offset1:218
.LBB35_438:
	s_or_b64 exec, exec, s[14:15]
	v_mov_b32_e32 v11, 0
	v_mov_b32_e32 v12, 0
	s_waitcnt lgkmcnt(0)
	s_barrier
	s_and_saveexec_b64 s[16:17], s[18:19]
	s_cbranch_execz .LBB35_444
; %bb.439:
	v_mul_u32_u24_e32 v31, 0x208, v20
	ds_read_b64 v[11:12], v16 offset:12512
	ds_read_b64 v[32:33], v31 offset:12480
	v_cmp_gt_u32_e64 s[14:15], 12, v14
	s_waitcnt lgkmcnt(0)
	v_fma_f64 v[11:12], v[11:12], v[32:33], 0
	s_and_saveexec_b64 s[20:21], s[14:15]
	s_cbranch_execnz .LBB35_1119
; %bb.440:
	s_or_b64 exec, exec, s[20:21]
	v_cmp_gt_u32_e64 s[14:15], 8, v14
	s_and_saveexec_b64 s[0:1], s[14:15]
	s_cbranch_execnz .LBB35_1120
.LBB35_441:
	s_or_b64 exec, exec, s[0:1]
	v_cmp_gt_u32_e64 s[14:15], 4, v14
	s_and_saveexec_b64 s[20:21], s[14:15]
	s_cbranch_execz .LBB35_443
.LBB35_442:
	v_lshlrev_b32_e32 v31, 3, v0
	v_mov_b32_e32 v33, 0
	ds_read_b64 v[31:32], v31 offset:14048
	ds_read_b64 v[33:34], v33 offset:12504
	s_waitcnt lgkmcnt(0)
	v_fma_f64 v[11:12], v[31:32], v[33:34], v[11:12]
.LBB35_443:
	s_or_b64 exec, exec, s[20:21]
	v_xor_b32_e32 v12, 0x80000000, v12
.LBB35_444:
	s_or_b64 exec, exec, s[16:17]
	s_and_saveexec_b64 s[0:1], s[42:43]
	s_cbranch_execz .LBB35_446
; %bb.445:
	v_mov_b32_e32 v31, 0
	ds_read_b64 v[31:32], v31 offset:14560
	s_waitcnt lgkmcnt(0)
	v_mul_f64 v[11:12], v[11:12], v[31:32]
	ds_write_b64 v18, v[11:12]
.LBB35_446:
	s_or_b64 exec, exec, s[0:1]
	s_waitcnt lgkmcnt(0)
	s_barrier
	s_and_saveexec_b64 s[0:1], s[44:45]
	s_cbranch_execz .LBB35_448
; %bb.447:
	ds_read_b64 v[31:32], v17 offset:14560
	ds_read_b64 v[33:34], v18
	s_waitcnt lgkmcnt(0)
	v_fma_f64 v[11:12], v[31:32], v[33:34], v[11:12]
.LBB35_448:
	s_or_b64 exec, exec, s[0:1]
	s_barrier
	s_and_saveexec_b64 s[0:1], s[52:53]
	s_cbranch_execz .LBB35_450
; %bb.449:
	v_mov_b32_e32 v31, 0
	ds_read_b64 v[31:32], v31 offset:15080
	s_waitcnt lgkmcnt(0)
	v_mul_f64 v[11:12], v[11:12], v[31:32]
	ds_write_b64 v18, v[11:12]
.LBB35_450:
	s_or_b64 exec, exec, s[0:1]
	s_waitcnt lgkmcnt(0)
	s_barrier
	s_and_saveexec_b64 s[0:1], s[54:55]
	s_cbranch_execz .LBB35_452
; %bb.451:
	ds_read_b64 v[31:32], v17 offset:15072
	ds_read_b64 v[33:34], v18
	s_waitcnt lgkmcnt(0)
	v_fma_f64 v[11:12], v[31:32], v[33:34], v[11:12]
.LBB35_452:
	s_or_b64 exec, exec, s[0:1]
	s_barrier
	s_and_saveexec_b64 s[0:1], s[56:57]
	s_cbranch_execz .LBB35_454
; %bb.453:
	v_mov_b32_e32 v31, 0
	ds_read_b64 v[31:32], v31 offset:15600
	s_waitcnt lgkmcnt(0)
	v_mul_f64 v[11:12], v[11:12], v[31:32]
	ds_write_b64 v18, v[11:12]
.LBB35_454:
	s_or_b64 exec, exec, s[0:1]
	s_waitcnt lgkmcnt(0)
	s_barrier
	s_and_saveexec_b64 s[0:1], s[38:39]
	s_cbranch_execz .LBB35_456
; %bb.455:
	v_mov_b32_e32 v31, 0
	ds_read_b64 v[31:32], v31 offset:15608
	ds_read_b64 v[33:34], v18
	s_waitcnt lgkmcnt(0)
	v_fma_f64 v[11:12], v[31:32], v[33:34], v[11:12]
.LBB35_456:
	s_or_b64 exec, exec, s[0:1]
	s_barrier
	s_and_saveexec_b64 s[0:1], s[38:39]
	s_cbranch_execz .LBB35_458
; %bb.457:
	v_mov_b32_e32 v31, 0
	ds_read_b64 v[31:32], v31 offset:16120
	s_waitcnt lgkmcnt(0)
	v_mul_f64 v[11:12], v[11:12], v[31:32]
	ds_write_b64 v18, v[11:12]
.LBB35_458:
	s_or_b64 exec, exec, s[0:1]
	s_waitcnt lgkmcnt(0)
	s_barrier
	s_barrier
	s_and_saveexec_b64 s[0:1], s[18:19]
; %bb.459:
	v_xor_b32_e32 v12, 0x80000000, v12
	ds_write_b64 v16, v[11:12] offset:12512
; %bb.460:
	s_or_b64 exec, exec, s[0:1]
	s_waitcnt lgkmcnt(0)
	s_barrier
	s_barrier
	s_and_saveexec_b64 s[14:15], s[58:59]
	s_cbranch_execz .LBB35_462
; %bb.461:
	v_lshlrev_b32_e32 v31, 9, v0
	ds_read_b64 v[11:12], v31 offset:12512
	s_movk_i32 s0, 0xfe08
	v_mad_i32_i24 v32, v0, s0, v31
	s_waitcnt lgkmcnt(0)
	ds_write_b64 v32, v[11:12] offset:14528
	ds_read_b64 v[11:12], v31 offset:12520
	s_waitcnt lgkmcnt(0)
	ds_write_b64 v32, v[11:12] offset:15040
	ds_read_b64 v[11:12], v31 offset:12528
	;; [unrolled: 3-line block ×3, first 2 shown]
	s_waitcnt lgkmcnt(0)
	ds_write_b64 v32, v[11:12] offset:16064
.LBB35_462:
	s_or_b64 exec, exec, s[14:15]
	s_waitcnt lgkmcnt(0)
	s_barrier
	s_and_saveexec_b64 s[14:15], vcc
	s_cbranch_execz .LBB35_464
; %bb.463:
	v_mov_b32_e32 v11, 0
	ds_read_b128 v[31:34], v11 offset:14560
	ds_read_b64 v[11:12], v11 offset:15080
	s_movk_i32 s0, 0x3800
	s_waitcnt lgkmcnt(0)
	v_mul_f64 v[11:12], v[31:32], v[11:12]
	v_add_u32_e64 v31, s0, 0
	v_mul_f64 v[11:12], v[33:34], v[11:12]
	ds_write2_b64 v31, v[11:12], v[11:12] offset0:29 offset1:92
.LBB35_464:
	s_or_b64 exec, exec, s[14:15]
	v_mov_b32_e32 v11, 0
	v_mov_b32_e32 v12, 0
	s_waitcnt lgkmcnt(0)
	s_barrier
	s_and_saveexec_b64 s[16:17], s[2:3]
	s_cbranch_execz .LBB35_468
; %bb.465:
	v_mul_u32_u24_e32 v31, 0x208, v15
	ds_read_b64 v[11:12], v1 offset:14576
	ds_read_b64 v[31:32], v31 offset:14560
	v_cmp_gt_u32_e64 s[14:15], 2, v14
	s_waitcnt lgkmcnt(0)
	v_fma_f64 v[11:12], v[11:12], v[31:32], 0
	s_and_saveexec_b64 s[20:21], s[14:15]
	s_cbranch_execz .LBB35_467
; %bb.466:
	v_lshlrev_b32_e32 v31, 3, v0
	v_mov_b32_e32 v33, 0
	ds_read_b64 v[31:32], v31 offset:15088
	ds_read_b64 v[33:34], v33 offset:14568
	s_waitcnt lgkmcnt(0)
	v_fma_f64 v[11:12], v[31:32], v[33:34], v[11:12]
.LBB35_467:
	s_or_b64 exec, exec, s[20:21]
	v_xor_b32_e32 v12, 0x80000000, v12
.LBB35_468:
	s_or_b64 exec, exec, s[16:17]
	s_and_saveexec_b64 s[0:1], s[34:35]
	s_cbranch_execz .LBB35_470
; %bb.469:
	v_mov_b32_e32 v31, 0
	ds_read_b64 v[31:32], v31 offset:15600
	s_waitcnt lgkmcnt(0)
	v_mul_f64 v[11:12], v[11:12], v[31:32]
	ds_write_b64 v13, v[11:12]
.LBB35_470:
	s_or_b64 exec, exec, s[0:1]
	s_waitcnt lgkmcnt(0)
	s_barrier
	s_and_saveexec_b64 s[0:1], s[30:31]
	s_cbranch_execz .LBB35_472
; %bb.471:
	v_mov_b32_e32 v31, 0
	ds_read_b64 v[31:32], v31 offset:15608
	ds_read_b64 v[33:34], v13
	s_waitcnt lgkmcnt(0)
	v_fma_f64 v[11:12], v[31:32], v[33:34], v[11:12]
.LBB35_472:
	s_or_b64 exec, exec, s[0:1]
	s_barrier
	s_and_saveexec_b64 s[0:1], s[30:31]
	s_cbranch_execz .LBB35_474
; %bb.473:
	v_mov_b32_e32 v31, 0
	ds_read_b64 v[31:32], v31 offset:16120
	s_waitcnt lgkmcnt(0)
	v_mul_f64 v[11:12], v[11:12], v[31:32]
	ds_write_b64 v13, v[11:12]
.LBB35_474:
	s_or_b64 exec, exec, s[0:1]
	s_waitcnt lgkmcnt(0)
	s_barrier
	s_barrier
	s_and_saveexec_b64 s[0:1], s[2:3]
; %bb.475:
	v_xor_b32_e32 v12, 0x80000000, v12
	ds_write_b64 v1, v[11:12] offset:14576
; %bb.476:
	s_or_b64 exec, exec, s[0:1]
	s_waitcnt lgkmcnt(0)
	s_barrier
	s_barrier
	s_and_saveexec_b64 s[14:15], s[36:37]
	s_cbranch_execz .LBB35_478
; %bb.477:
	v_lshlrev_b32_e32 v31, 3, v0
	s_movk_i32 s0, 0x1f8
	v_mad_u32_u24 v32, v0, s0, v31
	ds_read_b64 v[11:12], v32 offset:14576
	s_waitcnt lgkmcnt(0)
	ds_write_b64 v31, v[11:12] offset:15584
	ds_read_b64 v[11:12], v32 offset:14584
	s_waitcnt lgkmcnt(0)
	ds_write_b64 v31, v[11:12] offset:16096
.LBB35_478:
	s_or_b64 exec, exec, s[14:15]
	s_waitcnt lgkmcnt(0)
	s_barrier
	s_and_saveexec_b64 s[14:15], vcc
	s_cbranch_execz .LBB35_480
; %bb.479:
	v_mov_b32_e32 v11, 0
	ds_read_b128 v[31:34], v11 offset:15600
	ds_read_b64 v[11:12], v11 offset:16120
	s_movk_i32 s0, 0x3800
	s_waitcnt lgkmcnt(0)
	v_mul_f64 v[11:12], v[31:32], v[11:12]
	v_add_u32_e64 v31, s0, 0
	v_mul_f64 v[11:12], v[33:34], v[11:12]
	ds_write2_b64 v31, v[11:12], v[11:12] offset0:159 offset1:222
.LBB35_480:
	s_or_b64 exec, exec, s[14:15]
	v_and_b32_e32 v32, 31, v0
	v_lshrrev_b32_e32 v33, 5, v14
	s_movk_i32 s0, 0x3ff
	v_lshlrev_b32_e32 v11, 3, v32
	v_cmp_lt_u32_e64 s[16:17], s0, v14
	s_movk_i32 s0, 0x400
	v_lshl_or_b32 v31, v33, 9, v11
	v_mov_b32_e32 v11, 0
	v_cmp_gt_u32_e64 s[14:15], s0, v14
	v_mov_b32_e32 v12, 0
	s_waitcnt lgkmcnt(0)
	s_barrier
	s_and_saveexec_b64 s[28:29], s[14:15]
	s_cbranch_execz .LBB35_542
; %bb.481:
	v_mul_u32_u24_e32 v34, 0x208, v33
	ds_read_b64 v[11:12], v31 offset:256
	ds_read_b64 v[35:36], v34
	s_movk_i32 s0, 0x3e0
	v_cmp_gt_u32_e64 s[20:21], s0, v14
	s_waitcnt lgkmcnt(0)
	v_fma_f64 v[11:12], v[11:12], v[35:36], 0
	s_and_saveexec_b64 s[0:1], s[20:21]
	s_cbranch_execz .LBB35_483
; %bb.482:
	ds_read_b64 v[35:36], v31 offset:768
	ds_read_b64 v[37:38], v34 offset:8
	s_waitcnt lgkmcnt(0)
	v_fma_f64 v[11:12], v[35:36], v[37:38], v[11:12]
.LBB35_483:
	s_or_b64 exec, exec, s[0:1]
	s_movk_i32 s0, 0x3c0
	v_cmp_gt_u32_e64 s[20:21], s0, v14
	s_and_saveexec_b64 s[0:1], s[20:21]
	s_cbranch_execz .LBB35_485
; %bb.484:
	ds_read_b64 v[35:36], v31 offset:1280
	ds_read_b64 v[37:38], v34 offset:16
	s_waitcnt lgkmcnt(0)
	v_fma_f64 v[11:12], v[35:36], v[37:38], v[11:12]
.LBB35_485:
	s_or_b64 exec, exec, s[0:1]
	s_movk_i32 s0, 0x3a0
	v_cmp_gt_u32_e64 s[20:21], s0, v14
	;; [unrolled: 11-line block ×28, first 2 shown]
	s_and_saveexec_b64 s[0:1], s[20:21]
	s_cbranch_execnz .LBB35_1121
; %bb.538:
	s_or_b64 exec, exec, s[0:1]
	v_cmp_gt_u32_e64 s[20:21], 64, v14
	s_and_saveexec_b64 s[0:1], s[20:21]
	s_cbranch_execnz .LBB35_1122
.LBB35_539:
	s_or_b64 exec, exec, s[0:1]
	v_cmp_gt_u32_e64 s[20:21], 32, v14
	s_and_saveexec_b64 s[0:1], s[20:21]
	s_cbranch_execz .LBB35_541
.LBB35_540:
	v_lshlrev_b32_e32 v34, 3, v0
	v_mov_b32_e32 v36, 0
	ds_read_b64 v[34:35], v34 offset:16128
	ds_read_b64 v[36:37], v36 offset:248
	s_waitcnt lgkmcnt(0)
	v_fma_f64 v[11:12], v[34:35], v[36:37], v[11:12]
.LBB35_541:
	s_or_b64 exec, exec, s[0:1]
	v_xor_b32_e32 v12, 0x80000000, v12
.LBB35_542:
	s_or_b64 exec, exec, s[28:29]
	v_mov_b32_e32 v34, 0x8000
	v_lshl_or_b32 v33, v33, 3, v34
	v_mul_u32_u24_e32 v34, 0x208, v32
	v_lshlrev_b32_e32 v35, 9, v32
	v_sub_u32_e32 v35, v34, v35
	v_add_u32_e32 v35, 0x4100, v35
	s_mov_b32 s28, 0
	s_xor_b64 s[20:21], s[16:17], -1
	v_mov_b32_e32 v36, v32
	s_branch .LBB35_544
.LBB35_543:                             ;   in Loop: Header=BB35_544 Depth=1
	s_or_b64 exec, exec, s[0:1]
	s_add_i32 s28, s28, 4
	v_add_u32_e32 v35, 0x800, v35
	s_cmp_eq_u32 s28, 32
	v_add_u32_e32 v36, -4, v36
	s_barrier
	s_cbranch_scc1 .LBB35_560
.LBB35_544:                             ; =>This Inner Loop Header: Depth=1
	v_cmp_eq_u32_e64 s[16:17], 0, v36
	s_and_b64 s[16:17], s[20:21], s[16:17]
	s_and_saveexec_b64 s[0:1], s[16:17]
	s_cbranch_execz .LBB35_546
; %bb.545:                              ;   in Loop: Header=BB35_544 Depth=1
	ds_read_b64 v[37:38], v34 offset:16640
	s_waitcnt lgkmcnt(0)
	v_mul_f64 v[11:12], v[11:12], v[37:38]
	ds_write_b64 v33, v[11:12]
.LBB35_546:                             ;   in Loop: Header=BB35_544 Depth=1
	s_or_b64 exec, exec, s[0:1]
	v_cmp_lt_u32_e64 s[16:17], s28, v32
	s_and_b64 s[16:17], s[20:21], s[16:17]
	s_waitcnt lgkmcnt(0)
	s_barrier
	s_and_saveexec_b64 s[0:1], s[16:17]
	s_cbranch_execz .LBB35_548
; %bb.547:                              ;   in Loop: Header=BB35_544 Depth=1
	ds_read_b64 v[37:38], v35
	ds_read_b64 v[39:40], v33
	s_waitcnt lgkmcnt(0)
	v_fma_f64 v[11:12], v[37:38], v[39:40], v[11:12]
.LBB35_548:                             ;   in Loop: Header=BB35_544 Depth=1
	s_or_b64 exec, exec, s[0:1]
	s_or_b32 s29, s28, 1
	v_cmp_eq_u32_e64 s[16:17], s29, v32
	s_and_b64 s[16:17], s[20:21], s[16:17]
	s_barrier
	s_and_saveexec_b64 s[0:1], s[16:17]
	s_cbranch_execz .LBB35_550
; %bb.549:                              ;   in Loop: Header=BB35_544 Depth=1
	ds_read_b64 v[37:38], v34 offset:16640
	s_waitcnt lgkmcnt(0)
	v_mul_f64 v[11:12], v[11:12], v[37:38]
	ds_write_b64 v33, v[11:12]
.LBB35_550:                             ;   in Loop: Header=BB35_544 Depth=1
	s_or_b64 exec, exec, s[0:1]
	v_cmp_lt_u32_e64 s[16:17], s29, v32
	s_and_b64 s[16:17], s[20:21], s[16:17]
	s_waitcnt lgkmcnt(0)
	s_barrier
	s_and_saveexec_b64 s[0:1], s[16:17]
	s_cbranch_execz .LBB35_552
; %bb.551:                              ;   in Loop: Header=BB35_544 Depth=1
	ds_read_b64 v[37:38], v35 offset:512
	ds_read_b64 v[39:40], v33
	s_waitcnt lgkmcnt(0)
	v_fma_f64 v[11:12], v[37:38], v[39:40], v[11:12]
.LBB35_552:                             ;   in Loop: Header=BB35_544 Depth=1
	s_or_b64 exec, exec, s[0:1]
	s_or_b32 s29, s28, 2
	v_cmp_eq_u32_e64 s[16:17], s29, v32
	s_and_b64 s[16:17], s[20:21], s[16:17]
	s_barrier
	s_and_saveexec_b64 s[0:1], s[16:17]
	s_cbranch_execz .LBB35_554
; %bb.553:                              ;   in Loop: Header=BB35_544 Depth=1
	ds_read_b64 v[37:38], v34 offset:16640
	s_waitcnt lgkmcnt(0)
	v_mul_f64 v[11:12], v[11:12], v[37:38]
	ds_write_b64 v33, v[11:12]
.LBB35_554:                             ;   in Loop: Header=BB35_544 Depth=1
	s_or_b64 exec, exec, s[0:1]
	v_cmp_lt_u32_e64 s[16:17], s29, v32
	s_and_b64 s[16:17], s[20:21], s[16:17]
	s_waitcnt lgkmcnt(0)
	s_barrier
	s_and_saveexec_b64 s[0:1], s[16:17]
	s_cbranch_execz .LBB35_556
; %bb.555:                              ;   in Loop: Header=BB35_544 Depth=1
	ds_read_b64 v[37:38], v35 offset:1024
	ds_read_b64 v[39:40], v33
	s_waitcnt lgkmcnt(0)
	v_fma_f64 v[11:12], v[37:38], v[39:40], v[11:12]
.LBB35_556:                             ;   in Loop: Header=BB35_544 Depth=1
	s_or_b64 exec, exec, s[0:1]
	s_or_b32 s29, s28, 3
	v_cmp_eq_u32_e64 s[16:17], s29, v32
	s_and_b64 s[16:17], s[20:21], s[16:17]
	s_barrier
	s_and_saveexec_b64 s[0:1], s[16:17]
	s_cbranch_execz .LBB35_558
; %bb.557:                              ;   in Loop: Header=BB35_544 Depth=1
	ds_read_b64 v[37:38], v34 offset:16640
	s_waitcnt lgkmcnt(0)
	v_mul_f64 v[11:12], v[11:12], v[37:38]
	ds_write_b64 v33, v[11:12]
.LBB35_558:                             ;   in Loop: Header=BB35_544 Depth=1
	s_or_b64 exec, exec, s[0:1]
	v_cmp_lt_u32_e64 s[16:17], s29, v32
	s_and_b64 s[16:17], s[20:21], s[16:17]
	s_waitcnt lgkmcnt(0)
	s_barrier
	s_and_saveexec_b64 s[0:1], s[16:17]
	s_cbranch_execz .LBB35_543
; %bb.559:                              ;   in Loop: Header=BB35_544 Depth=1
	ds_read_b64 v[37:38], v35 offset:1536
	ds_read_b64 v[39:40], v33
	s_waitcnt lgkmcnt(0)
	v_fma_f64 v[11:12], v[37:38], v[39:40], v[11:12]
	s_branch .LBB35_543
.LBB35_560:
	s_and_saveexec_b64 s[0:1], s[14:15]
; %bb.561:
	v_xor_b32_e32 v12, 0x80000000, v12
	ds_write_b64 v31, v[11:12] offset:256
; %bb.562:
	s_or_b64 exec, exec, s[0:1]
	v_cmp_gt_u32_e64 s[14:15], 32, v0
	s_and_b64 s[0:1], s[12:13], s[14:15]
	s_waitcnt lgkmcnt(0)
	s_barrier
	s_barrier
	s_and_saveexec_b64 s[12:13], s[0:1]
	s_cbranch_execz .LBB35_564
; %bb.563:
	v_lshlrev_b32_e32 v31, 9, v0
	ds_read_b64 v[11:12], v31 offset:256
	s_movk_i32 s0, 0xfe08
	v_mad_i32_i24 v32, v0, s0, v31
	s_waitcnt lgkmcnt(0)
	ds_write_b64 v32, v[11:12] offset:16384
	ds_read_b64 v[11:12], v31 offset:264
	s_waitcnt lgkmcnt(0)
	ds_write_b64 v32, v[11:12] offset:16896
	ds_read_b64 v[11:12], v31 offset:272
	;; [unrolled: 3-line block ×31, first 2 shown]
	s_waitcnt lgkmcnt(0)
	ds_write_b64 v32, v[11:12] offset:32256
.LBB35_564:
	s_or_b64 exec, exec, s[12:13]
	s_waitcnt lgkmcnt(0)
	s_barrier
	s_and_saveexec_b64 s[12:13], vcc
	s_cbranch_execz .LBB35_566
; %bb.565:
	v_mov_b32_e32 v11, 0
	ds_read_b128 v[31:34], v11 offset:16640
	ds_read_b64 v[11:12], v11 offset:17160
	s_movk_i32 s0, 0x4000
	s_waitcnt lgkmcnt(0)
	v_mul_f64 v[11:12], v[31:32], v[11:12]
	v_add_u32_e64 v31, s0, 0
	v_mul_f64 v[11:12], v[33:34], v[11:12]
	ds_write2_b64 v31, v[11:12], v[11:12] offset0:33 offset1:96
.LBB35_566:
	s_or_b64 exec, exec, s[12:13]
	v_mov_b32_e32 v11, 0
	v_mov_b32_e32 v12, 0
	s_waitcnt lgkmcnt(0)
	s_barrier
	s_and_saveexec_b64 s[14:15], s[2:3]
	s_cbranch_execz .LBB35_570
; %bb.567:
	v_mul_u32_u24_e32 v31, 0x208, v15
	ds_read_b64 v[11:12], v1 offset:16656
	ds_read_b64 v[31:32], v31 offset:16640
	v_cmp_gt_u32_e64 s[12:13], 2, v14
	s_waitcnt lgkmcnt(0)
	v_fma_f64 v[11:12], v[11:12], v[31:32], 0
	s_and_saveexec_b64 s[16:17], s[12:13]
	s_cbranch_execz .LBB35_569
; %bb.568:
	v_lshlrev_b32_e32 v31, 3, v0
	v_mov_b32_e32 v33, 0
	ds_read_b64 v[31:32], v31 offset:17168
	ds_read_b64 v[33:34], v33 offset:16648
	s_waitcnt lgkmcnt(0)
	v_fma_f64 v[11:12], v[31:32], v[33:34], v[11:12]
.LBB35_569:
	s_or_b64 exec, exec, s[16:17]
	v_xor_b32_e32 v12, 0x80000000, v12
.LBB35_570:
	s_or_b64 exec, exec, s[14:15]
	s_and_saveexec_b64 s[0:1], s[34:35]
	s_cbranch_execz .LBB35_572
; %bb.571:
	v_mov_b32_e32 v31, 0
	ds_read_b64 v[31:32], v31 offset:17680
	s_waitcnt lgkmcnt(0)
	v_mul_f64 v[11:12], v[11:12], v[31:32]
	ds_write_b64 v13, v[11:12]
.LBB35_572:
	s_or_b64 exec, exec, s[0:1]
	s_waitcnt lgkmcnt(0)
	s_barrier
	s_and_saveexec_b64 s[0:1], s[30:31]
	s_cbranch_execz .LBB35_574
; %bb.573:
	v_mov_b32_e32 v31, 0
	ds_read_b64 v[31:32], v31 offset:17688
	ds_read_b64 v[33:34], v13
	s_waitcnt lgkmcnt(0)
	v_fma_f64 v[11:12], v[31:32], v[33:34], v[11:12]
.LBB35_574:
	s_or_b64 exec, exec, s[0:1]
	s_barrier
	s_and_saveexec_b64 s[0:1], s[30:31]
	s_cbranch_execz .LBB35_576
; %bb.575:
	v_mov_b32_e32 v31, 0
	ds_read_b64 v[31:32], v31 offset:18200
	s_waitcnt lgkmcnt(0)
	v_mul_f64 v[11:12], v[11:12], v[31:32]
	ds_write_b64 v13, v[11:12]
.LBB35_576:
	s_or_b64 exec, exec, s[0:1]
	s_waitcnt lgkmcnt(0)
	s_barrier
	s_barrier
	s_and_saveexec_b64 s[0:1], s[2:3]
; %bb.577:
	v_xor_b32_e32 v12, 0x80000000, v12
	ds_write_b64 v1, v[11:12] offset:16656
; %bb.578:
	s_or_b64 exec, exec, s[0:1]
	s_waitcnt lgkmcnt(0)
	s_barrier
	s_barrier
	s_and_saveexec_b64 s[0:1], s[36:37]
	s_cbranch_execz .LBB35_580
; %bb.579:
	v_lshlrev_b32_e32 v31, 3, v0
	s_movk_i32 s12, 0x1f8
	v_mad_u32_u24 v32, v0, s12, v31
	ds_read_b64 v[11:12], v32 offset:16656
	s_waitcnt lgkmcnt(0)
	ds_write_b64 v31, v[11:12] offset:17664
	ds_read_b64 v[11:12], v32 offset:16664
	s_waitcnt lgkmcnt(0)
	ds_write_b64 v31, v[11:12] offset:18176
.LBB35_580:
	s_or_b64 exec, exec, s[0:1]
	s_waitcnt lgkmcnt(0)
	s_barrier
	s_and_saveexec_b64 s[12:13], vcc
	s_cbranch_execz .LBB35_582
; %bb.581:
	v_mov_b32_e32 v11, 0
	ds_read_b128 v[31:34], v11 offset:17680
	ds_read_b64 v[11:12], v11 offset:18200
	s_movk_i32 s0, 0x4000
	s_waitcnt lgkmcnt(0)
	v_mul_f64 v[11:12], v[31:32], v[11:12]
	v_add_u32_e64 v31, s0, 0
	v_mul_f64 v[11:12], v[33:34], v[11:12]
	ds_write2_b64 v31, v[11:12], v[11:12] offset0:163 offset1:226
.LBB35_582:
	s_or_b64 exec, exec, s[12:13]
	v_mov_b32_e32 v11, 0
	v_mov_b32_e32 v12, 0
	s_waitcnt lgkmcnt(0)
	s_barrier
	s_and_saveexec_b64 s[14:15], s[18:19]
	s_cbranch_execz .LBB35_588
; %bb.583:
	v_mul_u32_u24_e32 v31, 0x208, v20
	ds_read_b64 v[11:12], v16 offset:16672
	ds_read_b64 v[32:33], v31 offset:16640
	v_cmp_gt_u32_e64 s[12:13], 12, v14
	s_waitcnt lgkmcnt(0)
	v_fma_f64 v[11:12], v[11:12], v[32:33], 0
	s_and_saveexec_b64 s[16:17], s[12:13]
	s_cbranch_execnz .LBB35_1123
; %bb.584:
	s_or_b64 exec, exec, s[16:17]
	v_cmp_gt_u32_e64 s[12:13], 8, v14
	s_and_saveexec_b64 s[0:1], s[12:13]
	s_cbranch_execnz .LBB35_1124
.LBB35_585:
	s_or_b64 exec, exec, s[0:1]
	v_cmp_gt_u32_e64 s[12:13], 4, v14
	s_and_saveexec_b64 s[0:1], s[12:13]
	s_cbranch_execz .LBB35_587
.LBB35_586:
	v_lshlrev_b32_e32 v31, 3, v0
	v_mov_b32_e32 v33, 0
	ds_read_b64 v[31:32], v31 offset:18208
	ds_read_b64 v[33:34], v33 offset:16664
	s_waitcnt lgkmcnt(0)
	v_fma_f64 v[11:12], v[31:32], v[33:34], v[11:12]
.LBB35_587:
	s_or_b64 exec, exec, s[0:1]
	v_xor_b32_e32 v12, 0x80000000, v12
.LBB35_588:
	s_or_b64 exec, exec, s[14:15]
	s_and_saveexec_b64 s[0:1], s[42:43]
	s_cbranch_execz .LBB35_590
; %bb.589:
	v_mov_b32_e32 v31, 0
	ds_read_b64 v[31:32], v31 offset:18720
	s_waitcnt lgkmcnt(0)
	v_mul_f64 v[11:12], v[11:12], v[31:32]
	ds_write_b64 v18, v[11:12]
.LBB35_590:
	s_or_b64 exec, exec, s[0:1]
	s_waitcnt lgkmcnt(0)
	s_barrier
	s_and_saveexec_b64 s[0:1], s[44:45]
	s_cbranch_execz .LBB35_592
; %bb.591:
	ds_read_b64 v[31:32], v17 offset:18720
	ds_read_b64 v[33:34], v18
	s_waitcnt lgkmcnt(0)
	v_fma_f64 v[11:12], v[31:32], v[33:34], v[11:12]
.LBB35_592:
	s_or_b64 exec, exec, s[0:1]
	s_barrier
	s_and_saveexec_b64 s[0:1], s[52:53]
	s_cbranch_execz .LBB35_594
; %bb.593:
	v_mov_b32_e32 v31, 0
	ds_read_b64 v[31:32], v31 offset:19240
	s_waitcnt lgkmcnt(0)
	v_mul_f64 v[11:12], v[11:12], v[31:32]
	ds_write_b64 v18, v[11:12]
.LBB35_594:
	s_or_b64 exec, exec, s[0:1]
	s_waitcnt lgkmcnt(0)
	s_barrier
	s_and_saveexec_b64 s[0:1], s[54:55]
	s_cbranch_execz .LBB35_596
; %bb.595:
	ds_read_b64 v[31:32], v17 offset:19232
	ds_read_b64 v[33:34], v18
	s_waitcnt lgkmcnt(0)
	v_fma_f64 v[11:12], v[31:32], v[33:34], v[11:12]
.LBB35_596:
	s_or_b64 exec, exec, s[0:1]
	s_barrier
	s_and_saveexec_b64 s[0:1], s[56:57]
	s_cbranch_execz .LBB35_598
; %bb.597:
	v_mov_b32_e32 v31, 0
	ds_read_b64 v[31:32], v31 offset:19760
	s_waitcnt lgkmcnt(0)
	v_mul_f64 v[11:12], v[11:12], v[31:32]
	ds_write_b64 v18, v[11:12]
.LBB35_598:
	s_or_b64 exec, exec, s[0:1]
	s_waitcnt lgkmcnt(0)
	s_barrier
	s_and_saveexec_b64 s[0:1], s[38:39]
	s_cbranch_execz .LBB35_600
; %bb.599:
	v_mov_b32_e32 v31, 0
	ds_read_b64 v[31:32], v31 offset:19768
	ds_read_b64 v[33:34], v18
	s_waitcnt lgkmcnt(0)
	v_fma_f64 v[11:12], v[31:32], v[33:34], v[11:12]
.LBB35_600:
	s_or_b64 exec, exec, s[0:1]
	s_barrier
	s_and_saveexec_b64 s[0:1], s[38:39]
	s_cbranch_execz .LBB35_602
; %bb.601:
	v_mov_b32_e32 v31, 0
	ds_read_b64 v[31:32], v31 offset:20280
	s_waitcnt lgkmcnt(0)
	v_mul_f64 v[11:12], v[11:12], v[31:32]
	ds_write_b64 v18, v[11:12]
.LBB35_602:
	s_or_b64 exec, exec, s[0:1]
	s_waitcnt lgkmcnt(0)
	s_barrier
	s_barrier
	s_and_saveexec_b64 s[0:1], s[18:19]
; %bb.603:
	v_xor_b32_e32 v12, 0x80000000, v12
	ds_write_b64 v16, v[11:12] offset:16672
; %bb.604:
	s_or_b64 exec, exec, s[0:1]
	s_waitcnt lgkmcnt(0)
	s_barrier
	s_barrier
	s_and_saveexec_b64 s[12:13], s[58:59]
	s_cbranch_execz .LBB35_606
; %bb.605:
	v_lshlrev_b32_e32 v31, 9, v0
	ds_read_b64 v[11:12], v31 offset:16672
	s_movk_i32 s0, 0xfe08
	v_mad_i32_i24 v32, v0, s0, v31
	s_waitcnt lgkmcnt(0)
	ds_write_b64 v32, v[11:12] offset:18688
	ds_read_b64 v[11:12], v31 offset:16680
	s_waitcnt lgkmcnt(0)
	ds_write_b64 v32, v[11:12] offset:19200
	ds_read_b64 v[11:12], v31 offset:16688
	;; [unrolled: 3-line block ×3, first 2 shown]
	s_waitcnt lgkmcnt(0)
	ds_write_b64 v32, v[11:12] offset:20224
.LBB35_606:
	s_or_b64 exec, exec, s[12:13]
	s_waitcnt lgkmcnt(0)
	s_barrier
	s_and_saveexec_b64 s[12:13], vcc
	s_cbranch_execz .LBB35_608
; %bb.607:
	v_mov_b32_e32 v11, 0
	ds_read_b128 v[31:34], v11 offset:18720
	ds_read_b64 v[11:12], v11 offset:19240
	s_movk_i32 s0, 0x4800
	s_waitcnt lgkmcnt(0)
	v_mul_f64 v[11:12], v[31:32], v[11:12]
	v_add_u32_e64 v31, s0, 0
	v_mul_f64 v[11:12], v[33:34], v[11:12]
	ds_write2_b64 v31, v[11:12], v[11:12] offset0:37 offset1:100
.LBB35_608:
	s_or_b64 exec, exec, s[12:13]
	v_mov_b32_e32 v11, 0
	v_mov_b32_e32 v12, 0
	s_waitcnt lgkmcnt(0)
	s_barrier
	s_and_saveexec_b64 s[14:15], s[2:3]
	s_cbranch_execz .LBB35_612
; %bb.609:
	v_mul_u32_u24_e32 v31, 0x208, v15
	ds_read_b64 v[11:12], v1 offset:18736
	ds_read_b64 v[31:32], v31 offset:18720
	v_cmp_gt_u32_e64 s[12:13], 2, v14
	s_waitcnt lgkmcnt(0)
	v_fma_f64 v[11:12], v[11:12], v[31:32], 0
	s_and_saveexec_b64 s[16:17], s[12:13]
	s_cbranch_execz .LBB35_611
; %bb.610:
	v_lshlrev_b32_e32 v31, 3, v0
	v_mov_b32_e32 v33, 0
	ds_read_b64 v[31:32], v31 offset:19248
	ds_read_b64 v[33:34], v33 offset:18728
	s_waitcnt lgkmcnt(0)
	v_fma_f64 v[11:12], v[31:32], v[33:34], v[11:12]
.LBB35_611:
	s_or_b64 exec, exec, s[16:17]
	v_xor_b32_e32 v12, 0x80000000, v12
.LBB35_612:
	s_or_b64 exec, exec, s[14:15]
	s_and_saveexec_b64 s[0:1], s[34:35]
	s_cbranch_execz .LBB35_614
; %bb.613:
	v_mov_b32_e32 v31, 0
	ds_read_b64 v[31:32], v31 offset:19760
	s_waitcnt lgkmcnt(0)
	v_mul_f64 v[11:12], v[11:12], v[31:32]
	ds_write_b64 v13, v[11:12]
.LBB35_614:
	s_or_b64 exec, exec, s[0:1]
	s_waitcnt lgkmcnt(0)
	s_barrier
	s_and_saveexec_b64 s[0:1], s[30:31]
	s_cbranch_execz .LBB35_616
; %bb.615:
	v_mov_b32_e32 v31, 0
	ds_read_b64 v[31:32], v31 offset:19768
	ds_read_b64 v[33:34], v13
	s_waitcnt lgkmcnt(0)
	v_fma_f64 v[11:12], v[31:32], v[33:34], v[11:12]
.LBB35_616:
	s_or_b64 exec, exec, s[0:1]
	s_barrier
	s_and_saveexec_b64 s[0:1], s[30:31]
	s_cbranch_execz .LBB35_618
; %bb.617:
	v_mov_b32_e32 v31, 0
	ds_read_b64 v[31:32], v31 offset:20280
	s_waitcnt lgkmcnt(0)
	v_mul_f64 v[11:12], v[11:12], v[31:32]
	ds_write_b64 v13, v[11:12]
.LBB35_618:
	s_or_b64 exec, exec, s[0:1]
	s_waitcnt lgkmcnt(0)
	s_barrier
	s_barrier
	s_and_saveexec_b64 s[0:1], s[2:3]
; %bb.619:
	v_xor_b32_e32 v12, 0x80000000, v12
	ds_write_b64 v1, v[11:12] offset:18736
; %bb.620:
	s_or_b64 exec, exec, s[0:1]
	s_waitcnt lgkmcnt(0)
	s_barrier
	s_barrier
	s_and_saveexec_b64 s[0:1], s[36:37]
	s_cbranch_execz .LBB35_622
; %bb.621:
	v_lshlrev_b32_e32 v31, 3, v0
	s_movk_i32 s12, 0x1f8
	v_mad_u32_u24 v32, v0, s12, v31
	ds_read_b64 v[11:12], v32 offset:18736
	s_waitcnt lgkmcnt(0)
	ds_write_b64 v31, v[11:12] offset:19744
	ds_read_b64 v[11:12], v32 offset:18744
	s_waitcnt lgkmcnt(0)
	ds_write_b64 v31, v[11:12] offset:20256
.LBB35_622:
	s_or_b64 exec, exec, s[0:1]
	s_waitcnt lgkmcnt(0)
	s_barrier
	s_and_saveexec_b64 s[12:13], vcc
	s_cbranch_execz .LBB35_624
; %bb.623:
	v_mov_b32_e32 v11, 0
	ds_read_b128 v[31:34], v11 offset:19760
	ds_read_b64 v[11:12], v11 offset:20280
	s_movk_i32 s0, 0x4800
	s_waitcnt lgkmcnt(0)
	v_mul_f64 v[11:12], v[31:32], v[11:12]
	v_add_u32_e64 v31, s0, 0
	v_mul_f64 v[11:12], v[33:34], v[11:12]
	ds_write2_b64 v31, v[11:12], v[11:12] offset0:167 offset1:230
.LBB35_624:
	s_or_b64 exec, exec, s[12:13]
	v_mov_b32_e32 v11, 0
	v_mov_b32_e32 v12, 0
	s_waitcnt lgkmcnt(0)
	s_barrier
	s_and_saveexec_b64 s[14:15], s[8:9]
	s_cbranch_execz .LBB35_634
; %bb.625:
	v_mul_u32_u24_e32 v31, 0x208, v25
	ds_read_b64 v[11:12], v21 offset:16704
	ds_read_b64 v[32:33], v31 offset:16640
	v_cmp_gt_u32_e64 s[12:13], 56, v14
	s_waitcnt lgkmcnt(0)
	v_fma_f64 v[11:12], v[11:12], v[32:33], 0
	s_and_saveexec_b64 s[16:17], s[12:13]
	s_cbranch_execnz .LBB35_1125
; %bb.626:
	s_or_b64 exec, exec, s[16:17]
	v_cmp_gt_u32_e64 s[12:13], 48, v14
	s_and_saveexec_b64 s[0:1], s[12:13]
	s_cbranch_execnz .LBB35_1126
.LBB35_627:
	s_or_b64 exec, exec, s[0:1]
	v_cmp_gt_u32_e64 s[12:13], 40, v14
	s_and_saveexec_b64 s[0:1], s[12:13]
	s_cbranch_execnz .LBB35_1127
.LBB35_628:
	s_or_b64 exec, exec, s[0:1]
	v_cmp_gt_u32_e64 s[12:13], 32, v14
	s_and_saveexec_b64 s[0:1], s[12:13]
	s_cbranch_execnz .LBB35_1128
.LBB35_629:
	s_or_b64 exec, exec, s[0:1]
	v_cmp_gt_u32_e64 s[12:13], 24, v14
	s_and_saveexec_b64 s[0:1], s[12:13]
	s_cbranch_execnz .LBB35_1129
.LBB35_630:
	s_or_b64 exec, exec, s[0:1]
	v_cmp_gt_u32_e64 s[12:13], 16, v14
	s_and_saveexec_b64 s[0:1], s[12:13]
	s_cbranch_execnz .LBB35_1130
.LBB35_631:
	s_or_b64 exec, exec, s[0:1]
	v_cmp_gt_u32_e64 s[12:13], 8, v14
	s_and_saveexec_b64 s[0:1], s[12:13]
	s_cbranch_execz .LBB35_633
.LBB35_632:
	v_lshlrev_b32_e32 v31, 3, v0
	v_mov_b32_e32 v33, 0
	ds_read_b64 v[31:32], v31 offset:20288
	ds_read_b64 v[33:34], v33 offset:16696
	s_waitcnt lgkmcnt(0)
	v_fma_f64 v[11:12], v[31:32], v[33:34], v[11:12]
.LBB35_633:
	s_or_b64 exec, exec, s[0:1]
	v_xor_b32_e32 v12, 0x80000000, v12
.LBB35_634:
	s_or_b64 exec, exec, s[14:15]
	s_and_saveexec_b64 s[0:1], s[60:61]
	s_cbranch_execz .LBB35_636
; %bb.635:
	v_mov_b32_e32 v31, 0
	ds_read_b64 v[31:32], v31 offset:20800
	s_waitcnt lgkmcnt(0)
	v_mul_f64 v[11:12], v[11:12], v[31:32]
	ds_write_b64 v23, v[11:12]
.LBB35_636:
	s_or_b64 exec, exec, s[0:1]
	s_waitcnt lgkmcnt(0)
	s_barrier
	s_and_saveexec_b64 s[0:1], s[62:63]
	s_cbranch_execz .LBB35_638
; %bb.637:
	ds_read_b64 v[31:32], v22 offset:20800
	ds_read_b64 v[33:34], v23
	s_waitcnt lgkmcnt(0)
	v_fma_f64 v[11:12], v[31:32], v[33:34], v[11:12]
.LBB35_638:
	s_or_b64 exec, exec, s[0:1]
	s_barrier
	s_and_saveexec_b64 s[0:1], s[64:65]
	s_cbranch_execz .LBB35_640
; %bb.639:
	v_mov_b32_e32 v31, 0
	ds_read_b64 v[31:32], v31 offset:21320
	s_waitcnt lgkmcnt(0)
	v_mul_f64 v[11:12], v[11:12], v[31:32]
	ds_write_b64 v23, v[11:12]
.LBB35_640:
	s_or_b64 exec, exec, s[0:1]
	s_waitcnt lgkmcnt(0)
	s_barrier
	s_and_saveexec_b64 s[0:1], s[66:67]
	s_cbranch_execz .LBB35_642
; %bb.641:
	ds_read_b64 v[31:32], v22 offset:21312
	ds_read_b64 v[33:34], v23
	s_waitcnt lgkmcnt(0)
	v_fma_f64 v[11:12], v[31:32], v[33:34], v[11:12]
.LBB35_642:
	s_or_b64 exec, exec, s[0:1]
	s_barrier
	;; [unrolled: 22-line block ×6, first 2 shown]
	s_and_saveexec_b64 s[0:1], s[86:87]
	s_cbranch_execz .LBB35_660
; %bb.659:
	v_mov_b32_e32 v31, 0
	ds_read_b64 v[31:32], v31 offset:23920
	s_waitcnt lgkmcnt(0)
	v_mul_f64 v[11:12], v[11:12], v[31:32]
	ds_write_b64 v23, v[11:12]
.LBB35_660:
	s_or_b64 exec, exec, s[0:1]
	s_waitcnt lgkmcnt(0)
	s_barrier
	s_and_saveexec_b64 s[0:1], s[70:71]
	s_cbranch_execz .LBB35_662
; %bb.661:
	v_mov_b32_e32 v31, 0
	ds_read_b64 v[31:32], v31 offset:23928
	ds_read_b64 v[33:34], v23
	s_waitcnt lgkmcnt(0)
	v_fma_f64 v[11:12], v[31:32], v[33:34], v[11:12]
.LBB35_662:
	s_or_b64 exec, exec, s[0:1]
	s_barrier
	s_and_saveexec_b64 s[0:1], s[70:71]
	s_cbranch_execz .LBB35_664
; %bb.663:
	v_mov_b32_e32 v31, 0
	ds_read_b64 v[31:32], v31 offset:24440
	s_waitcnt lgkmcnt(0)
	v_mul_f64 v[11:12], v[11:12], v[31:32]
	ds_write_b64 v23, v[11:12]
.LBB35_664:
	s_or_b64 exec, exec, s[0:1]
	s_waitcnt lgkmcnt(0)
	s_barrier
	s_barrier
	s_and_saveexec_b64 s[0:1], s[8:9]
; %bb.665:
	v_xor_b32_e32 v12, 0x80000000, v12
	ds_write_b64 v21, v[11:12] offset:16704
; %bb.666:
	s_or_b64 exec, exec, s[0:1]
	s_waitcnt lgkmcnt(0)
	s_barrier
	s_barrier
	s_and_saveexec_b64 s[12:13], s[88:89]
	s_cbranch_execz .LBB35_668
; %bb.667:
	v_lshlrev_b32_e32 v31, 9, v0
	ds_read_b64 v[11:12], v31 offset:16704
	s_movk_i32 s0, 0xfe08
	v_mad_i32_i24 v32, v0, s0, v31
	s_waitcnt lgkmcnt(0)
	ds_write_b64 v32, v[11:12] offset:20736
	ds_read_b64 v[11:12], v31 offset:16712
	s_waitcnt lgkmcnt(0)
	ds_write_b64 v32, v[11:12] offset:21248
	ds_read_b64 v[11:12], v31 offset:16720
	;; [unrolled: 3-line block ×7, first 2 shown]
	s_waitcnt lgkmcnt(0)
	ds_write_b64 v32, v[11:12] offset:24320
.LBB35_668:
	s_or_b64 exec, exec, s[12:13]
	s_waitcnt lgkmcnt(0)
	s_barrier
	s_and_saveexec_b64 s[12:13], vcc
	s_cbranch_execz .LBB35_670
; %bb.669:
	v_mov_b32_e32 v11, 0
	ds_read_b128 v[31:34], v11 offset:20800
	ds_read_b64 v[11:12], v11 offset:21320
	s_movk_i32 s0, 0x5000
	s_waitcnt lgkmcnt(0)
	v_mul_f64 v[11:12], v[31:32], v[11:12]
	v_add_u32_e64 v31, s0, 0
	v_mul_f64 v[11:12], v[33:34], v[11:12]
	ds_write2_b64 v31, v[11:12], v[11:12] offset0:41 offset1:104
.LBB35_670:
	s_or_b64 exec, exec, s[12:13]
	v_mov_b32_e32 v11, 0
	v_mov_b32_e32 v12, 0
	s_waitcnt lgkmcnt(0)
	s_barrier
	s_and_saveexec_b64 s[14:15], s[2:3]
	s_cbranch_execz .LBB35_674
; %bb.671:
	v_mul_u32_u24_e32 v31, 0x208, v15
	ds_read_b64 v[11:12], v1 offset:20816
	ds_read_b64 v[31:32], v31 offset:20800
	v_cmp_gt_u32_e64 s[12:13], 2, v14
	s_waitcnt lgkmcnt(0)
	v_fma_f64 v[11:12], v[11:12], v[31:32], 0
	s_and_saveexec_b64 s[16:17], s[12:13]
	s_cbranch_execz .LBB35_673
; %bb.672:
	v_lshlrev_b32_e32 v31, 3, v0
	v_mov_b32_e32 v33, 0
	ds_read_b64 v[31:32], v31 offset:21328
	ds_read_b64 v[33:34], v33 offset:20808
	s_waitcnt lgkmcnt(0)
	v_fma_f64 v[11:12], v[31:32], v[33:34], v[11:12]
.LBB35_673:
	s_or_b64 exec, exec, s[16:17]
	v_xor_b32_e32 v12, 0x80000000, v12
.LBB35_674:
	s_or_b64 exec, exec, s[14:15]
	s_and_saveexec_b64 s[0:1], s[34:35]
	s_cbranch_execz .LBB35_676
; %bb.675:
	v_mov_b32_e32 v31, 0
	ds_read_b64 v[31:32], v31 offset:21840
	s_waitcnt lgkmcnt(0)
	v_mul_f64 v[11:12], v[11:12], v[31:32]
	ds_write_b64 v13, v[11:12]
.LBB35_676:
	s_or_b64 exec, exec, s[0:1]
	s_waitcnt lgkmcnt(0)
	s_barrier
	s_and_saveexec_b64 s[0:1], s[30:31]
	s_cbranch_execz .LBB35_678
; %bb.677:
	v_mov_b32_e32 v31, 0
	ds_read_b64 v[31:32], v31 offset:21848
	ds_read_b64 v[33:34], v13
	s_waitcnt lgkmcnt(0)
	v_fma_f64 v[11:12], v[31:32], v[33:34], v[11:12]
.LBB35_678:
	s_or_b64 exec, exec, s[0:1]
	s_barrier
	s_and_saveexec_b64 s[0:1], s[30:31]
	s_cbranch_execz .LBB35_680
; %bb.679:
	v_mov_b32_e32 v31, 0
	ds_read_b64 v[31:32], v31 offset:22360
	s_waitcnt lgkmcnt(0)
	v_mul_f64 v[11:12], v[11:12], v[31:32]
	ds_write_b64 v13, v[11:12]
.LBB35_680:
	s_or_b64 exec, exec, s[0:1]
	s_waitcnt lgkmcnt(0)
	s_barrier
	s_barrier
	s_and_saveexec_b64 s[0:1], s[2:3]
; %bb.681:
	v_xor_b32_e32 v12, 0x80000000, v12
	ds_write_b64 v1, v[11:12] offset:20816
; %bb.682:
	s_or_b64 exec, exec, s[0:1]
	s_waitcnt lgkmcnt(0)
	s_barrier
	s_barrier
	s_and_saveexec_b64 s[0:1], s[36:37]
	s_cbranch_execz .LBB35_684
; %bb.683:
	v_lshlrev_b32_e32 v31, 3, v0
	s_movk_i32 s12, 0x1f8
	v_mad_u32_u24 v32, v0, s12, v31
	ds_read_b64 v[11:12], v32 offset:20816
	s_waitcnt lgkmcnt(0)
	ds_write_b64 v31, v[11:12] offset:21824
	ds_read_b64 v[11:12], v32 offset:20824
	s_waitcnt lgkmcnt(0)
	ds_write_b64 v31, v[11:12] offset:22336
.LBB35_684:
	s_or_b64 exec, exec, s[0:1]
	s_waitcnt lgkmcnt(0)
	s_barrier
	s_and_saveexec_b64 s[12:13], vcc
	s_cbranch_execz .LBB35_686
; %bb.685:
	v_mov_b32_e32 v11, 0
	ds_read_b128 v[31:34], v11 offset:21840
	ds_read_b64 v[11:12], v11 offset:22360
	s_movk_i32 s0, 0x5000
	s_waitcnt lgkmcnt(0)
	v_mul_f64 v[11:12], v[31:32], v[11:12]
	v_add_u32_e64 v31, s0, 0
	v_mul_f64 v[11:12], v[33:34], v[11:12]
	ds_write2_b64 v31, v[11:12], v[11:12] offset0:171 offset1:234
.LBB35_686:
	s_or_b64 exec, exec, s[12:13]
	v_mov_b32_e32 v11, 0
	v_mov_b32_e32 v12, 0
	s_waitcnt lgkmcnt(0)
	s_barrier
	s_and_saveexec_b64 s[14:15], s[18:19]
	s_cbranch_execz .LBB35_692
; %bb.687:
	v_mul_u32_u24_e32 v31, 0x208, v20
	ds_read_b64 v[11:12], v16 offset:20832
	ds_read_b64 v[32:33], v31 offset:20800
	v_cmp_gt_u32_e64 s[12:13], 12, v14
	s_waitcnt lgkmcnt(0)
	v_fma_f64 v[11:12], v[11:12], v[32:33], 0
	s_and_saveexec_b64 s[16:17], s[12:13]
	s_cbranch_execnz .LBB35_1131
; %bb.688:
	s_or_b64 exec, exec, s[16:17]
	v_cmp_gt_u32_e64 s[12:13], 8, v14
	s_and_saveexec_b64 s[0:1], s[12:13]
	s_cbranch_execnz .LBB35_1132
.LBB35_689:
	s_or_b64 exec, exec, s[0:1]
	v_cmp_gt_u32_e64 s[12:13], 4, v14
	s_and_saveexec_b64 s[0:1], s[12:13]
	s_cbranch_execz .LBB35_691
.LBB35_690:
	v_lshlrev_b32_e32 v31, 3, v0
	v_mov_b32_e32 v33, 0
	ds_read_b64 v[31:32], v31 offset:22368
	ds_read_b64 v[33:34], v33 offset:20824
	s_waitcnt lgkmcnt(0)
	v_fma_f64 v[11:12], v[31:32], v[33:34], v[11:12]
.LBB35_691:
	s_or_b64 exec, exec, s[0:1]
	v_xor_b32_e32 v12, 0x80000000, v12
.LBB35_692:
	s_or_b64 exec, exec, s[14:15]
	s_and_saveexec_b64 s[0:1], s[42:43]
	s_cbranch_execz .LBB35_694
; %bb.693:
	v_mov_b32_e32 v31, 0
	ds_read_b64 v[31:32], v31 offset:22880
	s_waitcnt lgkmcnt(0)
	v_mul_f64 v[11:12], v[11:12], v[31:32]
	ds_write_b64 v18, v[11:12]
.LBB35_694:
	s_or_b64 exec, exec, s[0:1]
	s_waitcnt lgkmcnt(0)
	s_barrier
	s_and_saveexec_b64 s[0:1], s[44:45]
	s_cbranch_execz .LBB35_696
; %bb.695:
	ds_read_b64 v[31:32], v17 offset:22880
	ds_read_b64 v[33:34], v18
	s_waitcnt lgkmcnt(0)
	v_fma_f64 v[11:12], v[31:32], v[33:34], v[11:12]
.LBB35_696:
	s_or_b64 exec, exec, s[0:1]
	s_barrier
	s_and_saveexec_b64 s[0:1], s[52:53]
	s_cbranch_execz .LBB35_698
; %bb.697:
	v_mov_b32_e32 v31, 0
	ds_read_b64 v[31:32], v31 offset:23400
	s_waitcnt lgkmcnt(0)
	v_mul_f64 v[11:12], v[11:12], v[31:32]
	ds_write_b64 v18, v[11:12]
.LBB35_698:
	s_or_b64 exec, exec, s[0:1]
	s_waitcnt lgkmcnt(0)
	s_barrier
	s_and_saveexec_b64 s[0:1], s[54:55]
	s_cbranch_execz .LBB35_700
; %bb.699:
	ds_read_b64 v[31:32], v17 offset:23392
	ds_read_b64 v[33:34], v18
	s_waitcnt lgkmcnt(0)
	v_fma_f64 v[11:12], v[31:32], v[33:34], v[11:12]
.LBB35_700:
	s_or_b64 exec, exec, s[0:1]
	s_barrier
	s_and_saveexec_b64 s[0:1], s[56:57]
	s_cbranch_execz .LBB35_702
; %bb.701:
	v_mov_b32_e32 v31, 0
	ds_read_b64 v[31:32], v31 offset:23920
	s_waitcnt lgkmcnt(0)
	v_mul_f64 v[11:12], v[11:12], v[31:32]
	ds_write_b64 v18, v[11:12]
.LBB35_702:
	s_or_b64 exec, exec, s[0:1]
	s_waitcnt lgkmcnt(0)
	s_barrier
	s_and_saveexec_b64 s[0:1], s[38:39]
	s_cbranch_execz .LBB35_704
; %bb.703:
	v_mov_b32_e32 v31, 0
	ds_read_b64 v[31:32], v31 offset:23928
	ds_read_b64 v[33:34], v18
	s_waitcnt lgkmcnt(0)
	v_fma_f64 v[11:12], v[31:32], v[33:34], v[11:12]
.LBB35_704:
	s_or_b64 exec, exec, s[0:1]
	s_barrier
	s_and_saveexec_b64 s[0:1], s[38:39]
	s_cbranch_execz .LBB35_706
; %bb.705:
	v_mov_b32_e32 v31, 0
	ds_read_b64 v[31:32], v31 offset:24440
	s_waitcnt lgkmcnt(0)
	v_mul_f64 v[11:12], v[11:12], v[31:32]
	ds_write_b64 v18, v[11:12]
.LBB35_706:
	s_or_b64 exec, exec, s[0:1]
	s_waitcnt lgkmcnt(0)
	s_barrier
	s_barrier
	s_and_saveexec_b64 s[0:1], s[18:19]
; %bb.707:
	v_xor_b32_e32 v12, 0x80000000, v12
	ds_write_b64 v16, v[11:12] offset:20832
; %bb.708:
	s_or_b64 exec, exec, s[0:1]
	s_waitcnt lgkmcnt(0)
	s_barrier
	s_barrier
	s_and_saveexec_b64 s[12:13], s[58:59]
	s_cbranch_execz .LBB35_710
; %bb.709:
	v_lshlrev_b32_e32 v31, 9, v0
	ds_read_b64 v[11:12], v31 offset:20832
	s_movk_i32 s0, 0xfe08
	v_mad_i32_i24 v32, v0, s0, v31
	s_waitcnt lgkmcnt(0)
	ds_write_b64 v32, v[11:12] offset:22848
	ds_read_b64 v[11:12], v31 offset:20840
	s_waitcnt lgkmcnt(0)
	ds_write_b64 v32, v[11:12] offset:23360
	ds_read_b64 v[11:12], v31 offset:20848
	;; [unrolled: 3-line block ×3, first 2 shown]
	s_waitcnt lgkmcnt(0)
	ds_write_b64 v32, v[11:12] offset:24384
.LBB35_710:
	s_or_b64 exec, exec, s[12:13]
	s_waitcnt lgkmcnt(0)
	s_barrier
	s_and_saveexec_b64 s[12:13], vcc
	s_cbranch_execz .LBB35_712
; %bb.711:
	v_mov_b32_e32 v11, 0
	ds_read_b128 v[31:34], v11 offset:22880
	ds_read_b64 v[11:12], v11 offset:23400
	s_movk_i32 s0, 0x5800
	s_waitcnt lgkmcnt(0)
	v_mul_f64 v[11:12], v[31:32], v[11:12]
	v_add_u32_e64 v31, s0, 0
	v_mul_f64 v[11:12], v[33:34], v[11:12]
	ds_write2_b64 v31, v[11:12], v[11:12] offset0:45 offset1:108
.LBB35_712:
	s_or_b64 exec, exec, s[12:13]
	v_mov_b32_e32 v11, 0
	v_mov_b32_e32 v12, 0
	s_waitcnt lgkmcnt(0)
	s_barrier
	s_and_saveexec_b64 s[14:15], s[2:3]
	s_cbranch_execz .LBB35_716
; %bb.713:
	v_mul_u32_u24_e32 v31, 0x208, v15
	ds_read_b64 v[11:12], v1 offset:22896
	ds_read_b64 v[31:32], v31 offset:22880
	v_cmp_gt_u32_e64 s[12:13], 2, v14
	s_waitcnt lgkmcnt(0)
	v_fma_f64 v[11:12], v[11:12], v[31:32], 0
	s_and_saveexec_b64 s[16:17], s[12:13]
	s_cbranch_execz .LBB35_715
; %bb.714:
	v_lshlrev_b32_e32 v31, 3, v0
	v_mov_b32_e32 v33, 0
	ds_read_b64 v[31:32], v31 offset:23408
	ds_read_b64 v[33:34], v33 offset:22888
	s_waitcnt lgkmcnt(0)
	v_fma_f64 v[11:12], v[31:32], v[33:34], v[11:12]
.LBB35_715:
	s_or_b64 exec, exec, s[16:17]
	v_xor_b32_e32 v12, 0x80000000, v12
.LBB35_716:
	s_or_b64 exec, exec, s[14:15]
	s_and_saveexec_b64 s[0:1], s[34:35]
	s_cbranch_execz .LBB35_718
; %bb.717:
	v_mov_b32_e32 v31, 0
	ds_read_b64 v[31:32], v31 offset:23920
	s_waitcnt lgkmcnt(0)
	v_mul_f64 v[11:12], v[11:12], v[31:32]
	ds_write_b64 v13, v[11:12]
.LBB35_718:
	s_or_b64 exec, exec, s[0:1]
	s_waitcnt lgkmcnt(0)
	s_barrier
	s_and_saveexec_b64 s[0:1], s[30:31]
	s_cbranch_execz .LBB35_720
; %bb.719:
	v_mov_b32_e32 v31, 0
	ds_read_b64 v[31:32], v31 offset:23928
	ds_read_b64 v[33:34], v13
	s_waitcnt lgkmcnt(0)
	v_fma_f64 v[11:12], v[31:32], v[33:34], v[11:12]
.LBB35_720:
	s_or_b64 exec, exec, s[0:1]
	s_barrier
	s_and_saveexec_b64 s[0:1], s[30:31]
	s_cbranch_execz .LBB35_722
; %bb.721:
	v_mov_b32_e32 v31, 0
	ds_read_b64 v[31:32], v31 offset:24440
	s_waitcnt lgkmcnt(0)
	v_mul_f64 v[11:12], v[11:12], v[31:32]
	ds_write_b64 v13, v[11:12]
.LBB35_722:
	s_or_b64 exec, exec, s[0:1]
	s_waitcnt lgkmcnt(0)
	s_barrier
	s_barrier
	s_and_saveexec_b64 s[0:1], s[2:3]
; %bb.723:
	v_xor_b32_e32 v12, 0x80000000, v12
	ds_write_b64 v1, v[11:12] offset:22896
; %bb.724:
	s_or_b64 exec, exec, s[0:1]
	s_waitcnt lgkmcnt(0)
	s_barrier
	s_barrier
	s_and_saveexec_b64 s[0:1], s[36:37]
	s_cbranch_execz .LBB35_726
; %bb.725:
	v_lshlrev_b32_e32 v31, 3, v0
	s_movk_i32 s12, 0x1f8
	v_mad_u32_u24 v32, v0, s12, v31
	ds_read_b64 v[11:12], v32 offset:22896
	s_waitcnt lgkmcnt(0)
	ds_write_b64 v31, v[11:12] offset:23904
	ds_read_b64 v[11:12], v32 offset:22904
	s_waitcnt lgkmcnt(0)
	ds_write_b64 v31, v[11:12] offset:24416
.LBB35_726:
	s_or_b64 exec, exec, s[0:1]
	s_waitcnt lgkmcnt(0)
	s_barrier
	s_and_saveexec_b64 s[12:13], vcc
	s_cbranch_execz .LBB35_728
; %bb.727:
	v_mov_b32_e32 v11, 0
	ds_read_b128 v[31:34], v11 offset:23920
	ds_read_b64 v[11:12], v11 offset:24440
	s_movk_i32 s0, 0x5800
	s_waitcnt lgkmcnt(0)
	v_mul_f64 v[11:12], v[31:32], v[11:12]
	v_add_u32_e64 v31, s0, 0
	v_mul_f64 v[11:12], v[33:34], v[11:12]
	ds_write2_b64 v31, v[11:12], v[11:12] offset0:175 offset1:238
.LBB35_728:
	s_or_b64 exec, exec, s[12:13]
	v_mov_b32_e32 v11, 0
	v_mov_b32_e32 v12, 0
	s_waitcnt lgkmcnt(0)
	s_barrier
	s_and_saveexec_b64 s[14:15], s[10:11]
	s_cbranch_execz .LBB35_756
; %bb.729:
	v_mul_u32_u24_e32 v31, 0x208, v30
	ds_read_b64 v[11:12], v26 offset:16768
	ds_read_b64 v[32:33], v31 offset:16640
	s_movk_i32 s0, 0xf0
	v_cmp_gt_u32_e64 s[12:13], s0, v14
	s_waitcnt lgkmcnt(0)
	v_fma_f64 v[11:12], v[11:12], v[32:33], 0
	s_and_saveexec_b64 s[16:17], s[12:13]
	s_cbranch_execz .LBB35_731
; %bb.730:
	v_lshlrev_b32_e32 v32, 3, v30
	v_sub_u32_e32 v32, v31, v32
	v_lshl_add_u32 v32, v27, 3, v32
	ds_read_b64 v[32:33], v32 offset:17280
	ds_read_b64 v[34:35], v31 offset:16648
	s_waitcnt lgkmcnt(0)
	v_fma_f64 v[11:12], v[32:33], v[34:35], v[11:12]
.LBB35_731:
	s_or_b64 exec, exec, s[16:17]
	s_movk_i32 s0, 0xe0
	v_cmp_gt_u32_e64 s[12:13], s0, v14
	s_and_saveexec_b64 s[0:1], s[12:13]
	s_cbranch_execz .LBB35_733
; %bb.732:
	v_lshlrev_b32_e32 v32, 3, v30
	v_sub_u32_e32 v32, v31, v32
	v_lshl_add_u32 v32, v27, 3, v32
	ds_read_b64 v[32:33], v32 offset:17792
	ds_read_b64 v[34:35], v31 offset:16656
	s_waitcnt lgkmcnt(0)
	v_fma_f64 v[11:12], v[32:33], v[34:35], v[11:12]
.LBB35_733:
	s_or_b64 exec, exec, s[0:1]
	s_movk_i32 s0, 0xd0
	v_cmp_gt_u32_e64 s[12:13], s0, v14
	;; [unrolled: 14-line block ×7, first 2 shown]
	s_and_saveexec_b64 s[0:1], s[12:13]
	s_cbranch_execz .LBB35_745
; %bb.744:
	ds_read_b64 v[32:33], v26 offset:20864
	ds_read_b64 v[34:35], v31 offset:16704
	s_waitcnt lgkmcnt(0)
	v_fma_f64 v[11:12], v[32:33], v[34:35], v[11:12]
.LBB35_745:
	s_or_b64 exec, exec, s[0:1]
	s_movk_i32 s0, 0x70
	v_cmp_gt_u32_e64 s[12:13], s0, v14
	s_and_saveexec_b64 s[0:1], s[12:13]
	s_cbranch_execz .LBB35_747
; %bb.746:
	v_lshlrev_b32_e32 v30, 3, v27
	v_lshl_add_u32 v30, v29, 3, v30
	ds_read_b64 v[32:33], v30 offset:21376
	ds_read_b64 v[34:35], v31 offset:16712
	s_waitcnt lgkmcnt(0)
	v_fma_f64 v[11:12], v[32:33], v[34:35], v[11:12]
.LBB35_747:
	s_or_b64 exec, exec, s[0:1]
	s_movk_i32 s0, 0x60
	v_cmp_gt_u32_e64 s[12:13], s0, v14
	s_and_saveexec_b64 s[0:1], s[12:13]
	s_cbranch_execz .LBB35_749
; %bb.748:
	v_lshlrev_b32_e32 v30, 3, v27
	v_lshl_add_u32 v30, v29, 3, v30
	ds_read_b64 v[32:33], v30 offset:21888
	ds_read_b64 v[34:35], v31 offset:16720
	s_waitcnt lgkmcnt(0)
	v_fma_f64 v[11:12], v[32:33], v[34:35], v[11:12]
.LBB35_749:
	s_or_b64 exec, exec, s[0:1]
	s_movk_i32 s0, 0x50
	v_cmp_gt_u32_e64 s[12:13], s0, v14
	s_and_saveexec_b64 s[0:1], s[12:13]
	s_cbranch_execnz .LBB35_1133
; %bb.750:
	s_or_b64 exec, exec, s[0:1]
	v_cmp_gt_u32_e64 s[12:13], 64, v14
	s_and_saveexec_b64 s[0:1], s[12:13]
	s_cbranch_execnz .LBB35_1134
.LBB35_751:
	s_or_b64 exec, exec, s[0:1]
	v_cmp_gt_u32_e64 s[12:13], 48, v14
	s_and_saveexec_b64 s[0:1], s[12:13]
	s_cbranch_execnz .LBB35_1135
.LBB35_752:
	s_or_b64 exec, exec, s[0:1]
	v_cmp_gt_u32_e64 s[12:13], 32, v14
	s_and_saveexec_b64 s[0:1], s[12:13]
	s_cbranch_execnz .LBB35_1136
.LBB35_753:
	s_or_b64 exec, exec, s[0:1]
	v_cmp_gt_u32_e64 s[12:13], 16, v14
	s_and_saveexec_b64 s[0:1], s[12:13]
	s_cbranch_execz .LBB35_755
.LBB35_754:
	v_lshlrev_b32_e32 v29, 3, v0
	v_mov_b32_e32 v31, 0
	ds_read_b64 v[29:30], v29 offset:24448
	ds_read_b64 v[31:32], v31 offset:16760
	s_waitcnt lgkmcnt(0)
	v_fma_f64 v[11:12], v[29:30], v[31:32], v[11:12]
.LBB35_755:
	s_or_b64 exec, exec, s[0:1]
	v_xor_b32_e32 v12, 0x80000000, v12
.LBB35_756:
	s_or_b64 exec, exec, s[14:15]
	s_mov_b64 s[0:1], exec
	v_readlane_b32 s12, v42, 5
	v_readlane_b32 s13, v42, 6
	s_and_b64 s[12:13], s[0:1], s[12:13]
	s_mov_b64 exec, s[12:13]
	s_cbranch_execz .LBB35_758
; %bb.757:
	v_mov_b32_e32 v29, 0
	ds_read_b64 v[29:30], v29 offset:24960
	s_waitcnt lgkmcnt(0)
	v_mul_f64 v[11:12], v[11:12], v[29:30]
	ds_write_b64 v28, v[11:12]
.LBB35_758:
	s_or_b64 exec, exec, s[0:1]
	s_waitcnt lgkmcnt(0)
	s_barrier
	s_mov_b64 s[0:1], exec
	v_readlane_b32 s12, v42, 7
	v_readlane_b32 s13, v42, 8
	s_and_b64 s[12:13], s[0:1], s[12:13]
	s_mov_b64 exec, s[12:13]
	s_cbranch_execz .LBB35_760
; %bb.759:
	v_lshlrev_b32_e32 v29, 3, v27
	ds_read_b64 v[29:30], v29 offset:24960
	ds_read_b64 v[31:32], v28
	s_waitcnt lgkmcnt(0)
	v_fma_f64 v[11:12], v[29:30], v[31:32], v[11:12]
.LBB35_760:
	s_or_b64 exec, exec, s[0:1]
	s_barrier
	s_mov_b64 s[0:1], exec
	v_readlane_b32 s12, v42, 9
	v_readlane_b32 s13, v42, 10
	s_and_b64 s[12:13], s[0:1], s[12:13]
	s_mov_b64 exec, s[12:13]
	s_cbranch_execz .LBB35_762
; %bb.761:
	v_mov_b32_e32 v29, 0
	ds_read_b64 v[29:30], v29 offset:25480
	s_waitcnt lgkmcnt(0)
	v_mul_f64 v[11:12], v[11:12], v[29:30]
	ds_write_b64 v28, v[11:12]
.LBB35_762:
	s_or_b64 exec, exec, s[0:1]
	s_waitcnt lgkmcnt(0)
	s_barrier
	s_mov_b64 s[0:1], exec
	v_readlane_b32 s12, v42, 11
	v_readlane_b32 s13, v42, 12
	s_and_b64 s[12:13], s[0:1], s[12:13]
	s_mov_b64 exec, s[12:13]
	s_cbranch_execz .LBB35_764
; %bb.763:
	v_lshlrev_b32_e32 v29, 3, v27
	ds_read_b64 v[29:30], v29 offset:25472
	ds_read_b64 v[31:32], v28
	s_waitcnt lgkmcnt(0)
	v_fma_f64 v[11:12], v[29:30], v[31:32], v[11:12]
.LBB35_764:
	s_or_b64 exec, exec, s[0:1]
	s_barrier
	;; [unrolled: 31-line block ×14, first 2 shown]
	s_mov_b64 s[0:1], exec
	v_readlane_b32 s12, v42, 61
	v_readlane_b32 s13, v42, 62
	s_and_b64 s[12:13], s[0:1], s[12:13]
	s_mov_b64 exec, s[12:13]
	s_cbranch_execz .LBB35_814
; %bb.813:
	v_mov_b32_e32 v27, 0
	ds_read_b64 v[29:30], v27 offset:32240
	s_waitcnt lgkmcnt(0)
	v_mul_f64 v[11:12], v[11:12], v[29:30]
	ds_write_b64 v28, v[11:12]
.LBB35_814:
	s_or_b64 exec, exec, s[0:1]
	s_waitcnt lgkmcnt(0)
	s_barrier
	s_and_saveexec_b64 s[0:1], s[92:93]
	s_cbranch_execz .LBB35_816
; %bb.815:
	v_mov_b32_e32 v27, 0
	ds_read_b64 v[29:30], v27 offset:32248
	ds_read_b64 v[31:32], v28
	s_waitcnt lgkmcnt(0)
	v_fma_f64 v[11:12], v[29:30], v[31:32], v[11:12]
.LBB35_816:
	s_or_b64 exec, exec, s[0:1]
	s_barrier
	s_and_saveexec_b64 s[0:1], s[92:93]
	s_cbranch_execz .LBB35_818
; %bb.817:
	v_mov_b32_e32 v27, 0
	ds_read_b64 v[29:30], v27 offset:32760
	s_waitcnt lgkmcnt(0)
	v_mul_f64 v[11:12], v[11:12], v[29:30]
	ds_write_b64 v28, v[11:12]
.LBB35_818:
	s_or_b64 exec, exec, s[0:1]
	s_waitcnt lgkmcnt(0)
	s_barrier
	s_barrier
	s_and_saveexec_b64 s[0:1], s[10:11]
; %bb.819:
	v_xor_b32_e32 v12, 0x80000000, v12
	ds_write_b64 v26, v[11:12] offset:16768
; %bb.820:
	s_or_b64 exec, exec, s[0:1]
	s_waitcnt lgkmcnt(0)
	s_barrier
	s_barrier
	s_mov_b64 s[0:1], exec
	v_readlane_b32 s10, v42, 63
	v_readlane_b32 s11, v41, 0
	s_and_b64 s[10:11], s[0:1], s[10:11]
	s_mov_b64 exec, s[10:11]
	s_cbranch_execz .LBB35_822
; %bb.821:
	v_lshlrev_b32_e32 v26, 9, v0
	ds_read_b64 v[11:12], v26 offset:16768
	s_movk_i32 s10, 0xfe08
	v_mad_i32_i24 v27, v0, s10, v26
	s_waitcnt lgkmcnt(0)
	ds_write_b64 v27, v[11:12] offset:24832
	ds_read_b64 v[11:12], v26 offset:16776
	s_waitcnt lgkmcnt(0)
	ds_write_b64 v27, v[11:12] offset:25344
	ds_read_b64 v[11:12], v26 offset:16784
	;; [unrolled: 3-line block ×15, first 2 shown]
	s_waitcnt lgkmcnt(0)
	ds_write_b64 v27, v[11:12] offset:32512
.LBB35_822:
	s_or_b64 exec, exec, s[0:1]
	s_waitcnt lgkmcnt(0)
	s_barrier
	s_and_saveexec_b64 s[0:1], vcc
	s_cbranch_execz .LBB35_824
; %bb.823:
	v_mov_b32_e32 v11, 0
	ds_read_b128 v[26:29], v11 offset:24960
	ds_read_b64 v[11:12], v11 offset:25480
	s_movk_i32 s10, 0x6000
	s_waitcnt lgkmcnt(0)
	v_mul_f64 v[11:12], v[26:27], v[11:12]
	v_add_u32_e64 v26, s10, 0
	v_mul_f64 v[11:12], v[28:29], v[11:12]
	ds_write2_b64 v26, v[11:12], v[11:12] offset0:49 offset1:112
.LBB35_824:
	s_or_b64 exec, exec, s[0:1]
	v_mov_b32_e32 v11, 0
	v_mov_b32_e32 v12, 0
	s_waitcnt lgkmcnt(0)
	s_barrier
	s_and_saveexec_b64 s[0:1], s[2:3]
	s_cbranch_execz .LBB35_828
; %bb.825:
	v_mul_u32_u24_e32 v26, 0x208, v15
	ds_read_b64 v[11:12], v1 offset:24976
	ds_read_b64 v[26:27], v26 offset:24960
	v_cmp_gt_u32_e64 s[10:11], 2, v14
	s_waitcnt lgkmcnt(0)
	v_fma_f64 v[11:12], v[11:12], v[26:27], 0
	s_and_saveexec_b64 s[12:13], s[10:11]
	s_cbranch_execz .LBB35_827
; %bb.826:
	v_lshlrev_b32_e32 v26, 3, v0
	v_mov_b32_e32 v28, 0
	ds_read_b64 v[26:27], v26 offset:25488
	ds_read_b64 v[28:29], v28 offset:24968
	s_waitcnt lgkmcnt(0)
	v_fma_f64 v[11:12], v[26:27], v[28:29], v[11:12]
.LBB35_827:
	s_or_b64 exec, exec, s[12:13]
	v_xor_b32_e32 v12, 0x80000000, v12
.LBB35_828:
	s_or_b64 exec, exec, s[0:1]
	s_and_saveexec_b64 s[0:1], s[34:35]
	s_cbranch_execz .LBB35_830
; %bb.829:
	v_mov_b32_e32 v26, 0
	ds_read_b64 v[26:27], v26 offset:26000
	s_waitcnt lgkmcnt(0)
	v_mul_f64 v[11:12], v[11:12], v[26:27]
	ds_write_b64 v13, v[11:12]
.LBB35_830:
	s_or_b64 exec, exec, s[0:1]
	s_waitcnt lgkmcnt(0)
	s_barrier
	s_and_saveexec_b64 s[0:1], s[30:31]
	s_cbranch_execz .LBB35_832
; %bb.831:
	v_mov_b32_e32 v26, 0
	ds_read_b64 v[26:27], v26 offset:26008
	ds_read_b64 v[28:29], v13
	s_waitcnt lgkmcnt(0)
	v_fma_f64 v[11:12], v[26:27], v[28:29], v[11:12]
.LBB35_832:
	s_or_b64 exec, exec, s[0:1]
	s_barrier
	s_and_saveexec_b64 s[0:1], s[30:31]
	s_cbranch_execz .LBB35_834
; %bb.833:
	v_mov_b32_e32 v26, 0
	ds_read_b64 v[26:27], v26 offset:26520
	s_waitcnt lgkmcnt(0)
	v_mul_f64 v[11:12], v[11:12], v[26:27]
	ds_write_b64 v13, v[11:12]
.LBB35_834:
	s_or_b64 exec, exec, s[0:1]
	s_waitcnt lgkmcnt(0)
	s_barrier
	s_barrier
	s_and_saveexec_b64 s[0:1], s[2:3]
; %bb.835:
	v_xor_b32_e32 v12, 0x80000000, v12
	ds_write_b64 v1, v[11:12] offset:24976
; %bb.836:
	s_or_b64 exec, exec, s[0:1]
	s_waitcnt lgkmcnt(0)
	s_barrier
	s_barrier
	s_and_saveexec_b64 s[0:1], s[36:37]
	s_cbranch_execz .LBB35_838
; %bb.837:
	v_lshlrev_b32_e32 v26, 3, v0
	s_movk_i32 s10, 0x1f8
	v_mad_u32_u24 v27, v0, s10, v26
	ds_read_b64 v[11:12], v27 offset:24976
	s_waitcnt lgkmcnt(0)
	ds_write_b64 v26, v[11:12] offset:25984
	ds_read_b64 v[11:12], v27 offset:24984
	s_waitcnt lgkmcnt(0)
	ds_write_b64 v26, v[11:12] offset:26496
.LBB35_838:
	s_or_b64 exec, exec, s[0:1]
	s_waitcnt lgkmcnt(0)
	s_barrier
	s_and_saveexec_b64 s[0:1], vcc
	s_cbranch_execz .LBB35_840
; %bb.839:
	v_mov_b32_e32 v11, 0
	ds_read_b128 v[26:29], v11 offset:26000
	ds_read_b64 v[11:12], v11 offset:26520
	s_movk_i32 s10, 0x6000
	s_waitcnt lgkmcnt(0)
	v_mul_f64 v[11:12], v[26:27], v[11:12]
	v_add_u32_e64 v26, s10, 0
	v_mul_f64 v[11:12], v[28:29], v[11:12]
	ds_write2_b64 v26, v[11:12], v[11:12] offset0:179 offset1:242
.LBB35_840:
	s_or_b64 exec, exec, s[0:1]
	v_mov_b32_e32 v11, 0
	v_mov_b32_e32 v12, 0
	s_waitcnt lgkmcnt(0)
	s_barrier
	s_and_saveexec_b64 s[0:1], s[18:19]
	s_cbranch_execz .LBB35_846
; %bb.841:
	v_mul_u32_u24_e32 v26, 0x208, v20
	ds_read_b64 v[11:12], v16 offset:24992
	ds_read_b64 v[27:28], v26 offset:24960
	v_cmp_gt_u32_e64 s[10:11], 12, v14
	s_waitcnt lgkmcnt(0)
	v_fma_f64 v[11:12], v[11:12], v[27:28], 0
	s_and_saveexec_b64 s[12:13], s[10:11]
	s_cbranch_execnz .LBB35_1137
; %bb.842:
	s_or_b64 exec, exec, s[12:13]
	v_cmp_gt_u32_e64 s[10:11], 8, v14
	s_and_saveexec_b64 s[12:13], s[10:11]
	s_cbranch_execnz .LBB35_1138
.LBB35_843:
	s_or_b64 exec, exec, s[12:13]
	v_cmp_gt_u32_e64 s[10:11], 4, v14
	s_and_saveexec_b64 s[12:13], s[10:11]
	s_cbranch_execz .LBB35_845
.LBB35_844:
	v_lshlrev_b32_e32 v26, 3, v0
	v_mov_b32_e32 v28, 0
	ds_read_b64 v[26:27], v26 offset:26528
	ds_read_b64 v[28:29], v28 offset:24984
	s_waitcnt lgkmcnt(0)
	v_fma_f64 v[11:12], v[26:27], v[28:29], v[11:12]
.LBB35_845:
	s_or_b64 exec, exec, s[12:13]
	v_xor_b32_e32 v12, 0x80000000, v12
.LBB35_846:
	s_or_b64 exec, exec, s[0:1]
	s_and_saveexec_b64 s[0:1], s[42:43]
	s_cbranch_execz .LBB35_848
; %bb.847:
	v_mov_b32_e32 v26, 0
	ds_read_b64 v[26:27], v26 offset:27040
	s_waitcnt lgkmcnt(0)
	v_mul_f64 v[11:12], v[11:12], v[26:27]
	ds_write_b64 v18, v[11:12]
.LBB35_848:
	s_or_b64 exec, exec, s[0:1]
	s_waitcnt lgkmcnt(0)
	s_barrier
	s_and_saveexec_b64 s[0:1], s[44:45]
	s_cbranch_execz .LBB35_850
; %bb.849:
	ds_read_b64 v[26:27], v17 offset:27040
	ds_read_b64 v[28:29], v18
	s_waitcnt lgkmcnt(0)
	v_fma_f64 v[11:12], v[26:27], v[28:29], v[11:12]
.LBB35_850:
	s_or_b64 exec, exec, s[0:1]
	s_barrier
	s_and_saveexec_b64 s[0:1], s[52:53]
	s_cbranch_execz .LBB35_852
; %bb.851:
	v_mov_b32_e32 v26, 0
	ds_read_b64 v[26:27], v26 offset:27560
	s_waitcnt lgkmcnt(0)
	v_mul_f64 v[11:12], v[11:12], v[26:27]
	ds_write_b64 v18, v[11:12]
.LBB35_852:
	s_or_b64 exec, exec, s[0:1]
	s_waitcnt lgkmcnt(0)
	s_barrier
	s_and_saveexec_b64 s[0:1], s[54:55]
	s_cbranch_execz .LBB35_854
; %bb.853:
	ds_read_b64 v[26:27], v17 offset:27552
	ds_read_b64 v[28:29], v18
	s_waitcnt lgkmcnt(0)
	v_fma_f64 v[11:12], v[26:27], v[28:29], v[11:12]
.LBB35_854:
	s_or_b64 exec, exec, s[0:1]
	s_barrier
	s_and_saveexec_b64 s[0:1], s[56:57]
	s_cbranch_execz .LBB35_856
; %bb.855:
	v_mov_b32_e32 v26, 0
	ds_read_b64 v[26:27], v26 offset:28080
	s_waitcnt lgkmcnt(0)
	v_mul_f64 v[11:12], v[11:12], v[26:27]
	ds_write_b64 v18, v[11:12]
.LBB35_856:
	s_or_b64 exec, exec, s[0:1]
	s_waitcnt lgkmcnt(0)
	s_barrier
	s_and_saveexec_b64 s[0:1], s[38:39]
	s_cbranch_execz .LBB35_858
; %bb.857:
	v_mov_b32_e32 v26, 0
	ds_read_b64 v[26:27], v26 offset:28088
	ds_read_b64 v[28:29], v18
	s_waitcnt lgkmcnt(0)
	v_fma_f64 v[11:12], v[26:27], v[28:29], v[11:12]
.LBB35_858:
	s_or_b64 exec, exec, s[0:1]
	s_barrier
	s_and_saveexec_b64 s[0:1], s[38:39]
	s_cbranch_execz .LBB35_860
; %bb.859:
	v_mov_b32_e32 v26, 0
	ds_read_b64 v[26:27], v26 offset:28600
	s_waitcnt lgkmcnt(0)
	v_mul_f64 v[11:12], v[11:12], v[26:27]
	ds_write_b64 v18, v[11:12]
.LBB35_860:
	s_or_b64 exec, exec, s[0:1]
	s_waitcnt lgkmcnt(0)
	s_barrier
	s_barrier
	s_and_saveexec_b64 s[0:1], s[18:19]
; %bb.861:
	v_xor_b32_e32 v12, 0x80000000, v12
	ds_write_b64 v16, v[11:12] offset:24992
; %bb.862:
	s_or_b64 exec, exec, s[0:1]
	s_waitcnt lgkmcnt(0)
	s_barrier
	s_barrier
	s_and_saveexec_b64 s[0:1], s[58:59]
	s_cbranch_execz .LBB35_864
; %bb.863:
	v_lshlrev_b32_e32 v26, 9, v0
	ds_read_b64 v[11:12], v26 offset:24992
	s_movk_i32 s10, 0xfe08
	v_mad_i32_i24 v27, v0, s10, v26
	s_waitcnt lgkmcnt(0)
	ds_write_b64 v27, v[11:12] offset:27008
	ds_read_b64 v[11:12], v26 offset:25000
	s_waitcnt lgkmcnt(0)
	ds_write_b64 v27, v[11:12] offset:27520
	ds_read_b64 v[11:12], v26 offset:25008
	s_waitcnt lgkmcnt(0)
	ds_write_b64 v27, v[11:12] offset:28032
	ds_read_b64 v[11:12], v26 offset:25016
	s_waitcnt lgkmcnt(0)
	ds_write_b64 v27, v[11:12] offset:28544
.LBB35_864:
	s_or_b64 exec, exec, s[0:1]
	s_waitcnt lgkmcnt(0)
	s_barrier
	s_and_saveexec_b64 s[0:1], vcc
	s_cbranch_execz .LBB35_866
; %bb.865:
	v_mov_b32_e32 v11, 0
	ds_read_b128 v[26:29], v11 offset:27040
	ds_read_b64 v[11:12], v11 offset:27560
	s_movk_i32 s10, 0x6800
	s_waitcnt lgkmcnt(0)
	v_mul_f64 v[11:12], v[26:27], v[11:12]
	v_add_u32_e64 v26, s10, 0
	v_mul_f64 v[11:12], v[28:29], v[11:12]
	ds_write2_b64 v26, v[11:12], v[11:12] offset0:53 offset1:116
.LBB35_866:
	s_or_b64 exec, exec, s[0:1]
	v_mov_b32_e32 v11, 0
	v_mov_b32_e32 v12, 0
	s_waitcnt lgkmcnt(0)
	s_barrier
	s_and_saveexec_b64 s[0:1], s[2:3]
	s_cbranch_execz .LBB35_870
; %bb.867:
	v_mul_u32_u24_e32 v26, 0x208, v15
	ds_read_b64 v[11:12], v1 offset:27056
	ds_read_b64 v[26:27], v26 offset:27040
	v_cmp_gt_u32_e64 s[10:11], 2, v14
	s_waitcnt lgkmcnt(0)
	v_fma_f64 v[11:12], v[11:12], v[26:27], 0
	s_and_saveexec_b64 s[12:13], s[10:11]
	s_cbranch_execz .LBB35_869
; %bb.868:
	v_lshlrev_b32_e32 v26, 3, v0
	v_mov_b32_e32 v28, 0
	ds_read_b64 v[26:27], v26 offset:27568
	ds_read_b64 v[28:29], v28 offset:27048
	s_waitcnt lgkmcnt(0)
	v_fma_f64 v[11:12], v[26:27], v[28:29], v[11:12]
.LBB35_869:
	s_or_b64 exec, exec, s[12:13]
	v_xor_b32_e32 v12, 0x80000000, v12
.LBB35_870:
	s_or_b64 exec, exec, s[0:1]
	s_and_saveexec_b64 s[0:1], s[34:35]
	s_cbranch_execz .LBB35_872
; %bb.871:
	v_mov_b32_e32 v26, 0
	ds_read_b64 v[26:27], v26 offset:28080
	s_waitcnt lgkmcnt(0)
	v_mul_f64 v[11:12], v[11:12], v[26:27]
	ds_write_b64 v13, v[11:12]
.LBB35_872:
	s_or_b64 exec, exec, s[0:1]
	s_waitcnt lgkmcnt(0)
	s_barrier
	s_and_saveexec_b64 s[0:1], s[30:31]
	s_cbranch_execz .LBB35_874
; %bb.873:
	v_mov_b32_e32 v26, 0
	ds_read_b64 v[26:27], v26 offset:28088
	ds_read_b64 v[28:29], v13
	s_waitcnt lgkmcnt(0)
	v_fma_f64 v[11:12], v[26:27], v[28:29], v[11:12]
.LBB35_874:
	s_or_b64 exec, exec, s[0:1]
	s_barrier
	s_and_saveexec_b64 s[0:1], s[30:31]
	s_cbranch_execz .LBB35_876
; %bb.875:
	v_mov_b32_e32 v26, 0
	ds_read_b64 v[26:27], v26 offset:28600
	s_waitcnt lgkmcnt(0)
	v_mul_f64 v[11:12], v[11:12], v[26:27]
	ds_write_b64 v13, v[11:12]
.LBB35_876:
	s_or_b64 exec, exec, s[0:1]
	s_waitcnt lgkmcnt(0)
	s_barrier
	s_barrier
	s_and_saveexec_b64 s[0:1], s[2:3]
; %bb.877:
	v_xor_b32_e32 v12, 0x80000000, v12
	ds_write_b64 v1, v[11:12] offset:27056
; %bb.878:
	s_or_b64 exec, exec, s[0:1]
	s_waitcnt lgkmcnt(0)
	s_barrier
	s_barrier
	s_and_saveexec_b64 s[0:1], s[36:37]
	s_cbranch_execz .LBB35_880
; %bb.879:
	v_lshlrev_b32_e32 v26, 3, v0
	s_movk_i32 s10, 0x1f8
	v_mad_u32_u24 v27, v0, s10, v26
	ds_read_b64 v[11:12], v27 offset:27056
	s_waitcnt lgkmcnt(0)
	ds_write_b64 v26, v[11:12] offset:28064
	ds_read_b64 v[11:12], v27 offset:27064
	s_waitcnt lgkmcnt(0)
	ds_write_b64 v26, v[11:12] offset:28576
.LBB35_880:
	s_or_b64 exec, exec, s[0:1]
	s_waitcnt lgkmcnt(0)
	s_barrier
	s_and_saveexec_b64 s[0:1], vcc
	s_cbranch_execz .LBB35_882
; %bb.881:
	v_mov_b32_e32 v11, 0
	ds_read_b128 v[26:29], v11 offset:28080
	ds_read_b64 v[11:12], v11 offset:28600
	s_movk_i32 s10, 0x6800
	s_waitcnt lgkmcnt(0)
	v_mul_f64 v[11:12], v[26:27], v[11:12]
	v_add_u32_e64 v26, s10, 0
	v_mul_f64 v[11:12], v[28:29], v[11:12]
	ds_write2_b64 v26, v[11:12], v[11:12] offset0:183 offset1:246
.LBB35_882:
	s_or_b64 exec, exec, s[0:1]
	v_mov_b32_e32 v11, 0
	v_mov_b32_e32 v12, 0
	s_waitcnt lgkmcnt(0)
	s_barrier
	s_and_saveexec_b64 s[0:1], s[8:9]
	s_cbranch_execz .LBB35_892
; %bb.883:
	v_mul_u32_u24_e32 v26, 0x208, v25
	ds_read_b64 v[11:12], v21 offset:25024
	ds_read_b64 v[27:28], v26 offset:24960
	v_cmp_gt_u32_e64 s[10:11], 56, v14
	s_waitcnt lgkmcnt(0)
	v_fma_f64 v[11:12], v[11:12], v[27:28], 0
	s_and_saveexec_b64 s[12:13], s[10:11]
	s_cbranch_execnz .LBB35_1139
; %bb.884:
	s_or_b64 exec, exec, s[12:13]
	v_cmp_gt_u32_e64 s[10:11], 48, v14
	s_and_saveexec_b64 s[12:13], s[10:11]
	s_cbranch_execnz .LBB35_1140
.LBB35_885:
	s_or_b64 exec, exec, s[12:13]
	v_cmp_gt_u32_e64 s[10:11], 40, v14
	s_and_saveexec_b64 s[12:13], s[10:11]
	s_cbranch_execnz .LBB35_1141
.LBB35_886:
	s_or_b64 exec, exec, s[12:13]
	v_cmp_gt_u32_e64 s[10:11], 32, v14
	s_and_saveexec_b64 s[12:13], s[10:11]
	s_cbranch_execnz .LBB35_1142
.LBB35_887:
	s_or_b64 exec, exec, s[12:13]
	v_cmp_gt_u32_e64 s[10:11], 24, v14
	s_and_saveexec_b64 s[12:13], s[10:11]
	s_cbranch_execnz .LBB35_1143
.LBB35_888:
	s_or_b64 exec, exec, s[12:13]
	v_cmp_gt_u32_e64 s[10:11], 16, v14
	s_and_saveexec_b64 s[12:13], s[10:11]
	s_cbranch_execnz .LBB35_1144
.LBB35_889:
	s_or_b64 exec, exec, s[12:13]
	v_cmp_gt_u32_e64 s[10:11], 8, v14
	s_and_saveexec_b64 s[12:13], s[10:11]
	s_cbranch_execz .LBB35_891
.LBB35_890:
	v_lshlrev_b32_e32 v24, 3, v0
	v_mov_b32_e32 v26, 0
	ds_read_b64 v[24:25], v24 offset:28608
	ds_read_b64 v[26:27], v26 offset:25016
	s_waitcnt lgkmcnt(0)
	v_fma_f64 v[11:12], v[24:25], v[26:27], v[11:12]
.LBB35_891:
	s_or_b64 exec, exec, s[12:13]
	v_xor_b32_e32 v12, 0x80000000, v12
.LBB35_892:
	s_or_b64 exec, exec, s[0:1]
	s_and_saveexec_b64 s[0:1], s[60:61]
	s_cbranch_execz .LBB35_894
; %bb.893:
	v_mov_b32_e32 v24, 0
	ds_read_b64 v[24:25], v24 offset:29120
	s_waitcnt lgkmcnt(0)
	v_mul_f64 v[11:12], v[11:12], v[24:25]
	ds_write_b64 v23, v[11:12]
.LBB35_894:
	s_or_b64 exec, exec, s[0:1]
	s_waitcnt lgkmcnt(0)
	s_barrier
	s_and_saveexec_b64 s[0:1], s[62:63]
	v_readlane_b32 s60, v42, 3
	v_readlane_b32 s61, v42, 4
	s_cbranch_execz .LBB35_896
; %bb.895:
	ds_read_b64 v[24:25], v22 offset:29120
	ds_read_b64 v[26:27], v23
	s_waitcnt lgkmcnt(0)
	v_fma_f64 v[11:12], v[24:25], v[26:27], v[11:12]
.LBB35_896:
	s_or_b64 exec, exec, s[0:1]
	s_barrier
	s_and_saveexec_b64 s[0:1], s[64:65]
	s_cbranch_execz .LBB35_898
; %bb.897:
	v_mov_b32_e32 v24, 0
	ds_read_b64 v[24:25], v24 offset:29640
	s_waitcnt lgkmcnt(0)
	v_mul_f64 v[11:12], v[11:12], v[24:25]
	ds_write_b64 v23, v[11:12]
.LBB35_898:
	s_or_b64 exec, exec, s[0:1]
	s_waitcnt lgkmcnt(0)
	s_barrier
	s_and_saveexec_b64 s[0:1], s[66:67]
	s_cbranch_execz .LBB35_900
; %bb.899:
	ds_read_b64 v[24:25], v22 offset:29632
	ds_read_b64 v[26:27], v23
	s_waitcnt lgkmcnt(0)
	v_fma_f64 v[11:12], v[24:25], v[26:27], v[11:12]
.LBB35_900:
	s_or_b64 exec, exec, s[0:1]
	s_barrier
	s_and_saveexec_b64 s[0:1], s[68:69]
	s_cbranch_execz .LBB35_902
; %bb.901:
	v_mov_b32_e32 v24, 0
	ds_read_b64 v[24:25], v24 offset:30160
	s_waitcnt lgkmcnt(0)
	v_mul_f64 v[11:12], v[11:12], v[24:25]
	ds_write_b64 v23, v[11:12]
.LBB35_902:
	s_or_b64 exec, exec, s[0:1]
	s_waitcnt lgkmcnt(0)
	s_barrier
	s_and_saveexec_b64 s[0:1], s[72:73]
	;; [unrolled: 22-line block ×6, first 2 shown]
	s_cbranch_execz .LBB35_920
; %bb.919:
	v_mov_b32_e32 v22, 0
	ds_read_b64 v[24:25], v22 offset:32248
	ds_read_b64 v[26:27], v23
	s_waitcnt lgkmcnt(0)
	v_fma_f64 v[11:12], v[24:25], v[26:27], v[11:12]
.LBB35_920:
	s_or_b64 exec, exec, s[0:1]
	s_barrier
	s_and_saveexec_b64 s[0:1], s[70:71]
	s_cbranch_execz .LBB35_922
; %bb.921:
	v_mov_b32_e32 v22, 0
	ds_read_b64 v[24:25], v22 offset:32760
	s_waitcnt lgkmcnt(0)
	v_mul_f64 v[11:12], v[11:12], v[24:25]
	ds_write_b64 v23, v[11:12]
.LBB35_922:
	s_or_b64 exec, exec, s[0:1]
	s_waitcnt lgkmcnt(0)
	s_barrier
	s_barrier
	s_and_saveexec_b64 s[0:1], s[8:9]
; %bb.923:
	v_xor_b32_e32 v12, 0x80000000, v12
	ds_write_b64 v21, v[11:12] offset:25024
; %bb.924:
	s_or_b64 exec, exec, s[0:1]
	s_waitcnt lgkmcnt(0)
	s_barrier
	s_barrier
	s_and_saveexec_b64 s[0:1], s[88:89]
	s_cbranch_execz .LBB35_926
; %bb.925:
	v_lshlrev_b32_e32 v21, 9, v0
	ds_read_b64 v[11:12], v21 offset:25024
	s_movk_i32 s8, 0xfe08
	v_mad_i32_i24 v22, v0, s8, v21
	s_waitcnt lgkmcnt(0)
	ds_write_b64 v22, v[11:12] offset:29056
	ds_read_b64 v[11:12], v21 offset:25032
	s_waitcnt lgkmcnt(0)
	ds_write_b64 v22, v[11:12] offset:29568
	ds_read_b64 v[11:12], v21 offset:25040
	;; [unrolled: 3-line block ×7, first 2 shown]
	s_waitcnt lgkmcnt(0)
	ds_write_b64 v22, v[11:12] offset:32640
.LBB35_926:
	s_or_b64 exec, exec, s[0:1]
	s_waitcnt lgkmcnt(0)
	s_barrier
	s_and_saveexec_b64 s[0:1], vcc
	s_cbranch_execz .LBB35_928
; %bb.927:
	v_mov_b32_e32 v11, 0
	ds_read_b128 v[21:24], v11 offset:29120
	ds_read_b64 v[11:12], v11 offset:29640
	s_movk_i32 s8, 0x7000
	s_waitcnt lgkmcnt(0)
	v_mul_f64 v[11:12], v[21:22], v[11:12]
	v_add_u32_e64 v21, s8, 0
	v_mul_f64 v[11:12], v[23:24], v[11:12]
	ds_write2_b64 v21, v[11:12], v[11:12] offset0:57 offset1:120
.LBB35_928:
	s_or_b64 exec, exec, s[0:1]
	v_mov_b32_e32 v11, 0
	v_mov_b32_e32 v12, 0
	s_waitcnt lgkmcnt(0)
	s_barrier
	s_and_saveexec_b64 s[0:1], s[2:3]
	s_cbranch_execz .LBB35_932
; %bb.929:
	v_mul_u32_u24_e32 v21, 0x208, v15
	ds_read_b64 v[11:12], v1 offset:29136
	ds_read_b64 v[21:22], v21 offset:29120
	v_cmp_gt_u32_e64 s[8:9], 2, v14
	s_waitcnt lgkmcnt(0)
	v_fma_f64 v[11:12], v[11:12], v[21:22], 0
	s_and_saveexec_b64 s[10:11], s[8:9]
	s_cbranch_execz .LBB35_931
; %bb.930:
	v_lshlrev_b32_e32 v21, 3, v0
	v_mov_b32_e32 v23, 0
	ds_read_b64 v[21:22], v21 offset:29648
	ds_read_b64 v[23:24], v23 offset:29128
	s_waitcnt lgkmcnt(0)
	v_fma_f64 v[11:12], v[21:22], v[23:24], v[11:12]
.LBB35_931:
	s_or_b64 exec, exec, s[10:11]
	v_xor_b32_e32 v12, 0x80000000, v12
.LBB35_932:
	s_or_b64 exec, exec, s[0:1]
	s_and_saveexec_b64 s[0:1], s[34:35]
	s_cbranch_execz .LBB35_934
; %bb.933:
	v_mov_b32_e32 v21, 0
	ds_read_b64 v[21:22], v21 offset:30160
	s_waitcnt lgkmcnt(0)
	v_mul_f64 v[11:12], v[11:12], v[21:22]
	ds_write_b64 v13, v[11:12]
.LBB35_934:
	s_or_b64 exec, exec, s[0:1]
	s_waitcnt lgkmcnt(0)
	s_barrier
	s_and_saveexec_b64 s[0:1], s[30:31]
	s_cbranch_execz .LBB35_936
; %bb.935:
	v_mov_b32_e32 v21, 0
	ds_read_b64 v[21:22], v21 offset:30168
	ds_read_b64 v[23:24], v13
	s_waitcnt lgkmcnt(0)
	v_fma_f64 v[11:12], v[21:22], v[23:24], v[11:12]
.LBB35_936:
	s_or_b64 exec, exec, s[0:1]
	s_barrier
	s_and_saveexec_b64 s[0:1], s[30:31]
	s_cbranch_execz .LBB35_938
; %bb.937:
	v_mov_b32_e32 v21, 0
	ds_read_b64 v[21:22], v21 offset:30680
	s_waitcnt lgkmcnt(0)
	v_mul_f64 v[11:12], v[11:12], v[21:22]
	ds_write_b64 v13, v[11:12]
.LBB35_938:
	s_or_b64 exec, exec, s[0:1]
	s_waitcnt lgkmcnt(0)
	s_barrier
	s_barrier
	s_and_saveexec_b64 s[0:1], s[2:3]
; %bb.939:
	v_xor_b32_e32 v12, 0x80000000, v12
	ds_write_b64 v1, v[11:12] offset:29136
; %bb.940:
	s_or_b64 exec, exec, s[0:1]
	s_waitcnt lgkmcnt(0)
	s_barrier
	s_barrier
	s_and_saveexec_b64 s[0:1], s[36:37]
	s_cbranch_execz .LBB35_942
; %bb.941:
	v_lshlrev_b32_e32 v21, 3, v0
	s_movk_i32 s8, 0x1f8
	v_mad_u32_u24 v22, v0, s8, v21
	ds_read_b64 v[11:12], v22 offset:29136
	s_waitcnt lgkmcnt(0)
	ds_write_b64 v21, v[11:12] offset:30144
	ds_read_b64 v[11:12], v22 offset:29144
	s_waitcnt lgkmcnt(0)
	ds_write_b64 v21, v[11:12] offset:30656
.LBB35_942:
	s_or_b64 exec, exec, s[0:1]
	s_waitcnt lgkmcnt(0)
	s_barrier
	s_and_saveexec_b64 s[0:1], vcc
	s_cbranch_execz .LBB35_944
; %bb.943:
	v_mov_b32_e32 v11, 0
	ds_read_b128 v[21:24], v11 offset:30160
	ds_read_b64 v[11:12], v11 offset:30680
	s_movk_i32 s8, 0x7000
	s_waitcnt lgkmcnt(0)
	v_mul_f64 v[11:12], v[21:22], v[11:12]
	v_add_u32_e64 v21, s8, 0
	v_mul_f64 v[11:12], v[23:24], v[11:12]
	ds_write2_b64 v21, v[11:12], v[11:12] offset0:187 offset1:250
.LBB35_944:
	s_or_b64 exec, exec, s[0:1]
	v_mov_b32_e32 v11, 0
	v_mov_b32_e32 v12, 0
	s_waitcnt lgkmcnt(0)
	s_barrier
	s_and_saveexec_b64 s[0:1], s[18:19]
	s_cbranch_execz .LBB35_950
; %bb.945:
	v_mul_u32_u24_e32 v21, 0x208, v20
	ds_read_b64 v[11:12], v16 offset:29152
	ds_read_b64 v[22:23], v21 offset:29120
	v_cmp_gt_u32_e64 s[8:9], 12, v14
	s_waitcnt lgkmcnt(0)
	v_fma_f64 v[11:12], v[11:12], v[22:23], 0
	s_and_saveexec_b64 s[10:11], s[8:9]
	s_cbranch_execnz .LBB35_1145
; %bb.946:
	s_or_b64 exec, exec, s[10:11]
	v_cmp_gt_u32_e64 s[8:9], 8, v14
	s_and_saveexec_b64 s[10:11], s[8:9]
	s_cbranch_execnz .LBB35_1146
.LBB35_947:
	s_or_b64 exec, exec, s[10:11]
	v_cmp_gt_u32_e64 s[8:9], 4, v14
	s_and_saveexec_b64 s[10:11], s[8:9]
	s_cbranch_execz .LBB35_949
.LBB35_948:
	v_lshlrev_b32_e32 v19, 3, v0
	v_mov_b32_e32 v21, 0
	ds_read_b64 v[19:20], v19 offset:30688
	ds_read_b64 v[21:22], v21 offset:29144
	s_waitcnt lgkmcnt(0)
	v_fma_f64 v[11:12], v[19:20], v[21:22], v[11:12]
.LBB35_949:
	s_or_b64 exec, exec, s[10:11]
	v_xor_b32_e32 v12, 0x80000000, v12
.LBB35_950:
	s_or_b64 exec, exec, s[0:1]
	s_and_saveexec_b64 s[0:1], s[42:43]
	s_cbranch_execz .LBB35_952
; %bb.951:
	v_mov_b32_e32 v19, 0
	ds_read_b64 v[19:20], v19 offset:31200
	s_waitcnt lgkmcnt(0)
	v_mul_f64 v[11:12], v[11:12], v[19:20]
	ds_write_b64 v18, v[11:12]
.LBB35_952:
	s_or_b64 exec, exec, s[0:1]
	s_waitcnt lgkmcnt(0)
	s_barrier
	s_and_saveexec_b64 s[0:1], s[44:45]
	v_readlane_b32 s42, v42, 2
	s_cbranch_execz .LBB35_954
; %bb.953:
	ds_read_b64 v[19:20], v17 offset:31200
	ds_read_b64 v[21:22], v18
	s_waitcnt lgkmcnt(0)
	v_fma_f64 v[11:12], v[19:20], v[21:22], v[11:12]
.LBB35_954:
	s_or_b64 exec, exec, s[0:1]
	s_barrier
	s_and_saveexec_b64 s[0:1], s[52:53]
	s_cbranch_execz .LBB35_956
; %bb.955:
	v_mov_b32_e32 v19, 0
	ds_read_b64 v[19:20], v19 offset:31720
	s_waitcnt lgkmcnt(0)
	v_mul_f64 v[11:12], v[11:12], v[19:20]
	ds_write_b64 v18, v[11:12]
.LBB35_956:
	s_or_b64 exec, exec, s[0:1]
	s_waitcnt lgkmcnt(0)
	s_barrier
	s_and_saveexec_b64 s[0:1], s[54:55]
	s_cbranch_execz .LBB35_958
; %bb.957:
	ds_read_b64 v[19:20], v17 offset:31712
	ds_read_b64 v[21:22], v18
	s_waitcnt lgkmcnt(0)
	v_fma_f64 v[11:12], v[19:20], v[21:22], v[11:12]
.LBB35_958:
	s_or_b64 exec, exec, s[0:1]
	s_barrier
	s_and_saveexec_b64 s[0:1], s[56:57]
	s_cbranch_execz .LBB35_960
; %bb.959:
	v_mov_b32_e32 v17, 0
	ds_read_b64 v[19:20], v17 offset:32240
	s_waitcnt lgkmcnt(0)
	v_mul_f64 v[11:12], v[11:12], v[19:20]
	ds_write_b64 v18, v[11:12]
.LBB35_960:
	s_or_b64 exec, exec, s[0:1]
	s_waitcnt lgkmcnt(0)
	s_barrier
	s_and_saveexec_b64 s[0:1], s[38:39]
	s_cbranch_execz .LBB35_962
; %bb.961:
	v_mov_b32_e32 v17, 0
	ds_read_b64 v[19:20], v17 offset:32248
	ds_read_b64 v[21:22], v18
	s_waitcnt lgkmcnt(0)
	v_fma_f64 v[11:12], v[19:20], v[21:22], v[11:12]
.LBB35_962:
	s_or_b64 exec, exec, s[0:1]
	s_barrier
	s_and_saveexec_b64 s[0:1], s[38:39]
	s_cbranch_execz .LBB35_964
; %bb.963:
	v_mov_b32_e32 v17, 0
	ds_read_b64 v[19:20], v17 offset:32760
	s_waitcnt lgkmcnt(0)
	v_mul_f64 v[11:12], v[11:12], v[19:20]
	ds_write_b64 v18, v[11:12]
.LBB35_964:
	s_or_b64 exec, exec, s[0:1]
	s_waitcnt lgkmcnt(0)
	s_barrier
	s_barrier
	s_and_saveexec_b64 s[0:1], s[18:19]
; %bb.965:
	v_xor_b32_e32 v12, 0x80000000, v12
	ds_write_b64 v16, v[11:12] offset:29152
; %bb.966:
	s_or_b64 exec, exec, s[0:1]
	s_waitcnt lgkmcnt(0)
	s_barrier
	s_barrier
	s_and_saveexec_b64 s[0:1], s[58:59]
	s_cbranch_execz .LBB35_968
; %bb.967:
	v_lshlrev_b32_e32 v16, 9, v0
	ds_read_b64 v[11:12], v16 offset:29152
	s_movk_i32 s8, 0xfe08
	v_mad_i32_i24 v17, v0, s8, v16
	s_waitcnt lgkmcnt(0)
	ds_write_b64 v17, v[11:12] offset:31168
	ds_read_b64 v[11:12], v16 offset:29160
	s_waitcnt lgkmcnt(0)
	ds_write_b64 v17, v[11:12] offset:31680
	ds_read_b64 v[11:12], v16 offset:29168
	;; [unrolled: 3-line block ×3, first 2 shown]
	s_waitcnt lgkmcnt(0)
	ds_write_b64 v17, v[11:12] offset:32704
.LBB35_968:
	s_or_b64 exec, exec, s[0:1]
	s_waitcnt lgkmcnt(0)
	s_barrier
	s_and_saveexec_b64 s[0:1], vcc
	s_cbranch_execz .LBB35_970
; %bb.969:
	v_mov_b32_e32 v11, 0
	ds_read_b128 v[16:19], v11 offset:31200
	ds_read_b64 v[11:12], v11 offset:31720
	s_movk_i32 s8, 0x7800
	s_waitcnt lgkmcnt(0)
	v_mul_f64 v[11:12], v[16:17], v[11:12]
	v_add_u32_e64 v16, s8, 0
	v_mul_f64 v[11:12], v[18:19], v[11:12]
	ds_write2_b64 v16, v[11:12], v[11:12] offset0:61 offset1:124
.LBB35_970:
	s_or_b64 exec, exec, s[0:1]
	v_mov_b32_e32 v11, 0
	v_mov_b32_e32 v12, 0
	s_waitcnt lgkmcnt(0)
	s_barrier
	s_and_saveexec_b64 s[0:1], s[2:3]
	s_cbranch_execz .LBB35_974
; %bb.971:
	v_mul_u32_u24_e32 v15, 0x208, v15
	ds_read_b64 v[11:12], v1 offset:31216
	ds_read_b64 v[15:16], v15 offset:31200
	v_cmp_gt_u32_e64 s[8:9], 2, v14
	s_waitcnt lgkmcnt(0)
	v_fma_f64 v[11:12], v[11:12], v[15:16], 0
	s_and_saveexec_b64 s[10:11], s[8:9]
	s_cbranch_execz .LBB35_973
; %bb.972:
	v_lshlrev_b32_e32 v14, 3, v0
	v_mov_b32_e32 v16, 0
	ds_read_b64 v[14:15], v14 offset:31728
	ds_read_b64 v[16:17], v16 offset:31208
	s_waitcnt lgkmcnt(0)
	v_fma_f64 v[11:12], v[14:15], v[16:17], v[11:12]
.LBB35_973:
	s_or_b64 exec, exec, s[10:11]
	v_xor_b32_e32 v12, 0x80000000, v12
.LBB35_974:
	s_or_b64 exec, exec, s[0:1]
	s_and_saveexec_b64 s[0:1], s[34:35]
	s_cbranch_execz .LBB35_976
; %bb.975:
	v_mov_b32_e32 v14, 0
	ds_read_b64 v[14:15], v14 offset:32240
	s_waitcnt lgkmcnt(0)
	v_mul_f64 v[11:12], v[11:12], v[14:15]
	ds_write_b64 v13, v[11:12]
.LBB35_976:
	s_or_b64 exec, exec, s[0:1]
	s_waitcnt lgkmcnt(0)
	s_barrier
	s_and_saveexec_b64 s[0:1], s[30:31]
	s_load_dword s28, s[4:5], 0x6c
	v_readlane_b32 s34, v42, 0
	v_readlane_b32 s35, v42, 1
	s_cbranch_execz .LBB35_978
; %bb.977:
	v_mov_b32_e32 v14, 0
	ds_read_b64 v[14:15], v14 offset:32248
	ds_read_b64 v[16:17], v13
	s_waitcnt lgkmcnt(0)
	v_fma_f64 v[11:12], v[14:15], v[16:17], v[11:12]
.LBB35_978:
	s_or_b64 exec, exec, s[0:1]
	s_waitcnt lgkmcnt(0)
	s_barrier
	s_and_saveexec_b64 s[0:1], s[30:31]
	s_cbranch_execz .LBB35_980
; %bb.979:
	v_mov_b32_e32 v14, 0
	ds_read_b64 v[14:15], v14 offset:32760
	s_waitcnt lgkmcnt(0)
	v_mul_f64 v[11:12], v[11:12], v[14:15]
	ds_write_b64 v13, v[11:12]
.LBB35_980:
	s_or_b64 exec, exec, s[0:1]
	s_waitcnt lgkmcnt(0)
	s_barrier
	s_barrier
	s_and_saveexec_b64 s[0:1], s[2:3]
; %bb.981:
	v_xor_b32_e32 v12, 0x80000000, v12
	ds_write_b64 v1, v[11:12] offset:31216
; %bb.982:
	s_or_b64 exec, exec, s[0:1]
	s_waitcnt lgkmcnt(0)
	s_barrier
	s_barrier
	s_and_saveexec_b64 s[0:1], s[36:37]
	s_cbranch_execz .LBB35_984
; %bb.983:
	v_lshlrev_b32_e32 v1, 3, v0
	s_movk_i32 s2, 0x1f8
	v_mad_u32_u24 v13, v0, s2, v1
	ds_read_b64 v[11:12], v13 offset:31216
	s_waitcnt lgkmcnt(0)
	ds_write_b64 v1, v[11:12] offset:32224
	ds_read_b64 v[11:12], v13 offset:31224
	s_waitcnt lgkmcnt(0)
	ds_write_b64 v1, v[11:12] offset:32736
.LBB35_984:
	s_or_b64 exec, exec, s[0:1]
	s_waitcnt lgkmcnt(0)
	s_barrier
	s_and_saveexec_b64 s[0:1], vcc
	s_cbranch_execz .LBB35_986
; %bb.985:
	v_mov_b32_e32 v1, 0
	ds_read_b128 v[11:14], v1 offset:32240
	ds_read_b64 v[15:16], v1 offset:32760
	s_movk_i32 s2, 0x7800
	v_add_u32_e64 v1, s2, 0
	s_waitcnt lgkmcnt(0)
	v_mul_f64 v[11:12], v[11:12], v[15:16]
	v_mul_f64 v[11:12], v[13:14], v[11:12]
	ds_write2_b64 v1, v[11:12], v[11:12] offset0:191 offset1:254
.LBB35_986:
	s_or_b64 exec, exec, s[0:1]
.LBB35_987:
	s_load_dwordx4 s[12:15], s[4:5], 0x48
	v_cmp_le_i32_e32 vcc, s90, v0
	v_mov_b32_e32 v11, 0
	v_mov_b32_e32 v12, 0
	v_add_u32_e32 v13, s33, v0
	s_waitcnt lgkmcnt(0)
	s_mul_i32 s1, s13, s22
	s_mul_hi_u32 s2, s12, s22
	s_mul_i32 s0, s12, s22
	s_add_i32 s1, s2, s1
	s_lshl_b64 s[0:1], s[0:1], 3
	s_add_u32 s2, s46, s0
	s_addc_u32 s3, s47, s1
	s_lshl_b64 s[0:1], s[48:49], 3
	s_add_u32 s20, s2, s0
	s_addc_u32 s21, s3, s1
	s_and_b64 s[16:17], vcc, s[26:27]
	v_cmp_eq_u32_e64 s[2:3], 0, v2
	s_xor_b64 s[0:1], s[16:17], -1
	s_and_b64 s[4:5], s[2:3], s[0:1]
	s_barrier
	s_and_saveexec_b64 s[0:1], s[4:5]
	s_cbranch_execz .LBB35_989
; %bb.988:
	v_ashrrev_i32_e32 v1, 31, v13
	v_mul_lo_u32 v14, s51, v13
	v_mad_u64_u32 v[11:12], s[4:5], s50, v13, 0
	v_mul_lo_u32 v1, s50, v1
	v_add3_u32 v12, v12, v1, v14
	v_lshlrev_b64 v[11:12], 3, v[11:12]
	v_mov_b32_e32 v1, s21
	v_add_co_u32_e32 v11, vcc, s20, v11
	v_addc_co_u32_e32 v12, vcc, v1, v12, vcc
	global_load_dwordx2 v[11:12], v[11:12], off
	s_waitcnt vmcnt(0)
	v_mul_f64 v[11:12], v[11:12], -s[34:35]
.LBB35_989:
	s_or_b64 exec, exec, s[0:1]
	s_and_b32 s0, 0xffff, s28
	v_mad_u32_u24 v18, v2, s0, v0
	v_mov_b32_e32 v1, 0
	s_cmp_lt_i32 s6, 1
	v_cmp_eq_u32_e64 s[4:5], 0, v18
	s_cbranch_scc1 .LBB35_1015
; %bb.990:
	v_ashrrev_i32_e32 v16, 31, v13
	v_mul_lo_u32 v17, s41, v13
	v_mad_u64_u32 v[14:15], s[0:1], s40, v13, 0
	v_mul_lo_u32 v16, s40, v16
	v_cmp_gt_i32_e64 s[8:9], s24, v13
	s_lshl_b64 s[0:1], s[22:23], 2
	s_add_u32 s0, s14, s0
	v_add3_u32 v15, v15, v16, v17
	v_lshlrev_b64 v[13:14], 3, v[14:15]
	v_mov_b32_e32 v16, 0xa000
	v_mov_b32_e32 v15, s94
	v_add_co_u32_e32 v21, vcc, s91, v13
	s_mov_b32 s28, 0
	s_addc_u32 s1, s15, s1
	v_cmp_gt_u32_e64 s[12:13], 64, v18
	v_lshl_add_u32 v19, v18, 3, v16
	v_lshl_or_b32 v20, v2, 3, v16
	s_add_i32 s95, s95, 1
	v_addc_co_u32_e32 v22, vcc, v15, v14, vcc
	v_mov_b32_e32 v23, -1
	s_branch .LBB35_993
.LBB35_991:                             ;   in Loop: Header=BB35_993 Depth=1
	ds_read_b64 v[13:14], v20 offset:384
	s_waitcnt vmcnt(0) lgkmcnt(0)
	v_fma_f64 v[11:12], v[15:16], v[13:14], v[11:12]
.LBB35_992:                             ;   in Loop: Header=BB35_993 Depth=1
	s_or_b64 exec, exec, s[18:19]
	s_add_i32 s28, s28, 1
	s_cmp_eq_u32 s28, s6
	s_cbranch_scc1 .LBB35_1015
.LBB35_993:                             ; =>This Loop Header: Depth=1
                                        ;     Child Loop BB35_995 Depth 2
	v_cmp_gt_i32_e32 vcc, s28, v23
	s_and_b64 s[18:19], s[4:5], vcc
	s_and_saveexec_b64 s[10:11], s[18:19]
	s_cbranch_execz .LBB35_996
; %bb.994:                              ;   in Loop: Header=BB35_993 Depth=1
	global_load_dword v23, v1, s[0:1]
	s_waitcnt vmcnt(0)
	v_cmp_le_i32_e32 vcc, s28, v23
	s_cbranch_vccnz .LBB35_996
.LBB35_995:                             ;   Parent Loop BB35_993 Depth=1
                                        ; =>  This Inner Loop Header: Depth=2
	buffer_wbinvl1_vol
	global_load_dword v23, v1, s[0:1]
	s_waitcnt vmcnt(0)
	v_cmp_gt_i32_e32 vcc, s28, v23
	s_cbranch_vccnz .LBB35_995
.LBB35_996:                             ;   in Loop: Header=BB35_993 Depth=1
	s_or_b64 exec, exec, s[10:11]
	s_sub_i32 s29, s7, s28
	s_lshl_b32 s30, s29, 6
	buffer_wbinvl1_vol
	s_barrier
	s_and_saveexec_b64 s[10:11], s[12:13]
	s_cbranch_execz .LBB35_1000
; %bb.997:                              ;   in Loop: Header=BB35_993 Depth=1
	s_ashr_i32 s18, s30, 31
	v_mov_b32_e32 v14, s18
	v_or_b32_e32 v13, s30, v18
	v_cmp_gt_i64_e32 vcc, s[24:25], v[13:14]
	v_mov_b32_e32 v15, 0
	v_mov_b32_e32 v16, 0
	s_and_saveexec_b64 s[18:19], vcc
	s_cbranch_execz .LBB35_999
; %bb.998:                              ;   in Loop: Header=BB35_993 Depth=1
	v_mul_lo_u32 v15, v14, s50
	v_mul_lo_u32 v16, v13, s51
	v_mad_u64_u32 v[13:14], s[34:35], v13, s50, 0
	v_add3_u32 v14, v14, v16, v15
	v_lshlrev_b64 v[13:14], 3, v[13:14]
	v_mov_b32_e32 v15, s21
	v_add_co_u32_e32 v13, vcc, s20, v13
	v_addc_co_u32_e32 v14, vcc, v15, v14, vcc
	global_load_dwordx2 v[15:16], v[13:14], off
.LBB35_999:                             ;   in Loop: Header=BB35_993 Depth=1
	s_or_b64 exec, exec, s[18:19]
	s_waitcnt vmcnt(0)
	ds_write_b64 v19, v[15:16]
.LBB35_1000:                            ;   in Loop: Header=BB35_993 Depth=1
	s_or_b64 exec, exec, s[10:11]
	v_add_u32_e32 v15, s30, v2
	v_ashrrev_i32_e32 v16, 31, v15
	v_lshlrev_b64 v[13:14], 3, v[15:16]
	s_cmp_lg_u32 s29, s95
	v_add_co_u32_e32 v13, vcc, v21, v13
	s_cselect_b64 s[10:11], -1, 0
	v_addc_co_u32_e32 v14, vcc, v22, v14, vcc
	v_cmp_gt_i32_e32 vcc, s24, v15
	v_cndmask_b32_e64 v16, 0, 1, s[10:11]
	s_and_b64 s[30:31], vcc, s[8:9]
	v_cmp_ne_u32_e64 s[10:11], 1, v16
	s_waitcnt lgkmcnt(0)
	s_barrier
	s_and_saveexec_b64 s[18:19], s[30:31]
	s_cbranch_execz .LBB35_1004
; %bb.1001:                             ;   in Loop: Header=BB35_993 Depth=1
	v_mov_b32_e32 v17, v6
	s_and_b64 vcc, exec, s[10:11]
	v_mov_b32_e32 v16, v5
	s_cbranch_vccnz .LBB35_1003
; %bb.1002:                             ;   in Loop: Header=BB35_993 Depth=1
	global_load_dwordx2 v[16:17], v[13:14], off
.LBB35_1003:                            ;   in Loop: Header=BB35_993 Depth=1
	ds_read_b64 v[24:25], v20
	s_waitcnt vmcnt(0) lgkmcnt(0)
	v_fma_f64 v[11:12], v[16:17], v[24:25], v[11:12]
.LBB35_1004:                            ;   in Loop: Header=BB35_993 Depth=1
	s_or_b64 exec, exec, s[18:19]
	v_add_u32_e32 v16, 16, v15
	v_cmp_gt_i32_e32 vcc, s24, v16
	s_and_b64 s[30:31], vcc, s[8:9]
	s_and_saveexec_b64 s[18:19], s[30:31]
	s_cbranch_execz .LBB35_1008
; %bb.1005:                             ;   in Loop: Header=BB35_993 Depth=1
	v_mov_b32_e32 v17, v4
	s_and_b64 vcc, exec, s[10:11]
	v_mov_b32_e32 v16, v3
	s_cbranch_vccnz .LBB35_1007
; %bb.1006:                             ;   in Loop: Header=BB35_993 Depth=1
	global_load_dwordx2 v[16:17], v[13:14], off offset:128
.LBB35_1007:                            ;   in Loop: Header=BB35_993 Depth=1
	ds_read_b64 v[24:25], v20 offset:128
	s_waitcnt vmcnt(0) lgkmcnt(0)
	v_fma_f64 v[11:12], v[16:17], v[24:25], v[11:12]
.LBB35_1008:                            ;   in Loop: Header=BB35_993 Depth=1
	s_or_b64 exec, exec, s[18:19]
	v_add_u32_e32 v16, 32, v15
	v_cmp_gt_i32_e32 vcc, s24, v16
	s_and_b64 s[30:31], vcc, s[8:9]
	s_and_saveexec_b64 s[18:19], s[30:31]
	s_cbranch_execz .LBB35_1012
; %bb.1009:                             ;   in Loop: Header=BB35_993 Depth=1
	v_mov_b32_e32 v17, v10
	s_and_b64 vcc, exec, s[10:11]
	v_mov_b32_e32 v16, v9
	s_cbranch_vccnz .LBB35_1011
; %bb.1010:                             ;   in Loop: Header=BB35_993 Depth=1
	global_load_dwordx2 v[16:17], v[13:14], off offset:256
.LBB35_1011:                            ;   in Loop: Header=BB35_993 Depth=1
	ds_read_b64 v[24:25], v20 offset:256
	s_waitcnt vmcnt(0) lgkmcnt(0)
	v_fma_f64 v[11:12], v[16:17], v[24:25], v[11:12]
.LBB35_1012:                            ;   in Loop: Header=BB35_993 Depth=1
	s_or_b64 exec, exec, s[18:19]
	v_add_u32_e32 v15, 48, v15
	v_cmp_gt_i32_e32 vcc, s24, v15
	s_and_b64 s[30:31], vcc, s[8:9]
	s_and_saveexec_b64 s[18:19], s[30:31]
	s_cbranch_execz .LBB35_992
; %bb.1013:                             ;   in Loop: Header=BB35_993 Depth=1
	v_mov_b32_e32 v16, v8
	s_and_b64 vcc, exec, s[10:11]
	v_mov_b32_e32 v15, v7
	s_cbranch_vccnz .LBB35_991
; %bb.1014:                             ;   in Loop: Header=BB35_993 Depth=1
	global_load_dwordx2 v[15:16], v[13:14], off offset:384
	s_branch .LBB35_991
.LBB35_1015:
	v_lshl_add_u32 v1, v2, 6, v0
	s_xor_b64 s[0:1], s[26:27], -1
	v_lshlrev_b32_e32 v1, 3, v1
	ds_write_b64 v1, v[11:12] offset:32768
	s_waitcnt lgkmcnt(0)
	s_barrier
	s_and_saveexec_b64 s[4:5], s[2:3]
	s_cbranch_execz .LBB35_1017
; %bb.1016:
	v_lshlrev_b32_e32 v15, 3, v0
	ds_read2st64_b64 v[3:6], v15 offset0:65 offset1:66
	ds_read_b64 v[13:14], v15 offset:40448
	s_waitcnt lgkmcnt(1)
	v_add_f64 v[3:4], v[11:12], v[3:4]
	v_add_f64 v[11:12], v[3:4], v[5:6]
	ds_read2st64_b64 v[3:6], v15 offset0:67 offset1:68
	ds_read2st64_b64 v[7:10], v15 offset0:69 offset1:70
	s_waitcnt lgkmcnt(1)
	v_add_f64 v[3:4], v[11:12], v[3:4]
	v_add_f64 v[3:4], v[3:4], v[5:6]
	s_waitcnt lgkmcnt(0)
	v_add_f64 v[3:4], v[3:4], v[7:8]
	v_add_f64 v[11:12], v[3:4], v[9:10]
	ds_read2st64_b64 v[3:6], v15 offset0:71 offset1:72
	ds_read2st64_b64 v[7:10], v15 offset0:73 offset1:74
	s_waitcnt lgkmcnt(1)
	v_add_f64 v[3:4], v[11:12], v[3:4]
	v_add_f64 v[3:4], v[3:4], v[5:6]
	;; [unrolled: 8-line block ×3, first 2 shown]
	s_waitcnt lgkmcnt(0)
	v_add_f64 v[3:4], v[3:4], v[7:8]
	v_add_f64 v[3:4], v[3:4], v[9:10]
	;; [unrolled: 1-line block ×3, first 2 shown]
	v_xor_b32_e32 v4, 0x80000000, v4
	v_cndmask_b32_e64 v12, v4, 0, s[16:17]
	v_cndmask_b32_e64 v11, v3, 0, s[16:17]
.LBB35_1017:
	s_or_b64 exec, exec, s[4:5]
	s_and_b64 vcc, exec, s[60:61]
	s_cbranch_vccnz .LBB35_1030
; %bb.1018:
	v_mov_b32_e32 v3, 0xa000
	v_lshl_or_b32 v5, v2, 3, v3
	s_and_saveexec_b64 s[4:5], s[2:3]
; %bb.1019:
	v_lshl_add_u32 v3, v0, 3, v5
	ds_write_b64 v3, v[11:12]
; %bb.1020:
	s_or_b64 exec, exec, s[4:5]
	v_mov_b32_e32 v3, 0
	v_mov_b32_e32 v4, 0
	v_cmp_le_u32_e32 vcc, v0, v2
	s_waitcnt lgkmcnt(0)
	s_barrier
	s_and_saveexec_b64 s[4:5], vcc
	s_cbranch_execz .LBB35_1022
; %bb.1021:
	ds_read_b64 v[3:4], v1
	ds_read_b64 v[6:7], v5
	s_waitcnt lgkmcnt(0)
	v_fma_f64 v[3:4], v[3:4], v[6:7], 0
.LBB35_1022:
	s_or_b64 exec, exec, s[4:5]
	v_add_u32_e32 v6, 16, v2
	v_cmp_le_u32_e32 vcc, v0, v6
	s_and_saveexec_b64 s[4:5], vcc
	s_cbranch_execz .LBB35_1024
; %bb.1023:
	ds_read_b64 v[6:7], v1 offset:8192
	ds_read_b64 v[8:9], v5 offset:128
	s_waitcnt lgkmcnt(0)
	v_fma_f64 v[3:4], v[6:7], v[8:9], v[3:4]
.LBB35_1024:
	s_or_b64 exec, exec, s[4:5]
	v_add_u32_e32 v6, 32, v2
	v_cmp_le_u32_e32 vcc, v0, v6
	s_and_saveexec_b64 s[4:5], vcc
	s_cbranch_execz .LBB35_1026
; %bb.1025:
	ds_read_b64 v[6:7], v1 offset:16384
	ds_read_b64 v[8:9], v5 offset:256
	s_waitcnt lgkmcnt(0)
	v_fma_f64 v[3:4], v[6:7], v[8:9], v[3:4]
.LBB35_1026:
	s_or_b64 exec, exec, s[4:5]
	v_add_u32_e32 v2, 48, v2
	v_add_u32_e32 v6, 0x8000, v1
	v_cmp_le_u32_e32 vcc, v0, v2
	s_and_saveexec_b64 s[4:5], vcc
	s_cbranch_execz .LBB35_1028
; %bb.1027:
	ds_read_b64 v[1:2], v1 offset:24576
	ds_read_b64 v[7:8], v5 offset:384
	s_waitcnt lgkmcnt(0)
	v_fma_f64 v[3:4], v[1:2], v[7:8], v[3:4]
.LBB35_1028:
	s_or_b64 exec, exec, s[4:5]
	s_mov_b64 s[6:7], 0
	s_mov_b64 s[4:5], 0
	ds_write_b64 v6, v[3:4]
	s_waitcnt lgkmcnt(0)
	s_barrier
                                        ; implicit-def: $vgpr1_vgpr2
	s_and_saveexec_b64 s[8:9], s[2:3]
	s_cbranch_execz .LBB35_1093
; %bb.1029:
	v_lshlrev_b32_e32 v15, 3, v0
	ds_read2st64_b64 v[5:8], v15 offset0:65 offset1:66
	ds_read_b64 v[9:10], v15 offset:40448
	s_mov_b64 s[4:5], exec
	s_waitcnt lgkmcnt(1)
	v_add_f64 v[1:2], v[3:4], v[5:6]
	v_add_f64 v[13:14], v[7:8], v[1:2]
	ds_read2st64_b64 v[1:4], v15 offset0:67 offset1:68
	ds_read2st64_b64 v[5:8], v15 offset0:69 offset1:70
	s_waitcnt lgkmcnt(1)
	v_add_f64 v[1:2], v[1:2], v[13:14]
	v_add_f64 v[1:2], v[3:4], v[1:2]
	s_waitcnt lgkmcnt(0)
	v_add_f64 v[1:2], v[5:6], v[1:2]
	v_add_f64 v[13:14], v[7:8], v[1:2]
	ds_read2st64_b64 v[1:4], v15 offset0:71 offset1:72
	ds_read2st64_b64 v[5:8], v15 offset0:73 offset1:74
	s_waitcnt lgkmcnt(1)
	v_add_f64 v[1:2], v[1:2], v[13:14]
	v_add_f64 v[1:2], v[3:4], v[1:2]
	;; [unrolled: 8-line block ×3, first 2 shown]
	s_waitcnt lgkmcnt(0)
	v_add_f64 v[1:2], v[5:6], v[1:2]
	v_add_f64 v[1:2], v[7:8], v[1:2]
	;; [unrolled: 1-line block ×3, first 2 shown]
	s_or_b64 exec, exec, s[8:9]
	s_and_b64 vcc, exec, s[6:7]
	s_cbranch_vccnz .LBB35_1031
	s_branch .LBB35_1094
.LBB35_1030:
	s_mov_b64 s[4:5], 0
                                        ; implicit-def: $vgpr1_vgpr2
	s_cbranch_execz .LBB35_1094
.LBB35_1031:
	s_movk_i32 s6, 0x208
	v_lshlrev_b32_e32 v2, 9, v0
	v_mov_b32_e32 v3, 0x7800
	v_mul_u32_u24_e32 v1, 0x208, v0
	v_sub_u32_e32 v2, 0, v2
	v_mad_u32_u24 v3, v0, s6, v3
	s_mov_b32 s8, 63
	s_movk_i32 s9, 0x8200
	v_mov_b32_e32 v4, 0
	s_branch .LBB35_1033
.LBB35_1032:                            ;   in Loop: Header=BB35_1033 Depth=1
	s_or_b64 exec, exec, s[6:7]
	s_add_i32 s8, s8, -4
	s_cmp_lg_u32 s10, 0
	v_add_u32_e32 v2, 0xfffff800, v2
	s_barrier
	s_cbranch_scc0 .LBB35_1049
.LBB35_1033:                            ; =>This Inner Loop Header: Depth=1
	v_cmp_eq_u32_e32 vcc, s9, v2
	s_and_b64 s[10:11], s[2:3], vcc
	s_and_saveexec_b64 s[6:7], s[10:11]
	s_cbranch_execz .LBB35_1035
; %bb.1034:                             ;   in Loop: Header=BB35_1033 Depth=1
	ds_read_b64 v[5:6], v1
	s_waitcnt lgkmcnt(0)
	v_mul_f64 v[11:12], v[11:12], v[5:6]
	ds_write_b64 v4, v[11:12] offset:41472
.LBB35_1035:                            ;   in Loop: Header=BB35_1033 Depth=1
	s_or_b64 exec, exec, s[6:7]
	v_cmp_gt_u32_e32 vcc, s8, v0
	s_and_b64 s[10:11], s[2:3], vcc
	v_add_u32_e32 v5, v3, v2
	s_waitcnt lgkmcnt(0)
	s_barrier
	s_and_saveexec_b64 s[6:7], s[10:11]
	s_cbranch_execz .LBB35_1037
; %bb.1036:                             ;   in Loop: Header=BB35_1033 Depth=1
	ds_read_b64 v[6:7], v5 offset:1536
	ds_read_b64 v[8:9], v4 offset:41472
	s_waitcnt lgkmcnt(0)
	v_fma_f64 v[11:12], v[6:7], v[8:9], v[11:12]
.LBB35_1037:                            ;   in Loop: Header=BB35_1033 Depth=1
	s_or_b64 exec, exec, s[6:7]
	s_add_i32 s10, s8, -1
	v_cmp_eq_u32_e32 vcc, s10, v0
	s_and_b64 s[12:13], s[2:3], vcc
	s_barrier
	s_and_saveexec_b64 s[6:7], s[12:13]
	s_cbranch_execz .LBB35_1039
; %bb.1038:                             ;   in Loop: Header=BB35_1033 Depth=1
	ds_read_b64 v[6:7], v1
	s_waitcnt lgkmcnt(0)
	v_mul_f64 v[11:12], v[11:12], v[6:7]
	ds_write_b64 v4, v[11:12] offset:41472
.LBB35_1039:                            ;   in Loop: Header=BB35_1033 Depth=1
	s_or_b64 exec, exec, s[6:7]
	v_cmp_gt_u32_e32 vcc, s10, v0
	s_and_b64 s[10:11], s[2:3], vcc
	s_waitcnt lgkmcnt(0)
	s_barrier
	s_and_saveexec_b64 s[6:7], s[10:11]
	s_cbranch_execz .LBB35_1041
; %bb.1040:                             ;   in Loop: Header=BB35_1033 Depth=1
	ds_read_b64 v[6:7], v5 offset:1024
	ds_read_b64 v[8:9], v4 offset:41472
	s_waitcnt lgkmcnt(0)
	v_fma_f64 v[11:12], v[6:7], v[8:9], v[11:12]
.LBB35_1041:                            ;   in Loop: Header=BB35_1033 Depth=1
	s_or_b64 exec, exec, s[6:7]
	s_add_i32 s10, s8, -2
	v_cmp_eq_u32_e32 vcc, s10, v0
	s_and_b64 s[12:13], s[2:3], vcc
	s_barrier
	s_and_saveexec_b64 s[6:7], s[12:13]
	s_cbranch_execz .LBB35_1043
; %bb.1042:                             ;   in Loop: Header=BB35_1033 Depth=1
	ds_read_b64 v[6:7], v1
	s_waitcnt lgkmcnt(0)
	v_mul_f64 v[11:12], v[11:12], v[6:7]
	ds_write_b64 v4, v[11:12] offset:41472
.LBB35_1043:                            ;   in Loop: Header=BB35_1033 Depth=1
	s_or_b64 exec, exec, s[6:7]
	v_cmp_gt_u32_e32 vcc, s10, v0
	s_and_b64 s[10:11], s[2:3], vcc
	s_waitcnt lgkmcnt(0)
	s_barrier
	s_and_saveexec_b64 s[6:7], s[10:11]
	s_cbranch_execz .LBB35_1045
; %bb.1044:                             ;   in Loop: Header=BB35_1033 Depth=1
	ds_read_b64 v[6:7], v5 offset:512
	ds_read_b64 v[8:9], v4 offset:41472
	s_waitcnt lgkmcnt(0)
	v_fma_f64 v[11:12], v[6:7], v[8:9], v[11:12]
.LBB35_1045:                            ;   in Loop: Header=BB35_1033 Depth=1
	s_or_b64 exec, exec, s[6:7]
	s_add_i32 s10, s8, -3
	v_cmp_eq_u32_e32 vcc, s10, v0
	s_and_b64 s[12:13], s[2:3], vcc
	s_barrier
	s_and_saveexec_b64 s[6:7], s[12:13]
	s_cbranch_execz .LBB35_1047
; %bb.1046:                             ;   in Loop: Header=BB35_1033 Depth=1
	ds_read_b64 v[6:7], v1
	s_waitcnt lgkmcnt(0)
	v_mul_f64 v[11:12], v[11:12], v[6:7]
	ds_write_b64 v4, v[11:12] offset:41472
.LBB35_1047:                            ;   in Loop: Header=BB35_1033 Depth=1
	s_or_b64 exec, exec, s[6:7]
	v_cmp_gt_u32_e32 vcc, s10, v0
	s_and_b64 s[12:13], s[2:3], vcc
	s_waitcnt lgkmcnt(0)
	s_barrier
	s_and_saveexec_b64 s[6:7], s[12:13]
	s_cbranch_execz .LBB35_1032
; %bb.1048:                             ;   in Loop: Header=BB35_1033 Depth=1
	ds_read_b64 v[5:6], v5
	ds_read_b64 v[7:8], v4 offset:41472
	s_waitcnt lgkmcnt(0)
	v_fma_f64 v[11:12], v[5:6], v[7:8], v[11:12]
	s_branch .LBB35_1032
.LBB35_1049:
	s_mov_b64 s[6:7], -1
	s_and_b64 vcc, exec, s[0:1]
	s_cbranch_vccnz .LBB35_1095
; %bb.1050:
	s_andn2_b64 vcc, exec, s[6:7]
	s_cbranch_vccz .LBB35_1096
.LBB35_1051:
	s_and_saveexec_b64 s[0:1], s[4:5]
	s_cbranch_execz .LBB35_1053
.LBB35_1052:
	v_mov_b32_e32 v0, s42
	v_add_co_u32_e32 v1, vcc, s33, v18
	v_addc_co_u32_e32 v0, vcc, 0, v0, vcc
	v_mul_lo_u32 v2, v0, s50
	v_mul_lo_u32 v3, v1, s51
	v_mad_u64_u32 v[0:1], s[2:3], v1, s50, 0
	v_add3_u32 v1, v1, v3, v2
	v_lshlrev_b64 v[0:1], 3, v[0:1]
	v_mov_b32_e32 v2, s21
	v_add_co_u32_e32 v0, vcc, s20, v0
	v_addc_co_u32_e32 v1, vcc, v2, v1, vcc
	global_store_dwordx2 v[0:1], v[11:12], off
.LBB35_1053:
	s_or_b64 exec, exec, s[0:1]
	v_cmp_eq_u32_e32 vcc, 0, v18
	s_waitcnt vmcnt(0)
	buffer_wbinvl1_vol
	s_barrier
	s_and_saveexec_b64 s[0:1], vcc
	s_cbranch_execz .LBB35_1055
; %bb.1054:
	s_lshl_b64 s[2:3], s[22:23], 2
	s_add_u32 s2, s14, s2
	s_addc_u32 s3, s15, s3
	v_mov_b32_e32 v0, 0
	global_load_dword v1, v0, s[2:3]
	s_waitcnt vmcnt(0)
	v_add_u32_e32 v1, 1, v1
	global_store_dword v0, v1, s[2:3]
.LBB35_1055:
	s_or_b64 exec, exec, s[0:1]
	s_waitcnt vmcnt(0)
	buffer_wbinvl1_vol
	s_endpgm
.LBB35_1056:
                                        ; implicit-def: $vgpr7_vgpr8
                                        ; implicit-def: $vgpr9_vgpr10
                                        ; implicit-def: $vgpr3_vgpr4
                                        ; implicit-def: $vgpr5_vgpr6
                                        ; implicit-def: $sgpr33
	s_cbranch_execnz .LBB35_10
	s_branch .LBB35_11
.LBB35_1057:
	v_cmp_ne_u32_e32 vcc, v0, v2
	s_and_saveexec_b64 s[12:13], vcc
	s_xor_b64 s[12:13], exec, s[12:13]
; %bb.1058:
	v_or_b32_e32 v1, v2, v0
	v_cmp_gt_u32_e32 vcc, 64, v1
	s_and_b64 s[10:11], vcc, exec
                                        ; implicit-def: $vgpr15_vgpr16
; %bb.1059:
	s_or_saveexec_b64 s[12:13], s[12:13]
	v_mov_b32_e32 v13, 0
	v_mov_b32_e32 v14, 0
	s_xor_b64 exec, exec, s[12:13]
	s_cbranch_execz .LBB35_1061
; %bb.1060:
	v_lshlrev_b64 v[13:14], 3, v[15:16]
	v_mov_b32_e32 v1, s94
	v_add_co_u32_e32 v13, vcc, s91, v13
	v_addc_co_u32_e32 v14, vcc, v1, v14, vcc
	global_load_dwordx2 v[13:14], v[13:14], off
	s_or_b64 s[10:11], s[10:11], exec
	s_waitcnt vmcnt(0)
	v_div_scale_f64 v[15:16], s[14:15], v[13:14], v[13:14], 1.0
	v_div_scale_f64 v[22:23], vcc, 1.0, v[13:14], 1.0
	v_rcp_f64_e32 v[18:19], v[15:16]
	v_fma_f64 v[20:21], -v[15:16], v[18:19], 1.0
	v_fma_f64 v[18:19], v[18:19], v[20:21], v[18:19]
	v_fma_f64 v[20:21], -v[15:16], v[18:19], 1.0
	v_fma_f64 v[18:19], v[18:19], v[20:21], v[18:19]
	v_mul_f64 v[20:21], v[22:23], v[18:19]
	v_fma_f64 v[15:16], -v[15:16], v[20:21], v[22:23]
	v_div_fmas_f64 v[15:16], v[15:16], v[18:19], v[20:21]
	v_div_fixup_f64 v[13:14], v[15:16], v[13:14], 1.0
.LBB35_1061:
	s_or_b64 exec, exec, s[12:13]
	s_and_b64 s[10:11], s[10:11], exec
                                        ; implicit-def: $vgpr15_vgpr16
	s_andn2_saveexec_b64 s[8:9], s[8:9]
	s_cbranch_execz .LBB35_14
.LBB35_1062:
	v_lshlrev_b64 v[13:14], 3, v[15:16]
	v_mov_b32_e32 v1, s94
	v_add_co_u32_e32 v13, vcc, s91, v13
	v_addc_co_u32_e32 v14, vcc, v1, v14, vcc
	global_load_dwordx2 v[13:14], v[13:14], off
	s_or_b64 s[10:11], s[10:11], exec
	s_waitcnt vmcnt(0)
	v_xor_b32_e32 v14, 0x80000000, v14
	s_or_b64 exec, exec, s[8:9]
	s_and_saveexec_b64 s[8:9], s[10:11]
	s_cbranch_execnz .LBB35_15
	s_branch .LBB35_16
.LBB35_1063:
	v_cmp_ne_u32_e32 vcc, v0, v1
	s_and_saveexec_b64 s[10:11], vcc
	s_xor_b64 s[10:11], exec, s[10:11]
; %bb.1064:
	v_or_b32_e32 v13, v1, v0
	v_cmp_gt_u32_e32 vcc, 64, v13
	s_and_b64 s[8:9], vcc, exec
                                        ; implicit-def: $vgpr15_vgpr16
; %bb.1065:
	s_or_saveexec_b64 s[10:11], s[10:11]
	v_mov_b32_e32 v13, 0
	v_mov_b32_e32 v14, 0
	s_xor_b64 exec, exec, s[10:11]
	s_cbranch_execz .LBB35_1067
; %bb.1066:
	v_lshlrev_b64 v[13:14], 3, v[15:16]
	v_mov_b32_e32 v15, s94
	v_add_co_u32_e32 v13, vcc, s91, v13
	v_addc_co_u32_e32 v14, vcc, v15, v14, vcc
	global_load_dwordx2 v[13:14], v[13:14], off
	s_or_b64 s[8:9], s[8:9], exec
	s_waitcnt vmcnt(0)
	v_div_scale_f64 v[15:16], s[12:13], v[13:14], v[13:14], 1.0
	v_div_scale_f64 v[22:23], vcc, 1.0, v[13:14], 1.0
	v_rcp_f64_e32 v[18:19], v[15:16]
	v_fma_f64 v[20:21], -v[15:16], v[18:19], 1.0
	v_fma_f64 v[18:19], v[18:19], v[20:21], v[18:19]
	v_fma_f64 v[20:21], -v[15:16], v[18:19], 1.0
	v_fma_f64 v[18:19], v[18:19], v[20:21], v[18:19]
	v_mul_f64 v[20:21], v[22:23], v[18:19]
	v_fma_f64 v[15:16], -v[15:16], v[20:21], v[22:23]
	v_div_fmas_f64 v[15:16], v[15:16], v[18:19], v[20:21]
	v_div_fixup_f64 v[13:14], v[15:16], v[13:14], 1.0
.LBB35_1067:
	s_or_b64 exec, exec, s[10:11]
	s_and_b64 s[8:9], s[8:9], exec
                                        ; implicit-def: $vgpr15_vgpr16
	s_andn2_saveexec_b64 s[2:3], s[2:3]
	s_cbranch_execz .LBB35_18
.LBB35_1068:
	v_lshlrev_b64 v[13:14], 3, v[15:16]
	v_mov_b32_e32 v15, s94
	v_add_co_u32_e32 v13, vcc, s91, v13
	v_addc_co_u32_e32 v14, vcc, v15, v14, vcc
	global_load_dwordx2 v[13:14], v[13:14], off
	s_or_b64 s[8:9], s[8:9], exec
	s_waitcnt vmcnt(0)
	v_xor_b32_e32 v14, 0x80000000, v14
	s_or_b64 exec, exec, s[2:3]
	s_and_saveexec_b64 s[2:3], s[8:9]
	s_cbranch_execnz .LBB35_19
	s_branch .LBB35_20
.LBB35_1069:
	v_cmp_ne_u32_e32 vcc, v0, v1
	s_and_saveexec_b64 s[10:11], vcc
	s_xor_b64 s[10:11], exec, s[10:11]
; %bb.1070:
	v_or_b32_e32 v13, v1, v0
	v_cmp_gt_u32_e32 vcc, 64, v13
	s_and_b64 s[8:9], vcc, exec
                                        ; implicit-def: $vgpr15_vgpr16
; %bb.1071:
	s_or_saveexec_b64 s[10:11], s[10:11]
	v_mov_b32_e32 v13, 0
	v_mov_b32_e32 v14, 0
	s_xor_b64 exec, exec, s[10:11]
	s_cbranch_execz .LBB35_1073
; %bb.1072:
	v_lshlrev_b64 v[13:14], 3, v[15:16]
	v_mov_b32_e32 v15, s94
	v_add_co_u32_e32 v13, vcc, s91, v13
	v_addc_co_u32_e32 v14, vcc, v15, v14, vcc
	global_load_dwordx2 v[13:14], v[13:14], off
	s_or_b64 s[8:9], s[8:9], exec
	s_waitcnt vmcnt(0)
	v_div_scale_f64 v[15:16], s[12:13], v[13:14], v[13:14], 1.0
	v_div_scale_f64 v[22:23], vcc, 1.0, v[13:14], 1.0
	v_rcp_f64_e32 v[18:19], v[15:16]
	v_fma_f64 v[20:21], -v[15:16], v[18:19], 1.0
	v_fma_f64 v[18:19], v[18:19], v[20:21], v[18:19]
	v_fma_f64 v[20:21], -v[15:16], v[18:19], 1.0
	v_fma_f64 v[18:19], v[18:19], v[20:21], v[18:19]
	v_mul_f64 v[20:21], v[22:23], v[18:19]
	v_fma_f64 v[15:16], -v[15:16], v[20:21], v[22:23]
	v_div_fmas_f64 v[15:16], v[15:16], v[18:19], v[20:21]
	v_div_fixup_f64 v[13:14], v[15:16], v[13:14], 1.0
.LBB35_1073:
	s_or_b64 exec, exec, s[10:11]
	s_and_b64 s[8:9], s[8:9], exec
                                        ; implicit-def: $vgpr15_vgpr16
	s_andn2_saveexec_b64 s[2:3], s[2:3]
	s_cbranch_execz .LBB35_22
.LBB35_1074:
	v_lshlrev_b64 v[13:14], 3, v[15:16]
	v_mov_b32_e32 v15, s94
	v_add_co_u32_e32 v13, vcc, s91, v13
	v_addc_co_u32_e32 v14, vcc, v15, v14, vcc
	global_load_dwordx2 v[13:14], v[13:14], off
	s_or_b64 s[8:9], s[8:9], exec
	s_waitcnt vmcnt(0)
	v_xor_b32_e32 v14, 0x80000000, v14
	s_or_b64 exec, exec, s[2:3]
	s_and_saveexec_b64 s[2:3], s[8:9]
	s_cbranch_execnz .LBB35_23
	s_branch .LBB35_24
.LBB35_1075:
	v_cmp_ne_u32_e32 vcc, v0, v2
	s_xor_b64 s[12:13], s[2:3], -1
	s_or_b64 s[14:15], s[12:13], vcc
	s_mov_b64 s[12:13], 0
	s_and_saveexec_b64 s[16:17], s[14:15]
	s_xor_b64 s[14:15], exec, s[16:17]
; %bb.1076:
	v_or_b32_e32 v1, v2, v0
	v_cmp_gt_u32_e32 vcc, 64, v1
	s_and_b64 s[12:13], vcc, exec
                                        ; implicit-def: $vgpr13_vgpr14
; %bb.1077:
	s_or_saveexec_b64 s[14:15], s[14:15]
	v_mov_b32_e32 v15, 0
	v_mov_b32_e32 v16, 0
	s_xor_b64 exec, exec, s[14:15]
	s_cbranch_execz .LBB35_1079
; %bb.1078:
	v_lshlrev_b64 v[13:14], 3, v[13:14]
	v_mov_b32_e32 v1, s94
	v_add_co_u32_e32 v13, vcc, s91, v13
	v_addc_co_u32_e32 v14, vcc, v1, v14, vcc
	global_load_dwordx2 v[13:14], v[13:14], off
	s_or_b64 s[12:13], s[12:13], exec
	s_waitcnt vmcnt(0)
	v_div_scale_f64 v[15:16], s[16:17], v[13:14], v[13:14], 1.0
	v_div_scale_f64 v[22:23], vcc, 1.0, v[13:14], 1.0
	v_rcp_f64_e32 v[18:19], v[15:16]
	v_fma_f64 v[20:21], -v[15:16], v[18:19], 1.0
	v_fma_f64 v[18:19], v[18:19], v[20:21], v[18:19]
	v_fma_f64 v[20:21], -v[15:16], v[18:19], 1.0
	v_fma_f64 v[18:19], v[18:19], v[20:21], v[18:19]
	v_mul_f64 v[20:21], v[22:23], v[18:19]
	v_fma_f64 v[15:16], -v[15:16], v[20:21], v[22:23]
	v_div_fmas_f64 v[15:16], v[15:16], v[18:19], v[20:21]
	v_div_fixup_f64 v[15:16], v[15:16], v[13:14], 1.0
.LBB35_1079:
	s_or_b64 exec, exec, s[14:15]
	s_and_b64 s[12:13], s[12:13], exec
                                        ; implicit-def: $vgpr13_vgpr14
	s_andn2_saveexec_b64 s[8:9], s[8:9]
	s_cbranch_execz .LBB35_36
.LBB35_1080:
	v_lshlrev_b64 v[13:14], 3, v[13:14]
	v_mov_b32_e32 v1, s94
	v_add_co_u32_e32 v13, vcc, s91, v13
	v_addc_co_u32_e32 v14, vcc, v1, v14, vcc
	global_load_dwordx2 v[15:16], v[13:14], off
	s_or_b64 s[12:13], s[12:13], exec
	s_waitcnt vmcnt(0)
	v_xor_b32_e32 v16, 0x80000000, v16
	s_or_b64 exec, exec, s[8:9]
	s_and_saveexec_b64 s[8:9], s[12:13]
	s_cbranch_execnz .LBB35_37
	s_branch .LBB35_38
.LBB35_1081:
	v_cmp_ne_u32_e32 vcc, v0, v1
	s_xor_b64 s[12:13], s[2:3], -1
	s_or_b64 s[14:15], s[12:13], vcc
	s_mov_b64 s[12:13], 0
	s_and_saveexec_b64 s[16:17], s[14:15]
	s_xor_b64 s[14:15], exec, s[16:17]
; %bb.1082:
	v_or_b32_e32 v13, v1, v0
	v_cmp_gt_u32_e32 vcc, 64, v13
	s_and_b64 s[12:13], vcc, exec
                                        ; implicit-def: $vgpr13_vgpr14
; %bb.1083:
	s_or_saveexec_b64 s[14:15], s[14:15]
	v_mov_b32_e32 v15, 0
	v_mov_b32_e32 v16, 0
	s_xor_b64 exec, exec, s[14:15]
	s_cbranch_execz .LBB35_1085
; %bb.1084:
	v_lshlrev_b64 v[13:14], 3, v[13:14]
	v_mov_b32_e32 v15, s94
	v_add_co_u32_e32 v13, vcc, s91, v13
	v_addc_co_u32_e32 v14, vcc, v15, v14, vcc
	global_load_dwordx2 v[13:14], v[13:14], off
	s_or_b64 s[12:13], s[12:13], exec
	s_waitcnt vmcnt(0)
	v_div_scale_f64 v[15:16], s[16:17], v[13:14], v[13:14], 1.0
	v_div_scale_f64 v[22:23], vcc, 1.0, v[13:14], 1.0
	v_rcp_f64_e32 v[18:19], v[15:16]
	v_fma_f64 v[20:21], -v[15:16], v[18:19], 1.0
	v_fma_f64 v[18:19], v[18:19], v[20:21], v[18:19]
	v_fma_f64 v[20:21], -v[15:16], v[18:19], 1.0
	v_fma_f64 v[18:19], v[18:19], v[20:21], v[18:19]
	v_mul_f64 v[20:21], v[22:23], v[18:19]
	v_fma_f64 v[15:16], -v[15:16], v[20:21], v[22:23]
	v_div_fmas_f64 v[15:16], v[15:16], v[18:19], v[20:21]
	v_div_fixup_f64 v[15:16], v[15:16], v[13:14], 1.0
.LBB35_1085:
	s_or_b64 exec, exec, s[14:15]
	s_and_b64 s[12:13], s[12:13], exec
                                        ; implicit-def: $vgpr13_vgpr14
	s_andn2_saveexec_b64 s[8:9], s[8:9]
	s_cbranch_execz .LBB35_40
.LBB35_1086:
	v_lshlrev_b64 v[13:14], 3, v[13:14]
	v_mov_b32_e32 v15, s94
	v_add_co_u32_e32 v13, vcc, s91, v13
	v_addc_co_u32_e32 v14, vcc, v15, v14, vcc
	global_load_dwordx2 v[15:16], v[13:14], off
	s_or_b64 s[12:13], s[12:13], exec
	s_waitcnt vmcnt(0)
	v_xor_b32_e32 v16, 0x80000000, v16
	s_or_b64 exec, exec, s[8:9]
	s_and_saveexec_b64 s[8:9], s[12:13]
	s_cbranch_execnz .LBB35_41
	s_branch .LBB35_42
.LBB35_1087:
	v_cmp_ne_u32_e32 vcc, v0, v1
	s_xor_b64 s[12:13], s[2:3], -1
	s_or_b64 s[14:15], s[12:13], vcc
	s_mov_b64 s[12:13], 0
	s_and_saveexec_b64 s[16:17], s[14:15]
	s_xor_b64 s[14:15], exec, s[16:17]
; %bb.1088:
	v_or_b32_e32 v13, v1, v0
	v_cmp_gt_u32_e32 vcc, 64, v13
	s_and_b64 s[12:13], vcc, exec
                                        ; implicit-def: $vgpr13_vgpr14
; %bb.1089:
	s_or_saveexec_b64 s[14:15], s[14:15]
	v_mov_b32_e32 v15, 0
	v_mov_b32_e32 v16, 0
	s_xor_b64 exec, exec, s[14:15]
	s_cbranch_execz .LBB35_1091
; %bb.1090:
	v_lshlrev_b64 v[13:14], 3, v[13:14]
	v_mov_b32_e32 v15, s94
	v_add_co_u32_e32 v13, vcc, s91, v13
	v_addc_co_u32_e32 v14, vcc, v15, v14, vcc
	global_load_dwordx2 v[13:14], v[13:14], off
	s_or_b64 s[12:13], s[12:13], exec
	s_waitcnt vmcnt(0)
	v_div_scale_f64 v[15:16], s[16:17], v[13:14], v[13:14], 1.0
	v_div_scale_f64 v[22:23], vcc, 1.0, v[13:14], 1.0
	v_rcp_f64_e32 v[18:19], v[15:16]
	v_fma_f64 v[20:21], -v[15:16], v[18:19], 1.0
	v_fma_f64 v[18:19], v[18:19], v[20:21], v[18:19]
	v_fma_f64 v[20:21], -v[15:16], v[18:19], 1.0
	v_fma_f64 v[18:19], v[18:19], v[20:21], v[18:19]
	v_mul_f64 v[20:21], v[22:23], v[18:19]
	v_fma_f64 v[15:16], -v[15:16], v[20:21], v[22:23]
	v_div_fmas_f64 v[15:16], v[15:16], v[18:19], v[20:21]
	v_div_fixup_f64 v[15:16], v[15:16], v[13:14], 1.0
.LBB35_1091:
	s_or_b64 exec, exec, s[14:15]
	s_and_b64 s[12:13], s[12:13], exec
                                        ; implicit-def: $vgpr13_vgpr14
	s_andn2_saveexec_b64 s[8:9], s[8:9]
	s_cbranch_execz .LBB35_44
.LBB35_1092:
	v_lshlrev_b64 v[13:14], 3, v[13:14]
	v_mov_b32_e32 v15, s94
	v_add_co_u32_e32 v13, vcc, s91, v13
	v_addc_co_u32_e32 v14, vcc, v15, v14, vcc
	global_load_dwordx2 v[15:16], v[13:14], off
	s_or_b64 s[12:13], s[12:13], exec
	s_waitcnt vmcnt(0)
	v_xor_b32_e32 v16, 0x80000000, v16
	s_or_b64 exec, exec, s[8:9]
	s_and_saveexec_b64 s[8:9], s[12:13]
	s_cbranch_execnz .LBB35_45
	s_branch .LBB35_46
.LBB35_1093:
	s_or_b64 exec, exec, s[8:9]
	s_and_b64 vcc, exec, s[6:7]
	s_cbranch_vccnz .LBB35_1031
.LBB35_1094:
	v_mov_b32_e32 v12, v2
	v_mov_b32_e32 v11, v1
	s_and_saveexec_b64 s[0:1], s[4:5]
	s_cbranch_execnz .LBB35_1052
	s_branch .LBB35_1053
.LBB35_1095:
	s_andn2_b64 s[0:1], s[4:5], exec
	s_and_b64 s[4:5], s[2:3], exec
	s_or_b64 s[4:5], s[0:1], s[4:5]
	s_cbranch_execnz .LBB35_1051
.LBB35_1096:
	v_cmp_gt_i32_e32 vcc, s90, v0
	s_and_b64 s[0:1], s[2:3], vcc
	s_andn2_b64 s[2:3], s[4:5], exec
	s_and_b64 s[0:1], s[0:1], exec
	s_or_b64 s[4:5], s[2:3], s[0:1]
	s_and_saveexec_b64 s[0:1], s[4:5]
	s_cbranch_execnz .LBB35_1052
	s_branch .LBB35_1053
.LBB35_1097:
	v_lshlrev_b32_e32 v21, 3, v20
	v_sub_u32_e32 v21, v18, v21
	v_lshl_add_u32 v21, v19, 3, v21
	ds_read_b64 v[21:22], v21 offset:544
	ds_read_b64 v[23:24], v18 offset:8
	s_waitcnt lgkmcnt(0)
	v_fma_f64 v[11:12], v[21:22], v[23:24], v[11:12]
	s_or_b64 exec, exec, s[14:15]
	v_cmp_gt_u32_e64 s[10:11], 8, v14
	s_and_saveexec_b64 s[14:15], s[10:11]
	s_cbranch_execz .LBB35_79
.LBB35_1098:
	ds_read_b64 v[21:22], v16 offset:1056
	ds_read_b64 v[23:24], v18 offset:16
	s_waitcnt lgkmcnt(0)
	v_fma_f64 v[11:12], v[21:22], v[23:24], v[11:12]
	s_or_b64 exec, exec, s[14:15]
	v_cmp_gt_u32_e64 s[10:11], 4, v14
	s_and_saveexec_b64 s[14:15], s[10:11]
	s_cbranch_execnz .LBB35_80
	s_branch .LBB35_81
.LBB35_1099:
	v_lshlrev_b32_e32 v26, 3, v25
	v_sub_u32_e32 v26, v23, v26
	v_lshl_add_u32 v26, v24, 3, v26
	ds_read_b64 v[26:27], v26 offset:576
	ds_read_b64 v[28:29], v23 offset:8
	s_waitcnt lgkmcnt(0)
	v_fma_f64 v[11:12], v[26:27], v[28:29], v[11:12]
	s_or_b64 exec, exec, s[16:17]
	v_cmp_gt_u32_e64 s[14:15], 48, v14
	s_and_saveexec_b64 s[16:17], s[14:15]
	s_cbranch_execz .LBB35_121
.LBB35_1100:
	v_lshlrev_b32_e32 v26, 3, v25
	v_sub_u32_e32 v26, v23, v26
	v_lshl_add_u32 v26, v24, 3, v26
	ds_read_b64 v[26:27], v26 offset:1088
	ds_read_b64 v[28:29], v23 offset:16
	s_waitcnt lgkmcnt(0)
	v_fma_f64 v[11:12], v[26:27], v[28:29], v[11:12]
	s_or_b64 exec, exec, s[16:17]
	v_cmp_gt_u32_e64 s[14:15], 40, v14
	s_and_saveexec_b64 s[16:17], s[14:15]
	s_cbranch_execz .LBB35_122
.LBB35_1101:
	v_lshlrev_b32_e32 v26, 3, v25
	v_sub_u32_e32 v26, v23, v26
	v_lshl_add_u32 v26, v24, 3, v26
	ds_read_b64 v[26:27], v26 offset:1600
	ds_read_b64 v[28:29], v23 offset:24
	s_waitcnt lgkmcnt(0)
	v_fma_f64 v[11:12], v[26:27], v[28:29], v[11:12]
	s_or_b64 exec, exec, s[16:17]
	v_cmp_gt_u32_e64 s[14:15], 32, v14
	s_and_saveexec_b64 s[16:17], s[14:15]
	s_cbranch_execz .LBB35_123
.LBB35_1102:
	ds_read_b64 v[26:27], v21 offset:2112
	ds_read_b64 v[28:29], v23 offset:32
	s_waitcnt lgkmcnt(0)
	v_fma_f64 v[11:12], v[26:27], v[28:29], v[11:12]
	s_or_b64 exec, exec, s[16:17]
	v_cmp_gt_u32_e64 s[14:15], 24, v14
	s_and_saveexec_b64 s[16:17], s[14:15]
	s_cbranch_execz .LBB35_124
.LBB35_1103:
	v_lshlrev_b32_e32 v26, 3, v25
	v_sub_u32_e32 v26, v23, v26
	v_lshl_add_u32 v26, v24, 3, v26
	ds_read_b64 v[26:27], v26 offset:2624
	ds_read_b64 v[28:29], v23 offset:40
	s_waitcnt lgkmcnt(0)
	v_fma_f64 v[11:12], v[26:27], v[28:29], v[11:12]
	s_or_b64 exec, exec, s[16:17]
	v_cmp_gt_u32_e64 s[14:15], 16, v14
	s_and_saveexec_b64 s[16:17], s[14:15]
	s_cbranch_execz .LBB35_125
.LBB35_1104:
	ds_read_b64 v[26:27], v21 offset:3136
	ds_read_b64 v[28:29], v23 offset:48
	s_waitcnt lgkmcnt(0)
	v_fma_f64 v[11:12], v[26:27], v[28:29], v[11:12]
	s_or_b64 exec, exec, s[16:17]
	v_cmp_gt_u32_e64 s[14:15], 8, v14
	s_and_saveexec_b64 s[16:17], s[14:15]
	s_cbranch_execnz .LBB35_126
	s_branch .LBB35_127
.LBB35_1105:
	v_lshlrev_b32_e32 v27, 3, v20
	v_sub_u32_e32 v27, v26, v27
	v_lshl_add_u32 v27, v19, 3, v27
	ds_read_b64 v[27:28], v27 offset:4704
	ds_read_b64 v[29:30], v26 offset:4168
	s_waitcnt lgkmcnt(0)
	v_fma_f64 v[11:12], v[27:28], v[29:30], v[11:12]
	s_or_b64 exec, exec, s[14:15]
	v_cmp_gt_u32_e64 s[10:11], 8, v14
	s_and_saveexec_b64 s[14:15], s[10:11]
	s_cbranch_execz .LBB35_183
.LBB35_1106:
	ds_read_b64 v[27:28], v16 offset:5216
	ds_read_b64 v[29:30], v26 offset:4176
	s_waitcnt lgkmcnt(0)
	v_fma_f64 v[11:12], v[27:28], v[29:30], v[11:12]
	s_or_b64 exec, exec, s[14:15]
	v_cmp_gt_u32_e64 s[10:11], 4, v14
	s_and_saveexec_b64 s[14:15], s[10:11]
	s_cbranch_execnz .LBB35_184
	s_branch .LBB35_185
.LBB35_1107:
	v_lshlrev_b32_e32 v31, 3, v27
	v_lshl_add_u32 v31, v29, 3, v31
	ds_read_b64 v[31:32], v31 offset:5760
	ds_read_b64 v[33:34], v28 offset:88
	s_waitcnt lgkmcnt(0)
	v_fma_f64 v[11:12], v[31:32], v[33:34], v[11:12]
	s_or_b64 exec, exec, s[20:21]
	v_cmp_gt_u32_e64 s[16:17], 64, v14
	s_and_saveexec_b64 s[20:21], s[16:17]
	s_cbranch_execz .LBB35_245
.LBB35_1108:
	ds_read_b64 v[31:32], v26 offset:6272
	ds_read_b64 v[33:34], v28 offset:96
	s_waitcnt lgkmcnt(0)
	v_fma_f64 v[11:12], v[31:32], v[33:34], v[11:12]
	s_or_b64 exec, exec, s[20:21]
	v_cmp_gt_u32_e64 s[16:17], 48, v14
	s_and_saveexec_b64 s[20:21], s[16:17]
	s_cbranch_execz .LBB35_246
.LBB35_1109:
	v_lshlrev_b32_e32 v31, 3, v27
	v_lshl_add_u32 v31, v29, 3, v31
	ds_read_b64 v[31:32], v31 offset:6784
	ds_read_b64 v[33:34], v28 offset:104
	s_waitcnt lgkmcnt(0)
	v_fma_f64 v[11:12], v[31:32], v[33:34], v[11:12]
	s_or_b64 exec, exec, s[20:21]
	v_cmp_gt_u32_e64 s[16:17], 32, v14
	s_and_saveexec_b64 s[20:21], s[16:17]
	s_cbranch_execz .LBB35_247
.LBB35_1110:
	ds_read_b64 v[31:32], v26 offset:7296
	ds_read_b64 v[33:34], v28 offset:112
	s_waitcnt lgkmcnt(0)
	v_fma_f64 v[11:12], v[31:32], v[33:34], v[11:12]
	s_or_b64 exec, exec, s[20:21]
	v_cmp_gt_u32_e64 s[16:17], 16, v14
	s_and_saveexec_b64 s[20:21], s[16:17]
	s_cbranch_execnz .LBB35_248
	s_branch .LBB35_249
.LBB35_1111:
	v_lshlrev_b32_e32 v32, 3, v20
	v_sub_u32_e32 v32, v31, v32
	v_lshl_add_u32 v32, v19, 3, v32
	ds_read_b64 v[32:33], v32 offset:8864
	ds_read_b64 v[34:35], v31 offset:8328
	s_waitcnt lgkmcnt(0)
	v_fma_f64 v[11:12], v[32:33], v[34:35], v[11:12]
	s_or_b64 exec, exec, s[20:21]
	v_cmp_gt_u32_e64 s[14:15], 8, v14
	s_and_saveexec_b64 s[0:1], s[14:15]
	s_cbranch_execz .LBB35_337
.LBB35_1112:
	ds_read_b64 v[32:33], v16 offset:9376
	ds_read_b64 v[34:35], v31 offset:8336
	s_waitcnt lgkmcnt(0)
	v_fma_f64 v[11:12], v[32:33], v[34:35], v[11:12]
	s_or_b64 exec, exec, s[0:1]
	v_cmp_gt_u32_e64 s[14:15], 4, v14
	s_and_saveexec_b64 s[20:21], s[14:15]
	s_cbranch_execnz .LBB35_338
	s_branch .LBB35_339
.LBB35_1113:
	v_lshlrev_b32_e32 v32, 3, v25
	v_sub_u32_e32 v32, v31, v32
	v_lshl_add_u32 v32, v24, 3, v32
	ds_read_b64 v[32:33], v32 offset:8896
	ds_read_b64 v[34:35], v31 offset:8328
	s_waitcnt lgkmcnt(0)
	v_fma_f64 v[11:12], v[32:33], v[34:35], v[11:12]
	s_or_b64 exec, exec, s[20:21]
	v_cmp_gt_u32_e64 s[14:15], 48, v14
	s_and_saveexec_b64 s[20:21], s[14:15]
	s_cbranch_execz .LBB35_379
.LBB35_1114:
	v_lshlrev_b32_e32 v32, 3, v25
	v_sub_u32_e32 v32, v31, v32
	v_lshl_add_u32 v32, v24, 3, v32
	ds_read_b64 v[32:33], v32 offset:9408
	ds_read_b64 v[34:35], v31 offset:8336
	s_waitcnt lgkmcnt(0)
	v_fma_f64 v[11:12], v[32:33], v[34:35], v[11:12]
	s_or_b64 exec, exec, s[20:21]
	v_cmp_gt_u32_e64 s[14:15], 40, v14
	s_and_saveexec_b64 s[20:21], s[14:15]
	s_cbranch_execz .LBB35_380
.LBB35_1115:
	v_lshlrev_b32_e32 v32, 3, v25
	v_sub_u32_e32 v32, v31, v32
	v_lshl_add_u32 v32, v24, 3, v32
	ds_read_b64 v[32:33], v32 offset:9920
	ds_read_b64 v[34:35], v31 offset:8344
	s_waitcnt lgkmcnt(0)
	v_fma_f64 v[11:12], v[32:33], v[34:35], v[11:12]
	s_or_b64 exec, exec, s[20:21]
	v_cmp_gt_u32_e64 s[14:15], 32, v14
	s_and_saveexec_b64 s[0:1], s[14:15]
	s_cbranch_execz .LBB35_381
.LBB35_1116:
	ds_read_b64 v[32:33], v21 offset:10432
	ds_read_b64 v[34:35], v31 offset:8352
	s_waitcnt lgkmcnt(0)
	v_fma_f64 v[11:12], v[32:33], v[34:35], v[11:12]
	s_or_b64 exec, exec, s[0:1]
	v_cmp_gt_u32_e64 s[14:15], 24, v14
	s_and_saveexec_b64 s[20:21], s[14:15]
	s_cbranch_execz .LBB35_382
.LBB35_1117:
	v_lshlrev_b32_e32 v32, 3, v25
	v_sub_u32_e32 v32, v31, v32
	v_lshl_add_u32 v32, v24, 3, v32
	ds_read_b64 v[32:33], v32 offset:10944
	ds_read_b64 v[34:35], v31 offset:8360
	s_waitcnt lgkmcnt(0)
	v_fma_f64 v[11:12], v[32:33], v[34:35], v[11:12]
	s_or_b64 exec, exec, s[20:21]
	v_cmp_gt_u32_e64 s[14:15], 16, v14
	s_and_saveexec_b64 s[0:1], s[14:15]
	s_cbranch_execz .LBB35_383
.LBB35_1118:
	ds_read_b64 v[32:33], v21 offset:11456
	ds_read_b64 v[34:35], v31 offset:8368
	s_waitcnt lgkmcnt(0)
	v_fma_f64 v[11:12], v[32:33], v[34:35], v[11:12]
	s_or_b64 exec, exec, s[0:1]
	v_cmp_gt_u32_e64 s[14:15], 8, v14
	s_and_saveexec_b64 s[20:21], s[14:15]
	s_cbranch_execnz .LBB35_384
	s_branch .LBB35_385
.LBB35_1119:
	v_lshlrev_b32_e32 v32, 3, v20
	v_sub_u32_e32 v32, v31, v32
	v_lshl_add_u32 v32, v19, 3, v32
	ds_read_b64 v[32:33], v32 offset:13024
	ds_read_b64 v[34:35], v31 offset:12488
	s_waitcnt lgkmcnt(0)
	v_fma_f64 v[11:12], v[32:33], v[34:35], v[11:12]
	s_or_b64 exec, exec, s[20:21]
	v_cmp_gt_u32_e64 s[14:15], 8, v14
	s_and_saveexec_b64 s[0:1], s[14:15]
	s_cbranch_execz .LBB35_441
.LBB35_1120:
	ds_read_b64 v[32:33], v16 offset:13536
	ds_read_b64 v[34:35], v31 offset:12496
	s_waitcnt lgkmcnt(0)
	v_fma_f64 v[11:12], v[32:33], v[34:35], v[11:12]
	s_or_b64 exec, exec, s[0:1]
	v_cmp_gt_u32_e64 s[14:15], 4, v14
	s_and_saveexec_b64 s[20:21], s[14:15]
	s_cbranch_execnz .LBB35_442
	s_branch .LBB35_443
.LBB35_1121:
	ds_read_b64 v[35:36], v31 offset:15104
	ds_read_b64 v[37:38], v34 offset:232
	s_waitcnt lgkmcnt(0)
	v_fma_f64 v[11:12], v[35:36], v[37:38], v[11:12]
	s_or_b64 exec, exec, s[0:1]
	v_cmp_gt_u32_e64 s[20:21], 64, v14
	s_and_saveexec_b64 s[0:1], s[20:21]
	s_cbranch_execz .LBB35_539
.LBB35_1122:
	ds_read_b64 v[35:36], v31 offset:15616
	ds_read_b64 v[37:38], v34 offset:240
	s_waitcnt lgkmcnt(0)
	v_fma_f64 v[11:12], v[35:36], v[37:38], v[11:12]
	s_or_b64 exec, exec, s[0:1]
	v_cmp_gt_u32_e64 s[20:21], 32, v14
	s_and_saveexec_b64 s[0:1], s[20:21]
	s_cbranch_execnz .LBB35_540
	s_branch .LBB35_541
.LBB35_1123:
	v_lshlrev_b32_e32 v32, 3, v20
	v_sub_u32_e32 v32, v31, v32
	v_lshl_add_u32 v32, v19, 3, v32
	ds_read_b64 v[32:33], v32 offset:17184
	ds_read_b64 v[34:35], v31 offset:16648
	s_waitcnt lgkmcnt(0)
	v_fma_f64 v[11:12], v[32:33], v[34:35], v[11:12]
	s_or_b64 exec, exec, s[16:17]
	v_cmp_gt_u32_e64 s[12:13], 8, v14
	s_and_saveexec_b64 s[0:1], s[12:13]
	s_cbranch_execz .LBB35_585
.LBB35_1124:
	ds_read_b64 v[32:33], v16 offset:17696
	ds_read_b64 v[34:35], v31 offset:16656
	s_waitcnt lgkmcnt(0)
	v_fma_f64 v[11:12], v[32:33], v[34:35], v[11:12]
	s_or_b64 exec, exec, s[0:1]
	v_cmp_gt_u32_e64 s[12:13], 4, v14
	s_and_saveexec_b64 s[0:1], s[12:13]
	s_cbranch_execnz .LBB35_586
	s_branch .LBB35_587
.LBB35_1125:
	v_lshlrev_b32_e32 v32, 3, v25
	v_sub_u32_e32 v32, v31, v32
	v_lshl_add_u32 v32, v24, 3, v32
	ds_read_b64 v[32:33], v32 offset:17216
	ds_read_b64 v[34:35], v31 offset:16648
	s_waitcnt lgkmcnt(0)
	v_fma_f64 v[11:12], v[32:33], v[34:35], v[11:12]
	s_or_b64 exec, exec, s[16:17]
	v_cmp_gt_u32_e64 s[12:13], 48, v14
	s_and_saveexec_b64 s[0:1], s[12:13]
	s_cbranch_execz .LBB35_627
.LBB35_1126:
	v_lshlrev_b32_e32 v32, 3, v25
	v_sub_u32_e32 v32, v31, v32
	v_lshl_add_u32 v32, v24, 3, v32
	ds_read_b64 v[32:33], v32 offset:17728
	ds_read_b64 v[34:35], v31 offset:16656
	s_waitcnt lgkmcnt(0)
	v_fma_f64 v[11:12], v[32:33], v[34:35], v[11:12]
	s_or_b64 exec, exec, s[0:1]
	v_cmp_gt_u32_e64 s[12:13], 40, v14
	s_and_saveexec_b64 s[0:1], s[12:13]
	s_cbranch_execz .LBB35_628
.LBB35_1127:
	v_lshlrev_b32_e32 v32, 3, v25
	v_sub_u32_e32 v32, v31, v32
	v_lshl_add_u32 v32, v24, 3, v32
	ds_read_b64 v[32:33], v32 offset:18240
	ds_read_b64 v[34:35], v31 offset:16664
	s_waitcnt lgkmcnt(0)
	v_fma_f64 v[11:12], v[32:33], v[34:35], v[11:12]
	s_or_b64 exec, exec, s[0:1]
	v_cmp_gt_u32_e64 s[12:13], 32, v14
	s_and_saveexec_b64 s[0:1], s[12:13]
	s_cbranch_execz .LBB35_629
.LBB35_1128:
	ds_read_b64 v[32:33], v21 offset:18752
	ds_read_b64 v[34:35], v31 offset:16672
	s_waitcnt lgkmcnt(0)
	v_fma_f64 v[11:12], v[32:33], v[34:35], v[11:12]
	s_or_b64 exec, exec, s[0:1]
	v_cmp_gt_u32_e64 s[12:13], 24, v14
	s_and_saveexec_b64 s[0:1], s[12:13]
	s_cbranch_execz .LBB35_630
.LBB35_1129:
	v_lshlrev_b32_e32 v32, 3, v25
	v_sub_u32_e32 v32, v31, v32
	v_lshl_add_u32 v32, v24, 3, v32
	ds_read_b64 v[32:33], v32 offset:19264
	ds_read_b64 v[34:35], v31 offset:16680
	s_waitcnt lgkmcnt(0)
	v_fma_f64 v[11:12], v[32:33], v[34:35], v[11:12]
	s_or_b64 exec, exec, s[0:1]
	v_cmp_gt_u32_e64 s[12:13], 16, v14
	s_and_saveexec_b64 s[0:1], s[12:13]
	s_cbranch_execz .LBB35_631
.LBB35_1130:
	ds_read_b64 v[32:33], v21 offset:19776
	ds_read_b64 v[34:35], v31 offset:16688
	s_waitcnt lgkmcnt(0)
	v_fma_f64 v[11:12], v[32:33], v[34:35], v[11:12]
	s_or_b64 exec, exec, s[0:1]
	v_cmp_gt_u32_e64 s[12:13], 8, v14
	s_and_saveexec_b64 s[0:1], s[12:13]
	s_cbranch_execnz .LBB35_632
	s_branch .LBB35_633
.LBB35_1131:
	v_lshlrev_b32_e32 v32, 3, v20
	v_sub_u32_e32 v32, v31, v32
	v_lshl_add_u32 v32, v19, 3, v32
	ds_read_b64 v[32:33], v32 offset:21344
	ds_read_b64 v[34:35], v31 offset:20808
	s_waitcnt lgkmcnt(0)
	v_fma_f64 v[11:12], v[32:33], v[34:35], v[11:12]
	s_or_b64 exec, exec, s[16:17]
	v_cmp_gt_u32_e64 s[12:13], 8, v14
	s_and_saveexec_b64 s[0:1], s[12:13]
	s_cbranch_execz .LBB35_689
.LBB35_1132:
	ds_read_b64 v[32:33], v16 offset:21856
	ds_read_b64 v[34:35], v31 offset:20816
	s_waitcnt lgkmcnt(0)
	v_fma_f64 v[11:12], v[32:33], v[34:35], v[11:12]
	s_or_b64 exec, exec, s[0:1]
	v_cmp_gt_u32_e64 s[12:13], 4, v14
	s_and_saveexec_b64 s[0:1], s[12:13]
	s_cbranch_execnz .LBB35_690
	s_branch .LBB35_691
.LBB35_1133:
	v_lshlrev_b32_e32 v30, 3, v27
	v_lshl_add_u32 v30, v29, 3, v30
	ds_read_b64 v[32:33], v30 offset:22400
	ds_read_b64 v[34:35], v31 offset:16728
	s_waitcnt lgkmcnt(0)
	v_fma_f64 v[11:12], v[32:33], v[34:35], v[11:12]
	s_or_b64 exec, exec, s[0:1]
	v_cmp_gt_u32_e64 s[12:13], 64, v14
	s_and_saveexec_b64 s[0:1], s[12:13]
	s_cbranch_execz .LBB35_751
.LBB35_1134:
	ds_read_b64 v[32:33], v26 offset:22912
	ds_read_b64 v[34:35], v31 offset:16736
	s_waitcnt lgkmcnt(0)
	v_fma_f64 v[11:12], v[32:33], v[34:35], v[11:12]
	s_or_b64 exec, exec, s[0:1]
	v_cmp_gt_u32_e64 s[12:13], 48, v14
	s_and_saveexec_b64 s[0:1], s[12:13]
	s_cbranch_execz .LBB35_752
.LBB35_1135:
	v_lshlrev_b32_e32 v30, 3, v27
	v_lshl_add_u32 v29, v29, 3, v30
	ds_read_b64 v[29:30], v29 offset:23424
	ds_read_b64 v[32:33], v31 offset:16744
	s_waitcnt lgkmcnt(0)
	v_fma_f64 v[11:12], v[29:30], v[32:33], v[11:12]
	s_or_b64 exec, exec, s[0:1]
	v_cmp_gt_u32_e64 s[12:13], 32, v14
	s_and_saveexec_b64 s[0:1], s[12:13]
	s_cbranch_execz .LBB35_753
.LBB35_1136:
	ds_read_b64 v[29:30], v26 offset:23936
	ds_read_b64 v[31:32], v31 offset:16752
	s_waitcnt lgkmcnt(0)
	v_fma_f64 v[11:12], v[29:30], v[31:32], v[11:12]
	s_or_b64 exec, exec, s[0:1]
	v_cmp_gt_u32_e64 s[12:13], 16, v14
	s_and_saveexec_b64 s[0:1], s[12:13]
	s_cbranch_execnz .LBB35_754
	s_branch .LBB35_755
.LBB35_1137:
	v_lshlrev_b32_e32 v27, 3, v20
	v_sub_u32_e32 v27, v26, v27
	v_lshl_add_u32 v27, v19, 3, v27
	ds_read_b64 v[27:28], v27 offset:25504
	ds_read_b64 v[29:30], v26 offset:24968
	s_waitcnt lgkmcnt(0)
	v_fma_f64 v[11:12], v[27:28], v[29:30], v[11:12]
	s_or_b64 exec, exec, s[12:13]
	v_cmp_gt_u32_e64 s[10:11], 8, v14
	s_and_saveexec_b64 s[12:13], s[10:11]
	s_cbranch_execz .LBB35_843
.LBB35_1138:
	ds_read_b64 v[27:28], v16 offset:26016
	ds_read_b64 v[29:30], v26 offset:24976
	s_waitcnt lgkmcnt(0)
	v_fma_f64 v[11:12], v[27:28], v[29:30], v[11:12]
	s_or_b64 exec, exec, s[12:13]
	v_cmp_gt_u32_e64 s[10:11], 4, v14
	s_and_saveexec_b64 s[12:13], s[10:11]
	s_cbranch_execnz .LBB35_844
	s_branch .LBB35_845
.LBB35_1139:
	v_lshlrev_b32_e32 v27, 3, v25
	v_sub_u32_e32 v27, v26, v27
	v_lshl_add_u32 v27, v24, 3, v27
	ds_read_b64 v[27:28], v27 offset:25536
	ds_read_b64 v[29:30], v26 offset:24968
	s_waitcnt lgkmcnt(0)
	v_fma_f64 v[11:12], v[27:28], v[29:30], v[11:12]
	s_or_b64 exec, exec, s[12:13]
	v_cmp_gt_u32_e64 s[10:11], 48, v14
	s_and_saveexec_b64 s[12:13], s[10:11]
	s_cbranch_execz .LBB35_885
.LBB35_1140:
	v_lshlrev_b32_e32 v27, 3, v25
	v_sub_u32_e32 v27, v26, v27
	v_lshl_add_u32 v27, v24, 3, v27
	ds_read_b64 v[27:28], v27 offset:26048
	ds_read_b64 v[29:30], v26 offset:24976
	s_waitcnt lgkmcnt(0)
	v_fma_f64 v[11:12], v[27:28], v[29:30], v[11:12]
	s_or_b64 exec, exec, s[12:13]
	v_cmp_gt_u32_e64 s[10:11], 40, v14
	s_and_saveexec_b64 s[12:13], s[10:11]
	s_cbranch_execz .LBB35_886
.LBB35_1141:
	v_lshlrev_b32_e32 v27, 3, v25
	v_sub_u32_e32 v27, v26, v27
	v_lshl_add_u32 v27, v24, 3, v27
	ds_read_b64 v[27:28], v27 offset:26560
	ds_read_b64 v[29:30], v26 offset:24984
	s_waitcnt lgkmcnt(0)
	v_fma_f64 v[11:12], v[27:28], v[29:30], v[11:12]
	s_or_b64 exec, exec, s[12:13]
	v_cmp_gt_u32_e64 s[10:11], 32, v14
	s_and_saveexec_b64 s[12:13], s[10:11]
	s_cbranch_execz .LBB35_887
.LBB35_1142:
	ds_read_b64 v[27:28], v21 offset:27072
	ds_read_b64 v[29:30], v26 offset:24992
	s_waitcnt lgkmcnt(0)
	v_fma_f64 v[11:12], v[27:28], v[29:30], v[11:12]
	s_or_b64 exec, exec, s[12:13]
	v_cmp_gt_u32_e64 s[10:11], 24, v14
	s_and_saveexec_b64 s[12:13], s[10:11]
	s_cbranch_execz .LBB35_888
.LBB35_1143:
	v_lshlrev_b32_e32 v25, 3, v25
	v_sub_u32_e32 v25, v26, v25
	v_lshl_add_u32 v24, v24, 3, v25
	ds_read_b64 v[24:25], v24 offset:27584
	ds_read_b64 v[27:28], v26 offset:25000
	s_waitcnt lgkmcnt(0)
	v_fma_f64 v[11:12], v[24:25], v[27:28], v[11:12]
	s_or_b64 exec, exec, s[12:13]
	v_cmp_gt_u32_e64 s[10:11], 16, v14
	s_and_saveexec_b64 s[12:13], s[10:11]
	s_cbranch_execz .LBB35_889
.LBB35_1144:
	ds_read_b64 v[24:25], v21 offset:28096
	ds_read_b64 v[26:27], v26 offset:25008
	s_waitcnt lgkmcnt(0)
	v_fma_f64 v[11:12], v[24:25], v[26:27], v[11:12]
	s_or_b64 exec, exec, s[12:13]
	v_cmp_gt_u32_e64 s[10:11], 8, v14
	s_and_saveexec_b64 s[12:13], s[10:11]
	s_cbranch_execnz .LBB35_890
	s_branch .LBB35_891
.LBB35_1145:
	v_lshlrev_b32_e32 v20, 3, v20
	v_sub_u32_e32 v20, v21, v20
	v_lshl_add_u32 v19, v19, 3, v20
	ds_read_b64 v[19:20], v19 offset:29664
	ds_read_b64 v[22:23], v21 offset:29128
	s_waitcnt lgkmcnt(0)
	v_fma_f64 v[11:12], v[19:20], v[22:23], v[11:12]
	s_or_b64 exec, exec, s[10:11]
	v_cmp_gt_u32_e64 s[8:9], 8, v14
	s_and_saveexec_b64 s[10:11], s[8:9]
	s_cbranch_execz .LBB35_947
.LBB35_1146:
	ds_read_b64 v[19:20], v16 offset:30176
	ds_read_b64 v[21:22], v21 offset:29136
	s_waitcnt lgkmcnt(0)
	v_fma_f64 v[11:12], v[19:20], v[21:22], v[11:12]
	s_or_b64 exec, exec, s[10:11]
	v_cmp_gt_u32_e64 s[8:9], 4, v14
	s_and_saveexec_b64 s[10:11], s[8:9]
	s_cbranch_execnz .LBB35_948
	s_branch .LBB35_949
	.section	.rodata,"a",@progbits
	.p2align	6, 0x0
	.amdhsa_kernel _ZL19rocblas_trsv_deviceILi64ELi16ELb1ELb1ELb0ELb0EdPKdS1_PdEviT7_lllT6_T8_lllPii
		.amdhsa_group_segment_fixed_size 41480
		.amdhsa_private_segment_fixed_size 0
		.amdhsa_kernarg_size 352
		.amdhsa_user_sgpr_count 6
		.amdhsa_user_sgpr_private_segment_buffer 1
		.amdhsa_user_sgpr_dispatch_ptr 0
		.amdhsa_user_sgpr_queue_ptr 0
		.amdhsa_user_sgpr_kernarg_segment_ptr 1
		.amdhsa_user_sgpr_dispatch_id 0
		.amdhsa_user_sgpr_flat_scratch_init 0
		.amdhsa_user_sgpr_private_segment_size 0
		.amdhsa_uses_dynamic_stack 0
		.amdhsa_system_sgpr_private_segment_wavefront_offset 0
		.amdhsa_system_sgpr_workgroup_id_x 1
		.amdhsa_system_sgpr_workgroup_id_y 0
		.amdhsa_system_sgpr_workgroup_id_z 1
		.amdhsa_system_sgpr_workgroup_info 0
		.amdhsa_system_vgpr_workitem_id 1
		.amdhsa_next_free_vgpr 49
		.amdhsa_next_free_sgpr 98
		.amdhsa_reserve_vcc 1
		.amdhsa_reserve_flat_scratch 0
		.amdhsa_float_round_mode_32 0
		.amdhsa_float_round_mode_16_64 0
		.amdhsa_float_denorm_mode_32 3
		.amdhsa_float_denorm_mode_16_64 3
		.amdhsa_dx10_clamp 1
		.amdhsa_ieee_mode 1
		.amdhsa_fp16_overflow 0
		.amdhsa_exception_fp_ieee_invalid_op 0
		.amdhsa_exception_fp_denorm_src 0
		.amdhsa_exception_fp_ieee_div_zero 0
		.amdhsa_exception_fp_ieee_overflow 0
		.amdhsa_exception_fp_ieee_underflow 0
		.amdhsa_exception_fp_ieee_inexact 0
		.amdhsa_exception_int_div_zero 0
	.end_amdhsa_kernel
	.section	.text._ZL19rocblas_trsv_deviceILi64ELi16ELb1ELb1ELb0ELb0EdPKdS1_PdEviT7_lllT6_T8_lllPii,"axG",@progbits,_ZL19rocblas_trsv_deviceILi64ELi16ELb1ELb1ELb0ELb0EdPKdS1_PdEviT7_lllT6_T8_lllPii,comdat
.Lfunc_end35:
	.size	_ZL19rocblas_trsv_deviceILi64ELi16ELb1ELb1ELb0ELb0EdPKdS1_PdEviT7_lllT6_T8_lllPii, .Lfunc_end35-_ZL19rocblas_trsv_deviceILi64ELi16ELb1ELb1ELb0ELb0EdPKdS1_PdEviT7_lllT6_T8_lllPii
                                        ; -- End function
	.set _ZL19rocblas_trsv_deviceILi64ELi16ELb1ELb1ELb0ELb0EdPKdS1_PdEviT7_lllT6_T8_lllPii.num_vgpr, 43
	.set _ZL19rocblas_trsv_deviceILi64ELi16ELb1ELb1ELb0ELb0EdPKdS1_PdEviT7_lllT6_T8_lllPii.num_agpr, 0
	.set _ZL19rocblas_trsv_deviceILi64ELi16ELb1ELb1ELb0ELb0EdPKdS1_PdEviT7_lllT6_T8_lllPii.numbered_sgpr, 96
	.set _ZL19rocblas_trsv_deviceILi64ELi16ELb1ELb1ELb0ELb0EdPKdS1_PdEviT7_lllT6_T8_lllPii.num_named_barrier, 0
	.set _ZL19rocblas_trsv_deviceILi64ELi16ELb1ELb1ELb0ELb0EdPKdS1_PdEviT7_lllT6_T8_lllPii.private_seg_size, 0
	.set _ZL19rocblas_trsv_deviceILi64ELi16ELb1ELb1ELb0ELb0EdPKdS1_PdEviT7_lllT6_T8_lllPii.uses_vcc, 1
	.set _ZL19rocblas_trsv_deviceILi64ELi16ELb1ELb1ELb0ELb0EdPKdS1_PdEviT7_lllT6_T8_lllPii.uses_flat_scratch, 0
	.set _ZL19rocblas_trsv_deviceILi64ELi16ELb1ELb1ELb0ELb0EdPKdS1_PdEviT7_lllT6_T8_lllPii.has_dyn_sized_stack, 0
	.set _ZL19rocblas_trsv_deviceILi64ELi16ELb1ELb1ELb0ELb0EdPKdS1_PdEviT7_lllT6_T8_lllPii.has_recursion, 0
	.set _ZL19rocblas_trsv_deviceILi64ELi16ELb1ELb1ELb0ELb0EdPKdS1_PdEviT7_lllT6_T8_lllPii.has_indirect_call, 0
	.section	.AMDGPU.csdata,"",@progbits
; Kernel info:
; codeLenInByte = 38648
; TotalNumSgprs: 100
; NumVgprs: 43
; ScratchSize: 0
; MemoryBound: 0
; FloatMode: 240
; IeeeMode: 1
; LDSByteSize: 41480 bytes/workgroup (compile time only)
; SGPRBlocks: 12
; VGPRBlocks: 12
; NumSGPRsForWavesPerEU: 102
; NumVGPRsForWavesPerEU: 49
; Occupancy: 4
; WaveLimiterHint : 0
; COMPUTE_PGM_RSRC2:SCRATCH_EN: 0
; COMPUTE_PGM_RSRC2:USER_SGPR: 6
; COMPUTE_PGM_RSRC2:TRAP_HANDLER: 0
; COMPUTE_PGM_RSRC2:TGID_X_EN: 1
; COMPUTE_PGM_RSRC2:TGID_Y_EN: 0
; COMPUTE_PGM_RSRC2:TGID_Z_EN: 1
; COMPUTE_PGM_RSRC2:TIDIG_COMP_CNT: 1
	.section	.text._ZL19rocblas_trsv_deviceILi64ELi16ELb1ELb1ELb1ELb0EdPKdS1_PdEviT7_lllT6_T8_lllPii,"axG",@progbits,_ZL19rocblas_trsv_deviceILi64ELi16ELb1ELb1ELb1ELb0EdPKdS1_PdEviT7_lllT6_T8_lllPii,comdat
	.globl	_ZL19rocblas_trsv_deviceILi64ELi16ELb1ELb1ELb1ELb0EdPKdS1_PdEviT7_lllT6_T8_lllPii ; -- Begin function _ZL19rocblas_trsv_deviceILi64ELi16ELb1ELb1ELb1ELb0EdPKdS1_PdEviT7_lllT6_T8_lllPii
	.p2align	8
	.type	_ZL19rocblas_trsv_deviceILi64ELi16ELb1ELb1ELb1ELb0EdPKdS1_PdEviT7_lllT6_T8_lllPii,@function
_ZL19rocblas_trsv_deviceILi64ELi16ELb1ELb1ELb1ELb0EdPKdS1_PdEviT7_lllT6_T8_lllPii: ; @_ZL19rocblas_trsv_deviceILi64ELi16ELb1ELb1ELb1ELb0EdPKdS1_PdEviT7_lllT6_T8_lllPii
; %bb.0:
	s_load_dwordx16 s[36:51], s[4:5], 0x8
	s_load_dword s24, s[4:5], 0x0
	s_mov_b32 s22, s7
	v_mov_b32_e32 v2, v1
	s_mov_b32 s23, 0
	s_waitcnt lgkmcnt(0)
	s_mul_i32 s0, s43, s7
	s_mul_hi_u32 s1, s42, s7
	s_add_i32 s1, s1, s0
	s_mul_i32 s0, s42, s7
	s_load_dword s7, s[4:5], 0x60
	s_lshl_b64 s[0:1], s[0:1], 3
	s_add_u32 s2, s36, s0
	s_addc_u32 s3, s37, s1
	s_lshl_b64 s[0:1], s[38:39], 3
	s_load_dwordx2 s[34:35], s[44:45], 0x0
	s_load_dword s28, s[4:5], 0x6c
	s_add_u32 s91, s2, s0
	s_addc_u32 s94, s3, s1
	s_waitcnt lgkmcnt(0)
	s_add_i32 s7, s7, -1
	s_sub_i32 s95, s7, s6
	s_cmp_lg_u32 s6, 0
	s_cbranch_scc0 .LBB36_1056
; %bb.1:
	s_lshl_b32 s33, s95, 6
	v_add_u32_e32 v1, s33, v0
	v_ashrrev_i32_e32 v3, 31, v1
	v_mul_lo_u32 v5, s40, v3
	v_mul_lo_u32 v6, s41, v1
	v_mad_u64_u32 v[3:4], s[0:1], s40, v1, 0
	v_add3_u32 v11, v2, s33, 64
	v_ashrrev_i32_e32 v12, 31, v11
	v_add3_u32 v4, v4, v5, v6
	v_lshlrev_b64 v[3:4], 3, v[3:4]
	v_cmp_gt_i32_e32 vcc, s24, v1
	v_mov_b32_e32 v1, s94
	v_add_co_u32_e64 v5, s[0:1], s91, v3
	v_addc_co_u32_e64 v1, s[0:1], v1, v4, s[0:1]
	v_lshlrev_b64 v[3:4], 3, v[11:12]
	v_add_co_u32_e64 v12, s[0:1], v5, v3
	v_addc_co_u32_e64 v13, s[0:1], v1, v4, s[0:1]
	v_cmp_gt_i32_e64 s[0:1], s24, v11
	v_mov_b32_e32 v3, 0
	v_mov_b32_e32 v5, 0
	;; [unrolled: 1-line block ×4, first 2 shown]
	s_and_b64 s[2:3], s[0:1], vcc
	s_barrier
	s_and_saveexec_b64 s[0:1], s[2:3]
	s_cbranch_execz .LBB36_3
; %bb.2:
	global_load_dwordx2 v[5:6], v[12:13], off
.LBB36_3:
	s_or_b64 exec, exec, s[0:1]
	v_add_u32_e32 v1, 16, v11
	v_cmp_gt_i32_e64 s[0:1], s24, v1
	s_and_b64 s[2:3], s[0:1], vcc
	s_waitcnt vmcnt(0)
	s_barrier
	s_and_saveexec_b64 s[0:1], s[2:3]
	s_cbranch_execz .LBB36_5
; %bb.4:
	global_load_dwordx2 v[3:4], v[12:13], off offset:128
.LBB36_5:
	s_or_b64 exec, exec, s[0:1]
	v_add_u32_e32 v1, 32, v11
	v_cmp_gt_i32_e64 s[0:1], s24, v1
	v_mov_b32_e32 v7, 0
	v_mov_b32_e32 v9, 0
	;; [unrolled: 1-line block ×4, first 2 shown]
	s_and_b64 s[2:3], s[0:1], vcc
	s_waitcnt vmcnt(0)
	s_barrier
	s_and_saveexec_b64 s[0:1], s[2:3]
	s_cbranch_execz .LBB36_7
; %bb.6:
	global_load_dwordx2 v[9:10], v[12:13], off offset:256
.LBB36_7:
	s_or_b64 exec, exec, s[0:1]
	v_add_u32_e32 v1, 48, v11
	v_cmp_gt_i32_e64 s[0:1], s24, v1
	s_and_b64 s[2:3], s[0:1], vcc
	s_waitcnt vmcnt(0)
	s_barrier
	s_and_saveexec_b64 s[0:1], s[2:3]
	s_cbranch_execz .LBB36_9
; %bb.8:
	global_load_dwordx2 v[7:8], v[12:13], off offset:384
.LBB36_9:
	s_or_b64 exec, exec, s[0:1]
	s_branch .LBB36_11
.LBB36_10:
	s_lshl_b32 s33, s95, 6
                                        ; implicit-def: $vgpr5_vgpr6
                                        ; implicit-def: $vgpr3_vgpr4
                                        ; implicit-def: $vgpr9_vgpr10
                                        ; implicit-def: $vgpr7_vgpr8
.LBB36_11:
	s_ashr_i32 s25, s24, 31
	s_lshr_b32 s0, s25, 26
	s_add_i32 s0, s24, s0
	s_andn2_b32 s0, s0, 63
	s_sub_i32 s90, s24, s0
	s_add_i32 s0, s24, -1
	s_ashr_i32 s1, s0, 31
	s_lshr_b32 s1, s1, 26
	s_add_i32 s0, s0, s1
	s_ashr_i32 s0, s0, 6
	s_cmp_eq_u32 s0, s95
	s_cselect_b64 s[0:1], -1, 0
	s_cmp_lg_u32 s90, 0
	s_cselect_b64 s[2:3], -1, 0
	s_and_b64 s[26:27], s[2:3], s[0:1]
	s_cmp_lt_i32 s6, 5
	s_cselect_b64 s[2:3], -1, 0
	s_or_b64 s[0:1], s[2:3], s[26:27]
	s_ashr_i32 s42, s33, 31
	s_add_u32 s10, s40, 1
	v_mov_b32_e32 v1, 0
	v_mov_b32_e32 v11, s33
	v_mad_u64_u32 v[11:12], s[8:9], s10, v11, v[0:1]
	s_addc_u32 s11, s41, 0
	s_mul_i32 s8, s10, s42
	s_mul_i32 s11, s11, s33
	s_add_i32 s8, s8, s11
	s_mov_b64 s[12:13], -1
	v_lshlrev_b32_e32 v17, 6, v0
	v_add_u32_e32 v12, s8, v12
	s_and_b64 vcc, exec, s[26:27]
	v_cmp_le_u32_e64 s[8:9], v0, v2
	s_cbranch_vccnz .LBB36_33
; %bb.12:
	v_mad_u64_u32 v[15:16], s[10:11], s40, v2, v[11:12]
	v_mov_b32_e32 v1, v16
	v_mad_u64_u32 v[13:14], s[10:11], s41, v2, v[1:2]
	s_mov_b64 s[10:11], 0
	v_mov_b32_e32 v16, v13
                                        ; implicit-def: $vgpr13_vgpr14
	s_and_saveexec_b64 s[12:13], s[8:9]
	s_xor_b64 s[8:9], exec, s[12:13]
	s_cbranch_execnz .LBB36_1057
; %bb.13:
	s_andn2_saveexec_b64 s[8:9], s[8:9]
	s_cbranch_execnz .LBB36_1062
.LBB36_14:
	s_or_b64 exec, exec, s[8:9]
	s_and_saveexec_b64 s[8:9], s[10:11]
.LBB36_15:
	v_add_u32_e32 v1, v2, v17
	v_lshl_add_u32 v15, v2, 6, v0
	v_cndmask_b32_e64 v1, v15, v1, s[2:3]
	v_lshlrev_b32_e32 v1, 3, v1
	ds_write_b64 v1, v[13:14]
.LBB36_16:
	s_or_b64 exec, exec, s[8:9]
	v_add_u32_e32 v1, 16, v2
	v_mad_u64_u32 v[15:16], s[2:3], s40, v1, v[11:12]
	v_cmp_le_u32_e32 vcc, v0, v1
	s_mov_b64 s[8:9], 0
	v_mov_b32_e32 v13, v16
	v_mad_u64_u32 v[13:14], s[2:3], s41, v1, v[13:14]
	v_mov_b32_e32 v16, v13
                                        ; implicit-def: $vgpr13_vgpr14
	s_and_saveexec_b64 s[2:3], vcc
	s_xor_b64 s[2:3], exec, s[2:3]
	s_cbranch_execnz .LBB36_1063
; %bb.17:
	s_andn2_saveexec_b64 s[2:3], s[2:3]
	s_cbranch_execnz .LBB36_1068
.LBB36_18:
	s_or_b64 exec, exec, s[2:3]
	s_and_saveexec_b64 s[2:3], s[8:9]
.LBB36_19:
	v_add_u32_e32 v15, v1, v17
	v_lshl_add_u32 v1, v1, 6, v0
	v_cndmask_b32_e64 v1, v1, v15, s[0:1]
	v_lshlrev_b32_e32 v1, 3, v1
	ds_write_b64 v1, v[13:14]
.LBB36_20:
	s_or_b64 exec, exec, s[2:3]
	v_add_u32_e32 v1, 32, v2
	v_mad_u64_u32 v[15:16], s[2:3], s40, v1, v[11:12]
	v_cmp_le_u32_e32 vcc, v0, v1
	s_mov_b64 s[8:9], 0
	v_mov_b32_e32 v13, v16
	v_mad_u64_u32 v[13:14], s[2:3], s41, v1, v[13:14]
	v_mov_b32_e32 v16, v13
                                        ; implicit-def: $vgpr13_vgpr14
	s_and_saveexec_b64 s[2:3], vcc
	s_xor_b64 s[2:3], exec, s[2:3]
	s_cbranch_execnz .LBB36_1069
; %bb.21:
	s_andn2_saveexec_b64 s[2:3], s[2:3]
	s_cbranch_execnz .LBB36_1074
.LBB36_22:
	s_or_b64 exec, exec, s[2:3]
	s_and_saveexec_b64 s[2:3], s[8:9]
.LBB36_23:
	v_add_u32_e32 v15, v1, v17
	v_lshl_add_u32 v1, v1, 6, v0
	v_cndmask_b32_e64 v1, v1, v15, s[0:1]
	v_lshlrev_b32_e32 v1, 3, v1
	ds_write_b64 v1, v[13:14]
.LBB36_24:
	s_or_b64 exec, exec, s[2:3]
	v_add_u32_e32 v1, 48, v2
	v_mad_u64_u32 v[15:16], s[2:3], s40, v1, v[11:12]
	v_cmp_le_u32_e32 vcc, v0, v1
	s_mov_b64 s[10:11], 0
	v_mov_b32_e32 v13, v16
	v_mad_u64_u32 v[13:14], s[2:3], s41, v1, v[13:14]
	v_mov_b32_e32 v16, v13
                                        ; implicit-def: $vgpr13_vgpr14
	s_and_saveexec_b64 s[2:3], vcc
	s_xor_b64 s[2:3], exec, s[2:3]
	s_cbranch_execz .LBB36_30
; %bb.25:
	v_cmp_ne_u32_e32 vcc, v0, v1
	s_mov_b64 s[8:9], 0
	s_and_saveexec_b64 s[10:11], vcc
	s_xor_b64 s[10:11], exec, s[10:11]
; %bb.26:
	v_or_b32_e32 v13, v1, v0
	v_cmp_gt_u32_e32 vcc, 64, v13
	s_and_b64 s[8:9], vcc, exec
                                        ; implicit-def: $vgpr15_vgpr16
; %bb.27:
	s_or_saveexec_b64 s[10:11], s[10:11]
	v_mov_b32_e32 v13, 0
	v_mov_b32_e32 v14, 0
	s_xor_b64 exec, exec, s[10:11]
	s_cbranch_execz .LBB36_29
; %bb.28:
	v_lshlrev_b64 v[13:14], 3, v[15:16]
	v_mov_b32_e32 v15, s94
	v_add_co_u32_e32 v13, vcc, s91, v13
	v_addc_co_u32_e32 v14, vcc, v15, v14, vcc
	global_load_dwordx2 v[13:14], v[13:14], off
	s_or_b64 s[8:9], s[8:9], exec
	s_waitcnt vmcnt(0)
	v_div_scale_f64 v[15:16], s[12:13], v[13:14], v[13:14], 1.0
	v_div_scale_f64 v[22:23], vcc, 1.0, v[13:14], 1.0
	v_rcp_f64_e32 v[18:19], v[15:16]
	v_fma_f64 v[20:21], -v[15:16], v[18:19], 1.0
	v_fma_f64 v[18:19], v[18:19], v[20:21], v[18:19]
	v_fma_f64 v[20:21], -v[15:16], v[18:19], 1.0
	v_fma_f64 v[18:19], v[18:19], v[20:21], v[18:19]
	v_mul_f64 v[20:21], v[22:23], v[18:19]
	v_fma_f64 v[15:16], -v[15:16], v[20:21], v[22:23]
	v_div_fmas_f64 v[15:16], v[15:16], v[18:19], v[20:21]
	v_div_fixup_f64 v[13:14], v[15:16], v[13:14], 1.0
.LBB36_29:
	s_or_b64 exec, exec, s[10:11]
	s_and_b64 s[10:11], s[8:9], exec
                                        ; implicit-def: $vgpr15_vgpr16
.LBB36_30:
	s_or_saveexec_b64 s[2:3], s[2:3]
	v_add_u32_e32 v18, v1, v17
	v_lshl_add_u32 v1, v1, 6, v0
	s_xor_b64 exec, exec, s[2:3]
	s_cbranch_execz .LBB36_32
; %bb.31:
	v_lshlrev_b64 v[13:14], 3, v[15:16]
	v_mov_b32_e32 v15, s94
	v_add_co_u32_e32 v13, vcc, s91, v13
	v_addc_co_u32_e32 v14, vcc, v15, v14, vcc
	global_load_dwordx2 v[13:14], v[13:14], off
	s_or_b64 s[10:11], s[10:11], exec
	s_waitcnt vmcnt(0)
	v_xor_b32_e32 v14, 0x80000000, v14
.LBB36_32:
	s_or_b64 exec, exec, s[2:3]
	v_cndmask_b32_e64 v1, v1, v18, s[0:1]
	s_branch .LBB36_55
.LBB36_33:
	s_mov_b64 s[10:11], 0
                                        ; implicit-def: $vgpr13_vgpr14
                                        ; implicit-def: $vgpr1
	s_and_b64 vcc, exec, s[12:13]
	s_cbranch_vccz .LBB36_55
; %bb.34:
	v_mad_u64_u32 v[13:14], s[2:3], s40, v2, v[11:12]
	v_cmp_le_u32_e32 vcc, v0, v2
	v_cmp_gt_i32_e64 s[2:3], s90, v0
	v_mov_b32_e32 v1, v14
	v_mad_u64_u32 v[14:15], s[8:9], s41, v2, v[1:2]
	v_max_i32_e32 v1, v2, v0
	v_cmp_le_i32_e64 s[8:9], s90, v1
	s_or_b64 s[8:9], s[8:9], vcc
	s_mov_b64 s[12:13], 0
                                        ; implicit-def: $vgpr15_vgpr16
	s_and_saveexec_b64 s[14:15], s[8:9]
	s_xor_b64 s[8:9], exec, s[14:15]
	s_cbranch_execnz .LBB36_1075
; %bb.35:
	s_andn2_saveexec_b64 s[8:9], s[8:9]
	s_cbranch_execnz .LBB36_1080
.LBB36_36:
	s_or_b64 exec, exec, s[8:9]
	s_and_saveexec_b64 s[8:9], s[12:13]
.LBB36_37:
	v_lshlrev_b32_e32 v1, 3, v17
	v_lshl_add_u32 v1, v2, 3, v1
	ds_write_b64 v1, v[15:16]
.LBB36_38:
	s_or_b64 exec, exec, s[8:9]
	v_add_u32_e32 v1, 16, v2
	v_mad_u64_u32 v[13:14], s[8:9], s40, v1, v[11:12]
	v_cmp_gt_u32_e32 vcc, v0, v1
	s_mov_b64 s[12:13], 0
	v_mad_u64_u32 v[14:15], s[8:9], s41, v1, v[14:15]
	v_cmp_gt_i32_e64 s[8:9], s90, v1
	s_and_b64 s[8:9], vcc, s[8:9]
	s_and_b64 s[8:9], s[2:3], s[8:9]
	s_xor_b64 s[8:9], s[8:9], -1
                                        ; implicit-def: $vgpr15_vgpr16
	s_and_saveexec_b64 s[14:15], s[8:9]
	s_xor_b64 s[8:9], exec, s[14:15]
	s_cbranch_execnz .LBB36_1081
; %bb.39:
	s_andn2_saveexec_b64 s[8:9], s[8:9]
	s_cbranch_execnz .LBB36_1086
.LBB36_40:
	s_or_b64 exec, exec, s[8:9]
	s_and_saveexec_b64 s[8:9], s[12:13]
.LBB36_41:
	v_add_u32_e32 v13, v1, v17
	v_lshl_add_u32 v1, v1, 6, v0
	v_cndmask_b32_e64 v1, v1, v13, s[0:1]
	v_lshlrev_b32_e32 v1, 3, v1
	ds_write_b64 v1, v[15:16]
.LBB36_42:
	s_or_b64 exec, exec, s[8:9]
	v_add_u32_e32 v1, 32, v2
	v_mad_u64_u32 v[13:14], s[8:9], s40, v1, v[11:12]
	v_cmp_gt_u32_e32 vcc, v0, v1
	s_mov_b64 s[12:13], 0
	v_mad_u64_u32 v[14:15], s[8:9], s41, v1, v[14:15]
	v_cmp_gt_i32_e64 s[8:9], s90, v1
	s_and_b64 s[8:9], vcc, s[8:9]
	s_and_b64 s[8:9], s[2:3], s[8:9]
	s_xor_b64 s[8:9], s[8:9], -1
                                        ; implicit-def: $vgpr15_vgpr16
	s_and_saveexec_b64 s[14:15], s[8:9]
	s_xor_b64 s[8:9], exec, s[14:15]
	s_cbranch_execnz .LBB36_1087
; %bb.43:
	s_andn2_saveexec_b64 s[8:9], s[8:9]
	s_cbranch_execnz .LBB36_1092
.LBB36_44:
	s_or_b64 exec, exec, s[8:9]
	s_and_saveexec_b64 s[8:9], s[12:13]
.LBB36_45:
	v_add_u32_e32 v13, v1, v17
	v_lshl_add_u32 v1, v1, 6, v0
	v_cndmask_b32_e64 v1, v1, v13, s[0:1]
	v_lshlrev_b32_e32 v1, 3, v1
	ds_write_b64 v1, v[15:16]
.LBB36_46:
	s_or_b64 exec, exec, s[8:9]
	v_add_u32_e32 v1, 48, v2
	v_mad_u64_u32 v[11:12], s[8:9], s40, v1, v[11:12]
	v_cmp_gt_u32_e32 vcc, v0, v1
	v_mad_u64_u32 v[12:13], s[8:9], s41, v1, v[12:13]
	v_cmp_gt_i32_e64 s[8:9], s90, v1
	s_and_b64 s[8:9], vcc, s[8:9]
	s_and_b64 s[8:9], s[2:3], s[8:9]
	s_xor_b64 s[8:9], s[8:9], -1
                                        ; implicit-def: $vgpr13_vgpr14
	s_and_saveexec_b64 s[12:13], s[8:9]
	s_xor_b64 s[8:9], exec, s[12:13]
	s_cbranch_execz .LBB36_52
; %bb.47:
	v_cmp_ne_u32_e32 vcc, v0, v1
	s_xor_b64 s[2:3], s[2:3], -1
	s_or_b64 s[12:13], s[2:3], vcc
	s_mov_b64 s[2:3], s[10:11]
	s_and_saveexec_b64 s[14:15], s[12:13]
	s_xor_b64 s[12:13], exec, s[14:15]
; %bb.48:
	v_or_b32_e32 v11, v1, v0
	v_cmp_gt_u32_e32 vcc, 64, v11
	s_andn2_b64 s[2:3], s[10:11], exec
	s_and_b64 s[14:15], vcc, exec
	s_or_b64 s[2:3], s[2:3], s[14:15]
                                        ; implicit-def: $vgpr11_vgpr12
; %bb.49:
	s_or_saveexec_b64 s[12:13], s[12:13]
	v_mov_b32_e32 v13, 0
	v_mov_b32_e32 v14, 0
	s_xor_b64 exec, exec, s[12:13]
	s_cbranch_execz .LBB36_51
; %bb.50:
	v_lshlrev_b64 v[11:12], 3, v[11:12]
	v_mov_b32_e32 v13, s94
	v_add_co_u32_e32 v11, vcc, s91, v11
	v_addc_co_u32_e32 v12, vcc, v13, v12, vcc
	global_load_dwordx2 v[11:12], v[11:12], off
	s_or_b64 s[2:3], s[2:3], exec
	s_waitcnt vmcnt(0)
	v_div_scale_f64 v[13:14], s[14:15], v[11:12], v[11:12], 1.0
	v_div_scale_f64 v[20:21], vcc, 1.0, v[11:12], 1.0
	v_rcp_f64_e32 v[15:16], v[13:14]
	v_fma_f64 v[18:19], -v[13:14], v[15:16], 1.0
	v_fma_f64 v[15:16], v[15:16], v[18:19], v[15:16]
	v_fma_f64 v[18:19], -v[13:14], v[15:16], 1.0
	v_fma_f64 v[15:16], v[15:16], v[18:19], v[15:16]
	v_mul_f64 v[18:19], v[20:21], v[15:16]
	v_fma_f64 v[13:14], -v[13:14], v[18:19], v[20:21]
	v_div_fmas_f64 v[13:14], v[13:14], v[15:16], v[18:19]
	v_div_fixup_f64 v[13:14], v[13:14], v[11:12], 1.0
.LBB36_51:
	s_or_b64 exec, exec, s[12:13]
	s_andn2_b64 s[10:11], s[10:11], exec
	s_and_b64 s[2:3], s[2:3], exec
	s_or_b64 s[10:11], s[10:11], s[2:3]
                                        ; implicit-def: $vgpr11_vgpr12
.LBB36_52:
	s_or_saveexec_b64 s[2:3], s[8:9]
	v_add_u32_e32 v15, v1, v17
	v_lshl_add_u32 v1, v1, 6, v0
	s_xor_b64 exec, exec, s[2:3]
	s_cbranch_execz .LBB36_54
; %bb.53:
	v_lshlrev_b64 v[11:12], 3, v[11:12]
	v_mov_b32_e32 v13, s94
	v_add_co_u32_e32 v11, vcc, s91, v11
	v_addc_co_u32_e32 v12, vcc, v13, v12, vcc
	global_load_dwordx2 v[13:14], v[11:12], off
	s_or_b64 s[10:11], s[10:11], exec
	s_waitcnt vmcnt(0)
	v_xor_b32_e32 v14, 0x80000000, v14
.LBB36_54:
	s_or_b64 exec, exec, s[2:3]
	v_cndmask_b32_e64 v1, v1, v15, s[0:1]
.LBB36_55:
	s_xor_b64 s[0:1], s[0:1], -1
	s_and_saveexec_b64 s[2:3], s[10:11]
; %bb.56:
	v_lshlrev_b32_e32 v1, 3, v1
	ds_write_b64 v1, v[13:14]
; %bb.57:
	s_or_b64 exec, exec, s[2:3]
	v_cndmask_b32_e64 v1, 0, 1, s[0:1]
	v_cmp_ne_u32_e64 s[60:61], 1, v1
	s_andn2_b64 vcc, exec, s[0:1]
	s_waitcnt vmcnt(0) lgkmcnt(0)
	s_barrier
	s_cbranch_vccnz .LBB36_987
; %bb.58:
	v_or_b32_e32 v1, v0, v2
	v_cmp_eq_u32_e32 vcc, 0, v1
	s_and_saveexec_b64 s[0:1], vcc
	s_cbranch_execz .LBB36_60
; %bb.59:
	v_mov_b32_e32 v1, 0
	ds_read_b128 v[11:14], v1
	ds_read_b64 v[15:16], v1 offset:520
	s_waitcnt lgkmcnt(0)
	v_mul_f64 v[11:12], v[11:12], v[15:16]
	v_mul_f64 v[11:12], v[13:14], v[11:12]
	ds_write2_b64 v1, v[11:12], v[11:12] offset0:1 offset1:64
.LBB36_60:
	s_or_b64 exec, exec, s[0:1]
	v_lshl_add_u32 v14, v2, 6, v0
	v_and_b32_e32 v16, 1, v0
	v_lshrrev_b32_e32 v15, 1, v14
	v_lshlrev_b32_e32 v1, 3, v16
	v_mov_b32_e32 v11, 0
	v_cmp_lt_u32_e64 s[8:9], 3, v14
	v_cmp_gt_u32_e64 s[2:3], 4, v14
	v_mov_b32_e32 v12, 0
	v_lshl_or_b32 v1, v15, 9, v1
	s_waitcnt lgkmcnt(0)
	s_barrier
	s_and_saveexec_b64 s[0:1], s[2:3]
	s_cbranch_execz .LBB36_64
; %bb.61:
	v_mul_u32_u24_e32 v13, 0x208, v15
	ds_read_b64 v[11:12], v1 offset:16
	ds_read_b64 v[17:18], v13
	v_cmp_gt_u32_e64 s[10:11], 2, v14
	s_waitcnt lgkmcnt(0)
	v_fma_f64 v[11:12], v[11:12], v[17:18], 0
	s_and_saveexec_b64 s[12:13], s[10:11]
	s_cbranch_execz .LBB36_63
; %bb.62:
	v_lshlrev_b32_e32 v13, 3, v0
	v_mov_b32_e32 v19, 0
	ds_read_b64 v[17:18], v13 offset:528
	ds_read_b64 v[19:20], v19 offset:8
	s_waitcnt lgkmcnt(0)
	v_fma_f64 v[11:12], v[17:18], v[19:20], v[11:12]
.LBB36_63:
	s_or_b64 exec, exec, s[12:13]
	v_xor_b32_e32 v12, 0x80000000, v12
.LBB36_64:
                                        ; implicit-def: $vgpr42 : SGPR spill to VGPR lane
	v_writelane_b32 v42, s34, 0
	v_writelane_b32 v42, s35, 1
	s_or_b64 exec, exec, s[0:1]
	v_mov_b32_e32 v13, 0x8000
	v_cmp_eq_u32_e64 s[10:11], 0, v16
	s_xor_b64 s[0:1], s[8:9], -1
	v_lshl_add_u32 v13, v15, 3, v13
	s_and_b64 s[34:35], s[10:11], s[0:1]
	s_and_saveexec_b64 s[8:9], s[34:35]
	s_cbranch_execz .LBB36_66
; %bb.65:
	v_mov_b32_e32 v17, 0
	ds_read_b64 v[17:18], v17 offset:1040
	s_waitcnt lgkmcnt(0)
	v_mul_f64 v[11:12], v[11:12], v[17:18]
	ds_write_b64 v13, v[11:12]
.LBB36_66:
	s_or_b64 exec, exec, s[8:9]
	v_cmp_ne_u32_e64 s[8:9], 0, v16
	s_and_b64 s[30:31], s[8:9], s[0:1]
	s_waitcnt lgkmcnt(0)
	s_barrier
	s_and_saveexec_b64 s[0:1], s[30:31]
	s_cbranch_execz .LBB36_68
; %bb.67:
	v_mov_b32_e32 v16, 0
	ds_read_b64 v[16:17], v16 offset:1048
	ds_read_b64 v[18:19], v13
	s_waitcnt lgkmcnt(0)
	v_fma_f64 v[11:12], v[16:17], v[18:19], v[11:12]
.LBB36_68:
	s_or_b64 exec, exec, s[0:1]
	s_barrier
	s_and_saveexec_b64 s[0:1], s[30:31]
	s_cbranch_execz .LBB36_70
; %bb.69:
	v_mov_b32_e32 v16, 0
	ds_read_b64 v[16:17], v16 offset:1560
	s_waitcnt lgkmcnt(0)
	v_mul_f64 v[11:12], v[11:12], v[16:17]
	ds_write_b64 v13, v[11:12]
.LBB36_70:
	s_or_b64 exec, exec, s[0:1]
	s_waitcnt lgkmcnt(0)
	s_barrier
	s_barrier
	s_and_saveexec_b64 s[0:1], s[2:3]
; %bb.71:
	v_xor_b32_e32 v12, 0x80000000, v12
	ds_write_b64 v1, v[11:12] offset:16
; %bb.72:
	s_or_b64 exec, exec, s[0:1]
	v_cmp_eq_u32_e64 s[12:13], 0, v2
	v_cmp_gt_u32_e64 s[8:9], 2, v0
	s_and_b64 s[36:37], s[12:13], s[8:9]
	s_waitcnt lgkmcnt(0)
	s_barrier
	s_barrier
	s_and_saveexec_b64 s[0:1], s[36:37]
	s_cbranch_execz .LBB36_74
; %bb.73:
	v_lshlrev_b32_e32 v16, 3, v0
	s_movk_i32 s8, 0x1f8
	v_mad_u32_u24 v17, v0, s8, v16
	ds_read_b64 v[11:12], v17 offset:16
	s_waitcnt lgkmcnt(0)
	ds_write_b64 v16, v[11:12] offset:1024
	ds_read_b64 v[11:12], v17 offset:24
	s_waitcnt lgkmcnt(0)
	ds_write_b64 v16, v[11:12] offset:1536
.LBB36_74:
	s_or_b64 exec, exec, s[0:1]
	s_waitcnt lgkmcnt(0)
	s_barrier
	s_and_saveexec_b64 s[0:1], vcc
	s_cbranch_execz .LBB36_76
; %bb.75:
	v_mov_b32_e32 v20, 0
	ds_read_b128 v[16:19], v20 offset:1040
	ds_read_b64 v[11:12], v20 offset:1560
	s_waitcnt lgkmcnt(0)
	v_mul_f64 v[11:12], v[16:17], v[11:12]
	v_mul_f64 v[11:12], v[18:19], v[11:12]
	ds_write2_b64 v20, v[11:12], v[11:12] offset0:131 offset1:194
.LBB36_76:
	s_or_b64 exec, exec, s[0:1]
	v_and_b32_e32 v19, 3, v0
	v_lshrrev_b32_e32 v20, 2, v14
	v_lshlrev_b32_e32 v17, 3, v19
	v_mov_b32_e32 v11, 0
	v_cmp_lt_u32_e64 s[8:9], 15, v14
	v_cmp_gt_u32_e64 s[18:19], 16, v14
	v_mov_b32_e32 v12, 0
	v_lshl_or_b32 v16, v20, 9, v17
	s_waitcnt lgkmcnt(0)
	s_barrier
	s_and_saveexec_b64 s[0:1], s[18:19]
	s_cbranch_execz .LBB36_82
; %bb.77:
	v_mul_u32_u24_e32 v18, 0x208, v20
	ds_read_b64 v[11:12], v16 offset:32
	ds_read_b64 v[21:22], v18
	v_cmp_gt_u32_e64 s[10:11], 12, v14
	s_waitcnt lgkmcnt(0)
	v_fma_f64 v[11:12], v[11:12], v[21:22], 0
	s_and_saveexec_b64 s[14:15], s[10:11]
	s_cbranch_execnz .LBB36_1097
; %bb.78:
	s_or_b64 exec, exec, s[14:15]
	v_cmp_gt_u32_e64 s[10:11], 8, v14
	s_and_saveexec_b64 s[14:15], s[10:11]
	s_cbranch_execnz .LBB36_1098
.LBB36_79:
	s_or_b64 exec, exec, s[14:15]
	v_cmp_gt_u32_e64 s[10:11], 4, v14
	s_and_saveexec_b64 s[14:15], s[10:11]
	s_cbranch_execz .LBB36_81
.LBB36_80:
	v_lshlrev_b32_e32 v18, 3, v0
	v_mov_b32_e32 v23, 0
	ds_read_b64 v[21:22], v18 offset:1568
	ds_read_b64 v[23:24], v23 offset:24
	s_waitcnt lgkmcnt(0)
	v_fma_f64 v[11:12], v[21:22], v[23:24], v[11:12]
.LBB36_81:
	s_or_b64 exec, exec, s[14:15]
	v_xor_b32_e32 v12, 0x80000000, v12
.LBB36_82:
	v_writelane_b32 v42, s42, 2
	s_or_b64 exec, exec, s[0:1]
	v_mov_b32_e32 v18, 0x8000
	v_cmp_eq_u32_e64 s[10:11], 0, v19
	s_xor_b64 s[0:1], s[8:9], -1
	v_lshl_add_u32 v18, v20, 3, v18
	s_and_b64 s[42:43], s[10:11], s[0:1]
	s_and_saveexec_b64 s[8:9], s[42:43]
	s_cbranch_execz .LBB36_84
; %bb.83:
	v_mov_b32_e32 v21, 0
	ds_read_b64 v[21:22], v21 offset:2080
	s_waitcnt lgkmcnt(0)
	v_mul_f64 v[11:12], v[11:12], v[21:22]
	ds_write_b64 v18, v[11:12]
.LBB36_84:
	s_or_b64 exec, exec, s[8:9]
	v_cmp_ne_u32_e64 s[8:9], 0, v19
	s_and_b64 s[44:45], s[8:9], s[0:1]
	s_waitcnt lgkmcnt(0)
	s_barrier
	s_and_saveexec_b64 s[8:9], s[44:45]
	s_cbranch_execz .LBB36_86
; %bb.85:
	ds_read_b64 v[21:22], v17 offset:2080
	ds_read_b64 v[23:24], v18
	s_waitcnt lgkmcnt(0)
	v_fma_f64 v[11:12], v[21:22], v[23:24], v[11:12]
.LBB36_86:
	s_or_b64 exec, exec, s[8:9]
	v_cmp_eq_u32_e64 s[8:9], 1, v19
	s_and_b64 s[52:53], s[8:9], s[0:1]
	s_barrier
	s_and_saveexec_b64 s[8:9], s[52:53]
	s_cbranch_execz .LBB36_88
; %bb.87:
	v_mov_b32_e32 v21, 0
	ds_read_b64 v[21:22], v21 offset:2600
	s_waitcnt lgkmcnt(0)
	v_mul_f64 v[11:12], v[11:12], v[21:22]
	ds_write_b64 v18, v[11:12]
.LBB36_88:
	s_or_b64 exec, exec, s[8:9]
	v_cmp_lt_u32_e64 s[8:9], 1, v19
	s_and_b64 s[54:55], s[8:9], s[0:1]
	s_waitcnt lgkmcnt(0)
	s_barrier
	s_and_saveexec_b64 s[8:9], s[54:55]
	s_cbranch_execz .LBB36_90
; %bb.89:
	ds_read_b64 v[21:22], v17 offset:2592
	ds_read_b64 v[23:24], v18
	s_waitcnt lgkmcnt(0)
	v_fma_f64 v[11:12], v[21:22], v[23:24], v[11:12]
.LBB36_90:
	s_or_b64 exec, exec, s[8:9]
	v_cmp_eq_u32_e64 s[8:9], 2, v19
	s_and_b64 s[56:57], s[8:9], s[0:1]
	s_barrier
	s_and_saveexec_b64 s[8:9], s[56:57]
	s_cbranch_execz .LBB36_92
; %bb.91:
	v_mov_b32_e32 v21, 0
	ds_read_b64 v[21:22], v21 offset:3120
	s_waitcnt lgkmcnt(0)
	v_mul_f64 v[11:12], v[11:12], v[21:22]
	ds_write_b64 v18, v[11:12]
.LBB36_92:
	s_or_b64 exec, exec, s[8:9]
	v_cmp_eq_u32_e64 s[8:9], 3, v19
	s_and_b64 s[38:39], s[8:9], s[0:1]
	s_waitcnt lgkmcnt(0)
	s_barrier
	s_and_saveexec_b64 s[0:1], s[38:39]
	s_cbranch_execz .LBB36_94
; %bb.93:
	v_mov_b32_e32 v21, 0
	ds_read_b64 v[21:22], v21 offset:3128
	ds_read_b64 v[23:24], v18
	s_waitcnt lgkmcnt(0)
	v_fma_f64 v[11:12], v[21:22], v[23:24], v[11:12]
.LBB36_94:
	s_or_b64 exec, exec, s[0:1]
	s_barrier
	s_and_saveexec_b64 s[0:1], s[38:39]
	s_cbranch_execz .LBB36_96
; %bb.95:
	v_mov_b32_e32 v21, 0
	ds_read_b64 v[21:22], v21 offset:3640
	s_waitcnt lgkmcnt(0)
	v_mul_f64 v[11:12], v[11:12], v[21:22]
	ds_write_b64 v18, v[11:12]
.LBB36_96:
	s_or_b64 exec, exec, s[0:1]
	s_waitcnt lgkmcnt(0)
	s_barrier
	s_barrier
	s_and_saveexec_b64 s[0:1], s[18:19]
; %bb.97:
	v_xor_b32_e32 v12, 0x80000000, v12
	ds_write_b64 v16, v[11:12] offset:32
; %bb.98:
	s_or_b64 exec, exec, s[0:1]
	v_cmp_gt_u32_e64 s[8:9], 4, v0
	s_and_b64 s[58:59], s[12:13], s[8:9]
	s_waitcnt lgkmcnt(0)
	s_barrier
	s_barrier
	s_and_saveexec_b64 s[0:1], s[58:59]
	s_cbranch_execz .LBB36_100
; %bb.99:
	v_lshlrev_b32_e32 v21, 9, v0
	ds_read_b64 v[11:12], v21 offset:32
	s_movk_i32 s8, 0xfe08
	v_mad_i32_i24 v22, v0, s8, v21
	s_waitcnt lgkmcnt(0)
	ds_write_b64 v22, v[11:12] offset:2048
	ds_read_b64 v[11:12], v21 offset:40
	s_waitcnt lgkmcnt(0)
	ds_write_b64 v22, v[11:12] offset:2560
	ds_read_b64 v[11:12], v21 offset:48
	s_waitcnt lgkmcnt(0)
	ds_write_b64 v22, v[11:12] offset:3072
	ds_read_b64 v[11:12], v21 offset:56
	s_waitcnt lgkmcnt(0)
	ds_write_b64 v22, v[11:12] offset:3584
.LBB36_100:
	s_or_b64 exec, exec, s[0:1]
	s_waitcnt lgkmcnt(0)
	s_barrier
	s_and_saveexec_b64 s[0:1], vcc
	s_cbranch_execz .LBB36_102
; %bb.101:
	v_mov_b32_e32 v11, 0
	ds_read_b128 v[21:24], v11 offset:2080
	ds_read_b64 v[11:12], v11 offset:2600
	s_movk_i32 s8, 0x800
	s_waitcnt lgkmcnt(0)
	v_mul_f64 v[11:12], v[21:22], v[11:12]
	v_add_u32_e64 v21, s8, 0
	v_mul_f64 v[11:12], v[23:24], v[11:12]
	ds_write2_b64 v21, v[11:12], v[11:12] offset0:5 offset1:68
.LBB36_102:
	s_or_b64 exec, exec, s[0:1]
	v_mov_b32_e32 v11, 0
	v_mov_b32_e32 v12, 0
	s_waitcnt lgkmcnt(0)
	s_barrier
	s_and_saveexec_b64 s[0:1], s[2:3]
	s_cbranch_execz .LBB36_106
; %bb.103:
	v_mul_u32_u24_e32 v21, 0x208, v15
	ds_read_b64 v[11:12], v1 offset:2096
	ds_read_b64 v[21:22], v21 offset:2080
	v_cmp_gt_u32_e64 s[8:9], 2, v14
	s_waitcnt lgkmcnt(0)
	v_fma_f64 v[11:12], v[11:12], v[21:22], 0
	s_and_saveexec_b64 s[10:11], s[8:9]
	s_cbranch_execz .LBB36_105
; %bb.104:
	v_lshlrev_b32_e32 v21, 3, v0
	v_mov_b32_e32 v23, 0
	ds_read_b64 v[21:22], v21 offset:2608
	ds_read_b64 v[23:24], v23 offset:2088
	s_waitcnt lgkmcnt(0)
	v_fma_f64 v[11:12], v[21:22], v[23:24], v[11:12]
.LBB36_105:
	s_or_b64 exec, exec, s[10:11]
	v_xor_b32_e32 v12, 0x80000000, v12
.LBB36_106:
	s_or_b64 exec, exec, s[0:1]
	s_and_saveexec_b64 s[0:1], s[34:35]
	s_cbranch_execz .LBB36_108
; %bb.107:
	v_mov_b32_e32 v21, 0
	ds_read_b64 v[21:22], v21 offset:3120
	s_waitcnt lgkmcnt(0)
	v_mul_f64 v[11:12], v[11:12], v[21:22]
	ds_write_b64 v13, v[11:12]
.LBB36_108:
	s_or_b64 exec, exec, s[0:1]
	s_waitcnt lgkmcnt(0)
	s_barrier
	s_and_saveexec_b64 s[0:1], s[30:31]
	s_cbranch_execz .LBB36_110
; %bb.109:
	v_mov_b32_e32 v21, 0
	ds_read_b64 v[21:22], v21 offset:3128
	ds_read_b64 v[23:24], v13
	s_waitcnt lgkmcnt(0)
	v_fma_f64 v[11:12], v[21:22], v[23:24], v[11:12]
.LBB36_110:
	s_or_b64 exec, exec, s[0:1]
	s_barrier
	s_and_saveexec_b64 s[0:1], s[30:31]
	s_cbranch_execz .LBB36_112
; %bb.111:
	v_mov_b32_e32 v21, 0
	ds_read_b64 v[21:22], v21 offset:3640
	s_waitcnt lgkmcnt(0)
	v_mul_f64 v[11:12], v[11:12], v[21:22]
	ds_write_b64 v13, v[11:12]
.LBB36_112:
	s_or_b64 exec, exec, s[0:1]
	s_waitcnt lgkmcnt(0)
	s_barrier
	s_barrier
	s_and_saveexec_b64 s[0:1], s[2:3]
; %bb.113:
	v_xor_b32_e32 v12, 0x80000000, v12
	ds_write_b64 v1, v[11:12] offset:2096
; %bb.114:
	s_or_b64 exec, exec, s[0:1]
	s_waitcnt lgkmcnt(0)
	s_barrier
	s_barrier
	s_and_saveexec_b64 s[0:1], s[36:37]
	s_cbranch_execz .LBB36_116
; %bb.115:
	v_lshlrev_b32_e32 v21, 3, v0
	s_movk_i32 s8, 0x1f8
	v_mad_u32_u24 v22, v0, s8, v21
	ds_read_b64 v[11:12], v22 offset:2096
	s_waitcnt lgkmcnt(0)
	ds_write_b64 v21, v[11:12] offset:3104
	ds_read_b64 v[11:12], v22 offset:2104
	s_waitcnt lgkmcnt(0)
	ds_write_b64 v21, v[11:12] offset:3616
.LBB36_116:
	s_or_b64 exec, exec, s[0:1]
	s_waitcnt lgkmcnt(0)
	s_barrier
	s_and_saveexec_b64 s[0:1], vcc
	s_cbranch_execz .LBB36_118
; %bb.117:
	v_mov_b32_e32 v11, 0
	ds_read_b128 v[21:24], v11 offset:3120
	ds_read_b64 v[11:12], v11 offset:3640
	s_movk_i32 s8, 0x800
	s_waitcnt lgkmcnt(0)
	v_mul_f64 v[11:12], v[21:22], v[11:12]
	v_add_u32_e64 v21, s8, 0
	v_mul_f64 v[11:12], v[23:24], v[11:12]
	ds_write2_b64 v21, v[11:12], v[11:12] offset0:135 offset1:198
.LBB36_118:
	s_or_b64 exec, exec, s[0:1]
	v_and_b32_e32 v24, 7, v0
	v_lshrrev_b32_e32 v25, 3, v14
	v_lshlrev_b32_e32 v22, 3, v24
	v_mov_b32_e32 v11, 0
	v_cmp_lt_u32_e64 s[10:11], 63, v14
	v_cmp_gt_u32_e64 s[8:9], 64, v14
	v_mov_b32_e32 v12, 0
	v_lshl_or_b32 v21, v25, 9, v22
	s_waitcnt lgkmcnt(0)
	s_barrier
	s_and_saveexec_b64 s[0:1], s[8:9]
	s_cbranch_execz .LBB36_128
; %bb.119:
	v_mul_u32_u24_e32 v23, 0x208, v25
	ds_read_b64 v[11:12], v21 offset:64
	ds_read_b64 v[26:27], v23
	v_cmp_gt_u32_e64 s[14:15], 56, v14
	s_waitcnt lgkmcnt(0)
	v_fma_f64 v[11:12], v[11:12], v[26:27], 0
	s_and_saveexec_b64 s[16:17], s[14:15]
	s_cbranch_execnz .LBB36_1099
; %bb.120:
	s_or_b64 exec, exec, s[16:17]
	v_cmp_gt_u32_e64 s[14:15], 48, v14
	s_and_saveexec_b64 s[16:17], s[14:15]
	s_cbranch_execnz .LBB36_1100
.LBB36_121:
	s_or_b64 exec, exec, s[16:17]
	v_cmp_gt_u32_e64 s[14:15], 40, v14
	s_and_saveexec_b64 s[16:17], s[14:15]
	s_cbranch_execnz .LBB36_1101
.LBB36_122:
	s_or_b64 exec, exec, s[16:17]
	v_cmp_gt_u32_e64 s[14:15], 32, v14
	s_and_saveexec_b64 s[16:17], s[14:15]
	s_cbranch_execnz .LBB36_1102
.LBB36_123:
	s_or_b64 exec, exec, s[16:17]
	v_cmp_gt_u32_e64 s[14:15], 24, v14
	s_and_saveexec_b64 s[16:17], s[14:15]
	s_cbranch_execnz .LBB36_1103
.LBB36_124:
	s_or_b64 exec, exec, s[16:17]
	v_cmp_gt_u32_e64 s[14:15], 16, v14
	s_and_saveexec_b64 s[16:17], s[14:15]
	s_cbranch_execnz .LBB36_1104
.LBB36_125:
	s_or_b64 exec, exec, s[16:17]
	v_cmp_gt_u32_e64 s[14:15], 8, v14
	s_and_saveexec_b64 s[16:17], s[14:15]
	s_cbranch_execz .LBB36_127
.LBB36_126:
	v_lshlrev_b32_e32 v23, 3, v0
	v_mov_b32_e32 v28, 0
	ds_read_b64 v[26:27], v23 offset:3648
	ds_read_b64 v[28:29], v28 offset:56
	s_waitcnt lgkmcnt(0)
	v_fma_f64 v[11:12], v[26:27], v[28:29], v[11:12]
.LBB36_127:
	s_or_b64 exec, exec, s[16:17]
	v_xor_b32_e32 v12, 0x80000000, v12
.LBB36_128:
	v_writelane_b32 v42, s60, 3
	v_writelane_b32 v42, s61, 4
	s_or_b64 exec, exec, s[0:1]
	v_mov_b32_e32 v23, 0x8000
	v_cmp_eq_u32_e64 s[14:15], 0, v24
	s_xor_b64 s[0:1], s[10:11], -1
	v_lshl_add_u32 v23, v25, 3, v23
	s_and_b64 s[60:61], s[14:15], s[0:1]
	s_and_saveexec_b64 s[10:11], s[60:61]
	s_cbranch_execz .LBB36_130
; %bb.129:
	v_mov_b32_e32 v26, 0
	ds_read_b64 v[26:27], v26 offset:4160
	s_waitcnt lgkmcnt(0)
	v_mul_f64 v[11:12], v[11:12], v[26:27]
	ds_write_b64 v23, v[11:12]
.LBB36_130:
	s_or_b64 exec, exec, s[10:11]
	v_cmp_ne_u32_e64 s[10:11], 0, v24
	s_and_b64 s[62:63], s[10:11], s[0:1]
	s_waitcnt lgkmcnt(0)
	s_barrier
	s_and_saveexec_b64 s[10:11], s[62:63]
	s_cbranch_execz .LBB36_132
; %bb.131:
	ds_read_b64 v[26:27], v22 offset:4160
	ds_read_b64 v[28:29], v23
	s_waitcnt lgkmcnt(0)
	v_fma_f64 v[11:12], v[26:27], v[28:29], v[11:12]
.LBB36_132:
	s_or_b64 exec, exec, s[10:11]
	v_cmp_eq_u32_e64 s[10:11], 1, v24
	s_and_b64 s[64:65], s[10:11], s[0:1]
	s_barrier
	s_and_saveexec_b64 s[10:11], s[64:65]
	s_cbranch_execz .LBB36_134
; %bb.133:
	v_mov_b32_e32 v26, 0
	ds_read_b64 v[26:27], v26 offset:4680
	s_waitcnt lgkmcnt(0)
	v_mul_f64 v[11:12], v[11:12], v[26:27]
	ds_write_b64 v23, v[11:12]
.LBB36_134:
	s_or_b64 exec, exec, s[10:11]
	v_cmp_lt_u32_e64 s[10:11], 1, v24
	s_and_b64 s[66:67], s[10:11], s[0:1]
	s_waitcnt lgkmcnt(0)
	s_barrier
	s_and_saveexec_b64 s[10:11], s[66:67]
	s_cbranch_execz .LBB36_136
; %bb.135:
	ds_read_b64 v[26:27], v22 offset:4672
	ds_read_b64 v[28:29], v23
	s_waitcnt lgkmcnt(0)
	v_fma_f64 v[11:12], v[26:27], v[28:29], v[11:12]
.LBB36_136:
	s_or_b64 exec, exec, s[10:11]
	v_cmp_eq_u32_e64 s[10:11], 2, v24
	s_and_b64 s[68:69], s[10:11], s[0:1]
	s_barrier
	s_and_saveexec_b64 s[10:11], s[68:69]
	s_cbranch_execz .LBB36_138
; %bb.137:
	v_mov_b32_e32 v26, 0
	ds_read_b64 v[26:27], v26 offset:5200
	s_waitcnt lgkmcnt(0)
	v_mul_f64 v[11:12], v[11:12], v[26:27]
	ds_write_b64 v23, v[11:12]
.LBB36_138:
	s_or_b64 exec, exec, s[10:11]
	v_cmp_lt_u32_e64 s[10:11], 2, v24
	;; [unrolled: 26-line block ×5, first 2 shown]
	s_and_b64 s[84:85], s[10:11], s[0:1]
	s_waitcnt lgkmcnt(0)
	s_barrier
	s_and_saveexec_b64 s[10:11], s[84:85]
	s_cbranch_execz .LBB36_152
; %bb.151:
	ds_read_b64 v[26:27], v22 offset:6720
	ds_read_b64 v[28:29], v23
	s_waitcnt lgkmcnt(0)
	v_fma_f64 v[11:12], v[26:27], v[28:29], v[11:12]
.LBB36_152:
	s_or_b64 exec, exec, s[10:11]
	v_cmp_eq_u32_e64 s[10:11], 6, v24
	s_and_b64 s[86:87], s[10:11], s[0:1]
	s_barrier
	s_and_saveexec_b64 s[10:11], s[86:87]
	s_cbranch_execz .LBB36_154
; %bb.153:
	v_mov_b32_e32 v26, 0
	ds_read_b64 v[26:27], v26 offset:7280
	s_waitcnt lgkmcnt(0)
	v_mul_f64 v[11:12], v[11:12], v[26:27]
	ds_write_b64 v23, v[11:12]
.LBB36_154:
	s_or_b64 exec, exec, s[10:11]
	v_cmp_eq_u32_e64 s[10:11], 7, v24
	s_and_b64 s[70:71], s[10:11], s[0:1]
	s_waitcnt lgkmcnt(0)
	s_barrier
	s_and_saveexec_b64 s[0:1], s[70:71]
	s_cbranch_execz .LBB36_156
; %bb.155:
	v_mov_b32_e32 v26, 0
	ds_read_b64 v[26:27], v26 offset:7288
	ds_read_b64 v[28:29], v23
	s_waitcnt lgkmcnt(0)
	v_fma_f64 v[11:12], v[26:27], v[28:29], v[11:12]
.LBB36_156:
	s_or_b64 exec, exec, s[0:1]
	s_barrier
	s_and_saveexec_b64 s[0:1], s[70:71]
	s_cbranch_execz .LBB36_158
; %bb.157:
	v_mov_b32_e32 v26, 0
	ds_read_b64 v[26:27], v26 offset:7800
	s_waitcnt lgkmcnt(0)
	v_mul_f64 v[11:12], v[11:12], v[26:27]
	ds_write_b64 v23, v[11:12]
.LBB36_158:
	s_or_b64 exec, exec, s[0:1]
	s_waitcnt lgkmcnt(0)
	s_barrier
	s_barrier
	s_and_saveexec_b64 s[0:1], s[8:9]
; %bb.159:
	v_xor_b32_e32 v12, 0x80000000, v12
	ds_write_b64 v21, v[11:12] offset:64
; %bb.160:
	s_or_b64 exec, exec, s[0:1]
	v_cmp_gt_u32_e64 s[10:11], 8, v0
	s_and_b64 s[88:89], s[12:13], s[10:11]
	s_waitcnt lgkmcnt(0)
	s_barrier
	s_barrier
	s_and_saveexec_b64 s[0:1], s[88:89]
	s_cbranch_execz .LBB36_162
; %bb.161:
	v_lshlrev_b32_e32 v26, 9, v0
	ds_read_b64 v[11:12], v26 offset:64
	s_movk_i32 s10, 0xfe08
	v_mad_i32_i24 v27, v0, s10, v26
	s_waitcnt lgkmcnt(0)
	ds_write_b64 v27, v[11:12] offset:4096
	ds_read_b64 v[11:12], v26 offset:72
	s_waitcnt lgkmcnt(0)
	ds_write_b64 v27, v[11:12] offset:4608
	ds_read_b64 v[11:12], v26 offset:80
	;; [unrolled: 3-line block ×7, first 2 shown]
	s_waitcnt lgkmcnt(0)
	ds_write_b64 v27, v[11:12] offset:7680
.LBB36_162:
	s_or_b64 exec, exec, s[0:1]
	s_waitcnt lgkmcnt(0)
	s_barrier
	s_and_saveexec_b64 s[0:1], vcc
	s_cbranch_execz .LBB36_164
; %bb.163:
	v_mov_b32_e32 v11, 0
	ds_read_b128 v[26:29], v11 offset:4160
	ds_read_b64 v[11:12], v11 offset:4680
	s_movk_i32 s10, 0x1000
	s_waitcnt lgkmcnt(0)
	v_mul_f64 v[11:12], v[26:27], v[11:12]
	v_add_u32_e64 v26, s10, 0
	v_mul_f64 v[11:12], v[28:29], v[11:12]
	ds_write2_b64 v26, v[11:12], v[11:12] offset0:9 offset1:72
.LBB36_164:
	s_or_b64 exec, exec, s[0:1]
	v_mov_b32_e32 v11, 0
	v_mov_b32_e32 v12, 0
	s_waitcnt lgkmcnt(0)
	s_barrier
	s_and_saveexec_b64 s[0:1], s[2:3]
	s_cbranch_execz .LBB36_168
; %bb.165:
	v_mul_u32_u24_e32 v26, 0x208, v15
	ds_read_b64 v[11:12], v1 offset:4176
	ds_read_b64 v[26:27], v26 offset:4160
	v_cmp_gt_u32_e64 s[10:11], 2, v14
	s_waitcnt lgkmcnt(0)
	v_fma_f64 v[11:12], v[11:12], v[26:27], 0
	s_and_saveexec_b64 s[14:15], s[10:11]
	s_cbranch_execz .LBB36_167
; %bb.166:
	v_lshlrev_b32_e32 v26, 3, v0
	v_mov_b32_e32 v28, 0
	ds_read_b64 v[26:27], v26 offset:4688
	ds_read_b64 v[28:29], v28 offset:4168
	s_waitcnt lgkmcnt(0)
	v_fma_f64 v[11:12], v[26:27], v[28:29], v[11:12]
.LBB36_167:
	s_or_b64 exec, exec, s[14:15]
	v_xor_b32_e32 v12, 0x80000000, v12
.LBB36_168:
	s_or_b64 exec, exec, s[0:1]
	s_and_saveexec_b64 s[0:1], s[34:35]
	s_cbranch_execz .LBB36_170
; %bb.169:
	v_mov_b32_e32 v26, 0
	ds_read_b64 v[26:27], v26 offset:5200
	s_waitcnt lgkmcnt(0)
	v_mul_f64 v[11:12], v[11:12], v[26:27]
	ds_write_b64 v13, v[11:12]
.LBB36_170:
	s_or_b64 exec, exec, s[0:1]
	s_waitcnt lgkmcnt(0)
	s_barrier
	s_and_saveexec_b64 s[0:1], s[30:31]
	s_cbranch_execz .LBB36_172
; %bb.171:
	v_mov_b32_e32 v26, 0
	ds_read_b64 v[26:27], v26 offset:5208
	ds_read_b64 v[28:29], v13
	s_waitcnt lgkmcnt(0)
	v_fma_f64 v[11:12], v[26:27], v[28:29], v[11:12]
.LBB36_172:
	s_or_b64 exec, exec, s[0:1]
	s_barrier
	s_and_saveexec_b64 s[0:1], s[30:31]
	s_cbranch_execz .LBB36_174
; %bb.173:
	v_mov_b32_e32 v26, 0
	ds_read_b64 v[26:27], v26 offset:5720
	s_waitcnt lgkmcnt(0)
	v_mul_f64 v[11:12], v[11:12], v[26:27]
	ds_write_b64 v13, v[11:12]
.LBB36_174:
	s_or_b64 exec, exec, s[0:1]
	s_waitcnt lgkmcnt(0)
	s_barrier
	s_barrier
	s_and_saveexec_b64 s[0:1], s[2:3]
; %bb.175:
	v_xor_b32_e32 v12, 0x80000000, v12
	ds_write_b64 v1, v[11:12] offset:4176
; %bb.176:
	s_or_b64 exec, exec, s[0:1]
	s_waitcnt lgkmcnt(0)
	s_barrier
	s_barrier
	s_and_saveexec_b64 s[0:1], s[36:37]
	s_cbranch_execz .LBB36_178
; %bb.177:
	v_lshlrev_b32_e32 v26, 3, v0
	s_movk_i32 s10, 0x1f8
	v_mad_u32_u24 v27, v0, s10, v26
	ds_read_b64 v[11:12], v27 offset:4176
	s_waitcnt lgkmcnt(0)
	ds_write_b64 v26, v[11:12] offset:5184
	ds_read_b64 v[11:12], v27 offset:4184
	s_waitcnt lgkmcnt(0)
	ds_write_b64 v26, v[11:12] offset:5696
.LBB36_178:
	s_or_b64 exec, exec, s[0:1]
	s_waitcnt lgkmcnt(0)
	s_barrier
	s_and_saveexec_b64 s[0:1], vcc
	s_cbranch_execz .LBB36_180
; %bb.179:
	v_mov_b32_e32 v11, 0
	ds_read_b128 v[26:29], v11 offset:5200
	ds_read_b64 v[11:12], v11 offset:5720
	s_movk_i32 s10, 0x1000
	s_waitcnt lgkmcnt(0)
	v_mul_f64 v[11:12], v[26:27], v[11:12]
	v_add_u32_e64 v26, s10, 0
	v_mul_f64 v[11:12], v[28:29], v[11:12]
	ds_write2_b64 v26, v[11:12], v[11:12] offset0:139 offset1:202
.LBB36_180:
	s_or_b64 exec, exec, s[0:1]
	v_mov_b32_e32 v11, 0
	v_mov_b32_e32 v12, 0
	s_waitcnt lgkmcnt(0)
	s_barrier
	s_and_saveexec_b64 s[0:1], s[18:19]
	s_cbranch_execz .LBB36_186
; %bb.181:
	v_mul_u32_u24_e32 v26, 0x208, v20
	ds_read_b64 v[11:12], v16 offset:4192
	ds_read_b64 v[27:28], v26 offset:4160
	v_cmp_gt_u32_e64 s[10:11], 12, v14
	s_waitcnt lgkmcnt(0)
	v_fma_f64 v[11:12], v[11:12], v[27:28], 0
	s_and_saveexec_b64 s[14:15], s[10:11]
	s_cbranch_execnz .LBB36_1105
; %bb.182:
	s_or_b64 exec, exec, s[14:15]
	v_cmp_gt_u32_e64 s[10:11], 8, v14
	s_and_saveexec_b64 s[14:15], s[10:11]
	s_cbranch_execnz .LBB36_1106
.LBB36_183:
	s_or_b64 exec, exec, s[14:15]
	v_cmp_gt_u32_e64 s[10:11], 4, v14
	s_and_saveexec_b64 s[14:15], s[10:11]
	s_cbranch_execz .LBB36_185
.LBB36_184:
	v_lshlrev_b32_e32 v26, 3, v0
	v_mov_b32_e32 v28, 0
	ds_read_b64 v[26:27], v26 offset:5728
	ds_read_b64 v[28:29], v28 offset:4184
	s_waitcnt lgkmcnt(0)
	v_fma_f64 v[11:12], v[26:27], v[28:29], v[11:12]
.LBB36_185:
	s_or_b64 exec, exec, s[14:15]
	v_xor_b32_e32 v12, 0x80000000, v12
.LBB36_186:
	s_or_b64 exec, exec, s[0:1]
	s_and_saveexec_b64 s[0:1], s[42:43]
	s_cbranch_execz .LBB36_188
; %bb.187:
	v_mov_b32_e32 v26, 0
	ds_read_b64 v[26:27], v26 offset:6240
	s_waitcnt lgkmcnt(0)
	v_mul_f64 v[11:12], v[11:12], v[26:27]
	ds_write_b64 v18, v[11:12]
.LBB36_188:
	s_or_b64 exec, exec, s[0:1]
	s_waitcnt lgkmcnt(0)
	s_barrier
	s_and_saveexec_b64 s[0:1], s[44:45]
	s_cbranch_execz .LBB36_190
; %bb.189:
	ds_read_b64 v[26:27], v17 offset:6240
	ds_read_b64 v[28:29], v18
	s_waitcnt lgkmcnt(0)
	v_fma_f64 v[11:12], v[26:27], v[28:29], v[11:12]
.LBB36_190:
	s_or_b64 exec, exec, s[0:1]
	s_barrier
	s_and_saveexec_b64 s[0:1], s[52:53]
	s_cbranch_execz .LBB36_192
; %bb.191:
	v_mov_b32_e32 v26, 0
	ds_read_b64 v[26:27], v26 offset:6760
	s_waitcnt lgkmcnt(0)
	v_mul_f64 v[11:12], v[11:12], v[26:27]
	ds_write_b64 v18, v[11:12]
.LBB36_192:
	s_or_b64 exec, exec, s[0:1]
	s_waitcnt lgkmcnt(0)
	s_barrier
	s_and_saveexec_b64 s[0:1], s[54:55]
	s_cbranch_execz .LBB36_194
; %bb.193:
	ds_read_b64 v[26:27], v17 offset:6752
	ds_read_b64 v[28:29], v18
	s_waitcnt lgkmcnt(0)
	v_fma_f64 v[11:12], v[26:27], v[28:29], v[11:12]
.LBB36_194:
	s_or_b64 exec, exec, s[0:1]
	s_barrier
	s_and_saveexec_b64 s[0:1], s[56:57]
	s_cbranch_execz .LBB36_196
; %bb.195:
	v_mov_b32_e32 v26, 0
	ds_read_b64 v[26:27], v26 offset:7280
	s_waitcnt lgkmcnt(0)
	v_mul_f64 v[11:12], v[11:12], v[26:27]
	ds_write_b64 v18, v[11:12]
.LBB36_196:
	s_or_b64 exec, exec, s[0:1]
	s_waitcnt lgkmcnt(0)
	s_barrier
	s_and_saveexec_b64 s[0:1], s[38:39]
	s_cbranch_execz .LBB36_198
; %bb.197:
	v_mov_b32_e32 v26, 0
	ds_read_b64 v[26:27], v26 offset:7288
	ds_read_b64 v[28:29], v18
	s_waitcnt lgkmcnt(0)
	v_fma_f64 v[11:12], v[26:27], v[28:29], v[11:12]
.LBB36_198:
	s_or_b64 exec, exec, s[0:1]
	s_barrier
	s_and_saveexec_b64 s[0:1], s[38:39]
	s_cbranch_execz .LBB36_200
; %bb.199:
	v_mov_b32_e32 v26, 0
	ds_read_b64 v[26:27], v26 offset:7800
	s_waitcnt lgkmcnt(0)
	v_mul_f64 v[11:12], v[11:12], v[26:27]
	ds_write_b64 v18, v[11:12]
.LBB36_200:
	s_or_b64 exec, exec, s[0:1]
	s_waitcnt lgkmcnt(0)
	s_barrier
	s_barrier
	s_and_saveexec_b64 s[0:1], s[18:19]
; %bb.201:
	v_xor_b32_e32 v12, 0x80000000, v12
	ds_write_b64 v16, v[11:12] offset:4192
; %bb.202:
	s_or_b64 exec, exec, s[0:1]
	s_waitcnt lgkmcnt(0)
	s_barrier
	s_barrier
	s_and_saveexec_b64 s[0:1], s[58:59]
	s_cbranch_execz .LBB36_204
; %bb.203:
	v_lshlrev_b32_e32 v26, 9, v0
	ds_read_b64 v[11:12], v26 offset:4192
	s_movk_i32 s10, 0xfe08
	v_mad_i32_i24 v27, v0, s10, v26
	s_waitcnt lgkmcnt(0)
	ds_write_b64 v27, v[11:12] offset:6208
	ds_read_b64 v[11:12], v26 offset:4200
	s_waitcnt lgkmcnt(0)
	ds_write_b64 v27, v[11:12] offset:6720
	ds_read_b64 v[11:12], v26 offset:4208
	;; [unrolled: 3-line block ×3, first 2 shown]
	s_waitcnt lgkmcnt(0)
	ds_write_b64 v27, v[11:12] offset:7744
.LBB36_204:
	s_or_b64 exec, exec, s[0:1]
	s_waitcnt lgkmcnt(0)
	s_barrier
	s_and_saveexec_b64 s[0:1], vcc
	s_cbranch_execz .LBB36_206
; %bb.205:
	v_mov_b32_e32 v11, 0
	ds_read_b128 v[26:29], v11 offset:6240
	ds_read_b64 v[11:12], v11 offset:6760
	s_movk_i32 s10, 0x1800
	s_waitcnt lgkmcnt(0)
	v_mul_f64 v[11:12], v[26:27], v[11:12]
	v_add_u32_e64 v26, s10, 0
	v_mul_f64 v[11:12], v[28:29], v[11:12]
	ds_write2_b64 v26, v[11:12], v[11:12] offset0:13 offset1:76
.LBB36_206:
	s_or_b64 exec, exec, s[0:1]
	v_mov_b32_e32 v11, 0
	v_mov_b32_e32 v12, 0
	s_waitcnt lgkmcnt(0)
	s_barrier
	s_and_saveexec_b64 s[0:1], s[2:3]
	s_cbranch_execz .LBB36_210
; %bb.207:
	v_mul_u32_u24_e32 v26, 0x208, v15
	ds_read_b64 v[11:12], v1 offset:6256
	ds_read_b64 v[26:27], v26 offset:6240
	v_cmp_gt_u32_e64 s[10:11], 2, v14
	s_waitcnt lgkmcnt(0)
	v_fma_f64 v[11:12], v[11:12], v[26:27], 0
	s_and_saveexec_b64 s[14:15], s[10:11]
	s_cbranch_execz .LBB36_209
; %bb.208:
	v_lshlrev_b32_e32 v26, 3, v0
	v_mov_b32_e32 v28, 0
	ds_read_b64 v[26:27], v26 offset:6768
	ds_read_b64 v[28:29], v28 offset:6248
	s_waitcnt lgkmcnt(0)
	v_fma_f64 v[11:12], v[26:27], v[28:29], v[11:12]
.LBB36_209:
	s_or_b64 exec, exec, s[14:15]
	v_xor_b32_e32 v12, 0x80000000, v12
.LBB36_210:
	s_or_b64 exec, exec, s[0:1]
	s_and_saveexec_b64 s[0:1], s[34:35]
	s_cbranch_execz .LBB36_212
; %bb.211:
	v_mov_b32_e32 v26, 0
	ds_read_b64 v[26:27], v26 offset:7280
	s_waitcnt lgkmcnt(0)
	v_mul_f64 v[11:12], v[11:12], v[26:27]
	ds_write_b64 v13, v[11:12]
.LBB36_212:
	s_or_b64 exec, exec, s[0:1]
	s_waitcnt lgkmcnt(0)
	s_barrier
	s_and_saveexec_b64 s[0:1], s[30:31]
	s_cbranch_execz .LBB36_214
; %bb.213:
	v_mov_b32_e32 v26, 0
	ds_read_b64 v[26:27], v26 offset:7288
	ds_read_b64 v[28:29], v13
	s_waitcnt lgkmcnt(0)
	v_fma_f64 v[11:12], v[26:27], v[28:29], v[11:12]
.LBB36_214:
	s_or_b64 exec, exec, s[0:1]
	s_barrier
	s_and_saveexec_b64 s[0:1], s[30:31]
	s_cbranch_execz .LBB36_216
; %bb.215:
	v_mov_b32_e32 v26, 0
	ds_read_b64 v[26:27], v26 offset:7800
	s_waitcnt lgkmcnt(0)
	v_mul_f64 v[11:12], v[11:12], v[26:27]
	ds_write_b64 v13, v[11:12]
.LBB36_216:
	s_or_b64 exec, exec, s[0:1]
	s_waitcnt lgkmcnt(0)
	s_barrier
	s_barrier
	s_and_saveexec_b64 s[0:1], s[2:3]
; %bb.217:
	v_xor_b32_e32 v12, 0x80000000, v12
	ds_write_b64 v1, v[11:12] offset:6256
; %bb.218:
	s_or_b64 exec, exec, s[0:1]
	s_waitcnt lgkmcnt(0)
	s_barrier
	s_barrier
	s_and_saveexec_b64 s[0:1], s[36:37]
	s_cbranch_execz .LBB36_220
; %bb.219:
	v_lshlrev_b32_e32 v26, 3, v0
	s_movk_i32 s10, 0x1f8
	v_mad_u32_u24 v27, v0, s10, v26
	ds_read_b64 v[11:12], v27 offset:6256
	s_waitcnt lgkmcnt(0)
	ds_write_b64 v26, v[11:12] offset:7264
	ds_read_b64 v[11:12], v27 offset:6264
	s_waitcnt lgkmcnt(0)
	ds_write_b64 v26, v[11:12] offset:7776
.LBB36_220:
	s_or_b64 exec, exec, s[0:1]
	s_waitcnt lgkmcnt(0)
	s_barrier
	s_and_saveexec_b64 s[0:1], vcc
	s_cbranch_execz .LBB36_222
; %bb.221:
	v_mov_b32_e32 v11, 0
	ds_read_b128 v[26:29], v11 offset:7280
	ds_read_b64 v[11:12], v11 offset:7800
	s_movk_i32 s10, 0x1800
	s_waitcnt lgkmcnt(0)
	v_mul_f64 v[11:12], v[26:27], v[11:12]
	v_add_u32_e64 v26, s10, 0
	v_mul_f64 v[11:12], v[28:29], v[11:12]
	ds_write2_b64 v26, v[11:12], v[11:12] offset0:143 offset1:206
.LBB36_222:
	s_or_b64 exec, exec, s[0:1]
	v_lshrrev_b32_e32 v30, 4, v14
	v_and_b32_e32 v27, 15, v0
	s_movk_i32 s0, 0xff
	v_lshlrev_b32_e32 v29, 6, v30
	v_cmp_lt_u32_e64 s[14:15], s0, v14
	s_movk_i32 s0, 0x100
	v_or_b32_e32 v26, v29, v27
	v_mov_b32_e32 v11, 0
	v_cmp_gt_u32_e64 s[10:11], s0, v14
	v_mov_b32_e32 v12, 0
	v_lshlrev_b32_e32 v26, 3, v26
	s_waitcnt lgkmcnt(0)
	s_barrier
	s_and_saveexec_b64 s[0:1], s[10:11]
	s_cbranch_execz .LBB36_250
; %bb.223:
	v_mul_u32_u24_e32 v28, 0x208, v30
	ds_read_b64 v[11:12], v26 offset:128
	ds_read_b64 v[31:32], v28
	s_movk_i32 s16, 0xf0
	v_cmp_gt_u32_e64 s[16:17], s16, v14
	s_waitcnt lgkmcnt(0)
	v_fma_f64 v[11:12], v[11:12], v[31:32], 0
	s_and_saveexec_b64 s[20:21], s[16:17]
	s_cbranch_execz .LBB36_225
; %bb.224:
	v_lshlrev_b32_e32 v31, 3, v30
	v_sub_u32_e32 v31, v28, v31
	v_lshl_add_u32 v31, v27, 3, v31
	ds_read_b64 v[31:32], v31 offset:640
	ds_read_b64 v[33:34], v28 offset:8
	s_waitcnt lgkmcnt(0)
	v_fma_f64 v[11:12], v[31:32], v[33:34], v[11:12]
.LBB36_225:
	s_or_b64 exec, exec, s[20:21]
	s_movk_i32 s16, 0xe0
	v_cmp_gt_u32_e64 s[16:17], s16, v14
	s_and_saveexec_b64 s[20:21], s[16:17]
	s_cbranch_execz .LBB36_227
; %bb.226:
	v_lshlrev_b32_e32 v31, 3, v30
	v_sub_u32_e32 v31, v28, v31
	v_lshl_add_u32 v31, v27, 3, v31
	ds_read_b64 v[31:32], v31 offset:1152
	ds_read_b64 v[33:34], v28 offset:16
	s_waitcnt lgkmcnt(0)
	v_fma_f64 v[11:12], v[31:32], v[33:34], v[11:12]
.LBB36_227:
	s_or_b64 exec, exec, s[20:21]
	s_movk_i32 s16, 0xd0
	v_cmp_gt_u32_e64 s[16:17], s16, v14
	;; [unrolled: 14-line block ×7, first 2 shown]
	s_and_saveexec_b64 s[20:21], s[16:17]
	s_cbranch_execz .LBB36_239
; %bb.238:
	ds_read_b64 v[31:32], v26 offset:4224
	ds_read_b64 v[33:34], v28 offset:64
	s_waitcnt lgkmcnt(0)
	v_fma_f64 v[11:12], v[31:32], v[33:34], v[11:12]
.LBB36_239:
	s_or_b64 exec, exec, s[20:21]
	s_movk_i32 s16, 0x70
	v_cmp_gt_u32_e64 s[16:17], s16, v14
	s_and_saveexec_b64 s[20:21], s[16:17]
	s_cbranch_execz .LBB36_241
; %bb.240:
	v_lshlrev_b32_e32 v31, 3, v30
	v_sub_u32_e32 v31, v28, v31
	v_lshl_add_u32 v31, v27, 3, v31
	ds_read_b64 v[31:32], v31 offset:4736
	ds_read_b64 v[33:34], v28 offset:72
	s_waitcnt lgkmcnt(0)
	v_fma_f64 v[11:12], v[31:32], v[33:34], v[11:12]
.LBB36_241:
	s_or_b64 exec, exec, s[20:21]
	s_movk_i32 s16, 0x60
	v_cmp_gt_u32_e64 s[16:17], s16, v14
	s_and_saveexec_b64 s[20:21], s[16:17]
	s_cbranch_execz .LBB36_243
; %bb.242:
	v_lshlrev_b32_e32 v31, 3, v27
	v_lshl_add_u32 v31, v29, 3, v31
	ds_read_b64 v[31:32], v31 offset:5248
	ds_read_b64 v[33:34], v28 offset:80
	s_waitcnt lgkmcnt(0)
	v_fma_f64 v[11:12], v[31:32], v[33:34], v[11:12]
.LBB36_243:
	s_or_b64 exec, exec, s[20:21]
	s_movk_i32 s16, 0x50
	v_cmp_gt_u32_e64 s[16:17], s16, v14
	s_and_saveexec_b64 s[20:21], s[16:17]
	s_cbranch_execnz .LBB36_1107
; %bb.244:
	s_or_b64 exec, exec, s[20:21]
	v_cmp_gt_u32_e64 s[16:17], 64, v14
	s_and_saveexec_b64 s[20:21], s[16:17]
	s_cbranch_execnz .LBB36_1108
.LBB36_245:
	s_or_b64 exec, exec, s[20:21]
	v_cmp_gt_u32_e64 s[16:17], 48, v14
	s_and_saveexec_b64 s[20:21], s[16:17]
	s_cbranch_execnz .LBB36_1109
.LBB36_246:
	s_or_b64 exec, exec, s[20:21]
	v_cmp_gt_u32_e64 s[16:17], 32, v14
	s_and_saveexec_b64 s[20:21], s[16:17]
	s_cbranch_execnz .LBB36_1110
.LBB36_247:
	s_or_b64 exec, exec, s[20:21]
	v_cmp_gt_u32_e64 s[16:17], 16, v14
	s_and_saveexec_b64 s[20:21], s[16:17]
	s_cbranch_execz .LBB36_249
.LBB36_248:
	v_lshlrev_b32_e32 v28, 3, v0
	v_mov_b32_e32 v33, 0
	ds_read_b64 v[31:32], v28 offset:7808
	ds_read_b64 v[33:34], v33 offset:120
	s_waitcnt lgkmcnt(0)
	v_fma_f64 v[11:12], v[31:32], v[33:34], v[11:12]
.LBB36_249:
	s_or_b64 exec, exec, s[20:21]
	v_xor_b32_e32 v12, 0x80000000, v12
.LBB36_250:
	s_or_b64 exec, exec, s[0:1]
	v_mov_b32_e32 v28, 0x8000
	v_lshl_add_u32 v28, v30, 3, v28
	v_cmp_eq_u32_e64 s[16:17], 0, v27
	s_xor_b64 s[20:21], s[14:15], -1
	s_and_b64 s[14:15], s[16:17], s[20:21]
	s_mov_b64 s[0:1], exec
	v_writelane_b32 v42, s14, 5
	v_writelane_b32 v42, s15, 6
	s_and_b64 s[14:15], s[0:1], s[14:15]
	s_mov_b64 exec, s[14:15]
	s_cbranch_execz .LBB36_252
; %bb.251:
	v_mov_b32_e32 v31, 0
	ds_read_b64 v[31:32], v31 offset:8320
	s_waitcnt lgkmcnt(0)
	v_mul_f64 v[11:12], v[11:12], v[31:32]
	ds_write_b64 v28, v[11:12]
.LBB36_252:
	s_or_b64 exec, exec, s[0:1]
	v_cmp_ne_u32_e64 s[14:15], 0, v27
	s_waitcnt lgkmcnt(0)
	s_barrier
	s_and_b64 s[14:15], s[14:15], s[20:21]
	s_mov_b64 s[0:1], exec
	v_writelane_b32 v42, s14, 7
	v_writelane_b32 v42, s15, 8
	s_and_b64 s[14:15], s[0:1], s[14:15]
	s_mov_b64 exec, s[14:15]
	s_cbranch_execz .LBB36_254
; %bb.253:
	v_lshlrev_b32_e32 v31, 3, v27
	ds_read_b64 v[31:32], v31 offset:8320
	ds_read_b64 v[33:34], v28
	s_waitcnt lgkmcnt(0)
	v_fma_f64 v[11:12], v[31:32], v[33:34], v[11:12]
.LBB36_254:
	s_or_b64 exec, exec, s[0:1]
	v_cmp_eq_u32_e64 s[14:15], 1, v27
	s_barrier
	s_and_b64 s[14:15], s[14:15], s[20:21]
	s_mov_b64 s[0:1], exec
	v_writelane_b32 v42, s14, 9
	v_writelane_b32 v42, s15, 10
	s_and_b64 s[14:15], s[0:1], s[14:15]
	s_mov_b64 exec, s[14:15]
	s_cbranch_execz .LBB36_256
; %bb.255:
	v_mov_b32_e32 v31, 0
	ds_read_b64 v[31:32], v31 offset:8840
	s_waitcnt lgkmcnt(0)
	v_mul_f64 v[11:12], v[11:12], v[31:32]
	ds_write_b64 v28, v[11:12]
.LBB36_256:
	s_or_b64 exec, exec, s[0:1]
	v_cmp_lt_u32_e64 s[14:15], 1, v27
	s_waitcnt lgkmcnt(0)
	s_barrier
	s_and_b64 s[14:15], s[14:15], s[20:21]
	s_mov_b64 s[0:1], exec
	v_writelane_b32 v42, s14, 11
	v_writelane_b32 v42, s15, 12
	s_and_b64 s[14:15], s[0:1], s[14:15]
	s_mov_b64 exec, s[14:15]
	s_cbranch_execz .LBB36_258
; %bb.257:
	v_lshlrev_b32_e32 v31, 3, v27
	ds_read_b64 v[31:32], v31 offset:8832
	ds_read_b64 v[33:34], v28
	s_waitcnt lgkmcnt(0)
	v_fma_f64 v[11:12], v[31:32], v[33:34], v[11:12]
.LBB36_258:
	s_or_b64 exec, exec, s[0:1]
	v_cmp_eq_u32_e64 s[14:15], 2, v27
	s_barrier
	s_and_b64 s[14:15], s[14:15], s[20:21]
	s_mov_b64 s[0:1], exec
	v_writelane_b32 v42, s14, 13
	v_writelane_b32 v42, s15, 14
	s_and_b64 s[14:15], s[0:1], s[14:15]
	s_mov_b64 exec, s[14:15]
	s_cbranch_execz .LBB36_260
; %bb.259:
	v_mov_b32_e32 v31, 0
	ds_read_b64 v[31:32], v31 offset:9360
	s_waitcnt lgkmcnt(0)
	v_mul_f64 v[11:12], v[11:12], v[31:32]
	ds_write_b64 v28, v[11:12]
.LBB36_260:
	s_or_b64 exec, exec, s[0:1]
	v_cmp_lt_u32_e64 s[14:15], 2, v27
	s_waitcnt lgkmcnt(0)
	s_barrier
	s_and_b64 s[14:15], s[14:15], s[20:21]
	s_mov_b64 s[0:1], exec
	v_writelane_b32 v42, s14, 15
	v_writelane_b32 v42, s15, 16
	s_and_b64 s[14:15], s[0:1], s[14:15]
	s_mov_b64 exec, s[14:15]
	s_cbranch_execz .LBB36_262
; %bb.261:
	v_lshlrev_b32_e32 v31, 3, v27
	ds_read_b64 v[31:32], v31 offset:9344
	ds_read_b64 v[33:34], v28
	s_waitcnt lgkmcnt(0)
	v_fma_f64 v[11:12], v[31:32], v[33:34], v[11:12]
.LBB36_262:
	s_or_b64 exec, exec, s[0:1]
	v_cmp_eq_u32_e64 s[14:15], 3, v27
	s_barrier
	s_and_b64 s[14:15], s[14:15], s[20:21]
	s_mov_b64 s[0:1], exec
	v_writelane_b32 v42, s14, 17
	v_writelane_b32 v42, s15, 18
	s_and_b64 s[14:15], s[0:1], s[14:15]
	s_mov_b64 exec, s[14:15]
	s_cbranch_execz .LBB36_264
; %bb.263:
	v_mov_b32_e32 v31, 0
	ds_read_b64 v[31:32], v31 offset:9880
	s_waitcnt lgkmcnt(0)
	v_mul_f64 v[11:12], v[11:12], v[31:32]
	ds_write_b64 v28, v[11:12]
.LBB36_264:
	s_or_b64 exec, exec, s[0:1]
	v_cmp_lt_u32_e64 s[14:15], 3, v27
	s_waitcnt lgkmcnt(0)
	s_barrier
	s_and_b64 s[14:15], s[14:15], s[20:21]
	s_mov_b64 s[0:1], exec
	v_writelane_b32 v42, s14, 19
	v_writelane_b32 v42, s15, 20
	s_and_b64 s[14:15], s[0:1], s[14:15]
	s_mov_b64 exec, s[14:15]
	s_cbranch_execz .LBB36_266
; %bb.265:
	v_lshlrev_b32_e32 v31, 3, v27
	ds_read_b64 v[31:32], v31 offset:9856
	ds_read_b64 v[33:34], v28
	s_waitcnt lgkmcnt(0)
	v_fma_f64 v[11:12], v[31:32], v[33:34], v[11:12]
.LBB36_266:
	s_or_b64 exec, exec, s[0:1]
	v_cmp_eq_u32_e64 s[14:15], 4, v27
	s_barrier
	s_and_b64 s[14:15], s[14:15], s[20:21]
	s_mov_b64 s[0:1], exec
	v_writelane_b32 v42, s14, 21
	v_writelane_b32 v42, s15, 22
	s_and_b64 s[14:15], s[0:1], s[14:15]
	s_mov_b64 exec, s[14:15]
	s_cbranch_execz .LBB36_268
; %bb.267:
	v_mov_b32_e32 v31, 0
	ds_read_b64 v[31:32], v31 offset:10400
	s_waitcnt lgkmcnt(0)
	v_mul_f64 v[11:12], v[11:12], v[31:32]
	ds_write_b64 v28, v[11:12]
.LBB36_268:
	s_or_b64 exec, exec, s[0:1]
	v_cmp_lt_u32_e64 s[14:15], 4, v27
	s_waitcnt lgkmcnt(0)
	s_barrier
	s_and_b64 s[14:15], s[14:15], s[20:21]
	s_mov_b64 s[0:1], exec
	v_writelane_b32 v42, s14, 23
	v_writelane_b32 v42, s15, 24
	s_and_b64 s[14:15], s[0:1], s[14:15]
	s_mov_b64 exec, s[14:15]
	s_cbranch_execz .LBB36_270
; %bb.269:
	v_lshlrev_b32_e32 v31, 3, v27
	ds_read_b64 v[31:32], v31 offset:10368
	ds_read_b64 v[33:34], v28
	s_waitcnt lgkmcnt(0)
	v_fma_f64 v[11:12], v[31:32], v[33:34], v[11:12]
.LBB36_270:
	s_or_b64 exec, exec, s[0:1]
	v_cmp_eq_u32_e64 s[14:15], 5, v27
	s_barrier
	s_and_b64 s[14:15], s[14:15], s[20:21]
	s_mov_b64 s[0:1], exec
	v_writelane_b32 v42, s14, 25
	v_writelane_b32 v42, s15, 26
	s_and_b64 s[14:15], s[0:1], s[14:15]
	s_mov_b64 exec, s[14:15]
	s_cbranch_execz .LBB36_272
; %bb.271:
	v_mov_b32_e32 v31, 0
	ds_read_b64 v[31:32], v31 offset:10920
	s_waitcnt lgkmcnt(0)
	v_mul_f64 v[11:12], v[11:12], v[31:32]
	ds_write_b64 v28, v[11:12]
.LBB36_272:
	s_or_b64 exec, exec, s[0:1]
	v_cmp_lt_u32_e64 s[14:15], 5, v27
	s_waitcnt lgkmcnt(0)
	s_barrier
	s_and_b64 s[14:15], s[14:15], s[20:21]
	s_mov_b64 s[0:1], exec
	v_writelane_b32 v42, s14, 27
	v_writelane_b32 v42, s15, 28
	s_and_b64 s[14:15], s[0:1], s[14:15]
	s_mov_b64 exec, s[14:15]
	s_cbranch_execz .LBB36_274
; %bb.273:
	v_lshlrev_b32_e32 v31, 3, v27
	ds_read_b64 v[31:32], v31 offset:10880
	ds_read_b64 v[33:34], v28
	s_waitcnt lgkmcnt(0)
	v_fma_f64 v[11:12], v[31:32], v[33:34], v[11:12]
.LBB36_274:
	s_or_b64 exec, exec, s[0:1]
	v_cmp_eq_u32_e64 s[14:15], 6, v27
	s_barrier
	s_and_b64 s[14:15], s[14:15], s[20:21]
	s_mov_b64 s[0:1], exec
	v_writelane_b32 v42, s14, 29
	v_writelane_b32 v42, s15, 30
	s_and_b64 s[14:15], s[0:1], s[14:15]
	s_mov_b64 exec, s[14:15]
	s_cbranch_execz .LBB36_276
; %bb.275:
	v_mov_b32_e32 v31, 0
	ds_read_b64 v[31:32], v31 offset:11440
	s_waitcnt lgkmcnt(0)
	v_mul_f64 v[11:12], v[11:12], v[31:32]
	ds_write_b64 v28, v[11:12]
.LBB36_276:
	s_or_b64 exec, exec, s[0:1]
	v_cmp_lt_u32_e64 s[14:15], 6, v27
	s_waitcnt lgkmcnt(0)
	s_barrier
	s_and_b64 s[14:15], s[14:15], s[20:21]
	s_mov_b64 s[0:1], exec
	v_writelane_b32 v42, s14, 31
	v_writelane_b32 v42, s15, 32
	s_and_b64 s[14:15], s[0:1], s[14:15]
	s_mov_b64 exec, s[14:15]
	s_cbranch_execz .LBB36_278
; %bb.277:
	v_lshlrev_b32_e32 v31, 3, v27
	ds_read_b64 v[31:32], v31 offset:11392
	ds_read_b64 v[33:34], v28
	s_waitcnt lgkmcnt(0)
	v_fma_f64 v[11:12], v[31:32], v[33:34], v[11:12]
.LBB36_278:
	s_or_b64 exec, exec, s[0:1]
	v_cmp_eq_u32_e64 s[14:15], 7, v27
	s_barrier
	s_and_b64 s[14:15], s[14:15], s[20:21]
	s_mov_b64 s[0:1], exec
	v_writelane_b32 v42, s14, 33
	v_writelane_b32 v42, s15, 34
	s_and_b64 s[14:15], s[0:1], s[14:15]
	s_mov_b64 exec, s[14:15]
	s_cbranch_execz .LBB36_280
; %bb.279:
	v_mov_b32_e32 v31, 0
	ds_read_b64 v[31:32], v31 offset:11960
	s_waitcnt lgkmcnt(0)
	v_mul_f64 v[11:12], v[11:12], v[31:32]
	ds_write_b64 v28, v[11:12]
.LBB36_280:
	s_or_b64 exec, exec, s[0:1]
	v_cmp_lt_u32_e64 s[14:15], 7, v27
	s_waitcnt lgkmcnt(0)
	s_barrier
	s_and_b64 s[14:15], s[14:15], s[20:21]
	s_mov_b64 s[0:1], exec
	v_writelane_b32 v42, s14, 35
	v_writelane_b32 v42, s15, 36
	s_and_b64 s[14:15], s[0:1], s[14:15]
	s_mov_b64 exec, s[14:15]
	s_cbranch_execz .LBB36_282
; %bb.281:
	v_lshlrev_b32_e32 v31, 3, v27
	ds_read_b64 v[31:32], v31 offset:11904
	ds_read_b64 v[33:34], v28
	s_waitcnt lgkmcnt(0)
	v_fma_f64 v[11:12], v[31:32], v[33:34], v[11:12]
.LBB36_282:
	s_or_b64 exec, exec, s[0:1]
	v_cmp_eq_u32_e64 s[14:15], 8, v27
	s_barrier
	s_and_b64 s[14:15], s[14:15], s[20:21]
	s_mov_b64 s[0:1], exec
	v_writelane_b32 v42, s14, 37
	v_writelane_b32 v42, s15, 38
	s_and_b64 s[14:15], s[0:1], s[14:15]
	s_mov_b64 exec, s[14:15]
	s_cbranch_execz .LBB36_284
; %bb.283:
	v_mov_b32_e32 v31, 0
	ds_read_b64 v[31:32], v31 offset:12480
	s_waitcnt lgkmcnt(0)
	v_mul_f64 v[11:12], v[11:12], v[31:32]
	ds_write_b64 v28, v[11:12]
.LBB36_284:
	s_or_b64 exec, exec, s[0:1]
	v_cmp_lt_u32_e64 s[14:15], 8, v27
	s_waitcnt lgkmcnt(0)
	s_barrier
	s_and_b64 s[14:15], s[14:15], s[20:21]
	s_mov_b64 s[0:1], exec
	v_writelane_b32 v42, s14, 39
	v_writelane_b32 v42, s15, 40
	s_and_b64 s[14:15], s[0:1], s[14:15]
	s_mov_b64 exec, s[14:15]
	s_cbranch_execz .LBB36_286
; %bb.285:
	v_lshlrev_b32_e32 v31, 3, v27
	ds_read_b64 v[31:32], v31 offset:12416
	ds_read_b64 v[33:34], v28
	s_waitcnt lgkmcnt(0)
	v_fma_f64 v[11:12], v[31:32], v[33:34], v[11:12]
.LBB36_286:
	s_or_b64 exec, exec, s[0:1]
	v_cmp_eq_u32_e64 s[14:15], 9, v27
	s_barrier
	s_and_b64 s[14:15], s[14:15], s[20:21]
	s_mov_b64 s[0:1], exec
	v_writelane_b32 v42, s14, 41
	v_writelane_b32 v42, s15, 42
	s_and_b64 s[14:15], s[0:1], s[14:15]
	s_mov_b64 exec, s[14:15]
	s_cbranch_execz .LBB36_288
; %bb.287:
	v_mov_b32_e32 v31, 0
	ds_read_b64 v[31:32], v31 offset:13000
	s_waitcnt lgkmcnt(0)
	v_mul_f64 v[11:12], v[11:12], v[31:32]
	ds_write_b64 v28, v[11:12]
.LBB36_288:
	s_or_b64 exec, exec, s[0:1]
	v_cmp_lt_u32_e64 s[14:15], 9, v27
	s_waitcnt lgkmcnt(0)
	s_barrier
	s_and_b64 s[14:15], s[14:15], s[20:21]
	s_mov_b64 s[0:1], exec
	v_writelane_b32 v42, s14, 43
	v_writelane_b32 v42, s15, 44
	s_and_b64 s[14:15], s[0:1], s[14:15]
	s_mov_b64 exec, s[14:15]
	s_cbranch_execz .LBB36_290
; %bb.289:
	v_lshlrev_b32_e32 v31, 3, v27
	ds_read_b64 v[31:32], v31 offset:12928
	ds_read_b64 v[33:34], v28
	s_waitcnt lgkmcnt(0)
	v_fma_f64 v[11:12], v[31:32], v[33:34], v[11:12]
.LBB36_290:
	s_or_b64 exec, exec, s[0:1]
	v_cmp_eq_u32_e64 s[14:15], 10, v27
	s_barrier
	s_and_b64 s[14:15], s[14:15], s[20:21]
	s_mov_b64 s[0:1], exec
	v_writelane_b32 v42, s14, 45
	v_writelane_b32 v42, s15, 46
	s_and_b64 s[14:15], s[0:1], s[14:15]
	s_mov_b64 exec, s[14:15]
	s_cbranch_execz .LBB36_292
; %bb.291:
	v_mov_b32_e32 v31, 0
	ds_read_b64 v[31:32], v31 offset:13520
	s_waitcnt lgkmcnt(0)
	v_mul_f64 v[11:12], v[11:12], v[31:32]
	ds_write_b64 v28, v[11:12]
.LBB36_292:
	s_or_b64 exec, exec, s[0:1]
	v_cmp_lt_u32_e64 s[14:15], 10, v27
	s_waitcnt lgkmcnt(0)
	s_barrier
	s_and_b64 s[14:15], s[14:15], s[20:21]
	s_mov_b64 s[0:1], exec
	v_writelane_b32 v42, s14, 47
	v_writelane_b32 v42, s15, 48
	s_and_b64 s[14:15], s[0:1], s[14:15]
	s_mov_b64 exec, s[14:15]
	s_cbranch_execz .LBB36_294
; %bb.293:
	v_lshlrev_b32_e32 v31, 3, v27
	ds_read_b64 v[31:32], v31 offset:13440
	ds_read_b64 v[33:34], v28
	s_waitcnt lgkmcnt(0)
	v_fma_f64 v[11:12], v[31:32], v[33:34], v[11:12]
.LBB36_294:
	s_or_b64 exec, exec, s[0:1]
	v_cmp_eq_u32_e64 s[14:15], 11, v27
	s_barrier
	s_and_b64 s[14:15], s[14:15], s[20:21]
	s_mov_b64 s[0:1], exec
	v_writelane_b32 v42, s14, 49
	v_writelane_b32 v42, s15, 50
	s_and_b64 s[14:15], s[0:1], s[14:15]
	s_mov_b64 exec, s[14:15]
	s_cbranch_execz .LBB36_296
; %bb.295:
	v_mov_b32_e32 v31, 0
	ds_read_b64 v[31:32], v31 offset:14040
	s_waitcnt lgkmcnt(0)
	v_mul_f64 v[11:12], v[11:12], v[31:32]
	ds_write_b64 v28, v[11:12]
.LBB36_296:
	s_or_b64 exec, exec, s[0:1]
	v_cmp_lt_u32_e64 s[14:15], 11, v27
	s_waitcnt lgkmcnt(0)
	s_barrier
	s_and_b64 s[14:15], s[14:15], s[20:21]
	s_mov_b64 s[0:1], exec
	v_writelane_b32 v42, s14, 51
	v_writelane_b32 v42, s15, 52
	s_and_b64 s[14:15], s[0:1], s[14:15]
	s_mov_b64 exec, s[14:15]
	s_cbranch_execz .LBB36_298
; %bb.297:
	v_lshlrev_b32_e32 v31, 3, v27
	ds_read_b64 v[31:32], v31 offset:13952
	ds_read_b64 v[33:34], v28
	s_waitcnt lgkmcnt(0)
	v_fma_f64 v[11:12], v[31:32], v[33:34], v[11:12]
.LBB36_298:
	s_or_b64 exec, exec, s[0:1]
	v_cmp_eq_u32_e64 s[14:15], 12, v27
	s_barrier
	s_and_b64 s[14:15], s[14:15], s[20:21]
	s_mov_b64 s[0:1], exec
	v_writelane_b32 v42, s14, 53
	v_writelane_b32 v42, s15, 54
	s_and_b64 s[14:15], s[0:1], s[14:15]
	s_mov_b64 exec, s[14:15]
	s_cbranch_execz .LBB36_300
; %bb.299:
	v_mov_b32_e32 v31, 0
	ds_read_b64 v[31:32], v31 offset:14560
	s_waitcnt lgkmcnt(0)
	v_mul_f64 v[11:12], v[11:12], v[31:32]
	ds_write_b64 v28, v[11:12]
.LBB36_300:
	s_or_b64 exec, exec, s[0:1]
	v_cmp_lt_u32_e64 s[14:15], 12, v27
	s_waitcnt lgkmcnt(0)
	s_barrier
	s_and_b64 s[14:15], s[14:15], s[20:21]
	s_mov_b64 s[0:1], exec
	v_writelane_b32 v42, s14, 55
	v_writelane_b32 v42, s15, 56
	s_and_b64 s[14:15], s[0:1], s[14:15]
	s_mov_b64 exec, s[14:15]
	s_cbranch_execz .LBB36_302
; %bb.301:
	v_lshlrev_b32_e32 v31, 3, v27
	ds_read_b64 v[31:32], v31 offset:14464
	ds_read_b64 v[33:34], v28
	s_waitcnt lgkmcnt(0)
	v_fma_f64 v[11:12], v[31:32], v[33:34], v[11:12]
.LBB36_302:
	s_or_b64 exec, exec, s[0:1]
	v_cmp_eq_u32_e64 s[14:15], 13, v27
	s_barrier
	s_and_b64 s[14:15], s[14:15], s[20:21]
	s_mov_b64 s[0:1], exec
	v_writelane_b32 v42, s14, 57
	v_writelane_b32 v42, s15, 58
	s_and_b64 s[14:15], s[0:1], s[14:15]
	s_mov_b64 exec, s[14:15]
	s_cbranch_execz .LBB36_304
; %bb.303:
	v_mov_b32_e32 v31, 0
	ds_read_b64 v[31:32], v31 offset:15080
	s_waitcnt lgkmcnt(0)
	v_mul_f64 v[11:12], v[11:12], v[31:32]
	ds_write_b64 v28, v[11:12]
.LBB36_304:
	s_or_b64 exec, exec, s[0:1]
	v_cmp_lt_u32_e64 s[14:15], 13, v27
	s_waitcnt lgkmcnt(0)
	s_barrier
	s_and_b64 s[14:15], s[14:15], s[20:21]
	s_mov_b64 s[0:1], exec
	v_writelane_b32 v42, s14, 59
	v_writelane_b32 v42, s15, 60
	s_and_b64 s[14:15], s[0:1], s[14:15]
	s_mov_b64 exec, s[14:15]
	s_cbranch_execz .LBB36_306
; %bb.305:
	v_lshlrev_b32_e32 v31, 3, v27
	ds_read_b64 v[31:32], v31 offset:14976
	ds_read_b64 v[33:34], v28
	s_waitcnt lgkmcnt(0)
	v_fma_f64 v[11:12], v[31:32], v[33:34], v[11:12]
.LBB36_306:
	s_or_b64 exec, exec, s[0:1]
	v_cmp_eq_u32_e64 s[14:15], 14, v27
	s_barrier
	s_and_b64 s[14:15], s[14:15], s[20:21]
	s_mov_b64 s[0:1], exec
	v_writelane_b32 v42, s14, 61
	v_writelane_b32 v42, s15, 62
	s_and_b64 s[14:15], s[0:1], s[14:15]
	s_mov_b64 exec, s[14:15]
	s_cbranch_execz .LBB36_308
; %bb.307:
	v_mov_b32_e32 v31, 0
	ds_read_b64 v[31:32], v31 offset:15600
	s_waitcnt lgkmcnt(0)
	v_mul_f64 v[11:12], v[11:12], v[31:32]
	ds_write_b64 v28, v[11:12]
.LBB36_308:
	s_or_b64 exec, exec, s[0:1]
	v_cmp_eq_u32_e64 s[14:15], 15, v27
	s_and_b64 s[92:93], s[14:15], s[20:21]
	s_waitcnt lgkmcnt(0)
	s_barrier
	s_and_saveexec_b64 s[0:1], s[92:93]
	s_cbranch_execz .LBB36_310
; %bb.309:
	v_mov_b32_e32 v31, 0
	ds_read_b64 v[31:32], v31 offset:15608
	ds_read_b64 v[33:34], v28
	s_waitcnt lgkmcnt(0)
	v_fma_f64 v[11:12], v[31:32], v[33:34], v[11:12]
.LBB36_310:
	s_or_b64 exec, exec, s[0:1]
	s_barrier
	s_and_saveexec_b64 s[0:1], s[92:93]
	s_cbranch_execz .LBB36_312
; %bb.311:
	v_mov_b32_e32 v31, 0
	ds_read_b64 v[31:32], v31 offset:16120
	s_waitcnt lgkmcnt(0)
	v_mul_f64 v[11:12], v[11:12], v[31:32]
	ds_write_b64 v28, v[11:12]
.LBB36_312:
	s_or_b64 exec, exec, s[0:1]
	s_waitcnt lgkmcnt(0)
	s_barrier
	s_barrier
	s_and_saveexec_b64 s[0:1], s[10:11]
; %bb.313:
	v_xor_b32_e32 v12, 0x80000000, v12
	ds_write_b64 v26, v[11:12] offset:128
; %bb.314:
	s_or_b64 exec, exec, s[0:1]
	v_cmp_gt_u32_e64 s[14:15], 16, v0
	s_waitcnt lgkmcnt(0)
	s_barrier
	s_barrier
	s_and_b64 s[0:1], s[12:13], s[14:15]
	s_mov_b64 s[14:15], exec
                                        ; implicit-def: $vgpr41 : SGPR spill to VGPR lane
	v_writelane_b32 v42, s0, 63
	v_writelane_b32 v41, s1, 0
	s_and_b64 s[0:1], s[14:15], s[0:1]
	s_mov_b64 exec, s[0:1]
	s_cbranch_execz .LBB36_316
; %bb.315:
	v_lshlrev_b32_e32 v31, 9, v0
	ds_read_b64 v[11:12], v31 offset:128
	s_movk_i32 s0, 0xfe08
	v_mad_i32_i24 v32, v0, s0, v31
	s_waitcnt lgkmcnt(0)
	ds_write_b64 v32, v[11:12] offset:8192
	ds_read_b64 v[11:12], v31 offset:136
	s_waitcnt lgkmcnt(0)
	ds_write_b64 v32, v[11:12] offset:8704
	ds_read_b64 v[11:12], v31 offset:144
	;; [unrolled: 3-line block ×15, first 2 shown]
	s_waitcnt lgkmcnt(0)
	ds_write_b64 v32, v[11:12] offset:15872
.LBB36_316:
	s_or_b64 exec, exec, s[14:15]
	s_waitcnt lgkmcnt(0)
	s_barrier
	s_and_saveexec_b64 s[14:15], vcc
	s_cbranch_execz .LBB36_318
; %bb.317:
	v_mov_b32_e32 v11, 0
	ds_read_b128 v[31:34], v11 offset:8320
	ds_read_b64 v[11:12], v11 offset:8840
	s_movk_i32 s0, 0x2000
	s_waitcnt lgkmcnt(0)
	v_mul_f64 v[11:12], v[31:32], v[11:12]
	v_add_u32_e64 v31, s0, 0
	v_mul_f64 v[11:12], v[33:34], v[11:12]
	ds_write2_b64 v31, v[11:12], v[11:12] offset0:17 offset1:80
.LBB36_318:
	s_or_b64 exec, exec, s[14:15]
	v_mov_b32_e32 v11, 0
	v_mov_b32_e32 v12, 0
	s_waitcnt lgkmcnt(0)
	s_barrier
	s_and_saveexec_b64 s[16:17], s[2:3]
	s_cbranch_execz .LBB36_322
; %bb.319:
	v_mul_u32_u24_e32 v31, 0x208, v15
	ds_read_b64 v[11:12], v1 offset:8336
	ds_read_b64 v[31:32], v31 offset:8320
	v_cmp_gt_u32_e64 s[14:15], 2, v14
	s_waitcnt lgkmcnt(0)
	v_fma_f64 v[11:12], v[11:12], v[31:32], 0
	s_and_saveexec_b64 s[20:21], s[14:15]
	s_cbranch_execz .LBB36_321
; %bb.320:
	v_lshlrev_b32_e32 v31, 3, v0
	v_mov_b32_e32 v33, 0
	ds_read_b64 v[31:32], v31 offset:8848
	ds_read_b64 v[33:34], v33 offset:8328
	s_waitcnt lgkmcnt(0)
	v_fma_f64 v[11:12], v[31:32], v[33:34], v[11:12]
.LBB36_321:
	s_or_b64 exec, exec, s[20:21]
	v_xor_b32_e32 v12, 0x80000000, v12
.LBB36_322:
	s_or_b64 exec, exec, s[16:17]
	s_and_saveexec_b64 s[0:1], s[34:35]
	s_cbranch_execz .LBB36_324
; %bb.323:
	v_mov_b32_e32 v31, 0
	ds_read_b64 v[31:32], v31 offset:9360
	s_waitcnt lgkmcnt(0)
	v_mul_f64 v[11:12], v[11:12], v[31:32]
	ds_write_b64 v13, v[11:12]
.LBB36_324:
	s_or_b64 exec, exec, s[0:1]
	s_waitcnt lgkmcnt(0)
	s_barrier
	s_and_saveexec_b64 s[0:1], s[30:31]
	s_cbranch_execz .LBB36_326
; %bb.325:
	v_mov_b32_e32 v31, 0
	ds_read_b64 v[31:32], v31 offset:9368
	ds_read_b64 v[33:34], v13
	s_waitcnt lgkmcnt(0)
	v_fma_f64 v[11:12], v[31:32], v[33:34], v[11:12]
.LBB36_326:
	s_or_b64 exec, exec, s[0:1]
	s_barrier
	s_and_saveexec_b64 s[0:1], s[30:31]
	s_cbranch_execz .LBB36_328
; %bb.327:
	v_mov_b32_e32 v31, 0
	ds_read_b64 v[31:32], v31 offset:9880
	s_waitcnt lgkmcnt(0)
	v_mul_f64 v[11:12], v[11:12], v[31:32]
	ds_write_b64 v13, v[11:12]
.LBB36_328:
	s_or_b64 exec, exec, s[0:1]
	s_waitcnt lgkmcnt(0)
	s_barrier
	s_barrier
	s_and_saveexec_b64 s[0:1], s[2:3]
; %bb.329:
	v_xor_b32_e32 v12, 0x80000000, v12
	ds_write_b64 v1, v[11:12] offset:8336
; %bb.330:
	s_or_b64 exec, exec, s[0:1]
	s_waitcnt lgkmcnt(0)
	s_barrier
	s_barrier
	s_and_saveexec_b64 s[14:15], s[36:37]
	s_cbranch_execz .LBB36_332
; %bb.331:
	v_lshlrev_b32_e32 v31, 3, v0
	s_movk_i32 s0, 0x1f8
	v_mad_u32_u24 v32, v0, s0, v31
	ds_read_b64 v[11:12], v32 offset:8336
	s_waitcnt lgkmcnt(0)
	ds_write_b64 v31, v[11:12] offset:9344
	ds_read_b64 v[11:12], v32 offset:8344
	s_waitcnt lgkmcnt(0)
	ds_write_b64 v31, v[11:12] offset:9856
.LBB36_332:
	s_or_b64 exec, exec, s[14:15]
	s_waitcnt lgkmcnt(0)
	s_barrier
	s_and_saveexec_b64 s[14:15], vcc
	s_cbranch_execz .LBB36_334
; %bb.333:
	v_mov_b32_e32 v11, 0
	ds_read_b128 v[31:34], v11 offset:9360
	ds_read_b64 v[11:12], v11 offset:9880
	s_movk_i32 s0, 0x2000
	s_waitcnt lgkmcnt(0)
	v_mul_f64 v[11:12], v[31:32], v[11:12]
	v_add_u32_e64 v31, s0, 0
	v_mul_f64 v[11:12], v[33:34], v[11:12]
	ds_write2_b64 v31, v[11:12], v[11:12] offset0:147 offset1:210
.LBB36_334:
	s_or_b64 exec, exec, s[14:15]
	v_mov_b32_e32 v11, 0
	v_mov_b32_e32 v12, 0
	s_waitcnt lgkmcnt(0)
	s_barrier
	s_and_saveexec_b64 s[16:17], s[18:19]
	s_cbranch_execz .LBB36_340
; %bb.335:
	v_mul_u32_u24_e32 v31, 0x208, v20
	ds_read_b64 v[11:12], v16 offset:8352
	ds_read_b64 v[32:33], v31 offset:8320
	v_cmp_gt_u32_e64 s[14:15], 12, v14
	s_waitcnt lgkmcnt(0)
	v_fma_f64 v[11:12], v[11:12], v[32:33], 0
	s_and_saveexec_b64 s[20:21], s[14:15]
	s_cbranch_execnz .LBB36_1111
; %bb.336:
	s_or_b64 exec, exec, s[20:21]
	v_cmp_gt_u32_e64 s[14:15], 8, v14
	s_and_saveexec_b64 s[0:1], s[14:15]
	s_cbranch_execnz .LBB36_1112
.LBB36_337:
	s_or_b64 exec, exec, s[0:1]
	v_cmp_gt_u32_e64 s[14:15], 4, v14
	s_and_saveexec_b64 s[20:21], s[14:15]
	s_cbranch_execz .LBB36_339
.LBB36_338:
	v_lshlrev_b32_e32 v31, 3, v0
	v_mov_b32_e32 v33, 0
	ds_read_b64 v[31:32], v31 offset:9888
	ds_read_b64 v[33:34], v33 offset:8344
	s_waitcnt lgkmcnt(0)
	v_fma_f64 v[11:12], v[31:32], v[33:34], v[11:12]
.LBB36_339:
	s_or_b64 exec, exec, s[20:21]
	v_xor_b32_e32 v12, 0x80000000, v12
.LBB36_340:
	s_or_b64 exec, exec, s[16:17]
	s_and_saveexec_b64 s[0:1], s[42:43]
	s_cbranch_execz .LBB36_342
; %bb.341:
	v_mov_b32_e32 v31, 0
	ds_read_b64 v[31:32], v31 offset:10400
	s_waitcnt lgkmcnt(0)
	v_mul_f64 v[11:12], v[11:12], v[31:32]
	ds_write_b64 v18, v[11:12]
.LBB36_342:
	s_or_b64 exec, exec, s[0:1]
	s_waitcnt lgkmcnt(0)
	s_barrier
	s_and_saveexec_b64 s[0:1], s[44:45]
	s_cbranch_execz .LBB36_344
; %bb.343:
	ds_read_b64 v[31:32], v17 offset:10400
	ds_read_b64 v[33:34], v18
	s_waitcnt lgkmcnt(0)
	v_fma_f64 v[11:12], v[31:32], v[33:34], v[11:12]
.LBB36_344:
	s_or_b64 exec, exec, s[0:1]
	s_barrier
	s_and_saveexec_b64 s[0:1], s[52:53]
	s_cbranch_execz .LBB36_346
; %bb.345:
	v_mov_b32_e32 v31, 0
	ds_read_b64 v[31:32], v31 offset:10920
	s_waitcnt lgkmcnt(0)
	v_mul_f64 v[11:12], v[11:12], v[31:32]
	ds_write_b64 v18, v[11:12]
.LBB36_346:
	s_or_b64 exec, exec, s[0:1]
	s_waitcnt lgkmcnt(0)
	s_barrier
	s_and_saveexec_b64 s[0:1], s[54:55]
	s_cbranch_execz .LBB36_348
; %bb.347:
	ds_read_b64 v[31:32], v17 offset:10912
	ds_read_b64 v[33:34], v18
	s_waitcnt lgkmcnt(0)
	v_fma_f64 v[11:12], v[31:32], v[33:34], v[11:12]
.LBB36_348:
	s_or_b64 exec, exec, s[0:1]
	s_barrier
	s_and_saveexec_b64 s[0:1], s[56:57]
	s_cbranch_execz .LBB36_350
; %bb.349:
	v_mov_b32_e32 v31, 0
	ds_read_b64 v[31:32], v31 offset:11440
	s_waitcnt lgkmcnt(0)
	v_mul_f64 v[11:12], v[11:12], v[31:32]
	ds_write_b64 v18, v[11:12]
.LBB36_350:
	s_or_b64 exec, exec, s[0:1]
	s_waitcnt lgkmcnt(0)
	s_barrier
	s_and_saveexec_b64 s[0:1], s[38:39]
	s_cbranch_execz .LBB36_352
; %bb.351:
	v_mov_b32_e32 v31, 0
	ds_read_b64 v[31:32], v31 offset:11448
	ds_read_b64 v[33:34], v18
	s_waitcnt lgkmcnt(0)
	v_fma_f64 v[11:12], v[31:32], v[33:34], v[11:12]
.LBB36_352:
	s_or_b64 exec, exec, s[0:1]
	s_barrier
	s_and_saveexec_b64 s[0:1], s[38:39]
	s_cbranch_execz .LBB36_354
; %bb.353:
	v_mov_b32_e32 v31, 0
	ds_read_b64 v[31:32], v31 offset:11960
	s_waitcnt lgkmcnt(0)
	v_mul_f64 v[11:12], v[11:12], v[31:32]
	ds_write_b64 v18, v[11:12]
.LBB36_354:
	s_or_b64 exec, exec, s[0:1]
	s_waitcnt lgkmcnt(0)
	s_barrier
	s_barrier
	s_and_saveexec_b64 s[0:1], s[18:19]
; %bb.355:
	v_xor_b32_e32 v12, 0x80000000, v12
	ds_write_b64 v16, v[11:12] offset:8352
; %bb.356:
	s_or_b64 exec, exec, s[0:1]
	s_waitcnt lgkmcnt(0)
	s_barrier
	s_barrier
	s_and_saveexec_b64 s[14:15], s[58:59]
	s_cbranch_execz .LBB36_358
; %bb.357:
	v_lshlrev_b32_e32 v31, 9, v0
	ds_read_b64 v[11:12], v31 offset:8352
	s_movk_i32 s0, 0xfe08
	v_mad_i32_i24 v32, v0, s0, v31
	s_waitcnt lgkmcnt(0)
	ds_write_b64 v32, v[11:12] offset:10368
	ds_read_b64 v[11:12], v31 offset:8360
	s_waitcnt lgkmcnt(0)
	ds_write_b64 v32, v[11:12] offset:10880
	ds_read_b64 v[11:12], v31 offset:8368
	s_waitcnt lgkmcnt(0)
	ds_write_b64 v32, v[11:12] offset:11392
	ds_read_b64 v[11:12], v31 offset:8376
	s_waitcnt lgkmcnt(0)
	ds_write_b64 v32, v[11:12] offset:11904
.LBB36_358:
	s_or_b64 exec, exec, s[14:15]
	s_waitcnt lgkmcnt(0)
	s_barrier
	s_and_saveexec_b64 s[14:15], vcc
	s_cbranch_execz .LBB36_360
; %bb.359:
	v_mov_b32_e32 v11, 0
	ds_read_b128 v[31:34], v11 offset:10400
	ds_read_b64 v[11:12], v11 offset:10920
	s_movk_i32 s0, 0x2800
	s_waitcnt lgkmcnt(0)
	v_mul_f64 v[11:12], v[31:32], v[11:12]
	v_add_u32_e64 v31, s0, 0
	v_mul_f64 v[11:12], v[33:34], v[11:12]
	ds_write2_b64 v31, v[11:12], v[11:12] offset0:21 offset1:84
.LBB36_360:
	s_or_b64 exec, exec, s[14:15]
	v_mov_b32_e32 v11, 0
	v_mov_b32_e32 v12, 0
	s_waitcnt lgkmcnt(0)
	s_barrier
	s_and_saveexec_b64 s[16:17], s[2:3]
	s_cbranch_execz .LBB36_364
; %bb.361:
	v_mul_u32_u24_e32 v31, 0x208, v15
	ds_read_b64 v[11:12], v1 offset:10416
	ds_read_b64 v[31:32], v31 offset:10400
	v_cmp_gt_u32_e64 s[14:15], 2, v14
	s_waitcnt lgkmcnt(0)
	v_fma_f64 v[11:12], v[11:12], v[31:32], 0
	s_and_saveexec_b64 s[20:21], s[14:15]
	s_cbranch_execz .LBB36_363
; %bb.362:
	v_lshlrev_b32_e32 v31, 3, v0
	v_mov_b32_e32 v33, 0
	ds_read_b64 v[31:32], v31 offset:10928
	ds_read_b64 v[33:34], v33 offset:10408
	s_waitcnt lgkmcnt(0)
	v_fma_f64 v[11:12], v[31:32], v[33:34], v[11:12]
.LBB36_363:
	s_or_b64 exec, exec, s[20:21]
	v_xor_b32_e32 v12, 0x80000000, v12
.LBB36_364:
	s_or_b64 exec, exec, s[16:17]
	s_and_saveexec_b64 s[0:1], s[34:35]
	s_cbranch_execz .LBB36_366
; %bb.365:
	v_mov_b32_e32 v31, 0
	ds_read_b64 v[31:32], v31 offset:11440
	s_waitcnt lgkmcnt(0)
	v_mul_f64 v[11:12], v[11:12], v[31:32]
	ds_write_b64 v13, v[11:12]
.LBB36_366:
	s_or_b64 exec, exec, s[0:1]
	s_waitcnt lgkmcnt(0)
	s_barrier
	s_and_saveexec_b64 s[0:1], s[30:31]
	s_cbranch_execz .LBB36_368
; %bb.367:
	v_mov_b32_e32 v31, 0
	ds_read_b64 v[31:32], v31 offset:11448
	ds_read_b64 v[33:34], v13
	s_waitcnt lgkmcnt(0)
	v_fma_f64 v[11:12], v[31:32], v[33:34], v[11:12]
.LBB36_368:
	s_or_b64 exec, exec, s[0:1]
	s_barrier
	s_and_saveexec_b64 s[0:1], s[30:31]
	s_cbranch_execz .LBB36_370
; %bb.369:
	v_mov_b32_e32 v31, 0
	ds_read_b64 v[31:32], v31 offset:11960
	s_waitcnt lgkmcnt(0)
	v_mul_f64 v[11:12], v[11:12], v[31:32]
	ds_write_b64 v13, v[11:12]
.LBB36_370:
	s_or_b64 exec, exec, s[0:1]
	s_waitcnt lgkmcnt(0)
	s_barrier
	s_barrier
	s_and_saveexec_b64 s[0:1], s[2:3]
; %bb.371:
	v_xor_b32_e32 v12, 0x80000000, v12
	ds_write_b64 v1, v[11:12] offset:10416
; %bb.372:
	s_or_b64 exec, exec, s[0:1]
	s_waitcnt lgkmcnt(0)
	s_barrier
	s_barrier
	s_and_saveexec_b64 s[14:15], s[36:37]
	s_cbranch_execz .LBB36_374
; %bb.373:
	v_lshlrev_b32_e32 v31, 3, v0
	s_movk_i32 s0, 0x1f8
	v_mad_u32_u24 v32, v0, s0, v31
	ds_read_b64 v[11:12], v32 offset:10416
	s_waitcnt lgkmcnt(0)
	ds_write_b64 v31, v[11:12] offset:11424
	ds_read_b64 v[11:12], v32 offset:10424
	s_waitcnt lgkmcnt(0)
	ds_write_b64 v31, v[11:12] offset:11936
.LBB36_374:
	s_or_b64 exec, exec, s[14:15]
	s_waitcnt lgkmcnt(0)
	s_barrier
	s_and_saveexec_b64 s[14:15], vcc
	s_cbranch_execz .LBB36_376
; %bb.375:
	v_mov_b32_e32 v11, 0
	ds_read_b128 v[31:34], v11 offset:11440
	ds_read_b64 v[11:12], v11 offset:11960
	s_movk_i32 s0, 0x2800
	s_waitcnt lgkmcnt(0)
	v_mul_f64 v[11:12], v[31:32], v[11:12]
	v_add_u32_e64 v31, s0, 0
	v_mul_f64 v[11:12], v[33:34], v[11:12]
	ds_write2_b64 v31, v[11:12], v[11:12] offset0:151 offset1:214
.LBB36_376:
	s_or_b64 exec, exec, s[14:15]
	v_mov_b32_e32 v11, 0
	v_mov_b32_e32 v12, 0
	s_waitcnt lgkmcnt(0)
	s_barrier
	s_and_saveexec_b64 s[16:17], s[8:9]
	s_cbranch_execz .LBB36_386
; %bb.377:
	v_mul_u32_u24_e32 v31, 0x208, v25
	ds_read_b64 v[11:12], v21 offset:8384
	ds_read_b64 v[32:33], v31 offset:8320
	v_cmp_gt_u32_e64 s[14:15], 56, v14
	s_waitcnt lgkmcnt(0)
	v_fma_f64 v[11:12], v[11:12], v[32:33], 0
	s_and_saveexec_b64 s[20:21], s[14:15]
	s_cbranch_execnz .LBB36_1113
; %bb.378:
	s_or_b64 exec, exec, s[20:21]
	v_cmp_gt_u32_e64 s[14:15], 48, v14
	s_and_saveexec_b64 s[20:21], s[14:15]
	s_cbranch_execnz .LBB36_1114
.LBB36_379:
	s_or_b64 exec, exec, s[20:21]
	v_cmp_gt_u32_e64 s[14:15], 40, v14
	s_and_saveexec_b64 s[20:21], s[14:15]
	s_cbranch_execnz .LBB36_1115
.LBB36_380:
	s_or_b64 exec, exec, s[20:21]
	v_cmp_gt_u32_e64 s[14:15], 32, v14
	s_and_saveexec_b64 s[0:1], s[14:15]
	s_cbranch_execnz .LBB36_1116
.LBB36_381:
	s_or_b64 exec, exec, s[0:1]
	v_cmp_gt_u32_e64 s[14:15], 24, v14
	s_and_saveexec_b64 s[20:21], s[14:15]
	s_cbranch_execnz .LBB36_1117
.LBB36_382:
	s_or_b64 exec, exec, s[20:21]
	v_cmp_gt_u32_e64 s[14:15], 16, v14
	s_and_saveexec_b64 s[0:1], s[14:15]
	s_cbranch_execnz .LBB36_1118
.LBB36_383:
	s_or_b64 exec, exec, s[0:1]
	v_cmp_gt_u32_e64 s[14:15], 8, v14
	s_and_saveexec_b64 s[20:21], s[14:15]
	s_cbranch_execz .LBB36_385
.LBB36_384:
	v_lshlrev_b32_e32 v31, 3, v0
	v_mov_b32_e32 v33, 0
	ds_read_b64 v[31:32], v31 offset:11968
	ds_read_b64 v[33:34], v33 offset:8376
	s_waitcnt lgkmcnt(0)
	v_fma_f64 v[11:12], v[31:32], v[33:34], v[11:12]
.LBB36_385:
	s_or_b64 exec, exec, s[20:21]
	v_xor_b32_e32 v12, 0x80000000, v12
.LBB36_386:
	s_or_b64 exec, exec, s[16:17]
	s_and_saveexec_b64 s[0:1], s[60:61]
	s_cbranch_execz .LBB36_388
; %bb.387:
	v_mov_b32_e32 v31, 0
	ds_read_b64 v[31:32], v31 offset:12480
	s_waitcnt lgkmcnt(0)
	v_mul_f64 v[11:12], v[11:12], v[31:32]
	ds_write_b64 v23, v[11:12]
.LBB36_388:
	s_or_b64 exec, exec, s[0:1]
	s_waitcnt lgkmcnt(0)
	s_barrier
	s_and_saveexec_b64 s[0:1], s[62:63]
	s_cbranch_execz .LBB36_390
; %bb.389:
	ds_read_b64 v[31:32], v22 offset:12480
	ds_read_b64 v[33:34], v23
	s_waitcnt lgkmcnt(0)
	v_fma_f64 v[11:12], v[31:32], v[33:34], v[11:12]
.LBB36_390:
	s_or_b64 exec, exec, s[0:1]
	s_barrier
	s_and_saveexec_b64 s[0:1], s[64:65]
	s_cbranch_execz .LBB36_392
; %bb.391:
	v_mov_b32_e32 v31, 0
	ds_read_b64 v[31:32], v31 offset:13000
	s_waitcnt lgkmcnt(0)
	v_mul_f64 v[11:12], v[11:12], v[31:32]
	ds_write_b64 v23, v[11:12]
.LBB36_392:
	s_or_b64 exec, exec, s[0:1]
	s_waitcnt lgkmcnt(0)
	s_barrier
	s_and_saveexec_b64 s[0:1], s[66:67]
	s_cbranch_execz .LBB36_394
; %bb.393:
	ds_read_b64 v[31:32], v22 offset:12992
	ds_read_b64 v[33:34], v23
	s_waitcnt lgkmcnt(0)
	v_fma_f64 v[11:12], v[31:32], v[33:34], v[11:12]
.LBB36_394:
	s_or_b64 exec, exec, s[0:1]
	s_barrier
	;; [unrolled: 22-line block ×6, first 2 shown]
	s_and_saveexec_b64 s[0:1], s[86:87]
	s_cbranch_execz .LBB36_412
; %bb.411:
	v_mov_b32_e32 v31, 0
	ds_read_b64 v[31:32], v31 offset:15600
	s_waitcnt lgkmcnt(0)
	v_mul_f64 v[11:12], v[11:12], v[31:32]
	ds_write_b64 v23, v[11:12]
.LBB36_412:
	s_or_b64 exec, exec, s[0:1]
	s_waitcnt lgkmcnt(0)
	s_barrier
	s_and_saveexec_b64 s[0:1], s[70:71]
	s_cbranch_execz .LBB36_414
; %bb.413:
	v_mov_b32_e32 v31, 0
	ds_read_b64 v[31:32], v31 offset:15608
	ds_read_b64 v[33:34], v23
	s_waitcnt lgkmcnt(0)
	v_fma_f64 v[11:12], v[31:32], v[33:34], v[11:12]
.LBB36_414:
	s_or_b64 exec, exec, s[0:1]
	s_barrier
	s_and_saveexec_b64 s[0:1], s[70:71]
	s_cbranch_execz .LBB36_416
; %bb.415:
	v_mov_b32_e32 v31, 0
	ds_read_b64 v[31:32], v31 offset:16120
	s_waitcnt lgkmcnt(0)
	v_mul_f64 v[11:12], v[11:12], v[31:32]
	ds_write_b64 v23, v[11:12]
.LBB36_416:
	s_or_b64 exec, exec, s[0:1]
	s_waitcnt lgkmcnt(0)
	s_barrier
	s_barrier
	s_and_saveexec_b64 s[0:1], s[8:9]
; %bb.417:
	v_xor_b32_e32 v12, 0x80000000, v12
	ds_write_b64 v21, v[11:12] offset:8384
; %bb.418:
	s_or_b64 exec, exec, s[0:1]
	s_waitcnt lgkmcnt(0)
	s_barrier
	s_barrier
	s_and_saveexec_b64 s[14:15], s[88:89]
	s_cbranch_execz .LBB36_420
; %bb.419:
	v_lshlrev_b32_e32 v31, 9, v0
	ds_read_b64 v[11:12], v31 offset:8384
	s_movk_i32 s0, 0xfe08
	v_mad_i32_i24 v32, v0, s0, v31
	s_waitcnt lgkmcnt(0)
	ds_write_b64 v32, v[11:12] offset:12416
	ds_read_b64 v[11:12], v31 offset:8392
	s_waitcnt lgkmcnt(0)
	ds_write_b64 v32, v[11:12] offset:12928
	ds_read_b64 v[11:12], v31 offset:8400
	;; [unrolled: 3-line block ×7, first 2 shown]
	s_waitcnt lgkmcnt(0)
	ds_write_b64 v32, v[11:12] offset:16000
.LBB36_420:
	s_or_b64 exec, exec, s[14:15]
	s_waitcnt lgkmcnt(0)
	s_barrier
	s_and_saveexec_b64 s[14:15], vcc
	s_cbranch_execz .LBB36_422
; %bb.421:
	v_mov_b32_e32 v11, 0
	ds_read_b128 v[31:34], v11 offset:12480
	ds_read_b64 v[11:12], v11 offset:13000
	s_movk_i32 s0, 0x3000
	s_waitcnt lgkmcnt(0)
	v_mul_f64 v[11:12], v[31:32], v[11:12]
	v_add_u32_e64 v31, s0, 0
	v_mul_f64 v[11:12], v[33:34], v[11:12]
	ds_write2_b64 v31, v[11:12], v[11:12] offset0:25 offset1:88
.LBB36_422:
	s_or_b64 exec, exec, s[14:15]
	v_mov_b32_e32 v11, 0
	v_mov_b32_e32 v12, 0
	s_waitcnt lgkmcnt(0)
	s_barrier
	s_and_saveexec_b64 s[16:17], s[2:3]
	s_cbranch_execz .LBB36_426
; %bb.423:
	v_mul_u32_u24_e32 v31, 0x208, v15
	ds_read_b64 v[11:12], v1 offset:12496
	ds_read_b64 v[31:32], v31 offset:12480
	v_cmp_gt_u32_e64 s[14:15], 2, v14
	s_waitcnt lgkmcnt(0)
	v_fma_f64 v[11:12], v[11:12], v[31:32], 0
	s_and_saveexec_b64 s[20:21], s[14:15]
	s_cbranch_execz .LBB36_425
; %bb.424:
	v_lshlrev_b32_e32 v31, 3, v0
	v_mov_b32_e32 v33, 0
	ds_read_b64 v[31:32], v31 offset:13008
	ds_read_b64 v[33:34], v33 offset:12488
	s_waitcnt lgkmcnt(0)
	v_fma_f64 v[11:12], v[31:32], v[33:34], v[11:12]
.LBB36_425:
	s_or_b64 exec, exec, s[20:21]
	v_xor_b32_e32 v12, 0x80000000, v12
.LBB36_426:
	s_or_b64 exec, exec, s[16:17]
	s_and_saveexec_b64 s[0:1], s[34:35]
	s_cbranch_execz .LBB36_428
; %bb.427:
	v_mov_b32_e32 v31, 0
	ds_read_b64 v[31:32], v31 offset:13520
	s_waitcnt lgkmcnt(0)
	v_mul_f64 v[11:12], v[11:12], v[31:32]
	ds_write_b64 v13, v[11:12]
.LBB36_428:
	s_or_b64 exec, exec, s[0:1]
	s_waitcnt lgkmcnt(0)
	s_barrier
	s_and_saveexec_b64 s[0:1], s[30:31]
	s_cbranch_execz .LBB36_430
; %bb.429:
	v_mov_b32_e32 v31, 0
	ds_read_b64 v[31:32], v31 offset:13528
	ds_read_b64 v[33:34], v13
	s_waitcnt lgkmcnt(0)
	v_fma_f64 v[11:12], v[31:32], v[33:34], v[11:12]
.LBB36_430:
	s_or_b64 exec, exec, s[0:1]
	s_barrier
	s_and_saveexec_b64 s[0:1], s[30:31]
	s_cbranch_execz .LBB36_432
; %bb.431:
	v_mov_b32_e32 v31, 0
	ds_read_b64 v[31:32], v31 offset:14040
	s_waitcnt lgkmcnt(0)
	v_mul_f64 v[11:12], v[11:12], v[31:32]
	ds_write_b64 v13, v[11:12]
.LBB36_432:
	s_or_b64 exec, exec, s[0:1]
	s_waitcnt lgkmcnt(0)
	s_barrier
	s_barrier
	s_and_saveexec_b64 s[0:1], s[2:3]
; %bb.433:
	v_xor_b32_e32 v12, 0x80000000, v12
	ds_write_b64 v1, v[11:12] offset:12496
; %bb.434:
	s_or_b64 exec, exec, s[0:1]
	s_waitcnt lgkmcnt(0)
	s_barrier
	s_barrier
	s_and_saveexec_b64 s[14:15], s[36:37]
	s_cbranch_execz .LBB36_436
; %bb.435:
	v_lshlrev_b32_e32 v31, 3, v0
	s_movk_i32 s0, 0x1f8
	v_mad_u32_u24 v32, v0, s0, v31
	ds_read_b64 v[11:12], v32 offset:12496
	s_waitcnt lgkmcnt(0)
	ds_write_b64 v31, v[11:12] offset:13504
	ds_read_b64 v[11:12], v32 offset:12504
	s_waitcnt lgkmcnt(0)
	ds_write_b64 v31, v[11:12] offset:14016
.LBB36_436:
	s_or_b64 exec, exec, s[14:15]
	s_waitcnt lgkmcnt(0)
	s_barrier
	s_and_saveexec_b64 s[14:15], vcc
	s_cbranch_execz .LBB36_438
; %bb.437:
	v_mov_b32_e32 v11, 0
	ds_read_b128 v[31:34], v11 offset:13520
	ds_read_b64 v[11:12], v11 offset:14040
	s_movk_i32 s0, 0x3000
	s_waitcnt lgkmcnt(0)
	v_mul_f64 v[11:12], v[31:32], v[11:12]
	v_add_u32_e64 v31, s0, 0
	v_mul_f64 v[11:12], v[33:34], v[11:12]
	ds_write2_b64 v31, v[11:12], v[11:12] offset0:155 offset1:218
.LBB36_438:
	s_or_b64 exec, exec, s[14:15]
	v_mov_b32_e32 v11, 0
	v_mov_b32_e32 v12, 0
	s_waitcnt lgkmcnt(0)
	s_barrier
	s_and_saveexec_b64 s[16:17], s[18:19]
	s_cbranch_execz .LBB36_444
; %bb.439:
	v_mul_u32_u24_e32 v31, 0x208, v20
	ds_read_b64 v[11:12], v16 offset:12512
	ds_read_b64 v[32:33], v31 offset:12480
	v_cmp_gt_u32_e64 s[14:15], 12, v14
	s_waitcnt lgkmcnt(0)
	v_fma_f64 v[11:12], v[11:12], v[32:33], 0
	s_and_saveexec_b64 s[20:21], s[14:15]
	s_cbranch_execnz .LBB36_1119
; %bb.440:
	s_or_b64 exec, exec, s[20:21]
	v_cmp_gt_u32_e64 s[14:15], 8, v14
	s_and_saveexec_b64 s[0:1], s[14:15]
	s_cbranch_execnz .LBB36_1120
.LBB36_441:
	s_or_b64 exec, exec, s[0:1]
	v_cmp_gt_u32_e64 s[14:15], 4, v14
	s_and_saveexec_b64 s[20:21], s[14:15]
	s_cbranch_execz .LBB36_443
.LBB36_442:
	v_lshlrev_b32_e32 v31, 3, v0
	v_mov_b32_e32 v33, 0
	ds_read_b64 v[31:32], v31 offset:14048
	ds_read_b64 v[33:34], v33 offset:12504
	s_waitcnt lgkmcnt(0)
	v_fma_f64 v[11:12], v[31:32], v[33:34], v[11:12]
.LBB36_443:
	s_or_b64 exec, exec, s[20:21]
	v_xor_b32_e32 v12, 0x80000000, v12
.LBB36_444:
	s_or_b64 exec, exec, s[16:17]
	s_and_saveexec_b64 s[0:1], s[42:43]
	s_cbranch_execz .LBB36_446
; %bb.445:
	v_mov_b32_e32 v31, 0
	ds_read_b64 v[31:32], v31 offset:14560
	s_waitcnt lgkmcnt(0)
	v_mul_f64 v[11:12], v[11:12], v[31:32]
	ds_write_b64 v18, v[11:12]
.LBB36_446:
	s_or_b64 exec, exec, s[0:1]
	s_waitcnt lgkmcnt(0)
	s_barrier
	s_and_saveexec_b64 s[0:1], s[44:45]
	s_cbranch_execz .LBB36_448
; %bb.447:
	ds_read_b64 v[31:32], v17 offset:14560
	ds_read_b64 v[33:34], v18
	s_waitcnt lgkmcnt(0)
	v_fma_f64 v[11:12], v[31:32], v[33:34], v[11:12]
.LBB36_448:
	s_or_b64 exec, exec, s[0:1]
	s_barrier
	s_and_saveexec_b64 s[0:1], s[52:53]
	s_cbranch_execz .LBB36_450
; %bb.449:
	v_mov_b32_e32 v31, 0
	ds_read_b64 v[31:32], v31 offset:15080
	s_waitcnt lgkmcnt(0)
	v_mul_f64 v[11:12], v[11:12], v[31:32]
	ds_write_b64 v18, v[11:12]
.LBB36_450:
	s_or_b64 exec, exec, s[0:1]
	s_waitcnt lgkmcnt(0)
	s_barrier
	s_and_saveexec_b64 s[0:1], s[54:55]
	s_cbranch_execz .LBB36_452
; %bb.451:
	ds_read_b64 v[31:32], v17 offset:15072
	ds_read_b64 v[33:34], v18
	s_waitcnt lgkmcnt(0)
	v_fma_f64 v[11:12], v[31:32], v[33:34], v[11:12]
.LBB36_452:
	s_or_b64 exec, exec, s[0:1]
	s_barrier
	s_and_saveexec_b64 s[0:1], s[56:57]
	s_cbranch_execz .LBB36_454
; %bb.453:
	v_mov_b32_e32 v31, 0
	ds_read_b64 v[31:32], v31 offset:15600
	s_waitcnt lgkmcnt(0)
	v_mul_f64 v[11:12], v[11:12], v[31:32]
	ds_write_b64 v18, v[11:12]
.LBB36_454:
	s_or_b64 exec, exec, s[0:1]
	s_waitcnt lgkmcnt(0)
	s_barrier
	s_and_saveexec_b64 s[0:1], s[38:39]
	s_cbranch_execz .LBB36_456
; %bb.455:
	v_mov_b32_e32 v31, 0
	ds_read_b64 v[31:32], v31 offset:15608
	ds_read_b64 v[33:34], v18
	s_waitcnt lgkmcnt(0)
	v_fma_f64 v[11:12], v[31:32], v[33:34], v[11:12]
.LBB36_456:
	s_or_b64 exec, exec, s[0:1]
	s_barrier
	s_and_saveexec_b64 s[0:1], s[38:39]
	s_cbranch_execz .LBB36_458
; %bb.457:
	v_mov_b32_e32 v31, 0
	ds_read_b64 v[31:32], v31 offset:16120
	s_waitcnt lgkmcnt(0)
	v_mul_f64 v[11:12], v[11:12], v[31:32]
	ds_write_b64 v18, v[11:12]
.LBB36_458:
	s_or_b64 exec, exec, s[0:1]
	s_waitcnt lgkmcnt(0)
	s_barrier
	s_barrier
	s_and_saveexec_b64 s[0:1], s[18:19]
; %bb.459:
	v_xor_b32_e32 v12, 0x80000000, v12
	ds_write_b64 v16, v[11:12] offset:12512
; %bb.460:
	s_or_b64 exec, exec, s[0:1]
	s_waitcnt lgkmcnt(0)
	s_barrier
	s_barrier
	s_and_saveexec_b64 s[14:15], s[58:59]
	s_cbranch_execz .LBB36_462
; %bb.461:
	v_lshlrev_b32_e32 v31, 9, v0
	ds_read_b64 v[11:12], v31 offset:12512
	s_movk_i32 s0, 0xfe08
	v_mad_i32_i24 v32, v0, s0, v31
	s_waitcnt lgkmcnt(0)
	ds_write_b64 v32, v[11:12] offset:14528
	ds_read_b64 v[11:12], v31 offset:12520
	s_waitcnt lgkmcnt(0)
	ds_write_b64 v32, v[11:12] offset:15040
	ds_read_b64 v[11:12], v31 offset:12528
	;; [unrolled: 3-line block ×3, first 2 shown]
	s_waitcnt lgkmcnt(0)
	ds_write_b64 v32, v[11:12] offset:16064
.LBB36_462:
	s_or_b64 exec, exec, s[14:15]
	s_waitcnt lgkmcnt(0)
	s_barrier
	s_and_saveexec_b64 s[14:15], vcc
	s_cbranch_execz .LBB36_464
; %bb.463:
	v_mov_b32_e32 v11, 0
	ds_read_b128 v[31:34], v11 offset:14560
	ds_read_b64 v[11:12], v11 offset:15080
	s_movk_i32 s0, 0x3800
	s_waitcnt lgkmcnt(0)
	v_mul_f64 v[11:12], v[31:32], v[11:12]
	v_add_u32_e64 v31, s0, 0
	v_mul_f64 v[11:12], v[33:34], v[11:12]
	ds_write2_b64 v31, v[11:12], v[11:12] offset0:29 offset1:92
.LBB36_464:
	s_or_b64 exec, exec, s[14:15]
	v_mov_b32_e32 v11, 0
	v_mov_b32_e32 v12, 0
	s_waitcnt lgkmcnt(0)
	s_barrier
	s_and_saveexec_b64 s[16:17], s[2:3]
	s_cbranch_execz .LBB36_468
; %bb.465:
	v_mul_u32_u24_e32 v31, 0x208, v15
	ds_read_b64 v[11:12], v1 offset:14576
	ds_read_b64 v[31:32], v31 offset:14560
	v_cmp_gt_u32_e64 s[14:15], 2, v14
	s_waitcnt lgkmcnt(0)
	v_fma_f64 v[11:12], v[11:12], v[31:32], 0
	s_and_saveexec_b64 s[20:21], s[14:15]
	s_cbranch_execz .LBB36_467
; %bb.466:
	v_lshlrev_b32_e32 v31, 3, v0
	v_mov_b32_e32 v33, 0
	ds_read_b64 v[31:32], v31 offset:15088
	ds_read_b64 v[33:34], v33 offset:14568
	s_waitcnt lgkmcnt(0)
	v_fma_f64 v[11:12], v[31:32], v[33:34], v[11:12]
.LBB36_467:
	s_or_b64 exec, exec, s[20:21]
	v_xor_b32_e32 v12, 0x80000000, v12
.LBB36_468:
	s_or_b64 exec, exec, s[16:17]
	s_and_saveexec_b64 s[0:1], s[34:35]
	s_cbranch_execz .LBB36_470
; %bb.469:
	v_mov_b32_e32 v31, 0
	ds_read_b64 v[31:32], v31 offset:15600
	s_waitcnt lgkmcnt(0)
	v_mul_f64 v[11:12], v[11:12], v[31:32]
	ds_write_b64 v13, v[11:12]
.LBB36_470:
	s_or_b64 exec, exec, s[0:1]
	s_waitcnt lgkmcnt(0)
	s_barrier
	s_and_saveexec_b64 s[0:1], s[30:31]
	s_cbranch_execz .LBB36_472
; %bb.471:
	v_mov_b32_e32 v31, 0
	ds_read_b64 v[31:32], v31 offset:15608
	ds_read_b64 v[33:34], v13
	s_waitcnt lgkmcnt(0)
	v_fma_f64 v[11:12], v[31:32], v[33:34], v[11:12]
.LBB36_472:
	s_or_b64 exec, exec, s[0:1]
	s_barrier
	s_and_saveexec_b64 s[0:1], s[30:31]
	s_cbranch_execz .LBB36_474
; %bb.473:
	v_mov_b32_e32 v31, 0
	ds_read_b64 v[31:32], v31 offset:16120
	s_waitcnt lgkmcnt(0)
	v_mul_f64 v[11:12], v[11:12], v[31:32]
	ds_write_b64 v13, v[11:12]
.LBB36_474:
	s_or_b64 exec, exec, s[0:1]
	s_waitcnt lgkmcnt(0)
	s_barrier
	s_barrier
	s_and_saveexec_b64 s[0:1], s[2:3]
; %bb.475:
	v_xor_b32_e32 v12, 0x80000000, v12
	ds_write_b64 v1, v[11:12] offset:14576
; %bb.476:
	s_or_b64 exec, exec, s[0:1]
	s_waitcnt lgkmcnt(0)
	s_barrier
	s_barrier
	s_and_saveexec_b64 s[14:15], s[36:37]
	s_cbranch_execz .LBB36_478
; %bb.477:
	v_lshlrev_b32_e32 v31, 3, v0
	s_movk_i32 s0, 0x1f8
	v_mad_u32_u24 v32, v0, s0, v31
	ds_read_b64 v[11:12], v32 offset:14576
	s_waitcnt lgkmcnt(0)
	ds_write_b64 v31, v[11:12] offset:15584
	ds_read_b64 v[11:12], v32 offset:14584
	s_waitcnt lgkmcnt(0)
	ds_write_b64 v31, v[11:12] offset:16096
.LBB36_478:
	s_or_b64 exec, exec, s[14:15]
	s_waitcnt lgkmcnt(0)
	s_barrier
	s_and_saveexec_b64 s[14:15], vcc
	s_cbranch_execz .LBB36_480
; %bb.479:
	v_mov_b32_e32 v11, 0
	ds_read_b128 v[31:34], v11 offset:15600
	ds_read_b64 v[11:12], v11 offset:16120
	s_movk_i32 s0, 0x3800
	s_waitcnt lgkmcnt(0)
	v_mul_f64 v[11:12], v[31:32], v[11:12]
	v_add_u32_e64 v31, s0, 0
	v_mul_f64 v[11:12], v[33:34], v[11:12]
	ds_write2_b64 v31, v[11:12], v[11:12] offset0:159 offset1:222
.LBB36_480:
	s_or_b64 exec, exec, s[14:15]
	v_and_b32_e32 v32, 31, v0
	v_lshrrev_b32_e32 v33, 5, v14
	s_movk_i32 s0, 0x3ff
	v_lshlrev_b32_e32 v11, 3, v32
	v_cmp_lt_u32_e64 s[16:17], s0, v14
	s_movk_i32 s0, 0x400
	v_lshl_or_b32 v31, v33, 9, v11
	v_mov_b32_e32 v11, 0
	v_cmp_gt_u32_e64 s[14:15], s0, v14
	v_mov_b32_e32 v12, 0
	s_waitcnt lgkmcnt(0)
	s_barrier
	s_and_saveexec_b64 s[28:29], s[14:15]
	s_cbranch_execz .LBB36_542
; %bb.481:
	v_mul_u32_u24_e32 v34, 0x208, v33
	ds_read_b64 v[11:12], v31 offset:256
	ds_read_b64 v[35:36], v34
	s_movk_i32 s0, 0x3e0
	v_cmp_gt_u32_e64 s[20:21], s0, v14
	s_waitcnt lgkmcnt(0)
	v_fma_f64 v[11:12], v[11:12], v[35:36], 0
	s_and_saveexec_b64 s[0:1], s[20:21]
	s_cbranch_execz .LBB36_483
; %bb.482:
	ds_read_b64 v[35:36], v31 offset:768
	ds_read_b64 v[37:38], v34 offset:8
	s_waitcnt lgkmcnt(0)
	v_fma_f64 v[11:12], v[35:36], v[37:38], v[11:12]
.LBB36_483:
	s_or_b64 exec, exec, s[0:1]
	s_movk_i32 s0, 0x3c0
	v_cmp_gt_u32_e64 s[20:21], s0, v14
	s_and_saveexec_b64 s[0:1], s[20:21]
	s_cbranch_execz .LBB36_485
; %bb.484:
	ds_read_b64 v[35:36], v31 offset:1280
	ds_read_b64 v[37:38], v34 offset:16
	s_waitcnt lgkmcnt(0)
	v_fma_f64 v[11:12], v[35:36], v[37:38], v[11:12]
.LBB36_485:
	s_or_b64 exec, exec, s[0:1]
	s_movk_i32 s0, 0x3a0
	v_cmp_gt_u32_e64 s[20:21], s0, v14
	;; [unrolled: 11-line block ×28, first 2 shown]
	s_and_saveexec_b64 s[0:1], s[20:21]
	s_cbranch_execnz .LBB36_1121
; %bb.538:
	s_or_b64 exec, exec, s[0:1]
	v_cmp_gt_u32_e64 s[20:21], 64, v14
	s_and_saveexec_b64 s[0:1], s[20:21]
	s_cbranch_execnz .LBB36_1122
.LBB36_539:
	s_or_b64 exec, exec, s[0:1]
	v_cmp_gt_u32_e64 s[20:21], 32, v14
	s_and_saveexec_b64 s[0:1], s[20:21]
	s_cbranch_execz .LBB36_541
.LBB36_540:
	v_lshlrev_b32_e32 v34, 3, v0
	v_mov_b32_e32 v36, 0
	ds_read_b64 v[34:35], v34 offset:16128
	ds_read_b64 v[36:37], v36 offset:248
	s_waitcnt lgkmcnt(0)
	v_fma_f64 v[11:12], v[34:35], v[36:37], v[11:12]
.LBB36_541:
	s_or_b64 exec, exec, s[0:1]
	v_xor_b32_e32 v12, 0x80000000, v12
.LBB36_542:
	s_or_b64 exec, exec, s[28:29]
	v_mov_b32_e32 v34, 0x8000
	v_lshl_or_b32 v33, v33, 3, v34
	v_mul_u32_u24_e32 v34, 0x208, v32
	v_lshlrev_b32_e32 v35, 9, v32
	v_sub_u32_e32 v35, v34, v35
	v_add_u32_e32 v35, 0x4100, v35
	s_mov_b32 s28, 0
	s_xor_b64 s[20:21], s[16:17], -1
	v_mov_b32_e32 v36, v32
	s_branch .LBB36_544
.LBB36_543:                             ;   in Loop: Header=BB36_544 Depth=1
	s_or_b64 exec, exec, s[0:1]
	s_add_i32 s28, s28, 4
	v_add_u32_e32 v35, 0x800, v35
	s_cmp_eq_u32 s28, 32
	v_add_u32_e32 v36, -4, v36
	s_barrier
	s_cbranch_scc1 .LBB36_560
.LBB36_544:                             ; =>This Inner Loop Header: Depth=1
	v_cmp_eq_u32_e64 s[16:17], 0, v36
	s_and_b64 s[16:17], s[20:21], s[16:17]
	s_and_saveexec_b64 s[0:1], s[16:17]
	s_cbranch_execz .LBB36_546
; %bb.545:                              ;   in Loop: Header=BB36_544 Depth=1
	ds_read_b64 v[37:38], v34 offset:16640
	s_waitcnt lgkmcnt(0)
	v_mul_f64 v[11:12], v[11:12], v[37:38]
	ds_write_b64 v33, v[11:12]
.LBB36_546:                             ;   in Loop: Header=BB36_544 Depth=1
	s_or_b64 exec, exec, s[0:1]
	v_cmp_lt_u32_e64 s[16:17], s28, v32
	s_and_b64 s[16:17], s[20:21], s[16:17]
	s_waitcnt lgkmcnt(0)
	s_barrier
	s_and_saveexec_b64 s[0:1], s[16:17]
	s_cbranch_execz .LBB36_548
; %bb.547:                              ;   in Loop: Header=BB36_544 Depth=1
	ds_read_b64 v[37:38], v35
	ds_read_b64 v[39:40], v33
	s_waitcnt lgkmcnt(0)
	v_fma_f64 v[11:12], v[37:38], v[39:40], v[11:12]
.LBB36_548:                             ;   in Loop: Header=BB36_544 Depth=1
	s_or_b64 exec, exec, s[0:1]
	s_or_b32 s29, s28, 1
	v_cmp_eq_u32_e64 s[16:17], s29, v32
	s_and_b64 s[16:17], s[20:21], s[16:17]
	s_barrier
	s_and_saveexec_b64 s[0:1], s[16:17]
	s_cbranch_execz .LBB36_550
; %bb.549:                              ;   in Loop: Header=BB36_544 Depth=1
	ds_read_b64 v[37:38], v34 offset:16640
	s_waitcnt lgkmcnt(0)
	v_mul_f64 v[11:12], v[11:12], v[37:38]
	ds_write_b64 v33, v[11:12]
.LBB36_550:                             ;   in Loop: Header=BB36_544 Depth=1
	s_or_b64 exec, exec, s[0:1]
	v_cmp_lt_u32_e64 s[16:17], s29, v32
	s_and_b64 s[16:17], s[20:21], s[16:17]
	s_waitcnt lgkmcnt(0)
	s_barrier
	s_and_saveexec_b64 s[0:1], s[16:17]
	s_cbranch_execz .LBB36_552
; %bb.551:                              ;   in Loop: Header=BB36_544 Depth=1
	ds_read_b64 v[37:38], v35 offset:512
	ds_read_b64 v[39:40], v33
	s_waitcnt lgkmcnt(0)
	v_fma_f64 v[11:12], v[37:38], v[39:40], v[11:12]
.LBB36_552:                             ;   in Loop: Header=BB36_544 Depth=1
	s_or_b64 exec, exec, s[0:1]
	s_or_b32 s29, s28, 2
	v_cmp_eq_u32_e64 s[16:17], s29, v32
	s_and_b64 s[16:17], s[20:21], s[16:17]
	s_barrier
	s_and_saveexec_b64 s[0:1], s[16:17]
	s_cbranch_execz .LBB36_554
; %bb.553:                              ;   in Loop: Header=BB36_544 Depth=1
	ds_read_b64 v[37:38], v34 offset:16640
	s_waitcnt lgkmcnt(0)
	v_mul_f64 v[11:12], v[11:12], v[37:38]
	ds_write_b64 v33, v[11:12]
.LBB36_554:                             ;   in Loop: Header=BB36_544 Depth=1
	s_or_b64 exec, exec, s[0:1]
	v_cmp_lt_u32_e64 s[16:17], s29, v32
	s_and_b64 s[16:17], s[20:21], s[16:17]
	s_waitcnt lgkmcnt(0)
	s_barrier
	s_and_saveexec_b64 s[0:1], s[16:17]
	s_cbranch_execz .LBB36_556
; %bb.555:                              ;   in Loop: Header=BB36_544 Depth=1
	ds_read_b64 v[37:38], v35 offset:1024
	ds_read_b64 v[39:40], v33
	s_waitcnt lgkmcnt(0)
	v_fma_f64 v[11:12], v[37:38], v[39:40], v[11:12]
.LBB36_556:                             ;   in Loop: Header=BB36_544 Depth=1
	s_or_b64 exec, exec, s[0:1]
	s_or_b32 s29, s28, 3
	v_cmp_eq_u32_e64 s[16:17], s29, v32
	s_and_b64 s[16:17], s[20:21], s[16:17]
	s_barrier
	s_and_saveexec_b64 s[0:1], s[16:17]
	s_cbranch_execz .LBB36_558
; %bb.557:                              ;   in Loop: Header=BB36_544 Depth=1
	ds_read_b64 v[37:38], v34 offset:16640
	s_waitcnt lgkmcnt(0)
	v_mul_f64 v[11:12], v[11:12], v[37:38]
	ds_write_b64 v33, v[11:12]
.LBB36_558:                             ;   in Loop: Header=BB36_544 Depth=1
	s_or_b64 exec, exec, s[0:1]
	v_cmp_lt_u32_e64 s[16:17], s29, v32
	s_and_b64 s[16:17], s[20:21], s[16:17]
	s_waitcnt lgkmcnt(0)
	s_barrier
	s_and_saveexec_b64 s[0:1], s[16:17]
	s_cbranch_execz .LBB36_543
; %bb.559:                              ;   in Loop: Header=BB36_544 Depth=1
	ds_read_b64 v[37:38], v35 offset:1536
	ds_read_b64 v[39:40], v33
	s_waitcnt lgkmcnt(0)
	v_fma_f64 v[11:12], v[37:38], v[39:40], v[11:12]
	s_branch .LBB36_543
.LBB36_560:
	s_and_saveexec_b64 s[0:1], s[14:15]
; %bb.561:
	v_xor_b32_e32 v12, 0x80000000, v12
	ds_write_b64 v31, v[11:12] offset:256
; %bb.562:
	s_or_b64 exec, exec, s[0:1]
	v_cmp_gt_u32_e64 s[14:15], 32, v0
	s_and_b64 s[0:1], s[12:13], s[14:15]
	s_waitcnt lgkmcnt(0)
	s_barrier
	s_barrier
	s_and_saveexec_b64 s[12:13], s[0:1]
	s_cbranch_execz .LBB36_564
; %bb.563:
	v_lshlrev_b32_e32 v31, 9, v0
	ds_read_b64 v[11:12], v31 offset:256
	s_movk_i32 s0, 0xfe08
	v_mad_i32_i24 v32, v0, s0, v31
	s_waitcnt lgkmcnt(0)
	ds_write_b64 v32, v[11:12] offset:16384
	ds_read_b64 v[11:12], v31 offset:264
	s_waitcnt lgkmcnt(0)
	ds_write_b64 v32, v[11:12] offset:16896
	ds_read_b64 v[11:12], v31 offset:272
	;; [unrolled: 3-line block ×31, first 2 shown]
	s_waitcnt lgkmcnt(0)
	ds_write_b64 v32, v[11:12] offset:32256
.LBB36_564:
	s_or_b64 exec, exec, s[12:13]
	s_waitcnt lgkmcnt(0)
	s_barrier
	s_and_saveexec_b64 s[12:13], vcc
	s_cbranch_execz .LBB36_566
; %bb.565:
	v_mov_b32_e32 v11, 0
	ds_read_b128 v[31:34], v11 offset:16640
	ds_read_b64 v[11:12], v11 offset:17160
	s_movk_i32 s0, 0x4000
	s_waitcnt lgkmcnt(0)
	v_mul_f64 v[11:12], v[31:32], v[11:12]
	v_add_u32_e64 v31, s0, 0
	v_mul_f64 v[11:12], v[33:34], v[11:12]
	ds_write2_b64 v31, v[11:12], v[11:12] offset0:33 offset1:96
.LBB36_566:
	s_or_b64 exec, exec, s[12:13]
	v_mov_b32_e32 v11, 0
	v_mov_b32_e32 v12, 0
	s_waitcnt lgkmcnt(0)
	s_barrier
	s_and_saveexec_b64 s[14:15], s[2:3]
	s_cbranch_execz .LBB36_570
; %bb.567:
	v_mul_u32_u24_e32 v31, 0x208, v15
	ds_read_b64 v[11:12], v1 offset:16656
	ds_read_b64 v[31:32], v31 offset:16640
	v_cmp_gt_u32_e64 s[12:13], 2, v14
	s_waitcnt lgkmcnt(0)
	v_fma_f64 v[11:12], v[11:12], v[31:32], 0
	s_and_saveexec_b64 s[16:17], s[12:13]
	s_cbranch_execz .LBB36_569
; %bb.568:
	v_lshlrev_b32_e32 v31, 3, v0
	v_mov_b32_e32 v33, 0
	ds_read_b64 v[31:32], v31 offset:17168
	ds_read_b64 v[33:34], v33 offset:16648
	s_waitcnt lgkmcnt(0)
	v_fma_f64 v[11:12], v[31:32], v[33:34], v[11:12]
.LBB36_569:
	s_or_b64 exec, exec, s[16:17]
	v_xor_b32_e32 v12, 0x80000000, v12
.LBB36_570:
	s_or_b64 exec, exec, s[14:15]
	s_and_saveexec_b64 s[0:1], s[34:35]
	s_cbranch_execz .LBB36_572
; %bb.571:
	v_mov_b32_e32 v31, 0
	ds_read_b64 v[31:32], v31 offset:17680
	s_waitcnt lgkmcnt(0)
	v_mul_f64 v[11:12], v[11:12], v[31:32]
	ds_write_b64 v13, v[11:12]
.LBB36_572:
	s_or_b64 exec, exec, s[0:1]
	s_waitcnt lgkmcnt(0)
	s_barrier
	s_and_saveexec_b64 s[0:1], s[30:31]
	s_cbranch_execz .LBB36_574
; %bb.573:
	v_mov_b32_e32 v31, 0
	ds_read_b64 v[31:32], v31 offset:17688
	ds_read_b64 v[33:34], v13
	s_waitcnt lgkmcnt(0)
	v_fma_f64 v[11:12], v[31:32], v[33:34], v[11:12]
.LBB36_574:
	s_or_b64 exec, exec, s[0:1]
	s_barrier
	s_and_saveexec_b64 s[0:1], s[30:31]
	s_cbranch_execz .LBB36_576
; %bb.575:
	v_mov_b32_e32 v31, 0
	ds_read_b64 v[31:32], v31 offset:18200
	s_waitcnt lgkmcnt(0)
	v_mul_f64 v[11:12], v[11:12], v[31:32]
	ds_write_b64 v13, v[11:12]
.LBB36_576:
	s_or_b64 exec, exec, s[0:1]
	s_waitcnt lgkmcnt(0)
	s_barrier
	s_barrier
	s_and_saveexec_b64 s[0:1], s[2:3]
; %bb.577:
	v_xor_b32_e32 v12, 0x80000000, v12
	ds_write_b64 v1, v[11:12] offset:16656
; %bb.578:
	s_or_b64 exec, exec, s[0:1]
	s_waitcnt lgkmcnt(0)
	s_barrier
	s_barrier
	s_and_saveexec_b64 s[0:1], s[36:37]
	s_cbranch_execz .LBB36_580
; %bb.579:
	v_lshlrev_b32_e32 v31, 3, v0
	s_movk_i32 s12, 0x1f8
	v_mad_u32_u24 v32, v0, s12, v31
	ds_read_b64 v[11:12], v32 offset:16656
	s_waitcnt lgkmcnt(0)
	ds_write_b64 v31, v[11:12] offset:17664
	ds_read_b64 v[11:12], v32 offset:16664
	s_waitcnt lgkmcnt(0)
	ds_write_b64 v31, v[11:12] offset:18176
.LBB36_580:
	s_or_b64 exec, exec, s[0:1]
	s_waitcnt lgkmcnt(0)
	s_barrier
	s_and_saveexec_b64 s[12:13], vcc
	s_cbranch_execz .LBB36_582
; %bb.581:
	v_mov_b32_e32 v11, 0
	ds_read_b128 v[31:34], v11 offset:17680
	ds_read_b64 v[11:12], v11 offset:18200
	s_movk_i32 s0, 0x4000
	s_waitcnt lgkmcnt(0)
	v_mul_f64 v[11:12], v[31:32], v[11:12]
	v_add_u32_e64 v31, s0, 0
	v_mul_f64 v[11:12], v[33:34], v[11:12]
	ds_write2_b64 v31, v[11:12], v[11:12] offset0:163 offset1:226
.LBB36_582:
	s_or_b64 exec, exec, s[12:13]
	v_mov_b32_e32 v11, 0
	v_mov_b32_e32 v12, 0
	s_waitcnt lgkmcnt(0)
	s_barrier
	s_and_saveexec_b64 s[14:15], s[18:19]
	s_cbranch_execz .LBB36_588
; %bb.583:
	v_mul_u32_u24_e32 v31, 0x208, v20
	ds_read_b64 v[11:12], v16 offset:16672
	ds_read_b64 v[32:33], v31 offset:16640
	v_cmp_gt_u32_e64 s[12:13], 12, v14
	s_waitcnt lgkmcnt(0)
	v_fma_f64 v[11:12], v[11:12], v[32:33], 0
	s_and_saveexec_b64 s[16:17], s[12:13]
	s_cbranch_execnz .LBB36_1123
; %bb.584:
	s_or_b64 exec, exec, s[16:17]
	v_cmp_gt_u32_e64 s[12:13], 8, v14
	s_and_saveexec_b64 s[0:1], s[12:13]
	s_cbranch_execnz .LBB36_1124
.LBB36_585:
	s_or_b64 exec, exec, s[0:1]
	v_cmp_gt_u32_e64 s[12:13], 4, v14
	s_and_saveexec_b64 s[0:1], s[12:13]
	s_cbranch_execz .LBB36_587
.LBB36_586:
	v_lshlrev_b32_e32 v31, 3, v0
	v_mov_b32_e32 v33, 0
	ds_read_b64 v[31:32], v31 offset:18208
	ds_read_b64 v[33:34], v33 offset:16664
	s_waitcnt lgkmcnt(0)
	v_fma_f64 v[11:12], v[31:32], v[33:34], v[11:12]
.LBB36_587:
	s_or_b64 exec, exec, s[0:1]
	v_xor_b32_e32 v12, 0x80000000, v12
.LBB36_588:
	s_or_b64 exec, exec, s[14:15]
	s_and_saveexec_b64 s[0:1], s[42:43]
	s_cbranch_execz .LBB36_590
; %bb.589:
	v_mov_b32_e32 v31, 0
	ds_read_b64 v[31:32], v31 offset:18720
	s_waitcnt lgkmcnt(0)
	v_mul_f64 v[11:12], v[11:12], v[31:32]
	ds_write_b64 v18, v[11:12]
.LBB36_590:
	s_or_b64 exec, exec, s[0:1]
	s_waitcnt lgkmcnt(0)
	s_barrier
	s_and_saveexec_b64 s[0:1], s[44:45]
	s_cbranch_execz .LBB36_592
; %bb.591:
	ds_read_b64 v[31:32], v17 offset:18720
	ds_read_b64 v[33:34], v18
	s_waitcnt lgkmcnt(0)
	v_fma_f64 v[11:12], v[31:32], v[33:34], v[11:12]
.LBB36_592:
	s_or_b64 exec, exec, s[0:1]
	s_barrier
	s_and_saveexec_b64 s[0:1], s[52:53]
	s_cbranch_execz .LBB36_594
; %bb.593:
	v_mov_b32_e32 v31, 0
	ds_read_b64 v[31:32], v31 offset:19240
	s_waitcnt lgkmcnt(0)
	v_mul_f64 v[11:12], v[11:12], v[31:32]
	ds_write_b64 v18, v[11:12]
.LBB36_594:
	s_or_b64 exec, exec, s[0:1]
	s_waitcnt lgkmcnt(0)
	s_barrier
	s_and_saveexec_b64 s[0:1], s[54:55]
	s_cbranch_execz .LBB36_596
; %bb.595:
	ds_read_b64 v[31:32], v17 offset:19232
	ds_read_b64 v[33:34], v18
	s_waitcnt lgkmcnt(0)
	v_fma_f64 v[11:12], v[31:32], v[33:34], v[11:12]
.LBB36_596:
	s_or_b64 exec, exec, s[0:1]
	s_barrier
	s_and_saveexec_b64 s[0:1], s[56:57]
	s_cbranch_execz .LBB36_598
; %bb.597:
	v_mov_b32_e32 v31, 0
	ds_read_b64 v[31:32], v31 offset:19760
	s_waitcnt lgkmcnt(0)
	v_mul_f64 v[11:12], v[11:12], v[31:32]
	ds_write_b64 v18, v[11:12]
.LBB36_598:
	s_or_b64 exec, exec, s[0:1]
	s_waitcnt lgkmcnt(0)
	s_barrier
	s_and_saveexec_b64 s[0:1], s[38:39]
	s_cbranch_execz .LBB36_600
; %bb.599:
	v_mov_b32_e32 v31, 0
	ds_read_b64 v[31:32], v31 offset:19768
	ds_read_b64 v[33:34], v18
	s_waitcnt lgkmcnt(0)
	v_fma_f64 v[11:12], v[31:32], v[33:34], v[11:12]
.LBB36_600:
	s_or_b64 exec, exec, s[0:1]
	s_barrier
	s_and_saveexec_b64 s[0:1], s[38:39]
	s_cbranch_execz .LBB36_602
; %bb.601:
	v_mov_b32_e32 v31, 0
	ds_read_b64 v[31:32], v31 offset:20280
	s_waitcnt lgkmcnt(0)
	v_mul_f64 v[11:12], v[11:12], v[31:32]
	ds_write_b64 v18, v[11:12]
.LBB36_602:
	s_or_b64 exec, exec, s[0:1]
	s_waitcnt lgkmcnt(0)
	s_barrier
	s_barrier
	s_and_saveexec_b64 s[0:1], s[18:19]
; %bb.603:
	v_xor_b32_e32 v12, 0x80000000, v12
	ds_write_b64 v16, v[11:12] offset:16672
; %bb.604:
	s_or_b64 exec, exec, s[0:1]
	s_waitcnt lgkmcnt(0)
	s_barrier
	s_barrier
	s_and_saveexec_b64 s[12:13], s[58:59]
	s_cbranch_execz .LBB36_606
; %bb.605:
	v_lshlrev_b32_e32 v31, 9, v0
	ds_read_b64 v[11:12], v31 offset:16672
	s_movk_i32 s0, 0xfe08
	v_mad_i32_i24 v32, v0, s0, v31
	s_waitcnt lgkmcnt(0)
	ds_write_b64 v32, v[11:12] offset:18688
	ds_read_b64 v[11:12], v31 offset:16680
	s_waitcnt lgkmcnt(0)
	ds_write_b64 v32, v[11:12] offset:19200
	ds_read_b64 v[11:12], v31 offset:16688
	;; [unrolled: 3-line block ×3, first 2 shown]
	s_waitcnt lgkmcnt(0)
	ds_write_b64 v32, v[11:12] offset:20224
.LBB36_606:
	s_or_b64 exec, exec, s[12:13]
	s_waitcnt lgkmcnt(0)
	s_barrier
	s_and_saveexec_b64 s[12:13], vcc
	s_cbranch_execz .LBB36_608
; %bb.607:
	v_mov_b32_e32 v11, 0
	ds_read_b128 v[31:34], v11 offset:18720
	ds_read_b64 v[11:12], v11 offset:19240
	s_movk_i32 s0, 0x4800
	s_waitcnt lgkmcnt(0)
	v_mul_f64 v[11:12], v[31:32], v[11:12]
	v_add_u32_e64 v31, s0, 0
	v_mul_f64 v[11:12], v[33:34], v[11:12]
	ds_write2_b64 v31, v[11:12], v[11:12] offset0:37 offset1:100
.LBB36_608:
	s_or_b64 exec, exec, s[12:13]
	v_mov_b32_e32 v11, 0
	v_mov_b32_e32 v12, 0
	s_waitcnt lgkmcnt(0)
	s_barrier
	s_and_saveexec_b64 s[14:15], s[2:3]
	s_cbranch_execz .LBB36_612
; %bb.609:
	v_mul_u32_u24_e32 v31, 0x208, v15
	ds_read_b64 v[11:12], v1 offset:18736
	ds_read_b64 v[31:32], v31 offset:18720
	v_cmp_gt_u32_e64 s[12:13], 2, v14
	s_waitcnt lgkmcnt(0)
	v_fma_f64 v[11:12], v[11:12], v[31:32], 0
	s_and_saveexec_b64 s[16:17], s[12:13]
	s_cbranch_execz .LBB36_611
; %bb.610:
	v_lshlrev_b32_e32 v31, 3, v0
	v_mov_b32_e32 v33, 0
	ds_read_b64 v[31:32], v31 offset:19248
	ds_read_b64 v[33:34], v33 offset:18728
	s_waitcnt lgkmcnt(0)
	v_fma_f64 v[11:12], v[31:32], v[33:34], v[11:12]
.LBB36_611:
	s_or_b64 exec, exec, s[16:17]
	v_xor_b32_e32 v12, 0x80000000, v12
.LBB36_612:
	s_or_b64 exec, exec, s[14:15]
	s_and_saveexec_b64 s[0:1], s[34:35]
	s_cbranch_execz .LBB36_614
; %bb.613:
	v_mov_b32_e32 v31, 0
	ds_read_b64 v[31:32], v31 offset:19760
	s_waitcnt lgkmcnt(0)
	v_mul_f64 v[11:12], v[11:12], v[31:32]
	ds_write_b64 v13, v[11:12]
.LBB36_614:
	s_or_b64 exec, exec, s[0:1]
	s_waitcnt lgkmcnt(0)
	s_barrier
	s_and_saveexec_b64 s[0:1], s[30:31]
	s_cbranch_execz .LBB36_616
; %bb.615:
	v_mov_b32_e32 v31, 0
	ds_read_b64 v[31:32], v31 offset:19768
	ds_read_b64 v[33:34], v13
	s_waitcnt lgkmcnt(0)
	v_fma_f64 v[11:12], v[31:32], v[33:34], v[11:12]
.LBB36_616:
	s_or_b64 exec, exec, s[0:1]
	s_barrier
	s_and_saveexec_b64 s[0:1], s[30:31]
	s_cbranch_execz .LBB36_618
; %bb.617:
	v_mov_b32_e32 v31, 0
	ds_read_b64 v[31:32], v31 offset:20280
	s_waitcnt lgkmcnt(0)
	v_mul_f64 v[11:12], v[11:12], v[31:32]
	ds_write_b64 v13, v[11:12]
.LBB36_618:
	s_or_b64 exec, exec, s[0:1]
	s_waitcnt lgkmcnt(0)
	s_barrier
	s_barrier
	s_and_saveexec_b64 s[0:1], s[2:3]
; %bb.619:
	v_xor_b32_e32 v12, 0x80000000, v12
	ds_write_b64 v1, v[11:12] offset:18736
; %bb.620:
	s_or_b64 exec, exec, s[0:1]
	s_waitcnt lgkmcnt(0)
	s_barrier
	s_barrier
	s_and_saveexec_b64 s[0:1], s[36:37]
	s_cbranch_execz .LBB36_622
; %bb.621:
	v_lshlrev_b32_e32 v31, 3, v0
	s_movk_i32 s12, 0x1f8
	v_mad_u32_u24 v32, v0, s12, v31
	ds_read_b64 v[11:12], v32 offset:18736
	s_waitcnt lgkmcnt(0)
	ds_write_b64 v31, v[11:12] offset:19744
	ds_read_b64 v[11:12], v32 offset:18744
	s_waitcnt lgkmcnt(0)
	ds_write_b64 v31, v[11:12] offset:20256
.LBB36_622:
	s_or_b64 exec, exec, s[0:1]
	s_waitcnt lgkmcnt(0)
	s_barrier
	s_and_saveexec_b64 s[12:13], vcc
	s_cbranch_execz .LBB36_624
; %bb.623:
	v_mov_b32_e32 v11, 0
	ds_read_b128 v[31:34], v11 offset:19760
	ds_read_b64 v[11:12], v11 offset:20280
	s_movk_i32 s0, 0x4800
	s_waitcnt lgkmcnt(0)
	v_mul_f64 v[11:12], v[31:32], v[11:12]
	v_add_u32_e64 v31, s0, 0
	v_mul_f64 v[11:12], v[33:34], v[11:12]
	ds_write2_b64 v31, v[11:12], v[11:12] offset0:167 offset1:230
.LBB36_624:
	s_or_b64 exec, exec, s[12:13]
	v_mov_b32_e32 v11, 0
	v_mov_b32_e32 v12, 0
	s_waitcnt lgkmcnt(0)
	s_barrier
	s_and_saveexec_b64 s[14:15], s[8:9]
	s_cbranch_execz .LBB36_634
; %bb.625:
	v_mul_u32_u24_e32 v31, 0x208, v25
	ds_read_b64 v[11:12], v21 offset:16704
	ds_read_b64 v[32:33], v31 offset:16640
	v_cmp_gt_u32_e64 s[12:13], 56, v14
	s_waitcnt lgkmcnt(0)
	v_fma_f64 v[11:12], v[11:12], v[32:33], 0
	s_and_saveexec_b64 s[16:17], s[12:13]
	s_cbranch_execnz .LBB36_1125
; %bb.626:
	s_or_b64 exec, exec, s[16:17]
	v_cmp_gt_u32_e64 s[12:13], 48, v14
	s_and_saveexec_b64 s[0:1], s[12:13]
	s_cbranch_execnz .LBB36_1126
.LBB36_627:
	s_or_b64 exec, exec, s[0:1]
	v_cmp_gt_u32_e64 s[12:13], 40, v14
	s_and_saveexec_b64 s[0:1], s[12:13]
	s_cbranch_execnz .LBB36_1127
.LBB36_628:
	s_or_b64 exec, exec, s[0:1]
	v_cmp_gt_u32_e64 s[12:13], 32, v14
	s_and_saveexec_b64 s[0:1], s[12:13]
	s_cbranch_execnz .LBB36_1128
.LBB36_629:
	s_or_b64 exec, exec, s[0:1]
	v_cmp_gt_u32_e64 s[12:13], 24, v14
	s_and_saveexec_b64 s[0:1], s[12:13]
	s_cbranch_execnz .LBB36_1129
.LBB36_630:
	s_or_b64 exec, exec, s[0:1]
	v_cmp_gt_u32_e64 s[12:13], 16, v14
	s_and_saveexec_b64 s[0:1], s[12:13]
	s_cbranch_execnz .LBB36_1130
.LBB36_631:
	s_or_b64 exec, exec, s[0:1]
	v_cmp_gt_u32_e64 s[12:13], 8, v14
	s_and_saveexec_b64 s[0:1], s[12:13]
	s_cbranch_execz .LBB36_633
.LBB36_632:
	v_lshlrev_b32_e32 v31, 3, v0
	v_mov_b32_e32 v33, 0
	ds_read_b64 v[31:32], v31 offset:20288
	ds_read_b64 v[33:34], v33 offset:16696
	s_waitcnt lgkmcnt(0)
	v_fma_f64 v[11:12], v[31:32], v[33:34], v[11:12]
.LBB36_633:
	s_or_b64 exec, exec, s[0:1]
	v_xor_b32_e32 v12, 0x80000000, v12
.LBB36_634:
	s_or_b64 exec, exec, s[14:15]
	s_and_saveexec_b64 s[0:1], s[60:61]
	s_cbranch_execz .LBB36_636
; %bb.635:
	v_mov_b32_e32 v31, 0
	ds_read_b64 v[31:32], v31 offset:20800
	s_waitcnt lgkmcnt(0)
	v_mul_f64 v[11:12], v[11:12], v[31:32]
	ds_write_b64 v23, v[11:12]
.LBB36_636:
	s_or_b64 exec, exec, s[0:1]
	s_waitcnt lgkmcnt(0)
	s_barrier
	s_and_saveexec_b64 s[0:1], s[62:63]
	s_cbranch_execz .LBB36_638
; %bb.637:
	ds_read_b64 v[31:32], v22 offset:20800
	ds_read_b64 v[33:34], v23
	s_waitcnt lgkmcnt(0)
	v_fma_f64 v[11:12], v[31:32], v[33:34], v[11:12]
.LBB36_638:
	s_or_b64 exec, exec, s[0:1]
	s_barrier
	s_and_saveexec_b64 s[0:1], s[64:65]
	s_cbranch_execz .LBB36_640
; %bb.639:
	v_mov_b32_e32 v31, 0
	ds_read_b64 v[31:32], v31 offset:21320
	s_waitcnt lgkmcnt(0)
	v_mul_f64 v[11:12], v[11:12], v[31:32]
	ds_write_b64 v23, v[11:12]
.LBB36_640:
	s_or_b64 exec, exec, s[0:1]
	s_waitcnt lgkmcnt(0)
	s_barrier
	s_and_saveexec_b64 s[0:1], s[66:67]
	s_cbranch_execz .LBB36_642
; %bb.641:
	ds_read_b64 v[31:32], v22 offset:21312
	ds_read_b64 v[33:34], v23
	s_waitcnt lgkmcnt(0)
	v_fma_f64 v[11:12], v[31:32], v[33:34], v[11:12]
.LBB36_642:
	s_or_b64 exec, exec, s[0:1]
	s_barrier
	s_and_saveexec_b64 s[0:1], s[68:69]
	s_cbranch_execz .LBB36_644
; %bb.643:
	v_mov_b32_e32 v31, 0
	ds_read_b64 v[31:32], v31 offset:21840
	s_waitcnt lgkmcnt(0)
	v_mul_f64 v[11:12], v[11:12], v[31:32]
	ds_write_b64 v23, v[11:12]
.LBB36_644:
	s_or_b64 exec, exec, s[0:1]
	s_waitcnt lgkmcnt(0)
	s_barrier
	s_and_saveexec_b64 s[0:1], s[72:73]
	s_cbranch_execz .LBB36_646
; %bb.645:
	ds_read_b64 v[31:32], v22 offset:21824
	ds_read_b64 v[33:34], v23
	s_waitcnt lgkmcnt(0)
	v_fma_f64 v[11:12], v[31:32], v[33:34], v[11:12]
.LBB36_646:
	s_or_b64 exec, exec, s[0:1]
	s_barrier
	s_and_saveexec_b64 s[0:1], s[74:75]
	s_cbranch_execz .LBB36_648
; %bb.647:
	v_mov_b32_e32 v31, 0
	ds_read_b64 v[31:32], v31 offset:22360
	s_waitcnt lgkmcnt(0)
	v_mul_f64 v[11:12], v[11:12], v[31:32]
	ds_write_b64 v23, v[11:12]
.LBB36_648:
	s_or_b64 exec, exec, s[0:1]
	s_waitcnt lgkmcnt(0)
	s_barrier
	s_and_saveexec_b64 s[0:1], s[76:77]
	s_cbranch_execz .LBB36_650
; %bb.649:
	ds_read_b64 v[31:32], v22 offset:22336
	ds_read_b64 v[33:34], v23
	s_waitcnt lgkmcnt(0)
	v_fma_f64 v[11:12], v[31:32], v[33:34], v[11:12]
.LBB36_650:
	s_or_b64 exec, exec, s[0:1]
	s_barrier
	s_and_saveexec_b64 s[0:1], s[78:79]
	s_cbranch_execz .LBB36_652
; %bb.651:
	v_mov_b32_e32 v31, 0
	ds_read_b64 v[31:32], v31 offset:22880
	s_waitcnt lgkmcnt(0)
	v_mul_f64 v[11:12], v[11:12], v[31:32]
	ds_write_b64 v23, v[11:12]
.LBB36_652:
	s_or_b64 exec, exec, s[0:1]
	s_waitcnt lgkmcnt(0)
	s_barrier
	s_and_saveexec_b64 s[0:1], s[80:81]
	s_cbranch_execz .LBB36_654
; %bb.653:
	ds_read_b64 v[31:32], v22 offset:22848
	ds_read_b64 v[33:34], v23
	s_waitcnt lgkmcnt(0)
	v_fma_f64 v[11:12], v[31:32], v[33:34], v[11:12]
.LBB36_654:
	s_or_b64 exec, exec, s[0:1]
	s_barrier
	s_and_saveexec_b64 s[0:1], s[82:83]
	s_cbranch_execz .LBB36_656
; %bb.655:
	v_mov_b32_e32 v31, 0
	ds_read_b64 v[31:32], v31 offset:23400
	s_waitcnt lgkmcnt(0)
	v_mul_f64 v[11:12], v[11:12], v[31:32]
	ds_write_b64 v23, v[11:12]
.LBB36_656:
	s_or_b64 exec, exec, s[0:1]
	s_waitcnt lgkmcnt(0)
	s_barrier
	s_and_saveexec_b64 s[0:1], s[84:85]
	s_cbranch_execz .LBB36_658
; %bb.657:
	ds_read_b64 v[31:32], v22 offset:23360
	ds_read_b64 v[33:34], v23
	s_waitcnt lgkmcnt(0)
	v_fma_f64 v[11:12], v[31:32], v[33:34], v[11:12]
.LBB36_658:
	s_or_b64 exec, exec, s[0:1]
	s_barrier
	s_and_saveexec_b64 s[0:1], s[86:87]
	s_cbranch_execz .LBB36_660
; %bb.659:
	v_mov_b32_e32 v31, 0
	ds_read_b64 v[31:32], v31 offset:23920
	s_waitcnt lgkmcnt(0)
	v_mul_f64 v[11:12], v[11:12], v[31:32]
	ds_write_b64 v23, v[11:12]
.LBB36_660:
	s_or_b64 exec, exec, s[0:1]
	s_waitcnt lgkmcnt(0)
	s_barrier
	s_and_saveexec_b64 s[0:1], s[70:71]
	s_cbranch_execz .LBB36_662
; %bb.661:
	v_mov_b32_e32 v31, 0
	ds_read_b64 v[31:32], v31 offset:23928
	ds_read_b64 v[33:34], v23
	s_waitcnt lgkmcnt(0)
	v_fma_f64 v[11:12], v[31:32], v[33:34], v[11:12]
.LBB36_662:
	s_or_b64 exec, exec, s[0:1]
	s_barrier
	s_and_saveexec_b64 s[0:1], s[70:71]
	s_cbranch_execz .LBB36_664
; %bb.663:
	v_mov_b32_e32 v31, 0
	ds_read_b64 v[31:32], v31 offset:24440
	s_waitcnt lgkmcnt(0)
	v_mul_f64 v[11:12], v[11:12], v[31:32]
	ds_write_b64 v23, v[11:12]
.LBB36_664:
	s_or_b64 exec, exec, s[0:1]
	s_waitcnt lgkmcnt(0)
	s_barrier
	s_barrier
	s_and_saveexec_b64 s[0:1], s[8:9]
; %bb.665:
	v_xor_b32_e32 v12, 0x80000000, v12
	ds_write_b64 v21, v[11:12] offset:16704
; %bb.666:
	s_or_b64 exec, exec, s[0:1]
	s_waitcnt lgkmcnt(0)
	s_barrier
	s_barrier
	s_and_saveexec_b64 s[12:13], s[88:89]
	s_cbranch_execz .LBB36_668
; %bb.667:
	v_lshlrev_b32_e32 v31, 9, v0
	ds_read_b64 v[11:12], v31 offset:16704
	s_movk_i32 s0, 0xfe08
	v_mad_i32_i24 v32, v0, s0, v31
	s_waitcnt lgkmcnt(0)
	ds_write_b64 v32, v[11:12] offset:20736
	ds_read_b64 v[11:12], v31 offset:16712
	s_waitcnt lgkmcnt(0)
	ds_write_b64 v32, v[11:12] offset:21248
	ds_read_b64 v[11:12], v31 offset:16720
	;; [unrolled: 3-line block ×7, first 2 shown]
	s_waitcnt lgkmcnt(0)
	ds_write_b64 v32, v[11:12] offset:24320
.LBB36_668:
	s_or_b64 exec, exec, s[12:13]
	s_waitcnt lgkmcnt(0)
	s_barrier
	s_and_saveexec_b64 s[12:13], vcc
	s_cbranch_execz .LBB36_670
; %bb.669:
	v_mov_b32_e32 v11, 0
	ds_read_b128 v[31:34], v11 offset:20800
	ds_read_b64 v[11:12], v11 offset:21320
	s_movk_i32 s0, 0x5000
	s_waitcnt lgkmcnt(0)
	v_mul_f64 v[11:12], v[31:32], v[11:12]
	v_add_u32_e64 v31, s0, 0
	v_mul_f64 v[11:12], v[33:34], v[11:12]
	ds_write2_b64 v31, v[11:12], v[11:12] offset0:41 offset1:104
.LBB36_670:
	s_or_b64 exec, exec, s[12:13]
	v_mov_b32_e32 v11, 0
	v_mov_b32_e32 v12, 0
	s_waitcnt lgkmcnt(0)
	s_barrier
	s_and_saveexec_b64 s[14:15], s[2:3]
	s_cbranch_execz .LBB36_674
; %bb.671:
	v_mul_u32_u24_e32 v31, 0x208, v15
	ds_read_b64 v[11:12], v1 offset:20816
	ds_read_b64 v[31:32], v31 offset:20800
	v_cmp_gt_u32_e64 s[12:13], 2, v14
	s_waitcnt lgkmcnt(0)
	v_fma_f64 v[11:12], v[11:12], v[31:32], 0
	s_and_saveexec_b64 s[16:17], s[12:13]
	s_cbranch_execz .LBB36_673
; %bb.672:
	v_lshlrev_b32_e32 v31, 3, v0
	v_mov_b32_e32 v33, 0
	ds_read_b64 v[31:32], v31 offset:21328
	ds_read_b64 v[33:34], v33 offset:20808
	s_waitcnt lgkmcnt(0)
	v_fma_f64 v[11:12], v[31:32], v[33:34], v[11:12]
.LBB36_673:
	s_or_b64 exec, exec, s[16:17]
	v_xor_b32_e32 v12, 0x80000000, v12
.LBB36_674:
	s_or_b64 exec, exec, s[14:15]
	s_and_saveexec_b64 s[0:1], s[34:35]
	s_cbranch_execz .LBB36_676
; %bb.675:
	v_mov_b32_e32 v31, 0
	ds_read_b64 v[31:32], v31 offset:21840
	s_waitcnt lgkmcnt(0)
	v_mul_f64 v[11:12], v[11:12], v[31:32]
	ds_write_b64 v13, v[11:12]
.LBB36_676:
	s_or_b64 exec, exec, s[0:1]
	s_waitcnt lgkmcnt(0)
	s_barrier
	s_and_saveexec_b64 s[0:1], s[30:31]
	s_cbranch_execz .LBB36_678
; %bb.677:
	v_mov_b32_e32 v31, 0
	ds_read_b64 v[31:32], v31 offset:21848
	ds_read_b64 v[33:34], v13
	s_waitcnt lgkmcnt(0)
	v_fma_f64 v[11:12], v[31:32], v[33:34], v[11:12]
.LBB36_678:
	s_or_b64 exec, exec, s[0:1]
	s_barrier
	s_and_saveexec_b64 s[0:1], s[30:31]
	s_cbranch_execz .LBB36_680
; %bb.679:
	v_mov_b32_e32 v31, 0
	ds_read_b64 v[31:32], v31 offset:22360
	s_waitcnt lgkmcnt(0)
	v_mul_f64 v[11:12], v[11:12], v[31:32]
	ds_write_b64 v13, v[11:12]
.LBB36_680:
	s_or_b64 exec, exec, s[0:1]
	s_waitcnt lgkmcnt(0)
	s_barrier
	s_barrier
	s_and_saveexec_b64 s[0:1], s[2:3]
; %bb.681:
	v_xor_b32_e32 v12, 0x80000000, v12
	ds_write_b64 v1, v[11:12] offset:20816
; %bb.682:
	s_or_b64 exec, exec, s[0:1]
	s_waitcnt lgkmcnt(0)
	s_barrier
	s_barrier
	s_and_saveexec_b64 s[0:1], s[36:37]
	s_cbranch_execz .LBB36_684
; %bb.683:
	v_lshlrev_b32_e32 v31, 3, v0
	s_movk_i32 s12, 0x1f8
	v_mad_u32_u24 v32, v0, s12, v31
	ds_read_b64 v[11:12], v32 offset:20816
	s_waitcnt lgkmcnt(0)
	ds_write_b64 v31, v[11:12] offset:21824
	ds_read_b64 v[11:12], v32 offset:20824
	s_waitcnt lgkmcnt(0)
	ds_write_b64 v31, v[11:12] offset:22336
.LBB36_684:
	s_or_b64 exec, exec, s[0:1]
	s_waitcnt lgkmcnt(0)
	s_barrier
	s_and_saveexec_b64 s[12:13], vcc
	s_cbranch_execz .LBB36_686
; %bb.685:
	v_mov_b32_e32 v11, 0
	ds_read_b128 v[31:34], v11 offset:21840
	ds_read_b64 v[11:12], v11 offset:22360
	s_movk_i32 s0, 0x5000
	s_waitcnt lgkmcnt(0)
	v_mul_f64 v[11:12], v[31:32], v[11:12]
	v_add_u32_e64 v31, s0, 0
	v_mul_f64 v[11:12], v[33:34], v[11:12]
	ds_write2_b64 v31, v[11:12], v[11:12] offset0:171 offset1:234
.LBB36_686:
	s_or_b64 exec, exec, s[12:13]
	v_mov_b32_e32 v11, 0
	v_mov_b32_e32 v12, 0
	s_waitcnt lgkmcnt(0)
	s_barrier
	s_and_saveexec_b64 s[14:15], s[18:19]
	s_cbranch_execz .LBB36_692
; %bb.687:
	v_mul_u32_u24_e32 v31, 0x208, v20
	ds_read_b64 v[11:12], v16 offset:20832
	ds_read_b64 v[32:33], v31 offset:20800
	v_cmp_gt_u32_e64 s[12:13], 12, v14
	s_waitcnt lgkmcnt(0)
	v_fma_f64 v[11:12], v[11:12], v[32:33], 0
	s_and_saveexec_b64 s[16:17], s[12:13]
	s_cbranch_execnz .LBB36_1131
; %bb.688:
	s_or_b64 exec, exec, s[16:17]
	v_cmp_gt_u32_e64 s[12:13], 8, v14
	s_and_saveexec_b64 s[0:1], s[12:13]
	s_cbranch_execnz .LBB36_1132
.LBB36_689:
	s_or_b64 exec, exec, s[0:1]
	v_cmp_gt_u32_e64 s[12:13], 4, v14
	s_and_saveexec_b64 s[0:1], s[12:13]
	s_cbranch_execz .LBB36_691
.LBB36_690:
	v_lshlrev_b32_e32 v31, 3, v0
	v_mov_b32_e32 v33, 0
	ds_read_b64 v[31:32], v31 offset:22368
	ds_read_b64 v[33:34], v33 offset:20824
	s_waitcnt lgkmcnt(0)
	v_fma_f64 v[11:12], v[31:32], v[33:34], v[11:12]
.LBB36_691:
	s_or_b64 exec, exec, s[0:1]
	v_xor_b32_e32 v12, 0x80000000, v12
.LBB36_692:
	s_or_b64 exec, exec, s[14:15]
	s_and_saveexec_b64 s[0:1], s[42:43]
	s_cbranch_execz .LBB36_694
; %bb.693:
	v_mov_b32_e32 v31, 0
	ds_read_b64 v[31:32], v31 offset:22880
	s_waitcnt lgkmcnt(0)
	v_mul_f64 v[11:12], v[11:12], v[31:32]
	ds_write_b64 v18, v[11:12]
.LBB36_694:
	s_or_b64 exec, exec, s[0:1]
	s_waitcnt lgkmcnt(0)
	s_barrier
	s_and_saveexec_b64 s[0:1], s[44:45]
	s_cbranch_execz .LBB36_696
; %bb.695:
	ds_read_b64 v[31:32], v17 offset:22880
	ds_read_b64 v[33:34], v18
	s_waitcnt lgkmcnt(0)
	v_fma_f64 v[11:12], v[31:32], v[33:34], v[11:12]
.LBB36_696:
	s_or_b64 exec, exec, s[0:1]
	s_barrier
	s_and_saveexec_b64 s[0:1], s[52:53]
	s_cbranch_execz .LBB36_698
; %bb.697:
	v_mov_b32_e32 v31, 0
	ds_read_b64 v[31:32], v31 offset:23400
	s_waitcnt lgkmcnt(0)
	v_mul_f64 v[11:12], v[11:12], v[31:32]
	ds_write_b64 v18, v[11:12]
.LBB36_698:
	s_or_b64 exec, exec, s[0:1]
	s_waitcnt lgkmcnt(0)
	s_barrier
	s_and_saveexec_b64 s[0:1], s[54:55]
	s_cbranch_execz .LBB36_700
; %bb.699:
	ds_read_b64 v[31:32], v17 offset:23392
	ds_read_b64 v[33:34], v18
	s_waitcnt lgkmcnt(0)
	v_fma_f64 v[11:12], v[31:32], v[33:34], v[11:12]
.LBB36_700:
	s_or_b64 exec, exec, s[0:1]
	s_barrier
	s_and_saveexec_b64 s[0:1], s[56:57]
	s_cbranch_execz .LBB36_702
; %bb.701:
	v_mov_b32_e32 v31, 0
	ds_read_b64 v[31:32], v31 offset:23920
	s_waitcnt lgkmcnt(0)
	v_mul_f64 v[11:12], v[11:12], v[31:32]
	ds_write_b64 v18, v[11:12]
.LBB36_702:
	s_or_b64 exec, exec, s[0:1]
	s_waitcnt lgkmcnt(0)
	s_barrier
	s_and_saveexec_b64 s[0:1], s[38:39]
	s_cbranch_execz .LBB36_704
; %bb.703:
	v_mov_b32_e32 v31, 0
	ds_read_b64 v[31:32], v31 offset:23928
	ds_read_b64 v[33:34], v18
	s_waitcnt lgkmcnt(0)
	v_fma_f64 v[11:12], v[31:32], v[33:34], v[11:12]
.LBB36_704:
	s_or_b64 exec, exec, s[0:1]
	s_barrier
	s_and_saveexec_b64 s[0:1], s[38:39]
	s_cbranch_execz .LBB36_706
; %bb.705:
	v_mov_b32_e32 v31, 0
	ds_read_b64 v[31:32], v31 offset:24440
	s_waitcnt lgkmcnt(0)
	v_mul_f64 v[11:12], v[11:12], v[31:32]
	ds_write_b64 v18, v[11:12]
.LBB36_706:
	s_or_b64 exec, exec, s[0:1]
	s_waitcnt lgkmcnt(0)
	s_barrier
	s_barrier
	s_and_saveexec_b64 s[0:1], s[18:19]
; %bb.707:
	v_xor_b32_e32 v12, 0x80000000, v12
	ds_write_b64 v16, v[11:12] offset:20832
; %bb.708:
	s_or_b64 exec, exec, s[0:1]
	s_waitcnt lgkmcnt(0)
	s_barrier
	s_barrier
	s_and_saveexec_b64 s[12:13], s[58:59]
	s_cbranch_execz .LBB36_710
; %bb.709:
	v_lshlrev_b32_e32 v31, 9, v0
	ds_read_b64 v[11:12], v31 offset:20832
	s_movk_i32 s0, 0xfe08
	v_mad_i32_i24 v32, v0, s0, v31
	s_waitcnt lgkmcnt(0)
	ds_write_b64 v32, v[11:12] offset:22848
	ds_read_b64 v[11:12], v31 offset:20840
	s_waitcnt lgkmcnt(0)
	ds_write_b64 v32, v[11:12] offset:23360
	ds_read_b64 v[11:12], v31 offset:20848
	;; [unrolled: 3-line block ×3, first 2 shown]
	s_waitcnt lgkmcnt(0)
	ds_write_b64 v32, v[11:12] offset:24384
.LBB36_710:
	s_or_b64 exec, exec, s[12:13]
	s_waitcnt lgkmcnt(0)
	s_barrier
	s_and_saveexec_b64 s[12:13], vcc
	s_cbranch_execz .LBB36_712
; %bb.711:
	v_mov_b32_e32 v11, 0
	ds_read_b128 v[31:34], v11 offset:22880
	ds_read_b64 v[11:12], v11 offset:23400
	s_movk_i32 s0, 0x5800
	s_waitcnt lgkmcnt(0)
	v_mul_f64 v[11:12], v[31:32], v[11:12]
	v_add_u32_e64 v31, s0, 0
	v_mul_f64 v[11:12], v[33:34], v[11:12]
	ds_write2_b64 v31, v[11:12], v[11:12] offset0:45 offset1:108
.LBB36_712:
	s_or_b64 exec, exec, s[12:13]
	v_mov_b32_e32 v11, 0
	v_mov_b32_e32 v12, 0
	s_waitcnt lgkmcnt(0)
	s_barrier
	s_and_saveexec_b64 s[14:15], s[2:3]
	s_cbranch_execz .LBB36_716
; %bb.713:
	v_mul_u32_u24_e32 v31, 0x208, v15
	ds_read_b64 v[11:12], v1 offset:22896
	ds_read_b64 v[31:32], v31 offset:22880
	v_cmp_gt_u32_e64 s[12:13], 2, v14
	s_waitcnt lgkmcnt(0)
	v_fma_f64 v[11:12], v[11:12], v[31:32], 0
	s_and_saveexec_b64 s[16:17], s[12:13]
	s_cbranch_execz .LBB36_715
; %bb.714:
	v_lshlrev_b32_e32 v31, 3, v0
	v_mov_b32_e32 v33, 0
	ds_read_b64 v[31:32], v31 offset:23408
	ds_read_b64 v[33:34], v33 offset:22888
	s_waitcnt lgkmcnt(0)
	v_fma_f64 v[11:12], v[31:32], v[33:34], v[11:12]
.LBB36_715:
	s_or_b64 exec, exec, s[16:17]
	v_xor_b32_e32 v12, 0x80000000, v12
.LBB36_716:
	s_or_b64 exec, exec, s[14:15]
	s_and_saveexec_b64 s[0:1], s[34:35]
	s_cbranch_execz .LBB36_718
; %bb.717:
	v_mov_b32_e32 v31, 0
	ds_read_b64 v[31:32], v31 offset:23920
	s_waitcnt lgkmcnt(0)
	v_mul_f64 v[11:12], v[11:12], v[31:32]
	ds_write_b64 v13, v[11:12]
.LBB36_718:
	s_or_b64 exec, exec, s[0:1]
	s_waitcnt lgkmcnt(0)
	s_barrier
	s_and_saveexec_b64 s[0:1], s[30:31]
	s_cbranch_execz .LBB36_720
; %bb.719:
	v_mov_b32_e32 v31, 0
	ds_read_b64 v[31:32], v31 offset:23928
	ds_read_b64 v[33:34], v13
	s_waitcnt lgkmcnt(0)
	v_fma_f64 v[11:12], v[31:32], v[33:34], v[11:12]
.LBB36_720:
	s_or_b64 exec, exec, s[0:1]
	s_barrier
	s_and_saveexec_b64 s[0:1], s[30:31]
	s_cbranch_execz .LBB36_722
; %bb.721:
	v_mov_b32_e32 v31, 0
	ds_read_b64 v[31:32], v31 offset:24440
	s_waitcnt lgkmcnt(0)
	v_mul_f64 v[11:12], v[11:12], v[31:32]
	ds_write_b64 v13, v[11:12]
.LBB36_722:
	s_or_b64 exec, exec, s[0:1]
	s_waitcnt lgkmcnt(0)
	s_barrier
	s_barrier
	s_and_saveexec_b64 s[0:1], s[2:3]
; %bb.723:
	v_xor_b32_e32 v12, 0x80000000, v12
	ds_write_b64 v1, v[11:12] offset:22896
; %bb.724:
	s_or_b64 exec, exec, s[0:1]
	s_waitcnt lgkmcnt(0)
	s_barrier
	s_barrier
	s_and_saveexec_b64 s[0:1], s[36:37]
	s_cbranch_execz .LBB36_726
; %bb.725:
	v_lshlrev_b32_e32 v31, 3, v0
	s_movk_i32 s12, 0x1f8
	v_mad_u32_u24 v32, v0, s12, v31
	ds_read_b64 v[11:12], v32 offset:22896
	s_waitcnt lgkmcnt(0)
	ds_write_b64 v31, v[11:12] offset:23904
	ds_read_b64 v[11:12], v32 offset:22904
	s_waitcnt lgkmcnt(0)
	ds_write_b64 v31, v[11:12] offset:24416
.LBB36_726:
	s_or_b64 exec, exec, s[0:1]
	s_waitcnt lgkmcnt(0)
	s_barrier
	s_and_saveexec_b64 s[12:13], vcc
	s_cbranch_execz .LBB36_728
; %bb.727:
	v_mov_b32_e32 v11, 0
	ds_read_b128 v[31:34], v11 offset:23920
	ds_read_b64 v[11:12], v11 offset:24440
	s_movk_i32 s0, 0x5800
	s_waitcnt lgkmcnt(0)
	v_mul_f64 v[11:12], v[31:32], v[11:12]
	v_add_u32_e64 v31, s0, 0
	v_mul_f64 v[11:12], v[33:34], v[11:12]
	ds_write2_b64 v31, v[11:12], v[11:12] offset0:175 offset1:238
.LBB36_728:
	s_or_b64 exec, exec, s[12:13]
	v_mov_b32_e32 v11, 0
	v_mov_b32_e32 v12, 0
	s_waitcnt lgkmcnt(0)
	s_barrier
	s_and_saveexec_b64 s[14:15], s[10:11]
	s_cbranch_execz .LBB36_756
; %bb.729:
	v_mul_u32_u24_e32 v31, 0x208, v30
	ds_read_b64 v[11:12], v26 offset:16768
	ds_read_b64 v[32:33], v31 offset:16640
	s_movk_i32 s0, 0xf0
	v_cmp_gt_u32_e64 s[12:13], s0, v14
	s_waitcnt lgkmcnt(0)
	v_fma_f64 v[11:12], v[11:12], v[32:33], 0
	s_and_saveexec_b64 s[16:17], s[12:13]
	s_cbranch_execz .LBB36_731
; %bb.730:
	v_lshlrev_b32_e32 v32, 3, v30
	v_sub_u32_e32 v32, v31, v32
	v_lshl_add_u32 v32, v27, 3, v32
	ds_read_b64 v[32:33], v32 offset:17280
	ds_read_b64 v[34:35], v31 offset:16648
	s_waitcnt lgkmcnt(0)
	v_fma_f64 v[11:12], v[32:33], v[34:35], v[11:12]
.LBB36_731:
	s_or_b64 exec, exec, s[16:17]
	s_movk_i32 s0, 0xe0
	v_cmp_gt_u32_e64 s[12:13], s0, v14
	s_and_saveexec_b64 s[0:1], s[12:13]
	s_cbranch_execz .LBB36_733
; %bb.732:
	v_lshlrev_b32_e32 v32, 3, v30
	v_sub_u32_e32 v32, v31, v32
	v_lshl_add_u32 v32, v27, 3, v32
	ds_read_b64 v[32:33], v32 offset:17792
	ds_read_b64 v[34:35], v31 offset:16656
	s_waitcnt lgkmcnt(0)
	v_fma_f64 v[11:12], v[32:33], v[34:35], v[11:12]
.LBB36_733:
	s_or_b64 exec, exec, s[0:1]
	s_movk_i32 s0, 0xd0
	v_cmp_gt_u32_e64 s[12:13], s0, v14
	;; [unrolled: 14-line block ×7, first 2 shown]
	s_and_saveexec_b64 s[0:1], s[12:13]
	s_cbranch_execz .LBB36_745
; %bb.744:
	ds_read_b64 v[32:33], v26 offset:20864
	ds_read_b64 v[34:35], v31 offset:16704
	s_waitcnt lgkmcnt(0)
	v_fma_f64 v[11:12], v[32:33], v[34:35], v[11:12]
.LBB36_745:
	s_or_b64 exec, exec, s[0:1]
	s_movk_i32 s0, 0x70
	v_cmp_gt_u32_e64 s[12:13], s0, v14
	s_and_saveexec_b64 s[0:1], s[12:13]
	s_cbranch_execz .LBB36_747
; %bb.746:
	v_lshlrev_b32_e32 v30, 3, v27
	v_lshl_add_u32 v30, v29, 3, v30
	ds_read_b64 v[32:33], v30 offset:21376
	ds_read_b64 v[34:35], v31 offset:16712
	s_waitcnt lgkmcnt(0)
	v_fma_f64 v[11:12], v[32:33], v[34:35], v[11:12]
.LBB36_747:
	s_or_b64 exec, exec, s[0:1]
	s_movk_i32 s0, 0x60
	v_cmp_gt_u32_e64 s[12:13], s0, v14
	s_and_saveexec_b64 s[0:1], s[12:13]
	s_cbranch_execz .LBB36_749
; %bb.748:
	v_lshlrev_b32_e32 v30, 3, v27
	v_lshl_add_u32 v30, v29, 3, v30
	ds_read_b64 v[32:33], v30 offset:21888
	ds_read_b64 v[34:35], v31 offset:16720
	s_waitcnt lgkmcnt(0)
	v_fma_f64 v[11:12], v[32:33], v[34:35], v[11:12]
.LBB36_749:
	s_or_b64 exec, exec, s[0:1]
	s_movk_i32 s0, 0x50
	v_cmp_gt_u32_e64 s[12:13], s0, v14
	s_and_saveexec_b64 s[0:1], s[12:13]
	s_cbranch_execnz .LBB36_1133
; %bb.750:
	s_or_b64 exec, exec, s[0:1]
	v_cmp_gt_u32_e64 s[12:13], 64, v14
	s_and_saveexec_b64 s[0:1], s[12:13]
	s_cbranch_execnz .LBB36_1134
.LBB36_751:
	s_or_b64 exec, exec, s[0:1]
	v_cmp_gt_u32_e64 s[12:13], 48, v14
	s_and_saveexec_b64 s[0:1], s[12:13]
	s_cbranch_execnz .LBB36_1135
.LBB36_752:
	s_or_b64 exec, exec, s[0:1]
	v_cmp_gt_u32_e64 s[12:13], 32, v14
	s_and_saveexec_b64 s[0:1], s[12:13]
	s_cbranch_execnz .LBB36_1136
.LBB36_753:
	s_or_b64 exec, exec, s[0:1]
	v_cmp_gt_u32_e64 s[12:13], 16, v14
	s_and_saveexec_b64 s[0:1], s[12:13]
	s_cbranch_execz .LBB36_755
.LBB36_754:
	v_lshlrev_b32_e32 v29, 3, v0
	v_mov_b32_e32 v31, 0
	ds_read_b64 v[29:30], v29 offset:24448
	ds_read_b64 v[31:32], v31 offset:16760
	s_waitcnt lgkmcnt(0)
	v_fma_f64 v[11:12], v[29:30], v[31:32], v[11:12]
.LBB36_755:
	s_or_b64 exec, exec, s[0:1]
	v_xor_b32_e32 v12, 0x80000000, v12
.LBB36_756:
	s_or_b64 exec, exec, s[14:15]
	s_mov_b64 s[0:1], exec
	v_readlane_b32 s12, v42, 5
	v_readlane_b32 s13, v42, 6
	s_and_b64 s[12:13], s[0:1], s[12:13]
	s_mov_b64 exec, s[12:13]
	s_cbranch_execz .LBB36_758
; %bb.757:
	v_mov_b32_e32 v29, 0
	ds_read_b64 v[29:30], v29 offset:24960
	s_waitcnt lgkmcnt(0)
	v_mul_f64 v[11:12], v[11:12], v[29:30]
	ds_write_b64 v28, v[11:12]
.LBB36_758:
	s_or_b64 exec, exec, s[0:1]
	s_waitcnt lgkmcnt(0)
	s_barrier
	s_mov_b64 s[0:1], exec
	v_readlane_b32 s12, v42, 7
	v_readlane_b32 s13, v42, 8
	s_and_b64 s[12:13], s[0:1], s[12:13]
	s_mov_b64 exec, s[12:13]
	s_cbranch_execz .LBB36_760
; %bb.759:
	v_lshlrev_b32_e32 v29, 3, v27
	ds_read_b64 v[29:30], v29 offset:24960
	ds_read_b64 v[31:32], v28
	s_waitcnt lgkmcnt(0)
	v_fma_f64 v[11:12], v[29:30], v[31:32], v[11:12]
.LBB36_760:
	s_or_b64 exec, exec, s[0:1]
	s_barrier
	s_mov_b64 s[0:1], exec
	v_readlane_b32 s12, v42, 9
	v_readlane_b32 s13, v42, 10
	s_and_b64 s[12:13], s[0:1], s[12:13]
	s_mov_b64 exec, s[12:13]
	s_cbranch_execz .LBB36_762
; %bb.761:
	v_mov_b32_e32 v29, 0
	ds_read_b64 v[29:30], v29 offset:25480
	s_waitcnt lgkmcnt(0)
	v_mul_f64 v[11:12], v[11:12], v[29:30]
	ds_write_b64 v28, v[11:12]
.LBB36_762:
	s_or_b64 exec, exec, s[0:1]
	s_waitcnt lgkmcnt(0)
	s_barrier
	s_mov_b64 s[0:1], exec
	v_readlane_b32 s12, v42, 11
	v_readlane_b32 s13, v42, 12
	s_and_b64 s[12:13], s[0:1], s[12:13]
	s_mov_b64 exec, s[12:13]
	s_cbranch_execz .LBB36_764
; %bb.763:
	v_lshlrev_b32_e32 v29, 3, v27
	ds_read_b64 v[29:30], v29 offset:25472
	ds_read_b64 v[31:32], v28
	s_waitcnt lgkmcnt(0)
	v_fma_f64 v[11:12], v[29:30], v[31:32], v[11:12]
.LBB36_764:
	s_or_b64 exec, exec, s[0:1]
	s_barrier
	;; [unrolled: 31-line block ×14, first 2 shown]
	s_mov_b64 s[0:1], exec
	v_readlane_b32 s12, v42, 61
	v_readlane_b32 s13, v42, 62
	s_and_b64 s[12:13], s[0:1], s[12:13]
	s_mov_b64 exec, s[12:13]
	s_cbranch_execz .LBB36_814
; %bb.813:
	v_mov_b32_e32 v27, 0
	ds_read_b64 v[29:30], v27 offset:32240
	s_waitcnt lgkmcnt(0)
	v_mul_f64 v[11:12], v[11:12], v[29:30]
	ds_write_b64 v28, v[11:12]
.LBB36_814:
	s_or_b64 exec, exec, s[0:1]
	s_waitcnt lgkmcnt(0)
	s_barrier
	s_and_saveexec_b64 s[0:1], s[92:93]
	s_cbranch_execz .LBB36_816
; %bb.815:
	v_mov_b32_e32 v27, 0
	ds_read_b64 v[29:30], v27 offset:32248
	ds_read_b64 v[31:32], v28
	s_waitcnt lgkmcnt(0)
	v_fma_f64 v[11:12], v[29:30], v[31:32], v[11:12]
.LBB36_816:
	s_or_b64 exec, exec, s[0:1]
	s_barrier
	s_and_saveexec_b64 s[0:1], s[92:93]
	s_cbranch_execz .LBB36_818
; %bb.817:
	v_mov_b32_e32 v27, 0
	ds_read_b64 v[29:30], v27 offset:32760
	s_waitcnt lgkmcnt(0)
	v_mul_f64 v[11:12], v[11:12], v[29:30]
	ds_write_b64 v28, v[11:12]
.LBB36_818:
	s_or_b64 exec, exec, s[0:1]
	s_waitcnt lgkmcnt(0)
	s_barrier
	s_barrier
	s_and_saveexec_b64 s[0:1], s[10:11]
; %bb.819:
	v_xor_b32_e32 v12, 0x80000000, v12
	ds_write_b64 v26, v[11:12] offset:16768
; %bb.820:
	s_or_b64 exec, exec, s[0:1]
	s_waitcnt lgkmcnt(0)
	s_barrier
	s_barrier
	s_mov_b64 s[0:1], exec
	v_readlane_b32 s10, v42, 63
	v_readlane_b32 s11, v41, 0
	s_and_b64 s[10:11], s[0:1], s[10:11]
	s_mov_b64 exec, s[10:11]
	s_cbranch_execz .LBB36_822
; %bb.821:
	v_lshlrev_b32_e32 v26, 9, v0
	ds_read_b64 v[11:12], v26 offset:16768
	s_movk_i32 s10, 0xfe08
	v_mad_i32_i24 v27, v0, s10, v26
	s_waitcnt lgkmcnt(0)
	ds_write_b64 v27, v[11:12] offset:24832
	ds_read_b64 v[11:12], v26 offset:16776
	s_waitcnt lgkmcnt(0)
	ds_write_b64 v27, v[11:12] offset:25344
	ds_read_b64 v[11:12], v26 offset:16784
	;; [unrolled: 3-line block ×15, first 2 shown]
	s_waitcnt lgkmcnt(0)
	ds_write_b64 v27, v[11:12] offset:32512
.LBB36_822:
	s_or_b64 exec, exec, s[0:1]
	s_waitcnt lgkmcnt(0)
	s_barrier
	s_and_saveexec_b64 s[0:1], vcc
	s_cbranch_execz .LBB36_824
; %bb.823:
	v_mov_b32_e32 v11, 0
	ds_read_b128 v[26:29], v11 offset:24960
	ds_read_b64 v[11:12], v11 offset:25480
	s_movk_i32 s10, 0x6000
	s_waitcnt lgkmcnt(0)
	v_mul_f64 v[11:12], v[26:27], v[11:12]
	v_add_u32_e64 v26, s10, 0
	v_mul_f64 v[11:12], v[28:29], v[11:12]
	ds_write2_b64 v26, v[11:12], v[11:12] offset0:49 offset1:112
.LBB36_824:
	s_or_b64 exec, exec, s[0:1]
	v_mov_b32_e32 v11, 0
	v_mov_b32_e32 v12, 0
	s_waitcnt lgkmcnt(0)
	s_barrier
	s_and_saveexec_b64 s[0:1], s[2:3]
	s_cbranch_execz .LBB36_828
; %bb.825:
	v_mul_u32_u24_e32 v26, 0x208, v15
	ds_read_b64 v[11:12], v1 offset:24976
	ds_read_b64 v[26:27], v26 offset:24960
	v_cmp_gt_u32_e64 s[10:11], 2, v14
	s_waitcnt lgkmcnt(0)
	v_fma_f64 v[11:12], v[11:12], v[26:27], 0
	s_and_saveexec_b64 s[12:13], s[10:11]
	s_cbranch_execz .LBB36_827
; %bb.826:
	v_lshlrev_b32_e32 v26, 3, v0
	v_mov_b32_e32 v28, 0
	ds_read_b64 v[26:27], v26 offset:25488
	ds_read_b64 v[28:29], v28 offset:24968
	s_waitcnt lgkmcnt(0)
	v_fma_f64 v[11:12], v[26:27], v[28:29], v[11:12]
.LBB36_827:
	s_or_b64 exec, exec, s[12:13]
	v_xor_b32_e32 v12, 0x80000000, v12
.LBB36_828:
	s_or_b64 exec, exec, s[0:1]
	s_and_saveexec_b64 s[0:1], s[34:35]
	s_cbranch_execz .LBB36_830
; %bb.829:
	v_mov_b32_e32 v26, 0
	ds_read_b64 v[26:27], v26 offset:26000
	s_waitcnt lgkmcnt(0)
	v_mul_f64 v[11:12], v[11:12], v[26:27]
	ds_write_b64 v13, v[11:12]
.LBB36_830:
	s_or_b64 exec, exec, s[0:1]
	s_waitcnt lgkmcnt(0)
	s_barrier
	s_and_saveexec_b64 s[0:1], s[30:31]
	s_cbranch_execz .LBB36_832
; %bb.831:
	v_mov_b32_e32 v26, 0
	ds_read_b64 v[26:27], v26 offset:26008
	ds_read_b64 v[28:29], v13
	s_waitcnt lgkmcnt(0)
	v_fma_f64 v[11:12], v[26:27], v[28:29], v[11:12]
.LBB36_832:
	s_or_b64 exec, exec, s[0:1]
	s_barrier
	s_and_saveexec_b64 s[0:1], s[30:31]
	s_cbranch_execz .LBB36_834
; %bb.833:
	v_mov_b32_e32 v26, 0
	ds_read_b64 v[26:27], v26 offset:26520
	s_waitcnt lgkmcnt(0)
	v_mul_f64 v[11:12], v[11:12], v[26:27]
	ds_write_b64 v13, v[11:12]
.LBB36_834:
	s_or_b64 exec, exec, s[0:1]
	s_waitcnt lgkmcnt(0)
	s_barrier
	s_barrier
	s_and_saveexec_b64 s[0:1], s[2:3]
; %bb.835:
	v_xor_b32_e32 v12, 0x80000000, v12
	ds_write_b64 v1, v[11:12] offset:24976
; %bb.836:
	s_or_b64 exec, exec, s[0:1]
	s_waitcnt lgkmcnt(0)
	s_barrier
	s_barrier
	s_and_saveexec_b64 s[0:1], s[36:37]
	s_cbranch_execz .LBB36_838
; %bb.837:
	v_lshlrev_b32_e32 v26, 3, v0
	s_movk_i32 s10, 0x1f8
	v_mad_u32_u24 v27, v0, s10, v26
	ds_read_b64 v[11:12], v27 offset:24976
	s_waitcnt lgkmcnt(0)
	ds_write_b64 v26, v[11:12] offset:25984
	ds_read_b64 v[11:12], v27 offset:24984
	s_waitcnt lgkmcnt(0)
	ds_write_b64 v26, v[11:12] offset:26496
.LBB36_838:
	s_or_b64 exec, exec, s[0:1]
	s_waitcnt lgkmcnt(0)
	s_barrier
	s_and_saveexec_b64 s[0:1], vcc
	s_cbranch_execz .LBB36_840
; %bb.839:
	v_mov_b32_e32 v11, 0
	ds_read_b128 v[26:29], v11 offset:26000
	ds_read_b64 v[11:12], v11 offset:26520
	s_movk_i32 s10, 0x6000
	s_waitcnt lgkmcnt(0)
	v_mul_f64 v[11:12], v[26:27], v[11:12]
	v_add_u32_e64 v26, s10, 0
	v_mul_f64 v[11:12], v[28:29], v[11:12]
	ds_write2_b64 v26, v[11:12], v[11:12] offset0:179 offset1:242
.LBB36_840:
	s_or_b64 exec, exec, s[0:1]
	v_mov_b32_e32 v11, 0
	v_mov_b32_e32 v12, 0
	s_waitcnt lgkmcnt(0)
	s_barrier
	s_and_saveexec_b64 s[0:1], s[18:19]
	s_cbranch_execz .LBB36_846
; %bb.841:
	v_mul_u32_u24_e32 v26, 0x208, v20
	ds_read_b64 v[11:12], v16 offset:24992
	ds_read_b64 v[27:28], v26 offset:24960
	v_cmp_gt_u32_e64 s[10:11], 12, v14
	s_waitcnt lgkmcnt(0)
	v_fma_f64 v[11:12], v[11:12], v[27:28], 0
	s_and_saveexec_b64 s[12:13], s[10:11]
	s_cbranch_execnz .LBB36_1137
; %bb.842:
	s_or_b64 exec, exec, s[12:13]
	v_cmp_gt_u32_e64 s[10:11], 8, v14
	s_and_saveexec_b64 s[12:13], s[10:11]
	s_cbranch_execnz .LBB36_1138
.LBB36_843:
	s_or_b64 exec, exec, s[12:13]
	v_cmp_gt_u32_e64 s[10:11], 4, v14
	s_and_saveexec_b64 s[12:13], s[10:11]
	s_cbranch_execz .LBB36_845
.LBB36_844:
	v_lshlrev_b32_e32 v26, 3, v0
	v_mov_b32_e32 v28, 0
	ds_read_b64 v[26:27], v26 offset:26528
	ds_read_b64 v[28:29], v28 offset:24984
	s_waitcnt lgkmcnt(0)
	v_fma_f64 v[11:12], v[26:27], v[28:29], v[11:12]
.LBB36_845:
	s_or_b64 exec, exec, s[12:13]
	v_xor_b32_e32 v12, 0x80000000, v12
.LBB36_846:
	s_or_b64 exec, exec, s[0:1]
	s_and_saveexec_b64 s[0:1], s[42:43]
	s_cbranch_execz .LBB36_848
; %bb.847:
	v_mov_b32_e32 v26, 0
	ds_read_b64 v[26:27], v26 offset:27040
	s_waitcnt lgkmcnt(0)
	v_mul_f64 v[11:12], v[11:12], v[26:27]
	ds_write_b64 v18, v[11:12]
.LBB36_848:
	s_or_b64 exec, exec, s[0:1]
	s_waitcnt lgkmcnt(0)
	s_barrier
	s_and_saveexec_b64 s[0:1], s[44:45]
	s_cbranch_execz .LBB36_850
; %bb.849:
	ds_read_b64 v[26:27], v17 offset:27040
	ds_read_b64 v[28:29], v18
	s_waitcnt lgkmcnt(0)
	v_fma_f64 v[11:12], v[26:27], v[28:29], v[11:12]
.LBB36_850:
	s_or_b64 exec, exec, s[0:1]
	s_barrier
	s_and_saveexec_b64 s[0:1], s[52:53]
	s_cbranch_execz .LBB36_852
; %bb.851:
	v_mov_b32_e32 v26, 0
	ds_read_b64 v[26:27], v26 offset:27560
	s_waitcnt lgkmcnt(0)
	v_mul_f64 v[11:12], v[11:12], v[26:27]
	ds_write_b64 v18, v[11:12]
.LBB36_852:
	s_or_b64 exec, exec, s[0:1]
	s_waitcnt lgkmcnt(0)
	s_barrier
	s_and_saveexec_b64 s[0:1], s[54:55]
	s_cbranch_execz .LBB36_854
; %bb.853:
	ds_read_b64 v[26:27], v17 offset:27552
	ds_read_b64 v[28:29], v18
	s_waitcnt lgkmcnt(0)
	v_fma_f64 v[11:12], v[26:27], v[28:29], v[11:12]
.LBB36_854:
	s_or_b64 exec, exec, s[0:1]
	s_barrier
	s_and_saveexec_b64 s[0:1], s[56:57]
	s_cbranch_execz .LBB36_856
; %bb.855:
	v_mov_b32_e32 v26, 0
	ds_read_b64 v[26:27], v26 offset:28080
	s_waitcnt lgkmcnt(0)
	v_mul_f64 v[11:12], v[11:12], v[26:27]
	ds_write_b64 v18, v[11:12]
.LBB36_856:
	s_or_b64 exec, exec, s[0:1]
	s_waitcnt lgkmcnt(0)
	s_barrier
	s_and_saveexec_b64 s[0:1], s[38:39]
	s_cbranch_execz .LBB36_858
; %bb.857:
	v_mov_b32_e32 v26, 0
	ds_read_b64 v[26:27], v26 offset:28088
	ds_read_b64 v[28:29], v18
	s_waitcnt lgkmcnt(0)
	v_fma_f64 v[11:12], v[26:27], v[28:29], v[11:12]
.LBB36_858:
	s_or_b64 exec, exec, s[0:1]
	s_barrier
	s_and_saveexec_b64 s[0:1], s[38:39]
	s_cbranch_execz .LBB36_860
; %bb.859:
	v_mov_b32_e32 v26, 0
	ds_read_b64 v[26:27], v26 offset:28600
	s_waitcnt lgkmcnt(0)
	v_mul_f64 v[11:12], v[11:12], v[26:27]
	ds_write_b64 v18, v[11:12]
.LBB36_860:
	s_or_b64 exec, exec, s[0:1]
	s_waitcnt lgkmcnt(0)
	s_barrier
	s_barrier
	s_and_saveexec_b64 s[0:1], s[18:19]
; %bb.861:
	v_xor_b32_e32 v12, 0x80000000, v12
	ds_write_b64 v16, v[11:12] offset:24992
; %bb.862:
	s_or_b64 exec, exec, s[0:1]
	s_waitcnt lgkmcnt(0)
	s_barrier
	s_barrier
	s_and_saveexec_b64 s[0:1], s[58:59]
	s_cbranch_execz .LBB36_864
; %bb.863:
	v_lshlrev_b32_e32 v26, 9, v0
	ds_read_b64 v[11:12], v26 offset:24992
	s_movk_i32 s10, 0xfe08
	v_mad_i32_i24 v27, v0, s10, v26
	s_waitcnt lgkmcnt(0)
	ds_write_b64 v27, v[11:12] offset:27008
	ds_read_b64 v[11:12], v26 offset:25000
	s_waitcnt lgkmcnt(0)
	ds_write_b64 v27, v[11:12] offset:27520
	ds_read_b64 v[11:12], v26 offset:25008
	;; [unrolled: 3-line block ×3, first 2 shown]
	s_waitcnt lgkmcnt(0)
	ds_write_b64 v27, v[11:12] offset:28544
.LBB36_864:
	s_or_b64 exec, exec, s[0:1]
	s_waitcnt lgkmcnt(0)
	s_barrier
	s_and_saveexec_b64 s[0:1], vcc
	s_cbranch_execz .LBB36_866
; %bb.865:
	v_mov_b32_e32 v11, 0
	ds_read_b128 v[26:29], v11 offset:27040
	ds_read_b64 v[11:12], v11 offset:27560
	s_movk_i32 s10, 0x6800
	s_waitcnt lgkmcnt(0)
	v_mul_f64 v[11:12], v[26:27], v[11:12]
	v_add_u32_e64 v26, s10, 0
	v_mul_f64 v[11:12], v[28:29], v[11:12]
	ds_write2_b64 v26, v[11:12], v[11:12] offset0:53 offset1:116
.LBB36_866:
	s_or_b64 exec, exec, s[0:1]
	v_mov_b32_e32 v11, 0
	v_mov_b32_e32 v12, 0
	s_waitcnt lgkmcnt(0)
	s_barrier
	s_and_saveexec_b64 s[0:1], s[2:3]
	s_cbranch_execz .LBB36_870
; %bb.867:
	v_mul_u32_u24_e32 v26, 0x208, v15
	ds_read_b64 v[11:12], v1 offset:27056
	ds_read_b64 v[26:27], v26 offset:27040
	v_cmp_gt_u32_e64 s[10:11], 2, v14
	s_waitcnt lgkmcnt(0)
	v_fma_f64 v[11:12], v[11:12], v[26:27], 0
	s_and_saveexec_b64 s[12:13], s[10:11]
	s_cbranch_execz .LBB36_869
; %bb.868:
	v_lshlrev_b32_e32 v26, 3, v0
	v_mov_b32_e32 v28, 0
	ds_read_b64 v[26:27], v26 offset:27568
	ds_read_b64 v[28:29], v28 offset:27048
	s_waitcnt lgkmcnt(0)
	v_fma_f64 v[11:12], v[26:27], v[28:29], v[11:12]
.LBB36_869:
	s_or_b64 exec, exec, s[12:13]
	v_xor_b32_e32 v12, 0x80000000, v12
.LBB36_870:
	s_or_b64 exec, exec, s[0:1]
	s_and_saveexec_b64 s[0:1], s[34:35]
	s_cbranch_execz .LBB36_872
; %bb.871:
	v_mov_b32_e32 v26, 0
	ds_read_b64 v[26:27], v26 offset:28080
	s_waitcnt lgkmcnt(0)
	v_mul_f64 v[11:12], v[11:12], v[26:27]
	ds_write_b64 v13, v[11:12]
.LBB36_872:
	s_or_b64 exec, exec, s[0:1]
	s_waitcnt lgkmcnt(0)
	s_barrier
	s_and_saveexec_b64 s[0:1], s[30:31]
	s_cbranch_execz .LBB36_874
; %bb.873:
	v_mov_b32_e32 v26, 0
	ds_read_b64 v[26:27], v26 offset:28088
	ds_read_b64 v[28:29], v13
	s_waitcnt lgkmcnt(0)
	v_fma_f64 v[11:12], v[26:27], v[28:29], v[11:12]
.LBB36_874:
	s_or_b64 exec, exec, s[0:1]
	s_barrier
	s_and_saveexec_b64 s[0:1], s[30:31]
	s_cbranch_execz .LBB36_876
; %bb.875:
	v_mov_b32_e32 v26, 0
	ds_read_b64 v[26:27], v26 offset:28600
	s_waitcnt lgkmcnt(0)
	v_mul_f64 v[11:12], v[11:12], v[26:27]
	ds_write_b64 v13, v[11:12]
.LBB36_876:
	s_or_b64 exec, exec, s[0:1]
	s_waitcnt lgkmcnt(0)
	s_barrier
	s_barrier
	s_and_saveexec_b64 s[0:1], s[2:3]
; %bb.877:
	v_xor_b32_e32 v12, 0x80000000, v12
	ds_write_b64 v1, v[11:12] offset:27056
; %bb.878:
	s_or_b64 exec, exec, s[0:1]
	s_waitcnt lgkmcnt(0)
	s_barrier
	s_barrier
	s_and_saveexec_b64 s[0:1], s[36:37]
	s_cbranch_execz .LBB36_880
; %bb.879:
	v_lshlrev_b32_e32 v26, 3, v0
	s_movk_i32 s10, 0x1f8
	v_mad_u32_u24 v27, v0, s10, v26
	ds_read_b64 v[11:12], v27 offset:27056
	s_waitcnt lgkmcnt(0)
	ds_write_b64 v26, v[11:12] offset:28064
	ds_read_b64 v[11:12], v27 offset:27064
	s_waitcnt lgkmcnt(0)
	ds_write_b64 v26, v[11:12] offset:28576
.LBB36_880:
	s_or_b64 exec, exec, s[0:1]
	s_waitcnt lgkmcnt(0)
	s_barrier
	s_and_saveexec_b64 s[0:1], vcc
	s_cbranch_execz .LBB36_882
; %bb.881:
	v_mov_b32_e32 v11, 0
	ds_read_b128 v[26:29], v11 offset:28080
	ds_read_b64 v[11:12], v11 offset:28600
	s_movk_i32 s10, 0x6800
	s_waitcnt lgkmcnt(0)
	v_mul_f64 v[11:12], v[26:27], v[11:12]
	v_add_u32_e64 v26, s10, 0
	v_mul_f64 v[11:12], v[28:29], v[11:12]
	ds_write2_b64 v26, v[11:12], v[11:12] offset0:183 offset1:246
.LBB36_882:
	s_or_b64 exec, exec, s[0:1]
	v_mov_b32_e32 v11, 0
	v_mov_b32_e32 v12, 0
	s_waitcnt lgkmcnt(0)
	s_barrier
	s_and_saveexec_b64 s[0:1], s[8:9]
	s_cbranch_execz .LBB36_892
; %bb.883:
	v_mul_u32_u24_e32 v26, 0x208, v25
	ds_read_b64 v[11:12], v21 offset:25024
	ds_read_b64 v[27:28], v26 offset:24960
	v_cmp_gt_u32_e64 s[10:11], 56, v14
	s_waitcnt lgkmcnt(0)
	v_fma_f64 v[11:12], v[11:12], v[27:28], 0
	s_and_saveexec_b64 s[12:13], s[10:11]
	s_cbranch_execnz .LBB36_1139
; %bb.884:
	s_or_b64 exec, exec, s[12:13]
	v_cmp_gt_u32_e64 s[10:11], 48, v14
	s_and_saveexec_b64 s[12:13], s[10:11]
	s_cbranch_execnz .LBB36_1140
.LBB36_885:
	s_or_b64 exec, exec, s[12:13]
	v_cmp_gt_u32_e64 s[10:11], 40, v14
	s_and_saveexec_b64 s[12:13], s[10:11]
	s_cbranch_execnz .LBB36_1141
.LBB36_886:
	s_or_b64 exec, exec, s[12:13]
	v_cmp_gt_u32_e64 s[10:11], 32, v14
	s_and_saveexec_b64 s[12:13], s[10:11]
	s_cbranch_execnz .LBB36_1142
.LBB36_887:
	s_or_b64 exec, exec, s[12:13]
	v_cmp_gt_u32_e64 s[10:11], 24, v14
	s_and_saveexec_b64 s[12:13], s[10:11]
	s_cbranch_execnz .LBB36_1143
.LBB36_888:
	s_or_b64 exec, exec, s[12:13]
	v_cmp_gt_u32_e64 s[10:11], 16, v14
	s_and_saveexec_b64 s[12:13], s[10:11]
	s_cbranch_execnz .LBB36_1144
.LBB36_889:
	s_or_b64 exec, exec, s[12:13]
	v_cmp_gt_u32_e64 s[10:11], 8, v14
	s_and_saveexec_b64 s[12:13], s[10:11]
	s_cbranch_execz .LBB36_891
.LBB36_890:
	v_lshlrev_b32_e32 v24, 3, v0
	v_mov_b32_e32 v26, 0
	ds_read_b64 v[24:25], v24 offset:28608
	ds_read_b64 v[26:27], v26 offset:25016
	s_waitcnt lgkmcnt(0)
	v_fma_f64 v[11:12], v[24:25], v[26:27], v[11:12]
.LBB36_891:
	s_or_b64 exec, exec, s[12:13]
	v_xor_b32_e32 v12, 0x80000000, v12
.LBB36_892:
	s_or_b64 exec, exec, s[0:1]
	s_and_saveexec_b64 s[0:1], s[60:61]
	s_cbranch_execz .LBB36_894
; %bb.893:
	v_mov_b32_e32 v24, 0
	ds_read_b64 v[24:25], v24 offset:29120
	s_waitcnt lgkmcnt(0)
	v_mul_f64 v[11:12], v[11:12], v[24:25]
	ds_write_b64 v23, v[11:12]
.LBB36_894:
	s_or_b64 exec, exec, s[0:1]
	s_waitcnt lgkmcnt(0)
	s_barrier
	s_and_saveexec_b64 s[0:1], s[62:63]
	v_readlane_b32 s60, v42, 3
	v_readlane_b32 s61, v42, 4
	s_cbranch_execz .LBB36_896
; %bb.895:
	ds_read_b64 v[24:25], v22 offset:29120
	ds_read_b64 v[26:27], v23
	s_waitcnt lgkmcnt(0)
	v_fma_f64 v[11:12], v[24:25], v[26:27], v[11:12]
.LBB36_896:
	s_or_b64 exec, exec, s[0:1]
	s_barrier
	s_and_saveexec_b64 s[0:1], s[64:65]
	s_cbranch_execz .LBB36_898
; %bb.897:
	v_mov_b32_e32 v24, 0
	ds_read_b64 v[24:25], v24 offset:29640
	s_waitcnt lgkmcnt(0)
	v_mul_f64 v[11:12], v[11:12], v[24:25]
	ds_write_b64 v23, v[11:12]
.LBB36_898:
	s_or_b64 exec, exec, s[0:1]
	s_waitcnt lgkmcnt(0)
	s_barrier
	s_and_saveexec_b64 s[0:1], s[66:67]
	s_cbranch_execz .LBB36_900
; %bb.899:
	ds_read_b64 v[24:25], v22 offset:29632
	ds_read_b64 v[26:27], v23
	s_waitcnt lgkmcnt(0)
	v_fma_f64 v[11:12], v[24:25], v[26:27], v[11:12]
.LBB36_900:
	s_or_b64 exec, exec, s[0:1]
	s_barrier
	s_and_saveexec_b64 s[0:1], s[68:69]
	s_cbranch_execz .LBB36_902
; %bb.901:
	v_mov_b32_e32 v24, 0
	ds_read_b64 v[24:25], v24 offset:30160
	s_waitcnt lgkmcnt(0)
	v_mul_f64 v[11:12], v[11:12], v[24:25]
	ds_write_b64 v23, v[11:12]
.LBB36_902:
	s_or_b64 exec, exec, s[0:1]
	s_waitcnt lgkmcnt(0)
	s_barrier
	s_and_saveexec_b64 s[0:1], s[72:73]
	;; [unrolled: 22-line block ×6, first 2 shown]
	s_cbranch_execz .LBB36_920
; %bb.919:
	v_mov_b32_e32 v22, 0
	ds_read_b64 v[24:25], v22 offset:32248
	ds_read_b64 v[26:27], v23
	s_waitcnt lgkmcnt(0)
	v_fma_f64 v[11:12], v[24:25], v[26:27], v[11:12]
.LBB36_920:
	s_or_b64 exec, exec, s[0:1]
	s_barrier
	s_and_saveexec_b64 s[0:1], s[70:71]
	s_cbranch_execz .LBB36_922
; %bb.921:
	v_mov_b32_e32 v22, 0
	ds_read_b64 v[24:25], v22 offset:32760
	s_waitcnt lgkmcnt(0)
	v_mul_f64 v[11:12], v[11:12], v[24:25]
	ds_write_b64 v23, v[11:12]
.LBB36_922:
	s_or_b64 exec, exec, s[0:1]
	s_waitcnt lgkmcnt(0)
	s_barrier
	s_barrier
	s_and_saveexec_b64 s[0:1], s[8:9]
; %bb.923:
	v_xor_b32_e32 v12, 0x80000000, v12
	ds_write_b64 v21, v[11:12] offset:25024
; %bb.924:
	s_or_b64 exec, exec, s[0:1]
	s_waitcnt lgkmcnt(0)
	s_barrier
	s_barrier
	s_and_saveexec_b64 s[0:1], s[88:89]
	s_cbranch_execz .LBB36_926
; %bb.925:
	v_lshlrev_b32_e32 v21, 9, v0
	ds_read_b64 v[11:12], v21 offset:25024
	s_movk_i32 s8, 0xfe08
	v_mad_i32_i24 v22, v0, s8, v21
	s_waitcnt lgkmcnt(0)
	ds_write_b64 v22, v[11:12] offset:29056
	ds_read_b64 v[11:12], v21 offset:25032
	s_waitcnt lgkmcnt(0)
	ds_write_b64 v22, v[11:12] offset:29568
	ds_read_b64 v[11:12], v21 offset:25040
	;; [unrolled: 3-line block ×7, first 2 shown]
	s_waitcnt lgkmcnt(0)
	ds_write_b64 v22, v[11:12] offset:32640
.LBB36_926:
	s_or_b64 exec, exec, s[0:1]
	s_waitcnt lgkmcnt(0)
	s_barrier
	s_and_saveexec_b64 s[0:1], vcc
	s_cbranch_execz .LBB36_928
; %bb.927:
	v_mov_b32_e32 v11, 0
	ds_read_b128 v[21:24], v11 offset:29120
	ds_read_b64 v[11:12], v11 offset:29640
	s_movk_i32 s8, 0x7000
	s_waitcnt lgkmcnt(0)
	v_mul_f64 v[11:12], v[21:22], v[11:12]
	v_add_u32_e64 v21, s8, 0
	v_mul_f64 v[11:12], v[23:24], v[11:12]
	ds_write2_b64 v21, v[11:12], v[11:12] offset0:57 offset1:120
.LBB36_928:
	s_or_b64 exec, exec, s[0:1]
	v_mov_b32_e32 v11, 0
	v_mov_b32_e32 v12, 0
	s_waitcnt lgkmcnt(0)
	s_barrier
	s_and_saveexec_b64 s[0:1], s[2:3]
	s_cbranch_execz .LBB36_932
; %bb.929:
	v_mul_u32_u24_e32 v21, 0x208, v15
	ds_read_b64 v[11:12], v1 offset:29136
	ds_read_b64 v[21:22], v21 offset:29120
	v_cmp_gt_u32_e64 s[8:9], 2, v14
	s_waitcnt lgkmcnt(0)
	v_fma_f64 v[11:12], v[11:12], v[21:22], 0
	s_and_saveexec_b64 s[10:11], s[8:9]
	s_cbranch_execz .LBB36_931
; %bb.930:
	v_lshlrev_b32_e32 v21, 3, v0
	v_mov_b32_e32 v23, 0
	ds_read_b64 v[21:22], v21 offset:29648
	ds_read_b64 v[23:24], v23 offset:29128
	s_waitcnt lgkmcnt(0)
	v_fma_f64 v[11:12], v[21:22], v[23:24], v[11:12]
.LBB36_931:
	s_or_b64 exec, exec, s[10:11]
	v_xor_b32_e32 v12, 0x80000000, v12
.LBB36_932:
	s_or_b64 exec, exec, s[0:1]
	s_and_saveexec_b64 s[0:1], s[34:35]
	s_cbranch_execz .LBB36_934
; %bb.933:
	v_mov_b32_e32 v21, 0
	ds_read_b64 v[21:22], v21 offset:30160
	s_waitcnt lgkmcnt(0)
	v_mul_f64 v[11:12], v[11:12], v[21:22]
	ds_write_b64 v13, v[11:12]
.LBB36_934:
	s_or_b64 exec, exec, s[0:1]
	s_waitcnt lgkmcnt(0)
	s_barrier
	s_and_saveexec_b64 s[0:1], s[30:31]
	s_cbranch_execz .LBB36_936
; %bb.935:
	v_mov_b32_e32 v21, 0
	ds_read_b64 v[21:22], v21 offset:30168
	ds_read_b64 v[23:24], v13
	s_waitcnt lgkmcnt(0)
	v_fma_f64 v[11:12], v[21:22], v[23:24], v[11:12]
.LBB36_936:
	s_or_b64 exec, exec, s[0:1]
	s_barrier
	s_and_saveexec_b64 s[0:1], s[30:31]
	s_cbranch_execz .LBB36_938
; %bb.937:
	v_mov_b32_e32 v21, 0
	ds_read_b64 v[21:22], v21 offset:30680
	s_waitcnt lgkmcnt(0)
	v_mul_f64 v[11:12], v[11:12], v[21:22]
	ds_write_b64 v13, v[11:12]
.LBB36_938:
	s_or_b64 exec, exec, s[0:1]
	s_waitcnt lgkmcnt(0)
	s_barrier
	s_barrier
	s_and_saveexec_b64 s[0:1], s[2:3]
; %bb.939:
	v_xor_b32_e32 v12, 0x80000000, v12
	ds_write_b64 v1, v[11:12] offset:29136
; %bb.940:
	s_or_b64 exec, exec, s[0:1]
	s_waitcnt lgkmcnt(0)
	s_barrier
	s_barrier
	s_and_saveexec_b64 s[0:1], s[36:37]
	s_cbranch_execz .LBB36_942
; %bb.941:
	v_lshlrev_b32_e32 v21, 3, v0
	s_movk_i32 s8, 0x1f8
	v_mad_u32_u24 v22, v0, s8, v21
	ds_read_b64 v[11:12], v22 offset:29136
	s_waitcnt lgkmcnt(0)
	ds_write_b64 v21, v[11:12] offset:30144
	ds_read_b64 v[11:12], v22 offset:29144
	s_waitcnt lgkmcnt(0)
	ds_write_b64 v21, v[11:12] offset:30656
.LBB36_942:
	s_or_b64 exec, exec, s[0:1]
	s_waitcnt lgkmcnt(0)
	s_barrier
	s_and_saveexec_b64 s[0:1], vcc
	s_cbranch_execz .LBB36_944
; %bb.943:
	v_mov_b32_e32 v11, 0
	ds_read_b128 v[21:24], v11 offset:30160
	ds_read_b64 v[11:12], v11 offset:30680
	s_movk_i32 s8, 0x7000
	s_waitcnt lgkmcnt(0)
	v_mul_f64 v[11:12], v[21:22], v[11:12]
	v_add_u32_e64 v21, s8, 0
	v_mul_f64 v[11:12], v[23:24], v[11:12]
	ds_write2_b64 v21, v[11:12], v[11:12] offset0:187 offset1:250
.LBB36_944:
	s_or_b64 exec, exec, s[0:1]
	v_mov_b32_e32 v11, 0
	v_mov_b32_e32 v12, 0
	s_waitcnt lgkmcnt(0)
	s_barrier
	s_and_saveexec_b64 s[0:1], s[18:19]
	s_cbranch_execz .LBB36_950
; %bb.945:
	v_mul_u32_u24_e32 v21, 0x208, v20
	ds_read_b64 v[11:12], v16 offset:29152
	ds_read_b64 v[22:23], v21 offset:29120
	v_cmp_gt_u32_e64 s[8:9], 12, v14
	s_waitcnt lgkmcnt(0)
	v_fma_f64 v[11:12], v[11:12], v[22:23], 0
	s_and_saveexec_b64 s[10:11], s[8:9]
	s_cbranch_execnz .LBB36_1145
; %bb.946:
	s_or_b64 exec, exec, s[10:11]
	v_cmp_gt_u32_e64 s[8:9], 8, v14
	s_and_saveexec_b64 s[10:11], s[8:9]
	s_cbranch_execnz .LBB36_1146
.LBB36_947:
	s_or_b64 exec, exec, s[10:11]
	v_cmp_gt_u32_e64 s[8:9], 4, v14
	s_and_saveexec_b64 s[10:11], s[8:9]
	s_cbranch_execz .LBB36_949
.LBB36_948:
	v_lshlrev_b32_e32 v19, 3, v0
	v_mov_b32_e32 v21, 0
	ds_read_b64 v[19:20], v19 offset:30688
	ds_read_b64 v[21:22], v21 offset:29144
	s_waitcnt lgkmcnt(0)
	v_fma_f64 v[11:12], v[19:20], v[21:22], v[11:12]
.LBB36_949:
	s_or_b64 exec, exec, s[10:11]
	v_xor_b32_e32 v12, 0x80000000, v12
.LBB36_950:
	s_or_b64 exec, exec, s[0:1]
	s_and_saveexec_b64 s[0:1], s[42:43]
	s_cbranch_execz .LBB36_952
; %bb.951:
	v_mov_b32_e32 v19, 0
	ds_read_b64 v[19:20], v19 offset:31200
	s_waitcnt lgkmcnt(0)
	v_mul_f64 v[11:12], v[11:12], v[19:20]
	ds_write_b64 v18, v[11:12]
.LBB36_952:
	s_or_b64 exec, exec, s[0:1]
	s_waitcnt lgkmcnt(0)
	s_barrier
	s_and_saveexec_b64 s[0:1], s[44:45]
	v_readlane_b32 s42, v42, 2
	s_cbranch_execz .LBB36_954
; %bb.953:
	ds_read_b64 v[19:20], v17 offset:31200
	ds_read_b64 v[21:22], v18
	s_waitcnt lgkmcnt(0)
	v_fma_f64 v[11:12], v[19:20], v[21:22], v[11:12]
.LBB36_954:
	s_or_b64 exec, exec, s[0:1]
	s_barrier
	s_and_saveexec_b64 s[0:1], s[52:53]
	s_cbranch_execz .LBB36_956
; %bb.955:
	v_mov_b32_e32 v19, 0
	ds_read_b64 v[19:20], v19 offset:31720
	s_waitcnt lgkmcnt(0)
	v_mul_f64 v[11:12], v[11:12], v[19:20]
	ds_write_b64 v18, v[11:12]
.LBB36_956:
	s_or_b64 exec, exec, s[0:1]
	s_waitcnt lgkmcnt(0)
	s_barrier
	s_and_saveexec_b64 s[0:1], s[54:55]
	s_cbranch_execz .LBB36_958
; %bb.957:
	ds_read_b64 v[19:20], v17 offset:31712
	ds_read_b64 v[21:22], v18
	s_waitcnt lgkmcnt(0)
	v_fma_f64 v[11:12], v[19:20], v[21:22], v[11:12]
.LBB36_958:
	s_or_b64 exec, exec, s[0:1]
	s_barrier
	s_and_saveexec_b64 s[0:1], s[56:57]
	s_cbranch_execz .LBB36_960
; %bb.959:
	v_mov_b32_e32 v17, 0
	ds_read_b64 v[19:20], v17 offset:32240
	s_waitcnt lgkmcnt(0)
	v_mul_f64 v[11:12], v[11:12], v[19:20]
	ds_write_b64 v18, v[11:12]
.LBB36_960:
	s_or_b64 exec, exec, s[0:1]
	s_waitcnt lgkmcnt(0)
	s_barrier
	s_and_saveexec_b64 s[0:1], s[38:39]
	s_cbranch_execz .LBB36_962
; %bb.961:
	v_mov_b32_e32 v17, 0
	ds_read_b64 v[19:20], v17 offset:32248
	ds_read_b64 v[21:22], v18
	s_waitcnt lgkmcnt(0)
	v_fma_f64 v[11:12], v[19:20], v[21:22], v[11:12]
.LBB36_962:
	s_or_b64 exec, exec, s[0:1]
	s_barrier
	s_and_saveexec_b64 s[0:1], s[38:39]
	s_cbranch_execz .LBB36_964
; %bb.963:
	v_mov_b32_e32 v17, 0
	ds_read_b64 v[19:20], v17 offset:32760
	s_waitcnt lgkmcnt(0)
	v_mul_f64 v[11:12], v[11:12], v[19:20]
	ds_write_b64 v18, v[11:12]
.LBB36_964:
	s_or_b64 exec, exec, s[0:1]
	s_waitcnt lgkmcnt(0)
	s_barrier
	s_barrier
	s_and_saveexec_b64 s[0:1], s[18:19]
; %bb.965:
	v_xor_b32_e32 v12, 0x80000000, v12
	ds_write_b64 v16, v[11:12] offset:29152
; %bb.966:
	s_or_b64 exec, exec, s[0:1]
	s_waitcnt lgkmcnt(0)
	s_barrier
	s_barrier
	s_and_saveexec_b64 s[0:1], s[58:59]
	s_cbranch_execz .LBB36_968
; %bb.967:
	v_lshlrev_b32_e32 v16, 9, v0
	ds_read_b64 v[11:12], v16 offset:29152
	s_movk_i32 s8, 0xfe08
	v_mad_i32_i24 v17, v0, s8, v16
	s_waitcnt lgkmcnt(0)
	ds_write_b64 v17, v[11:12] offset:31168
	ds_read_b64 v[11:12], v16 offset:29160
	s_waitcnt lgkmcnt(0)
	ds_write_b64 v17, v[11:12] offset:31680
	ds_read_b64 v[11:12], v16 offset:29168
	;; [unrolled: 3-line block ×3, first 2 shown]
	s_waitcnt lgkmcnt(0)
	ds_write_b64 v17, v[11:12] offset:32704
.LBB36_968:
	s_or_b64 exec, exec, s[0:1]
	s_waitcnt lgkmcnt(0)
	s_barrier
	s_and_saveexec_b64 s[0:1], vcc
	s_cbranch_execz .LBB36_970
; %bb.969:
	v_mov_b32_e32 v11, 0
	ds_read_b128 v[16:19], v11 offset:31200
	ds_read_b64 v[11:12], v11 offset:31720
	s_movk_i32 s8, 0x7800
	s_waitcnt lgkmcnt(0)
	v_mul_f64 v[11:12], v[16:17], v[11:12]
	v_add_u32_e64 v16, s8, 0
	v_mul_f64 v[11:12], v[18:19], v[11:12]
	ds_write2_b64 v16, v[11:12], v[11:12] offset0:61 offset1:124
.LBB36_970:
	s_or_b64 exec, exec, s[0:1]
	v_mov_b32_e32 v11, 0
	v_mov_b32_e32 v12, 0
	s_waitcnt lgkmcnt(0)
	s_barrier
	s_and_saveexec_b64 s[0:1], s[2:3]
	s_cbranch_execz .LBB36_974
; %bb.971:
	v_mul_u32_u24_e32 v15, 0x208, v15
	ds_read_b64 v[11:12], v1 offset:31216
	ds_read_b64 v[15:16], v15 offset:31200
	v_cmp_gt_u32_e64 s[8:9], 2, v14
	s_waitcnt lgkmcnt(0)
	v_fma_f64 v[11:12], v[11:12], v[15:16], 0
	s_and_saveexec_b64 s[10:11], s[8:9]
	s_cbranch_execz .LBB36_973
; %bb.972:
	v_lshlrev_b32_e32 v14, 3, v0
	v_mov_b32_e32 v16, 0
	ds_read_b64 v[14:15], v14 offset:31728
	ds_read_b64 v[16:17], v16 offset:31208
	s_waitcnt lgkmcnt(0)
	v_fma_f64 v[11:12], v[14:15], v[16:17], v[11:12]
.LBB36_973:
	s_or_b64 exec, exec, s[10:11]
	v_xor_b32_e32 v12, 0x80000000, v12
.LBB36_974:
	s_or_b64 exec, exec, s[0:1]
	s_and_saveexec_b64 s[0:1], s[34:35]
	s_cbranch_execz .LBB36_976
; %bb.975:
	v_mov_b32_e32 v14, 0
	ds_read_b64 v[14:15], v14 offset:32240
	s_waitcnt lgkmcnt(0)
	v_mul_f64 v[11:12], v[11:12], v[14:15]
	ds_write_b64 v13, v[11:12]
.LBB36_976:
	s_or_b64 exec, exec, s[0:1]
	s_waitcnt lgkmcnt(0)
	s_barrier
	s_and_saveexec_b64 s[0:1], s[30:31]
	s_load_dword s28, s[4:5], 0x6c
	v_readlane_b32 s34, v42, 0
	v_readlane_b32 s35, v42, 1
	s_cbranch_execz .LBB36_978
; %bb.977:
	v_mov_b32_e32 v14, 0
	ds_read_b64 v[14:15], v14 offset:32248
	ds_read_b64 v[16:17], v13
	s_waitcnt lgkmcnt(0)
	v_fma_f64 v[11:12], v[14:15], v[16:17], v[11:12]
.LBB36_978:
	s_or_b64 exec, exec, s[0:1]
	s_waitcnt lgkmcnt(0)
	s_barrier
	s_and_saveexec_b64 s[0:1], s[30:31]
	s_cbranch_execz .LBB36_980
; %bb.979:
	v_mov_b32_e32 v14, 0
	ds_read_b64 v[14:15], v14 offset:32760
	s_waitcnt lgkmcnt(0)
	v_mul_f64 v[11:12], v[11:12], v[14:15]
	ds_write_b64 v13, v[11:12]
.LBB36_980:
	s_or_b64 exec, exec, s[0:1]
	s_waitcnt lgkmcnt(0)
	s_barrier
	s_barrier
	s_and_saveexec_b64 s[0:1], s[2:3]
; %bb.981:
	v_xor_b32_e32 v12, 0x80000000, v12
	ds_write_b64 v1, v[11:12] offset:31216
; %bb.982:
	s_or_b64 exec, exec, s[0:1]
	s_waitcnt lgkmcnt(0)
	s_barrier
	s_barrier
	s_and_saveexec_b64 s[0:1], s[36:37]
	s_cbranch_execz .LBB36_984
; %bb.983:
	v_lshlrev_b32_e32 v1, 3, v0
	s_movk_i32 s2, 0x1f8
	v_mad_u32_u24 v13, v0, s2, v1
	ds_read_b64 v[11:12], v13 offset:31216
	s_waitcnt lgkmcnt(0)
	ds_write_b64 v1, v[11:12] offset:32224
	ds_read_b64 v[11:12], v13 offset:31224
	s_waitcnt lgkmcnt(0)
	ds_write_b64 v1, v[11:12] offset:32736
.LBB36_984:
	s_or_b64 exec, exec, s[0:1]
	s_waitcnt lgkmcnt(0)
	s_barrier
	s_and_saveexec_b64 s[0:1], vcc
	s_cbranch_execz .LBB36_986
; %bb.985:
	v_mov_b32_e32 v1, 0
	ds_read_b128 v[11:14], v1 offset:32240
	ds_read_b64 v[15:16], v1 offset:32760
	s_movk_i32 s2, 0x7800
	v_add_u32_e64 v1, s2, 0
	s_waitcnt lgkmcnt(0)
	v_mul_f64 v[11:12], v[11:12], v[15:16]
	v_mul_f64 v[11:12], v[13:14], v[11:12]
	ds_write2_b64 v1, v[11:12], v[11:12] offset0:191 offset1:254
.LBB36_986:
	s_or_b64 exec, exec, s[0:1]
.LBB36_987:
	s_load_dwordx4 s[12:15], s[4:5], 0x48
	v_cmp_le_i32_e32 vcc, s90, v0
	v_mov_b32_e32 v11, 0
	v_mov_b32_e32 v12, 0
	v_add_u32_e32 v13, s33, v0
	s_waitcnt lgkmcnt(0)
	s_mul_i32 s1, s13, s22
	s_mul_hi_u32 s2, s12, s22
	s_mul_i32 s0, s12, s22
	s_add_i32 s1, s2, s1
	s_lshl_b64 s[0:1], s[0:1], 3
	s_add_u32 s2, s46, s0
	s_addc_u32 s3, s47, s1
	s_lshl_b64 s[0:1], s[48:49], 3
	s_add_u32 s20, s2, s0
	s_addc_u32 s21, s3, s1
	s_and_b64 s[16:17], vcc, s[26:27]
	v_cmp_eq_u32_e64 s[2:3], 0, v2
	s_xor_b64 s[0:1], s[16:17], -1
	s_and_b64 s[4:5], s[2:3], s[0:1]
	s_barrier
	s_and_saveexec_b64 s[0:1], s[4:5]
	s_cbranch_execz .LBB36_989
; %bb.988:
	v_ashrrev_i32_e32 v1, 31, v13
	v_mul_lo_u32 v14, s51, v13
	v_mad_u64_u32 v[11:12], s[4:5], s50, v13, 0
	v_mul_lo_u32 v1, s50, v1
	v_add3_u32 v12, v12, v1, v14
	v_lshlrev_b64 v[11:12], 3, v[11:12]
	v_mov_b32_e32 v1, s21
	v_add_co_u32_e32 v11, vcc, s20, v11
	v_addc_co_u32_e32 v12, vcc, v1, v12, vcc
	global_load_dwordx2 v[11:12], v[11:12], off
	s_waitcnt vmcnt(0)
	v_mul_f64 v[11:12], v[11:12], -s[34:35]
.LBB36_989:
	s_or_b64 exec, exec, s[0:1]
	s_and_b32 s0, 0xffff, s28
	v_mad_u32_u24 v18, v2, s0, v0
	v_mov_b32_e32 v1, 0
	s_cmp_lt_i32 s6, 1
	v_cmp_eq_u32_e64 s[4:5], 0, v18
	s_cbranch_scc1 .LBB36_1015
; %bb.990:
	v_ashrrev_i32_e32 v16, 31, v13
	v_mul_lo_u32 v17, s41, v13
	v_mad_u64_u32 v[14:15], s[0:1], s40, v13, 0
	v_mul_lo_u32 v16, s40, v16
	v_cmp_gt_i32_e64 s[8:9], s24, v13
	s_lshl_b64 s[0:1], s[22:23], 2
	s_add_u32 s0, s14, s0
	v_add3_u32 v15, v15, v16, v17
	v_lshlrev_b64 v[13:14], 3, v[14:15]
	v_mov_b32_e32 v16, 0xa000
	v_mov_b32_e32 v15, s94
	v_add_co_u32_e32 v21, vcc, s91, v13
	s_mov_b32 s28, 0
	s_addc_u32 s1, s15, s1
	v_cmp_gt_u32_e64 s[12:13], 64, v18
	v_lshl_add_u32 v19, v18, 3, v16
	v_lshl_or_b32 v20, v2, 3, v16
	s_add_i32 s95, s95, 1
	v_addc_co_u32_e32 v22, vcc, v15, v14, vcc
	v_mov_b32_e32 v23, -1
	s_branch .LBB36_993
.LBB36_991:                             ;   in Loop: Header=BB36_993 Depth=1
	ds_read_b64 v[13:14], v20 offset:384
	s_waitcnt vmcnt(0) lgkmcnt(0)
	v_fma_f64 v[11:12], v[15:16], v[13:14], v[11:12]
.LBB36_992:                             ;   in Loop: Header=BB36_993 Depth=1
	s_or_b64 exec, exec, s[18:19]
	s_add_i32 s28, s28, 1
	s_cmp_eq_u32 s28, s6
	s_cbranch_scc1 .LBB36_1015
.LBB36_993:                             ; =>This Loop Header: Depth=1
                                        ;     Child Loop BB36_995 Depth 2
	v_cmp_gt_i32_e32 vcc, s28, v23
	s_and_b64 s[18:19], s[4:5], vcc
	s_and_saveexec_b64 s[10:11], s[18:19]
	s_cbranch_execz .LBB36_996
; %bb.994:                              ;   in Loop: Header=BB36_993 Depth=1
	global_load_dword v23, v1, s[0:1]
	s_waitcnt vmcnt(0)
	v_cmp_le_i32_e32 vcc, s28, v23
	s_cbranch_vccnz .LBB36_996
.LBB36_995:                             ;   Parent Loop BB36_993 Depth=1
                                        ; =>  This Inner Loop Header: Depth=2
	buffer_wbinvl1_vol
	global_load_dword v23, v1, s[0:1]
	s_waitcnt vmcnt(0)
	v_cmp_gt_i32_e32 vcc, s28, v23
	s_cbranch_vccnz .LBB36_995
.LBB36_996:                             ;   in Loop: Header=BB36_993 Depth=1
	s_or_b64 exec, exec, s[10:11]
	s_sub_i32 s29, s7, s28
	s_lshl_b32 s30, s29, 6
	buffer_wbinvl1_vol
	s_barrier
	s_and_saveexec_b64 s[10:11], s[12:13]
	s_cbranch_execz .LBB36_1000
; %bb.997:                              ;   in Loop: Header=BB36_993 Depth=1
	s_ashr_i32 s18, s30, 31
	v_mov_b32_e32 v14, s18
	v_or_b32_e32 v13, s30, v18
	v_cmp_gt_i64_e32 vcc, s[24:25], v[13:14]
	v_mov_b32_e32 v15, 0
	v_mov_b32_e32 v16, 0
	s_and_saveexec_b64 s[18:19], vcc
	s_cbranch_execz .LBB36_999
; %bb.998:                              ;   in Loop: Header=BB36_993 Depth=1
	v_mul_lo_u32 v15, v14, s50
	v_mul_lo_u32 v16, v13, s51
	v_mad_u64_u32 v[13:14], s[34:35], v13, s50, 0
	v_add3_u32 v14, v14, v16, v15
	v_lshlrev_b64 v[13:14], 3, v[13:14]
	v_mov_b32_e32 v15, s21
	v_add_co_u32_e32 v13, vcc, s20, v13
	v_addc_co_u32_e32 v14, vcc, v15, v14, vcc
	global_load_dwordx2 v[15:16], v[13:14], off
.LBB36_999:                             ;   in Loop: Header=BB36_993 Depth=1
	s_or_b64 exec, exec, s[18:19]
	s_waitcnt vmcnt(0)
	ds_write_b64 v19, v[15:16]
.LBB36_1000:                            ;   in Loop: Header=BB36_993 Depth=1
	s_or_b64 exec, exec, s[10:11]
	v_add_u32_e32 v15, s30, v2
	v_ashrrev_i32_e32 v16, 31, v15
	v_lshlrev_b64 v[13:14], 3, v[15:16]
	s_cmp_lg_u32 s29, s95
	v_add_co_u32_e32 v13, vcc, v21, v13
	s_cselect_b64 s[10:11], -1, 0
	v_addc_co_u32_e32 v14, vcc, v22, v14, vcc
	v_cmp_gt_i32_e32 vcc, s24, v15
	v_cndmask_b32_e64 v16, 0, 1, s[10:11]
	s_and_b64 s[30:31], vcc, s[8:9]
	v_cmp_ne_u32_e64 s[10:11], 1, v16
	s_waitcnt lgkmcnt(0)
	s_barrier
	s_and_saveexec_b64 s[18:19], s[30:31]
	s_cbranch_execz .LBB36_1004
; %bb.1001:                             ;   in Loop: Header=BB36_993 Depth=1
	v_mov_b32_e32 v17, v6
	s_and_b64 vcc, exec, s[10:11]
	v_mov_b32_e32 v16, v5
	s_cbranch_vccnz .LBB36_1003
; %bb.1002:                             ;   in Loop: Header=BB36_993 Depth=1
	global_load_dwordx2 v[16:17], v[13:14], off
.LBB36_1003:                            ;   in Loop: Header=BB36_993 Depth=1
	ds_read_b64 v[24:25], v20
	s_waitcnt vmcnt(0) lgkmcnt(0)
	v_fma_f64 v[11:12], v[16:17], v[24:25], v[11:12]
.LBB36_1004:                            ;   in Loop: Header=BB36_993 Depth=1
	s_or_b64 exec, exec, s[18:19]
	v_add_u32_e32 v16, 16, v15
	v_cmp_gt_i32_e32 vcc, s24, v16
	s_and_b64 s[30:31], vcc, s[8:9]
	s_and_saveexec_b64 s[18:19], s[30:31]
	s_cbranch_execz .LBB36_1008
; %bb.1005:                             ;   in Loop: Header=BB36_993 Depth=1
	v_mov_b32_e32 v17, v4
	s_and_b64 vcc, exec, s[10:11]
	v_mov_b32_e32 v16, v3
	s_cbranch_vccnz .LBB36_1007
; %bb.1006:                             ;   in Loop: Header=BB36_993 Depth=1
	global_load_dwordx2 v[16:17], v[13:14], off offset:128
.LBB36_1007:                            ;   in Loop: Header=BB36_993 Depth=1
	ds_read_b64 v[24:25], v20 offset:128
	s_waitcnt vmcnt(0) lgkmcnt(0)
	v_fma_f64 v[11:12], v[16:17], v[24:25], v[11:12]
.LBB36_1008:                            ;   in Loop: Header=BB36_993 Depth=1
	s_or_b64 exec, exec, s[18:19]
	v_add_u32_e32 v16, 32, v15
	v_cmp_gt_i32_e32 vcc, s24, v16
	s_and_b64 s[30:31], vcc, s[8:9]
	s_and_saveexec_b64 s[18:19], s[30:31]
	s_cbranch_execz .LBB36_1012
; %bb.1009:                             ;   in Loop: Header=BB36_993 Depth=1
	v_mov_b32_e32 v17, v10
	s_and_b64 vcc, exec, s[10:11]
	v_mov_b32_e32 v16, v9
	s_cbranch_vccnz .LBB36_1011
; %bb.1010:                             ;   in Loop: Header=BB36_993 Depth=1
	global_load_dwordx2 v[16:17], v[13:14], off offset:256
.LBB36_1011:                            ;   in Loop: Header=BB36_993 Depth=1
	ds_read_b64 v[24:25], v20 offset:256
	s_waitcnt vmcnt(0) lgkmcnt(0)
	v_fma_f64 v[11:12], v[16:17], v[24:25], v[11:12]
.LBB36_1012:                            ;   in Loop: Header=BB36_993 Depth=1
	s_or_b64 exec, exec, s[18:19]
	v_add_u32_e32 v15, 48, v15
	v_cmp_gt_i32_e32 vcc, s24, v15
	s_and_b64 s[30:31], vcc, s[8:9]
	s_and_saveexec_b64 s[18:19], s[30:31]
	s_cbranch_execz .LBB36_992
; %bb.1013:                             ;   in Loop: Header=BB36_993 Depth=1
	v_mov_b32_e32 v16, v8
	s_and_b64 vcc, exec, s[10:11]
	v_mov_b32_e32 v15, v7
	s_cbranch_vccnz .LBB36_991
; %bb.1014:                             ;   in Loop: Header=BB36_993 Depth=1
	global_load_dwordx2 v[15:16], v[13:14], off offset:384
	s_branch .LBB36_991
.LBB36_1015:
	v_lshl_add_u32 v1, v2, 6, v0
	s_xor_b64 s[0:1], s[26:27], -1
	v_lshlrev_b32_e32 v1, 3, v1
	ds_write_b64 v1, v[11:12] offset:32768
	s_waitcnt lgkmcnt(0)
	s_barrier
	s_and_saveexec_b64 s[4:5], s[2:3]
	s_cbranch_execz .LBB36_1017
; %bb.1016:
	v_lshlrev_b32_e32 v15, 3, v0
	ds_read2st64_b64 v[3:6], v15 offset0:65 offset1:66
	ds_read_b64 v[13:14], v15 offset:40448
	s_waitcnt lgkmcnt(1)
	v_add_f64 v[3:4], v[11:12], v[3:4]
	v_add_f64 v[11:12], v[3:4], v[5:6]
	ds_read2st64_b64 v[3:6], v15 offset0:67 offset1:68
	ds_read2st64_b64 v[7:10], v15 offset0:69 offset1:70
	s_waitcnt lgkmcnt(1)
	v_add_f64 v[3:4], v[11:12], v[3:4]
	v_add_f64 v[3:4], v[3:4], v[5:6]
	s_waitcnt lgkmcnt(0)
	v_add_f64 v[3:4], v[3:4], v[7:8]
	v_add_f64 v[11:12], v[3:4], v[9:10]
	ds_read2st64_b64 v[3:6], v15 offset0:71 offset1:72
	ds_read2st64_b64 v[7:10], v15 offset0:73 offset1:74
	s_waitcnt lgkmcnt(1)
	v_add_f64 v[3:4], v[11:12], v[3:4]
	v_add_f64 v[3:4], v[3:4], v[5:6]
	s_waitcnt lgkmcnt(0)
	v_add_f64 v[3:4], v[3:4], v[7:8]
	v_add_f64 v[11:12], v[3:4], v[9:10]
	ds_read2st64_b64 v[3:6], v15 offset0:75 offset1:76
	ds_read2st64_b64 v[7:10], v15 offset0:77 offset1:78
	s_waitcnt lgkmcnt(1)
	v_add_f64 v[3:4], v[11:12], v[3:4]
	v_add_f64 v[3:4], v[3:4], v[5:6]
	s_waitcnt lgkmcnt(0)
	v_add_f64 v[3:4], v[3:4], v[7:8]
	v_add_f64 v[3:4], v[3:4], v[9:10]
	;; [unrolled: 1-line block ×3, first 2 shown]
	v_xor_b32_e32 v4, 0x80000000, v4
	v_cndmask_b32_e64 v12, v4, 0, s[16:17]
	v_cndmask_b32_e64 v11, v3, 0, s[16:17]
.LBB36_1017:
	s_or_b64 exec, exec, s[4:5]
	s_and_b64 vcc, exec, s[60:61]
	s_cbranch_vccnz .LBB36_1030
; %bb.1018:
	v_mov_b32_e32 v3, 0xa000
	v_lshl_or_b32 v5, v2, 3, v3
	s_and_saveexec_b64 s[4:5], s[2:3]
; %bb.1019:
	v_lshl_add_u32 v3, v0, 3, v5
	ds_write_b64 v3, v[11:12]
; %bb.1020:
	s_or_b64 exec, exec, s[4:5]
	v_mov_b32_e32 v3, 0
	v_mov_b32_e32 v4, 0
	v_cmp_le_u32_e32 vcc, v0, v2
	s_waitcnt lgkmcnt(0)
	s_barrier
	s_and_saveexec_b64 s[4:5], vcc
	s_cbranch_execz .LBB36_1022
; %bb.1021:
	ds_read_b64 v[3:4], v1
	ds_read_b64 v[6:7], v5
	s_waitcnt lgkmcnt(0)
	v_fma_f64 v[3:4], v[3:4], v[6:7], 0
.LBB36_1022:
	s_or_b64 exec, exec, s[4:5]
	v_add_u32_e32 v6, 16, v2
	v_cmp_le_u32_e32 vcc, v0, v6
	s_and_saveexec_b64 s[4:5], vcc
	s_cbranch_execz .LBB36_1024
; %bb.1023:
	ds_read_b64 v[6:7], v1 offset:8192
	ds_read_b64 v[8:9], v5 offset:128
	s_waitcnt lgkmcnt(0)
	v_fma_f64 v[3:4], v[6:7], v[8:9], v[3:4]
.LBB36_1024:
	s_or_b64 exec, exec, s[4:5]
	v_add_u32_e32 v6, 32, v2
	v_cmp_le_u32_e32 vcc, v0, v6
	s_and_saveexec_b64 s[4:5], vcc
	s_cbranch_execz .LBB36_1026
; %bb.1025:
	ds_read_b64 v[6:7], v1 offset:16384
	ds_read_b64 v[8:9], v5 offset:256
	s_waitcnt lgkmcnt(0)
	v_fma_f64 v[3:4], v[6:7], v[8:9], v[3:4]
.LBB36_1026:
	s_or_b64 exec, exec, s[4:5]
	v_add_u32_e32 v2, 48, v2
	v_add_u32_e32 v6, 0x8000, v1
	v_cmp_le_u32_e32 vcc, v0, v2
	s_and_saveexec_b64 s[4:5], vcc
	s_cbranch_execz .LBB36_1028
; %bb.1027:
	ds_read_b64 v[1:2], v1 offset:24576
	ds_read_b64 v[7:8], v5 offset:384
	s_waitcnt lgkmcnt(0)
	v_fma_f64 v[3:4], v[1:2], v[7:8], v[3:4]
.LBB36_1028:
	s_or_b64 exec, exec, s[4:5]
	s_mov_b64 s[6:7], 0
	s_mov_b64 s[4:5], 0
	ds_write_b64 v6, v[3:4]
	s_waitcnt lgkmcnt(0)
	s_barrier
                                        ; implicit-def: $vgpr1_vgpr2
	s_and_saveexec_b64 s[8:9], s[2:3]
	s_cbranch_execz .LBB36_1093
; %bb.1029:
	v_lshlrev_b32_e32 v15, 3, v0
	ds_read2st64_b64 v[5:8], v15 offset0:65 offset1:66
	ds_read_b64 v[9:10], v15 offset:40448
	s_mov_b64 s[4:5], exec
	s_waitcnt lgkmcnt(1)
	v_add_f64 v[1:2], v[3:4], v[5:6]
	v_add_f64 v[13:14], v[7:8], v[1:2]
	ds_read2st64_b64 v[1:4], v15 offset0:67 offset1:68
	ds_read2st64_b64 v[5:8], v15 offset0:69 offset1:70
	s_waitcnt lgkmcnt(1)
	v_add_f64 v[1:2], v[1:2], v[13:14]
	v_add_f64 v[1:2], v[3:4], v[1:2]
	s_waitcnt lgkmcnt(0)
	v_add_f64 v[1:2], v[5:6], v[1:2]
	v_add_f64 v[13:14], v[7:8], v[1:2]
	ds_read2st64_b64 v[1:4], v15 offset0:71 offset1:72
	ds_read2st64_b64 v[5:8], v15 offset0:73 offset1:74
	s_waitcnt lgkmcnt(1)
	v_add_f64 v[1:2], v[1:2], v[13:14]
	v_add_f64 v[1:2], v[3:4], v[1:2]
	;; [unrolled: 8-line block ×3, first 2 shown]
	s_waitcnt lgkmcnt(0)
	v_add_f64 v[1:2], v[5:6], v[1:2]
	v_add_f64 v[1:2], v[7:8], v[1:2]
	v_add_f64 v[1:2], v[9:10], v[1:2]
	s_or_b64 exec, exec, s[8:9]
	s_and_b64 vcc, exec, s[6:7]
	s_cbranch_vccnz .LBB36_1031
	s_branch .LBB36_1094
.LBB36_1030:
	s_mov_b64 s[4:5], 0
                                        ; implicit-def: $vgpr1_vgpr2
	s_cbranch_execz .LBB36_1094
.LBB36_1031:
	s_movk_i32 s6, 0x208
	v_lshlrev_b32_e32 v2, 9, v0
	v_mov_b32_e32 v3, 0x7800
	v_mul_u32_u24_e32 v1, 0x208, v0
	v_sub_u32_e32 v2, 0, v2
	v_mad_u32_u24 v3, v0, s6, v3
	s_mov_b32 s8, 63
	s_movk_i32 s9, 0x8200
	v_mov_b32_e32 v4, 0
	s_branch .LBB36_1033
.LBB36_1032:                            ;   in Loop: Header=BB36_1033 Depth=1
	s_or_b64 exec, exec, s[6:7]
	s_add_i32 s8, s8, -4
	s_cmp_lg_u32 s10, 0
	v_add_u32_e32 v2, 0xfffff800, v2
	s_barrier
	s_cbranch_scc0 .LBB36_1049
.LBB36_1033:                            ; =>This Inner Loop Header: Depth=1
	v_cmp_eq_u32_e32 vcc, s9, v2
	s_and_b64 s[10:11], s[2:3], vcc
	s_and_saveexec_b64 s[6:7], s[10:11]
	s_cbranch_execz .LBB36_1035
; %bb.1034:                             ;   in Loop: Header=BB36_1033 Depth=1
	ds_read_b64 v[5:6], v1
	s_waitcnt lgkmcnt(0)
	v_mul_f64 v[11:12], v[11:12], v[5:6]
	ds_write_b64 v4, v[11:12] offset:41472
.LBB36_1035:                            ;   in Loop: Header=BB36_1033 Depth=1
	s_or_b64 exec, exec, s[6:7]
	v_cmp_gt_u32_e32 vcc, s8, v0
	s_and_b64 s[10:11], s[2:3], vcc
	v_add_u32_e32 v5, v3, v2
	s_waitcnt lgkmcnt(0)
	s_barrier
	s_and_saveexec_b64 s[6:7], s[10:11]
	s_cbranch_execz .LBB36_1037
; %bb.1036:                             ;   in Loop: Header=BB36_1033 Depth=1
	ds_read_b64 v[6:7], v5 offset:1536
	ds_read_b64 v[8:9], v4 offset:41472
	s_waitcnt lgkmcnt(0)
	v_fma_f64 v[11:12], v[6:7], v[8:9], v[11:12]
.LBB36_1037:                            ;   in Loop: Header=BB36_1033 Depth=1
	s_or_b64 exec, exec, s[6:7]
	s_add_i32 s10, s8, -1
	v_cmp_eq_u32_e32 vcc, s10, v0
	s_and_b64 s[12:13], s[2:3], vcc
	s_barrier
	s_and_saveexec_b64 s[6:7], s[12:13]
	s_cbranch_execz .LBB36_1039
; %bb.1038:                             ;   in Loop: Header=BB36_1033 Depth=1
	ds_read_b64 v[6:7], v1
	s_waitcnt lgkmcnt(0)
	v_mul_f64 v[11:12], v[11:12], v[6:7]
	ds_write_b64 v4, v[11:12] offset:41472
.LBB36_1039:                            ;   in Loop: Header=BB36_1033 Depth=1
	s_or_b64 exec, exec, s[6:7]
	v_cmp_gt_u32_e32 vcc, s10, v0
	s_and_b64 s[10:11], s[2:3], vcc
	s_waitcnt lgkmcnt(0)
	s_barrier
	s_and_saveexec_b64 s[6:7], s[10:11]
	s_cbranch_execz .LBB36_1041
; %bb.1040:                             ;   in Loop: Header=BB36_1033 Depth=1
	ds_read_b64 v[6:7], v5 offset:1024
	ds_read_b64 v[8:9], v4 offset:41472
	s_waitcnt lgkmcnt(0)
	v_fma_f64 v[11:12], v[6:7], v[8:9], v[11:12]
.LBB36_1041:                            ;   in Loop: Header=BB36_1033 Depth=1
	s_or_b64 exec, exec, s[6:7]
	s_add_i32 s10, s8, -2
	v_cmp_eq_u32_e32 vcc, s10, v0
	s_and_b64 s[12:13], s[2:3], vcc
	s_barrier
	s_and_saveexec_b64 s[6:7], s[12:13]
	s_cbranch_execz .LBB36_1043
; %bb.1042:                             ;   in Loop: Header=BB36_1033 Depth=1
	ds_read_b64 v[6:7], v1
	s_waitcnt lgkmcnt(0)
	v_mul_f64 v[11:12], v[11:12], v[6:7]
	ds_write_b64 v4, v[11:12] offset:41472
.LBB36_1043:                            ;   in Loop: Header=BB36_1033 Depth=1
	s_or_b64 exec, exec, s[6:7]
	v_cmp_gt_u32_e32 vcc, s10, v0
	s_and_b64 s[10:11], s[2:3], vcc
	s_waitcnt lgkmcnt(0)
	s_barrier
	s_and_saveexec_b64 s[6:7], s[10:11]
	s_cbranch_execz .LBB36_1045
; %bb.1044:                             ;   in Loop: Header=BB36_1033 Depth=1
	ds_read_b64 v[6:7], v5 offset:512
	ds_read_b64 v[8:9], v4 offset:41472
	s_waitcnt lgkmcnt(0)
	v_fma_f64 v[11:12], v[6:7], v[8:9], v[11:12]
.LBB36_1045:                            ;   in Loop: Header=BB36_1033 Depth=1
	s_or_b64 exec, exec, s[6:7]
	s_add_i32 s10, s8, -3
	v_cmp_eq_u32_e32 vcc, s10, v0
	s_and_b64 s[12:13], s[2:3], vcc
	s_barrier
	s_and_saveexec_b64 s[6:7], s[12:13]
	s_cbranch_execz .LBB36_1047
; %bb.1046:                             ;   in Loop: Header=BB36_1033 Depth=1
	ds_read_b64 v[6:7], v1
	s_waitcnt lgkmcnt(0)
	v_mul_f64 v[11:12], v[11:12], v[6:7]
	ds_write_b64 v4, v[11:12] offset:41472
.LBB36_1047:                            ;   in Loop: Header=BB36_1033 Depth=1
	s_or_b64 exec, exec, s[6:7]
	v_cmp_gt_u32_e32 vcc, s10, v0
	s_and_b64 s[12:13], s[2:3], vcc
	s_waitcnt lgkmcnt(0)
	s_barrier
	s_and_saveexec_b64 s[6:7], s[12:13]
	s_cbranch_execz .LBB36_1032
; %bb.1048:                             ;   in Loop: Header=BB36_1033 Depth=1
	ds_read_b64 v[5:6], v5
	ds_read_b64 v[7:8], v4 offset:41472
	s_waitcnt lgkmcnt(0)
	v_fma_f64 v[11:12], v[5:6], v[7:8], v[11:12]
	s_branch .LBB36_1032
.LBB36_1049:
	s_mov_b64 s[6:7], -1
	s_and_b64 vcc, exec, s[0:1]
	s_cbranch_vccnz .LBB36_1095
; %bb.1050:
	s_andn2_b64 vcc, exec, s[6:7]
	s_cbranch_vccz .LBB36_1096
.LBB36_1051:
	s_and_saveexec_b64 s[0:1], s[4:5]
	s_cbranch_execz .LBB36_1053
.LBB36_1052:
	v_mov_b32_e32 v0, s42
	v_add_co_u32_e32 v1, vcc, s33, v18
	v_addc_co_u32_e32 v0, vcc, 0, v0, vcc
	v_mul_lo_u32 v2, v0, s50
	v_mul_lo_u32 v3, v1, s51
	v_mad_u64_u32 v[0:1], s[2:3], v1, s50, 0
	v_add3_u32 v1, v1, v3, v2
	v_lshlrev_b64 v[0:1], 3, v[0:1]
	v_mov_b32_e32 v2, s21
	v_add_co_u32_e32 v0, vcc, s20, v0
	v_addc_co_u32_e32 v1, vcc, v2, v1, vcc
	global_store_dwordx2 v[0:1], v[11:12], off
.LBB36_1053:
	s_or_b64 exec, exec, s[0:1]
	v_cmp_eq_u32_e32 vcc, 0, v18
	s_waitcnt vmcnt(0)
	buffer_wbinvl1_vol
	s_barrier
	s_and_saveexec_b64 s[0:1], vcc
	s_cbranch_execz .LBB36_1055
; %bb.1054:
	s_lshl_b64 s[2:3], s[22:23], 2
	s_add_u32 s2, s14, s2
	s_addc_u32 s3, s15, s3
	v_mov_b32_e32 v0, 0
	global_load_dword v1, v0, s[2:3]
	s_waitcnt vmcnt(0)
	v_add_u32_e32 v1, 1, v1
	global_store_dword v0, v1, s[2:3]
.LBB36_1055:
	s_or_b64 exec, exec, s[0:1]
	s_waitcnt vmcnt(0)
	buffer_wbinvl1_vol
	s_endpgm
.LBB36_1056:
                                        ; implicit-def: $vgpr7_vgpr8
                                        ; implicit-def: $vgpr9_vgpr10
                                        ; implicit-def: $vgpr3_vgpr4
                                        ; implicit-def: $vgpr5_vgpr6
                                        ; implicit-def: $sgpr33
	s_cbranch_execnz .LBB36_10
	s_branch .LBB36_11
.LBB36_1057:
	v_cmp_ne_u32_e32 vcc, v0, v2
	s_and_saveexec_b64 s[12:13], vcc
	s_xor_b64 s[12:13], exec, s[12:13]
; %bb.1058:
	v_or_b32_e32 v1, v2, v0
	v_cmp_gt_u32_e32 vcc, 64, v1
	s_and_b64 s[10:11], vcc, exec
                                        ; implicit-def: $vgpr15_vgpr16
; %bb.1059:
	s_or_saveexec_b64 s[12:13], s[12:13]
	v_mov_b32_e32 v13, 0
	v_mov_b32_e32 v14, 0
	s_xor_b64 exec, exec, s[12:13]
	s_cbranch_execz .LBB36_1061
; %bb.1060:
	v_lshlrev_b64 v[13:14], 3, v[15:16]
	v_mov_b32_e32 v1, s94
	v_add_co_u32_e32 v13, vcc, s91, v13
	v_addc_co_u32_e32 v14, vcc, v1, v14, vcc
	global_load_dwordx2 v[13:14], v[13:14], off
	s_or_b64 s[10:11], s[10:11], exec
	s_waitcnt vmcnt(0)
	v_div_scale_f64 v[15:16], s[14:15], v[13:14], v[13:14], 1.0
	v_div_scale_f64 v[22:23], vcc, 1.0, v[13:14], 1.0
	v_rcp_f64_e32 v[18:19], v[15:16]
	v_fma_f64 v[20:21], -v[15:16], v[18:19], 1.0
	v_fma_f64 v[18:19], v[18:19], v[20:21], v[18:19]
	v_fma_f64 v[20:21], -v[15:16], v[18:19], 1.0
	v_fma_f64 v[18:19], v[18:19], v[20:21], v[18:19]
	v_mul_f64 v[20:21], v[22:23], v[18:19]
	v_fma_f64 v[15:16], -v[15:16], v[20:21], v[22:23]
	v_div_fmas_f64 v[15:16], v[15:16], v[18:19], v[20:21]
	v_div_fixup_f64 v[13:14], v[15:16], v[13:14], 1.0
.LBB36_1061:
	s_or_b64 exec, exec, s[12:13]
	s_and_b64 s[10:11], s[10:11], exec
                                        ; implicit-def: $vgpr15_vgpr16
	s_andn2_saveexec_b64 s[8:9], s[8:9]
	s_cbranch_execz .LBB36_14
.LBB36_1062:
	v_lshlrev_b64 v[13:14], 3, v[15:16]
	v_mov_b32_e32 v1, s94
	v_add_co_u32_e32 v13, vcc, s91, v13
	v_addc_co_u32_e32 v14, vcc, v1, v14, vcc
	global_load_dwordx2 v[13:14], v[13:14], off
	s_or_b64 s[10:11], s[10:11], exec
	s_waitcnt vmcnt(0)
	v_xor_b32_e32 v14, 0x80000000, v14
	s_or_b64 exec, exec, s[8:9]
	s_and_saveexec_b64 s[8:9], s[10:11]
	s_cbranch_execnz .LBB36_15
	s_branch .LBB36_16
.LBB36_1063:
	v_cmp_ne_u32_e32 vcc, v0, v1
	s_and_saveexec_b64 s[10:11], vcc
	s_xor_b64 s[10:11], exec, s[10:11]
; %bb.1064:
	v_or_b32_e32 v13, v1, v0
	v_cmp_gt_u32_e32 vcc, 64, v13
	s_and_b64 s[8:9], vcc, exec
                                        ; implicit-def: $vgpr15_vgpr16
; %bb.1065:
	s_or_saveexec_b64 s[10:11], s[10:11]
	v_mov_b32_e32 v13, 0
	v_mov_b32_e32 v14, 0
	s_xor_b64 exec, exec, s[10:11]
	s_cbranch_execz .LBB36_1067
; %bb.1066:
	v_lshlrev_b64 v[13:14], 3, v[15:16]
	v_mov_b32_e32 v15, s94
	v_add_co_u32_e32 v13, vcc, s91, v13
	v_addc_co_u32_e32 v14, vcc, v15, v14, vcc
	global_load_dwordx2 v[13:14], v[13:14], off
	s_or_b64 s[8:9], s[8:9], exec
	s_waitcnt vmcnt(0)
	v_div_scale_f64 v[15:16], s[12:13], v[13:14], v[13:14], 1.0
	v_div_scale_f64 v[22:23], vcc, 1.0, v[13:14], 1.0
	v_rcp_f64_e32 v[18:19], v[15:16]
	v_fma_f64 v[20:21], -v[15:16], v[18:19], 1.0
	v_fma_f64 v[18:19], v[18:19], v[20:21], v[18:19]
	v_fma_f64 v[20:21], -v[15:16], v[18:19], 1.0
	v_fma_f64 v[18:19], v[18:19], v[20:21], v[18:19]
	v_mul_f64 v[20:21], v[22:23], v[18:19]
	v_fma_f64 v[15:16], -v[15:16], v[20:21], v[22:23]
	v_div_fmas_f64 v[15:16], v[15:16], v[18:19], v[20:21]
	v_div_fixup_f64 v[13:14], v[15:16], v[13:14], 1.0
.LBB36_1067:
	s_or_b64 exec, exec, s[10:11]
	s_and_b64 s[8:9], s[8:9], exec
                                        ; implicit-def: $vgpr15_vgpr16
	s_andn2_saveexec_b64 s[2:3], s[2:3]
	s_cbranch_execz .LBB36_18
.LBB36_1068:
	v_lshlrev_b64 v[13:14], 3, v[15:16]
	v_mov_b32_e32 v15, s94
	v_add_co_u32_e32 v13, vcc, s91, v13
	v_addc_co_u32_e32 v14, vcc, v15, v14, vcc
	global_load_dwordx2 v[13:14], v[13:14], off
	s_or_b64 s[8:9], s[8:9], exec
	s_waitcnt vmcnt(0)
	v_xor_b32_e32 v14, 0x80000000, v14
	s_or_b64 exec, exec, s[2:3]
	s_and_saveexec_b64 s[2:3], s[8:9]
	s_cbranch_execnz .LBB36_19
	s_branch .LBB36_20
.LBB36_1069:
	v_cmp_ne_u32_e32 vcc, v0, v1
	s_and_saveexec_b64 s[10:11], vcc
	s_xor_b64 s[10:11], exec, s[10:11]
; %bb.1070:
	v_or_b32_e32 v13, v1, v0
	v_cmp_gt_u32_e32 vcc, 64, v13
	s_and_b64 s[8:9], vcc, exec
                                        ; implicit-def: $vgpr15_vgpr16
; %bb.1071:
	s_or_saveexec_b64 s[10:11], s[10:11]
	v_mov_b32_e32 v13, 0
	v_mov_b32_e32 v14, 0
	s_xor_b64 exec, exec, s[10:11]
	s_cbranch_execz .LBB36_1073
; %bb.1072:
	v_lshlrev_b64 v[13:14], 3, v[15:16]
	v_mov_b32_e32 v15, s94
	v_add_co_u32_e32 v13, vcc, s91, v13
	v_addc_co_u32_e32 v14, vcc, v15, v14, vcc
	global_load_dwordx2 v[13:14], v[13:14], off
	s_or_b64 s[8:9], s[8:9], exec
	s_waitcnt vmcnt(0)
	v_div_scale_f64 v[15:16], s[12:13], v[13:14], v[13:14], 1.0
	v_div_scale_f64 v[22:23], vcc, 1.0, v[13:14], 1.0
	v_rcp_f64_e32 v[18:19], v[15:16]
	v_fma_f64 v[20:21], -v[15:16], v[18:19], 1.0
	v_fma_f64 v[18:19], v[18:19], v[20:21], v[18:19]
	v_fma_f64 v[20:21], -v[15:16], v[18:19], 1.0
	v_fma_f64 v[18:19], v[18:19], v[20:21], v[18:19]
	v_mul_f64 v[20:21], v[22:23], v[18:19]
	v_fma_f64 v[15:16], -v[15:16], v[20:21], v[22:23]
	v_div_fmas_f64 v[15:16], v[15:16], v[18:19], v[20:21]
	v_div_fixup_f64 v[13:14], v[15:16], v[13:14], 1.0
.LBB36_1073:
	s_or_b64 exec, exec, s[10:11]
	s_and_b64 s[8:9], s[8:9], exec
                                        ; implicit-def: $vgpr15_vgpr16
	s_andn2_saveexec_b64 s[2:3], s[2:3]
	s_cbranch_execz .LBB36_22
.LBB36_1074:
	v_lshlrev_b64 v[13:14], 3, v[15:16]
	v_mov_b32_e32 v15, s94
	v_add_co_u32_e32 v13, vcc, s91, v13
	v_addc_co_u32_e32 v14, vcc, v15, v14, vcc
	global_load_dwordx2 v[13:14], v[13:14], off
	s_or_b64 s[8:9], s[8:9], exec
	s_waitcnt vmcnt(0)
	v_xor_b32_e32 v14, 0x80000000, v14
	s_or_b64 exec, exec, s[2:3]
	s_and_saveexec_b64 s[2:3], s[8:9]
	s_cbranch_execnz .LBB36_23
	s_branch .LBB36_24
.LBB36_1075:
	v_cmp_ne_u32_e32 vcc, v0, v2
	s_xor_b64 s[12:13], s[2:3], -1
	s_or_b64 s[14:15], s[12:13], vcc
	s_mov_b64 s[12:13], 0
	s_and_saveexec_b64 s[16:17], s[14:15]
	s_xor_b64 s[14:15], exec, s[16:17]
; %bb.1076:
	v_or_b32_e32 v1, v2, v0
	v_cmp_gt_u32_e32 vcc, 64, v1
	s_and_b64 s[12:13], vcc, exec
                                        ; implicit-def: $vgpr13_vgpr14
; %bb.1077:
	s_or_saveexec_b64 s[14:15], s[14:15]
	v_mov_b32_e32 v15, 0
	v_mov_b32_e32 v16, 0
	s_xor_b64 exec, exec, s[14:15]
	s_cbranch_execz .LBB36_1079
; %bb.1078:
	v_lshlrev_b64 v[13:14], 3, v[13:14]
	v_mov_b32_e32 v1, s94
	v_add_co_u32_e32 v13, vcc, s91, v13
	v_addc_co_u32_e32 v14, vcc, v1, v14, vcc
	global_load_dwordx2 v[13:14], v[13:14], off
	s_or_b64 s[12:13], s[12:13], exec
	s_waitcnt vmcnt(0)
	v_div_scale_f64 v[15:16], s[16:17], v[13:14], v[13:14], 1.0
	v_div_scale_f64 v[22:23], vcc, 1.0, v[13:14], 1.0
	v_rcp_f64_e32 v[18:19], v[15:16]
	v_fma_f64 v[20:21], -v[15:16], v[18:19], 1.0
	v_fma_f64 v[18:19], v[18:19], v[20:21], v[18:19]
	v_fma_f64 v[20:21], -v[15:16], v[18:19], 1.0
	v_fma_f64 v[18:19], v[18:19], v[20:21], v[18:19]
	v_mul_f64 v[20:21], v[22:23], v[18:19]
	v_fma_f64 v[15:16], -v[15:16], v[20:21], v[22:23]
	v_div_fmas_f64 v[15:16], v[15:16], v[18:19], v[20:21]
	v_div_fixup_f64 v[15:16], v[15:16], v[13:14], 1.0
.LBB36_1079:
	s_or_b64 exec, exec, s[14:15]
	s_and_b64 s[12:13], s[12:13], exec
                                        ; implicit-def: $vgpr13_vgpr14
	s_andn2_saveexec_b64 s[8:9], s[8:9]
	s_cbranch_execz .LBB36_36
.LBB36_1080:
	v_lshlrev_b64 v[13:14], 3, v[13:14]
	v_mov_b32_e32 v1, s94
	v_add_co_u32_e32 v13, vcc, s91, v13
	v_addc_co_u32_e32 v14, vcc, v1, v14, vcc
	global_load_dwordx2 v[15:16], v[13:14], off
	s_or_b64 s[12:13], s[12:13], exec
	s_waitcnt vmcnt(0)
	v_xor_b32_e32 v16, 0x80000000, v16
	s_or_b64 exec, exec, s[8:9]
	s_and_saveexec_b64 s[8:9], s[12:13]
	s_cbranch_execnz .LBB36_37
	s_branch .LBB36_38
.LBB36_1081:
	v_cmp_ne_u32_e32 vcc, v0, v1
	s_xor_b64 s[12:13], s[2:3], -1
	s_or_b64 s[14:15], s[12:13], vcc
	s_mov_b64 s[12:13], 0
	s_and_saveexec_b64 s[16:17], s[14:15]
	s_xor_b64 s[14:15], exec, s[16:17]
; %bb.1082:
	v_or_b32_e32 v13, v1, v0
	v_cmp_gt_u32_e32 vcc, 64, v13
	s_and_b64 s[12:13], vcc, exec
                                        ; implicit-def: $vgpr13_vgpr14
; %bb.1083:
	s_or_saveexec_b64 s[14:15], s[14:15]
	v_mov_b32_e32 v15, 0
	v_mov_b32_e32 v16, 0
	s_xor_b64 exec, exec, s[14:15]
	s_cbranch_execz .LBB36_1085
; %bb.1084:
	v_lshlrev_b64 v[13:14], 3, v[13:14]
	v_mov_b32_e32 v15, s94
	v_add_co_u32_e32 v13, vcc, s91, v13
	v_addc_co_u32_e32 v14, vcc, v15, v14, vcc
	global_load_dwordx2 v[13:14], v[13:14], off
	s_or_b64 s[12:13], s[12:13], exec
	s_waitcnt vmcnt(0)
	v_div_scale_f64 v[15:16], s[16:17], v[13:14], v[13:14], 1.0
	v_div_scale_f64 v[22:23], vcc, 1.0, v[13:14], 1.0
	v_rcp_f64_e32 v[18:19], v[15:16]
	v_fma_f64 v[20:21], -v[15:16], v[18:19], 1.0
	v_fma_f64 v[18:19], v[18:19], v[20:21], v[18:19]
	v_fma_f64 v[20:21], -v[15:16], v[18:19], 1.0
	v_fma_f64 v[18:19], v[18:19], v[20:21], v[18:19]
	v_mul_f64 v[20:21], v[22:23], v[18:19]
	v_fma_f64 v[15:16], -v[15:16], v[20:21], v[22:23]
	v_div_fmas_f64 v[15:16], v[15:16], v[18:19], v[20:21]
	v_div_fixup_f64 v[15:16], v[15:16], v[13:14], 1.0
.LBB36_1085:
	s_or_b64 exec, exec, s[14:15]
	s_and_b64 s[12:13], s[12:13], exec
                                        ; implicit-def: $vgpr13_vgpr14
	s_andn2_saveexec_b64 s[8:9], s[8:9]
	s_cbranch_execz .LBB36_40
.LBB36_1086:
	v_lshlrev_b64 v[13:14], 3, v[13:14]
	v_mov_b32_e32 v15, s94
	v_add_co_u32_e32 v13, vcc, s91, v13
	v_addc_co_u32_e32 v14, vcc, v15, v14, vcc
	global_load_dwordx2 v[15:16], v[13:14], off
	s_or_b64 s[12:13], s[12:13], exec
	s_waitcnt vmcnt(0)
	v_xor_b32_e32 v16, 0x80000000, v16
	s_or_b64 exec, exec, s[8:9]
	s_and_saveexec_b64 s[8:9], s[12:13]
	s_cbranch_execnz .LBB36_41
	s_branch .LBB36_42
.LBB36_1087:
	v_cmp_ne_u32_e32 vcc, v0, v1
	s_xor_b64 s[12:13], s[2:3], -1
	s_or_b64 s[14:15], s[12:13], vcc
	s_mov_b64 s[12:13], 0
	s_and_saveexec_b64 s[16:17], s[14:15]
	s_xor_b64 s[14:15], exec, s[16:17]
; %bb.1088:
	v_or_b32_e32 v13, v1, v0
	v_cmp_gt_u32_e32 vcc, 64, v13
	s_and_b64 s[12:13], vcc, exec
                                        ; implicit-def: $vgpr13_vgpr14
; %bb.1089:
	s_or_saveexec_b64 s[14:15], s[14:15]
	v_mov_b32_e32 v15, 0
	v_mov_b32_e32 v16, 0
	s_xor_b64 exec, exec, s[14:15]
	s_cbranch_execz .LBB36_1091
; %bb.1090:
	v_lshlrev_b64 v[13:14], 3, v[13:14]
	v_mov_b32_e32 v15, s94
	v_add_co_u32_e32 v13, vcc, s91, v13
	v_addc_co_u32_e32 v14, vcc, v15, v14, vcc
	global_load_dwordx2 v[13:14], v[13:14], off
	s_or_b64 s[12:13], s[12:13], exec
	s_waitcnt vmcnt(0)
	v_div_scale_f64 v[15:16], s[16:17], v[13:14], v[13:14], 1.0
	v_div_scale_f64 v[22:23], vcc, 1.0, v[13:14], 1.0
	v_rcp_f64_e32 v[18:19], v[15:16]
	v_fma_f64 v[20:21], -v[15:16], v[18:19], 1.0
	v_fma_f64 v[18:19], v[18:19], v[20:21], v[18:19]
	v_fma_f64 v[20:21], -v[15:16], v[18:19], 1.0
	v_fma_f64 v[18:19], v[18:19], v[20:21], v[18:19]
	v_mul_f64 v[20:21], v[22:23], v[18:19]
	v_fma_f64 v[15:16], -v[15:16], v[20:21], v[22:23]
	v_div_fmas_f64 v[15:16], v[15:16], v[18:19], v[20:21]
	v_div_fixup_f64 v[15:16], v[15:16], v[13:14], 1.0
.LBB36_1091:
	s_or_b64 exec, exec, s[14:15]
	s_and_b64 s[12:13], s[12:13], exec
                                        ; implicit-def: $vgpr13_vgpr14
	s_andn2_saveexec_b64 s[8:9], s[8:9]
	s_cbranch_execz .LBB36_44
.LBB36_1092:
	v_lshlrev_b64 v[13:14], 3, v[13:14]
	v_mov_b32_e32 v15, s94
	v_add_co_u32_e32 v13, vcc, s91, v13
	v_addc_co_u32_e32 v14, vcc, v15, v14, vcc
	global_load_dwordx2 v[15:16], v[13:14], off
	s_or_b64 s[12:13], s[12:13], exec
	s_waitcnt vmcnt(0)
	v_xor_b32_e32 v16, 0x80000000, v16
	s_or_b64 exec, exec, s[8:9]
	s_and_saveexec_b64 s[8:9], s[12:13]
	s_cbranch_execnz .LBB36_45
	s_branch .LBB36_46
.LBB36_1093:
	s_or_b64 exec, exec, s[8:9]
	s_and_b64 vcc, exec, s[6:7]
	s_cbranch_vccnz .LBB36_1031
.LBB36_1094:
	v_mov_b32_e32 v12, v2
	v_mov_b32_e32 v11, v1
	s_and_saveexec_b64 s[0:1], s[4:5]
	s_cbranch_execnz .LBB36_1052
	s_branch .LBB36_1053
.LBB36_1095:
	s_andn2_b64 s[0:1], s[4:5], exec
	s_and_b64 s[4:5], s[2:3], exec
	s_or_b64 s[4:5], s[0:1], s[4:5]
	s_cbranch_execnz .LBB36_1051
.LBB36_1096:
	v_cmp_gt_i32_e32 vcc, s90, v0
	s_and_b64 s[0:1], s[2:3], vcc
	s_andn2_b64 s[2:3], s[4:5], exec
	s_and_b64 s[0:1], s[0:1], exec
	s_or_b64 s[4:5], s[2:3], s[0:1]
	s_and_saveexec_b64 s[0:1], s[4:5]
	s_cbranch_execnz .LBB36_1052
	s_branch .LBB36_1053
.LBB36_1097:
	v_lshlrev_b32_e32 v21, 3, v20
	v_sub_u32_e32 v21, v18, v21
	v_lshl_add_u32 v21, v19, 3, v21
	ds_read_b64 v[21:22], v21 offset:544
	ds_read_b64 v[23:24], v18 offset:8
	s_waitcnt lgkmcnt(0)
	v_fma_f64 v[11:12], v[21:22], v[23:24], v[11:12]
	s_or_b64 exec, exec, s[14:15]
	v_cmp_gt_u32_e64 s[10:11], 8, v14
	s_and_saveexec_b64 s[14:15], s[10:11]
	s_cbranch_execz .LBB36_79
.LBB36_1098:
	ds_read_b64 v[21:22], v16 offset:1056
	ds_read_b64 v[23:24], v18 offset:16
	s_waitcnt lgkmcnt(0)
	v_fma_f64 v[11:12], v[21:22], v[23:24], v[11:12]
	s_or_b64 exec, exec, s[14:15]
	v_cmp_gt_u32_e64 s[10:11], 4, v14
	s_and_saveexec_b64 s[14:15], s[10:11]
	s_cbranch_execnz .LBB36_80
	s_branch .LBB36_81
.LBB36_1099:
	v_lshlrev_b32_e32 v26, 3, v25
	v_sub_u32_e32 v26, v23, v26
	v_lshl_add_u32 v26, v24, 3, v26
	ds_read_b64 v[26:27], v26 offset:576
	ds_read_b64 v[28:29], v23 offset:8
	s_waitcnt lgkmcnt(0)
	v_fma_f64 v[11:12], v[26:27], v[28:29], v[11:12]
	s_or_b64 exec, exec, s[16:17]
	v_cmp_gt_u32_e64 s[14:15], 48, v14
	s_and_saveexec_b64 s[16:17], s[14:15]
	s_cbranch_execz .LBB36_121
.LBB36_1100:
	v_lshlrev_b32_e32 v26, 3, v25
	v_sub_u32_e32 v26, v23, v26
	v_lshl_add_u32 v26, v24, 3, v26
	ds_read_b64 v[26:27], v26 offset:1088
	ds_read_b64 v[28:29], v23 offset:16
	s_waitcnt lgkmcnt(0)
	v_fma_f64 v[11:12], v[26:27], v[28:29], v[11:12]
	s_or_b64 exec, exec, s[16:17]
	v_cmp_gt_u32_e64 s[14:15], 40, v14
	s_and_saveexec_b64 s[16:17], s[14:15]
	s_cbranch_execz .LBB36_122
.LBB36_1101:
	v_lshlrev_b32_e32 v26, 3, v25
	v_sub_u32_e32 v26, v23, v26
	v_lshl_add_u32 v26, v24, 3, v26
	ds_read_b64 v[26:27], v26 offset:1600
	ds_read_b64 v[28:29], v23 offset:24
	s_waitcnt lgkmcnt(0)
	v_fma_f64 v[11:12], v[26:27], v[28:29], v[11:12]
	s_or_b64 exec, exec, s[16:17]
	v_cmp_gt_u32_e64 s[14:15], 32, v14
	s_and_saveexec_b64 s[16:17], s[14:15]
	s_cbranch_execz .LBB36_123
.LBB36_1102:
	ds_read_b64 v[26:27], v21 offset:2112
	ds_read_b64 v[28:29], v23 offset:32
	s_waitcnt lgkmcnt(0)
	v_fma_f64 v[11:12], v[26:27], v[28:29], v[11:12]
	s_or_b64 exec, exec, s[16:17]
	v_cmp_gt_u32_e64 s[14:15], 24, v14
	s_and_saveexec_b64 s[16:17], s[14:15]
	s_cbranch_execz .LBB36_124
.LBB36_1103:
	v_lshlrev_b32_e32 v26, 3, v25
	v_sub_u32_e32 v26, v23, v26
	v_lshl_add_u32 v26, v24, 3, v26
	ds_read_b64 v[26:27], v26 offset:2624
	ds_read_b64 v[28:29], v23 offset:40
	s_waitcnt lgkmcnt(0)
	v_fma_f64 v[11:12], v[26:27], v[28:29], v[11:12]
	s_or_b64 exec, exec, s[16:17]
	v_cmp_gt_u32_e64 s[14:15], 16, v14
	s_and_saveexec_b64 s[16:17], s[14:15]
	s_cbranch_execz .LBB36_125
.LBB36_1104:
	ds_read_b64 v[26:27], v21 offset:3136
	ds_read_b64 v[28:29], v23 offset:48
	s_waitcnt lgkmcnt(0)
	v_fma_f64 v[11:12], v[26:27], v[28:29], v[11:12]
	s_or_b64 exec, exec, s[16:17]
	v_cmp_gt_u32_e64 s[14:15], 8, v14
	s_and_saveexec_b64 s[16:17], s[14:15]
	s_cbranch_execnz .LBB36_126
	s_branch .LBB36_127
.LBB36_1105:
	v_lshlrev_b32_e32 v27, 3, v20
	v_sub_u32_e32 v27, v26, v27
	v_lshl_add_u32 v27, v19, 3, v27
	ds_read_b64 v[27:28], v27 offset:4704
	ds_read_b64 v[29:30], v26 offset:4168
	s_waitcnt lgkmcnt(0)
	v_fma_f64 v[11:12], v[27:28], v[29:30], v[11:12]
	s_or_b64 exec, exec, s[14:15]
	v_cmp_gt_u32_e64 s[10:11], 8, v14
	s_and_saveexec_b64 s[14:15], s[10:11]
	s_cbranch_execz .LBB36_183
.LBB36_1106:
	ds_read_b64 v[27:28], v16 offset:5216
	ds_read_b64 v[29:30], v26 offset:4176
	s_waitcnt lgkmcnt(0)
	v_fma_f64 v[11:12], v[27:28], v[29:30], v[11:12]
	s_or_b64 exec, exec, s[14:15]
	v_cmp_gt_u32_e64 s[10:11], 4, v14
	s_and_saveexec_b64 s[14:15], s[10:11]
	s_cbranch_execnz .LBB36_184
	s_branch .LBB36_185
.LBB36_1107:
	v_lshlrev_b32_e32 v31, 3, v27
	v_lshl_add_u32 v31, v29, 3, v31
	ds_read_b64 v[31:32], v31 offset:5760
	ds_read_b64 v[33:34], v28 offset:88
	s_waitcnt lgkmcnt(0)
	v_fma_f64 v[11:12], v[31:32], v[33:34], v[11:12]
	s_or_b64 exec, exec, s[20:21]
	v_cmp_gt_u32_e64 s[16:17], 64, v14
	s_and_saveexec_b64 s[20:21], s[16:17]
	s_cbranch_execz .LBB36_245
.LBB36_1108:
	ds_read_b64 v[31:32], v26 offset:6272
	ds_read_b64 v[33:34], v28 offset:96
	s_waitcnt lgkmcnt(0)
	v_fma_f64 v[11:12], v[31:32], v[33:34], v[11:12]
	s_or_b64 exec, exec, s[20:21]
	v_cmp_gt_u32_e64 s[16:17], 48, v14
	s_and_saveexec_b64 s[20:21], s[16:17]
	s_cbranch_execz .LBB36_246
.LBB36_1109:
	v_lshlrev_b32_e32 v31, 3, v27
	v_lshl_add_u32 v31, v29, 3, v31
	ds_read_b64 v[31:32], v31 offset:6784
	ds_read_b64 v[33:34], v28 offset:104
	s_waitcnt lgkmcnt(0)
	v_fma_f64 v[11:12], v[31:32], v[33:34], v[11:12]
	s_or_b64 exec, exec, s[20:21]
	v_cmp_gt_u32_e64 s[16:17], 32, v14
	s_and_saveexec_b64 s[20:21], s[16:17]
	s_cbranch_execz .LBB36_247
.LBB36_1110:
	ds_read_b64 v[31:32], v26 offset:7296
	ds_read_b64 v[33:34], v28 offset:112
	s_waitcnt lgkmcnt(0)
	v_fma_f64 v[11:12], v[31:32], v[33:34], v[11:12]
	s_or_b64 exec, exec, s[20:21]
	v_cmp_gt_u32_e64 s[16:17], 16, v14
	s_and_saveexec_b64 s[20:21], s[16:17]
	s_cbranch_execnz .LBB36_248
	s_branch .LBB36_249
.LBB36_1111:
	v_lshlrev_b32_e32 v32, 3, v20
	v_sub_u32_e32 v32, v31, v32
	v_lshl_add_u32 v32, v19, 3, v32
	ds_read_b64 v[32:33], v32 offset:8864
	ds_read_b64 v[34:35], v31 offset:8328
	s_waitcnt lgkmcnt(0)
	v_fma_f64 v[11:12], v[32:33], v[34:35], v[11:12]
	s_or_b64 exec, exec, s[20:21]
	v_cmp_gt_u32_e64 s[14:15], 8, v14
	s_and_saveexec_b64 s[0:1], s[14:15]
	s_cbranch_execz .LBB36_337
.LBB36_1112:
	ds_read_b64 v[32:33], v16 offset:9376
	ds_read_b64 v[34:35], v31 offset:8336
	s_waitcnt lgkmcnt(0)
	v_fma_f64 v[11:12], v[32:33], v[34:35], v[11:12]
	s_or_b64 exec, exec, s[0:1]
	v_cmp_gt_u32_e64 s[14:15], 4, v14
	s_and_saveexec_b64 s[20:21], s[14:15]
	s_cbranch_execnz .LBB36_338
	s_branch .LBB36_339
.LBB36_1113:
	v_lshlrev_b32_e32 v32, 3, v25
	v_sub_u32_e32 v32, v31, v32
	v_lshl_add_u32 v32, v24, 3, v32
	ds_read_b64 v[32:33], v32 offset:8896
	ds_read_b64 v[34:35], v31 offset:8328
	s_waitcnt lgkmcnt(0)
	v_fma_f64 v[11:12], v[32:33], v[34:35], v[11:12]
	s_or_b64 exec, exec, s[20:21]
	v_cmp_gt_u32_e64 s[14:15], 48, v14
	s_and_saveexec_b64 s[20:21], s[14:15]
	s_cbranch_execz .LBB36_379
.LBB36_1114:
	v_lshlrev_b32_e32 v32, 3, v25
	v_sub_u32_e32 v32, v31, v32
	v_lshl_add_u32 v32, v24, 3, v32
	ds_read_b64 v[32:33], v32 offset:9408
	ds_read_b64 v[34:35], v31 offset:8336
	s_waitcnt lgkmcnt(0)
	v_fma_f64 v[11:12], v[32:33], v[34:35], v[11:12]
	s_or_b64 exec, exec, s[20:21]
	v_cmp_gt_u32_e64 s[14:15], 40, v14
	s_and_saveexec_b64 s[20:21], s[14:15]
	s_cbranch_execz .LBB36_380
.LBB36_1115:
	v_lshlrev_b32_e32 v32, 3, v25
	v_sub_u32_e32 v32, v31, v32
	v_lshl_add_u32 v32, v24, 3, v32
	ds_read_b64 v[32:33], v32 offset:9920
	ds_read_b64 v[34:35], v31 offset:8344
	s_waitcnt lgkmcnt(0)
	v_fma_f64 v[11:12], v[32:33], v[34:35], v[11:12]
	s_or_b64 exec, exec, s[20:21]
	v_cmp_gt_u32_e64 s[14:15], 32, v14
	s_and_saveexec_b64 s[0:1], s[14:15]
	s_cbranch_execz .LBB36_381
.LBB36_1116:
	ds_read_b64 v[32:33], v21 offset:10432
	ds_read_b64 v[34:35], v31 offset:8352
	s_waitcnt lgkmcnt(0)
	v_fma_f64 v[11:12], v[32:33], v[34:35], v[11:12]
	s_or_b64 exec, exec, s[0:1]
	v_cmp_gt_u32_e64 s[14:15], 24, v14
	s_and_saveexec_b64 s[20:21], s[14:15]
	s_cbranch_execz .LBB36_382
.LBB36_1117:
	v_lshlrev_b32_e32 v32, 3, v25
	v_sub_u32_e32 v32, v31, v32
	v_lshl_add_u32 v32, v24, 3, v32
	ds_read_b64 v[32:33], v32 offset:10944
	ds_read_b64 v[34:35], v31 offset:8360
	s_waitcnt lgkmcnt(0)
	v_fma_f64 v[11:12], v[32:33], v[34:35], v[11:12]
	s_or_b64 exec, exec, s[20:21]
	v_cmp_gt_u32_e64 s[14:15], 16, v14
	s_and_saveexec_b64 s[0:1], s[14:15]
	s_cbranch_execz .LBB36_383
.LBB36_1118:
	ds_read_b64 v[32:33], v21 offset:11456
	ds_read_b64 v[34:35], v31 offset:8368
	s_waitcnt lgkmcnt(0)
	v_fma_f64 v[11:12], v[32:33], v[34:35], v[11:12]
	s_or_b64 exec, exec, s[0:1]
	v_cmp_gt_u32_e64 s[14:15], 8, v14
	s_and_saveexec_b64 s[20:21], s[14:15]
	s_cbranch_execnz .LBB36_384
	s_branch .LBB36_385
.LBB36_1119:
	v_lshlrev_b32_e32 v32, 3, v20
	v_sub_u32_e32 v32, v31, v32
	v_lshl_add_u32 v32, v19, 3, v32
	ds_read_b64 v[32:33], v32 offset:13024
	ds_read_b64 v[34:35], v31 offset:12488
	s_waitcnt lgkmcnt(0)
	v_fma_f64 v[11:12], v[32:33], v[34:35], v[11:12]
	s_or_b64 exec, exec, s[20:21]
	v_cmp_gt_u32_e64 s[14:15], 8, v14
	s_and_saveexec_b64 s[0:1], s[14:15]
	s_cbranch_execz .LBB36_441
.LBB36_1120:
	ds_read_b64 v[32:33], v16 offset:13536
	ds_read_b64 v[34:35], v31 offset:12496
	s_waitcnt lgkmcnt(0)
	v_fma_f64 v[11:12], v[32:33], v[34:35], v[11:12]
	s_or_b64 exec, exec, s[0:1]
	v_cmp_gt_u32_e64 s[14:15], 4, v14
	s_and_saveexec_b64 s[20:21], s[14:15]
	s_cbranch_execnz .LBB36_442
	s_branch .LBB36_443
.LBB36_1121:
	ds_read_b64 v[35:36], v31 offset:15104
	ds_read_b64 v[37:38], v34 offset:232
	s_waitcnt lgkmcnt(0)
	v_fma_f64 v[11:12], v[35:36], v[37:38], v[11:12]
	s_or_b64 exec, exec, s[0:1]
	v_cmp_gt_u32_e64 s[20:21], 64, v14
	s_and_saveexec_b64 s[0:1], s[20:21]
	s_cbranch_execz .LBB36_539
.LBB36_1122:
	ds_read_b64 v[35:36], v31 offset:15616
	ds_read_b64 v[37:38], v34 offset:240
	s_waitcnt lgkmcnt(0)
	v_fma_f64 v[11:12], v[35:36], v[37:38], v[11:12]
	s_or_b64 exec, exec, s[0:1]
	v_cmp_gt_u32_e64 s[20:21], 32, v14
	s_and_saveexec_b64 s[0:1], s[20:21]
	s_cbranch_execnz .LBB36_540
	s_branch .LBB36_541
.LBB36_1123:
	v_lshlrev_b32_e32 v32, 3, v20
	v_sub_u32_e32 v32, v31, v32
	v_lshl_add_u32 v32, v19, 3, v32
	ds_read_b64 v[32:33], v32 offset:17184
	ds_read_b64 v[34:35], v31 offset:16648
	s_waitcnt lgkmcnt(0)
	v_fma_f64 v[11:12], v[32:33], v[34:35], v[11:12]
	s_or_b64 exec, exec, s[16:17]
	v_cmp_gt_u32_e64 s[12:13], 8, v14
	s_and_saveexec_b64 s[0:1], s[12:13]
	s_cbranch_execz .LBB36_585
.LBB36_1124:
	ds_read_b64 v[32:33], v16 offset:17696
	ds_read_b64 v[34:35], v31 offset:16656
	s_waitcnt lgkmcnt(0)
	v_fma_f64 v[11:12], v[32:33], v[34:35], v[11:12]
	s_or_b64 exec, exec, s[0:1]
	v_cmp_gt_u32_e64 s[12:13], 4, v14
	s_and_saveexec_b64 s[0:1], s[12:13]
	s_cbranch_execnz .LBB36_586
	s_branch .LBB36_587
.LBB36_1125:
	v_lshlrev_b32_e32 v32, 3, v25
	v_sub_u32_e32 v32, v31, v32
	v_lshl_add_u32 v32, v24, 3, v32
	ds_read_b64 v[32:33], v32 offset:17216
	ds_read_b64 v[34:35], v31 offset:16648
	s_waitcnt lgkmcnt(0)
	v_fma_f64 v[11:12], v[32:33], v[34:35], v[11:12]
	s_or_b64 exec, exec, s[16:17]
	v_cmp_gt_u32_e64 s[12:13], 48, v14
	s_and_saveexec_b64 s[0:1], s[12:13]
	s_cbranch_execz .LBB36_627
.LBB36_1126:
	v_lshlrev_b32_e32 v32, 3, v25
	v_sub_u32_e32 v32, v31, v32
	v_lshl_add_u32 v32, v24, 3, v32
	ds_read_b64 v[32:33], v32 offset:17728
	ds_read_b64 v[34:35], v31 offset:16656
	s_waitcnt lgkmcnt(0)
	v_fma_f64 v[11:12], v[32:33], v[34:35], v[11:12]
	s_or_b64 exec, exec, s[0:1]
	v_cmp_gt_u32_e64 s[12:13], 40, v14
	s_and_saveexec_b64 s[0:1], s[12:13]
	s_cbranch_execz .LBB36_628
.LBB36_1127:
	v_lshlrev_b32_e32 v32, 3, v25
	v_sub_u32_e32 v32, v31, v32
	v_lshl_add_u32 v32, v24, 3, v32
	ds_read_b64 v[32:33], v32 offset:18240
	ds_read_b64 v[34:35], v31 offset:16664
	s_waitcnt lgkmcnt(0)
	v_fma_f64 v[11:12], v[32:33], v[34:35], v[11:12]
	s_or_b64 exec, exec, s[0:1]
	v_cmp_gt_u32_e64 s[12:13], 32, v14
	s_and_saveexec_b64 s[0:1], s[12:13]
	s_cbranch_execz .LBB36_629
.LBB36_1128:
	ds_read_b64 v[32:33], v21 offset:18752
	ds_read_b64 v[34:35], v31 offset:16672
	s_waitcnt lgkmcnt(0)
	v_fma_f64 v[11:12], v[32:33], v[34:35], v[11:12]
	s_or_b64 exec, exec, s[0:1]
	v_cmp_gt_u32_e64 s[12:13], 24, v14
	s_and_saveexec_b64 s[0:1], s[12:13]
	s_cbranch_execz .LBB36_630
.LBB36_1129:
	v_lshlrev_b32_e32 v32, 3, v25
	v_sub_u32_e32 v32, v31, v32
	v_lshl_add_u32 v32, v24, 3, v32
	ds_read_b64 v[32:33], v32 offset:19264
	ds_read_b64 v[34:35], v31 offset:16680
	s_waitcnt lgkmcnt(0)
	v_fma_f64 v[11:12], v[32:33], v[34:35], v[11:12]
	s_or_b64 exec, exec, s[0:1]
	v_cmp_gt_u32_e64 s[12:13], 16, v14
	s_and_saveexec_b64 s[0:1], s[12:13]
	s_cbranch_execz .LBB36_631
.LBB36_1130:
	ds_read_b64 v[32:33], v21 offset:19776
	ds_read_b64 v[34:35], v31 offset:16688
	s_waitcnt lgkmcnt(0)
	v_fma_f64 v[11:12], v[32:33], v[34:35], v[11:12]
	s_or_b64 exec, exec, s[0:1]
	v_cmp_gt_u32_e64 s[12:13], 8, v14
	s_and_saveexec_b64 s[0:1], s[12:13]
	s_cbranch_execnz .LBB36_632
	s_branch .LBB36_633
.LBB36_1131:
	v_lshlrev_b32_e32 v32, 3, v20
	v_sub_u32_e32 v32, v31, v32
	v_lshl_add_u32 v32, v19, 3, v32
	ds_read_b64 v[32:33], v32 offset:21344
	ds_read_b64 v[34:35], v31 offset:20808
	s_waitcnt lgkmcnt(0)
	v_fma_f64 v[11:12], v[32:33], v[34:35], v[11:12]
	s_or_b64 exec, exec, s[16:17]
	v_cmp_gt_u32_e64 s[12:13], 8, v14
	s_and_saveexec_b64 s[0:1], s[12:13]
	s_cbranch_execz .LBB36_689
.LBB36_1132:
	ds_read_b64 v[32:33], v16 offset:21856
	ds_read_b64 v[34:35], v31 offset:20816
	s_waitcnt lgkmcnt(0)
	v_fma_f64 v[11:12], v[32:33], v[34:35], v[11:12]
	s_or_b64 exec, exec, s[0:1]
	v_cmp_gt_u32_e64 s[12:13], 4, v14
	s_and_saveexec_b64 s[0:1], s[12:13]
	s_cbranch_execnz .LBB36_690
	s_branch .LBB36_691
.LBB36_1133:
	v_lshlrev_b32_e32 v30, 3, v27
	v_lshl_add_u32 v30, v29, 3, v30
	ds_read_b64 v[32:33], v30 offset:22400
	ds_read_b64 v[34:35], v31 offset:16728
	s_waitcnt lgkmcnt(0)
	v_fma_f64 v[11:12], v[32:33], v[34:35], v[11:12]
	s_or_b64 exec, exec, s[0:1]
	v_cmp_gt_u32_e64 s[12:13], 64, v14
	s_and_saveexec_b64 s[0:1], s[12:13]
	s_cbranch_execz .LBB36_751
.LBB36_1134:
	ds_read_b64 v[32:33], v26 offset:22912
	ds_read_b64 v[34:35], v31 offset:16736
	s_waitcnt lgkmcnt(0)
	v_fma_f64 v[11:12], v[32:33], v[34:35], v[11:12]
	s_or_b64 exec, exec, s[0:1]
	v_cmp_gt_u32_e64 s[12:13], 48, v14
	s_and_saveexec_b64 s[0:1], s[12:13]
	s_cbranch_execz .LBB36_752
.LBB36_1135:
	v_lshlrev_b32_e32 v30, 3, v27
	v_lshl_add_u32 v29, v29, 3, v30
	ds_read_b64 v[29:30], v29 offset:23424
	ds_read_b64 v[32:33], v31 offset:16744
	s_waitcnt lgkmcnt(0)
	v_fma_f64 v[11:12], v[29:30], v[32:33], v[11:12]
	s_or_b64 exec, exec, s[0:1]
	v_cmp_gt_u32_e64 s[12:13], 32, v14
	s_and_saveexec_b64 s[0:1], s[12:13]
	s_cbranch_execz .LBB36_753
.LBB36_1136:
	ds_read_b64 v[29:30], v26 offset:23936
	ds_read_b64 v[31:32], v31 offset:16752
	s_waitcnt lgkmcnt(0)
	v_fma_f64 v[11:12], v[29:30], v[31:32], v[11:12]
	s_or_b64 exec, exec, s[0:1]
	v_cmp_gt_u32_e64 s[12:13], 16, v14
	s_and_saveexec_b64 s[0:1], s[12:13]
	s_cbranch_execnz .LBB36_754
	s_branch .LBB36_755
.LBB36_1137:
	v_lshlrev_b32_e32 v27, 3, v20
	v_sub_u32_e32 v27, v26, v27
	v_lshl_add_u32 v27, v19, 3, v27
	ds_read_b64 v[27:28], v27 offset:25504
	ds_read_b64 v[29:30], v26 offset:24968
	s_waitcnt lgkmcnt(0)
	v_fma_f64 v[11:12], v[27:28], v[29:30], v[11:12]
	s_or_b64 exec, exec, s[12:13]
	v_cmp_gt_u32_e64 s[10:11], 8, v14
	s_and_saveexec_b64 s[12:13], s[10:11]
	s_cbranch_execz .LBB36_843
.LBB36_1138:
	ds_read_b64 v[27:28], v16 offset:26016
	ds_read_b64 v[29:30], v26 offset:24976
	s_waitcnt lgkmcnt(0)
	v_fma_f64 v[11:12], v[27:28], v[29:30], v[11:12]
	s_or_b64 exec, exec, s[12:13]
	v_cmp_gt_u32_e64 s[10:11], 4, v14
	s_and_saveexec_b64 s[12:13], s[10:11]
	s_cbranch_execnz .LBB36_844
	s_branch .LBB36_845
.LBB36_1139:
	v_lshlrev_b32_e32 v27, 3, v25
	v_sub_u32_e32 v27, v26, v27
	v_lshl_add_u32 v27, v24, 3, v27
	ds_read_b64 v[27:28], v27 offset:25536
	ds_read_b64 v[29:30], v26 offset:24968
	s_waitcnt lgkmcnt(0)
	v_fma_f64 v[11:12], v[27:28], v[29:30], v[11:12]
	s_or_b64 exec, exec, s[12:13]
	v_cmp_gt_u32_e64 s[10:11], 48, v14
	s_and_saveexec_b64 s[12:13], s[10:11]
	s_cbranch_execz .LBB36_885
.LBB36_1140:
	v_lshlrev_b32_e32 v27, 3, v25
	v_sub_u32_e32 v27, v26, v27
	v_lshl_add_u32 v27, v24, 3, v27
	ds_read_b64 v[27:28], v27 offset:26048
	ds_read_b64 v[29:30], v26 offset:24976
	s_waitcnt lgkmcnt(0)
	v_fma_f64 v[11:12], v[27:28], v[29:30], v[11:12]
	s_or_b64 exec, exec, s[12:13]
	v_cmp_gt_u32_e64 s[10:11], 40, v14
	s_and_saveexec_b64 s[12:13], s[10:11]
	s_cbranch_execz .LBB36_886
.LBB36_1141:
	v_lshlrev_b32_e32 v27, 3, v25
	v_sub_u32_e32 v27, v26, v27
	v_lshl_add_u32 v27, v24, 3, v27
	ds_read_b64 v[27:28], v27 offset:26560
	ds_read_b64 v[29:30], v26 offset:24984
	s_waitcnt lgkmcnt(0)
	v_fma_f64 v[11:12], v[27:28], v[29:30], v[11:12]
	s_or_b64 exec, exec, s[12:13]
	v_cmp_gt_u32_e64 s[10:11], 32, v14
	s_and_saveexec_b64 s[12:13], s[10:11]
	s_cbranch_execz .LBB36_887
.LBB36_1142:
	ds_read_b64 v[27:28], v21 offset:27072
	ds_read_b64 v[29:30], v26 offset:24992
	s_waitcnt lgkmcnt(0)
	v_fma_f64 v[11:12], v[27:28], v[29:30], v[11:12]
	s_or_b64 exec, exec, s[12:13]
	v_cmp_gt_u32_e64 s[10:11], 24, v14
	s_and_saveexec_b64 s[12:13], s[10:11]
	s_cbranch_execz .LBB36_888
.LBB36_1143:
	v_lshlrev_b32_e32 v25, 3, v25
	v_sub_u32_e32 v25, v26, v25
	v_lshl_add_u32 v24, v24, 3, v25
	ds_read_b64 v[24:25], v24 offset:27584
	ds_read_b64 v[27:28], v26 offset:25000
	s_waitcnt lgkmcnt(0)
	v_fma_f64 v[11:12], v[24:25], v[27:28], v[11:12]
	s_or_b64 exec, exec, s[12:13]
	v_cmp_gt_u32_e64 s[10:11], 16, v14
	s_and_saveexec_b64 s[12:13], s[10:11]
	s_cbranch_execz .LBB36_889
.LBB36_1144:
	ds_read_b64 v[24:25], v21 offset:28096
	ds_read_b64 v[26:27], v26 offset:25008
	s_waitcnt lgkmcnt(0)
	v_fma_f64 v[11:12], v[24:25], v[26:27], v[11:12]
	s_or_b64 exec, exec, s[12:13]
	v_cmp_gt_u32_e64 s[10:11], 8, v14
	s_and_saveexec_b64 s[12:13], s[10:11]
	s_cbranch_execnz .LBB36_890
	s_branch .LBB36_891
.LBB36_1145:
	v_lshlrev_b32_e32 v20, 3, v20
	v_sub_u32_e32 v20, v21, v20
	v_lshl_add_u32 v19, v19, 3, v20
	ds_read_b64 v[19:20], v19 offset:29664
	ds_read_b64 v[22:23], v21 offset:29128
	s_waitcnt lgkmcnt(0)
	v_fma_f64 v[11:12], v[19:20], v[22:23], v[11:12]
	s_or_b64 exec, exec, s[10:11]
	v_cmp_gt_u32_e64 s[8:9], 8, v14
	s_and_saveexec_b64 s[10:11], s[8:9]
	s_cbranch_execz .LBB36_947
.LBB36_1146:
	ds_read_b64 v[19:20], v16 offset:30176
	ds_read_b64 v[21:22], v21 offset:29136
	s_waitcnt lgkmcnt(0)
	v_fma_f64 v[11:12], v[19:20], v[21:22], v[11:12]
	s_or_b64 exec, exec, s[10:11]
	v_cmp_gt_u32_e64 s[8:9], 4, v14
	s_and_saveexec_b64 s[10:11], s[8:9]
	s_cbranch_execnz .LBB36_948
	s_branch .LBB36_949
	.section	.rodata,"a",@progbits
	.p2align	6, 0x0
	.amdhsa_kernel _ZL19rocblas_trsv_deviceILi64ELi16ELb1ELb1ELb1ELb0EdPKdS1_PdEviT7_lllT6_T8_lllPii
		.amdhsa_group_segment_fixed_size 41480
		.amdhsa_private_segment_fixed_size 0
		.amdhsa_kernarg_size 352
		.amdhsa_user_sgpr_count 6
		.amdhsa_user_sgpr_private_segment_buffer 1
		.amdhsa_user_sgpr_dispatch_ptr 0
		.amdhsa_user_sgpr_queue_ptr 0
		.amdhsa_user_sgpr_kernarg_segment_ptr 1
		.amdhsa_user_sgpr_dispatch_id 0
		.amdhsa_user_sgpr_flat_scratch_init 0
		.amdhsa_user_sgpr_private_segment_size 0
		.amdhsa_uses_dynamic_stack 0
		.amdhsa_system_sgpr_private_segment_wavefront_offset 0
		.amdhsa_system_sgpr_workgroup_id_x 1
		.amdhsa_system_sgpr_workgroup_id_y 0
		.amdhsa_system_sgpr_workgroup_id_z 1
		.amdhsa_system_sgpr_workgroup_info 0
		.amdhsa_system_vgpr_workitem_id 1
		.amdhsa_next_free_vgpr 49
		.amdhsa_next_free_sgpr 98
		.amdhsa_reserve_vcc 1
		.amdhsa_reserve_flat_scratch 0
		.amdhsa_float_round_mode_32 0
		.amdhsa_float_round_mode_16_64 0
		.amdhsa_float_denorm_mode_32 3
		.amdhsa_float_denorm_mode_16_64 3
		.amdhsa_dx10_clamp 1
		.amdhsa_ieee_mode 1
		.amdhsa_fp16_overflow 0
		.amdhsa_exception_fp_ieee_invalid_op 0
		.amdhsa_exception_fp_denorm_src 0
		.amdhsa_exception_fp_ieee_div_zero 0
		.amdhsa_exception_fp_ieee_overflow 0
		.amdhsa_exception_fp_ieee_underflow 0
		.amdhsa_exception_fp_ieee_inexact 0
		.amdhsa_exception_int_div_zero 0
	.end_amdhsa_kernel
	.section	.text._ZL19rocblas_trsv_deviceILi64ELi16ELb1ELb1ELb1ELb0EdPKdS1_PdEviT7_lllT6_T8_lllPii,"axG",@progbits,_ZL19rocblas_trsv_deviceILi64ELi16ELb1ELb1ELb1ELb0EdPKdS1_PdEviT7_lllT6_T8_lllPii,comdat
.Lfunc_end36:
	.size	_ZL19rocblas_trsv_deviceILi64ELi16ELb1ELb1ELb1ELb0EdPKdS1_PdEviT7_lllT6_T8_lllPii, .Lfunc_end36-_ZL19rocblas_trsv_deviceILi64ELi16ELb1ELb1ELb1ELb0EdPKdS1_PdEviT7_lllT6_T8_lllPii
                                        ; -- End function
	.set _ZL19rocblas_trsv_deviceILi64ELi16ELb1ELb1ELb1ELb0EdPKdS1_PdEviT7_lllT6_T8_lllPii.num_vgpr, 43
	.set _ZL19rocblas_trsv_deviceILi64ELi16ELb1ELb1ELb1ELb0EdPKdS1_PdEviT7_lllT6_T8_lllPii.num_agpr, 0
	.set _ZL19rocblas_trsv_deviceILi64ELi16ELb1ELb1ELb1ELb0EdPKdS1_PdEviT7_lllT6_T8_lllPii.numbered_sgpr, 96
	.set _ZL19rocblas_trsv_deviceILi64ELi16ELb1ELb1ELb1ELb0EdPKdS1_PdEviT7_lllT6_T8_lllPii.num_named_barrier, 0
	.set _ZL19rocblas_trsv_deviceILi64ELi16ELb1ELb1ELb1ELb0EdPKdS1_PdEviT7_lllT6_T8_lllPii.private_seg_size, 0
	.set _ZL19rocblas_trsv_deviceILi64ELi16ELb1ELb1ELb1ELb0EdPKdS1_PdEviT7_lllT6_T8_lllPii.uses_vcc, 1
	.set _ZL19rocblas_trsv_deviceILi64ELi16ELb1ELb1ELb1ELb0EdPKdS1_PdEviT7_lllT6_T8_lllPii.uses_flat_scratch, 0
	.set _ZL19rocblas_trsv_deviceILi64ELi16ELb1ELb1ELb1ELb0EdPKdS1_PdEviT7_lllT6_T8_lllPii.has_dyn_sized_stack, 0
	.set _ZL19rocblas_trsv_deviceILi64ELi16ELb1ELb1ELb1ELb0EdPKdS1_PdEviT7_lllT6_T8_lllPii.has_recursion, 0
	.set _ZL19rocblas_trsv_deviceILi64ELi16ELb1ELb1ELb1ELb0EdPKdS1_PdEviT7_lllT6_T8_lllPii.has_indirect_call, 0
	.section	.AMDGPU.csdata,"",@progbits
; Kernel info:
; codeLenInByte = 38648
; TotalNumSgprs: 100
; NumVgprs: 43
; ScratchSize: 0
; MemoryBound: 0
; FloatMode: 240
; IeeeMode: 1
; LDSByteSize: 41480 bytes/workgroup (compile time only)
; SGPRBlocks: 12
; VGPRBlocks: 12
; NumSGPRsForWavesPerEU: 102
; NumVGPRsForWavesPerEU: 49
; Occupancy: 4
; WaveLimiterHint : 0
; COMPUTE_PGM_RSRC2:SCRATCH_EN: 0
; COMPUTE_PGM_RSRC2:USER_SGPR: 6
; COMPUTE_PGM_RSRC2:TRAP_HANDLER: 0
; COMPUTE_PGM_RSRC2:TGID_X_EN: 1
; COMPUTE_PGM_RSRC2:TGID_Y_EN: 0
; COMPUTE_PGM_RSRC2:TGID_Z_EN: 1
; COMPUTE_PGM_RSRC2:TIDIG_COMP_CNT: 1
	.section	.text._ZL19rocblas_trsv_deviceILi64ELi16ELb0ELb0ELb0ELb1EddPKdPdEviT7_lllT6_T8_lllPii,"axG",@progbits,_ZL19rocblas_trsv_deviceILi64ELi16ELb0ELb0ELb0ELb1EddPKdPdEviT7_lllT6_T8_lllPii,comdat
	.globl	_ZL19rocblas_trsv_deviceILi64ELi16ELb0ELb0ELb0ELb1EddPKdPdEviT7_lllT6_T8_lllPii ; -- Begin function _ZL19rocblas_trsv_deviceILi64ELi16ELb0ELb0ELb0ELb1EddPKdPdEviT7_lllT6_T8_lllPii
	.p2align	8
	.type	_ZL19rocblas_trsv_deviceILi64ELi16ELb0ELb0ELb0ELb1EddPKdPdEviT7_lllT6_T8_lllPii,@function
_ZL19rocblas_trsv_deviceILi64ELi16ELb0ELb0ELb0ELb1EddPKdPdEviT7_lllT6_T8_lllPii: ; @_ZL19rocblas_trsv_deviceILi64ELi16ELb0ELb0ELb0ELb1EddPKdPdEviT7_lllT6_T8_lllPii
; %bb.0:
	s_load_dwordx16 s[16:31], s[4:5], 0x8
	s_load_dword s36, s[4:5], 0x0
	s_mov_b32 s34, s7
	s_mov_b32 s35, 0
	s_load_dword s95, s[4:5], 0x6c
	s_waitcnt lgkmcnt(0)
	s_mul_i32 s0, s23, s7
	s_mul_hi_u32 s1, s22, s7
	s_add_i32 s1, s1, s0
	s_mul_i32 s0, s22, s7
	s_load_dword s7, s[4:5], 0x60
	s_lshl_b64 s[0:1], s[0:1], 3
	s_add_u32 s2, s16, s0
	s_addc_u32 s3, s17, s1
	s_lshl_b64 s[0:1], s[18:19], 3
	s_add_u32 s93, s2, s0
	s_addc_u32 s94, s3, s1
	s_waitcnt lgkmcnt(0)
	s_add_i32 s7, s7, -1
	s_sub_i32 s33, s7, s6
	s_cmp_eq_u32 s6, 0
	s_cbranch_scc1 .LBB37_10
; %bb.1:
	s_lshl_b32 s2, s33, 6
	v_add3_u32 v12, v1, s2, 64
	v_ashrrev_i32_e32 v2, 31, v12
	v_mul_lo_u32 v6, s20, v2
	v_mul_lo_u32 v7, s21, v12
	v_mad_u64_u32 v[2:3], s[0:1], s20, v12, 0
	v_add_u32_e32 v4, s2, v0
	v_ashrrev_i32_e32 v5, 31, v4
	v_add3_u32 v3, v3, v6, v7
	v_lshlrev_b64 v[2:3], 3, v[2:3]
	v_mov_b32_e32 v6, s94
	v_add_co_u32_e64 v7, s[0:1], s93, v2
	v_addc_co_u32_e64 v6, s[0:1], v6, v3, s[0:1]
	v_lshlrev_b64 v[2:3], 3, v[4:5]
	v_cmp_gt_i32_e32 vcc, s36, v4
	v_add_co_u32_e64 v10, s[0:1], v7, v2
	v_addc_co_u32_e64 v11, s[0:1], v6, v3, s[0:1]
	v_cmp_gt_i32_e64 s[0:1], s36, v12
	v_mov_b32_e32 v4, 0
	v_mov_b32_e32 v2, 0
	;; [unrolled: 1-line block ×4, first 2 shown]
	s_and_b64 s[2:3], vcc, s[0:1]
	s_barrier
	s_and_saveexec_b64 s[0:1], s[2:3]
	s_cbranch_execz .LBB37_3
; %bb.2:
	global_load_dwordx2 v[2:3], v[10:11], off
.LBB37_3:
	s_or_b64 exec, exec, s[0:1]
	v_add_u32_e32 v6, 16, v12
	v_cmp_gt_i32_e64 s[0:1], s36, v6
	s_and_b64 s[0:1], vcc, s[0:1]
	s_waitcnt vmcnt(0)
	s_barrier
	s_and_saveexec_b64 s[2:3], s[0:1]
	s_cbranch_execz .LBB37_5
; %bb.4:
	s_lshl_b64 s[0:1], s[20:21], 7
	v_mov_b32_e32 v5, s1
	v_add_co_u32_e64 v4, s[0:1], s0, v10
	v_addc_co_u32_e64 v5, s[0:1], v11, v5, s[0:1]
	global_load_dwordx2 v[4:5], v[4:5], off
.LBB37_5:
	s_or_b64 exec, exec, s[2:3]
	v_add_u32_e32 v6, 32, v12
	v_cmp_gt_i32_e64 s[0:1], s36, v6
	v_mov_b32_e32 v6, 0
	v_mov_b32_e32 v8, 0
	v_mov_b32_e32 v7, 0
	v_mov_b32_e32 v9, 0
	s_and_b64 s[0:1], vcc, s[0:1]
	s_waitcnt vmcnt(0)
	s_barrier
	s_and_saveexec_b64 s[2:3], s[0:1]
	s_cbranch_execz .LBB37_7
; %bb.6:
	s_lshl_b64 s[0:1], s[20:21], 8
	v_mov_b32_e32 v9, s1
	v_add_co_u32_e64 v8, s[0:1], s0, v10
	v_addc_co_u32_e64 v9, s[0:1], v11, v9, s[0:1]
	global_load_dwordx2 v[8:9], v[8:9], off
.LBB37_7:
	s_or_b64 exec, exec, s[2:3]
	v_add_u32_e32 v12, 48, v12
	v_cmp_gt_i32_e64 s[0:1], s36, v12
	s_and_b64 s[2:3], vcc, s[0:1]
	s_waitcnt vmcnt(0)
	s_barrier
	s_and_saveexec_b64 s[0:1], s[2:3]
	s_cbranch_execz .LBB37_9
; %bb.8:
	v_mov_b32_e32 v6, 0x180
	v_mad_u64_u32 v[6:7], s[2:3], s20, v6, v[10:11]
	s_mul_i32 s2, s21, 0x180
	v_add_u32_e32 v7, s2, v7
	global_load_dwordx2 v[6:7], v[6:7], off
.LBB37_9:
	s_or_b64 exec, exec, s[0:1]
	s_branch .LBB37_11
.LBB37_10:
                                        ; implicit-def: $vgpr6_vgpr7
                                        ; implicit-def: $vgpr8_vgpr9
                                        ; implicit-def: $vgpr4_vgpr5
                                        ; implicit-def: $vgpr2_vgpr3
.LBB37_11:
	s_ashr_i32 s37, s36, 31
	s_lshr_b32 s0, s37, 26
	s_add_i32 s0, s36, s0
	s_andn2_b32 s0, s0, 63
	s_sub_i32 s92, s36, s0
	s_add_i32 s0, s36, -1
	s_ashr_i32 s1, s0, 31
	s_lshr_b32 s1, s1, 26
	s_add_i32 s0, s0, s1
	s_ashr_i32 s0, s0, 6
	s_cmp_eq_u32 s0, s33
	s_cselect_b64 s[0:1], -1, 0
	s_cmp_lg_u32 s92, 0
	s_cselect_b64 s[2:3], -1, 0
	s_and_b64 s[18:19], s[2:3], s[0:1]
	s_mov_b64 s[2:3], -1
	s_and_b64 vcc, exec, s[18:19]
	v_cmp_le_u32_e64 s[0:1], v1, v0
	s_cbranch_vccnz .LBB37_33
; %bb.12:
	s_add_u32 s2, s20, 1
	s_addc_u32 s3, s21, 0
	s_lshl_b32 s8, s33, 6
	s_ashr_i32 s9, s8, 31
	s_mul_hi_u32 s10, s2, s8
	s_mul_i32 s9, s2, s9
	s_add_i32 s9, s10, s9
	s_mul_i32 s3, s3, s8
	s_add_i32 s3, s9, s3
	s_mul_i32 s2, s2, s8
	s_lshl_b64 s[2:3], s[2:3], 3
	s_add_u32 s2, s93, s2
	s_addc_u32 s3, s94, s3
	v_lshlrev_b32_e32 v14, 3, v0
	v_mov_b32_e32 v11, s3
	v_add_co_u32_e32 v10, vcc, s2, v14
	v_addc_co_u32_e32 v11, vcc, 0, v11, vcc
	s_mov_b64 s[2:3], 0
	s_and_saveexec_b64 s[8:9], s[0:1]
	s_xor_b64 s[0:1], exec, s[8:9]
; %bb.13:
	v_or_b32_e32 v12, v1, v0
	v_cmp_gt_u32_e32 vcc, 64, v12
	s_and_b64 s[2:3], vcc, exec
; %bb.14:
	s_or_saveexec_b64 s[0:1], s[0:1]
	v_mov_b32_e32 v12, 0
	v_mov_b32_e32 v13, 0
	s_xor_b64 exec, exec, s[0:1]
	s_cbranch_execz .LBB37_16
; %bb.15:
	v_mad_u64_u32 v[12:13], s[8:9], s20, v1, 0
	s_or_b64 s[2:3], s[2:3], exec
	v_mad_u64_u32 v[15:16], s[8:9], s21, v1, v[13:14]
	v_mov_b32_e32 v13, v15
	v_lshlrev_b64 v[12:13], 3, v[12:13]
	v_add_co_u32_e32 v12, vcc, v10, v12
	v_addc_co_u32_e32 v13, vcc, v11, v13, vcc
	global_load_dwordx2 v[12:13], v[12:13], off
	s_waitcnt vmcnt(0)
	v_xor_b32_e32 v13, 0x80000000, v13
.LBB37_16:
	s_or_b64 exec, exec, s[0:1]
	s_and_saveexec_b64 s[0:1], s[2:3]
; %bb.17:
	v_lshl_add_u32 v15, v1, 9, v14
	ds_write_b64 v15, v[12:13]
; %bb.18:
	s_or_b64 exec, exec, s[0:1]
	v_add_u32_e32 v15, 16, v1
	v_cmp_le_u32_e32 vcc, v15, v0
	s_mov_b64 s[0:1], 0
	s_and_saveexec_b64 s[2:3], vcc
	s_xor_b64 s[2:3], exec, s[2:3]
; %bb.19:
	v_or_b32_e32 v12, v15, v0
	v_cmp_gt_u32_e32 vcc, 64, v12
	s_and_b64 s[0:1], vcc, exec
; %bb.20:
	s_or_saveexec_b64 s[2:3], s[2:3]
	v_mov_b32_e32 v12, 0
	v_mov_b32_e32 v13, 0
	s_xor_b64 exec, exec, s[2:3]
	s_cbranch_execz .LBB37_22
; %bb.21:
	v_mad_u64_u32 v[12:13], s[8:9], s20, v15, 0
	s_or_b64 s[0:1], s[0:1], exec
	v_mad_u64_u32 v[16:17], s[8:9], s21, v15, v[13:14]
	v_mov_b32_e32 v13, v16
	v_lshlrev_b64 v[12:13], 3, v[12:13]
	v_add_co_u32_e32 v12, vcc, v10, v12
	v_addc_co_u32_e32 v13, vcc, v11, v13, vcc
	global_load_dwordx2 v[12:13], v[12:13], off
	s_waitcnt vmcnt(0)
	v_xor_b32_e32 v13, 0x80000000, v13
.LBB37_22:
	s_or_b64 exec, exec, s[2:3]
	s_and_saveexec_b64 s[2:3], s[0:1]
; %bb.23:
	v_lshl_add_u32 v15, v15, 9, v14
	ds_write_b64 v15, v[12:13]
; %bb.24:
	s_or_b64 exec, exec, s[2:3]
	v_add_u32_e32 v15, 32, v1
	v_cmp_le_u32_e32 vcc, v15, v0
	s_mov_b64 s[0:1], 0
	s_and_saveexec_b64 s[2:3], vcc
	s_xor_b64 s[2:3], exec, s[2:3]
; %bb.25:
	v_or_b32_e32 v12, v15, v0
	v_cmp_gt_u32_e32 vcc, 64, v12
	s_and_b64 s[0:1], vcc, exec
; %bb.26:
	s_or_saveexec_b64 s[2:3], s[2:3]
	v_mov_b32_e32 v12, 0
	v_mov_b32_e32 v13, 0
	s_xor_b64 exec, exec, s[2:3]
	s_cbranch_execz .LBB37_28
; %bb.27:
	v_mad_u64_u32 v[12:13], s[8:9], s20, v15, 0
	s_or_b64 s[0:1], s[0:1], exec
	v_mad_u64_u32 v[16:17], s[8:9], s21, v15, v[13:14]
	v_mov_b32_e32 v13, v16
	v_lshlrev_b64 v[12:13], 3, v[12:13]
	v_add_co_u32_e32 v12, vcc, v10, v12
	v_addc_co_u32_e32 v13, vcc, v11, v13, vcc
	global_load_dwordx2 v[12:13], v[12:13], off
	s_waitcnt vmcnt(0)
	v_xor_b32_e32 v13, 0x80000000, v13
.LBB37_28:
	s_or_b64 exec, exec, s[2:3]
	s_and_saveexec_b64 s[2:3], s[0:1]
; %bb.29:
	v_lshl_add_u32 v14, v15, 9, v14
	ds_write_b64 v14, v[12:13]
; %bb.30:
	s_or_b64 exec, exec, s[2:3]
	v_add_u32_e32 v14, 48, v1
	v_cmp_le_u32_e32 vcc, v14, v0
	s_mov_b64 s[0:1], -1
	s_mov_b64 s[2:3], 0
	s_mov_b64 s[8:9], 0
	s_and_saveexec_b64 s[10:11], vcc
	s_xor_b64 s[10:11], exec, s[10:11]
; %bb.31:
	v_or_b32_e32 v12, v14, v0
	v_cmp_gt_u32_e32 vcc, 64, v12
	s_and_b64 s[8:9], vcc, exec
	s_xor_b64 s[0:1], exec, -1
; %bb.32:
	s_or_b64 exec, exec, s[10:11]
	v_lshl_add_u32 v15, v14, 6, v0
	s_and_b64 vcc, exec, s[2:3]
	s_cbranch_vccnz .LBB37_34
	s_branch .LBB37_55
.LBB37_33:
	s_mov_b64 s[0:1], 0
	s_mov_b64 s[8:9], 0
                                        ; implicit-def: $vgpr15
                                        ; implicit-def: $vgpr10_vgpr11
                                        ; implicit-def: $vgpr14
	s_and_b64 vcc, exec, s[2:3]
	s_cbranch_vccz .LBB37_55
.LBB37_34:
	s_add_u32 s0, s20, 1
	s_addc_u32 s1, s21, 0
	s_lshl_b32 s2, s33, 6
	s_ashr_i32 s3, s2, 31
	s_mul_hi_u32 s10, s0, s2
	s_mul_i32 s3, s0, s3
	s_add_i32 s3, s10, s3
	s_mul_i32 s1, s1, s2
	s_add_i32 s1, s3, s1
	s_mul_i32 s0, s0, s2
	s_lshl_b64 s[0:1], s[0:1], 3
	s_add_u32 s0, s93, s0
	s_addc_u32 s1, s94, s1
	v_lshlrev_b32_e32 v14, 3, v0
	v_mov_b32_e32 v11, s1
	v_add_co_u32_e64 v10, s[0:1], s0, v14
	v_addc_co_u32_e64 v11, s[0:1], 0, v11, s[0:1]
	v_max_i32_e32 v12, v1, v0
	v_cmp_le_u32_e64 s[0:1], v1, v0
	v_cmp_le_i32_e64 s[2:3], s92, v12
	v_cmp_gt_i32_e32 vcc, s92, v0
	s_or_b64 s[0:1], s[2:3], s[0:1]
	s_mov_b64 s[2:3], 0
	s_and_saveexec_b64 s[10:11], s[0:1]
	s_xor_b64 s[10:11], exec, s[10:11]
; %bb.35:
	v_or_b32_e32 v12, v1, v0
	v_cmp_gt_u32_e64 s[0:1], 64, v12
	s_and_b64 s[2:3], s[0:1], exec
; %bb.36:
	s_or_saveexec_b64 s[10:11], s[10:11]
	v_mov_b32_e32 v12, 0
	v_mov_b32_e32 v13, 0
	s_xor_b64 exec, exec, s[10:11]
	s_cbranch_execz .LBB37_38
; %bb.37:
	v_mad_u64_u32 v[12:13], s[0:1], s20, v1, 0
	s_or_b64 s[2:3], s[2:3], exec
	v_mad_u64_u32 v[15:16], s[0:1], s21, v1, v[13:14]
	v_mov_b32_e32 v13, v15
	v_lshlrev_b64 v[12:13], 3, v[12:13]
	v_add_co_u32_e64 v12, s[0:1], v10, v12
	v_addc_co_u32_e64 v13, s[0:1], v11, v13, s[0:1]
	global_load_dwordx2 v[12:13], v[12:13], off
	s_waitcnt vmcnt(0)
	v_xor_b32_e32 v13, 0x80000000, v13
.LBB37_38:
	s_or_b64 exec, exec, s[10:11]
	s_and_saveexec_b64 s[0:1], s[2:3]
; %bb.39:
	v_lshl_add_u32 v15, v1, 9, v14
	ds_write_b64 v15, v[12:13]
; %bb.40:
	s_or_b64 exec, exec, s[0:1]
	v_add_u32_e32 v15, 16, v1
	v_cmp_gt_u32_e64 s[0:1], v15, v0
	v_cmp_gt_i32_e64 s[2:3], s92, v15
	s_and_b64 s[0:1], s[0:1], s[2:3]
	s_and_b64 s[0:1], s[0:1], vcc
	s_xor_b64 s[0:1], s[0:1], -1
	s_mov_b64 s[2:3], 0
	s_and_saveexec_b64 s[10:11], s[0:1]
	s_xor_b64 s[10:11], exec, s[10:11]
; %bb.41:
	v_or_b32_e32 v12, v15, v0
	v_cmp_gt_u32_e64 s[0:1], 64, v12
	s_and_b64 s[2:3], s[0:1], exec
; %bb.42:
	s_or_saveexec_b64 s[10:11], s[10:11]
	v_mov_b32_e32 v12, 0
	v_mov_b32_e32 v13, 0
	s_xor_b64 exec, exec, s[10:11]
	s_cbranch_execz .LBB37_44
; %bb.43:
	v_mad_u64_u32 v[12:13], s[0:1], s20, v15, 0
	s_or_b64 s[2:3], s[2:3], exec
	v_mad_u64_u32 v[16:17], s[0:1], s21, v15, v[13:14]
	v_mov_b32_e32 v13, v16
	v_lshlrev_b64 v[12:13], 3, v[12:13]
	v_add_co_u32_e64 v12, s[0:1], v10, v12
	v_addc_co_u32_e64 v13, s[0:1], v11, v13, s[0:1]
	global_load_dwordx2 v[12:13], v[12:13], off
	s_waitcnt vmcnt(0)
	v_xor_b32_e32 v13, 0x80000000, v13
.LBB37_44:
	s_or_b64 exec, exec, s[10:11]
	s_and_saveexec_b64 s[0:1], s[2:3]
; %bb.45:
	v_lshl_add_u32 v15, v15, 9, v14
	ds_write_b64 v15, v[12:13]
; %bb.46:
	s_or_b64 exec, exec, s[0:1]
	v_add_u32_e32 v15, 32, v1
	v_cmp_gt_u32_e64 s[0:1], v15, v0
	v_cmp_gt_i32_e64 s[2:3], s92, v15
	s_and_b64 s[0:1], s[0:1], s[2:3]
	s_and_b64 s[0:1], s[0:1], vcc
	s_xor_b64 s[0:1], s[0:1], -1
	s_mov_b64 s[2:3], 0
	s_and_saveexec_b64 s[10:11], s[0:1]
	s_xor_b64 s[10:11], exec, s[10:11]
; %bb.47:
	v_or_b32_e32 v12, v15, v0
	v_cmp_gt_u32_e64 s[0:1], 64, v12
	s_and_b64 s[2:3], s[0:1], exec
; %bb.48:
	s_or_saveexec_b64 s[10:11], s[10:11]
	v_mov_b32_e32 v12, 0
	v_mov_b32_e32 v13, 0
	s_xor_b64 exec, exec, s[10:11]
	s_cbranch_execz .LBB37_50
; %bb.49:
	v_mad_u64_u32 v[12:13], s[0:1], s20, v15, 0
	s_or_b64 s[2:3], s[2:3], exec
	v_mad_u64_u32 v[16:17], s[0:1], s21, v15, v[13:14]
	v_mov_b32_e32 v13, v16
	v_lshlrev_b64 v[12:13], 3, v[12:13]
	v_add_co_u32_e64 v12, s[0:1], v10, v12
	v_addc_co_u32_e64 v13, s[0:1], v11, v13, s[0:1]
	global_load_dwordx2 v[12:13], v[12:13], off
	s_waitcnt vmcnt(0)
	v_xor_b32_e32 v13, 0x80000000, v13
.LBB37_50:
	s_or_b64 exec, exec, s[10:11]
	s_and_saveexec_b64 s[0:1], s[2:3]
; %bb.51:
	v_lshl_add_u32 v14, v15, 9, v14
	ds_write_b64 v14, v[12:13]
; %bb.52:
	s_or_b64 exec, exec, s[0:1]
	v_add_u32_e32 v14, 48, v1
	v_cmp_gt_u32_e64 s[0:1], v14, v0
	v_cmp_gt_i32_e64 s[2:3], s92, v14
	s_and_b64 s[0:1], s[0:1], s[2:3]
	s_and_b64 s[2:3], s[0:1], vcc
	s_mov_b64 s[0:1], -1
	s_xor_b64 s[10:11], s[2:3], -1
	s_and_saveexec_b64 s[2:3], s[10:11]
; %bb.53:
	v_or_b32_e32 v12, v14, v0
	v_cmp_gt_u32_e32 vcc, 64, v12
	s_andn2_b64 s[0:1], s[8:9], exec
	s_and_b64 s[8:9], vcc, exec
	s_or_b64 s[8:9], s[0:1], s[8:9]
	s_xor_b64 s[0:1], exec, -1
; %bb.54:
	s_or_b64 exec, exec, s[2:3]
	v_lshl_add_u32 v15, v14, 6, v0
.LBB37_55:
	v_mov_b32_e32 v12, 0
	v_mov_b32_e32 v13, 0
	s_and_saveexec_b64 s[2:3], s[0:1]
	s_cbranch_execnz .LBB37_1077
; %bb.56:
	s_or_b64 exec, exec, s[2:3]
	s_and_saveexec_b64 s[0:1], s[8:9]
.LBB37_57:
	v_lshlrev_b32_e32 v10, 3, v15
	ds_write_b64 v10, v[12:13]
.LBB37_58:
	s_or_b64 exec, exec, s[0:1]
	s_cmp_lt_i32 s6, 5
	s_cselect_b64 s[0:1], -1, 0
	s_or_b64 s[22:23], s[0:1], s[18:19]
	s_and_b64 vcc, exec, s[22:23]
	s_waitcnt vmcnt(0) lgkmcnt(0)
	s_barrier
	s_cbranch_vccnz .LBB37_1034
; %bb.59:
	v_or_b32_e32 v10, v0, v1
	s_mov_b32 s2, 0
	v_cmp_eq_u32_e32 vcc, 0, v10
	s_and_saveexec_b64 s[0:1], vcc
	s_cbranch_execz .LBB37_61
; %bb.60:
	s_mov_b32 s3, 0x3ff00000
	v_mov_b32_e32 v11, s3
	v_mov_b32_e32 v10, s2
	s_movk_i32 s2, 0x7800
	v_add_u32_e64 v12, s2, 0
	ds_write2_b64 v12, v[10:11], v[10:11] offset0:190 offset1:255
.LBB37_61:
	s_or_b64 exec, exec, s[0:1]
	v_lshlrev_b32_e32 v10, 6, v1
	v_add_u32_e32 v15, v10, v0
	v_and_b32_e32 v11, v10, v0
	v_xor_b32_e32 v10, v10, v0
	v_lshrrev_b16_e32 v10, 1, v10
	v_add_u16_e32 v14, v11, v10
	v_mov_b32_e32 v10, 0
	v_and_b32_e32 v12, 1, v0
	v_sub_u32_e32 v13, 1, v14
	v_cmp_lt_u32_e64 s[2:3], 3, v15
	v_mov_b32_e32 v11, 0
	v_cmp_gt_u32_e64 s[0:1], 4, v15
	s_waitcnt lgkmcnt(0)
	s_barrier
	buffer_wbinvl1_vol
	s_and_saveexec_b64 s[10:11], s[0:1]
	s_cbranch_execz .LBB37_65
; %bb.62:
	v_lshlrev_b32_e32 v16, 9, v13
	v_lshlrev_b32_e32 v10, 3, v12
	ds_read_b64 v[10:11], v10 offset:32224
	ds_read_b64 v[16:17], v16 offset:32240
	v_cmp_gt_u32_e64 s[8:9], 2, v15
	s_waitcnt lgkmcnt(0)
	v_fma_f64 v[10:11], v[10:11], v[16:17], 0
	s_and_saveexec_b64 s[12:13], s[8:9]
	s_cbranch_execz .LBB37_64
; %bb.63:
	v_lshlrev_b32_e32 v16, 3, v0
	v_mov_b32_e32 v18, 0
	ds_read_b64 v[16:17], v16 offset:32736
	ds_read_b64 v[18:19], v18 offset:32760
	s_waitcnt lgkmcnt(0)
	v_fma_f64 v[10:11], v[16:17], v[18:19], v[10:11]
.LBB37_64:
	s_or_b64 exec, exec, s[12:13]
.LBB37_65:
	s_or_b64 exec, exec, s[10:11]
	v_mov_b32_e32 v16, 0x8000
	v_cmp_ne_u32_e64 s[8:9], 0, v12
	s_xor_b64 s[10:11], s[2:3], -1
	v_lshl_add_u32 v14, v14, 3, v16
	s_and_b64 s[40:41], s[8:9], s[10:11]
	s_and_saveexec_b64 s[2:3], s[40:41]
; %bb.66:
	v_xor_b32_e32 v17, 0x80000000, v11
	v_mov_b32_e32 v16, v10
	ds_write_b64 v14, v[16:17]
; %bb.67:
	s_or_b64 exec, exec, s[2:3]
	v_cmp_eq_u32_e64 s[2:3], 0, v12
	s_and_b64 s[38:39], s[2:3], s[10:11]
	s_waitcnt lgkmcnt(0)
	s_barrier
	s_and_saveexec_b64 s[2:3], s[38:39]
	s_cbranch_execz .LBB37_69
; %bb.68:
	v_mov_b32_e32 v16, 0
	ds_read_b64 v[16:17], v16 offset:31712
	ds_read_b64 v[18:19], v14
	s_waitcnt lgkmcnt(0)
	v_fma_f64 v[10:11], -v[16:17], v[18:19], v[10:11]
.LBB37_69:
	s_or_b64 exec, exec, s[2:3]
	s_barrier
	s_and_saveexec_b64 s[2:3], s[38:39]
; %bb.70:
	v_xor_b32_e32 v17, 0x80000000, v11
	v_mov_b32_e32 v16, v10
	ds_write_b64 v14, v[16:17]
; %bb.71:
	s_or_b64 exec, exec, s[2:3]
	s_waitcnt lgkmcnt(0)
	s_barrier
	s_barrier
	s_and_saveexec_b64 s[2:3], s[0:1]
; %bb.72:
	v_lshlrev_b32_e32 v16, 3, v12
	v_lshl_or_b32 v16, v13, 9, v16
	ds_write_b64 v16, v[10:11] offset:32224
; %bb.73:
	s_or_b64 exec, exec, s[2:3]
	s_waitcnt lgkmcnt(0)
	s_barrier
	s_barrier
	s_and_saveexec_b64 s[2:3], vcc
	s_cbranch_execz .LBB37_75
; %bb.74:
	s_mov_b64 s[8:9], 1.0
	v_mov_b32_e32 v11, s9
	v_mov_b32_e32 v10, s8
	s_movk_i32 s8, 0x7800
	v_add_u32_e64 v16, s8, 0
	ds_write2_b64 v16, v[10:11], v[10:11] offset0:60 offset1:125
.LBB37_75:
	s_or_b64 exec, exec, s[2:3]
	v_lshrrev_b32_e32 v18, 2, v15
	v_mov_b32_e32 v10, 0
	v_and_b32_e32 v16, 3, v0
	v_sub_u32_e32 v17, 3, v18
	v_cmp_lt_u32_e64 s[8:9], 15, v15
	v_mov_b32_e32 v11, 0
	v_cmp_gt_u32_e64 s[2:3], 16, v15
	s_waitcnt lgkmcnt(0)
	s_barrier
	buffer_wbinvl1_vol
	s_and_saveexec_b64 s[12:13], s[2:3]
	s_cbranch_execz .LBB37_81
; %bb.76:
	v_lshlrev_b32_e32 v20, 3, v16
	v_lshlrev_b32_e32 v19, 9, v17
	ds_read_b64 v[10:11], v20 offset:31168
	ds_read_b64 v[21:22], v19 offset:31200
	v_cmp_gt_u32_e64 s[10:11], 12, v15
	s_waitcnt lgkmcnt(0)
	v_fma_f64 v[10:11], v[10:11], v[21:22], 0
	s_and_saveexec_b64 s[14:15], s[10:11]
	s_cbranch_execnz .LBB37_1108
; %bb.77:
	s_or_b64 exec, exec, s[14:15]
	v_cmp_gt_u32_e64 s[10:11], 8, v15
	s_and_saveexec_b64 s[14:15], s[10:11]
	s_cbranch_execnz .LBB37_1109
.LBB37_78:
	s_or_b64 exec, exec, s[14:15]
	v_cmp_gt_u32_e64 s[10:11], 4, v15
	s_and_saveexec_b64 s[14:15], s[10:11]
	s_cbranch_execz .LBB37_80
.LBB37_79:
	v_lshlrev_b32_e32 v19, 3, v0
	v_mov_b32_e32 v21, 0
	ds_read_b64 v[19:20], v19 offset:32704
	ds_read_b64 v[21:22], v21 offset:32760
	s_waitcnt lgkmcnt(0)
	v_fma_f64 v[10:11], v[19:20], v[21:22], v[10:11]
.LBB37_80:
	s_or_b64 exec, exec, s[14:15]
.LBB37_81:
	s_or_b64 exec, exec, s[12:13]
	v_mov_b32_e32 v19, 0x8000
	v_cmp_eq_u32_e64 s[10:11], 3, v16
	s_xor_b64 s[12:13], s[8:9], -1
	v_lshl_add_u32 v18, v18, 3, v19
	s_and_b64 s[44:45], s[10:11], s[12:13]
	s_and_saveexec_b64 s[8:9], s[44:45]
; %bb.82:
	v_xor_b32_e32 v20, 0x80000000, v11
	v_mov_b32_e32 v19, v10
	ds_write_b64 v18, v[19:20]
; %bb.83:
	s_or_b64 exec, exec, s[8:9]
	v_cmp_ne_u32_e64 s[8:9], 3, v16
	s_and_b64 s[46:47], s[8:9], s[12:13]
	s_waitcnt lgkmcnt(0)
	s_barrier
	s_and_saveexec_b64 s[8:9], s[46:47]
	s_cbranch_execz .LBB37_85
; %bb.84:
	v_lshlrev_b32_e32 v19, 3, v16
	ds_read_b64 v[19:20], v19 offset:30656
	ds_read_b64 v[21:22], v18
	s_waitcnt lgkmcnt(0)
	v_fma_f64 v[10:11], -v[19:20], v[21:22], v[10:11]
.LBB37_85:
	s_or_b64 exec, exec, s[8:9]
	v_cmp_eq_u32_e64 s[8:9], 2, v16
	s_and_b64 s[48:49], s[8:9], s[12:13]
	s_barrier
	s_and_saveexec_b64 s[8:9], s[48:49]
; %bb.86:
	v_xor_b32_e32 v20, 0x80000000, v11
	v_mov_b32_e32 v19, v10
	ds_write_b64 v18, v[19:20]
; %bb.87:
	s_or_b64 exec, exec, s[8:9]
	v_cmp_gt_u32_e64 s[8:9], 2, v16
	s_and_b64 s[50:51], s[8:9], s[12:13]
	s_waitcnt lgkmcnt(0)
	s_barrier
	s_and_saveexec_b64 s[8:9], s[50:51]
	s_cbranch_execz .LBB37_89
; %bb.88:
	v_lshlrev_b32_e32 v19, 3, v16
	ds_read_b64 v[19:20], v19 offset:30144
	ds_read_b64 v[21:22], v18
	s_waitcnt lgkmcnt(0)
	v_fma_f64 v[10:11], -v[19:20], v[21:22], v[10:11]
.LBB37_89:
	s_or_b64 exec, exec, s[8:9]
	v_cmp_eq_u32_e64 s[8:9], 1, v16
	s_and_b64 s[52:53], s[8:9], s[12:13]
	s_barrier
	s_and_saveexec_b64 s[8:9], s[52:53]
; %bb.90:
	v_xor_b32_e32 v20, 0x80000000, v11
	v_mov_b32_e32 v19, v10
	ds_write_b64 v18, v[19:20]
; %bb.91:
	s_or_b64 exec, exec, s[8:9]
	v_cmp_eq_u32_e64 s[8:9], 0, v16
	s_and_b64 s[42:43], s[8:9], s[12:13]
	s_waitcnt lgkmcnt(0)
	s_barrier
	s_and_saveexec_b64 s[8:9], s[42:43]
	s_cbranch_execz .LBB37_93
; %bb.92:
	v_mov_b32_e32 v19, 0
	ds_read_b64 v[19:20], v19 offset:29632
	ds_read_b64 v[21:22], v18
	s_waitcnt lgkmcnt(0)
	v_fma_f64 v[10:11], -v[19:20], v[21:22], v[10:11]
.LBB37_93:
	s_or_b64 exec, exec, s[8:9]
	s_barrier
	s_and_saveexec_b64 s[8:9], s[42:43]
; %bb.94:
	v_xor_b32_e32 v20, 0x80000000, v11
	v_mov_b32_e32 v19, v10
	ds_write_b64 v18, v[19:20]
; %bb.95:
	s_or_b64 exec, exec, s[8:9]
	s_waitcnt lgkmcnt(0)
	s_barrier
	s_barrier
	s_and_saveexec_b64 s[8:9], s[2:3]
; %bb.96:
	v_lshlrev_b32_e32 v19, 3, v16
	v_lshl_or_b32 v19, v17, 9, v19
	ds_write_b64 v19, v[10:11] offset:31168
; %bb.97:
	s_or_b64 exec, exec, s[8:9]
	s_waitcnt lgkmcnt(0)
	s_barrier
	s_barrier
	s_and_saveexec_b64 s[8:9], vcc
	s_cbranch_execz .LBB37_99
; %bb.98:
	s_mov_b64 s[10:11], 1.0
	v_mov_b32_e32 v10, s10
	v_mov_b32_e32 v11, s11
	s_movk_i32 s10, 0x7000
	v_add_u32_e64 v19, s10, 0
	ds_write2_b64 v19, v[10:11], v[10:11] offset0:186 offset1:251
.LBB37_99:
	s_or_b64 exec, exec, s[8:9]
	v_mov_b32_e32 v10, 0
	v_mov_b32_e32 v11, 0
	s_waitcnt lgkmcnt(0)
	s_barrier
	buffer_wbinvl1_vol
	s_and_saveexec_b64 s[10:11], s[0:1]
	s_cbranch_execz .LBB37_103
; %bb.100:
	v_lshlrev_b32_e32 v19, 9, v13
	v_lshlrev_b32_e32 v10, 3, v12
	ds_read_b64 v[10:11], v10 offset:30144
	ds_read_b64 v[19:20], v19 offset:30160
	v_cmp_gt_u32_e64 s[8:9], 2, v15
	s_waitcnt lgkmcnt(0)
	v_fma_f64 v[10:11], v[10:11], v[19:20], 0
	s_and_saveexec_b64 s[12:13], s[8:9]
	s_cbranch_execz .LBB37_102
; %bb.101:
	v_lshlrev_b32_e32 v19, 3, v0
	v_mov_b32_e32 v21, 0
	ds_read_b64 v[19:20], v19 offset:30656
	ds_read_b64 v[21:22], v21 offset:30680
	s_waitcnt lgkmcnt(0)
	v_fma_f64 v[10:11], v[19:20], v[21:22], v[10:11]
.LBB37_102:
	s_or_b64 exec, exec, s[12:13]
.LBB37_103:
	s_or_b64 exec, exec, s[10:11]
	s_and_saveexec_b64 s[8:9], s[40:41]
; %bb.104:
	v_xor_b32_e32 v20, 0x80000000, v11
	v_mov_b32_e32 v19, v10
	ds_write_b64 v14, v[19:20]
; %bb.105:
	s_or_b64 exec, exec, s[8:9]
	s_waitcnt lgkmcnt(0)
	s_barrier
	s_and_saveexec_b64 s[8:9], s[38:39]
	s_cbranch_execz .LBB37_107
; %bb.106:
	v_mov_b32_e32 v19, 0
	ds_read_b64 v[19:20], v19 offset:29632
	ds_read_b64 v[21:22], v14
	s_waitcnt lgkmcnt(0)
	v_fma_f64 v[10:11], -v[19:20], v[21:22], v[10:11]
.LBB37_107:
	s_or_b64 exec, exec, s[8:9]
	s_barrier
	s_and_saveexec_b64 s[8:9], s[38:39]
; %bb.108:
	v_xor_b32_e32 v20, 0x80000000, v11
	v_mov_b32_e32 v19, v10
	ds_write_b64 v14, v[19:20]
; %bb.109:
	s_or_b64 exec, exec, s[8:9]
	s_waitcnt lgkmcnt(0)
	s_barrier
	s_barrier
	s_and_saveexec_b64 s[8:9], s[0:1]
; %bb.110:
	v_lshlrev_b32_e32 v19, 3, v12
	v_lshl_or_b32 v19, v13, 9, v19
	ds_write_b64 v19, v[10:11] offset:30144
; %bb.111:
	s_or_b64 exec, exec, s[8:9]
	s_waitcnt lgkmcnt(0)
	s_barrier
	s_barrier
	s_and_saveexec_b64 s[8:9], vcc
	s_cbranch_execz .LBB37_113
; %bb.112:
	s_mov_b64 s[10:11], 1.0
	v_mov_b32_e32 v10, s10
	v_mov_b32_e32 v11, s11
	s_movk_i32 s10, 0x7000
	v_add_u32_e64 v19, s10, 0
	ds_write2_b64 v19, v[10:11], v[10:11] offset0:56 offset1:121
.LBB37_113:
	s_or_b64 exec, exec, s[8:9]
	v_lshrrev_b32_e32 v21, 3, v15
	v_mov_b32_e32 v10, 0
	v_and_b32_e32 v19, 7, v0
	v_sub_u32_e32 v20, 7, v21
	v_cmp_lt_u32_e64 s[8:9], 63, v15
	v_mov_b32_e32 v11, 0
	v_cmp_gt_u32_e64 s[14:15], 64, v15
	s_waitcnt lgkmcnt(0)
	s_barrier
	buffer_wbinvl1_vol
	s_and_saveexec_b64 s[12:13], s[14:15]
	s_cbranch_execz .LBB37_123
; %bb.114:
	v_lshlrev_b32_e32 v23, 3, v19
	v_lshlrev_b32_e32 v22, 9, v20
	ds_read_b64 v[10:11], v23 offset:29056
	ds_read_b64 v[24:25], v22 offset:29120
	v_cmp_gt_u32_e64 s[10:11], 56, v15
	s_waitcnt lgkmcnt(0)
	v_fma_f64 v[10:11], v[10:11], v[24:25], 0
	s_and_saveexec_b64 s[16:17], s[10:11]
	s_cbranch_execnz .LBB37_1110
; %bb.115:
	s_or_b64 exec, exec, s[16:17]
	v_cmp_gt_u32_e64 s[10:11], 48, v15
	s_and_saveexec_b64 s[16:17], s[10:11]
	s_cbranch_execnz .LBB37_1111
.LBB37_116:
	s_or_b64 exec, exec, s[16:17]
	v_cmp_gt_u32_e64 s[10:11], 40, v15
	s_and_saveexec_b64 s[16:17], s[10:11]
	s_cbranch_execnz .LBB37_1112
.LBB37_117:
	s_or_b64 exec, exec, s[16:17]
	v_cmp_gt_u32_e64 s[10:11], 32, v15
	s_and_saveexec_b64 s[16:17], s[10:11]
	s_cbranch_execnz .LBB37_1113
.LBB37_118:
	s_or_b64 exec, exec, s[16:17]
	v_cmp_gt_u32_e64 s[10:11], 24, v15
	s_and_saveexec_b64 s[16:17], s[10:11]
	s_cbranch_execnz .LBB37_1114
.LBB37_119:
	s_or_b64 exec, exec, s[16:17]
	s_and_saveexec_b64 s[10:11], s[2:3]
	s_cbranch_execnz .LBB37_1115
.LBB37_120:
	s_or_b64 exec, exec, s[10:11]
	v_cmp_gt_u32_e64 s[10:11], 8, v15
	s_and_saveexec_b64 s[16:17], s[10:11]
	s_cbranch_execz .LBB37_122
.LBB37_121:
	v_lshlrev_b32_e32 v22, 3, v0
	v_mov_b32_e32 v24, 0
	ds_read_b64 v[22:23], v22 offset:32640
	ds_read_b64 v[24:25], v24 offset:32760
	s_waitcnt lgkmcnt(0)
	v_fma_f64 v[10:11], v[22:23], v[24:25], v[10:11]
.LBB37_122:
	s_or_b64 exec, exec, s[16:17]
.LBB37_123:
	s_or_b64 exec, exec, s[12:13]
	v_mov_b32_e32 v22, 0x8000
	v_cmp_eq_u32_e64 s[10:11], 7, v19
	s_xor_b64 s[12:13], s[8:9], -1
	v_lshl_add_u32 v21, v21, 3, v22
	s_and_b64 s[54:55], s[10:11], s[12:13]
	s_and_saveexec_b64 s[8:9], s[54:55]
; %bb.124:
	v_xor_b32_e32 v23, 0x80000000, v11
	v_mov_b32_e32 v22, v10
	ds_write_b64 v21, v[22:23]
; %bb.125:
	s_or_b64 exec, exec, s[8:9]
	v_cmp_ne_u32_e64 s[8:9], 7, v19
	s_and_b64 s[56:57], s[8:9], s[12:13]
	s_waitcnt lgkmcnt(0)
	s_barrier
	s_and_saveexec_b64 s[8:9], s[56:57]
	s_cbranch_execz .LBB37_127
; %bb.126:
	v_lshlrev_b32_e32 v22, 3, v19
	ds_read_b64 v[22:23], v22 offset:28544
	ds_read_b64 v[24:25], v21
	s_waitcnt lgkmcnt(0)
	v_fma_f64 v[10:11], -v[22:23], v[24:25], v[10:11]
.LBB37_127:
	s_or_b64 exec, exec, s[8:9]
	v_cmp_eq_u32_e64 s[8:9], 6, v19
	s_and_b64 s[58:59], s[8:9], s[12:13]
	s_barrier
	s_and_saveexec_b64 s[8:9], s[58:59]
; %bb.128:
	v_xor_b32_e32 v23, 0x80000000, v11
	v_mov_b32_e32 v22, v10
	ds_write_b64 v21, v[22:23]
; %bb.129:
	s_or_b64 exec, exec, s[8:9]
	v_cmp_gt_u32_e64 s[8:9], 6, v19
	s_and_b64 s[60:61], s[8:9], s[12:13]
	s_waitcnt lgkmcnt(0)
	s_barrier
	s_and_saveexec_b64 s[8:9], s[60:61]
	s_cbranch_execz .LBB37_131
; %bb.130:
	v_lshlrev_b32_e32 v22, 3, v19
	ds_read_b64 v[22:23], v22 offset:28032
	ds_read_b64 v[24:25], v21
	s_waitcnt lgkmcnt(0)
	v_fma_f64 v[10:11], -v[22:23], v[24:25], v[10:11]
.LBB37_131:
	s_or_b64 exec, exec, s[8:9]
	v_cmp_eq_u32_e64 s[8:9], 5, v19
	s_and_b64 s[62:63], s[8:9], s[12:13]
	s_barrier
	s_and_saveexec_b64 s[8:9], s[62:63]
; %bb.132:
	v_xor_b32_e32 v23, 0x80000000, v11
	v_mov_b32_e32 v22, v10
	ds_write_b64 v21, v[22:23]
; %bb.133:
	s_or_b64 exec, exec, s[8:9]
	v_cmp_gt_u32_e64 s[8:9], 5, v19
	;; [unrolled: 24-line block ×5, first 2 shown]
	s_and_b64 s[78:79], s[8:9], s[12:13]
	s_waitcnt lgkmcnt(0)
	s_barrier
	s_and_saveexec_b64 s[8:9], s[78:79]
	s_cbranch_execz .LBB37_147
; %bb.146:
	v_lshlrev_b32_e32 v22, 3, v19
	ds_read_b64 v[22:23], v22 offset:25984
	ds_read_b64 v[24:25], v21
	s_waitcnt lgkmcnt(0)
	v_fma_f64 v[10:11], -v[22:23], v[24:25], v[10:11]
.LBB37_147:
	s_or_b64 exec, exec, s[8:9]
	v_cmp_eq_u32_e64 s[8:9], 1, v19
	s_and_b64 s[80:81], s[8:9], s[12:13]
	s_barrier
	s_and_saveexec_b64 s[8:9], s[80:81]
; %bb.148:
	v_xor_b32_e32 v23, 0x80000000, v11
	v_mov_b32_e32 v22, v10
	ds_write_b64 v21, v[22:23]
; %bb.149:
	s_or_b64 exec, exec, s[8:9]
	v_cmp_eq_u32_e64 s[8:9], 0, v19
	s_and_b64 s[64:65], s[8:9], s[12:13]
	s_waitcnt lgkmcnt(0)
	s_barrier
	s_and_saveexec_b64 s[8:9], s[64:65]
	s_cbranch_execz .LBB37_151
; %bb.150:
	v_mov_b32_e32 v22, 0
	ds_read_b64 v[22:23], v22 offset:25472
	ds_read_b64 v[24:25], v21
	s_waitcnt lgkmcnt(0)
	v_fma_f64 v[10:11], -v[22:23], v[24:25], v[10:11]
.LBB37_151:
	s_or_b64 exec, exec, s[8:9]
	s_barrier
	s_and_saveexec_b64 s[8:9], s[64:65]
; %bb.152:
	v_xor_b32_e32 v23, 0x80000000, v11
	v_mov_b32_e32 v22, v10
	ds_write_b64 v21, v[22:23]
; %bb.153:
	s_or_b64 exec, exec, s[8:9]
	s_waitcnt lgkmcnt(0)
	s_barrier
	s_barrier
	s_and_saveexec_b64 s[8:9], s[14:15]
; %bb.154:
	v_lshlrev_b32_e32 v22, 3, v19
	v_lshl_or_b32 v22, v20, 9, v22
	ds_write_b64 v22, v[10:11] offset:29056
; %bb.155:
	s_or_b64 exec, exec, s[8:9]
	s_waitcnt lgkmcnt(0)
	s_barrier
	s_barrier
	s_and_saveexec_b64 s[8:9], vcc
	s_cbranch_execz .LBB37_157
; %bb.156:
	s_mov_b64 s[10:11], 1.0
	v_mov_b32_e32 v10, s10
	v_mov_b32_e32 v11, s11
	s_movk_i32 s10, 0x6800
	v_add_u32_e64 v22, s10, 0
	ds_write2_b64 v22, v[10:11], v[10:11] offset0:182 offset1:247
.LBB37_157:
	s_or_b64 exec, exec, s[8:9]
	v_mov_b32_e32 v10, 0
	v_mov_b32_e32 v11, 0
	s_waitcnt lgkmcnt(0)
	s_barrier
	buffer_wbinvl1_vol
	s_and_saveexec_b64 s[10:11], s[0:1]
	s_cbranch_execz .LBB37_161
; %bb.158:
	v_lshlrev_b32_e32 v22, 9, v13
	v_lshlrev_b32_e32 v10, 3, v12
	ds_read_b64 v[10:11], v10 offset:28064
	ds_read_b64 v[22:23], v22 offset:28080
	v_cmp_gt_u32_e64 s[8:9], 2, v15
	s_waitcnt lgkmcnt(0)
	v_fma_f64 v[10:11], v[10:11], v[22:23], 0
	s_and_saveexec_b64 s[12:13], s[8:9]
	s_cbranch_execz .LBB37_160
; %bb.159:
	v_lshlrev_b32_e32 v22, 3, v0
	v_mov_b32_e32 v24, 0
	ds_read_b64 v[22:23], v22 offset:28576
	ds_read_b64 v[24:25], v24 offset:28600
	s_waitcnt lgkmcnt(0)
	v_fma_f64 v[10:11], v[22:23], v[24:25], v[10:11]
.LBB37_160:
	s_or_b64 exec, exec, s[12:13]
.LBB37_161:
	s_or_b64 exec, exec, s[10:11]
	s_and_saveexec_b64 s[8:9], s[40:41]
; %bb.162:
	v_xor_b32_e32 v23, 0x80000000, v11
	v_mov_b32_e32 v22, v10
	ds_write_b64 v14, v[22:23]
; %bb.163:
	s_or_b64 exec, exec, s[8:9]
	s_waitcnt lgkmcnt(0)
	s_barrier
	s_and_saveexec_b64 s[8:9], s[38:39]
	s_cbranch_execz .LBB37_165
; %bb.164:
	v_mov_b32_e32 v22, 0
	ds_read_b64 v[22:23], v22 offset:27552
	ds_read_b64 v[24:25], v14
	s_waitcnt lgkmcnt(0)
	v_fma_f64 v[10:11], -v[22:23], v[24:25], v[10:11]
.LBB37_165:
	s_or_b64 exec, exec, s[8:9]
	s_barrier
	s_and_saveexec_b64 s[8:9], s[38:39]
; %bb.166:
	v_xor_b32_e32 v23, 0x80000000, v11
	v_mov_b32_e32 v22, v10
	ds_write_b64 v14, v[22:23]
; %bb.167:
	s_or_b64 exec, exec, s[8:9]
	s_waitcnt lgkmcnt(0)
	s_barrier
	s_barrier
	s_and_saveexec_b64 s[8:9], s[0:1]
; %bb.168:
	v_lshlrev_b32_e32 v22, 3, v12
	v_lshl_or_b32 v22, v13, 9, v22
	ds_write_b64 v22, v[10:11] offset:28064
; %bb.169:
	s_or_b64 exec, exec, s[8:9]
	s_waitcnt lgkmcnt(0)
	s_barrier
	s_barrier
	s_and_saveexec_b64 s[8:9], vcc
	s_cbranch_execz .LBB37_171
; %bb.170:
	s_mov_b64 s[10:11], 1.0
	v_mov_b32_e32 v10, s10
	v_mov_b32_e32 v11, s11
	s_movk_i32 s10, 0x6800
	v_add_u32_e64 v22, s10, 0
	ds_write2_b64 v22, v[10:11], v[10:11] offset0:52 offset1:117
.LBB37_171:
	s_or_b64 exec, exec, s[8:9]
	v_mov_b32_e32 v10, 0
	v_mov_b32_e32 v11, 0
	s_waitcnt lgkmcnt(0)
	s_barrier
	buffer_wbinvl1_vol
	s_and_saveexec_b64 s[10:11], s[2:3]
	s_cbranch_execz .LBB37_177
; %bb.172:
	v_lshlrev_b32_e32 v23, 3, v16
	v_lshlrev_b32_e32 v22, 9, v17
	ds_read_b64 v[10:11], v23 offset:27008
	ds_read_b64 v[24:25], v22 offset:27040
	v_cmp_gt_u32_e64 s[8:9], 12, v15
	s_waitcnt lgkmcnt(0)
	v_fma_f64 v[10:11], v[10:11], v[24:25], 0
	s_and_saveexec_b64 s[12:13], s[8:9]
	s_cbranch_execnz .LBB37_1116
; %bb.173:
	s_or_b64 exec, exec, s[12:13]
	v_cmp_gt_u32_e64 s[8:9], 8, v15
	s_and_saveexec_b64 s[12:13], s[8:9]
	s_cbranch_execnz .LBB37_1117
.LBB37_174:
	s_or_b64 exec, exec, s[12:13]
	v_cmp_gt_u32_e64 s[8:9], 4, v15
	s_and_saveexec_b64 s[12:13], s[8:9]
	s_cbranch_execz .LBB37_176
.LBB37_175:
	v_lshlrev_b32_e32 v22, 3, v0
	v_mov_b32_e32 v24, 0
	ds_read_b64 v[22:23], v22 offset:28544
	ds_read_b64 v[24:25], v24 offset:28600
	s_waitcnt lgkmcnt(0)
	v_fma_f64 v[10:11], v[22:23], v[24:25], v[10:11]
.LBB37_176:
	s_or_b64 exec, exec, s[12:13]
.LBB37_177:
	s_or_b64 exec, exec, s[10:11]
	s_and_saveexec_b64 s[8:9], s[44:45]
; %bb.178:
	v_xor_b32_e32 v23, 0x80000000, v11
	v_mov_b32_e32 v22, v10
	ds_write_b64 v18, v[22:23]
; %bb.179:
	s_or_b64 exec, exec, s[8:9]
	s_waitcnt lgkmcnt(0)
	s_barrier
	s_and_saveexec_b64 s[8:9], s[46:47]
	s_cbranch_execz .LBB37_181
; %bb.180:
	v_lshlrev_b32_e32 v22, 3, v16
	ds_read_b64 v[22:23], v22 offset:26496
	ds_read_b64 v[24:25], v18
	s_waitcnt lgkmcnt(0)
	v_fma_f64 v[10:11], -v[22:23], v[24:25], v[10:11]
.LBB37_181:
	s_or_b64 exec, exec, s[8:9]
	s_barrier
	s_and_saveexec_b64 s[8:9], s[48:49]
; %bb.182:
	v_xor_b32_e32 v23, 0x80000000, v11
	v_mov_b32_e32 v22, v10
	ds_write_b64 v18, v[22:23]
; %bb.183:
	s_or_b64 exec, exec, s[8:9]
	s_waitcnt lgkmcnt(0)
	s_barrier
	s_and_saveexec_b64 s[8:9], s[50:51]
	s_cbranch_execz .LBB37_185
; %bb.184:
	v_lshlrev_b32_e32 v22, 3, v16
	ds_read_b64 v[22:23], v22 offset:25984
	ds_read_b64 v[24:25], v18
	s_waitcnt lgkmcnt(0)
	v_fma_f64 v[10:11], -v[22:23], v[24:25], v[10:11]
.LBB37_185:
	s_or_b64 exec, exec, s[8:9]
	s_barrier
	s_and_saveexec_b64 s[8:9], s[52:53]
; %bb.186:
	v_xor_b32_e32 v23, 0x80000000, v11
	v_mov_b32_e32 v22, v10
	ds_write_b64 v18, v[22:23]
; %bb.187:
	s_or_b64 exec, exec, s[8:9]
	s_waitcnt lgkmcnt(0)
	s_barrier
	s_and_saveexec_b64 s[8:9], s[42:43]
	s_cbranch_execz .LBB37_189
; %bb.188:
	v_mov_b32_e32 v22, 0
	ds_read_b64 v[22:23], v22 offset:25472
	ds_read_b64 v[24:25], v18
	s_waitcnt lgkmcnt(0)
	v_fma_f64 v[10:11], -v[22:23], v[24:25], v[10:11]
.LBB37_189:
	s_or_b64 exec, exec, s[8:9]
	s_barrier
	s_and_saveexec_b64 s[8:9], s[42:43]
; %bb.190:
	v_xor_b32_e32 v23, 0x80000000, v11
	v_mov_b32_e32 v22, v10
	ds_write_b64 v18, v[22:23]
; %bb.191:
	s_or_b64 exec, exec, s[8:9]
	s_waitcnt lgkmcnt(0)
	s_barrier
	s_barrier
	s_and_saveexec_b64 s[8:9], s[2:3]
; %bb.192:
	v_lshlrev_b32_e32 v22, 3, v16
	v_lshl_or_b32 v22, v17, 9, v22
	ds_write_b64 v22, v[10:11] offset:27008
; %bb.193:
	s_or_b64 exec, exec, s[8:9]
	s_waitcnt lgkmcnt(0)
	s_barrier
	s_barrier
	s_and_saveexec_b64 s[8:9], vcc
	s_cbranch_execz .LBB37_195
; %bb.194:
	s_mov_b64 s[10:11], 1.0
	v_mov_b32_e32 v10, s10
	v_mov_b32_e32 v11, s11
	s_movk_i32 s10, 0x6000
	v_add_u32_e64 v22, s10, 0
	ds_write2_b64 v22, v[10:11], v[10:11] offset0:178 offset1:243
.LBB37_195:
	s_or_b64 exec, exec, s[8:9]
	v_mov_b32_e32 v10, 0
	v_mov_b32_e32 v11, 0
	s_waitcnt lgkmcnt(0)
	s_barrier
	buffer_wbinvl1_vol
	s_and_saveexec_b64 s[10:11], s[0:1]
	s_cbranch_execz .LBB37_199
; %bb.196:
	v_lshlrev_b32_e32 v22, 9, v13
	v_lshlrev_b32_e32 v10, 3, v12
	ds_read_b64 v[10:11], v10 offset:25984
	ds_read_b64 v[22:23], v22 offset:26000
	v_cmp_gt_u32_e64 s[8:9], 2, v15
	s_waitcnt lgkmcnt(0)
	v_fma_f64 v[10:11], v[10:11], v[22:23], 0
	s_and_saveexec_b64 s[12:13], s[8:9]
	s_cbranch_execz .LBB37_198
; %bb.197:
	v_lshlrev_b32_e32 v22, 3, v0
	v_mov_b32_e32 v24, 0
	ds_read_b64 v[22:23], v22 offset:26496
	ds_read_b64 v[24:25], v24 offset:26520
	s_waitcnt lgkmcnt(0)
	v_fma_f64 v[10:11], v[22:23], v[24:25], v[10:11]
.LBB37_198:
	s_or_b64 exec, exec, s[12:13]
.LBB37_199:
	s_or_b64 exec, exec, s[10:11]
	s_and_saveexec_b64 s[8:9], s[40:41]
; %bb.200:
	v_xor_b32_e32 v23, 0x80000000, v11
	v_mov_b32_e32 v22, v10
	ds_write_b64 v14, v[22:23]
; %bb.201:
	s_or_b64 exec, exec, s[8:9]
	s_waitcnt lgkmcnt(0)
	s_barrier
	s_and_saveexec_b64 s[8:9], s[38:39]
	s_cbranch_execz .LBB37_203
; %bb.202:
	v_mov_b32_e32 v22, 0
	ds_read_b64 v[22:23], v22 offset:25472
	ds_read_b64 v[24:25], v14
	s_waitcnt lgkmcnt(0)
	v_fma_f64 v[10:11], -v[22:23], v[24:25], v[10:11]
.LBB37_203:
	s_or_b64 exec, exec, s[8:9]
	s_barrier
	s_and_saveexec_b64 s[8:9], s[38:39]
; %bb.204:
	v_xor_b32_e32 v23, 0x80000000, v11
	v_mov_b32_e32 v22, v10
	ds_write_b64 v14, v[22:23]
; %bb.205:
	s_or_b64 exec, exec, s[8:9]
	s_waitcnt lgkmcnt(0)
	s_barrier
	s_barrier
	s_and_saveexec_b64 s[8:9], s[0:1]
; %bb.206:
	v_lshlrev_b32_e32 v22, 3, v12
	v_lshl_or_b32 v22, v13, 9, v22
	ds_write_b64 v22, v[10:11] offset:25984
; %bb.207:
	s_or_b64 exec, exec, s[8:9]
	s_waitcnt lgkmcnt(0)
	s_barrier
	s_barrier
	s_and_saveexec_b64 s[8:9], vcc
	s_cbranch_execz .LBB37_209
; %bb.208:
	s_mov_b64 s[10:11], 1.0
	v_mov_b32_e32 v10, s10
	v_mov_b32_e32 v11, s11
	s_movk_i32 s10, 0x6000
	v_add_u32_e64 v22, s10, 0
	ds_write2_b64 v22, v[10:11], v[10:11] offset0:48 offset1:113
.LBB37_209:
	s_or_b64 exec, exec, s[8:9]
	s_movk_i32 s8, 0xff
	v_lshrrev_b32_e32 v24, 4, v15
	v_cmp_lt_u32_e64 s[10:11], s8, v15
	s_movk_i32 s8, 0x100
	v_mov_b32_e32 v10, 0
	v_and_b32_e32 v22, 15, v0
	v_sub_u32_e32 v23, 15, v24
	v_mov_b32_e32 v11, 0
	v_cmp_gt_u32_e64 s[8:9], s8, v15
	s_waitcnt lgkmcnt(0)
	s_barrier
	buffer_wbinvl1_vol
	s_and_saveexec_b64 s[16:17], s[8:9]
	s_cbranch_execz .LBB37_237
; %bb.210:
	v_lshlrev_b32_e32 v26, 3, v22
	v_lshlrev_b32_e32 v25, 9, v23
	ds_read_b64 v[10:11], v26 offset:24832
	ds_read_b64 v[27:28], v25 offset:24960
	s_movk_i32 s12, 0xf0
	v_cmp_gt_u32_e64 s[12:13], s12, v15
	s_waitcnt lgkmcnt(0)
	v_fma_f64 v[10:11], v[10:11], v[27:28], 0
	s_and_saveexec_b64 s[82:83], s[12:13]
	s_cbranch_execz .LBB37_212
; %bb.211:
	ds_read_b64 v[27:28], v26 offset:25344
	ds_read_b64 v[29:30], v25 offset:24968
	s_waitcnt lgkmcnt(0)
	v_fma_f64 v[10:11], v[27:28], v[29:30], v[10:11]
.LBB37_212:
	s_or_b64 exec, exec, s[82:83]
	s_movk_i32 s12, 0xe0
	v_cmp_gt_u32_e64 s[12:13], s12, v15
	s_and_saveexec_b64 s[82:83], s[12:13]
	s_cbranch_execz .LBB37_214
; %bb.213:
	ds_read_b64 v[27:28], v26 offset:25856
	ds_read_b64 v[29:30], v25 offset:24976
	s_waitcnt lgkmcnt(0)
	v_fma_f64 v[10:11], v[27:28], v[29:30], v[10:11]
.LBB37_214:
	s_or_b64 exec, exec, s[82:83]
	s_movk_i32 s12, 0xd0
	v_cmp_gt_u32_e64 s[12:13], s12, v15
	;; [unrolled: 11-line block ×10, first 2 shown]
	s_and_saveexec_b64 s[82:83], s[12:13]
	s_cbranch_execnz .LBB37_1118
; %bb.231:
	s_or_b64 exec, exec, s[82:83]
	s_and_saveexec_b64 s[12:13], s[14:15]
	s_cbranch_execnz .LBB37_1119
.LBB37_232:
	s_or_b64 exec, exec, s[12:13]
	v_cmp_gt_u32_e64 s[12:13], 48, v15
	s_and_saveexec_b64 s[82:83], s[12:13]
	s_cbranch_execnz .LBB37_1120
.LBB37_233:
	s_or_b64 exec, exec, s[82:83]
	v_cmp_gt_u32_e64 s[12:13], 32, v15
	s_and_saveexec_b64 s[82:83], s[12:13]
	s_cbranch_execnz .LBB37_1121
.LBB37_234:
	s_or_b64 exec, exec, s[82:83]
	v_cmp_gt_u32_e64 s[12:13], 16, v15
	s_and_saveexec_b64 s[82:83], s[12:13]
	s_cbranch_execz .LBB37_236
.LBB37_235:
	v_lshlrev_b32_e32 v25, 3, v0
	v_mov_b32_e32 v27, 0
	ds_read_b64 v[25:26], v25 offset:32512
	ds_read_b64 v[27:28], v27 offset:32760
	s_waitcnt lgkmcnt(0)
	v_fma_f64 v[10:11], v[25:26], v[27:28], v[10:11]
.LBB37_236:
	s_or_b64 exec, exec, s[82:83]
.LBB37_237:
	s_or_b64 exec, exec, s[16:17]
	v_mov_b32_e32 v25, 0x8000
	v_lshl_add_u32 v24, v24, 3, v25
	v_cmp_eq_u32_e64 s[12:13], 15, v22
	s_xor_b64 s[16:17], s[10:11], -1
	s_and_b64 s[12:13], s[12:13], s[16:17]
	s_mov_b64 s[10:11], exec
                                        ; implicit-def: $vgpr34 : SGPR spill to VGPR lane
	v_writelane_b32 v34, s12, 0
	v_writelane_b32 v34, s13, 1
	s_and_b64 s[12:13], s[10:11], s[12:13]
	s_mov_b64 exec, s[12:13]
; %bb.238:
	v_xor_b32_e32 v26, 0x80000000, v11
	v_mov_b32_e32 v25, v10
	ds_write_b64 v24, v[25:26]
; %bb.239:
	s_or_b64 exec, exec, s[10:11]
	v_cmp_ne_u32_e64 s[10:11], 15, v22
	s_waitcnt lgkmcnt(0)
	s_barrier
	s_and_b64 s[12:13], s[10:11], s[16:17]
	s_mov_b64 s[10:11], exec
	v_writelane_b32 v34, s12, 2
	v_writelane_b32 v34, s13, 3
	s_and_b64 s[12:13], s[10:11], s[12:13]
	s_mov_b64 exec, s[12:13]
	s_cbranch_execz .LBB37_241
; %bb.240:
	v_lshlrev_b32_e32 v25, 3, v22
	ds_read_b64 v[25:26], v25 offset:24320
	ds_read_b64 v[27:28], v24
	s_waitcnt lgkmcnt(0)
	v_fma_f64 v[10:11], -v[25:26], v[27:28], v[10:11]
.LBB37_241:
	s_or_b64 exec, exec, s[10:11]
	v_cmp_eq_u32_e64 s[10:11], 14, v22
	s_barrier
	s_and_b64 s[12:13], s[10:11], s[16:17]
	s_mov_b64 s[10:11], exec
	v_writelane_b32 v34, s12, 4
	v_writelane_b32 v34, s13, 5
	s_and_b64 s[12:13], s[10:11], s[12:13]
	s_mov_b64 exec, s[12:13]
; %bb.242:
	v_xor_b32_e32 v26, 0x80000000, v11
	v_mov_b32_e32 v25, v10
	ds_write_b64 v24, v[25:26]
; %bb.243:
	s_or_b64 exec, exec, s[10:11]
	v_cmp_gt_u32_e64 s[10:11], 14, v22
	s_waitcnt lgkmcnt(0)
	s_barrier
	s_and_b64 s[12:13], s[10:11], s[16:17]
	s_mov_b64 s[10:11], exec
	v_writelane_b32 v34, s12, 6
	v_writelane_b32 v34, s13, 7
	s_and_b64 s[12:13], s[10:11], s[12:13]
	s_mov_b64 exec, s[12:13]
	s_cbranch_execz .LBB37_245
; %bb.244:
	v_lshlrev_b32_e32 v25, 3, v22
	ds_read_b64 v[25:26], v25 offset:23808
	ds_read_b64 v[27:28], v24
	s_waitcnt lgkmcnt(0)
	v_fma_f64 v[10:11], -v[25:26], v[27:28], v[10:11]
.LBB37_245:
	s_or_b64 exec, exec, s[10:11]
	v_cmp_eq_u32_e64 s[10:11], 13, v22
	s_barrier
	s_and_b64 s[12:13], s[10:11], s[16:17]
	s_mov_b64 s[10:11], exec
	v_writelane_b32 v34, s12, 8
	v_writelane_b32 v34, s13, 9
	s_and_b64 s[12:13], s[10:11], s[12:13]
	s_mov_b64 exec, s[12:13]
; %bb.246:
	v_xor_b32_e32 v26, 0x80000000, v11
	v_mov_b32_e32 v25, v10
	ds_write_b64 v24, v[25:26]
; %bb.247:
	s_or_b64 exec, exec, s[10:11]
	v_cmp_gt_u32_e64 s[10:11], 13, v22
	;; [unrolled: 32-line block ×13, first 2 shown]
	s_and_b64 s[84:85], s[10:11], s[16:17]
	s_waitcnt lgkmcnt(0)
	s_barrier
	s_and_saveexec_b64 s[10:11], s[84:85]
	s_cbranch_execz .LBB37_293
; %bb.292:
	v_lshlrev_b32_e32 v25, 3, v22
	ds_read_b64 v[25:26], v25 offset:17664
	ds_read_b64 v[27:28], v24
	s_waitcnt lgkmcnt(0)
	v_fma_f64 v[10:11], -v[25:26], v[27:28], v[10:11]
.LBB37_293:
	s_or_b64 exec, exec, s[10:11]
	v_cmp_eq_u32_e64 s[10:11], 1, v22
	s_and_b64 s[86:87], s[10:11], s[16:17]
	s_barrier
	s_and_saveexec_b64 s[10:11], s[86:87]
; %bb.294:
	v_xor_b32_e32 v26, 0x80000000, v11
	v_mov_b32_e32 v25, v10
	ds_write_b64 v24, v[25:26]
; %bb.295:
	s_or_b64 exec, exec, s[10:11]
	v_cmp_eq_u32_e64 s[10:11], 0, v22
	s_and_b64 s[82:83], s[10:11], s[16:17]
	s_waitcnt lgkmcnt(0)
	s_barrier
	s_and_saveexec_b64 s[10:11], s[82:83]
	s_cbranch_execz .LBB37_297
; %bb.296:
	v_mov_b32_e32 v25, 0
	ds_read_b64 v[25:26], v25 offset:17152
	ds_read_b64 v[27:28], v24
	s_waitcnt lgkmcnt(0)
	v_fma_f64 v[10:11], -v[25:26], v[27:28], v[10:11]
.LBB37_297:
	s_or_b64 exec, exec, s[10:11]
	s_barrier
	s_and_saveexec_b64 s[10:11], s[82:83]
; %bb.298:
	v_xor_b32_e32 v26, 0x80000000, v11
	v_mov_b32_e32 v25, v10
	ds_write_b64 v24, v[25:26]
; %bb.299:
	s_or_b64 exec, exec, s[10:11]
	s_waitcnt lgkmcnt(0)
	s_barrier
	s_barrier
	s_and_saveexec_b64 s[10:11], s[8:9]
; %bb.300:
	v_lshlrev_b32_e32 v25, 3, v22
	v_lshl_or_b32 v25, v23, 9, v25
	ds_write_b64 v25, v[10:11] offset:24832
; %bb.301:
	s_or_b64 exec, exec, s[10:11]
	s_waitcnt lgkmcnt(0)
	s_barrier
	s_barrier
	s_and_saveexec_b64 s[10:11], vcc
	s_cbranch_execz .LBB37_303
; %bb.302:
	s_mov_b64 s[12:13], 1.0
	v_mov_b32_e32 v10, s12
	v_mov_b32_e32 v11, s13
	s_movk_i32 s12, 0x5800
	v_add_u32_e64 v25, s12, 0
	ds_write2_b64 v25, v[10:11], v[10:11] offset0:174 offset1:239
.LBB37_303:
	s_or_b64 exec, exec, s[10:11]
	v_mov_b32_e32 v10, 0
	v_mov_b32_e32 v11, 0
	s_waitcnt lgkmcnt(0)
	s_barrier
	buffer_wbinvl1_vol
	s_and_saveexec_b64 s[12:13], s[0:1]
	s_cbranch_execz .LBB37_307
; %bb.304:
	v_lshlrev_b32_e32 v25, 9, v13
	v_lshlrev_b32_e32 v10, 3, v12
	ds_read_b64 v[10:11], v10 offset:23904
	ds_read_b64 v[25:26], v25 offset:23920
	v_cmp_gt_u32_e64 s[10:11], 2, v15
	s_waitcnt lgkmcnt(0)
	v_fma_f64 v[10:11], v[10:11], v[25:26], 0
	s_and_saveexec_b64 s[16:17], s[10:11]
	s_cbranch_execz .LBB37_306
; %bb.305:
	v_lshlrev_b32_e32 v25, 3, v0
	v_mov_b32_e32 v27, 0
	ds_read_b64 v[25:26], v25 offset:24416
	ds_read_b64 v[27:28], v27 offset:24440
	s_waitcnt lgkmcnt(0)
	v_fma_f64 v[10:11], v[25:26], v[27:28], v[10:11]
.LBB37_306:
	s_or_b64 exec, exec, s[16:17]
.LBB37_307:
	s_or_b64 exec, exec, s[12:13]
	s_and_saveexec_b64 s[10:11], s[40:41]
; %bb.308:
	v_xor_b32_e32 v26, 0x80000000, v11
	v_mov_b32_e32 v25, v10
	ds_write_b64 v14, v[25:26]
; %bb.309:
	s_or_b64 exec, exec, s[10:11]
	s_waitcnt lgkmcnt(0)
	s_barrier
	s_and_saveexec_b64 s[10:11], s[38:39]
	s_cbranch_execz .LBB37_311
; %bb.310:
	v_mov_b32_e32 v25, 0
	ds_read_b64 v[25:26], v25 offset:23392
	ds_read_b64 v[27:28], v14
	s_waitcnt lgkmcnt(0)
	v_fma_f64 v[10:11], -v[25:26], v[27:28], v[10:11]
.LBB37_311:
	s_or_b64 exec, exec, s[10:11]
	s_barrier
	s_and_saveexec_b64 s[10:11], s[38:39]
; %bb.312:
	v_xor_b32_e32 v26, 0x80000000, v11
	v_mov_b32_e32 v25, v10
	ds_write_b64 v14, v[25:26]
; %bb.313:
	s_or_b64 exec, exec, s[10:11]
	s_waitcnt lgkmcnt(0)
	s_barrier
	s_barrier
	s_and_saveexec_b64 s[10:11], s[0:1]
; %bb.314:
	v_lshlrev_b32_e32 v25, 3, v12
	v_lshl_or_b32 v25, v13, 9, v25
	ds_write_b64 v25, v[10:11] offset:23904
; %bb.315:
	s_or_b64 exec, exec, s[10:11]
	s_waitcnt lgkmcnt(0)
	s_barrier
	s_barrier
	s_and_saveexec_b64 s[10:11], vcc
	s_cbranch_execz .LBB37_317
; %bb.316:
	s_mov_b64 s[12:13], 1.0
	v_mov_b32_e32 v10, s12
	v_mov_b32_e32 v11, s13
	s_movk_i32 s12, 0x5800
	v_add_u32_e64 v25, s12, 0
	ds_write2_b64 v25, v[10:11], v[10:11] offset0:44 offset1:109
.LBB37_317:
	s_or_b64 exec, exec, s[10:11]
	v_mov_b32_e32 v10, 0
	v_mov_b32_e32 v11, 0
	s_waitcnt lgkmcnt(0)
	s_barrier
	buffer_wbinvl1_vol
	s_and_saveexec_b64 s[12:13], s[2:3]
	s_cbranch_execz .LBB37_323
; %bb.318:
	v_lshlrev_b32_e32 v26, 3, v16
	v_lshlrev_b32_e32 v25, 9, v17
	ds_read_b64 v[10:11], v26 offset:22848
	ds_read_b64 v[27:28], v25 offset:22880
	v_cmp_gt_u32_e64 s[10:11], 12, v15
	s_waitcnt lgkmcnt(0)
	v_fma_f64 v[10:11], v[10:11], v[27:28], 0
	s_and_saveexec_b64 s[16:17], s[10:11]
	s_cbranch_execnz .LBB37_1122
; %bb.319:
	s_or_b64 exec, exec, s[16:17]
	v_cmp_gt_u32_e64 s[10:11], 8, v15
	s_and_saveexec_b64 s[16:17], s[10:11]
	s_cbranch_execnz .LBB37_1123
.LBB37_320:
	s_or_b64 exec, exec, s[16:17]
	v_cmp_gt_u32_e64 s[10:11], 4, v15
	s_and_saveexec_b64 s[16:17], s[10:11]
	s_cbranch_execz .LBB37_322
.LBB37_321:
	v_lshlrev_b32_e32 v25, 3, v0
	v_mov_b32_e32 v27, 0
	ds_read_b64 v[25:26], v25 offset:24384
	ds_read_b64 v[27:28], v27 offset:24440
	s_waitcnt lgkmcnt(0)
	v_fma_f64 v[10:11], v[25:26], v[27:28], v[10:11]
.LBB37_322:
	s_or_b64 exec, exec, s[16:17]
.LBB37_323:
	s_or_b64 exec, exec, s[12:13]
	s_and_saveexec_b64 s[10:11], s[44:45]
; %bb.324:
	v_xor_b32_e32 v26, 0x80000000, v11
	v_mov_b32_e32 v25, v10
	ds_write_b64 v18, v[25:26]
; %bb.325:
	s_or_b64 exec, exec, s[10:11]
	s_waitcnt lgkmcnt(0)
	s_barrier
	s_and_saveexec_b64 s[10:11], s[46:47]
	s_cbranch_execz .LBB37_327
; %bb.326:
	v_lshlrev_b32_e32 v25, 3, v16
	ds_read_b64 v[25:26], v25 offset:22336
	ds_read_b64 v[27:28], v18
	s_waitcnt lgkmcnt(0)
	v_fma_f64 v[10:11], -v[25:26], v[27:28], v[10:11]
.LBB37_327:
	s_or_b64 exec, exec, s[10:11]
	s_barrier
	s_and_saveexec_b64 s[10:11], s[48:49]
; %bb.328:
	v_xor_b32_e32 v26, 0x80000000, v11
	v_mov_b32_e32 v25, v10
	ds_write_b64 v18, v[25:26]
; %bb.329:
	s_or_b64 exec, exec, s[10:11]
	s_waitcnt lgkmcnt(0)
	s_barrier
	s_and_saveexec_b64 s[10:11], s[50:51]
	s_cbranch_execz .LBB37_331
; %bb.330:
	v_lshlrev_b32_e32 v25, 3, v16
	ds_read_b64 v[25:26], v25 offset:21824
	ds_read_b64 v[27:28], v18
	s_waitcnt lgkmcnt(0)
	v_fma_f64 v[10:11], -v[25:26], v[27:28], v[10:11]
.LBB37_331:
	s_or_b64 exec, exec, s[10:11]
	s_barrier
	s_and_saveexec_b64 s[10:11], s[52:53]
; %bb.332:
	v_xor_b32_e32 v26, 0x80000000, v11
	v_mov_b32_e32 v25, v10
	ds_write_b64 v18, v[25:26]
; %bb.333:
	s_or_b64 exec, exec, s[10:11]
	s_waitcnt lgkmcnt(0)
	s_barrier
	s_and_saveexec_b64 s[10:11], s[42:43]
	s_cbranch_execz .LBB37_335
; %bb.334:
	v_mov_b32_e32 v25, 0
	ds_read_b64 v[25:26], v25 offset:21312
	ds_read_b64 v[27:28], v18
	s_waitcnt lgkmcnt(0)
	v_fma_f64 v[10:11], -v[25:26], v[27:28], v[10:11]
.LBB37_335:
	s_or_b64 exec, exec, s[10:11]
	s_barrier
	s_and_saveexec_b64 s[10:11], s[42:43]
; %bb.336:
	v_xor_b32_e32 v26, 0x80000000, v11
	v_mov_b32_e32 v25, v10
	ds_write_b64 v18, v[25:26]
; %bb.337:
	s_or_b64 exec, exec, s[10:11]
	s_waitcnt lgkmcnt(0)
	s_barrier
	s_barrier
	s_and_saveexec_b64 s[10:11], s[2:3]
; %bb.338:
	v_lshlrev_b32_e32 v25, 3, v16
	v_lshl_or_b32 v25, v17, 9, v25
	ds_write_b64 v25, v[10:11] offset:22848
; %bb.339:
	s_or_b64 exec, exec, s[10:11]
	s_waitcnt lgkmcnt(0)
	s_barrier
	s_barrier
	s_and_saveexec_b64 s[10:11], vcc
	s_cbranch_execz .LBB37_341
; %bb.340:
	s_mov_b64 s[12:13], 1.0
	v_mov_b32_e32 v10, s12
	v_mov_b32_e32 v11, s13
	s_movk_i32 s12, 0x5000
	v_add_u32_e64 v25, s12, 0
	ds_write2_b64 v25, v[10:11], v[10:11] offset0:170 offset1:235
.LBB37_341:
	s_or_b64 exec, exec, s[10:11]
	v_mov_b32_e32 v10, 0
	v_mov_b32_e32 v11, 0
	s_waitcnt lgkmcnt(0)
	s_barrier
	buffer_wbinvl1_vol
	s_and_saveexec_b64 s[12:13], s[0:1]
	s_cbranch_execz .LBB37_345
; %bb.342:
	v_lshlrev_b32_e32 v25, 9, v13
	v_lshlrev_b32_e32 v10, 3, v12
	ds_read_b64 v[10:11], v10 offset:21824
	ds_read_b64 v[25:26], v25 offset:21840
	v_cmp_gt_u32_e64 s[10:11], 2, v15
	s_waitcnt lgkmcnt(0)
	v_fma_f64 v[10:11], v[10:11], v[25:26], 0
	s_and_saveexec_b64 s[16:17], s[10:11]
	s_cbranch_execz .LBB37_344
; %bb.343:
	v_lshlrev_b32_e32 v25, 3, v0
	v_mov_b32_e32 v27, 0
	ds_read_b64 v[25:26], v25 offset:22336
	ds_read_b64 v[27:28], v27 offset:22360
	s_waitcnt lgkmcnt(0)
	v_fma_f64 v[10:11], v[25:26], v[27:28], v[10:11]
.LBB37_344:
	s_or_b64 exec, exec, s[16:17]
.LBB37_345:
	s_or_b64 exec, exec, s[12:13]
	s_and_saveexec_b64 s[10:11], s[40:41]
; %bb.346:
	v_xor_b32_e32 v26, 0x80000000, v11
	v_mov_b32_e32 v25, v10
	ds_write_b64 v14, v[25:26]
; %bb.347:
	s_or_b64 exec, exec, s[10:11]
	s_waitcnt lgkmcnt(0)
	s_barrier
	s_and_saveexec_b64 s[10:11], s[38:39]
	s_cbranch_execz .LBB37_349
; %bb.348:
	v_mov_b32_e32 v25, 0
	ds_read_b64 v[25:26], v25 offset:21312
	ds_read_b64 v[27:28], v14
	s_waitcnt lgkmcnt(0)
	v_fma_f64 v[10:11], -v[25:26], v[27:28], v[10:11]
.LBB37_349:
	s_or_b64 exec, exec, s[10:11]
	s_barrier
	s_and_saveexec_b64 s[10:11], s[38:39]
; %bb.350:
	v_xor_b32_e32 v26, 0x80000000, v11
	v_mov_b32_e32 v25, v10
	ds_write_b64 v14, v[25:26]
; %bb.351:
	s_or_b64 exec, exec, s[10:11]
	s_waitcnt lgkmcnt(0)
	s_barrier
	s_barrier
	s_and_saveexec_b64 s[10:11], s[0:1]
; %bb.352:
	v_lshlrev_b32_e32 v25, 3, v12
	v_lshl_or_b32 v25, v13, 9, v25
	ds_write_b64 v25, v[10:11] offset:21824
; %bb.353:
	s_or_b64 exec, exec, s[10:11]
	s_waitcnt lgkmcnt(0)
	s_barrier
	s_barrier
	s_and_saveexec_b64 s[10:11], vcc
	s_cbranch_execz .LBB37_355
; %bb.354:
	s_mov_b64 s[12:13], 1.0
	v_mov_b32_e32 v10, s12
	v_mov_b32_e32 v11, s13
	s_movk_i32 s12, 0x5000
	v_add_u32_e64 v25, s12, 0
	ds_write2_b64 v25, v[10:11], v[10:11] offset0:40 offset1:105
.LBB37_355:
	s_or_b64 exec, exec, s[10:11]
	v_mov_b32_e32 v10, 0
	v_mov_b32_e32 v11, 0
	s_waitcnt lgkmcnt(0)
	s_barrier
	buffer_wbinvl1_vol
	s_and_saveexec_b64 s[12:13], s[14:15]
	s_cbranch_execz .LBB37_365
; %bb.356:
	v_lshlrev_b32_e32 v26, 3, v19
	v_lshlrev_b32_e32 v25, 9, v20
	ds_read_b64 v[10:11], v26 offset:20736
	ds_read_b64 v[27:28], v25 offset:20800
	v_cmp_gt_u32_e64 s[10:11], 56, v15
	s_waitcnt lgkmcnt(0)
	v_fma_f64 v[10:11], v[10:11], v[27:28], 0
	s_and_saveexec_b64 s[16:17], s[10:11]
	s_cbranch_execnz .LBB37_1124
; %bb.357:
	s_or_b64 exec, exec, s[16:17]
	v_cmp_gt_u32_e64 s[10:11], 48, v15
	s_and_saveexec_b64 s[16:17], s[10:11]
	s_cbranch_execnz .LBB37_1125
.LBB37_358:
	s_or_b64 exec, exec, s[16:17]
	v_cmp_gt_u32_e64 s[10:11], 40, v15
	s_and_saveexec_b64 s[16:17], s[10:11]
	s_cbranch_execnz .LBB37_1126
.LBB37_359:
	s_or_b64 exec, exec, s[16:17]
	v_cmp_gt_u32_e64 s[10:11], 32, v15
	s_and_saveexec_b64 s[16:17], s[10:11]
	s_cbranch_execnz .LBB37_1127
.LBB37_360:
	s_or_b64 exec, exec, s[16:17]
	v_cmp_gt_u32_e64 s[10:11], 24, v15
	s_and_saveexec_b64 s[16:17], s[10:11]
	s_cbranch_execnz .LBB37_1128
.LBB37_361:
	s_or_b64 exec, exec, s[16:17]
	s_and_saveexec_b64 s[10:11], s[2:3]
	s_cbranch_execnz .LBB37_1129
.LBB37_362:
	s_or_b64 exec, exec, s[10:11]
	v_cmp_gt_u32_e64 s[10:11], 8, v15
	s_and_saveexec_b64 s[16:17], s[10:11]
	s_cbranch_execz .LBB37_364
.LBB37_363:
	v_lshlrev_b32_e32 v25, 3, v0
	v_mov_b32_e32 v27, 0
	ds_read_b64 v[25:26], v25 offset:24320
	ds_read_b64 v[27:28], v27 offset:24440
	s_waitcnt lgkmcnt(0)
	v_fma_f64 v[10:11], v[25:26], v[27:28], v[10:11]
.LBB37_364:
	s_or_b64 exec, exec, s[16:17]
.LBB37_365:
	s_or_b64 exec, exec, s[12:13]
	s_and_saveexec_b64 s[10:11], s[54:55]
; %bb.366:
	v_xor_b32_e32 v26, 0x80000000, v11
	v_mov_b32_e32 v25, v10
	ds_write_b64 v21, v[25:26]
; %bb.367:
	s_or_b64 exec, exec, s[10:11]
	s_waitcnt lgkmcnt(0)
	s_barrier
	s_and_saveexec_b64 s[10:11], s[56:57]
	s_cbranch_execz .LBB37_369
; %bb.368:
	v_lshlrev_b32_e32 v25, 3, v19
	ds_read_b64 v[25:26], v25 offset:20224
	ds_read_b64 v[27:28], v21
	s_waitcnt lgkmcnt(0)
	v_fma_f64 v[10:11], -v[25:26], v[27:28], v[10:11]
.LBB37_369:
	s_or_b64 exec, exec, s[10:11]
	s_barrier
	s_and_saveexec_b64 s[10:11], s[58:59]
; %bb.370:
	v_xor_b32_e32 v26, 0x80000000, v11
	v_mov_b32_e32 v25, v10
	ds_write_b64 v21, v[25:26]
; %bb.371:
	s_or_b64 exec, exec, s[10:11]
	s_waitcnt lgkmcnt(0)
	s_barrier
	s_and_saveexec_b64 s[10:11], s[60:61]
	s_cbranch_execz .LBB37_373
; %bb.372:
	v_lshlrev_b32_e32 v25, 3, v19
	ds_read_b64 v[25:26], v25 offset:19712
	ds_read_b64 v[27:28], v21
	s_waitcnt lgkmcnt(0)
	v_fma_f64 v[10:11], -v[25:26], v[27:28], v[10:11]
.LBB37_373:
	s_or_b64 exec, exec, s[10:11]
	s_barrier
	s_and_saveexec_b64 s[10:11], s[62:63]
; %bb.374:
	v_xor_b32_e32 v26, 0x80000000, v11
	v_mov_b32_e32 v25, v10
	ds_write_b64 v21, v[25:26]
; %bb.375:
	s_or_b64 exec, exec, s[10:11]
	s_waitcnt lgkmcnt(0)
	s_barrier
	s_and_saveexec_b64 s[10:11], s[66:67]
	s_cbranch_execz .LBB37_377
; %bb.376:
	v_lshlrev_b32_e32 v25, 3, v19
	ds_read_b64 v[25:26], v25 offset:19200
	ds_read_b64 v[27:28], v21
	s_waitcnt lgkmcnt(0)
	v_fma_f64 v[10:11], -v[25:26], v[27:28], v[10:11]
.LBB37_377:
	s_or_b64 exec, exec, s[10:11]
	s_barrier
	s_and_saveexec_b64 s[10:11], s[68:69]
; %bb.378:
	v_xor_b32_e32 v26, 0x80000000, v11
	v_mov_b32_e32 v25, v10
	ds_write_b64 v21, v[25:26]
; %bb.379:
	s_or_b64 exec, exec, s[10:11]
	s_waitcnt lgkmcnt(0)
	s_barrier
	s_and_saveexec_b64 s[10:11], s[70:71]
	s_cbranch_execz .LBB37_381
; %bb.380:
	v_lshlrev_b32_e32 v25, 3, v19
	ds_read_b64 v[25:26], v25 offset:18688
	ds_read_b64 v[27:28], v21
	s_waitcnt lgkmcnt(0)
	v_fma_f64 v[10:11], -v[25:26], v[27:28], v[10:11]
.LBB37_381:
	s_or_b64 exec, exec, s[10:11]
	s_barrier
	s_and_saveexec_b64 s[10:11], s[72:73]
; %bb.382:
	v_xor_b32_e32 v26, 0x80000000, v11
	v_mov_b32_e32 v25, v10
	ds_write_b64 v21, v[25:26]
; %bb.383:
	s_or_b64 exec, exec, s[10:11]
	s_waitcnt lgkmcnt(0)
	s_barrier
	s_and_saveexec_b64 s[10:11], s[74:75]
	s_cbranch_execz .LBB37_385
; %bb.384:
	v_lshlrev_b32_e32 v25, 3, v19
	ds_read_b64 v[25:26], v25 offset:18176
	ds_read_b64 v[27:28], v21
	s_waitcnt lgkmcnt(0)
	v_fma_f64 v[10:11], -v[25:26], v[27:28], v[10:11]
.LBB37_385:
	s_or_b64 exec, exec, s[10:11]
	s_barrier
	s_and_saveexec_b64 s[10:11], s[76:77]
; %bb.386:
	v_xor_b32_e32 v26, 0x80000000, v11
	v_mov_b32_e32 v25, v10
	ds_write_b64 v21, v[25:26]
; %bb.387:
	s_or_b64 exec, exec, s[10:11]
	s_waitcnt lgkmcnt(0)
	s_barrier
	s_and_saveexec_b64 s[10:11], s[78:79]
	s_cbranch_execz .LBB37_389
; %bb.388:
	v_lshlrev_b32_e32 v25, 3, v19
	ds_read_b64 v[25:26], v25 offset:17664
	ds_read_b64 v[27:28], v21
	s_waitcnt lgkmcnt(0)
	v_fma_f64 v[10:11], -v[25:26], v[27:28], v[10:11]
.LBB37_389:
	s_or_b64 exec, exec, s[10:11]
	s_barrier
	s_and_saveexec_b64 s[10:11], s[80:81]
; %bb.390:
	v_xor_b32_e32 v26, 0x80000000, v11
	v_mov_b32_e32 v25, v10
	ds_write_b64 v21, v[25:26]
; %bb.391:
	s_or_b64 exec, exec, s[10:11]
	s_waitcnt lgkmcnt(0)
	s_barrier
	s_and_saveexec_b64 s[10:11], s[64:65]
	s_cbranch_execz .LBB37_393
; %bb.392:
	v_mov_b32_e32 v25, 0
	ds_read_b64 v[25:26], v25 offset:17152
	ds_read_b64 v[27:28], v21
	s_waitcnt lgkmcnt(0)
	v_fma_f64 v[10:11], -v[25:26], v[27:28], v[10:11]
.LBB37_393:
	s_or_b64 exec, exec, s[10:11]
	s_barrier
	s_and_saveexec_b64 s[10:11], s[64:65]
; %bb.394:
	v_xor_b32_e32 v26, 0x80000000, v11
	v_mov_b32_e32 v25, v10
	ds_write_b64 v21, v[25:26]
; %bb.395:
	s_or_b64 exec, exec, s[10:11]
	s_waitcnt lgkmcnt(0)
	s_barrier
	s_barrier
	s_and_saveexec_b64 s[10:11], s[14:15]
; %bb.396:
	v_lshlrev_b32_e32 v25, 3, v19
	v_lshl_or_b32 v25, v20, 9, v25
	ds_write_b64 v25, v[10:11] offset:20736
; %bb.397:
	s_or_b64 exec, exec, s[10:11]
	s_waitcnt lgkmcnt(0)
	s_barrier
	s_barrier
	s_and_saveexec_b64 s[10:11], vcc
	s_cbranch_execz .LBB37_399
; %bb.398:
	s_mov_b64 s[12:13], 1.0
	v_mov_b32_e32 v10, s12
	v_mov_b32_e32 v11, s13
	s_movk_i32 s12, 0x4800
	v_add_u32_e64 v25, s12, 0
	ds_write2_b64 v25, v[10:11], v[10:11] offset0:166 offset1:231
.LBB37_399:
	s_or_b64 exec, exec, s[10:11]
	v_mov_b32_e32 v10, 0
	v_mov_b32_e32 v11, 0
	s_waitcnt lgkmcnt(0)
	s_barrier
	buffer_wbinvl1_vol
	s_and_saveexec_b64 s[12:13], s[0:1]
	s_cbranch_execz .LBB37_403
; %bb.400:
	v_lshlrev_b32_e32 v25, 9, v13
	v_lshlrev_b32_e32 v10, 3, v12
	ds_read_b64 v[10:11], v10 offset:19744
	ds_read_b64 v[25:26], v25 offset:19760
	v_cmp_gt_u32_e64 s[10:11], 2, v15
	s_waitcnt lgkmcnt(0)
	v_fma_f64 v[10:11], v[10:11], v[25:26], 0
	s_and_saveexec_b64 s[16:17], s[10:11]
	s_cbranch_execz .LBB37_402
; %bb.401:
	v_lshlrev_b32_e32 v25, 3, v0
	v_mov_b32_e32 v27, 0
	ds_read_b64 v[25:26], v25 offset:20256
	ds_read_b64 v[27:28], v27 offset:20280
	s_waitcnt lgkmcnt(0)
	v_fma_f64 v[10:11], v[25:26], v[27:28], v[10:11]
.LBB37_402:
	s_or_b64 exec, exec, s[16:17]
.LBB37_403:
	s_or_b64 exec, exec, s[12:13]
	s_and_saveexec_b64 s[10:11], s[40:41]
; %bb.404:
	v_xor_b32_e32 v26, 0x80000000, v11
	v_mov_b32_e32 v25, v10
	ds_write_b64 v14, v[25:26]
; %bb.405:
	s_or_b64 exec, exec, s[10:11]
	s_waitcnt lgkmcnt(0)
	s_barrier
	s_and_saveexec_b64 s[10:11], s[38:39]
	s_cbranch_execz .LBB37_407
; %bb.406:
	v_mov_b32_e32 v25, 0
	ds_read_b64 v[25:26], v25 offset:19232
	ds_read_b64 v[27:28], v14
	s_waitcnt lgkmcnt(0)
	v_fma_f64 v[10:11], -v[25:26], v[27:28], v[10:11]
.LBB37_407:
	s_or_b64 exec, exec, s[10:11]
	s_barrier
	s_and_saveexec_b64 s[10:11], s[38:39]
; %bb.408:
	v_xor_b32_e32 v26, 0x80000000, v11
	v_mov_b32_e32 v25, v10
	ds_write_b64 v14, v[25:26]
; %bb.409:
	s_or_b64 exec, exec, s[10:11]
	s_waitcnt lgkmcnt(0)
	s_barrier
	s_barrier
	s_and_saveexec_b64 s[10:11], s[0:1]
; %bb.410:
	v_lshlrev_b32_e32 v25, 3, v12
	v_lshl_or_b32 v25, v13, 9, v25
	ds_write_b64 v25, v[10:11] offset:19744
; %bb.411:
	s_or_b64 exec, exec, s[10:11]
	s_waitcnt lgkmcnt(0)
	s_barrier
	s_barrier
	s_and_saveexec_b64 s[10:11], vcc
	s_cbranch_execz .LBB37_413
; %bb.412:
	s_mov_b64 s[12:13], 1.0
	v_mov_b32_e32 v10, s12
	v_mov_b32_e32 v11, s13
	s_movk_i32 s12, 0x4800
	v_add_u32_e64 v25, s12, 0
	ds_write2_b64 v25, v[10:11], v[10:11] offset0:36 offset1:101
.LBB37_413:
	s_or_b64 exec, exec, s[10:11]
	v_mov_b32_e32 v10, 0
	v_mov_b32_e32 v11, 0
	s_waitcnt lgkmcnt(0)
	s_barrier
	buffer_wbinvl1_vol
	s_and_saveexec_b64 s[12:13], s[2:3]
	s_cbranch_execz .LBB37_419
; %bb.414:
	v_lshlrev_b32_e32 v26, 3, v16
	v_lshlrev_b32_e32 v25, 9, v17
	ds_read_b64 v[10:11], v26 offset:18688
	ds_read_b64 v[27:28], v25 offset:18720
	v_cmp_gt_u32_e64 s[10:11], 12, v15
	s_waitcnt lgkmcnt(0)
	v_fma_f64 v[10:11], v[10:11], v[27:28], 0
	s_and_saveexec_b64 s[16:17], s[10:11]
	s_cbranch_execnz .LBB37_1130
; %bb.415:
	s_or_b64 exec, exec, s[16:17]
	v_cmp_gt_u32_e64 s[10:11], 8, v15
	s_and_saveexec_b64 s[16:17], s[10:11]
	s_cbranch_execnz .LBB37_1131
.LBB37_416:
	s_or_b64 exec, exec, s[16:17]
	v_cmp_gt_u32_e64 s[10:11], 4, v15
	s_and_saveexec_b64 s[16:17], s[10:11]
	s_cbranch_execz .LBB37_418
.LBB37_417:
	v_lshlrev_b32_e32 v25, 3, v0
	v_mov_b32_e32 v27, 0
	ds_read_b64 v[25:26], v25 offset:20224
	ds_read_b64 v[27:28], v27 offset:20280
	s_waitcnt lgkmcnt(0)
	v_fma_f64 v[10:11], v[25:26], v[27:28], v[10:11]
.LBB37_418:
	s_or_b64 exec, exec, s[16:17]
.LBB37_419:
	s_or_b64 exec, exec, s[12:13]
	s_and_saveexec_b64 s[10:11], s[44:45]
; %bb.420:
	v_xor_b32_e32 v26, 0x80000000, v11
	v_mov_b32_e32 v25, v10
	ds_write_b64 v18, v[25:26]
; %bb.421:
	s_or_b64 exec, exec, s[10:11]
	s_waitcnt lgkmcnt(0)
	s_barrier
	s_and_saveexec_b64 s[10:11], s[46:47]
	s_cbranch_execz .LBB37_423
; %bb.422:
	v_lshlrev_b32_e32 v25, 3, v16
	ds_read_b64 v[25:26], v25 offset:18176
	ds_read_b64 v[27:28], v18
	s_waitcnt lgkmcnt(0)
	v_fma_f64 v[10:11], -v[25:26], v[27:28], v[10:11]
.LBB37_423:
	s_or_b64 exec, exec, s[10:11]
	s_barrier
	s_and_saveexec_b64 s[10:11], s[48:49]
; %bb.424:
	v_xor_b32_e32 v26, 0x80000000, v11
	v_mov_b32_e32 v25, v10
	ds_write_b64 v18, v[25:26]
; %bb.425:
	s_or_b64 exec, exec, s[10:11]
	s_waitcnt lgkmcnt(0)
	s_barrier
	s_and_saveexec_b64 s[10:11], s[50:51]
	s_cbranch_execz .LBB37_427
; %bb.426:
	v_lshlrev_b32_e32 v25, 3, v16
	ds_read_b64 v[25:26], v25 offset:17664
	ds_read_b64 v[27:28], v18
	s_waitcnt lgkmcnt(0)
	v_fma_f64 v[10:11], -v[25:26], v[27:28], v[10:11]
.LBB37_427:
	s_or_b64 exec, exec, s[10:11]
	s_barrier
	s_and_saveexec_b64 s[10:11], s[52:53]
; %bb.428:
	v_xor_b32_e32 v26, 0x80000000, v11
	v_mov_b32_e32 v25, v10
	ds_write_b64 v18, v[25:26]
; %bb.429:
	s_or_b64 exec, exec, s[10:11]
	s_waitcnt lgkmcnt(0)
	s_barrier
	s_and_saveexec_b64 s[10:11], s[42:43]
	s_cbranch_execz .LBB37_431
; %bb.430:
	v_mov_b32_e32 v25, 0
	ds_read_b64 v[25:26], v25 offset:17152
	ds_read_b64 v[27:28], v18
	s_waitcnt lgkmcnt(0)
	v_fma_f64 v[10:11], -v[25:26], v[27:28], v[10:11]
.LBB37_431:
	s_or_b64 exec, exec, s[10:11]
	s_barrier
	s_and_saveexec_b64 s[10:11], s[42:43]
; %bb.432:
	v_xor_b32_e32 v26, 0x80000000, v11
	v_mov_b32_e32 v25, v10
	ds_write_b64 v18, v[25:26]
; %bb.433:
	s_or_b64 exec, exec, s[10:11]
	s_waitcnt lgkmcnt(0)
	s_barrier
	s_barrier
	s_and_saveexec_b64 s[10:11], s[2:3]
; %bb.434:
	v_lshlrev_b32_e32 v25, 3, v16
	v_lshl_or_b32 v25, v17, 9, v25
	ds_write_b64 v25, v[10:11] offset:18688
; %bb.435:
	s_or_b64 exec, exec, s[10:11]
	s_waitcnt lgkmcnt(0)
	s_barrier
	s_barrier
	s_and_saveexec_b64 s[10:11], vcc
	s_cbranch_execz .LBB37_437
; %bb.436:
	s_mov_b64 s[12:13], 1.0
	v_mov_b32_e32 v10, s12
	v_mov_b32_e32 v11, s13
	s_movk_i32 s12, 0x4000
	v_add_u32_e64 v25, s12, 0
	ds_write2_b64 v25, v[10:11], v[10:11] offset0:162 offset1:227
.LBB37_437:
	s_or_b64 exec, exec, s[10:11]
	v_mov_b32_e32 v10, 0
	v_mov_b32_e32 v11, 0
	s_waitcnt lgkmcnt(0)
	s_barrier
	buffer_wbinvl1_vol
	s_and_saveexec_b64 s[12:13], s[0:1]
	s_cbranch_execz .LBB37_441
; %bb.438:
	v_lshlrev_b32_e32 v25, 9, v13
	v_lshlrev_b32_e32 v10, 3, v12
	ds_read_b64 v[10:11], v10 offset:17664
	ds_read_b64 v[25:26], v25 offset:17680
	v_cmp_gt_u32_e64 s[10:11], 2, v15
	s_waitcnt lgkmcnt(0)
	v_fma_f64 v[10:11], v[10:11], v[25:26], 0
	s_and_saveexec_b64 s[16:17], s[10:11]
	s_cbranch_execz .LBB37_440
; %bb.439:
	v_lshlrev_b32_e32 v25, 3, v0
	v_mov_b32_e32 v27, 0
	ds_read_b64 v[25:26], v25 offset:18176
	ds_read_b64 v[27:28], v27 offset:18200
	s_waitcnt lgkmcnt(0)
	v_fma_f64 v[10:11], v[25:26], v[27:28], v[10:11]
.LBB37_440:
	s_or_b64 exec, exec, s[16:17]
.LBB37_441:
	s_or_b64 exec, exec, s[12:13]
	s_and_saveexec_b64 s[10:11], s[40:41]
; %bb.442:
	v_xor_b32_e32 v26, 0x80000000, v11
	v_mov_b32_e32 v25, v10
	ds_write_b64 v14, v[25:26]
; %bb.443:
	s_or_b64 exec, exec, s[10:11]
	s_waitcnt lgkmcnt(0)
	s_barrier
	s_and_saveexec_b64 s[10:11], s[38:39]
	s_cbranch_execz .LBB37_445
; %bb.444:
	v_mov_b32_e32 v25, 0
	ds_read_b64 v[25:26], v25 offset:17152
	ds_read_b64 v[27:28], v14
	s_waitcnt lgkmcnt(0)
	v_fma_f64 v[10:11], -v[25:26], v[27:28], v[10:11]
.LBB37_445:
	s_or_b64 exec, exec, s[10:11]
	s_barrier
	s_and_saveexec_b64 s[10:11], s[38:39]
; %bb.446:
	v_xor_b32_e32 v26, 0x80000000, v11
	v_mov_b32_e32 v25, v10
	ds_write_b64 v14, v[25:26]
; %bb.447:
	s_or_b64 exec, exec, s[10:11]
	s_waitcnt lgkmcnt(0)
	s_barrier
	s_barrier
	s_and_saveexec_b64 s[10:11], s[0:1]
; %bb.448:
	v_lshlrev_b32_e32 v25, 3, v12
	v_lshl_or_b32 v25, v13, 9, v25
	ds_write_b64 v25, v[10:11] offset:17664
; %bb.449:
	s_or_b64 exec, exec, s[10:11]
	s_waitcnt lgkmcnt(0)
	s_barrier
	s_barrier
	s_and_saveexec_b64 s[10:11], vcc
	s_cbranch_execz .LBB37_451
; %bb.450:
	s_mov_b64 s[12:13], 1.0
	v_mov_b32_e32 v10, s12
	v_mov_b32_e32 v11, s13
	s_movk_i32 s12, 0x4000
	v_add_u32_e64 v25, s12, 0
	ds_write2_b64 v25, v[10:11], v[10:11] offset0:32 offset1:97
.LBB37_451:
	s_or_b64 exec, exec, s[10:11]
	s_movk_i32 s10, 0x3ff
	v_and_b32_e32 v27, 31, v0
	v_lshrrev_b32_e32 v28, 5, v15
	v_cmp_lt_u32_e64 s[12:13], s10, v15
	s_movk_i32 s10, 0x400
	v_mov_b32_e32 v10, 0
	v_sub_u32_e32 v25, 31, v28
	v_cmp_gt_u32_e64 s[10:11], s10, v15
	v_mov_b32_e32 v11, 0
	v_lshlrev_b32_e32 v26, 3, v27
	s_waitcnt lgkmcnt(0)
	s_barrier
	buffer_wbinvl1_vol
	s_and_saveexec_b64 s[88:89], s[10:11]
	s_cbranch_execz .LBB37_513
; %bb.452:
	v_lshlrev_b32_e32 v29, 9, v25
	ds_read_b64 v[10:11], v26 offset:16384
	ds_read_b64 v[30:31], v29 offset:16640
	s_movk_i32 s16, 0x3e0
	v_cmp_gt_u32_e64 s[16:17], s16, v15
	s_waitcnt lgkmcnt(0)
	v_fma_f64 v[10:11], v[10:11], v[30:31], 0
	s_and_saveexec_b64 s[90:91], s[16:17]
	s_cbranch_execz .LBB37_454
; %bb.453:
	ds_read_b64 v[30:31], v26 offset:16896
	ds_read_b64 v[32:33], v29 offset:16648
	s_waitcnt lgkmcnt(0)
	v_fma_f64 v[10:11], v[30:31], v[32:33], v[10:11]
.LBB37_454:
	s_or_b64 exec, exec, s[90:91]
	s_movk_i32 s16, 0x3c0
	v_cmp_gt_u32_e64 s[16:17], s16, v15
	s_and_saveexec_b64 s[90:91], s[16:17]
	s_cbranch_execz .LBB37_456
; %bb.455:
	ds_read_b64 v[30:31], v26 offset:17408
	ds_read_b64 v[32:33], v29 offset:16656
	s_waitcnt lgkmcnt(0)
	v_fma_f64 v[10:11], v[30:31], v[32:33], v[10:11]
.LBB37_456:
	s_or_b64 exec, exec, s[90:91]
	s_movk_i32 s16, 0x3a0
	v_cmp_gt_u32_e64 s[16:17], s16, v15
	;; [unrolled: 11-line block ×22, first 2 shown]
	s_and_saveexec_b64 s[90:91], s[16:17]
	s_cbranch_execz .LBB37_498
; %bb.497:
	ds_read_b64 v[30:31], v26 offset:28160
	ds_read_b64 v[32:33], v29 offset:16824
	s_waitcnt lgkmcnt(0)
	v_fma_f64 v[10:11], v[30:31], v[32:33], v[10:11]
.LBB37_498:
	s_or_b64 exec, exec, s[90:91]
	s_and_saveexec_b64 s[16:17], s[8:9]
	s_cbranch_execz .LBB37_500
; %bb.499:
	ds_read_b64 v[30:31], v26 offset:28672
	ds_read_b64 v[32:33], v29 offset:16832
	s_waitcnt lgkmcnt(0)
	v_fma_f64 v[10:11], v[30:31], v[32:33], v[10:11]
.LBB37_500:
	s_or_b64 exec, exec, s[16:17]
	s_movk_i32 s16, 0xe0
	v_cmp_gt_u32_e64 s[16:17], s16, v15
	s_and_saveexec_b64 s[90:91], s[16:17]
	s_cbranch_execz .LBB37_502
; %bb.501:
	ds_read_b64 v[30:31], v26 offset:29184
	ds_read_b64 v[32:33], v29 offset:16840
	s_waitcnt lgkmcnt(0)
	v_fma_f64 v[10:11], v[30:31], v[32:33], v[10:11]
.LBB37_502:
	s_or_b64 exec, exec, s[90:91]
	s_movk_i32 s16, 0xc0
	v_cmp_gt_u32_e64 s[16:17], s16, v15
	;; [unrolled: 11-line block ×5, first 2 shown]
	s_and_saveexec_b64 s[90:91], s[16:17]
	s_cbranch_execnz .LBB37_1132
; %bb.509:
	s_or_b64 exec, exec, s[90:91]
	s_and_saveexec_b64 s[16:17], s[14:15]
	s_cbranch_execnz .LBB37_1133
.LBB37_510:
	s_or_b64 exec, exec, s[16:17]
	v_cmp_gt_u32_e64 s[16:17], 32, v15
	s_and_saveexec_b64 s[90:91], s[16:17]
	s_cbranch_execz .LBB37_512
.LBB37_511:
	v_lshlrev_b32_e32 v29, 3, v0
	v_mov_b32_e32 v31, 0
	ds_read_b64 v[29:30], v29 offset:32256
	ds_read_b64 v[31:32], v31 offset:32760
	s_waitcnt lgkmcnt(0)
	v_fma_f64 v[10:11], v[29:30], v[31:32], v[10:11]
.LBB37_512:
	s_or_b64 exec, exec, s[90:91]
.LBB37_513:
	s_or_b64 exec, exec, s[88:89]
	v_mov_b32_e32 v29, 0x8000
	v_cmp_eq_u32_e64 s[16:17], 31, v27
	s_xor_b64 s[88:89], s[12:13], -1
	v_lshl_add_u32 v28, v28, 3, v29
	s_and_b64 s[16:17], s[88:89], s[16:17]
	s_and_saveexec_b64 s[12:13], s[16:17]
; %bb.514:
	v_xor_b32_e32 v30, 0x80000000, v11
	v_mov_b32_e32 v29, v10
	ds_write_b64 v28, v[29:30]
; %bb.515:
	s_or_b64 exec, exec, s[12:13]
	v_cmp_ne_u32_e64 s[12:13], 31, v27
	s_and_b64 s[16:17], s[88:89], s[12:13]
	s_waitcnt lgkmcnt(0)
	s_barrier
	s_and_saveexec_b64 s[12:13], s[16:17]
	s_cbranch_execz .LBB37_517
; %bb.516:
	ds_read_b64 v[29:30], v26 offset:15872
	ds_read_b64 v[31:32], v28
	s_waitcnt lgkmcnt(0)
	v_fma_f64 v[10:11], -v[29:30], v[31:32], v[10:11]
.LBB37_517:
	s_or_b64 exec, exec, s[12:13]
	v_cmp_eq_u32_e64 s[12:13], 30, v27
	s_and_b64 s[16:17], s[88:89], s[12:13]
	s_barrier
	s_and_saveexec_b64 s[12:13], s[16:17]
; %bb.518:
	v_xor_b32_e32 v30, 0x80000000, v11
	v_mov_b32_e32 v29, v10
	ds_write_b64 v28, v[29:30]
; %bb.519:
	s_or_b64 exec, exec, s[12:13]
	v_cmp_gt_u32_e64 s[12:13], 30, v27
	s_and_b64 s[16:17], s[88:89], s[12:13]
	s_waitcnt lgkmcnt(0)
	s_barrier
	s_and_saveexec_b64 s[12:13], s[16:17]
	s_cbranch_execz .LBB37_521
; %bb.520:
	ds_read_b64 v[29:30], v26 offset:15360
	ds_read_b64 v[31:32], v28
	s_waitcnt lgkmcnt(0)
	v_fma_f64 v[10:11], -v[29:30], v[31:32], v[10:11]
.LBB37_521:
	s_or_b64 exec, exec, s[12:13]
	v_cmp_eq_u32_e64 s[12:13], 29, v27
	s_and_b64 s[16:17], s[88:89], s[12:13]
	s_barrier
	s_and_saveexec_b64 s[12:13], s[16:17]
; %bb.522:
	v_xor_b32_e32 v30, 0x80000000, v11
	v_mov_b32_e32 v29, v10
	ds_write_b64 v28, v[29:30]
; %bb.523:
	s_or_b64 exec, exec, s[12:13]
	v_cmp_gt_u32_e64 s[12:13], 29, v27
	s_and_b64 s[16:17], s[88:89], s[12:13]
	s_waitcnt lgkmcnt(0)
	s_barrier
	s_and_saveexec_b64 s[12:13], s[16:17]
	s_cbranch_execz .LBB37_525
; %bb.524:
	ds_read_b64 v[29:30], v26 offset:14848
	ds_read_b64 v[31:32], v28
	s_waitcnt lgkmcnt(0)
	v_fma_f64 v[10:11], -v[29:30], v[31:32], v[10:11]
.LBB37_525:
	s_or_b64 exec, exec, s[12:13]
	v_cmp_eq_u32_e64 s[12:13], 28, v27
	s_and_b64 s[16:17], s[88:89], s[12:13]
	s_barrier
	s_and_saveexec_b64 s[12:13], s[16:17]
; %bb.526:
	v_xor_b32_e32 v30, 0x80000000, v11
	v_mov_b32_e32 v29, v10
	ds_write_b64 v28, v[29:30]
; %bb.527:
	s_or_b64 exec, exec, s[12:13]
	v_cmp_gt_u32_e64 s[12:13], 28, v27
	s_and_b64 s[16:17], s[88:89], s[12:13]
	s_waitcnt lgkmcnt(0)
	s_barrier
	s_and_saveexec_b64 s[12:13], s[16:17]
	s_cbranch_execz .LBB37_529
; %bb.528:
	ds_read_b64 v[29:30], v26 offset:14336
	ds_read_b64 v[31:32], v28
	s_waitcnt lgkmcnt(0)
	v_fma_f64 v[10:11], -v[29:30], v[31:32], v[10:11]
.LBB37_529:
	s_or_b64 exec, exec, s[12:13]
	v_cmp_eq_u32_e64 s[12:13], 27, v27
	s_and_b64 s[16:17], s[88:89], s[12:13]
	s_barrier
	s_and_saveexec_b64 s[12:13], s[16:17]
; %bb.530:
	v_xor_b32_e32 v30, 0x80000000, v11
	v_mov_b32_e32 v29, v10
	ds_write_b64 v28, v[29:30]
; %bb.531:
	s_or_b64 exec, exec, s[12:13]
	v_cmp_gt_u32_e64 s[12:13], 27, v27
	s_and_b64 s[16:17], s[88:89], s[12:13]
	s_waitcnt lgkmcnt(0)
	s_barrier
	s_and_saveexec_b64 s[12:13], s[16:17]
	s_cbranch_execz .LBB37_533
; %bb.532:
	ds_read_b64 v[29:30], v26 offset:13824
	ds_read_b64 v[31:32], v28
	s_waitcnt lgkmcnt(0)
	v_fma_f64 v[10:11], -v[29:30], v[31:32], v[10:11]
.LBB37_533:
	s_or_b64 exec, exec, s[12:13]
	v_cmp_eq_u32_e64 s[12:13], 26, v27
	s_and_b64 s[16:17], s[88:89], s[12:13]
	s_barrier
	s_and_saveexec_b64 s[12:13], s[16:17]
; %bb.534:
	v_xor_b32_e32 v30, 0x80000000, v11
	v_mov_b32_e32 v29, v10
	ds_write_b64 v28, v[29:30]
; %bb.535:
	s_or_b64 exec, exec, s[12:13]
	v_cmp_gt_u32_e64 s[12:13], 26, v27
	s_and_b64 s[16:17], s[88:89], s[12:13]
	s_waitcnt lgkmcnt(0)
	s_barrier
	s_and_saveexec_b64 s[12:13], s[16:17]
	s_cbranch_execz .LBB37_537
; %bb.536:
	ds_read_b64 v[29:30], v26 offset:13312
	ds_read_b64 v[31:32], v28
	s_waitcnt lgkmcnt(0)
	v_fma_f64 v[10:11], -v[29:30], v[31:32], v[10:11]
.LBB37_537:
	s_or_b64 exec, exec, s[12:13]
	v_cmp_eq_u32_e64 s[12:13], 25, v27
	s_and_b64 s[16:17], s[88:89], s[12:13]
	s_barrier
	s_and_saveexec_b64 s[12:13], s[16:17]
; %bb.538:
	v_xor_b32_e32 v30, 0x80000000, v11
	v_mov_b32_e32 v29, v10
	ds_write_b64 v28, v[29:30]
; %bb.539:
	s_or_b64 exec, exec, s[12:13]
	v_cmp_gt_u32_e64 s[12:13], 25, v27
	s_and_b64 s[16:17], s[88:89], s[12:13]
	s_waitcnt lgkmcnt(0)
	s_barrier
	s_and_saveexec_b64 s[12:13], s[16:17]
	s_cbranch_execz .LBB37_541
; %bb.540:
	ds_read_b64 v[29:30], v26 offset:12800
	ds_read_b64 v[31:32], v28
	s_waitcnt lgkmcnt(0)
	v_fma_f64 v[10:11], -v[29:30], v[31:32], v[10:11]
.LBB37_541:
	s_or_b64 exec, exec, s[12:13]
	v_cmp_eq_u32_e64 s[12:13], 24, v27
	s_and_b64 s[16:17], s[88:89], s[12:13]
	s_barrier
	s_and_saveexec_b64 s[12:13], s[16:17]
; %bb.542:
	v_xor_b32_e32 v30, 0x80000000, v11
	v_mov_b32_e32 v29, v10
	ds_write_b64 v28, v[29:30]
; %bb.543:
	s_or_b64 exec, exec, s[12:13]
	v_cmp_gt_u32_e64 s[12:13], 24, v27
	s_and_b64 s[16:17], s[88:89], s[12:13]
	s_waitcnt lgkmcnt(0)
	s_barrier
	s_and_saveexec_b64 s[12:13], s[16:17]
	s_cbranch_execz .LBB37_545
; %bb.544:
	ds_read_b64 v[29:30], v26 offset:12288
	ds_read_b64 v[31:32], v28
	s_waitcnt lgkmcnt(0)
	v_fma_f64 v[10:11], -v[29:30], v[31:32], v[10:11]
.LBB37_545:
	s_or_b64 exec, exec, s[12:13]
	v_cmp_eq_u32_e64 s[12:13], 23, v27
	s_and_b64 s[16:17], s[88:89], s[12:13]
	s_barrier
	s_and_saveexec_b64 s[12:13], s[16:17]
; %bb.546:
	v_xor_b32_e32 v30, 0x80000000, v11
	v_mov_b32_e32 v29, v10
	ds_write_b64 v28, v[29:30]
; %bb.547:
	s_or_b64 exec, exec, s[12:13]
	v_cmp_gt_u32_e64 s[12:13], 23, v27
	s_and_b64 s[16:17], s[88:89], s[12:13]
	s_waitcnt lgkmcnt(0)
	s_barrier
	s_and_saveexec_b64 s[12:13], s[16:17]
	s_cbranch_execz .LBB37_549
; %bb.548:
	ds_read_b64 v[29:30], v26 offset:11776
	ds_read_b64 v[31:32], v28
	s_waitcnt lgkmcnt(0)
	v_fma_f64 v[10:11], -v[29:30], v[31:32], v[10:11]
.LBB37_549:
	s_or_b64 exec, exec, s[12:13]
	v_cmp_eq_u32_e64 s[12:13], 22, v27
	s_and_b64 s[16:17], s[88:89], s[12:13]
	s_barrier
	s_and_saveexec_b64 s[12:13], s[16:17]
; %bb.550:
	v_xor_b32_e32 v30, 0x80000000, v11
	v_mov_b32_e32 v29, v10
	ds_write_b64 v28, v[29:30]
; %bb.551:
	s_or_b64 exec, exec, s[12:13]
	v_cmp_gt_u32_e64 s[12:13], 22, v27
	s_and_b64 s[16:17], s[88:89], s[12:13]
	s_waitcnt lgkmcnt(0)
	s_barrier
	s_and_saveexec_b64 s[12:13], s[16:17]
	s_cbranch_execz .LBB37_553
; %bb.552:
	ds_read_b64 v[29:30], v26 offset:11264
	ds_read_b64 v[31:32], v28
	s_waitcnt lgkmcnt(0)
	v_fma_f64 v[10:11], -v[29:30], v[31:32], v[10:11]
.LBB37_553:
	s_or_b64 exec, exec, s[12:13]
	v_cmp_eq_u32_e64 s[12:13], 21, v27
	s_and_b64 s[16:17], s[88:89], s[12:13]
	s_barrier
	s_and_saveexec_b64 s[12:13], s[16:17]
; %bb.554:
	v_xor_b32_e32 v30, 0x80000000, v11
	v_mov_b32_e32 v29, v10
	ds_write_b64 v28, v[29:30]
; %bb.555:
	s_or_b64 exec, exec, s[12:13]
	v_cmp_gt_u32_e64 s[12:13], 21, v27
	s_and_b64 s[16:17], s[88:89], s[12:13]
	s_waitcnt lgkmcnt(0)
	s_barrier
	s_and_saveexec_b64 s[12:13], s[16:17]
	s_cbranch_execz .LBB37_557
; %bb.556:
	ds_read_b64 v[29:30], v26 offset:10752
	ds_read_b64 v[31:32], v28
	s_waitcnt lgkmcnt(0)
	v_fma_f64 v[10:11], -v[29:30], v[31:32], v[10:11]
.LBB37_557:
	s_or_b64 exec, exec, s[12:13]
	v_cmp_eq_u32_e64 s[12:13], 20, v27
	s_and_b64 s[16:17], s[88:89], s[12:13]
	s_barrier
	s_and_saveexec_b64 s[12:13], s[16:17]
; %bb.558:
	v_xor_b32_e32 v30, 0x80000000, v11
	v_mov_b32_e32 v29, v10
	ds_write_b64 v28, v[29:30]
; %bb.559:
	s_or_b64 exec, exec, s[12:13]
	v_cmp_gt_u32_e64 s[12:13], 20, v27
	s_and_b64 s[16:17], s[88:89], s[12:13]
	s_waitcnt lgkmcnt(0)
	s_barrier
	s_and_saveexec_b64 s[12:13], s[16:17]
	s_cbranch_execz .LBB37_561
; %bb.560:
	ds_read_b64 v[29:30], v26 offset:10240
	ds_read_b64 v[31:32], v28
	s_waitcnt lgkmcnt(0)
	v_fma_f64 v[10:11], -v[29:30], v[31:32], v[10:11]
.LBB37_561:
	s_or_b64 exec, exec, s[12:13]
	v_cmp_eq_u32_e64 s[12:13], 19, v27
	s_and_b64 s[16:17], s[88:89], s[12:13]
	s_barrier
	s_and_saveexec_b64 s[12:13], s[16:17]
; %bb.562:
	v_xor_b32_e32 v30, 0x80000000, v11
	v_mov_b32_e32 v29, v10
	ds_write_b64 v28, v[29:30]
; %bb.563:
	s_or_b64 exec, exec, s[12:13]
	v_cmp_gt_u32_e64 s[12:13], 19, v27
	s_and_b64 s[16:17], s[88:89], s[12:13]
	s_waitcnt lgkmcnt(0)
	s_barrier
	s_and_saveexec_b64 s[12:13], s[16:17]
	s_cbranch_execz .LBB37_565
; %bb.564:
	ds_read_b64 v[29:30], v26 offset:9728
	ds_read_b64 v[31:32], v28
	s_waitcnt lgkmcnt(0)
	v_fma_f64 v[10:11], -v[29:30], v[31:32], v[10:11]
.LBB37_565:
	s_or_b64 exec, exec, s[12:13]
	v_cmp_eq_u32_e64 s[12:13], 18, v27
	s_and_b64 s[16:17], s[88:89], s[12:13]
	s_barrier
	s_and_saveexec_b64 s[12:13], s[16:17]
; %bb.566:
	v_xor_b32_e32 v30, 0x80000000, v11
	v_mov_b32_e32 v29, v10
	ds_write_b64 v28, v[29:30]
; %bb.567:
	s_or_b64 exec, exec, s[12:13]
	v_cmp_gt_u32_e64 s[12:13], 18, v27
	s_and_b64 s[16:17], s[88:89], s[12:13]
	s_waitcnt lgkmcnt(0)
	s_barrier
	s_and_saveexec_b64 s[12:13], s[16:17]
	s_cbranch_execz .LBB37_569
; %bb.568:
	ds_read_b64 v[29:30], v26 offset:9216
	ds_read_b64 v[31:32], v28
	s_waitcnt lgkmcnt(0)
	v_fma_f64 v[10:11], -v[29:30], v[31:32], v[10:11]
.LBB37_569:
	s_or_b64 exec, exec, s[12:13]
	v_cmp_eq_u32_e64 s[12:13], 17, v27
	s_and_b64 s[16:17], s[88:89], s[12:13]
	s_barrier
	s_and_saveexec_b64 s[12:13], s[16:17]
; %bb.570:
	v_xor_b32_e32 v30, 0x80000000, v11
	v_mov_b32_e32 v29, v10
	ds_write_b64 v28, v[29:30]
; %bb.571:
	s_or_b64 exec, exec, s[12:13]
	v_cmp_gt_u32_e64 s[12:13], 17, v27
	s_and_b64 s[16:17], s[88:89], s[12:13]
	s_waitcnt lgkmcnt(0)
	s_barrier
	s_and_saveexec_b64 s[12:13], s[16:17]
	s_cbranch_execz .LBB37_573
; %bb.572:
	ds_read_b64 v[29:30], v26 offset:8704
	ds_read_b64 v[31:32], v28
	s_waitcnt lgkmcnt(0)
	v_fma_f64 v[10:11], -v[29:30], v[31:32], v[10:11]
.LBB37_573:
	s_or_b64 exec, exec, s[12:13]
	v_cmp_eq_u32_e64 s[12:13], 16, v27
	s_and_b64 s[16:17], s[88:89], s[12:13]
	s_barrier
	s_and_saveexec_b64 s[12:13], s[16:17]
; %bb.574:
	v_xor_b32_e32 v30, 0x80000000, v11
	v_mov_b32_e32 v29, v10
	ds_write_b64 v28, v[29:30]
; %bb.575:
	s_or_b64 exec, exec, s[12:13]
	v_cmp_gt_u32_e64 s[12:13], 16, v27
	s_and_b64 s[16:17], s[88:89], s[12:13]
	s_waitcnt lgkmcnt(0)
	s_barrier
	s_and_saveexec_b64 s[12:13], s[16:17]
	s_cbranch_execz .LBB37_577
; %bb.576:
	ds_read_b64 v[29:30], v26 offset:8192
	ds_read_b64 v[31:32], v28
	s_waitcnt lgkmcnt(0)
	v_fma_f64 v[10:11], -v[29:30], v[31:32], v[10:11]
.LBB37_577:
	s_or_b64 exec, exec, s[12:13]
	v_cmp_eq_u32_e64 s[12:13], 15, v27
	s_and_b64 s[16:17], s[88:89], s[12:13]
	s_barrier
	s_and_saveexec_b64 s[12:13], s[16:17]
; %bb.578:
	v_xor_b32_e32 v30, 0x80000000, v11
	v_mov_b32_e32 v29, v10
	ds_write_b64 v28, v[29:30]
; %bb.579:
	s_or_b64 exec, exec, s[12:13]
	v_cmp_gt_u32_e64 s[12:13], 15, v27
	s_and_b64 s[16:17], s[88:89], s[12:13]
	s_waitcnt lgkmcnt(0)
	s_barrier
	s_and_saveexec_b64 s[12:13], s[16:17]
	s_cbranch_execz .LBB37_581
; %bb.580:
	ds_read_b64 v[29:30], v26 offset:7680
	ds_read_b64 v[31:32], v28
	s_waitcnt lgkmcnt(0)
	v_fma_f64 v[10:11], -v[29:30], v[31:32], v[10:11]
.LBB37_581:
	s_or_b64 exec, exec, s[12:13]
	v_cmp_eq_u32_e64 s[12:13], 14, v27
	s_and_b64 s[16:17], s[88:89], s[12:13]
	s_barrier
	s_and_saveexec_b64 s[12:13], s[16:17]
; %bb.582:
	v_xor_b32_e32 v30, 0x80000000, v11
	v_mov_b32_e32 v29, v10
	ds_write_b64 v28, v[29:30]
; %bb.583:
	s_or_b64 exec, exec, s[12:13]
	v_cmp_gt_u32_e64 s[12:13], 14, v27
	s_and_b64 s[16:17], s[88:89], s[12:13]
	s_waitcnt lgkmcnt(0)
	s_barrier
	s_and_saveexec_b64 s[12:13], s[16:17]
	s_cbranch_execz .LBB37_585
; %bb.584:
	ds_read_b64 v[29:30], v26 offset:7168
	ds_read_b64 v[31:32], v28
	s_waitcnt lgkmcnt(0)
	v_fma_f64 v[10:11], -v[29:30], v[31:32], v[10:11]
.LBB37_585:
	s_or_b64 exec, exec, s[12:13]
	v_cmp_eq_u32_e64 s[12:13], 13, v27
	s_and_b64 s[16:17], s[88:89], s[12:13]
	s_barrier
	s_and_saveexec_b64 s[12:13], s[16:17]
; %bb.586:
	v_xor_b32_e32 v30, 0x80000000, v11
	v_mov_b32_e32 v29, v10
	ds_write_b64 v28, v[29:30]
; %bb.587:
	s_or_b64 exec, exec, s[12:13]
	v_cmp_gt_u32_e64 s[12:13], 13, v27
	s_and_b64 s[16:17], s[88:89], s[12:13]
	s_waitcnt lgkmcnt(0)
	s_barrier
	s_and_saveexec_b64 s[12:13], s[16:17]
	s_cbranch_execz .LBB37_589
; %bb.588:
	ds_read_b64 v[29:30], v26 offset:6656
	ds_read_b64 v[31:32], v28
	s_waitcnt lgkmcnt(0)
	v_fma_f64 v[10:11], -v[29:30], v[31:32], v[10:11]
.LBB37_589:
	s_or_b64 exec, exec, s[12:13]
	v_cmp_eq_u32_e64 s[12:13], 12, v27
	s_and_b64 s[16:17], s[88:89], s[12:13]
	s_barrier
	s_and_saveexec_b64 s[12:13], s[16:17]
; %bb.590:
	v_xor_b32_e32 v30, 0x80000000, v11
	v_mov_b32_e32 v29, v10
	ds_write_b64 v28, v[29:30]
; %bb.591:
	s_or_b64 exec, exec, s[12:13]
	v_cmp_gt_u32_e64 s[12:13], 12, v27
	s_and_b64 s[16:17], s[88:89], s[12:13]
	s_waitcnt lgkmcnt(0)
	s_barrier
	s_and_saveexec_b64 s[12:13], s[16:17]
	s_cbranch_execz .LBB37_593
; %bb.592:
	ds_read_b64 v[29:30], v26 offset:6144
	ds_read_b64 v[31:32], v28
	s_waitcnt lgkmcnt(0)
	v_fma_f64 v[10:11], -v[29:30], v[31:32], v[10:11]
.LBB37_593:
	s_or_b64 exec, exec, s[12:13]
	v_cmp_eq_u32_e64 s[12:13], 11, v27
	s_and_b64 s[16:17], s[88:89], s[12:13]
	s_barrier
	s_and_saveexec_b64 s[12:13], s[16:17]
; %bb.594:
	v_xor_b32_e32 v30, 0x80000000, v11
	v_mov_b32_e32 v29, v10
	ds_write_b64 v28, v[29:30]
; %bb.595:
	s_or_b64 exec, exec, s[12:13]
	v_cmp_gt_u32_e64 s[12:13], 11, v27
	s_and_b64 s[16:17], s[88:89], s[12:13]
	s_waitcnt lgkmcnt(0)
	s_barrier
	s_and_saveexec_b64 s[12:13], s[16:17]
	s_cbranch_execz .LBB37_597
; %bb.596:
	ds_read_b64 v[29:30], v26 offset:5632
	ds_read_b64 v[31:32], v28
	s_waitcnt lgkmcnt(0)
	v_fma_f64 v[10:11], -v[29:30], v[31:32], v[10:11]
.LBB37_597:
	s_or_b64 exec, exec, s[12:13]
	v_cmp_eq_u32_e64 s[12:13], 10, v27
	s_and_b64 s[16:17], s[88:89], s[12:13]
	s_barrier
	s_and_saveexec_b64 s[12:13], s[16:17]
; %bb.598:
	v_xor_b32_e32 v30, 0x80000000, v11
	v_mov_b32_e32 v29, v10
	ds_write_b64 v28, v[29:30]
; %bb.599:
	s_or_b64 exec, exec, s[12:13]
	v_cmp_gt_u32_e64 s[12:13], 10, v27
	s_and_b64 s[16:17], s[88:89], s[12:13]
	s_waitcnt lgkmcnt(0)
	s_barrier
	s_and_saveexec_b64 s[12:13], s[16:17]
	s_cbranch_execz .LBB37_601
; %bb.600:
	ds_read_b64 v[29:30], v26 offset:5120
	ds_read_b64 v[31:32], v28
	s_waitcnt lgkmcnt(0)
	v_fma_f64 v[10:11], -v[29:30], v[31:32], v[10:11]
.LBB37_601:
	s_or_b64 exec, exec, s[12:13]
	v_cmp_eq_u32_e64 s[12:13], 9, v27
	s_and_b64 s[16:17], s[88:89], s[12:13]
	s_barrier
	s_and_saveexec_b64 s[12:13], s[16:17]
; %bb.602:
	v_xor_b32_e32 v30, 0x80000000, v11
	v_mov_b32_e32 v29, v10
	ds_write_b64 v28, v[29:30]
; %bb.603:
	s_or_b64 exec, exec, s[12:13]
	v_cmp_gt_u32_e64 s[12:13], 9, v27
	s_and_b64 s[16:17], s[88:89], s[12:13]
	s_waitcnt lgkmcnt(0)
	s_barrier
	s_and_saveexec_b64 s[12:13], s[16:17]
	s_cbranch_execz .LBB37_605
; %bb.604:
	ds_read_b64 v[29:30], v26 offset:4608
	ds_read_b64 v[31:32], v28
	s_waitcnt lgkmcnt(0)
	v_fma_f64 v[10:11], -v[29:30], v[31:32], v[10:11]
.LBB37_605:
	s_or_b64 exec, exec, s[12:13]
	v_cmp_eq_u32_e64 s[12:13], 8, v27
	s_and_b64 s[16:17], s[88:89], s[12:13]
	s_barrier
	s_and_saveexec_b64 s[12:13], s[16:17]
; %bb.606:
	v_xor_b32_e32 v30, 0x80000000, v11
	v_mov_b32_e32 v29, v10
	ds_write_b64 v28, v[29:30]
; %bb.607:
	s_or_b64 exec, exec, s[12:13]
	v_cmp_gt_u32_e64 s[12:13], 8, v27
	s_and_b64 s[16:17], s[88:89], s[12:13]
	s_waitcnt lgkmcnt(0)
	s_barrier
	s_and_saveexec_b64 s[12:13], s[16:17]
	s_cbranch_execz .LBB37_609
; %bb.608:
	ds_read_b64 v[29:30], v26 offset:4096
	ds_read_b64 v[31:32], v28
	s_waitcnt lgkmcnt(0)
	v_fma_f64 v[10:11], -v[29:30], v[31:32], v[10:11]
.LBB37_609:
	s_or_b64 exec, exec, s[12:13]
	v_cmp_eq_u32_e64 s[12:13], 7, v27
	s_and_b64 s[16:17], s[88:89], s[12:13]
	s_barrier
	s_and_saveexec_b64 s[12:13], s[16:17]
; %bb.610:
	v_xor_b32_e32 v30, 0x80000000, v11
	v_mov_b32_e32 v29, v10
	ds_write_b64 v28, v[29:30]
; %bb.611:
	s_or_b64 exec, exec, s[12:13]
	v_cmp_gt_u32_e64 s[12:13], 7, v27
	s_and_b64 s[16:17], s[88:89], s[12:13]
	s_waitcnt lgkmcnt(0)
	s_barrier
	s_and_saveexec_b64 s[12:13], s[16:17]
	s_cbranch_execz .LBB37_613
; %bb.612:
	ds_read_b64 v[29:30], v26 offset:3584
	ds_read_b64 v[31:32], v28
	s_waitcnt lgkmcnt(0)
	v_fma_f64 v[10:11], -v[29:30], v[31:32], v[10:11]
.LBB37_613:
	s_or_b64 exec, exec, s[12:13]
	v_cmp_eq_u32_e64 s[12:13], 6, v27
	s_and_b64 s[16:17], s[88:89], s[12:13]
	s_barrier
	s_and_saveexec_b64 s[12:13], s[16:17]
; %bb.614:
	v_xor_b32_e32 v30, 0x80000000, v11
	v_mov_b32_e32 v29, v10
	ds_write_b64 v28, v[29:30]
; %bb.615:
	s_or_b64 exec, exec, s[12:13]
	v_cmp_gt_u32_e64 s[12:13], 6, v27
	s_and_b64 s[16:17], s[88:89], s[12:13]
	s_waitcnt lgkmcnt(0)
	s_barrier
	s_and_saveexec_b64 s[12:13], s[16:17]
	s_cbranch_execz .LBB37_617
; %bb.616:
	ds_read_b64 v[29:30], v26 offset:3072
	ds_read_b64 v[31:32], v28
	s_waitcnt lgkmcnt(0)
	v_fma_f64 v[10:11], -v[29:30], v[31:32], v[10:11]
.LBB37_617:
	s_or_b64 exec, exec, s[12:13]
	v_cmp_eq_u32_e64 s[12:13], 5, v27
	s_and_b64 s[16:17], s[88:89], s[12:13]
	s_barrier
	s_and_saveexec_b64 s[12:13], s[16:17]
; %bb.618:
	v_xor_b32_e32 v30, 0x80000000, v11
	v_mov_b32_e32 v29, v10
	ds_write_b64 v28, v[29:30]
; %bb.619:
	s_or_b64 exec, exec, s[12:13]
	v_cmp_gt_u32_e64 s[12:13], 5, v27
	s_and_b64 s[16:17], s[88:89], s[12:13]
	s_waitcnt lgkmcnt(0)
	s_barrier
	s_and_saveexec_b64 s[12:13], s[16:17]
	s_cbranch_execz .LBB37_621
; %bb.620:
	ds_read_b64 v[29:30], v26 offset:2560
	ds_read_b64 v[31:32], v28
	s_waitcnt lgkmcnt(0)
	v_fma_f64 v[10:11], -v[29:30], v[31:32], v[10:11]
.LBB37_621:
	s_or_b64 exec, exec, s[12:13]
	v_cmp_eq_u32_e64 s[12:13], 4, v27
	s_and_b64 s[16:17], s[88:89], s[12:13]
	s_barrier
	s_and_saveexec_b64 s[12:13], s[16:17]
; %bb.622:
	v_xor_b32_e32 v30, 0x80000000, v11
	v_mov_b32_e32 v29, v10
	ds_write_b64 v28, v[29:30]
; %bb.623:
	s_or_b64 exec, exec, s[12:13]
	v_cmp_gt_u32_e64 s[12:13], 4, v27
	s_and_b64 s[16:17], s[88:89], s[12:13]
	s_waitcnt lgkmcnt(0)
	s_barrier
	s_and_saveexec_b64 s[12:13], s[16:17]
	s_cbranch_execz .LBB37_625
; %bb.624:
	ds_read_b64 v[29:30], v26 offset:2048
	ds_read_b64 v[31:32], v28
	s_waitcnt lgkmcnt(0)
	v_fma_f64 v[10:11], -v[29:30], v[31:32], v[10:11]
.LBB37_625:
	s_or_b64 exec, exec, s[12:13]
	v_cmp_eq_u32_e64 s[12:13], 3, v27
	s_and_b64 s[16:17], s[88:89], s[12:13]
	s_barrier
	s_and_saveexec_b64 s[12:13], s[16:17]
; %bb.626:
	v_xor_b32_e32 v30, 0x80000000, v11
	v_mov_b32_e32 v29, v10
	ds_write_b64 v28, v[29:30]
; %bb.627:
	s_or_b64 exec, exec, s[12:13]
	v_cmp_gt_u32_e64 s[12:13], 3, v27
	s_and_b64 s[16:17], s[88:89], s[12:13]
	s_waitcnt lgkmcnt(0)
	s_barrier
	s_and_saveexec_b64 s[12:13], s[16:17]
	s_cbranch_execz .LBB37_629
; %bb.628:
	ds_read_b64 v[29:30], v26 offset:1536
	ds_read_b64 v[31:32], v28
	s_waitcnt lgkmcnt(0)
	v_fma_f64 v[10:11], -v[29:30], v[31:32], v[10:11]
.LBB37_629:
	s_or_b64 exec, exec, s[12:13]
	v_cmp_eq_u32_e64 s[12:13], 2, v27
	s_and_b64 s[16:17], s[88:89], s[12:13]
	s_barrier
	s_and_saveexec_b64 s[12:13], s[16:17]
; %bb.630:
	v_xor_b32_e32 v30, 0x80000000, v11
	v_mov_b32_e32 v29, v10
	ds_write_b64 v28, v[29:30]
; %bb.631:
	s_or_b64 exec, exec, s[12:13]
	v_cmp_gt_u32_e64 s[12:13], 2, v27
	s_and_b64 s[16:17], s[88:89], s[12:13]
	s_waitcnt lgkmcnt(0)
	s_barrier
	s_and_saveexec_b64 s[12:13], s[16:17]
	s_cbranch_execz .LBB37_633
; %bb.632:
	ds_read_b64 v[29:30], v26 offset:1024
	ds_read_b64 v[31:32], v28
	s_waitcnt lgkmcnt(0)
	v_fma_f64 v[10:11], -v[29:30], v[31:32], v[10:11]
.LBB37_633:
	s_or_b64 exec, exec, s[12:13]
	v_cmp_eq_u32_e64 s[12:13], 1, v27
	s_and_b64 s[16:17], s[88:89], s[12:13]
	s_barrier
	s_and_saveexec_b64 s[12:13], s[16:17]
; %bb.634:
	v_xor_b32_e32 v30, 0x80000000, v11
	v_mov_b32_e32 v29, v10
	ds_write_b64 v28, v[29:30]
; %bb.635:
	s_or_b64 exec, exec, s[12:13]
	v_cmp_eq_u32_e64 s[12:13], 0, v27
	s_and_b64 s[12:13], s[88:89], s[12:13]
	s_waitcnt lgkmcnt(0)
	s_barrier
	s_and_saveexec_b64 s[16:17], s[12:13]
	s_cbranch_execz .LBB37_637
; %bb.636:
	ds_read_b64 v[29:30], v26 offset:512
	ds_read_b64 v[31:32], v28
	s_waitcnt lgkmcnt(0)
	v_fma_f64 v[10:11], -v[29:30], v[31:32], v[10:11]
.LBB37_637:
	s_or_b64 exec, exec, s[16:17]
	s_barrier
	s_and_saveexec_b64 s[16:17], s[12:13]
; %bb.638:
	v_xor_b32_e32 v30, 0x80000000, v11
	v_mov_b32_e32 v29, v10
	ds_write_b64 v28, v[29:30]
; %bb.639:
	s_or_b64 exec, exec, s[16:17]
	s_waitcnt lgkmcnt(0)
	s_barrier
	s_barrier
	s_and_saveexec_b64 s[12:13], s[10:11]
; %bb.640:
	v_lshl_or_b32 v25, v25, 9, v26
	ds_write_b64 v25, v[10:11] offset:16384
; %bb.641:
	s_or_b64 exec, exec, s[12:13]
	s_waitcnt lgkmcnt(0)
	s_barrier
	s_barrier
	s_and_saveexec_b64 s[10:11], vcc
	s_cbranch_execz .LBB37_643
; %bb.642:
	s_mov_b64 s[12:13], 1.0
	v_mov_b32_e32 v10, s12
	v_mov_b32_e32 v11, s13
	s_movk_i32 s12, 0x3800
	v_add_u32_e64 v25, s12, 0
	ds_write2_b64 v25, v[10:11], v[10:11] offset0:158 offset1:223
.LBB37_643:
	s_or_b64 exec, exec, s[10:11]
	v_mov_b32_e32 v10, 0
	v_mov_b32_e32 v11, 0
	s_waitcnt lgkmcnt(0)
	s_barrier
	buffer_wbinvl1_vol
	s_and_saveexec_b64 s[12:13], s[0:1]
	s_cbranch_execz .LBB37_647
; %bb.644:
	v_lshlrev_b32_e32 v25, 9, v13
	v_lshlrev_b32_e32 v10, 3, v12
	ds_read_b64 v[10:11], v10 offset:15584
	ds_read_b64 v[25:26], v25 offset:15600
	v_cmp_gt_u32_e64 s[10:11], 2, v15
	s_waitcnt lgkmcnt(0)
	v_fma_f64 v[10:11], v[10:11], v[25:26], 0
	s_and_saveexec_b64 s[16:17], s[10:11]
	s_cbranch_execz .LBB37_646
; %bb.645:
	v_lshlrev_b32_e32 v25, 3, v0
	v_mov_b32_e32 v27, 0
	ds_read_b64 v[25:26], v25 offset:16096
	ds_read_b64 v[27:28], v27 offset:16120
	s_waitcnt lgkmcnt(0)
	v_fma_f64 v[10:11], v[25:26], v[27:28], v[10:11]
.LBB37_646:
	s_or_b64 exec, exec, s[16:17]
.LBB37_647:
	s_or_b64 exec, exec, s[12:13]
	s_and_saveexec_b64 s[10:11], s[40:41]
; %bb.648:
	v_xor_b32_e32 v26, 0x80000000, v11
	v_mov_b32_e32 v25, v10
	ds_write_b64 v14, v[25:26]
; %bb.649:
	s_or_b64 exec, exec, s[10:11]
	s_waitcnt lgkmcnt(0)
	s_barrier
	s_and_saveexec_b64 s[10:11], s[38:39]
	s_cbranch_execz .LBB37_651
; %bb.650:
	v_mov_b32_e32 v25, 0
	ds_read_b64 v[25:26], v25 offset:15072
	ds_read_b64 v[27:28], v14
	s_waitcnt lgkmcnt(0)
	v_fma_f64 v[10:11], -v[25:26], v[27:28], v[10:11]
.LBB37_651:
	s_or_b64 exec, exec, s[10:11]
	s_barrier
	s_and_saveexec_b64 s[10:11], s[38:39]
; %bb.652:
	v_xor_b32_e32 v26, 0x80000000, v11
	v_mov_b32_e32 v25, v10
	ds_write_b64 v14, v[25:26]
; %bb.653:
	s_or_b64 exec, exec, s[10:11]
	s_waitcnt lgkmcnt(0)
	s_barrier
	s_barrier
	s_and_saveexec_b64 s[10:11], s[0:1]
; %bb.654:
	v_lshlrev_b32_e32 v25, 3, v12
	v_lshl_or_b32 v25, v13, 9, v25
	ds_write_b64 v25, v[10:11] offset:15584
; %bb.655:
	s_or_b64 exec, exec, s[10:11]
	s_waitcnt lgkmcnt(0)
	s_barrier
	s_barrier
	s_and_saveexec_b64 s[10:11], vcc
	s_cbranch_execz .LBB37_657
; %bb.656:
	s_mov_b64 s[12:13], 1.0
	v_mov_b32_e32 v10, s12
	v_mov_b32_e32 v11, s13
	s_movk_i32 s12, 0x3800
	v_add_u32_e64 v25, s12, 0
	ds_write2_b64 v25, v[10:11], v[10:11] offset0:28 offset1:93
.LBB37_657:
	s_or_b64 exec, exec, s[10:11]
	v_mov_b32_e32 v10, 0
	v_mov_b32_e32 v11, 0
	s_waitcnt lgkmcnt(0)
	s_barrier
	buffer_wbinvl1_vol
	s_and_saveexec_b64 s[12:13], s[2:3]
	s_cbranch_execz .LBB37_663
; %bb.658:
	v_lshlrev_b32_e32 v26, 3, v16
	v_lshlrev_b32_e32 v25, 9, v17
	ds_read_b64 v[10:11], v26 offset:14528
	ds_read_b64 v[27:28], v25 offset:14560
	v_cmp_gt_u32_e64 s[10:11], 12, v15
	s_waitcnt lgkmcnt(0)
	v_fma_f64 v[10:11], v[10:11], v[27:28], 0
	s_and_saveexec_b64 s[16:17], s[10:11]
	s_cbranch_execnz .LBB37_1134
; %bb.659:
	s_or_b64 exec, exec, s[16:17]
	v_cmp_gt_u32_e64 s[10:11], 8, v15
	s_and_saveexec_b64 s[16:17], s[10:11]
	s_cbranch_execnz .LBB37_1135
.LBB37_660:
	s_or_b64 exec, exec, s[16:17]
	v_cmp_gt_u32_e64 s[10:11], 4, v15
	s_and_saveexec_b64 s[16:17], s[10:11]
	s_cbranch_execz .LBB37_662
.LBB37_661:
	v_lshlrev_b32_e32 v25, 3, v0
	v_mov_b32_e32 v27, 0
	ds_read_b64 v[25:26], v25 offset:16064
	ds_read_b64 v[27:28], v27 offset:16120
	s_waitcnt lgkmcnt(0)
	v_fma_f64 v[10:11], v[25:26], v[27:28], v[10:11]
.LBB37_662:
	s_or_b64 exec, exec, s[16:17]
.LBB37_663:
	s_or_b64 exec, exec, s[12:13]
	s_and_saveexec_b64 s[10:11], s[44:45]
; %bb.664:
	v_xor_b32_e32 v26, 0x80000000, v11
	v_mov_b32_e32 v25, v10
	ds_write_b64 v18, v[25:26]
; %bb.665:
	s_or_b64 exec, exec, s[10:11]
	s_waitcnt lgkmcnt(0)
	s_barrier
	s_and_saveexec_b64 s[10:11], s[46:47]
	s_cbranch_execz .LBB37_667
; %bb.666:
	v_lshlrev_b32_e32 v25, 3, v16
	ds_read_b64 v[25:26], v25 offset:14016
	ds_read_b64 v[27:28], v18
	s_waitcnt lgkmcnt(0)
	v_fma_f64 v[10:11], -v[25:26], v[27:28], v[10:11]
.LBB37_667:
	s_or_b64 exec, exec, s[10:11]
	s_barrier
	s_and_saveexec_b64 s[10:11], s[48:49]
; %bb.668:
	v_xor_b32_e32 v26, 0x80000000, v11
	v_mov_b32_e32 v25, v10
	ds_write_b64 v18, v[25:26]
; %bb.669:
	s_or_b64 exec, exec, s[10:11]
	s_waitcnt lgkmcnt(0)
	s_barrier
	s_and_saveexec_b64 s[10:11], s[50:51]
	s_cbranch_execz .LBB37_671
; %bb.670:
	v_lshlrev_b32_e32 v25, 3, v16
	ds_read_b64 v[25:26], v25 offset:13504
	ds_read_b64 v[27:28], v18
	s_waitcnt lgkmcnt(0)
	v_fma_f64 v[10:11], -v[25:26], v[27:28], v[10:11]
.LBB37_671:
	s_or_b64 exec, exec, s[10:11]
	s_barrier
	s_and_saveexec_b64 s[10:11], s[52:53]
; %bb.672:
	v_xor_b32_e32 v26, 0x80000000, v11
	v_mov_b32_e32 v25, v10
	ds_write_b64 v18, v[25:26]
; %bb.673:
	s_or_b64 exec, exec, s[10:11]
	s_waitcnt lgkmcnt(0)
	s_barrier
	s_and_saveexec_b64 s[10:11], s[42:43]
	s_cbranch_execz .LBB37_675
; %bb.674:
	v_mov_b32_e32 v25, 0
	ds_read_b64 v[25:26], v25 offset:12992
	ds_read_b64 v[27:28], v18
	s_waitcnt lgkmcnt(0)
	v_fma_f64 v[10:11], -v[25:26], v[27:28], v[10:11]
.LBB37_675:
	s_or_b64 exec, exec, s[10:11]
	s_barrier
	s_and_saveexec_b64 s[10:11], s[42:43]
; %bb.676:
	v_xor_b32_e32 v26, 0x80000000, v11
	v_mov_b32_e32 v25, v10
	ds_write_b64 v18, v[25:26]
; %bb.677:
	s_or_b64 exec, exec, s[10:11]
	s_waitcnt lgkmcnt(0)
	s_barrier
	s_barrier
	s_and_saveexec_b64 s[10:11], s[2:3]
; %bb.678:
	v_lshlrev_b32_e32 v25, 3, v16
	v_lshl_or_b32 v25, v17, 9, v25
	ds_write_b64 v25, v[10:11] offset:14528
; %bb.679:
	s_or_b64 exec, exec, s[10:11]
	s_waitcnt lgkmcnt(0)
	s_barrier
	s_barrier
	s_and_saveexec_b64 s[10:11], vcc
	s_cbranch_execz .LBB37_681
; %bb.680:
	s_mov_b64 s[12:13], 1.0
	v_mov_b32_e32 v10, s12
	v_mov_b32_e32 v11, s13
	s_movk_i32 s12, 0x3000
	v_add_u32_e64 v25, s12, 0
	ds_write2_b64 v25, v[10:11], v[10:11] offset0:154 offset1:219
.LBB37_681:
	s_or_b64 exec, exec, s[10:11]
	v_mov_b32_e32 v10, 0
	v_mov_b32_e32 v11, 0
	s_waitcnt lgkmcnt(0)
	s_barrier
	buffer_wbinvl1_vol
	s_and_saveexec_b64 s[12:13], s[0:1]
	s_cbranch_execz .LBB37_685
; %bb.682:
	v_lshlrev_b32_e32 v25, 9, v13
	v_lshlrev_b32_e32 v10, 3, v12
	ds_read_b64 v[10:11], v10 offset:13504
	ds_read_b64 v[25:26], v25 offset:13520
	v_cmp_gt_u32_e64 s[10:11], 2, v15
	s_waitcnt lgkmcnt(0)
	v_fma_f64 v[10:11], v[10:11], v[25:26], 0
	s_and_saveexec_b64 s[16:17], s[10:11]
	s_cbranch_execz .LBB37_684
; %bb.683:
	v_lshlrev_b32_e32 v25, 3, v0
	v_mov_b32_e32 v27, 0
	ds_read_b64 v[25:26], v25 offset:14016
	ds_read_b64 v[27:28], v27 offset:14040
	s_waitcnt lgkmcnt(0)
	v_fma_f64 v[10:11], v[25:26], v[27:28], v[10:11]
.LBB37_684:
	s_or_b64 exec, exec, s[16:17]
.LBB37_685:
	s_or_b64 exec, exec, s[12:13]
	s_and_saveexec_b64 s[10:11], s[40:41]
; %bb.686:
	v_xor_b32_e32 v26, 0x80000000, v11
	v_mov_b32_e32 v25, v10
	ds_write_b64 v14, v[25:26]
; %bb.687:
	s_or_b64 exec, exec, s[10:11]
	s_waitcnt lgkmcnt(0)
	s_barrier
	s_and_saveexec_b64 s[10:11], s[38:39]
	s_cbranch_execz .LBB37_689
; %bb.688:
	v_mov_b32_e32 v25, 0
	ds_read_b64 v[25:26], v25 offset:12992
	ds_read_b64 v[27:28], v14
	s_waitcnt lgkmcnt(0)
	v_fma_f64 v[10:11], -v[25:26], v[27:28], v[10:11]
.LBB37_689:
	s_or_b64 exec, exec, s[10:11]
	s_barrier
	s_and_saveexec_b64 s[10:11], s[38:39]
; %bb.690:
	v_xor_b32_e32 v26, 0x80000000, v11
	v_mov_b32_e32 v25, v10
	ds_write_b64 v14, v[25:26]
; %bb.691:
	s_or_b64 exec, exec, s[10:11]
	s_waitcnt lgkmcnt(0)
	s_barrier
	s_barrier
	s_and_saveexec_b64 s[10:11], s[0:1]
; %bb.692:
	v_lshlrev_b32_e32 v25, 3, v12
	v_lshl_or_b32 v25, v13, 9, v25
	ds_write_b64 v25, v[10:11] offset:13504
; %bb.693:
	s_or_b64 exec, exec, s[10:11]
	s_waitcnt lgkmcnt(0)
	s_barrier
	s_barrier
	s_and_saveexec_b64 s[10:11], vcc
	s_cbranch_execz .LBB37_695
; %bb.694:
	s_mov_b64 s[12:13], 1.0
	v_mov_b32_e32 v10, s12
	v_mov_b32_e32 v11, s13
	s_movk_i32 s12, 0x3000
	v_add_u32_e64 v25, s12, 0
	ds_write2_b64 v25, v[10:11], v[10:11] offset0:24 offset1:89
.LBB37_695:
	s_or_b64 exec, exec, s[10:11]
	v_mov_b32_e32 v10, 0
	v_mov_b32_e32 v11, 0
	s_waitcnt lgkmcnt(0)
	s_barrier
	buffer_wbinvl1_vol
	s_and_saveexec_b64 s[12:13], s[14:15]
	s_cbranch_execz .LBB37_705
; %bb.696:
	v_lshlrev_b32_e32 v26, 3, v19
	v_lshlrev_b32_e32 v25, 9, v20
	ds_read_b64 v[10:11], v26 offset:12416
	ds_read_b64 v[27:28], v25 offset:12480
	v_cmp_gt_u32_e64 s[10:11], 56, v15
	s_waitcnt lgkmcnt(0)
	v_fma_f64 v[10:11], v[10:11], v[27:28], 0
	s_and_saveexec_b64 s[16:17], s[10:11]
	s_cbranch_execnz .LBB37_1136
; %bb.697:
	s_or_b64 exec, exec, s[16:17]
	v_cmp_gt_u32_e64 s[10:11], 48, v15
	s_and_saveexec_b64 s[16:17], s[10:11]
	s_cbranch_execnz .LBB37_1137
.LBB37_698:
	s_or_b64 exec, exec, s[16:17]
	v_cmp_gt_u32_e64 s[10:11], 40, v15
	s_and_saveexec_b64 s[16:17], s[10:11]
	s_cbranch_execnz .LBB37_1138
.LBB37_699:
	s_or_b64 exec, exec, s[16:17]
	v_cmp_gt_u32_e64 s[10:11], 32, v15
	s_and_saveexec_b64 s[16:17], s[10:11]
	s_cbranch_execnz .LBB37_1139
.LBB37_700:
	s_or_b64 exec, exec, s[16:17]
	v_cmp_gt_u32_e64 s[10:11], 24, v15
	s_and_saveexec_b64 s[16:17], s[10:11]
	s_cbranch_execnz .LBB37_1140
.LBB37_701:
	s_or_b64 exec, exec, s[16:17]
	s_and_saveexec_b64 s[10:11], s[2:3]
	s_cbranch_execnz .LBB37_1141
.LBB37_702:
	s_or_b64 exec, exec, s[10:11]
	v_cmp_gt_u32_e64 s[10:11], 8, v15
	s_and_saveexec_b64 s[16:17], s[10:11]
	s_cbranch_execz .LBB37_704
.LBB37_703:
	v_lshlrev_b32_e32 v25, 3, v0
	v_mov_b32_e32 v27, 0
	ds_read_b64 v[25:26], v25 offset:16000
	ds_read_b64 v[27:28], v27 offset:16120
	s_waitcnt lgkmcnt(0)
	v_fma_f64 v[10:11], v[25:26], v[27:28], v[10:11]
.LBB37_704:
	s_or_b64 exec, exec, s[16:17]
.LBB37_705:
	s_or_b64 exec, exec, s[12:13]
	s_and_saveexec_b64 s[10:11], s[54:55]
; %bb.706:
	v_xor_b32_e32 v26, 0x80000000, v11
	v_mov_b32_e32 v25, v10
	ds_write_b64 v21, v[25:26]
; %bb.707:
	s_or_b64 exec, exec, s[10:11]
	s_waitcnt lgkmcnt(0)
	s_barrier
	s_and_saveexec_b64 s[10:11], s[56:57]
	s_cbranch_execz .LBB37_709
; %bb.708:
	v_lshlrev_b32_e32 v25, 3, v19
	ds_read_b64 v[25:26], v25 offset:11904
	ds_read_b64 v[27:28], v21
	s_waitcnt lgkmcnt(0)
	v_fma_f64 v[10:11], -v[25:26], v[27:28], v[10:11]
.LBB37_709:
	s_or_b64 exec, exec, s[10:11]
	s_barrier
	s_and_saveexec_b64 s[10:11], s[58:59]
; %bb.710:
	v_xor_b32_e32 v26, 0x80000000, v11
	v_mov_b32_e32 v25, v10
	ds_write_b64 v21, v[25:26]
; %bb.711:
	s_or_b64 exec, exec, s[10:11]
	s_waitcnt lgkmcnt(0)
	s_barrier
	s_and_saveexec_b64 s[10:11], s[60:61]
	s_cbranch_execz .LBB37_713
; %bb.712:
	v_lshlrev_b32_e32 v25, 3, v19
	ds_read_b64 v[25:26], v25 offset:11392
	ds_read_b64 v[27:28], v21
	s_waitcnt lgkmcnt(0)
	v_fma_f64 v[10:11], -v[25:26], v[27:28], v[10:11]
.LBB37_713:
	s_or_b64 exec, exec, s[10:11]
	s_barrier
	;; [unrolled: 20-line block ×6, first 2 shown]
	s_and_saveexec_b64 s[10:11], s[80:81]
; %bb.730:
	v_xor_b32_e32 v26, 0x80000000, v11
	v_mov_b32_e32 v25, v10
	ds_write_b64 v21, v[25:26]
; %bb.731:
	s_or_b64 exec, exec, s[10:11]
	s_waitcnt lgkmcnt(0)
	s_barrier
	s_and_saveexec_b64 s[10:11], s[64:65]
	s_cbranch_execz .LBB37_733
; %bb.732:
	v_mov_b32_e32 v25, 0
	ds_read_b64 v[25:26], v25 offset:8832
	ds_read_b64 v[27:28], v21
	s_waitcnt lgkmcnt(0)
	v_fma_f64 v[10:11], -v[25:26], v[27:28], v[10:11]
.LBB37_733:
	s_or_b64 exec, exec, s[10:11]
	s_barrier
	s_and_saveexec_b64 s[10:11], s[64:65]
; %bb.734:
	v_xor_b32_e32 v26, 0x80000000, v11
	v_mov_b32_e32 v25, v10
	ds_write_b64 v21, v[25:26]
; %bb.735:
	s_or_b64 exec, exec, s[10:11]
	s_waitcnt lgkmcnt(0)
	s_barrier
	s_barrier
	s_and_saveexec_b64 s[10:11], s[14:15]
; %bb.736:
	v_lshlrev_b32_e32 v25, 3, v19
	v_lshl_or_b32 v25, v20, 9, v25
	ds_write_b64 v25, v[10:11] offset:12416
; %bb.737:
	s_or_b64 exec, exec, s[10:11]
	s_waitcnt lgkmcnt(0)
	s_barrier
	s_barrier
	s_and_saveexec_b64 s[10:11], vcc
	s_cbranch_execz .LBB37_739
; %bb.738:
	s_mov_b64 s[12:13], 1.0
	v_mov_b32_e32 v10, s12
	v_mov_b32_e32 v11, s13
	s_movk_i32 s12, 0x2800
	v_add_u32_e64 v25, s12, 0
	ds_write2_b64 v25, v[10:11], v[10:11] offset0:150 offset1:215
.LBB37_739:
	s_or_b64 exec, exec, s[10:11]
	v_mov_b32_e32 v10, 0
	v_mov_b32_e32 v11, 0
	s_waitcnt lgkmcnt(0)
	s_barrier
	buffer_wbinvl1_vol
	s_and_saveexec_b64 s[12:13], s[0:1]
	s_cbranch_execz .LBB37_743
; %bb.740:
	v_lshlrev_b32_e32 v25, 9, v13
	v_lshlrev_b32_e32 v10, 3, v12
	ds_read_b64 v[10:11], v10 offset:11424
	ds_read_b64 v[25:26], v25 offset:11440
	v_cmp_gt_u32_e64 s[10:11], 2, v15
	s_waitcnt lgkmcnt(0)
	v_fma_f64 v[10:11], v[10:11], v[25:26], 0
	s_and_saveexec_b64 s[16:17], s[10:11]
	s_cbranch_execz .LBB37_742
; %bb.741:
	v_lshlrev_b32_e32 v25, 3, v0
	v_mov_b32_e32 v27, 0
	ds_read_b64 v[25:26], v25 offset:11936
	ds_read_b64 v[27:28], v27 offset:11960
	s_waitcnt lgkmcnt(0)
	v_fma_f64 v[10:11], v[25:26], v[27:28], v[10:11]
.LBB37_742:
	s_or_b64 exec, exec, s[16:17]
.LBB37_743:
	s_or_b64 exec, exec, s[12:13]
	s_and_saveexec_b64 s[10:11], s[40:41]
; %bb.744:
	v_xor_b32_e32 v26, 0x80000000, v11
	v_mov_b32_e32 v25, v10
	ds_write_b64 v14, v[25:26]
; %bb.745:
	s_or_b64 exec, exec, s[10:11]
	s_waitcnt lgkmcnt(0)
	s_barrier
	s_and_saveexec_b64 s[10:11], s[38:39]
	s_cbranch_execz .LBB37_747
; %bb.746:
	v_mov_b32_e32 v25, 0
	ds_read_b64 v[25:26], v25 offset:10912
	ds_read_b64 v[27:28], v14
	s_waitcnt lgkmcnt(0)
	v_fma_f64 v[10:11], -v[25:26], v[27:28], v[10:11]
.LBB37_747:
	s_or_b64 exec, exec, s[10:11]
	s_barrier
	s_and_saveexec_b64 s[10:11], s[38:39]
; %bb.748:
	v_xor_b32_e32 v26, 0x80000000, v11
	v_mov_b32_e32 v25, v10
	ds_write_b64 v14, v[25:26]
; %bb.749:
	s_or_b64 exec, exec, s[10:11]
	s_waitcnt lgkmcnt(0)
	s_barrier
	s_barrier
	s_and_saveexec_b64 s[10:11], s[0:1]
; %bb.750:
	v_lshlrev_b32_e32 v25, 3, v12
	v_lshl_or_b32 v25, v13, 9, v25
	ds_write_b64 v25, v[10:11] offset:11424
; %bb.751:
	s_or_b64 exec, exec, s[10:11]
	s_waitcnt lgkmcnt(0)
	s_barrier
	s_barrier
	s_and_saveexec_b64 s[10:11], vcc
	s_cbranch_execz .LBB37_753
; %bb.752:
	s_mov_b64 s[12:13], 1.0
	v_mov_b32_e32 v10, s12
	v_mov_b32_e32 v11, s13
	s_movk_i32 s12, 0x2800
	v_add_u32_e64 v25, s12, 0
	ds_write2_b64 v25, v[10:11], v[10:11] offset0:20 offset1:85
.LBB37_753:
	s_or_b64 exec, exec, s[10:11]
	v_mov_b32_e32 v10, 0
	v_mov_b32_e32 v11, 0
	s_waitcnt lgkmcnt(0)
	s_barrier
	buffer_wbinvl1_vol
	s_and_saveexec_b64 s[12:13], s[2:3]
	s_cbranch_execz .LBB37_759
; %bb.754:
	v_lshlrev_b32_e32 v26, 3, v16
	v_lshlrev_b32_e32 v25, 9, v17
	ds_read_b64 v[10:11], v26 offset:10368
	ds_read_b64 v[27:28], v25 offset:10400
	v_cmp_gt_u32_e64 s[10:11], 12, v15
	s_waitcnt lgkmcnt(0)
	v_fma_f64 v[10:11], v[10:11], v[27:28], 0
	s_and_saveexec_b64 s[16:17], s[10:11]
	s_cbranch_execnz .LBB37_1142
; %bb.755:
	s_or_b64 exec, exec, s[16:17]
	v_cmp_gt_u32_e64 s[10:11], 8, v15
	s_and_saveexec_b64 s[16:17], s[10:11]
	s_cbranch_execnz .LBB37_1143
.LBB37_756:
	s_or_b64 exec, exec, s[16:17]
	v_cmp_gt_u32_e64 s[10:11], 4, v15
	s_and_saveexec_b64 s[16:17], s[10:11]
	s_cbranch_execz .LBB37_758
.LBB37_757:
	v_lshlrev_b32_e32 v25, 3, v0
	v_mov_b32_e32 v27, 0
	ds_read_b64 v[25:26], v25 offset:11904
	ds_read_b64 v[27:28], v27 offset:11960
	s_waitcnt lgkmcnt(0)
	v_fma_f64 v[10:11], v[25:26], v[27:28], v[10:11]
.LBB37_758:
	s_or_b64 exec, exec, s[16:17]
.LBB37_759:
	s_or_b64 exec, exec, s[12:13]
	s_and_saveexec_b64 s[10:11], s[44:45]
; %bb.760:
	v_xor_b32_e32 v26, 0x80000000, v11
	v_mov_b32_e32 v25, v10
	ds_write_b64 v18, v[25:26]
; %bb.761:
	s_or_b64 exec, exec, s[10:11]
	s_waitcnt lgkmcnt(0)
	s_barrier
	s_and_saveexec_b64 s[10:11], s[46:47]
	s_cbranch_execz .LBB37_763
; %bb.762:
	v_lshlrev_b32_e32 v25, 3, v16
	ds_read_b64 v[25:26], v25 offset:9856
	ds_read_b64 v[27:28], v18
	s_waitcnt lgkmcnt(0)
	v_fma_f64 v[10:11], -v[25:26], v[27:28], v[10:11]
.LBB37_763:
	s_or_b64 exec, exec, s[10:11]
	s_barrier
	s_and_saveexec_b64 s[10:11], s[48:49]
; %bb.764:
	v_xor_b32_e32 v26, 0x80000000, v11
	v_mov_b32_e32 v25, v10
	ds_write_b64 v18, v[25:26]
; %bb.765:
	s_or_b64 exec, exec, s[10:11]
	s_waitcnt lgkmcnt(0)
	s_barrier
	s_and_saveexec_b64 s[10:11], s[50:51]
	s_cbranch_execz .LBB37_767
; %bb.766:
	v_lshlrev_b32_e32 v25, 3, v16
	ds_read_b64 v[25:26], v25 offset:9344
	ds_read_b64 v[27:28], v18
	s_waitcnt lgkmcnt(0)
	v_fma_f64 v[10:11], -v[25:26], v[27:28], v[10:11]
.LBB37_767:
	s_or_b64 exec, exec, s[10:11]
	s_barrier
	s_and_saveexec_b64 s[10:11], s[52:53]
; %bb.768:
	v_xor_b32_e32 v26, 0x80000000, v11
	v_mov_b32_e32 v25, v10
	ds_write_b64 v18, v[25:26]
; %bb.769:
	s_or_b64 exec, exec, s[10:11]
	s_waitcnt lgkmcnt(0)
	s_barrier
	s_and_saveexec_b64 s[10:11], s[42:43]
	s_cbranch_execz .LBB37_771
; %bb.770:
	v_mov_b32_e32 v25, 0
	ds_read_b64 v[25:26], v25 offset:8832
	ds_read_b64 v[27:28], v18
	s_waitcnt lgkmcnt(0)
	v_fma_f64 v[10:11], -v[25:26], v[27:28], v[10:11]
.LBB37_771:
	s_or_b64 exec, exec, s[10:11]
	s_barrier
	s_and_saveexec_b64 s[10:11], s[42:43]
; %bb.772:
	v_xor_b32_e32 v26, 0x80000000, v11
	v_mov_b32_e32 v25, v10
	ds_write_b64 v18, v[25:26]
; %bb.773:
	s_or_b64 exec, exec, s[10:11]
	s_waitcnt lgkmcnt(0)
	s_barrier
	s_barrier
	s_and_saveexec_b64 s[10:11], s[2:3]
; %bb.774:
	v_lshlrev_b32_e32 v25, 3, v16
	v_lshl_or_b32 v25, v17, 9, v25
	ds_write_b64 v25, v[10:11] offset:10368
; %bb.775:
	s_or_b64 exec, exec, s[10:11]
	s_waitcnt lgkmcnt(0)
	s_barrier
	s_barrier
	s_and_saveexec_b64 s[10:11], vcc
	s_cbranch_execz .LBB37_777
; %bb.776:
	s_mov_b64 s[12:13], 1.0
	v_mov_b32_e32 v10, s12
	v_mov_b32_e32 v11, s13
	s_movk_i32 s12, 0x2000
	v_add_u32_e64 v25, s12, 0
	ds_write2_b64 v25, v[10:11], v[10:11] offset0:146 offset1:211
.LBB37_777:
	s_or_b64 exec, exec, s[10:11]
	v_mov_b32_e32 v10, 0
	v_mov_b32_e32 v11, 0
	s_waitcnt lgkmcnt(0)
	s_barrier
	buffer_wbinvl1_vol
	s_and_saveexec_b64 s[12:13], s[0:1]
	s_cbranch_execz .LBB37_781
; %bb.778:
	v_lshlrev_b32_e32 v25, 9, v13
	v_lshlrev_b32_e32 v10, 3, v12
	ds_read_b64 v[10:11], v10 offset:9344
	ds_read_b64 v[25:26], v25 offset:9360
	v_cmp_gt_u32_e64 s[10:11], 2, v15
	s_waitcnt lgkmcnt(0)
	v_fma_f64 v[10:11], v[10:11], v[25:26], 0
	s_and_saveexec_b64 s[16:17], s[10:11]
	s_cbranch_execz .LBB37_780
; %bb.779:
	v_lshlrev_b32_e32 v25, 3, v0
	v_mov_b32_e32 v27, 0
	ds_read_b64 v[25:26], v25 offset:9856
	ds_read_b64 v[27:28], v27 offset:9880
	s_waitcnt lgkmcnt(0)
	v_fma_f64 v[10:11], v[25:26], v[27:28], v[10:11]
.LBB37_780:
	s_or_b64 exec, exec, s[16:17]
.LBB37_781:
	s_or_b64 exec, exec, s[12:13]
	s_and_saveexec_b64 s[10:11], s[40:41]
; %bb.782:
	v_xor_b32_e32 v26, 0x80000000, v11
	v_mov_b32_e32 v25, v10
	ds_write_b64 v14, v[25:26]
; %bb.783:
	s_or_b64 exec, exec, s[10:11]
	s_waitcnt lgkmcnt(0)
	s_barrier
	s_and_saveexec_b64 s[10:11], s[38:39]
	s_cbranch_execz .LBB37_785
; %bb.784:
	v_mov_b32_e32 v25, 0
	ds_read_b64 v[25:26], v25 offset:8832
	ds_read_b64 v[27:28], v14
	s_waitcnt lgkmcnt(0)
	v_fma_f64 v[10:11], -v[25:26], v[27:28], v[10:11]
.LBB37_785:
	s_or_b64 exec, exec, s[10:11]
	s_barrier
	s_and_saveexec_b64 s[10:11], s[38:39]
; %bb.786:
	v_xor_b32_e32 v26, 0x80000000, v11
	v_mov_b32_e32 v25, v10
	ds_write_b64 v14, v[25:26]
; %bb.787:
	s_or_b64 exec, exec, s[10:11]
	s_waitcnt lgkmcnt(0)
	s_barrier
	s_barrier
	s_and_saveexec_b64 s[10:11], s[0:1]
; %bb.788:
	v_lshlrev_b32_e32 v25, 3, v12
	v_lshl_or_b32 v25, v13, 9, v25
	ds_write_b64 v25, v[10:11] offset:9344
; %bb.789:
	s_or_b64 exec, exec, s[10:11]
	s_waitcnt lgkmcnt(0)
	s_barrier
	s_barrier
	s_and_saveexec_b64 s[10:11], vcc
	s_cbranch_execz .LBB37_791
; %bb.790:
	s_mov_b64 s[12:13], 1.0
	v_mov_b32_e32 v10, s12
	v_mov_b32_e32 v11, s13
	s_movk_i32 s12, 0x2000
	v_add_u32_e64 v25, s12, 0
	ds_write2_b64 v25, v[10:11], v[10:11] offset0:16 offset1:81
.LBB37_791:
	s_or_b64 exec, exec, s[10:11]
	v_mov_b32_e32 v10, 0
	v_mov_b32_e32 v11, 0
	s_waitcnt lgkmcnt(0)
	s_barrier
	buffer_wbinvl1_vol
	s_and_saveexec_b64 s[12:13], s[8:9]
	s_cbranch_execz .LBB37_819
; %bb.792:
	v_lshlrev_b32_e32 v26, 3, v22
	v_lshlrev_b32_e32 v25, 9, v23
	ds_read_b64 v[10:11], v26 offset:8192
	ds_read_b64 v[27:28], v25 offset:8320
	s_movk_i32 s10, 0xf0
	v_cmp_gt_u32_e64 s[10:11], s10, v15
	s_waitcnt lgkmcnt(0)
	v_fma_f64 v[10:11], v[10:11], v[27:28], 0
	s_and_saveexec_b64 s[16:17], s[10:11]
	s_cbranch_execz .LBB37_794
; %bb.793:
	ds_read_b64 v[27:28], v26 offset:8704
	ds_read_b64 v[29:30], v25 offset:8328
	s_waitcnt lgkmcnt(0)
	v_fma_f64 v[10:11], v[27:28], v[29:30], v[10:11]
.LBB37_794:
	s_or_b64 exec, exec, s[16:17]
	s_movk_i32 s10, 0xe0
	v_cmp_gt_u32_e64 s[10:11], s10, v15
	s_and_saveexec_b64 s[16:17], s[10:11]
	s_cbranch_execz .LBB37_796
; %bb.795:
	ds_read_b64 v[27:28], v26 offset:9216
	ds_read_b64 v[29:30], v25 offset:8336
	s_waitcnt lgkmcnt(0)
	v_fma_f64 v[10:11], v[27:28], v[29:30], v[10:11]
.LBB37_796:
	s_or_b64 exec, exec, s[16:17]
	s_movk_i32 s10, 0xd0
	v_cmp_gt_u32_e64 s[10:11], s10, v15
	;; [unrolled: 11-line block ×10, first 2 shown]
	s_and_saveexec_b64 s[16:17], s[10:11]
	s_cbranch_execnz .LBB37_1144
; %bb.813:
	s_or_b64 exec, exec, s[16:17]
	s_and_saveexec_b64 s[10:11], s[14:15]
	s_cbranch_execnz .LBB37_1145
.LBB37_814:
	s_or_b64 exec, exec, s[10:11]
	v_cmp_gt_u32_e64 s[10:11], 48, v15
	s_and_saveexec_b64 s[16:17], s[10:11]
	s_cbranch_execnz .LBB37_1146
.LBB37_815:
	s_or_b64 exec, exec, s[16:17]
	v_cmp_gt_u32_e64 s[10:11], 32, v15
	s_and_saveexec_b64 s[16:17], s[10:11]
	s_cbranch_execnz .LBB37_1147
.LBB37_816:
	s_or_b64 exec, exec, s[16:17]
	v_cmp_gt_u32_e64 s[10:11], 16, v15
	s_and_saveexec_b64 s[16:17], s[10:11]
	s_cbranch_execz .LBB37_818
.LBB37_817:
	v_lshlrev_b32_e32 v25, 3, v0
	v_mov_b32_e32 v27, 0
	ds_read_b64 v[25:26], v25 offset:15872
	ds_read_b64 v[27:28], v27 offset:16120
	s_waitcnt lgkmcnt(0)
	v_fma_f64 v[10:11], v[25:26], v[27:28], v[10:11]
.LBB37_818:
	s_or_b64 exec, exec, s[16:17]
.LBB37_819:
	s_or_b64 exec, exec, s[12:13]
	s_mov_b64 s[10:11], exec
	v_readlane_b32 s12, v34, 0
	v_readlane_b32 s13, v34, 1
	s_and_b64 s[12:13], s[10:11], s[12:13]
	s_mov_b64 exec, s[12:13]
; %bb.820:
	v_xor_b32_e32 v26, 0x80000000, v11
	v_mov_b32_e32 v25, v10
	ds_write_b64 v24, v[25:26]
; %bb.821:
	s_or_b64 exec, exec, s[10:11]
	s_waitcnt lgkmcnt(0)
	s_barrier
	s_mov_b64 s[10:11], exec
	v_readlane_b32 s12, v34, 2
	v_readlane_b32 s13, v34, 3
	s_and_b64 s[12:13], s[10:11], s[12:13]
	s_mov_b64 exec, s[12:13]
	s_cbranch_execz .LBB37_823
; %bb.822:
	v_lshlrev_b32_e32 v25, 3, v22
	ds_read_b64 v[25:26], v25 offset:7680
	ds_read_b64 v[27:28], v24
	s_waitcnt lgkmcnt(0)
	v_fma_f64 v[10:11], -v[25:26], v[27:28], v[10:11]
.LBB37_823:
	s_or_b64 exec, exec, s[10:11]
	s_barrier
	s_mov_b64 s[10:11], exec
	v_readlane_b32 s12, v34, 4
	v_readlane_b32 s13, v34, 5
	s_and_b64 s[12:13], s[10:11], s[12:13]
	s_mov_b64 exec, s[12:13]
; %bb.824:
	v_xor_b32_e32 v26, 0x80000000, v11
	v_mov_b32_e32 v25, v10
	ds_write_b64 v24, v[25:26]
; %bb.825:
	s_or_b64 exec, exec, s[10:11]
	s_waitcnt lgkmcnt(0)
	s_barrier
	s_mov_b64 s[10:11], exec
	v_readlane_b32 s12, v34, 6
	v_readlane_b32 s13, v34, 7
	s_and_b64 s[12:13], s[10:11], s[12:13]
	s_mov_b64 exec, s[12:13]
	s_cbranch_execz .LBB37_827
; %bb.826:
	v_lshlrev_b32_e32 v25, 3, v22
	ds_read_b64 v[25:26], v25 offset:7168
	ds_read_b64 v[27:28], v24
	s_waitcnt lgkmcnt(0)
	v_fma_f64 v[10:11], -v[25:26], v[27:28], v[10:11]
.LBB37_827:
	s_or_b64 exec, exec, s[10:11]
	s_barrier
	;; [unrolled: 28-line block ×13, first 2 shown]
	s_mov_b64 s[10:11], exec
	v_readlane_b32 s12, v34, 52
	v_readlane_b32 s13, v34, 53
	s_and_b64 s[12:13], s[10:11], s[12:13]
	s_mov_b64 exec, s[12:13]
; %bb.872:
	v_xor_b32_e32 v26, 0x80000000, v11
	v_mov_b32_e32 v25, v10
	ds_write_b64 v24, v[25:26]
; %bb.873:
	s_or_b64 exec, exec, s[10:11]
	s_waitcnt lgkmcnt(0)
	s_barrier
	s_and_saveexec_b64 s[10:11], s[84:85]
	s_cbranch_execz .LBB37_875
; %bb.874:
	v_lshlrev_b32_e32 v25, 3, v22
	ds_read_b64 v[25:26], v25 offset:1024
	ds_read_b64 v[27:28], v24
	s_waitcnt lgkmcnt(0)
	v_fma_f64 v[10:11], -v[25:26], v[27:28], v[10:11]
.LBB37_875:
	s_or_b64 exec, exec, s[10:11]
	s_barrier
	s_and_saveexec_b64 s[10:11], s[86:87]
; %bb.876:
	v_xor_b32_e32 v26, 0x80000000, v11
	v_mov_b32_e32 v25, v10
	ds_write_b64 v24, v[25:26]
; %bb.877:
	s_or_b64 exec, exec, s[10:11]
	s_waitcnt lgkmcnt(0)
	s_barrier
	s_and_saveexec_b64 s[10:11], s[82:83]
	s_cbranch_execz .LBB37_879
; %bb.878:
	v_mov_b32_e32 v25, 0
	ds_read_b64 v[25:26], v25 offset:512
	ds_read_b64 v[27:28], v24
	s_waitcnt lgkmcnt(0)
	v_fma_f64 v[10:11], -v[25:26], v[27:28], v[10:11]
.LBB37_879:
	s_or_b64 exec, exec, s[10:11]
	s_barrier
	s_and_saveexec_b64 s[10:11], s[82:83]
; %bb.880:
	v_xor_b32_e32 v26, 0x80000000, v11
	v_mov_b32_e32 v25, v10
	ds_write_b64 v24, v[25:26]
; %bb.881:
	s_or_b64 exec, exec, s[10:11]
	s_waitcnt lgkmcnt(0)
	s_barrier
	s_barrier
	s_and_saveexec_b64 s[10:11], s[8:9]
; %bb.882:
	v_lshlrev_b32_e32 v22, 3, v22
	v_lshl_or_b32 v22, v23, 9, v22
	ds_write_b64 v22, v[10:11] offset:8192
; %bb.883:
	s_or_b64 exec, exec, s[10:11]
	s_waitcnt lgkmcnt(0)
	s_barrier
	s_barrier
	s_and_saveexec_b64 s[8:9], vcc
	s_cbranch_execz .LBB37_885
; %bb.884:
	s_mov_b64 s[10:11], 1.0
	v_mov_b32_e32 v10, s10
	v_mov_b32_e32 v11, s11
	s_movk_i32 s10, 0x1800
	v_add_u32_e64 v22, s10, 0
	ds_write2_b64 v22, v[10:11], v[10:11] offset0:142 offset1:207
.LBB37_885:
	s_or_b64 exec, exec, s[8:9]
	v_mov_b32_e32 v10, 0
	v_mov_b32_e32 v11, 0
	s_waitcnt lgkmcnt(0)
	s_barrier
	buffer_wbinvl1_vol
	s_and_saveexec_b64 s[10:11], s[0:1]
	s_cbranch_execz .LBB37_889
; %bb.886:
	v_lshlrev_b32_e32 v22, 9, v13
	v_lshlrev_b32_e32 v10, 3, v12
	ds_read_b64 v[10:11], v10 offset:7264
	ds_read_b64 v[22:23], v22 offset:7280
	v_cmp_gt_u32_e64 s[8:9], 2, v15
	s_waitcnt lgkmcnt(0)
	v_fma_f64 v[10:11], v[10:11], v[22:23], 0
	s_and_saveexec_b64 s[12:13], s[8:9]
	s_cbranch_execz .LBB37_888
; %bb.887:
	v_lshlrev_b32_e32 v22, 3, v0
	v_mov_b32_e32 v24, 0
	ds_read_b64 v[22:23], v22 offset:7776
	ds_read_b64 v[24:25], v24 offset:7800
	s_waitcnt lgkmcnt(0)
	v_fma_f64 v[10:11], v[22:23], v[24:25], v[10:11]
.LBB37_888:
	s_or_b64 exec, exec, s[12:13]
.LBB37_889:
	s_or_b64 exec, exec, s[10:11]
	s_and_saveexec_b64 s[8:9], s[40:41]
; %bb.890:
	v_xor_b32_e32 v23, 0x80000000, v11
	v_mov_b32_e32 v22, v10
	ds_write_b64 v14, v[22:23]
; %bb.891:
	s_or_b64 exec, exec, s[8:9]
	s_waitcnt lgkmcnt(0)
	s_barrier
	s_and_saveexec_b64 s[8:9], s[38:39]
	s_cbranch_execz .LBB37_893
; %bb.892:
	v_mov_b32_e32 v22, 0
	ds_read_b64 v[22:23], v22 offset:6752
	ds_read_b64 v[24:25], v14
	s_waitcnt lgkmcnt(0)
	v_fma_f64 v[10:11], -v[22:23], v[24:25], v[10:11]
.LBB37_893:
	s_or_b64 exec, exec, s[8:9]
	s_barrier
	s_and_saveexec_b64 s[8:9], s[38:39]
; %bb.894:
	v_xor_b32_e32 v23, 0x80000000, v11
	v_mov_b32_e32 v22, v10
	ds_write_b64 v14, v[22:23]
; %bb.895:
	s_or_b64 exec, exec, s[8:9]
	s_waitcnt lgkmcnt(0)
	s_barrier
	s_barrier
	s_and_saveexec_b64 s[8:9], s[0:1]
; %bb.896:
	v_lshlrev_b32_e32 v22, 3, v12
	v_lshl_or_b32 v22, v13, 9, v22
	ds_write_b64 v22, v[10:11] offset:7264
; %bb.897:
	s_or_b64 exec, exec, s[8:9]
	s_waitcnt lgkmcnt(0)
	s_barrier
	s_barrier
	s_and_saveexec_b64 s[8:9], vcc
	s_cbranch_execz .LBB37_899
; %bb.898:
	s_mov_b64 s[10:11], 1.0
	v_mov_b32_e32 v10, s10
	v_mov_b32_e32 v11, s11
	s_movk_i32 s10, 0x1800
	v_add_u32_e64 v22, s10, 0
	ds_write2_b64 v22, v[10:11], v[10:11] offset0:12 offset1:77
.LBB37_899:
	s_or_b64 exec, exec, s[8:9]
	v_mov_b32_e32 v10, 0
	v_mov_b32_e32 v11, 0
	s_waitcnt lgkmcnt(0)
	s_barrier
	buffer_wbinvl1_vol
	s_and_saveexec_b64 s[10:11], s[2:3]
	s_cbranch_execz .LBB37_905
; %bb.900:
	v_lshlrev_b32_e32 v23, 3, v16
	v_lshlrev_b32_e32 v22, 9, v17
	ds_read_b64 v[10:11], v23 offset:6208
	ds_read_b64 v[24:25], v22 offset:6240
	v_cmp_gt_u32_e64 s[8:9], 12, v15
	s_waitcnt lgkmcnt(0)
	v_fma_f64 v[10:11], v[10:11], v[24:25], 0
	s_and_saveexec_b64 s[12:13], s[8:9]
	s_cbranch_execnz .LBB37_1148
; %bb.901:
	s_or_b64 exec, exec, s[12:13]
	v_cmp_gt_u32_e64 s[8:9], 8, v15
	s_and_saveexec_b64 s[12:13], s[8:9]
	s_cbranch_execnz .LBB37_1149
.LBB37_902:
	s_or_b64 exec, exec, s[12:13]
	v_cmp_gt_u32_e64 s[8:9], 4, v15
	s_and_saveexec_b64 s[12:13], s[8:9]
	s_cbranch_execz .LBB37_904
.LBB37_903:
	v_lshlrev_b32_e32 v22, 3, v0
	v_mov_b32_e32 v24, 0
	ds_read_b64 v[22:23], v22 offset:7744
	ds_read_b64 v[24:25], v24 offset:7800
	s_waitcnt lgkmcnt(0)
	v_fma_f64 v[10:11], v[22:23], v[24:25], v[10:11]
.LBB37_904:
	s_or_b64 exec, exec, s[12:13]
.LBB37_905:
	s_or_b64 exec, exec, s[10:11]
	s_and_saveexec_b64 s[8:9], s[44:45]
; %bb.906:
	v_xor_b32_e32 v23, 0x80000000, v11
	v_mov_b32_e32 v22, v10
	ds_write_b64 v18, v[22:23]
; %bb.907:
	s_or_b64 exec, exec, s[8:9]
	s_waitcnt lgkmcnt(0)
	s_barrier
	s_and_saveexec_b64 s[8:9], s[46:47]
	s_cbranch_execz .LBB37_909
; %bb.908:
	v_lshlrev_b32_e32 v22, 3, v16
	ds_read_b64 v[22:23], v22 offset:5696
	ds_read_b64 v[24:25], v18
	s_waitcnt lgkmcnt(0)
	v_fma_f64 v[10:11], -v[22:23], v[24:25], v[10:11]
.LBB37_909:
	s_or_b64 exec, exec, s[8:9]
	s_barrier
	s_and_saveexec_b64 s[8:9], s[48:49]
; %bb.910:
	v_xor_b32_e32 v23, 0x80000000, v11
	v_mov_b32_e32 v22, v10
	ds_write_b64 v18, v[22:23]
; %bb.911:
	s_or_b64 exec, exec, s[8:9]
	s_waitcnt lgkmcnt(0)
	s_barrier
	s_and_saveexec_b64 s[8:9], s[50:51]
	s_cbranch_execz .LBB37_913
; %bb.912:
	v_lshlrev_b32_e32 v22, 3, v16
	ds_read_b64 v[22:23], v22 offset:5184
	ds_read_b64 v[24:25], v18
	s_waitcnt lgkmcnt(0)
	v_fma_f64 v[10:11], -v[22:23], v[24:25], v[10:11]
.LBB37_913:
	s_or_b64 exec, exec, s[8:9]
	s_barrier
	s_and_saveexec_b64 s[8:9], s[52:53]
; %bb.914:
	v_xor_b32_e32 v23, 0x80000000, v11
	v_mov_b32_e32 v22, v10
	ds_write_b64 v18, v[22:23]
; %bb.915:
	s_or_b64 exec, exec, s[8:9]
	s_waitcnt lgkmcnt(0)
	s_barrier
	s_and_saveexec_b64 s[8:9], s[42:43]
	s_cbranch_execz .LBB37_917
; %bb.916:
	v_mov_b32_e32 v22, 0
	ds_read_b64 v[22:23], v22 offset:4672
	ds_read_b64 v[24:25], v18
	s_waitcnt lgkmcnt(0)
	v_fma_f64 v[10:11], -v[22:23], v[24:25], v[10:11]
.LBB37_917:
	s_or_b64 exec, exec, s[8:9]
	s_barrier
	s_and_saveexec_b64 s[8:9], s[42:43]
; %bb.918:
	v_xor_b32_e32 v23, 0x80000000, v11
	v_mov_b32_e32 v22, v10
	ds_write_b64 v18, v[22:23]
; %bb.919:
	s_or_b64 exec, exec, s[8:9]
	s_waitcnt lgkmcnt(0)
	s_barrier
	s_barrier
	s_and_saveexec_b64 s[8:9], s[2:3]
; %bb.920:
	v_lshlrev_b32_e32 v22, 3, v16
	v_lshl_or_b32 v22, v17, 9, v22
	ds_write_b64 v22, v[10:11] offset:6208
; %bb.921:
	s_or_b64 exec, exec, s[8:9]
	s_waitcnt lgkmcnt(0)
	s_barrier
	s_barrier
	s_and_saveexec_b64 s[8:9], vcc
	s_cbranch_execz .LBB37_923
; %bb.922:
	s_mov_b64 s[10:11], 1.0
	v_mov_b32_e32 v10, s10
	v_mov_b32_e32 v11, s11
	s_movk_i32 s10, 0x1000
	v_add_u32_e64 v22, s10, 0
	ds_write2_b64 v22, v[10:11], v[10:11] offset0:138 offset1:203
.LBB37_923:
	s_or_b64 exec, exec, s[8:9]
	v_mov_b32_e32 v10, 0
	v_mov_b32_e32 v11, 0
	s_waitcnt lgkmcnt(0)
	s_barrier
	buffer_wbinvl1_vol
	s_and_saveexec_b64 s[10:11], s[0:1]
	s_cbranch_execz .LBB37_927
; %bb.924:
	v_lshlrev_b32_e32 v22, 9, v13
	v_lshlrev_b32_e32 v10, 3, v12
	ds_read_b64 v[10:11], v10 offset:5184
	ds_read_b64 v[22:23], v22 offset:5200
	v_cmp_gt_u32_e64 s[8:9], 2, v15
	s_waitcnt lgkmcnt(0)
	v_fma_f64 v[10:11], v[10:11], v[22:23], 0
	s_and_saveexec_b64 s[12:13], s[8:9]
	s_cbranch_execz .LBB37_926
; %bb.925:
	v_lshlrev_b32_e32 v22, 3, v0
	v_mov_b32_e32 v24, 0
	ds_read_b64 v[22:23], v22 offset:5696
	ds_read_b64 v[24:25], v24 offset:5720
	s_waitcnt lgkmcnt(0)
	v_fma_f64 v[10:11], v[22:23], v[24:25], v[10:11]
.LBB37_926:
	s_or_b64 exec, exec, s[12:13]
.LBB37_927:
	s_or_b64 exec, exec, s[10:11]
	s_and_saveexec_b64 s[8:9], s[40:41]
; %bb.928:
	v_xor_b32_e32 v23, 0x80000000, v11
	v_mov_b32_e32 v22, v10
	ds_write_b64 v14, v[22:23]
; %bb.929:
	s_or_b64 exec, exec, s[8:9]
	s_waitcnt lgkmcnt(0)
	s_barrier
	s_and_saveexec_b64 s[8:9], s[38:39]
	s_cbranch_execz .LBB37_931
; %bb.930:
	v_mov_b32_e32 v22, 0
	ds_read_b64 v[22:23], v22 offset:4672
	ds_read_b64 v[24:25], v14
	s_waitcnt lgkmcnt(0)
	v_fma_f64 v[10:11], -v[22:23], v[24:25], v[10:11]
.LBB37_931:
	s_or_b64 exec, exec, s[8:9]
	s_barrier
	s_and_saveexec_b64 s[8:9], s[38:39]
; %bb.932:
	v_xor_b32_e32 v23, 0x80000000, v11
	v_mov_b32_e32 v22, v10
	ds_write_b64 v14, v[22:23]
; %bb.933:
	s_or_b64 exec, exec, s[8:9]
	s_waitcnt lgkmcnt(0)
	s_barrier
	s_barrier
	s_and_saveexec_b64 s[8:9], s[0:1]
; %bb.934:
	v_lshlrev_b32_e32 v22, 3, v12
	v_lshl_or_b32 v22, v13, 9, v22
	ds_write_b64 v22, v[10:11] offset:5184
; %bb.935:
	s_or_b64 exec, exec, s[8:9]
	s_waitcnt lgkmcnt(0)
	s_barrier
	s_barrier
	s_and_saveexec_b64 s[8:9], vcc
	s_cbranch_execz .LBB37_937
; %bb.936:
	s_mov_b64 s[10:11], 1.0
	v_mov_b32_e32 v10, s10
	v_mov_b32_e32 v11, s11
	s_movk_i32 s10, 0x1000
	v_add_u32_e64 v22, s10, 0
	ds_write2_b64 v22, v[10:11], v[10:11] offset0:8 offset1:73
.LBB37_937:
	s_or_b64 exec, exec, s[8:9]
	v_mov_b32_e32 v10, 0
	v_mov_b32_e32 v11, 0
	s_waitcnt lgkmcnt(0)
	s_barrier
	buffer_wbinvl1_vol
	s_and_saveexec_b64 s[10:11], s[14:15]
	s_cbranch_execz .LBB37_947
; %bb.938:
	v_lshlrev_b32_e32 v23, 3, v19
	v_lshlrev_b32_e32 v22, 9, v20
	ds_read_b64 v[10:11], v23 offset:4096
	ds_read_b64 v[24:25], v22 offset:4160
	v_cmp_gt_u32_e64 s[8:9], 56, v15
	s_waitcnt lgkmcnt(0)
	v_fma_f64 v[10:11], v[10:11], v[24:25], 0
	s_and_saveexec_b64 s[12:13], s[8:9]
	s_cbranch_execnz .LBB37_1150
; %bb.939:
	s_or_b64 exec, exec, s[12:13]
	v_cmp_gt_u32_e64 s[8:9], 48, v15
	s_and_saveexec_b64 s[12:13], s[8:9]
	s_cbranch_execnz .LBB37_1151
.LBB37_940:
	s_or_b64 exec, exec, s[12:13]
	v_cmp_gt_u32_e64 s[8:9], 40, v15
	s_and_saveexec_b64 s[12:13], s[8:9]
	s_cbranch_execnz .LBB37_1152
.LBB37_941:
	s_or_b64 exec, exec, s[12:13]
	v_cmp_gt_u32_e64 s[8:9], 32, v15
	s_and_saveexec_b64 s[12:13], s[8:9]
	s_cbranch_execnz .LBB37_1153
.LBB37_942:
	s_or_b64 exec, exec, s[12:13]
	v_cmp_gt_u32_e64 s[8:9], 24, v15
	s_and_saveexec_b64 s[12:13], s[8:9]
	s_cbranch_execnz .LBB37_1154
.LBB37_943:
	s_or_b64 exec, exec, s[12:13]
	s_and_saveexec_b64 s[8:9], s[2:3]
	s_cbranch_execnz .LBB37_1155
.LBB37_944:
	s_or_b64 exec, exec, s[8:9]
	v_cmp_gt_u32_e64 s[8:9], 8, v15
	s_and_saveexec_b64 s[12:13], s[8:9]
	s_cbranch_execz .LBB37_946
.LBB37_945:
	v_lshlrev_b32_e32 v22, 3, v0
	v_mov_b32_e32 v24, 0
	ds_read_b64 v[22:23], v22 offset:7680
	ds_read_b64 v[24:25], v24 offset:7800
	s_waitcnt lgkmcnt(0)
	v_fma_f64 v[10:11], v[22:23], v[24:25], v[10:11]
.LBB37_946:
	s_or_b64 exec, exec, s[12:13]
.LBB37_947:
	s_or_b64 exec, exec, s[10:11]
	s_and_saveexec_b64 s[8:9], s[54:55]
; %bb.948:
	v_xor_b32_e32 v23, 0x80000000, v11
	v_mov_b32_e32 v22, v10
	ds_write_b64 v21, v[22:23]
; %bb.949:
	s_or_b64 exec, exec, s[8:9]
	s_waitcnt lgkmcnt(0)
	s_barrier
	s_and_saveexec_b64 s[8:9], s[56:57]
	s_cbranch_execz .LBB37_951
; %bb.950:
	v_lshlrev_b32_e32 v22, 3, v19
	ds_read_b64 v[22:23], v22 offset:3584
	ds_read_b64 v[24:25], v21
	s_waitcnt lgkmcnt(0)
	v_fma_f64 v[10:11], -v[22:23], v[24:25], v[10:11]
.LBB37_951:
	s_or_b64 exec, exec, s[8:9]
	s_barrier
	s_and_saveexec_b64 s[8:9], s[58:59]
; %bb.952:
	v_xor_b32_e32 v23, 0x80000000, v11
	v_mov_b32_e32 v22, v10
	ds_write_b64 v21, v[22:23]
; %bb.953:
	s_or_b64 exec, exec, s[8:9]
	s_waitcnt lgkmcnt(0)
	s_barrier
	s_and_saveexec_b64 s[8:9], s[60:61]
	s_cbranch_execz .LBB37_955
; %bb.954:
	v_lshlrev_b32_e32 v22, 3, v19
	ds_read_b64 v[22:23], v22 offset:3072
	ds_read_b64 v[24:25], v21
	s_waitcnt lgkmcnt(0)
	v_fma_f64 v[10:11], -v[22:23], v[24:25], v[10:11]
.LBB37_955:
	s_or_b64 exec, exec, s[8:9]
	s_barrier
	;; [unrolled: 20-line block ×6, first 2 shown]
	s_and_saveexec_b64 s[8:9], s[80:81]
; %bb.972:
	v_xor_b32_e32 v23, 0x80000000, v11
	v_mov_b32_e32 v22, v10
	ds_write_b64 v21, v[22:23]
; %bb.973:
	s_or_b64 exec, exec, s[8:9]
	s_waitcnt lgkmcnt(0)
	s_barrier
	s_and_saveexec_b64 s[8:9], s[64:65]
	s_cbranch_execz .LBB37_975
; %bb.974:
	v_mov_b32_e32 v22, 0
	ds_read_b64 v[22:23], v22 offset:512
	ds_read_b64 v[24:25], v21
	s_waitcnt lgkmcnt(0)
	v_fma_f64 v[10:11], -v[22:23], v[24:25], v[10:11]
.LBB37_975:
	s_or_b64 exec, exec, s[8:9]
	s_barrier
	s_and_saveexec_b64 s[8:9], s[64:65]
; %bb.976:
	v_xor_b32_e32 v23, 0x80000000, v11
	v_mov_b32_e32 v22, v10
	ds_write_b64 v21, v[22:23]
; %bb.977:
	s_or_b64 exec, exec, s[8:9]
	s_waitcnt lgkmcnt(0)
	s_barrier
	s_barrier
	s_and_saveexec_b64 s[8:9], s[14:15]
; %bb.978:
	v_lshlrev_b32_e32 v19, 3, v19
	v_lshl_or_b32 v19, v20, 9, v19
	ds_write_b64 v19, v[10:11] offset:4096
; %bb.979:
	s_or_b64 exec, exec, s[8:9]
	s_waitcnt lgkmcnt(0)
	s_barrier
	s_barrier
	s_and_saveexec_b64 s[8:9], vcc
	s_cbranch_execz .LBB37_981
; %bb.980:
	s_mov_b64 s[10:11], 1.0
	v_mov_b32_e32 v10, s10
	v_mov_b32_e32 v11, s11
	s_movk_i32 s10, 0x800
	v_add_u32_e64 v19, s10, 0
	ds_write2_b64 v19, v[10:11], v[10:11] offset0:134 offset1:199
.LBB37_981:
	s_or_b64 exec, exec, s[8:9]
	v_mov_b32_e32 v10, 0
	v_mov_b32_e32 v11, 0
	s_waitcnt lgkmcnt(0)
	s_barrier
	buffer_wbinvl1_vol
	s_and_saveexec_b64 s[10:11], s[0:1]
	s_cbranch_execz .LBB37_985
; %bb.982:
	v_lshlrev_b32_e32 v19, 9, v13
	v_lshlrev_b32_e32 v10, 3, v12
	ds_read_b64 v[10:11], v10 offset:3104
	ds_read_b64 v[19:20], v19 offset:3120
	v_cmp_gt_u32_e64 s[8:9], 2, v15
	s_waitcnt lgkmcnt(0)
	v_fma_f64 v[10:11], v[10:11], v[19:20], 0
	s_and_saveexec_b64 s[12:13], s[8:9]
	s_cbranch_execz .LBB37_984
; %bb.983:
	v_lshlrev_b32_e32 v19, 3, v0
	v_mov_b32_e32 v21, 0
	ds_read_b64 v[19:20], v19 offset:3616
	ds_read_b64 v[21:22], v21 offset:3640
	s_waitcnt lgkmcnt(0)
	v_fma_f64 v[10:11], v[19:20], v[21:22], v[10:11]
.LBB37_984:
	s_or_b64 exec, exec, s[12:13]
.LBB37_985:
	s_or_b64 exec, exec, s[10:11]
	s_and_saveexec_b64 s[8:9], s[40:41]
; %bb.986:
	v_xor_b32_e32 v20, 0x80000000, v11
	v_mov_b32_e32 v19, v10
	ds_write_b64 v14, v[19:20]
; %bb.987:
	s_or_b64 exec, exec, s[8:9]
	s_waitcnt lgkmcnt(0)
	s_barrier
	s_and_saveexec_b64 s[8:9], s[38:39]
	s_cbranch_execz .LBB37_989
; %bb.988:
	v_mov_b32_e32 v19, 0
	ds_read_b64 v[19:20], v19 offset:2592
	ds_read_b64 v[21:22], v14
	s_waitcnt lgkmcnt(0)
	v_fma_f64 v[10:11], -v[19:20], v[21:22], v[10:11]
.LBB37_989:
	s_or_b64 exec, exec, s[8:9]
	s_barrier
	s_and_saveexec_b64 s[8:9], s[38:39]
; %bb.990:
	v_xor_b32_e32 v20, 0x80000000, v11
	v_mov_b32_e32 v19, v10
	ds_write_b64 v14, v[19:20]
; %bb.991:
	s_or_b64 exec, exec, s[8:9]
	s_waitcnt lgkmcnt(0)
	s_barrier
	s_barrier
	s_and_saveexec_b64 s[8:9], s[0:1]
; %bb.992:
	v_lshlrev_b32_e32 v19, 3, v12
	v_lshl_or_b32 v19, v13, 9, v19
	ds_write_b64 v19, v[10:11] offset:3104
; %bb.993:
	s_or_b64 exec, exec, s[8:9]
	s_waitcnt lgkmcnt(0)
	s_barrier
	s_barrier
	s_and_saveexec_b64 s[8:9], vcc
	s_cbranch_execz .LBB37_995
; %bb.994:
	s_mov_b64 s[10:11], 1.0
	v_mov_b32_e32 v10, s10
	v_mov_b32_e32 v11, s11
	s_movk_i32 s10, 0x800
	v_add_u32_e64 v19, s10, 0
	ds_write2_b64 v19, v[10:11], v[10:11] offset0:4 offset1:69
.LBB37_995:
	s_or_b64 exec, exec, s[8:9]
	v_mov_b32_e32 v10, 0
	v_mov_b32_e32 v11, 0
	s_waitcnt lgkmcnt(0)
	s_barrier
	buffer_wbinvl1_vol
	s_and_saveexec_b64 s[10:11], s[2:3]
	s_cbranch_execz .LBB37_1001
; %bb.996:
	v_lshlrev_b32_e32 v20, 3, v16
	v_lshlrev_b32_e32 v19, 9, v17
	ds_read_b64 v[10:11], v20 offset:2048
	ds_read_b64 v[21:22], v19 offset:2080
	v_cmp_gt_u32_e64 s[8:9], 12, v15
	s_waitcnt lgkmcnt(0)
	v_fma_f64 v[10:11], v[10:11], v[21:22], 0
	s_and_saveexec_b64 s[12:13], s[8:9]
	s_cbranch_execnz .LBB37_1156
; %bb.997:
	s_or_b64 exec, exec, s[12:13]
	v_cmp_gt_u32_e64 s[8:9], 8, v15
	s_and_saveexec_b64 s[12:13], s[8:9]
	s_cbranch_execnz .LBB37_1157
.LBB37_998:
	s_or_b64 exec, exec, s[12:13]
	v_cmp_gt_u32_e64 s[8:9], 4, v15
	s_and_saveexec_b64 s[12:13], s[8:9]
	s_cbranch_execz .LBB37_1000
.LBB37_999:
	v_lshlrev_b32_e32 v19, 3, v0
	v_mov_b32_e32 v21, 0
	ds_read_b64 v[19:20], v19 offset:3584
	ds_read_b64 v[21:22], v21 offset:3640
	s_waitcnt lgkmcnt(0)
	v_fma_f64 v[10:11], v[19:20], v[21:22], v[10:11]
.LBB37_1000:
	s_or_b64 exec, exec, s[12:13]
.LBB37_1001:
	s_or_b64 exec, exec, s[10:11]
	s_and_saveexec_b64 s[8:9], s[44:45]
; %bb.1002:
	v_xor_b32_e32 v20, 0x80000000, v11
	v_mov_b32_e32 v19, v10
	ds_write_b64 v18, v[19:20]
; %bb.1003:
	s_or_b64 exec, exec, s[8:9]
	s_waitcnt lgkmcnt(0)
	s_barrier
	s_and_saveexec_b64 s[8:9], s[46:47]
	s_cbranch_execz .LBB37_1005
; %bb.1004:
	v_lshlrev_b32_e32 v19, 3, v16
	ds_read_b64 v[19:20], v19 offset:1536
	ds_read_b64 v[21:22], v18
	s_waitcnt lgkmcnt(0)
	v_fma_f64 v[10:11], -v[19:20], v[21:22], v[10:11]
.LBB37_1005:
	s_or_b64 exec, exec, s[8:9]
	s_barrier
	s_and_saveexec_b64 s[8:9], s[48:49]
; %bb.1006:
	v_xor_b32_e32 v20, 0x80000000, v11
	v_mov_b32_e32 v19, v10
	ds_write_b64 v18, v[19:20]
; %bb.1007:
	s_or_b64 exec, exec, s[8:9]
	s_waitcnt lgkmcnt(0)
	s_barrier
	s_and_saveexec_b64 s[8:9], s[50:51]
	s_cbranch_execz .LBB37_1009
; %bb.1008:
	v_lshlrev_b32_e32 v19, 3, v16
	ds_read_b64 v[19:20], v19 offset:1024
	ds_read_b64 v[21:22], v18
	s_waitcnt lgkmcnt(0)
	v_fma_f64 v[10:11], -v[19:20], v[21:22], v[10:11]
.LBB37_1009:
	s_or_b64 exec, exec, s[8:9]
	s_barrier
	s_and_saveexec_b64 s[8:9], s[52:53]
; %bb.1010:
	v_xor_b32_e32 v20, 0x80000000, v11
	v_mov_b32_e32 v19, v10
	ds_write_b64 v18, v[19:20]
; %bb.1011:
	s_or_b64 exec, exec, s[8:9]
	s_waitcnt lgkmcnt(0)
	s_barrier
	s_and_saveexec_b64 s[8:9], s[42:43]
	s_cbranch_execz .LBB37_1013
; %bb.1012:
	v_mov_b32_e32 v19, 0
	ds_read_b64 v[19:20], v19 offset:512
	ds_read_b64 v[21:22], v18
	s_waitcnt lgkmcnt(0)
	v_fma_f64 v[10:11], -v[19:20], v[21:22], v[10:11]
.LBB37_1013:
	s_or_b64 exec, exec, s[8:9]
	s_barrier
	s_and_saveexec_b64 s[8:9], s[42:43]
; %bb.1014:
	v_xor_b32_e32 v20, 0x80000000, v11
	v_mov_b32_e32 v19, v10
	ds_write_b64 v18, v[19:20]
; %bb.1015:
	s_or_b64 exec, exec, s[8:9]
	s_waitcnt lgkmcnt(0)
	s_barrier
	s_barrier
	s_and_saveexec_b64 s[8:9], s[2:3]
; %bb.1016:
	v_lshlrev_b32_e32 v16, 3, v16
	v_lshl_or_b32 v16, v17, 9, v16
	ds_write_b64 v16, v[10:11] offset:2048
; %bb.1017:
	s_or_b64 exec, exec, s[8:9]
	s_waitcnt lgkmcnt(0)
	s_barrier
	s_barrier
	s_and_saveexec_b64 s[2:3], vcc
; %bb.1018:
	s_mov_b64 s[8:9], 1.0
	v_mov_b32_e32 v11, s9
	v_mov_b32_e32 v16, 0
	;; [unrolled: 1-line block ×3, first 2 shown]
	ds_write2_b64 v16, v[10:11], v[10:11] offset0:130 offset1:195
; %bb.1019:
	s_or_b64 exec, exec, s[2:3]
	v_mov_b32_e32 v10, 0
	v_mov_b32_e32 v11, 0
	s_waitcnt lgkmcnt(0)
	s_barrier
	buffer_wbinvl1_vol
	s_and_saveexec_b64 s[8:9], s[0:1]
	s_cbranch_execz .LBB37_1023
; %bb.1020:
	v_lshlrev_b32_e32 v16, 9, v13
	v_lshlrev_b32_e32 v10, 3, v12
	ds_read_b64 v[10:11], v10 offset:1024
	ds_read_b64 v[16:17], v16 offset:1040
	v_cmp_gt_u32_e64 s[2:3], 2, v15
	s_waitcnt lgkmcnt(0)
	v_fma_f64 v[10:11], v[10:11], v[16:17], 0
	s_and_saveexec_b64 s[10:11], s[2:3]
	s_cbranch_execz .LBB37_1022
; %bb.1021:
	v_lshlrev_b32_e32 v15, 3, v0
	v_mov_b32_e32 v17, 0
	ds_read_b64 v[15:16], v15 offset:1536
	ds_read_b64 v[17:18], v17 offset:1560
	s_waitcnt lgkmcnt(0)
	v_fma_f64 v[10:11], v[15:16], v[17:18], v[10:11]
.LBB37_1022:
	s_or_b64 exec, exec, s[10:11]
.LBB37_1023:
	s_or_b64 exec, exec, s[8:9]
	s_and_saveexec_b64 s[2:3], s[40:41]
; %bb.1024:
	v_xor_b32_e32 v16, 0x80000000, v11
	v_mov_b32_e32 v15, v10
	ds_write_b64 v14, v[15:16]
; %bb.1025:
	s_or_b64 exec, exec, s[2:3]
	s_waitcnt lgkmcnt(0)
	s_barrier
	s_and_saveexec_b64 s[2:3], s[38:39]
	s_cbranch_execz .LBB37_1027
; %bb.1026:
	v_mov_b32_e32 v15, 0
	ds_read_b64 v[15:16], v15 offset:512
	ds_read_b64 v[17:18], v14
	s_waitcnt lgkmcnt(0)
	v_fma_f64 v[10:11], -v[15:16], v[17:18], v[10:11]
.LBB37_1027:
	s_or_b64 exec, exec, s[2:3]
	s_barrier
	s_and_saveexec_b64 s[2:3], s[38:39]
; %bb.1028:
	v_xor_b32_e32 v16, 0x80000000, v11
	v_mov_b32_e32 v15, v10
	ds_write_b64 v14, v[15:16]
; %bb.1029:
	s_or_b64 exec, exec, s[2:3]
	s_waitcnt lgkmcnt(0)
	s_barrier
	s_barrier
	s_and_saveexec_b64 s[2:3], s[0:1]
; %bb.1030:
	v_lshlrev_b32_e32 v12, 3, v12
	v_lshl_or_b32 v12, v13, 9, v12
	ds_write_b64 v12, v[10:11] offset:1024
; %bb.1031:
	s_or_b64 exec, exec, s[2:3]
	s_waitcnt lgkmcnt(0)
	s_barrier
	s_barrier
	s_and_saveexec_b64 s[0:1], vcc
; %bb.1032:
	s_mov_b64 s[2:3], 1.0
	v_mov_b32_e32 v11, s3
	v_mov_b32_e32 v12, 0
	;; [unrolled: 1-line block ×3, first 2 shown]
	ds_write2_b64 v12, v[10:11], v[10:11] offset1:65
; %bb.1033:
	s_or_b64 exec, exec, s[0:1]
.LBB37_1034:
	s_load_dwordx4 s[12:15], s[4:5], 0x48
	v_cmp_le_i32_e32 vcc, s92, v0
	v_mov_b32_e32 v10, 0
	v_mov_b32_e32 v11, 0
	v_lshl_add_u32 v12, s33, 6, v0
	s_waitcnt lgkmcnt(0)
	s_mul_i32 s1, s13, s34
	s_mul_hi_u32 s2, s12, s34
	s_mul_i32 s0, s12, s34
	s_add_i32 s1, s2, s1
	s_lshl_b64 s[0:1], s[0:1], 3
	s_add_u32 s2, s26, s0
	s_addc_u32 s3, s27, s1
	s_lshl_b64 s[0:1], s[28:29], 3
	s_add_u32 s38, s2, s0
	s_addc_u32 s39, s3, s1
	s_and_b64 s[12:13], vcc, s[18:19]
	v_cmp_eq_u32_e64 s[0:1], 0, v1
	s_xor_b64 s[2:3], s[12:13], -1
	s_and_b64 s[4:5], s[0:1], s[2:3]
	s_barrier
	s_and_saveexec_b64 s[2:3], s[4:5]
	s_cbranch_execz .LBB37_1036
; %bb.1035:
	v_ashrrev_i32_e32 v13, 31, v12
	v_mul_lo_u32 v14, s31, v12
	v_mad_u64_u32 v[10:11], s[4:5], s30, v12, 0
	v_mul_lo_u32 v13, s30, v13
	v_add3_u32 v11, v11, v13, v14
	v_lshlrev_b64 v[10:11], 3, v[10:11]
	v_mov_b32_e32 v13, s39
	v_add_co_u32_e32 v10, vcc, s38, v10
	v_addc_co_u32_e32 v11, vcc, v13, v11, vcc
	global_load_dwordx2 v[10:11], v[10:11], off
	s_waitcnt vmcnt(0)
	v_mul_f64 v[10:11], v[10:11], -s[24:25]
.LBB37_1036:
	s_or_b64 exec, exec, s[2:3]
	s_and_b32 s2, 0xffff, s95
	v_mad_u32_u24 v16, v1, s2, v0
	v_mov_b32_e32 v17, 0
	s_cmp_lt_i32 s6, 1
	v_cmp_eq_u32_e64 s[2:3], 0, v16
	s_cbranch_scc1 .LBB37_1062
; %bb.1037:
	v_ashrrev_i32_e32 v13, 31, v12
	v_cmp_gt_i32_e64 s[10:11], s36, v12
	v_lshlrev_b64 v[12:13], 3, v[12:13]
	s_lshl_b64 s[4:5], s[34:35], 2
	v_mov_b32_e32 v14, 0xa000
	s_add_u32 s16, s14, s4
	v_lshl_add_u32 v18, v16, 3, v14
	v_lshl_or_b32 v19, v1, 3, v14
	v_mov_b32_e32 v14, s94
	v_add_co_u32_e32 v20, vcc, s93, v12
	s_mul_i32 s8, s21, 0x180
	s_mul_hi_u32 s9, s20, 0x180
	s_mov_b32 s40, 0
	s_addc_u32 s17, s15, s5
	v_cmp_gt_u32_e64 s[4:5], 64, v16
	s_add_i32 s41, s33, 1
	v_addc_co_u32_e32 v21, vcc, v14, v13, vcc
	s_lshl_b64 s[24:25], s[20:21], 7
	s_lshl_b64 s[26:27], s[20:21], 8
	s_add_i32 s42, s9, s8
	s_mul_i32 s43, s20, 0x180
	v_mov_b32_e32 v22, -1
	s_branch .LBB37_1040
.LBB37_1038:                            ;   in Loop: Header=BB37_1040 Depth=1
	ds_read_b64 v[12:13], v19 offset:384
	s_waitcnt vmcnt(0) lgkmcnt(0)
	v_fma_f64 v[10:11], v[14:15], v[12:13], v[10:11]
.LBB37_1039:                            ;   in Loop: Header=BB37_1040 Depth=1
	s_or_b64 exec, exec, s[28:29]
	s_add_i32 s40, s40, 1
	s_cmp_eq_u32 s40, s6
	s_cbranch_scc1 .LBB37_1062
.LBB37_1040:                            ; =>This Loop Header: Depth=1
                                        ;     Child Loop BB37_1042 Depth 2
	v_cmp_gt_i32_e32 vcc, s40, v22
	s_and_b64 s[28:29], s[2:3], vcc
	s_and_saveexec_b64 s[8:9], s[28:29]
	s_cbranch_execz .LBB37_1043
; %bb.1041:                             ;   in Loop: Header=BB37_1040 Depth=1
	global_load_dword v22, v17, s[16:17]
	s_waitcnt vmcnt(0)
	v_cmp_le_i32_e32 vcc, s40, v22
	s_cbranch_vccnz .LBB37_1043
.LBB37_1042:                            ;   Parent Loop BB37_1040 Depth=1
                                        ; =>  This Inner Loop Header: Depth=2
	buffer_wbinvl1_vol
	global_load_dword v22, v17, s[16:17]
	s_waitcnt vmcnt(0)
	v_cmp_gt_i32_e32 vcc, s40, v22
	s_cbranch_vccnz .LBB37_1042
.LBB37_1043:                            ;   in Loop: Header=BB37_1040 Depth=1
	s_or_b64 exec, exec, s[8:9]
	s_sub_i32 s44, s7, s40
	s_lshl_b32 s45, s44, 6
	buffer_wbinvl1_vol
	s_barrier
	s_and_saveexec_b64 s[8:9], s[4:5]
	s_cbranch_execz .LBB37_1047
; %bb.1044:                             ;   in Loop: Header=BB37_1040 Depth=1
	s_ashr_i32 s28, s45, 31
	v_mov_b32_e32 v13, s28
	v_or_b32_e32 v12, s45, v16
	v_cmp_gt_i64_e32 vcc, s[36:37], v[12:13]
	v_mov_b32_e32 v14, 0
	v_mov_b32_e32 v15, 0
	s_and_saveexec_b64 s[28:29], vcc
	s_cbranch_execz .LBB37_1046
; %bb.1045:                             ;   in Loop: Header=BB37_1040 Depth=1
	v_mul_lo_u32 v14, v13, s30
	v_mul_lo_u32 v15, v12, s31
	v_mad_u64_u32 v[12:13], s[46:47], v12, s30, 0
	v_add3_u32 v13, v13, v15, v14
	v_lshlrev_b64 v[12:13], 3, v[12:13]
	v_mov_b32_e32 v14, s39
	v_add_co_u32_e32 v12, vcc, s38, v12
	v_addc_co_u32_e32 v13, vcc, v14, v13, vcc
	global_load_dwordx2 v[14:15], v[12:13], off
.LBB37_1046:                            ;   in Loop: Header=BB37_1040 Depth=1
	s_or_b64 exec, exec, s[28:29]
	s_waitcnt vmcnt(0)
	ds_write_b64 v18, v[14:15]
.LBB37_1047:                            ;   in Loop: Header=BB37_1040 Depth=1
	s_or_b64 exec, exec, s[8:9]
	v_add_u32_e32 v23, s45, v1
	v_ashrrev_i32_e32 v14, 31, v23
	v_mul_lo_u32 v15, s21, v23
	v_mad_u64_u32 v[12:13], s[8:9], s20, v23, 0
	v_mul_lo_u32 v14, s20, v14
	s_cmp_lg_u32 s44, s41
	s_cselect_b64 s[8:9], -1, 0
	s_waitcnt lgkmcnt(0)
	v_add3_u32 v13, v13, v14, v15
	v_lshlrev_b64 v[12:13], 3, v[12:13]
	v_cndmask_b32_e64 v14, 0, 1, s[8:9]
	v_add_co_u32_e32 v12, vcc, v20, v12
	v_addc_co_u32_e32 v13, vcc, v21, v13, vcc
	v_cmp_gt_i32_e32 vcc, s36, v23
	s_and_b64 s[44:45], s[10:11], vcc
	v_cmp_ne_u32_e64 s[8:9], 1, v14
	s_barrier
	s_and_saveexec_b64 s[28:29], s[44:45]
	s_cbranch_execz .LBB37_1051
; %bb.1048:                             ;   in Loop: Header=BB37_1040 Depth=1
	v_mov_b32_e32 v15, v3
	s_and_b64 vcc, exec, s[8:9]
	v_mov_b32_e32 v14, v2
	s_cbranch_vccnz .LBB37_1050
; %bb.1049:                             ;   in Loop: Header=BB37_1040 Depth=1
	global_load_dwordx2 v[14:15], v[12:13], off
.LBB37_1050:                            ;   in Loop: Header=BB37_1040 Depth=1
	ds_read_b64 v[24:25], v19
	s_waitcnt vmcnt(0) lgkmcnt(0)
	v_fma_f64 v[10:11], v[14:15], v[24:25], v[10:11]
.LBB37_1051:                            ;   in Loop: Header=BB37_1040 Depth=1
	s_or_b64 exec, exec, s[28:29]
	v_add_u32_e32 v14, 16, v23
	v_cmp_gt_i32_e32 vcc, s36, v14
	s_and_b64 s[44:45], s[10:11], vcc
	s_and_saveexec_b64 s[28:29], s[44:45]
	s_cbranch_execz .LBB37_1055
; %bb.1052:                             ;   in Loop: Header=BB37_1040 Depth=1
	v_mov_b32_e32 v15, v5
	s_and_b64 vcc, exec, s[8:9]
	v_mov_b32_e32 v14, v4
	s_cbranch_vccnz .LBB37_1054
; %bb.1053:                             ;   in Loop: Header=BB37_1040 Depth=1
	v_mov_b32_e32 v15, s25
	v_add_co_u32_e32 v14, vcc, s24, v12
	v_addc_co_u32_e32 v15, vcc, v13, v15, vcc
	global_load_dwordx2 v[14:15], v[14:15], off
.LBB37_1054:                            ;   in Loop: Header=BB37_1040 Depth=1
	ds_read_b64 v[24:25], v19 offset:128
	s_waitcnt vmcnt(0) lgkmcnt(0)
	v_fma_f64 v[10:11], v[14:15], v[24:25], v[10:11]
.LBB37_1055:                            ;   in Loop: Header=BB37_1040 Depth=1
	s_or_b64 exec, exec, s[28:29]
	v_add_u32_e32 v14, 32, v23
	v_cmp_gt_i32_e32 vcc, s36, v14
	s_and_b64 s[44:45], s[10:11], vcc
	s_and_saveexec_b64 s[28:29], s[44:45]
	s_cbranch_execz .LBB37_1059
; %bb.1056:                             ;   in Loop: Header=BB37_1040 Depth=1
	v_mov_b32_e32 v15, v9
	s_and_b64 vcc, exec, s[8:9]
	v_mov_b32_e32 v14, v8
	s_cbranch_vccnz .LBB37_1058
; %bb.1057:                             ;   in Loop: Header=BB37_1040 Depth=1
	v_mov_b32_e32 v15, s27
	v_add_co_u32_e32 v14, vcc, s26, v12
	v_addc_co_u32_e32 v15, vcc, v13, v15, vcc
	global_load_dwordx2 v[14:15], v[14:15], off
.LBB37_1058:                            ;   in Loop: Header=BB37_1040 Depth=1
	ds_read_b64 v[24:25], v19 offset:256
	s_waitcnt vmcnt(0) lgkmcnt(0)
	v_fma_f64 v[10:11], v[14:15], v[24:25], v[10:11]
.LBB37_1059:                            ;   in Loop: Header=BB37_1040 Depth=1
	s_or_b64 exec, exec, s[28:29]
	v_add_u32_e32 v14, 48, v23
	v_cmp_gt_i32_e32 vcc, s36, v14
	s_and_b64 s[44:45], s[10:11], vcc
	s_and_saveexec_b64 s[28:29], s[44:45]
	s_cbranch_execz .LBB37_1039
; %bb.1060:                             ;   in Loop: Header=BB37_1040 Depth=1
	v_mov_b32_e32 v15, v7
	s_and_b64 vcc, exec, s[8:9]
	v_mov_b32_e32 v14, v6
	s_cbranch_vccnz .LBB37_1038
; %bb.1061:                             ;   in Loop: Header=BB37_1040 Depth=1
	v_mov_b32_e32 v14, s42
	v_add_co_u32_e32 v12, vcc, s43, v12
	v_addc_co_u32_e32 v13, vcc, v13, v14, vcc
	global_load_dwordx2 v[14:15], v[12:13], off
	s_branch .LBB37_1038
.LBB37_1062:
	v_lshl_add_u32 v2, v1, 6, v0
	s_xor_b64 s[2:3], s[18:19], -1
	s_xor_b64 s[4:5], s[22:23], -1
	v_lshlrev_b32_e32 v4, 3, v2
	ds_write_b64 v4, v[10:11] offset:32768
	s_waitcnt lgkmcnt(0)
	s_barrier
	s_and_saveexec_b64 s[6:7], s[0:1]
	s_cbranch_execz .LBB37_1064
; %bb.1063:
	v_lshlrev_b32_e32 v15, 3, v0
	ds_read2st64_b64 v[5:8], v15 offset0:65 offset1:66
	ds_read_b64 v[2:3], v15 offset:40448
	s_waitcnt lgkmcnt(1)
	v_add_f64 v[5:6], v[10:11], v[5:6]
	v_add_f64 v[13:14], v[5:6], v[7:8]
	ds_read2st64_b64 v[5:8], v15 offset0:67 offset1:68
	ds_read2st64_b64 v[9:12], v15 offset0:69 offset1:70
	s_waitcnt lgkmcnt(1)
	v_add_f64 v[5:6], v[13:14], v[5:6]
	v_add_f64 v[5:6], v[5:6], v[7:8]
	s_waitcnt lgkmcnt(0)
	v_add_f64 v[5:6], v[5:6], v[9:10]
	v_add_f64 v[13:14], v[5:6], v[11:12]
	ds_read2st64_b64 v[5:8], v15 offset0:71 offset1:72
	ds_read2st64_b64 v[9:12], v15 offset0:73 offset1:74
	s_waitcnt lgkmcnt(1)
	v_add_f64 v[5:6], v[13:14], v[5:6]
	v_add_f64 v[5:6], v[5:6], v[7:8]
	;; [unrolled: 8-line block ×3, first 2 shown]
	s_waitcnt lgkmcnt(0)
	v_add_f64 v[5:6], v[5:6], v[9:10]
	v_add_f64 v[5:6], v[5:6], v[11:12]
	;; [unrolled: 1-line block ×3, first 2 shown]
	v_xor_b32_e32 v3, 0x80000000, v3
	v_cndmask_b32_e64 v11, v3, 0, s[12:13]
	v_cndmask_b32_e64 v10, v2, 0, s[12:13]
.LBB37_1064:
	s_or_b64 exec, exec, s[6:7]
	s_andn2_b64 vcc, exec, s[4:5]
	s_cbranch_vccnz .LBB37_1078
; %bb.1065:
	v_mov_b32_e32 v2, 0xa000
	v_lshl_or_b32 v5, v1, 3, v2
	s_and_saveexec_b64 s[4:5], s[0:1]
; %bb.1066:
	v_lshl_add_u32 v2, v0, 3, v5
	ds_write_b64 v2, v[10:11]
; %bb.1067:
	s_or_b64 exec, exec, s[4:5]
	v_mov_b32_e32 v2, 0
	v_mov_b32_e32 v3, 0
	v_cmp_le_u32_e32 vcc, v0, v1
	s_waitcnt lgkmcnt(0)
	s_barrier
	s_and_saveexec_b64 s[4:5], vcc
	s_cbranch_execz .LBB37_1069
; %bb.1068:
	ds_read_b64 v[2:3], v4
	ds_read_b64 v[6:7], v5
	s_waitcnt lgkmcnt(0)
	v_fma_f64 v[2:3], v[2:3], v[6:7], 0
.LBB37_1069:
	s_or_b64 exec, exec, s[4:5]
	v_add_u32_e32 v6, 16, v1
	v_cmp_le_u32_e32 vcc, v0, v6
	s_and_saveexec_b64 s[4:5], vcc
	s_cbranch_execz .LBB37_1071
; %bb.1070:
	ds_read_b64 v[6:7], v4 offset:8192
	ds_read_b64 v[8:9], v5 offset:128
	s_waitcnt lgkmcnt(0)
	v_fma_f64 v[2:3], v[6:7], v[8:9], v[2:3]
.LBB37_1071:
	s_or_b64 exec, exec, s[4:5]
	v_add_u32_e32 v6, 32, v1
	v_cmp_le_u32_e32 vcc, v0, v6
	s_and_saveexec_b64 s[4:5], vcc
	s_cbranch_execz .LBB37_1073
; %bb.1072:
	ds_read_b64 v[6:7], v4 offset:16384
	ds_read_b64 v[8:9], v5 offset:256
	s_waitcnt lgkmcnt(0)
	v_fma_f64 v[2:3], v[6:7], v[8:9], v[2:3]
.LBB37_1073:
	s_or_b64 exec, exec, s[4:5]
	v_add_u32_e32 v1, 48, v1
	v_add_u32_e32 v6, 0x8000, v4
	v_cmp_le_u32_e32 vcc, v0, v1
	s_and_saveexec_b64 s[4:5], vcc
	s_cbranch_execz .LBB37_1075
; %bb.1074:
	ds_read_b64 v[7:8], v4 offset:24576
	ds_read_b64 v[4:5], v5 offset:384
	s_waitcnt lgkmcnt(0)
	v_fma_f64 v[2:3], v[7:8], v[4:5], v[2:3]
.LBB37_1075:
	s_or_b64 exec, exec, s[4:5]
	s_mov_b64 s[6:7], 0
	s_mov_b64 s[4:5], 0
	ds_write_b64 v6, v[2:3]
	s_waitcnt lgkmcnt(0)
	s_barrier
                                        ; implicit-def: $vgpr4_vgpr5
	s_and_saveexec_b64 s[8:9], s[0:1]
	s_cbranch_execz .LBB37_1104
; %bb.1076:
	v_lshlrev_b32_e32 v9, 3, v0
	ds_read2st64_b64 v[4:7], v9 offset0:65 offset1:66
	ds_read_b64 v[12:13], v9 offset:40448
	s_mov_b64 s[4:5], exec
	s_waitcnt lgkmcnt(1)
	v_add_f64 v[1:2], v[2:3], v[4:5]
	v_add_f64 v[14:15], v[6:7], v[1:2]
	ds_read2st64_b64 v[1:4], v9 offset0:67 offset1:68
	ds_read2st64_b64 v[5:8], v9 offset0:69 offset1:70
	s_waitcnt lgkmcnt(1)
	v_add_f64 v[1:2], v[1:2], v[14:15]
	v_add_f64 v[1:2], v[3:4], v[1:2]
	s_waitcnt lgkmcnt(0)
	v_add_f64 v[1:2], v[5:6], v[1:2]
	v_add_f64 v[14:15], v[7:8], v[1:2]
	ds_read2st64_b64 v[1:4], v9 offset0:71 offset1:72
	ds_read2st64_b64 v[5:8], v9 offset0:73 offset1:74
	s_waitcnt lgkmcnt(1)
	v_add_f64 v[1:2], v[1:2], v[14:15]
	v_add_f64 v[1:2], v[3:4], v[1:2]
	;; [unrolled: 8-line block ×3, first 2 shown]
	s_waitcnt lgkmcnt(0)
	v_add_f64 v[1:2], v[5:6], v[1:2]
	v_add_f64 v[1:2], v[7:8], v[1:2]
	;; [unrolled: 1-line block ×3, first 2 shown]
	s_or_b64 exec, exec, s[8:9]
	s_and_b64 vcc, exec, s[6:7]
	s_cbranch_vccnz .LBB37_1079
	s_branch .LBB37_1105
.LBB37_1077:
	v_mad_u64_u32 v[12:13], s[0:1], s20, v14, 0
	s_or_b64 s[8:9], s[8:9], exec
	v_mad_u64_u32 v[13:14], s[0:1], s21, v14, v[13:14]
	v_lshlrev_b64 v[12:13], 3, v[12:13]
	v_add_co_u32_e32 v10, vcc, v10, v12
	v_addc_co_u32_e32 v11, vcc, v11, v13, vcc
	global_load_dwordx2 v[12:13], v[10:11], off
	s_waitcnt vmcnt(0)
	v_xor_b32_e32 v13, 0x80000000, v13
	s_or_b64 exec, exec, s[2:3]
	s_and_saveexec_b64 s[0:1], s[8:9]
	s_cbranch_execnz .LBB37_57
	s_branch .LBB37_58
.LBB37_1078:
	s_mov_b64 s[4:5], 0
                                        ; implicit-def: $vgpr4_vgpr5
	s_cbranch_execz .LBB37_1105
.LBB37_1079:
	v_mov_b32_e32 v1, 0x7800
	v_lshl_add_u32 v1, v0, 3, v1
	v_mov_b32_e32 v3, 63
	v_mov_b32_e32 v2, 0
	s_branch .LBB37_1081
.LBB37_1080:                            ;   in Loop: Header=BB37_1081 Depth=1
	s_or_b64 exec, exec, s[6:7]
	v_subrev_co_u32_e32 v3, vcc, 1, v3
	s_andn2_b64 vcc, exec, vcc
	v_add_u32_e32 v1, 0xfffff800, v1
	s_barrier
	s_cbranch_vccz .LBB37_1097
.LBB37_1081:                            ; =>This Inner Loop Header: Depth=1
	v_cmp_eq_u32_e32 vcc, v0, v3
	s_and_b64 s[8:9], s[0:1], vcc
	s_and_saveexec_b64 s[6:7], s[8:9]
; %bb.1082:                             ;   in Loop: Header=BB37_1081 Depth=1
	ds_write_b64 v2, v[10:11] offset:41472
; %bb.1083:                             ;   in Loop: Header=BB37_1081 Depth=1
	s_or_b64 exec, exec, s[6:7]
	v_cmp_lt_u32_e32 vcc, v0, v3
	s_and_b64 s[8:9], s[0:1], vcc
	s_waitcnt lgkmcnt(0)
	s_barrier
	s_and_saveexec_b64 s[6:7], s[8:9]
	s_cbranch_execz .LBB37_1085
; %bb.1084:                             ;   in Loop: Header=BB37_1081 Depth=1
	ds_read_b64 v[4:5], v1 offset:1536
	ds_read_b64 v[6:7], v2 offset:41472
	s_waitcnt lgkmcnt(0)
	v_fma_f64 v[10:11], v[4:5], v[6:7], v[10:11]
.LBB37_1085:                            ;   in Loop: Header=BB37_1081 Depth=1
	s_or_b64 exec, exec, s[6:7]
	v_add_u32_e32 v3, -1, v3
	v_cmp_eq_u32_e32 vcc, v0, v3
	s_and_b64 s[8:9], s[0:1], vcc
	s_barrier
	s_and_saveexec_b64 s[6:7], s[8:9]
; %bb.1086:                             ;   in Loop: Header=BB37_1081 Depth=1
	ds_write_b64 v2, v[10:11] offset:41472
; %bb.1087:                             ;   in Loop: Header=BB37_1081 Depth=1
	s_or_b64 exec, exec, s[6:7]
	v_cmp_lt_u32_e32 vcc, v0, v3
	s_and_b64 s[8:9], s[0:1], vcc
	s_waitcnt lgkmcnt(0)
	s_barrier
	s_and_saveexec_b64 s[6:7], s[8:9]
	s_cbranch_execz .LBB37_1089
; %bb.1088:                             ;   in Loop: Header=BB37_1081 Depth=1
	ds_read_b64 v[4:5], v1 offset:1024
	ds_read_b64 v[6:7], v2 offset:41472
	s_waitcnt lgkmcnt(0)
	v_fma_f64 v[10:11], v[4:5], v[6:7], v[10:11]
.LBB37_1089:                            ;   in Loop: Header=BB37_1081 Depth=1
	s_or_b64 exec, exec, s[6:7]
	v_add_u32_e32 v3, -1, v3
	v_cmp_eq_u32_e32 vcc, v0, v3
	s_and_b64 s[8:9], s[0:1], vcc
	s_barrier
	;; [unrolled: 22-line block ×3, first 2 shown]
	s_and_saveexec_b64 s[6:7], s[8:9]
; %bb.1094:                             ;   in Loop: Header=BB37_1081 Depth=1
	ds_write_b64 v2, v[10:11] offset:41472
; %bb.1095:                             ;   in Loop: Header=BB37_1081 Depth=1
	s_or_b64 exec, exec, s[6:7]
	v_cmp_lt_u32_e32 vcc, v0, v3
	s_and_b64 s[8:9], s[0:1], vcc
	s_waitcnt lgkmcnt(0)
	s_barrier
	s_and_saveexec_b64 s[6:7], s[8:9]
	s_cbranch_execz .LBB37_1080
; %bb.1096:                             ;   in Loop: Header=BB37_1081 Depth=1
	ds_read_b64 v[4:5], v1
	ds_read_b64 v[6:7], v2 offset:41472
	s_waitcnt lgkmcnt(0)
	v_fma_f64 v[10:11], v[4:5], v[6:7], v[10:11]
	s_branch .LBB37_1080
.LBB37_1097:
	s_mov_b64 s[6:7], -1
	s_and_b64 vcc, exec, s[2:3]
	s_cbranch_vccnz .LBB37_1106
; %bb.1098:
	s_andn2_b64 vcc, exec, s[6:7]
	s_cbranch_vccz .LBB37_1107
.LBB37_1099:
	s_and_saveexec_b64 s[0:1], s[4:5]
	s_cbranch_execz .LBB37_1101
.LBB37_1100:
	s_lshl_b32 s2, s33, 6
	s_ashr_i32 s3, s2, 31
	v_mov_b32_e32 v0, s3
	v_add_co_u32_e32 v1, vcc, s2, v16
	v_addc_co_u32_e32 v0, vcc, 0, v0, vcc
	v_mul_lo_u32 v2, v0, s30
	v_mul_lo_u32 v3, v1, s31
	v_mad_u64_u32 v[0:1], s[2:3], v1, s30, 0
	v_add3_u32 v1, v1, v3, v2
	v_lshlrev_b64 v[0:1], 3, v[0:1]
	v_mov_b32_e32 v2, s39
	v_add_co_u32_e32 v0, vcc, s38, v0
	v_addc_co_u32_e32 v1, vcc, v2, v1, vcc
	global_store_dwordx2 v[0:1], v[10:11], off
.LBB37_1101:
	s_or_b64 exec, exec, s[0:1]
	v_cmp_eq_u32_e32 vcc, 0, v16
	s_waitcnt vmcnt(0)
	buffer_wbinvl1_vol
	s_barrier
	s_and_saveexec_b64 s[0:1], vcc
	s_cbranch_execz .LBB37_1103
; %bb.1102:
	s_lshl_b64 s[2:3], s[34:35], 2
	s_add_u32 s2, s14, s2
	s_addc_u32 s3, s15, s3
	v_mov_b32_e32 v0, 0
	global_load_dword v1, v0, s[2:3]
	s_waitcnt vmcnt(0)
	v_add_u32_e32 v1, 1, v1
	global_store_dword v0, v1, s[2:3]
.LBB37_1103:
	s_or_b64 exec, exec, s[0:1]
	s_waitcnt vmcnt(0)
	buffer_wbinvl1_vol
	s_endpgm
.LBB37_1104:
	s_or_b64 exec, exec, s[8:9]
	s_and_b64 vcc, exec, s[6:7]
	s_cbranch_vccnz .LBB37_1079
.LBB37_1105:
	v_mov_b32_e32 v11, v5
	v_mov_b32_e32 v10, v4
	s_and_saveexec_b64 s[0:1], s[4:5]
	s_cbranch_execnz .LBB37_1100
	s_branch .LBB37_1101
.LBB37_1106:
	s_andn2_b64 s[2:3], s[4:5], exec
	s_and_b64 s[4:5], s[0:1], exec
	s_or_b64 s[4:5], s[2:3], s[4:5]
	s_cbranch_execnz .LBB37_1099
.LBB37_1107:
	v_cmp_gt_i32_e32 vcc, s92, v0
	s_and_b64 s[0:1], s[0:1], vcc
	s_andn2_b64 s[2:3], s[4:5], exec
	s_and_b64 s[0:1], s[0:1], exec
	s_or_b64 s[4:5], s[2:3], s[0:1]
	s_and_saveexec_b64 s[0:1], s[4:5]
	s_cbranch_execnz .LBB37_1100
	s_branch .LBB37_1101
.LBB37_1108:
	ds_read_b64 v[21:22], v20 offset:31680
	ds_read_b64 v[23:24], v19 offset:31208
	s_waitcnt lgkmcnt(0)
	v_fma_f64 v[10:11], v[21:22], v[23:24], v[10:11]
	s_or_b64 exec, exec, s[14:15]
	v_cmp_gt_u32_e64 s[10:11], 8, v15
	s_and_saveexec_b64 s[14:15], s[10:11]
	s_cbranch_execz .LBB37_78
.LBB37_1109:
	ds_read_b64 v[20:21], v20 offset:32192
	ds_read_b64 v[22:23], v19 offset:31216
	s_waitcnt lgkmcnt(0)
	v_fma_f64 v[10:11], v[20:21], v[22:23], v[10:11]
	s_or_b64 exec, exec, s[14:15]
	v_cmp_gt_u32_e64 s[10:11], 4, v15
	s_and_saveexec_b64 s[14:15], s[10:11]
	s_cbranch_execnz .LBB37_79
	s_branch .LBB37_80
.LBB37_1110:
	ds_read_b64 v[24:25], v23 offset:29568
	ds_read_b64 v[26:27], v22 offset:29128
	s_waitcnt lgkmcnt(0)
	v_fma_f64 v[10:11], v[24:25], v[26:27], v[10:11]
	s_or_b64 exec, exec, s[16:17]
	v_cmp_gt_u32_e64 s[10:11], 48, v15
	s_and_saveexec_b64 s[16:17], s[10:11]
	s_cbranch_execz .LBB37_116
.LBB37_1111:
	ds_read_b64 v[24:25], v23 offset:30080
	ds_read_b64 v[26:27], v22 offset:29136
	s_waitcnt lgkmcnt(0)
	v_fma_f64 v[10:11], v[24:25], v[26:27], v[10:11]
	s_or_b64 exec, exec, s[16:17]
	v_cmp_gt_u32_e64 s[10:11], 40, v15
	s_and_saveexec_b64 s[16:17], s[10:11]
	s_cbranch_execz .LBB37_117
.LBB37_1112:
	ds_read_b64 v[24:25], v23 offset:30592
	ds_read_b64 v[26:27], v22 offset:29144
	s_waitcnt lgkmcnt(0)
	v_fma_f64 v[10:11], v[24:25], v[26:27], v[10:11]
	s_or_b64 exec, exec, s[16:17]
	v_cmp_gt_u32_e64 s[10:11], 32, v15
	s_and_saveexec_b64 s[16:17], s[10:11]
	s_cbranch_execz .LBB37_118
.LBB37_1113:
	ds_read_b64 v[24:25], v23 offset:31104
	ds_read_b64 v[26:27], v22 offset:29152
	s_waitcnt lgkmcnt(0)
	v_fma_f64 v[10:11], v[24:25], v[26:27], v[10:11]
	s_or_b64 exec, exec, s[16:17]
	v_cmp_gt_u32_e64 s[10:11], 24, v15
	s_and_saveexec_b64 s[16:17], s[10:11]
	s_cbranch_execz .LBB37_119
.LBB37_1114:
	ds_read_b64 v[24:25], v23 offset:31616
	ds_read_b64 v[26:27], v22 offset:29160
	s_waitcnt lgkmcnt(0)
	v_fma_f64 v[10:11], v[24:25], v[26:27], v[10:11]
	s_or_b64 exec, exec, s[16:17]
	s_and_saveexec_b64 s[10:11], s[2:3]
	s_cbranch_execz .LBB37_120
.LBB37_1115:
	ds_read_b64 v[23:24], v23 offset:32128
	ds_read_b64 v[25:26], v22 offset:29168
	s_waitcnt lgkmcnt(0)
	v_fma_f64 v[10:11], v[23:24], v[25:26], v[10:11]
	s_or_b64 exec, exec, s[10:11]
	v_cmp_gt_u32_e64 s[10:11], 8, v15
	s_and_saveexec_b64 s[16:17], s[10:11]
	s_cbranch_execnz .LBB37_121
	s_branch .LBB37_122
.LBB37_1116:
	ds_read_b64 v[24:25], v23 offset:27520
	ds_read_b64 v[26:27], v22 offset:27048
	s_waitcnt lgkmcnt(0)
	v_fma_f64 v[10:11], v[24:25], v[26:27], v[10:11]
	s_or_b64 exec, exec, s[12:13]
	v_cmp_gt_u32_e64 s[8:9], 8, v15
	s_and_saveexec_b64 s[12:13], s[8:9]
	s_cbranch_execz .LBB37_174
.LBB37_1117:
	ds_read_b64 v[23:24], v23 offset:28032
	ds_read_b64 v[25:26], v22 offset:27056
	s_waitcnt lgkmcnt(0)
	v_fma_f64 v[10:11], v[23:24], v[25:26], v[10:11]
	s_or_b64 exec, exec, s[12:13]
	v_cmp_gt_u32_e64 s[8:9], 4, v15
	s_and_saveexec_b64 s[12:13], s[8:9]
	s_cbranch_execnz .LBB37_175
	s_branch .LBB37_176
.LBB37_1118:
	ds_read_b64 v[27:28], v26 offset:30464
	ds_read_b64 v[29:30], v25 offset:25048
	s_waitcnt lgkmcnt(0)
	v_fma_f64 v[10:11], v[27:28], v[29:30], v[10:11]
	s_or_b64 exec, exec, s[82:83]
	s_and_saveexec_b64 s[12:13], s[14:15]
	s_cbranch_execz .LBB37_232
.LBB37_1119:
	ds_read_b64 v[27:28], v26 offset:30976
	ds_read_b64 v[29:30], v25 offset:25056
	s_waitcnt lgkmcnt(0)
	v_fma_f64 v[10:11], v[27:28], v[29:30], v[10:11]
	s_or_b64 exec, exec, s[12:13]
	v_cmp_gt_u32_e64 s[12:13], 48, v15
	s_and_saveexec_b64 s[82:83], s[12:13]
	s_cbranch_execz .LBB37_233
.LBB37_1120:
	ds_read_b64 v[27:28], v26 offset:31488
	ds_read_b64 v[29:30], v25 offset:25064
	s_waitcnt lgkmcnt(0)
	v_fma_f64 v[10:11], v[27:28], v[29:30], v[10:11]
	s_or_b64 exec, exec, s[82:83]
	v_cmp_gt_u32_e64 s[12:13], 32, v15
	s_and_saveexec_b64 s[82:83], s[12:13]
	s_cbranch_execz .LBB37_234
.LBB37_1121:
	ds_read_b64 v[26:27], v26 offset:32000
	ds_read_b64 v[28:29], v25 offset:25072
	s_waitcnt lgkmcnt(0)
	v_fma_f64 v[10:11], v[26:27], v[28:29], v[10:11]
	s_or_b64 exec, exec, s[82:83]
	v_cmp_gt_u32_e64 s[12:13], 16, v15
	s_and_saveexec_b64 s[82:83], s[12:13]
	s_cbranch_execnz .LBB37_235
	s_branch .LBB37_236
.LBB37_1122:
	ds_read_b64 v[27:28], v26 offset:23360
	ds_read_b64 v[29:30], v25 offset:22888
	s_waitcnt lgkmcnt(0)
	v_fma_f64 v[10:11], v[27:28], v[29:30], v[10:11]
	s_or_b64 exec, exec, s[16:17]
	v_cmp_gt_u32_e64 s[10:11], 8, v15
	s_and_saveexec_b64 s[16:17], s[10:11]
	s_cbranch_execz .LBB37_320
.LBB37_1123:
	ds_read_b64 v[26:27], v26 offset:23872
	ds_read_b64 v[28:29], v25 offset:22896
	s_waitcnt lgkmcnt(0)
	v_fma_f64 v[10:11], v[26:27], v[28:29], v[10:11]
	s_or_b64 exec, exec, s[16:17]
	v_cmp_gt_u32_e64 s[10:11], 4, v15
	s_and_saveexec_b64 s[16:17], s[10:11]
	s_cbranch_execnz .LBB37_321
	s_branch .LBB37_322
.LBB37_1124:
	ds_read_b64 v[27:28], v26 offset:21248
	ds_read_b64 v[29:30], v25 offset:20808
	s_waitcnt lgkmcnt(0)
	v_fma_f64 v[10:11], v[27:28], v[29:30], v[10:11]
	s_or_b64 exec, exec, s[16:17]
	v_cmp_gt_u32_e64 s[10:11], 48, v15
	s_and_saveexec_b64 s[16:17], s[10:11]
	s_cbranch_execz .LBB37_358
.LBB37_1125:
	ds_read_b64 v[27:28], v26 offset:21760
	ds_read_b64 v[29:30], v25 offset:20816
	s_waitcnt lgkmcnt(0)
	v_fma_f64 v[10:11], v[27:28], v[29:30], v[10:11]
	s_or_b64 exec, exec, s[16:17]
	v_cmp_gt_u32_e64 s[10:11], 40, v15
	s_and_saveexec_b64 s[16:17], s[10:11]
	s_cbranch_execz .LBB37_359
.LBB37_1126:
	ds_read_b64 v[27:28], v26 offset:22272
	ds_read_b64 v[29:30], v25 offset:20824
	s_waitcnt lgkmcnt(0)
	v_fma_f64 v[10:11], v[27:28], v[29:30], v[10:11]
	s_or_b64 exec, exec, s[16:17]
	v_cmp_gt_u32_e64 s[10:11], 32, v15
	s_and_saveexec_b64 s[16:17], s[10:11]
	s_cbranch_execz .LBB37_360
.LBB37_1127:
	ds_read_b64 v[27:28], v26 offset:22784
	ds_read_b64 v[29:30], v25 offset:20832
	s_waitcnt lgkmcnt(0)
	v_fma_f64 v[10:11], v[27:28], v[29:30], v[10:11]
	s_or_b64 exec, exec, s[16:17]
	v_cmp_gt_u32_e64 s[10:11], 24, v15
	s_and_saveexec_b64 s[16:17], s[10:11]
	s_cbranch_execz .LBB37_361
.LBB37_1128:
	ds_read_b64 v[27:28], v26 offset:23296
	ds_read_b64 v[29:30], v25 offset:20840
	s_waitcnt lgkmcnt(0)
	v_fma_f64 v[10:11], v[27:28], v[29:30], v[10:11]
	s_or_b64 exec, exec, s[16:17]
	s_and_saveexec_b64 s[10:11], s[2:3]
	s_cbranch_execz .LBB37_362
.LBB37_1129:
	ds_read_b64 v[26:27], v26 offset:23808
	ds_read_b64 v[28:29], v25 offset:20848
	s_waitcnt lgkmcnt(0)
	v_fma_f64 v[10:11], v[26:27], v[28:29], v[10:11]
	s_or_b64 exec, exec, s[10:11]
	v_cmp_gt_u32_e64 s[10:11], 8, v15
	s_and_saveexec_b64 s[16:17], s[10:11]
	s_cbranch_execnz .LBB37_363
	s_branch .LBB37_364
.LBB37_1130:
	ds_read_b64 v[27:28], v26 offset:19200
	ds_read_b64 v[29:30], v25 offset:18728
	s_waitcnt lgkmcnt(0)
	v_fma_f64 v[10:11], v[27:28], v[29:30], v[10:11]
	s_or_b64 exec, exec, s[16:17]
	v_cmp_gt_u32_e64 s[10:11], 8, v15
	s_and_saveexec_b64 s[16:17], s[10:11]
	s_cbranch_execz .LBB37_416
.LBB37_1131:
	ds_read_b64 v[26:27], v26 offset:19712
	ds_read_b64 v[28:29], v25 offset:18736
	s_waitcnt lgkmcnt(0)
	v_fma_f64 v[10:11], v[26:27], v[28:29], v[10:11]
	s_or_b64 exec, exec, s[16:17]
	v_cmp_gt_u32_e64 s[10:11], 4, v15
	s_and_saveexec_b64 s[16:17], s[10:11]
	s_cbranch_execnz .LBB37_417
	s_branch .LBB37_418
.LBB37_1132:
	ds_read_b64 v[30:31], v26 offset:31232
	ds_read_b64 v[32:33], v29 offset:16872
	s_waitcnt lgkmcnt(0)
	v_fma_f64 v[10:11], v[30:31], v[32:33], v[10:11]
	s_or_b64 exec, exec, s[90:91]
	s_and_saveexec_b64 s[16:17], s[14:15]
	s_cbranch_execz .LBB37_510
.LBB37_1133:
	ds_read_b64 v[30:31], v26 offset:31744
	ds_read_b64 v[32:33], v29 offset:16880
	s_waitcnt lgkmcnt(0)
	v_fma_f64 v[10:11], v[30:31], v[32:33], v[10:11]
	s_or_b64 exec, exec, s[16:17]
	v_cmp_gt_u32_e64 s[16:17], 32, v15
	s_and_saveexec_b64 s[90:91], s[16:17]
	s_cbranch_execnz .LBB37_511
	s_branch .LBB37_512
.LBB37_1134:
	ds_read_b64 v[27:28], v26 offset:15040
	ds_read_b64 v[29:30], v25 offset:14568
	s_waitcnt lgkmcnt(0)
	v_fma_f64 v[10:11], v[27:28], v[29:30], v[10:11]
	s_or_b64 exec, exec, s[16:17]
	v_cmp_gt_u32_e64 s[10:11], 8, v15
	s_and_saveexec_b64 s[16:17], s[10:11]
	s_cbranch_execz .LBB37_660
.LBB37_1135:
	ds_read_b64 v[26:27], v26 offset:15552
	ds_read_b64 v[28:29], v25 offset:14576
	s_waitcnt lgkmcnt(0)
	v_fma_f64 v[10:11], v[26:27], v[28:29], v[10:11]
	s_or_b64 exec, exec, s[16:17]
	v_cmp_gt_u32_e64 s[10:11], 4, v15
	s_and_saveexec_b64 s[16:17], s[10:11]
	s_cbranch_execnz .LBB37_661
	s_branch .LBB37_662
.LBB37_1136:
	ds_read_b64 v[27:28], v26 offset:12928
	ds_read_b64 v[29:30], v25 offset:12488
	s_waitcnt lgkmcnt(0)
	v_fma_f64 v[10:11], v[27:28], v[29:30], v[10:11]
	s_or_b64 exec, exec, s[16:17]
	v_cmp_gt_u32_e64 s[10:11], 48, v15
	s_and_saveexec_b64 s[16:17], s[10:11]
	s_cbranch_execz .LBB37_698
.LBB37_1137:
	ds_read_b64 v[27:28], v26 offset:13440
	ds_read_b64 v[29:30], v25 offset:12496
	s_waitcnt lgkmcnt(0)
	v_fma_f64 v[10:11], v[27:28], v[29:30], v[10:11]
	s_or_b64 exec, exec, s[16:17]
	v_cmp_gt_u32_e64 s[10:11], 40, v15
	s_and_saveexec_b64 s[16:17], s[10:11]
	s_cbranch_execz .LBB37_699
.LBB37_1138:
	ds_read_b64 v[27:28], v26 offset:13952
	ds_read_b64 v[29:30], v25 offset:12504
	s_waitcnt lgkmcnt(0)
	v_fma_f64 v[10:11], v[27:28], v[29:30], v[10:11]
	s_or_b64 exec, exec, s[16:17]
	v_cmp_gt_u32_e64 s[10:11], 32, v15
	s_and_saveexec_b64 s[16:17], s[10:11]
	s_cbranch_execz .LBB37_700
.LBB37_1139:
	ds_read_b64 v[27:28], v26 offset:14464
	ds_read_b64 v[29:30], v25 offset:12512
	s_waitcnt lgkmcnt(0)
	v_fma_f64 v[10:11], v[27:28], v[29:30], v[10:11]
	s_or_b64 exec, exec, s[16:17]
	v_cmp_gt_u32_e64 s[10:11], 24, v15
	s_and_saveexec_b64 s[16:17], s[10:11]
	s_cbranch_execz .LBB37_701
.LBB37_1140:
	ds_read_b64 v[27:28], v26 offset:14976
	ds_read_b64 v[29:30], v25 offset:12520
	s_waitcnt lgkmcnt(0)
	v_fma_f64 v[10:11], v[27:28], v[29:30], v[10:11]
	s_or_b64 exec, exec, s[16:17]
	s_and_saveexec_b64 s[10:11], s[2:3]
	s_cbranch_execz .LBB37_702
.LBB37_1141:
	ds_read_b64 v[26:27], v26 offset:15488
	ds_read_b64 v[28:29], v25 offset:12528
	s_waitcnt lgkmcnt(0)
	v_fma_f64 v[10:11], v[26:27], v[28:29], v[10:11]
	s_or_b64 exec, exec, s[10:11]
	v_cmp_gt_u32_e64 s[10:11], 8, v15
	s_and_saveexec_b64 s[16:17], s[10:11]
	s_cbranch_execnz .LBB37_703
	s_branch .LBB37_704
.LBB37_1142:
	ds_read_b64 v[27:28], v26 offset:10880
	ds_read_b64 v[29:30], v25 offset:10408
	s_waitcnt lgkmcnt(0)
	v_fma_f64 v[10:11], v[27:28], v[29:30], v[10:11]
	s_or_b64 exec, exec, s[16:17]
	v_cmp_gt_u32_e64 s[10:11], 8, v15
	s_and_saveexec_b64 s[16:17], s[10:11]
	s_cbranch_execz .LBB37_756
.LBB37_1143:
	ds_read_b64 v[26:27], v26 offset:11392
	ds_read_b64 v[28:29], v25 offset:10416
	s_waitcnt lgkmcnt(0)
	v_fma_f64 v[10:11], v[26:27], v[28:29], v[10:11]
	s_or_b64 exec, exec, s[16:17]
	v_cmp_gt_u32_e64 s[10:11], 4, v15
	s_and_saveexec_b64 s[16:17], s[10:11]
	s_cbranch_execnz .LBB37_757
	s_branch .LBB37_758
.LBB37_1144:
	ds_read_b64 v[27:28], v26 offset:13824
	ds_read_b64 v[29:30], v25 offset:8408
	s_waitcnt lgkmcnt(0)
	v_fma_f64 v[10:11], v[27:28], v[29:30], v[10:11]
	s_or_b64 exec, exec, s[16:17]
	s_and_saveexec_b64 s[10:11], s[14:15]
	s_cbranch_execz .LBB37_814
.LBB37_1145:
	ds_read_b64 v[27:28], v26 offset:14336
	ds_read_b64 v[29:30], v25 offset:8416
	s_waitcnt lgkmcnt(0)
	v_fma_f64 v[10:11], v[27:28], v[29:30], v[10:11]
	s_or_b64 exec, exec, s[10:11]
	v_cmp_gt_u32_e64 s[10:11], 48, v15
	s_and_saveexec_b64 s[16:17], s[10:11]
	s_cbranch_execz .LBB37_815
.LBB37_1146:
	ds_read_b64 v[27:28], v26 offset:14848
	ds_read_b64 v[29:30], v25 offset:8424
	s_waitcnt lgkmcnt(0)
	v_fma_f64 v[10:11], v[27:28], v[29:30], v[10:11]
	s_or_b64 exec, exec, s[16:17]
	v_cmp_gt_u32_e64 s[10:11], 32, v15
	s_and_saveexec_b64 s[16:17], s[10:11]
	s_cbranch_execz .LBB37_816
.LBB37_1147:
	ds_read_b64 v[26:27], v26 offset:15360
	ds_read_b64 v[28:29], v25 offset:8432
	s_waitcnt lgkmcnt(0)
	v_fma_f64 v[10:11], v[26:27], v[28:29], v[10:11]
	s_or_b64 exec, exec, s[16:17]
	v_cmp_gt_u32_e64 s[10:11], 16, v15
	s_and_saveexec_b64 s[16:17], s[10:11]
	s_cbranch_execnz .LBB37_817
	s_branch .LBB37_818
.LBB37_1148:
	ds_read_b64 v[24:25], v23 offset:6720
	ds_read_b64 v[26:27], v22 offset:6248
	s_waitcnt lgkmcnt(0)
	v_fma_f64 v[10:11], v[24:25], v[26:27], v[10:11]
	s_or_b64 exec, exec, s[12:13]
	v_cmp_gt_u32_e64 s[8:9], 8, v15
	s_and_saveexec_b64 s[12:13], s[8:9]
	s_cbranch_execz .LBB37_902
.LBB37_1149:
	ds_read_b64 v[23:24], v23 offset:7232
	ds_read_b64 v[25:26], v22 offset:6256
	s_waitcnt lgkmcnt(0)
	v_fma_f64 v[10:11], v[23:24], v[25:26], v[10:11]
	s_or_b64 exec, exec, s[12:13]
	v_cmp_gt_u32_e64 s[8:9], 4, v15
	s_and_saveexec_b64 s[12:13], s[8:9]
	s_cbranch_execnz .LBB37_903
	s_branch .LBB37_904
.LBB37_1150:
	ds_read_b64 v[24:25], v23 offset:4608
	ds_read_b64 v[26:27], v22 offset:4168
	s_waitcnt lgkmcnt(0)
	v_fma_f64 v[10:11], v[24:25], v[26:27], v[10:11]
	s_or_b64 exec, exec, s[12:13]
	v_cmp_gt_u32_e64 s[8:9], 48, v15
	s_and_saveexec_b64 s[12:13], s[8:9]
	s_cbranch_execz .LBB37_940
.LBB37_1151:
	ds_read_b64 v[24:25], v23 offset:5120
	ds_read_b64 v[26:27], v22 offset:4176
	s_waitcnt lgkmcnt(0)
	v_fma_f64 v[10:11], v[24:25], v[26:27], v[10:11]
	s_or_b64 exec, exec, s[12:13]
	v_cmp_gt_u32_e64 s[8:9], 40, v15
	s_and_saveexec_b64 s[12:13], s[8:9]
	s_cbranch_execz .LBB37_941
.LBB37_1152:
	ds_read_b64 v[24:25], v23 offset:5632
	ds_read_b64 v[26:27], v22 offset:4184
	s_waitcnt lgkmcnt(0)
	v_fma_f64 v[10:11], v[24:25], v[26:27], v[10:11]
	s_or_b64 exec, exec, s[12:13]
	v_cmp_gt_u32_e64 s[8:9], 32, v15
	s_and_saveexec_b64 s[12:13], s[8:9]
	s_cbranch_execz .LBB37_942
.LBB37_1153:
	ds_read_b64 v[24:25], v23 offset:6144
	ds_read_b64 v[26:27], v22 offset:4192
	s_waitcnt lgkmcnt(0)
	v_fma_f64 v[10:11], v[24:25], v[26:27], v[10:11]
	s_or_b64 exec, exec, s[12:13]
	v_cmp_gt_u32_e64 s[8:9], 24, v15
	s_and_saveexec_b64 s[12:13], s[8:9]
	s_cbranch_execz .LBB37_943
.LBB37_1154:
	ds_read_b64 v[24:25], v23 offset:6656
	ds_read_b64 v[26:27], v22 offset:4200
	s_waitcnt lgkmcnt(0)
	v_fma_f64 v[10:11], v[24:25], v[26:27], v[10:11]
	s_or_b64 exec, exec, s[12:13]
	s_and_saveexec_b64 s[8:9], s[2:3]
	s_cbranch_execz .LBB37_944
.LBB37_1155:
	ds_read_b64 v[23:24], v23 offset:7168
	ds_read_b64 v[25:26], v22 offset:4208
	s_waitcnt lgkmcnt(0)
	v_fma_f64 v[10:11], v[23:24], v[25:26], v[10:11]
	s_or_b64 exec, exec, s[8:9]
	v_cmp_gt_u32_e64 s[8:9], 8, v15
	s_and_saveexec_b64 s[12:13], s[8:9]
	s_cbranch_execnz .LBB37_945
	s_branch .LBB37_946
.LBB37_1156:
	ds_read_b64 v[21:22], v20 offset:2560
	ds_read_b64 v[23:24], v19 offset:2088
	s_waitcnt lgkmcnt(0)
	v_fma_f64 v[10:11], v[21:22], v[23:24], v[10:11]
	s_or_b64 exec, exec, s[12:13]
	v_cmp_gt_u32_e64 s[8:9], 8, v15
	s_and_saveexec_b64 s[12:13], s[8:9]
	s_cbranch_execz .LBB37_998
.LBB37_1157:
	ds_read_b64 v[20:21], v20 offset:3072
	ds_read_b64 v[22:23], v19 offset:2096
	s_waitcnt lgkmcnt(0)
	v_fma_f64 v[10:11], v[20:21], v[22:23], v[10:11]
	s_or_b64 exec, exec, s[12:13]
	v_cmp_gt_u32_e64 s[8:9], 4, v15
	s_and_saveexec_b64 s[12:13], s[8:9]
	s_cbranch_execnz .LBB37_999
	s_branch .LBB37_1000
	.section	.rodata,"a",@progbits
	.p2align	6, 0x0
	.amdhsa_kernel _ZL19rocblas_trsv_deviceILi64ELi16ELb0ELb0ELb0ELb1EddPKdPdEviT7_lllT6_T8_lllPii
		.amdhsa_group_segment_fixed_size 41480
		.amdhsa_private_segment_fixed_size 0
		.amdhsa_kernarg_size 352
		.amdhsa_user_sgpr_count 6
		.amdhsa_user_sgpr_private_segment_buffer 1
		.amdhsa_user_sgpr_dispatch_ptr 0
		.amdhsa_user_sgpr_queue_ptr 0
		.amdhsa_user_sgpr_kernarg_segment_ptr 1
		.amdhsa_user_sgpr_dispatch_id 0
		.amdhsa_user_sgpr_flat_scratch_init 0
		.amdhsa_user_sgpr_private_segment_size 0
		.amdhsa_uses_dynamic_stack 0
		.amdhsa_system_sgpr_private_segment_wavefront_offset 0
		.amdhsa_system_sgpr_workgroup_id_x 1
		.amdhsa_system_sgpr_workgroup_id_y 0
		.amdhsa_system_sgpr_workgroup_id_z 1
		.amdhsa_system_sgpr_workgroup_info 0
		.amdhsa_system_vgpr_workitem_id 1
		.amdhsa_next_free_vgpr 49
		.amdhsa_next_free_sgpr 98
		.amdhsa_reserve_vcc 1
		.amdhsa_reserve_flat_scratch 0
		.amdhsa_float_round_mode_32 0
		.amdhsa_float_round_mode_16_64 0
		.amdhsa_float_denorm_mode_32 3
		.amdhsa_float_denorm_mode_16_64 3
		.amdhsa_dx10_clamp 1
		.amdhsa_ieee_mode 1
		.amdhsa_fp16_overflow 0
		.amdhsa_exception_fp_ieee_invalid_op 0
		.amdhsa_exception_fp_denorm_src 0
		.amdhsa_exception_fp_ieee_div_zero 0
		.amdhsa_exception_fp_ieee_overflow 0
		.amdhsa_exception_fp_ieee_underflow 0
		.amdhsa_exception_fp_ieee_inexact 0
		.amdhsa_exception_int_div_zero 0
	.end_amdhsa_kernel
	.section	.text._ZL19rocblas_trsv_deviceILi64ELi16ELb0ELb0ELb0ELb1EddPKdPdEviT7_lllT6_T8_lllPii,"axG",@progbits,_ZL19rocblas_trsv_deviceILi64ELi16ELb0ELb0ELb0ELb1EddPKdPdEviT7_lllT6_T8_lllPii,comdat
.Lfunc_end37:
	.size	_ZL19rocblas_trsv_deviceILi64ELi16ELb0ELb0ELb0ELb1EddPKdPdEviT7_lllT6_T8_lllPii, .Lfunc_end37-_ZL19rocblas_trsv_deviceILi64ELi16ELb0ELb0ELb0ELb1EddPKdPdEviT7_lllT6_T8_lllPii
                                        ; -- End function
	.set _ZL19rocblas_trsv_deviceILi64ELi16ELb0ELb0ELb0ELb1EddPKdPdEviT7_lllT6_T8_lllPii.num_vgpr, 35
	.set _ZL19rocblas_trsv_deviceILi64ELi16ELb0ELb0ELb0ELb1EddPKdPdEviT7_lllT6_T8_lllPii.num_agpr, 0
	.set _ZL19rocblas_trsv_deviceILi64ELi16ELb0ELb0ELb0ELb1EddPKdPdEviT7_lllT6_T8_lllPii.numbered_sgpr, 96
	.set _ZL19rocblas_trsv_deviceILi64ELi16ELb0ELb0ELb0ELb1EddPKdPdEviT7_lllT6_T8_lllPii.num_named_barrier, 0
	.set _ZL19rocblas_trsv_deviceILi64ELi16ELb0ELb0ELb0ELb1EddPKdPdEviT7_lllT6_T8_lllPii.private_seg_size, 0
	.set _ZL19rocblas_trsv_deviceILi64ELi16ELb0ELb0ELb0ELb1EddPKdPdEviT7_lllT6_T8_lllPii.uses_vcc, 1
	.set _ZL19rocblas_trsv_deviceILi64ELi16ELb0ELb0ELb0ELb1EddPKdPdEviT7_lllT6_T8_lllPii.uses_flat_scratch, 0
	.set _ZL19rocblas_trsv_deviceILi64ELi16ELb0ELb0ELb0ELb1EddPKdPdEviT7_lllT6_T8_lllPii.has_dyn_sized_stack, 0
	.set _ZL19rocblas_trsv_deviceILi64ELi16ELb0ELb0ELb0ELb1EddPKdPdEviT7_lllT6_T8_lllPii.has_recursion, 0
	.set _ZL19rocblas_trsv_deviceILi64ELi16ELb0ELb0ELb0ELb1EddPKdPdEviT7_lllT6_T8_lllPii.has_indirect_call, 0
	.section	.AMDGPU.csdata,"",@progbits
; Kernel info:
; codeLenInByte = 31764
; TotalNumSgprs: 100
; NumVgprs: 35
; ScratchSize: 0
; MemoryBound: 0
; FloatMode: 240
; IeeeMode: 1
; LDSByteSize: 41480 bytes/workgroup (compile time only)
; SGPRBlocks: 12
; VGPRBlocks: 12
; NumSGPRsForWavesPerEU: 102
; NumVGPRsForWavesPerEU: 49
; Occupancy: 4
; WaveLimiterHint : 0
; COMPUTE_PGM_RSRC2:SCRATCH_EN: 0
; COMPUTE_PGM_RSRC2:USER_SGPR: 6
; COMPUTE_PGM_RSRC2:TRAP_HANDLER: 0
; COMPUTE_PGM_RSRC2:TGID_X_EN: 1
; COMPUTE_PGM_RSRC2:TGID_Y_EN: 0
; COMPUTE_PGM_RSRC2:TGID_Z_EN: 1
; COMPUTE_PGM_RSRC2:TIDIG_COMP_CNT: 1
	.section	.text._ZL19rocblas_trsv_deviceILi64ELi16ELb0ELb1ELb0ELb1EddPKdPdEviT7_lllT6_T8_lllPii,"axG",@progbits,_ZL19rocblas_trsv_deviceILi64ELi16ELb0ELb1ELb0ELb1EddPKdPdEviT7_lllT6_T8_lllPii,comdat
	.globl	_ZL19rocblas_trsv_deviceILi64ELi16ELb0ELb1ELb0ELb1EddPKdPdEviT7_lllT6_T8_lllPii ; -- Begin function _ZL19rocblas_trsv_deviceILi64ELi16ELb0ELb1ELb0ELb1EddPKdPdEviT7_lllT6_T8_lllPii
	.p2align	8
	.type	_ZL19rocblas_trsv_deviceILi64ELi16ELb0ELb1ELb0ELb1EddPKdPdEviT7_lllT6_T8_lllPii,@function
_ZL19rocblas_trsv_deviceILi64ELi16ELb0ELb1ELb0ELb1EddPKdPdEviT7_lllT6_T8_lllPii: ; @_ZL19rocblas_trsv_deviceILi64ELi16ELb0ELb1ELb0ELb1EddPKdPdEviT7_lllT6_T8_lllPii
; %bb.0:
	s_load_dwordx16 s[36:51], s[4:5], 0x8
	s_load_dword s33, s[4:5], 0x0
	s_mov_b32 s22, s7
	s_mov_b32 s23, 0
	s_waitcnt lgkmcnt(0)
	s_mul_i32 s0, s43, s7
	s_mul_hi_u32 s1, s42, s7
	s_add_i32 s1, s1, s0
	s_mul_i32 s0, s42, s7
	s_lshl_b64 s[0:1], s[0:1], 3
	s_add_u32 s2, s36, s0
	s_load_dword s36, s[4:5], 0x6c
	s_addc_u32 s3, s37, s1
	s_lshl_b64 s[0:1], s[38:39], 3
	s_add_u32 s88, s2, s0
	s_addc_u32 s89, s3, s1
	s_cmp_eq_u32 s6, 0
	s_cbranch_scc1 .LBB38_10
; %bb.1:
	s_lshl_b32 s2, s6, 6
	v_add_u32_e32 v4, s2, v0
	v_ashrrev_i32_e32 v2, 31, v4
	v_mul_lo_u32 v5, s40, v2
	v_mul_lo_u32 v6, s41, v4
	v_mad_u64_u32 v[2:3], s[0:1], s40, v4, 0
	v_add_u32_e32 v7, s2, v1
	v_subrev_u32_e32 v10, 64, v7
	v_add3_u32 v3, v3, v5, v6
	v_lshlrev_b64 v[2:3], 3, v[2:3]
	v_ashrrev_i32_e32 v11, 31, v10
	v_cmp_gt_i32_e32 vcc, s33, v4
	v_mov_b32_e32 v4, s89
	v_add_co_u32_e64 v5, s[0:1], s88, v2
	v_addc_co_u32_e64 v4, s[0:1], v4, v3, s[0:1]
	v_lshlrev_b64 v[2:3], 3, v[10:11]
	s_waitcnt lgkmcnt(0)
	v_add_co_u32_e64 v11, s[0:1], v5, v2
	v_addc_co_u32_e64 v12, s[0:1], v4, v3, s[0:1]
	v_cmp_gt_i32_e64 s[0:1], s33, v10
	v_mov_b32_e32 v2, 0
	v_mov_b32_e32 v4, 0
	;; [unrolled: 1-line block ×4, first 2 shown]
	s_and_b64 s[2:3], s[0:1], vcc
	s_barrier
	s_and_saveexec_b64 s[0:1], s[2:3]
	s_cbranch_execz .LBB38_3
; %bb.2:
	global_load_dwordx2 v[4:5], v[11:12], off
.LBB38_3:
	s_or_b64 exec, exec, s[0:1]
	v_add_u32_e32 v6, 16, v10
	v_cmp_gt_i32_e64 s[0:1], s33, v6
	s_and_b64 s[2:3], s[0:1], vcc
	s_waitcnt vmcnt(0)
	s_barrier
	s_and_saveexec_b64 s[0:1], s[2:3]
	s_cbranch_execz .LBB38_5
; %bb.4:
	global_load_dwordx2 v[2:3], v[11:12], off offset:128
.LBB38_5:
	s_or_b64 exec, exec, s[0:1]
	v_add_u32_e32 v6, 32, v10
	v_cmp_gt_i32_e64 s[0:1], s33, v6
	v_mov_b32_e32 v6, 0
	v_mov_b32_e32 v8, 0
	;; [unrolled: 1-line block ×4, first 2 shown]
	s_and_b64 s[2:3], s[0:1], vcc
	s_waitcnt vmcnt(0)
	s_barrier
	s_and_saveexec_b64 s[0:1], s[2:3]
	s_cbranch_execz .LBB38_7
; %bb.6:
	global_load_dwordx2 v[8:9], v[11:12], off offset:256
.LBB38_7:
	s_or_b64 exec, exec, s[0:1]
	v_add_u32_e32 v10, 48, v10
	v_cmp_gt_i32_e64 s[0:1], s33, v10
	s_and_b64 s[2:3], s[0:1], vcc
	s_waitcnt vmcnt(0)
	s_barrier
	s_and_saveexec_b64 s[0:1], s[2:3]
	s_cbranch_execz .LBB38_9
; %bb.8:
	global_load_dwordx2 v[6:7], v[11:12], off offset:384
.LBB38_9:
	s_or_b64 exec, exec, s[0:1]
	s_branch .LBB38_11
.LBB38_10:
                                        ; implicit-def: $vgpr6_vgpr7
                                        ; implicit-def: $vgpr8_vgpr9
                                        ; implicit-def: $vgpr2_vgpr3
                                        ; implicit-def: $vgpr4_vgpr5
.LBB38_11:
	s_ashr_i32 s0, s33, 31
	s_lshr_b32 s0, s0, 26
	s_add_i32 s0, s33, s0
	s_andn2_b32 s0, s0, 63
	s_sub_i32 s7, s33, s0
	s_add_i32 s0, s33, -1
	s_ashr_i32 s1, s0, 31
	s_lshr_b32 s1, s1, 26
	s_add_i32 s0, s0, s1
	s_ashr_i32 s0, s0, 6
	s_cmp_eq_u32 s0, s6
	s_cselect_b64 s[0:1], -1, 0
	s_cmp_lg_u32 s7, 0
	s_cselect_b64 s[2:3], -1, 0
	s_and_b64 s[24:25], s[2:3], s[0:1]
	s_cmp_lt_i32 s6, 5
	s_cselect_b64 s[2:3], -1, 0
	s_mov_b64 s[12:13], -1
	s_or_b64 s[0:1], s[2:3], s[24:25]
	v_lshlrev_b32_e32 v14, 6, v0
	s_and_b64 vcc, exec, s[24:25]
	v_cmp_le_u32_e64 s[8:9], v1, v0
	v_lshlrev_b32_e32 v18, 3, v0
	s_cbranch_vccnz .LBB38_33
; %bb.12:
	s_add_u32 s10, s40, 1
	s_addc_u32 s11, s41, 0
	s_lshl_b32 s12, s6, 6
	s_ashr_i32 s13, s12, 31
	s_mul_hi_u32 s14, s10, s12
	s_mul_i32 s13, s10, s13
	s_add_i32 s13, s14, s13
	s_mul_i32 s11, s11, s12
	s_add_i32 s11, s13, s11
	s_mul_i32 s10, s10, s12
	s_lshl_b64 s[10:11], s[10:11], 3
	s_add_u32 s10, s88, s10
	s_addc_u32 s11, s89, s11
	v_lshlrev_b32_e32 v10, 3, v0
	v_mov_b32_e32 v11, s11
	v_add_co_u32_e32 v10, vcc, s10, v10
	v_addc_co_u32_e32 v11, vcc, 0, v11, vcc
	s_mov_b64 s[10:11], 0
	s_and_saveexec_b64 s[12:13], s[8:9]
	s_xor_b64 s[8:9], exec, s[12:13]
; %bb.13:
	v_or_b32_e32 v12, v1, v0
	v_cmp_gt_u32_e32 vcc, 64, v12
	s_and_b64 s[10:11], vcc, exec
; %bb.14:
	s_or_saveexec_b64 s[8:9], s[8:9]
	v_mov_b32_e32 v12, 0
	v_mov_b32_e32 v13, 0
	s_xor_b64 exec, exec, s[8:9]
	s_cbranch_execz .LBB38_16
; %bb.15:
	v_mad_u64_u32 v[12:13], s[12:13], s40, v1, 0
	s_or_b64 s[10:11], s[10:11], exec
	v_mad_u64_u32 v[15:16], s[12:13], s41, v1, v[13:14]
	v_mov_b32_e32 v13, v15
	v_lshlrev_b64 v[12:13], 3, v[12:13]
	v_add_co_u32_e32 v12, vcc, v10, v12
	v_addc_co_u32_e32 v13, vcc, v11, v13, vcc
	global_load_dwordx2 v[12:13], v[12:13], off
	s_waitcnt vmcnt(0)
	v_xor_b32_e32 v13, 0x80000000, v13
.LBB38_16:
	s_or_b64 exec, exec, s[8:9]
	s_and_saveexec_b64 s[8:9], s[10:11]
; %bb.17:
	v_add_u32_e32 v15, v1, v14
	v_lshl_add_u32 v16, v1, 6, v0
	v_cndmask_b32_e64 v15, v16, v15, s[2:3]
	v_lshlrev_b32_e32 v15, 3, v15
	ds_write_b64 v15, v[12:13]
; %bb.18:
	s_or_b64 exec, exec, s[8:9]
	v_add_u32_e32 v15, 16, v1
	v_cmp_le_u32_e32 vcc, v15, v0
	s_mov_b64 s[2:3], 0
	s_and_saveexec_b64 s[8:9], vcc
	s_xor_b64 s[8:9], exec, s[8:9]
; %bb.19:
	v_or_b32_e32 v12, v15, v0
	v_cmp_gt_u32_e32 vcc, 64, v12
	s_and_b64 s[2:3], vcc, exec
; %bb.20:
	s_or_saveexec_b64 s[8:9], s[8:9]
	v_mov_b32_e32 v12, 0
	v_mov_b32_e32 v13, 0
	s_xor_b64 exec, exec, s[8:9]
	s_cbranch_execz .LBB38_22
; %bb.21:
	v_mad_u64_u32 v[12:13], s[10:11], s40, v15, 0
	s_or_b64 s[2:3], s[2:3], exec
	v_mad_u64_u32 v[16:17], s[10:11], s41, v15, v[13:14]
	v_mov_b32_e32 v13, v16
	v_lshlrev_b64 v[12:13], 3, v[12:13]
	v_add_co_u32_e32 v12, vcc, v10, v12
	v_addc_co_u32_e32 v13, vcc, v11, v13, vcc
	global_load_dwordx2 v[12:13], v[12:13], off
	s_waitcnt vmcnt(0)
	v_xor_b32_e32 v13, 0x80000000, v13
.LBB38_22:
	s_or_b64 exec, exec, s[8:9]
	s_and_saveexec_b64 s[8:9], s[2:3]
; %bb.23:
	v_add_u32_e32 v16, v15, v14
	v_lshl_add_u32 v15, v15, 6, v0
	v_cndmask_b32_e64 v15, v15, v16, s[0:1]
	v_lshlrev_b32_e32 v15, 3, v15
	ds_write_b64 v15, v[12:13]
; %bb.24:
	s_or_b64 exec, exec, s[8:9]
	v_add_u32_e32 v15, 32, v1
	v_cmp_le_u32_e32 vcc, v15, v0
	s_mov_b64 s[2:3], 0
	s_and_saveexec_b64 s[8:9], vcc
	s_xor_b64 s[8:9], exec, s[8:9]
; %bb.25:
	v_or_b32_e32 v12, v15, v0
	v_cmp_gt_u32_e32 vcc, 64, v12
	s_and_b64 s[2:3], vcc, exec
; %bb.26:
	s_or_saveexec_b64 s[8:9], s[8:9]
	v_mov_b32_e32 v12, 0
	v_mov_b32_e32 v13, 0
	s_xor_b64 exec, exec, s[8:9]
	s_cbranch_execz .LBB38_28
; %bb.27:
	v_mad_u64_u32 v[12:13], s[10:11], s40, v15, 0
	s_or_b64 s[2:3], s[2:3], exec
	v_mad_u64_u32 v[16:17], s[10:11], s41, v15, v[13:14]
	v_mov_b32_e32 v13, v16
	v_lshlrev_b64 v[12:13], 3, v[12:13]
	v_add_co_u32_e32 v12, vcc, v10, v12
	v_addc_co_u32_e32 v13, vcc, v11, v13, vcc
	global_load_dwordx2 v[12:13], v[12:13], off
	s_waitcnt vmcnt(0)
	v_xor_b32_e32 v13, 0x80000000, v13
.LBB38_28:
	s_or_b64 exec, exec, s[8:9]
	s_and_saveexec_b64 s[8:9], s[2:3]
; %bb.29:
	v_add_u32_e32 v16, v15, v14
	v_lshl_add_u32 v15, v15, 6, v0
	v_cndmask_b32_e64 v15, v15, v16, s[0:1]
	v_lshlrev_b32_e32 v15, 3, v15
	ds_write_b64 v15, v[12:13]
; %bb.30:
	s_or_b64 exec, exec, s[8:9]
	v_add_u32_e32 v15, 48, v1
	v_add_u32_e32 v12, v15, v14
	v_lshl_add_u32 v13, v15, 6, v0
	v_cmp_le_u32_e32 vcc, v15, v0
	s_mov_b64 s[2:3], -1
	s_mov_b64 s[12:13], 0
	s_mov_b64 s[10:11], 0
	s_and_saveexec_b64 s[8:9], vcc
	s_xor_b64 s[8:9], exec, s[8:9]
; %bb.31:
	v_or_b32_e32 v16, v15, v0
	v_cmp_gt_u32_e32 vcc, 64, v16
	s_and_b64 s[10:11], vcc, exec
	s_xor_b64 s[2:3], exec, -1
; %bb.32:
	s_or_b64 exec, exec, s[8:9]
	v_cndmask_b32_e64 v16, v13, v12, s[0:1]
	s_and_b64 vcc, exec, s[12:13]
	s_cbranch_vccnz .LBB38_34
	s_branch .LBB38_55
.LBB38_33:
	s_mov_b64 s[2:3], 0
	s_mov_b64 s[10:11], 0
                                        ; implicit-def: $vgpr16
                                        ; implicit-def: $vgpr10_vgpr11
                                        ; implicit-def: $vgpr15
	s_and_b64 vcc, exec, s[12:13]
	s_cbranch_vccz .LBB38_55
.LBB38_34:
	s_add_u32 s2, s40, 1
	s_addc_u32 s3, s41, 0
	s_lshl_b32 s8, s6, 6
	s_ashr_i32 s9, s8, 31
	s_mul_hi_u32 s12, s2, s8
	s_mul_i32 s9, s2, s9
	s_add_i32 s9, s12, s9
	s_mul_i32 s3, s3, s8
	s_add_i32 s3, s9, s3
	s_mul_i32 s2, s2, s8
	s_lshl_b64 s[2:3], s[2:3], 3
	s_add_u32 s2, s88, s2
	s_addc_u32 s3, s89, s3
	v_lshlrev_b32_e32 v10, 3, v0
	v_mov_b32_e32 v11, s3
	v_add_co_u32_e64 v10, s[2:3], s2, v10
	v_addc_co_u32_e64 v11, s[2:3], 0, v11, s[2:3]
	v_max_i32_e32 v12, v1, v0
	v_cmp_le_u32_e64 s[2:3], v1, v0
	v_cmp_le_i32_e64 s[8:9], s7, v12
	v_cmp_gt_i32_e32 vcc, s7, v0
	s_or_b64 s[2:3], s[8:9], s[2:3]
	s_mov_b64 s[8:9], 0
	s_and_saveexec_b64 s[12:13], s[2:3]
	s_xor_b64 s[12:13], exec, s[12:13]
; %bb.35:
	v_or_b32_e32 v12, v1, v0
	v_cmp_gt_u32_e64 s[2:3], 64, v12
	s_and_b64 s[8:9], s[2:3], exec
; %bb.36:
	s_or_saveexec_b64 s[12:13], s[12:13]
	v_mov_b32_e32 v12, 0
	v_mov_b32_e32 v13, 0
	s_xor_b64 exec, exec, s[12:13]
	s_cbranch_execz .LBB38_38
; %bb.37:
	v_mad_u64_u32 v[12:13], s[2:3], s40, v1, 0
	s_or_b64 s[8:9], s[8:9], exec
	v_mad_u64_u32 v[15:16], s[2:3], s41, v1, v[13:14]
	v_mov_b32_e32 v13, v15
	v_lshlrev_b64 v[12:13], 3, v[12:13]
	v_add_co_u32_e64 v12, s[2:3], v10, v12
	v_addc_co_u32_e64 v13, s[2:3], v11, v13, s[2:3]
	global_load_dwordx2 v[12:13], v[12:13], off
	s_waitcnt vmcnt(0)
	v_xor_b32_e32 v13, 0x80000000, v13
.LBB38_38:
	s_or_b64 exec, exec, s[12:13]
	s_and_saveexec_b64 s[2:3], s[8:9]
; %bb.39:
	v_lshlrev_b32_e32 v15, 3, v14
	v_lshl_add_u32 v15, v1, 3, v15
	ds_write_b64 v15, v[12:13]
; %bb.40:
	s_or_b64 exec, exec, s[2:3]
	v_add_u32_e32 v15, 16, v1
	v_cmp_gt_u32_e64 s[2:3], v15, v0
	v_cmp_gt_i32_e64 s[8:9], s7, v15
	s_and_b64 s[2:3], s[2:3], s[8:9]
	s_and_b64 s[2:3], s[2:3], vcc
	s_xor_b64 s[2:3], s[2:3], -1
	s_mov_b64 s[8:9], 0
	s_and_saveexec_b64 s[12:13], s[2:3]
	s_xor_b64 s[12:13], exec, s[12:13]
; %bb.41:
	v_or_b32_e32 v12, v15, v0
	v_cmp_gt_u32_e64 s[2:3], 64, v12
	s_and_b64 s[8:9], s[2:3], exec
; %bb.42:
	s_or_saveexec_b64 s[12:13], s[12:13]
	v_mov_b32_e32 v12, 0
	v_mov_b32_e32 v13, 0
	s_xor_b64 exec, exec, s[12:13]
	s_cbranch_execz .LBB38_44
; %bb.43:
	v_mad_u64_u32 v[12:13], s[2:3], s40, v15, 0
	s_or_b64 s[8:9], s[8:9], exec
	v_mad_u64_u32 v[16:17], s[2:3], s41, v15, v[13:14]
	v_mov_b32_e32 v13, v16
	v_lshlrev_b64 v[12:13], 3, v[12:13]
	v_add_co_u32_e64 v12, s[2:3], v10, v12
	v_addc_co_u32_e64 v13, s[2:3], v11, v13, s[2:3]
	global_load_dwordx2 v[12:13], v[12:13], off
	s_waitcnt vmcnt(0)
	v_xor_b32_e32 v13, 0x80000000, v13
.LBB38_44:
	s_or_b64 exec, exec, s[12:13]
	s_and_saveexec_b64 s[2:3], s[8:9]
; %bb.45:
	v_add_u32_e32 v16, v15, v14
	v_lshl_add_u32 v15, v15, 6, v0
	v_cndmask_b32_e64 v15, v15, v16, s[0:1]
	v_lshlrev_b32_e32 v15, 3, v15
	ds_write_b64 v15, v[12:13]
; %bb.46:
	s_or_b64 exec, exec, s[2:3]
	v_add_u32_e32 v15, 32, v1
	v_cmp_gt_u32_e64 s[2:3], v15, v0
	v_cmp_gt_i32_e64 s[8:9], s7, v15
	s_and_b64 s[2:3], s[2:3], s[8:9]
	s_and_b64 s[2:3], s[2:3], vcc
	s_xor_b64 s[2:3], s[2:3], -1
	s_mov_b64 s[8:9], 0
	s_and_saveexec_b64 s[12:13], s[2:3]
	s_xor_b64 s[12:13], exec, s[12:13]
; %bb.47:
	v_or_b32_e32 v12, v15, v0
	v_cmp_gt_u32_e64 s[2:3], 64, v12
	s_and_b64 s[8:9], s[2:3], exec
; %bb.48:
	s_or_saveexec_b64 s[12:13], s[12:13]
	v_mov_b32_e32 v12, 0
	v_mov_b32_e32 v13, 0
	s_xor_b64 exec, exec, s[12:13]
	s_cbranch_execz .LBB38_50
; %bb.49:
	v_mad_u64_u32 v[12:13], s[2:3], s40, v15, 0
	s_or_b64 s[8:9], s[8:9], exec
	v_mad_u64_u32 v[16:17], s[2:3], s41, v15, v[13:14]
	v_mov_b32_e32 v13, v16
	v_lshlrev_b64 v[12:13], 3, v[12:13]
	v_add_co_u32_e64 v12, s[2:3], v10, v12
	v_addc_co_u32_e64 v13, s[2:3], v11, v13, s[2:3]
	global_load_dwordx2 v[12:13], v[12:13], off
	s_waitcnt vmcnt(0)
	v_xor_b32_e32 v13, 0x80000000, v13
.LBB38_50:
	s_or_b64 exec, exec, s[12:13]
	s_and_saveexec_b64 s[2:3], s[8:9]
; %bb.51:
	v_add_u32_e32 v16, v15, v14
	v_lshl_add_u32 v15, v15, 6, v0
	v_cndmask_b32_e64 v15, v15, v16, s[0:1]
	v_lshlrev_b32_e32 v15, 3, v15
	ds_write_b64 v15, v[12:13]
; %bb.52:
	s_or_b64 exec, exec, s[2:3]
	v_add_u32_e32 v15, 48, v1
	v_cmp_gt_u32_e64 s[2:3], v15, v0
	v_cmp_gt_i32_e64 s[8:9], s7, v15
	s_and_b64 s[2:3], s[2:3], s[8:9]
	s_and_b64 s[8:9], s[2:3], vcc
	v_add_u32_e32 v12, v15, v14
	v_lshl_add_u32 v13, v15, 6, v0
	s_mov_b64 s[2:3], -1
	s_xor_b64 s[12:13], s[8:9], -1
	s_and_saveexec_b64 s[8:9], s[12:13]
; %bb.53:
	v_or_b32_e32 v14, v15, v0
	v_cmp_gt_u32_e32 vcc, 64, v14
	s_andn2_b64 s[2:3], s[10:11], exec
	s_and_b64 s[10:11], vcc, exec
	s_or_b64 s[10:11], s[2:3], s[10:11]
	s_xor_b64 s[2:3], exec, -1
; %bb.54:
	s_or_b64 exec, exec, s[8:9]
	v_cndmask_b32_e64 v16, v13, v12, s[0:1]
.LBB38_55:
	v_mov_b32_e32 v12, 0
	v_mov_b32_e32 v13, 0
	s_and_saveexec_b64 s[8:9], s[2:3]
	s_cbranch_execnz .LBB38_1139
; %bb.56:
	s_or_b64 exec, exec, s[8:9]
	s_xor_b64 s[0:1], s[0:1], -1
	s_and_saveexec_b64 s[2:3], s[10:11]
.LBB38_57:
	v_lshlrev_b32_e32 v10, 3, v16
	ds_write_b64 v10, v[12:13]
.LBB38_58:
	s_or_b64 exec, exec, s[2:3]
	v_cndmask_b32_e64 v10, 0, 1, s[0:1]
	v_cmp_ne_u32_e64 s[58:59], 1, v10
	s_andn2_b64 vcc, exec, s[0:1]
	s_waitcnt vmcnt(0) lgkmcnt(0)
	s_barrier
	s_cbranch_vccnz .LBB38_1096
; %bb.59:
	v_or_b32_e32 v10, v0, v1
	v_cmp_eq_u32_e32 vcc, 0, v10
	s_and_saveexec_b64 s[0:1], vcc
	s_cbranch_execz .LBB38_61
; %bb.60:
	v_mov_b32_e32 v10, 0
	ds_read_b64 v[12:13], v10 offset:32752
	v_mov_b32_e32 v11, 0x3ff00000
	ds_write_b64 v10, v[10:11] offset:32760
	s_waitcnt lgkmcnt(1)
	ds_write_b128 v10, v[10:13] offset:32240
.LBB38_61:
	s_or_b64 exec, exec, s[0:1]
	v_lshlrev_b32_e32 v10, 6, v1
	v_add_u32_e32 v15, v10, v0
	v_and_b32_e32 v11, v10, v0
	v_xor_b32_e32 v10, v10, v0
	v_lshrrev_b16_e32 v10, 1, v10
	v_add_u16_e32 v14, v11, v10
	v_mov_b32_e32 v10, 0
	v_and_b32_e32 v12, 1, v0
	v_sub_u32_e32 v13, 1, v14
	v_cmp_lt_u32_e64 s[8:9], 3, v15
	v_mov_b32_e32 v11, 0
	v_cmp_gt_u32_e64 s[2:3], 4, v15
	s_waitcnt lgkmcnt(0)
	s_barrier
	buffer_wbinvl1_vol
	s_and_saveexec_b64 s[0:1], s[2:3]
	s_cbranch_execz .LBB38_65
; %bb.62:
	v_lshlrev_b32_e32 v16, 9, v13
	v_lshlrev_b32_e32 v10, 3, v12
	ds_read_b64 v[10:11], v10 offset:32224
	ds_read_b64 v[16:17], v16 offset:32240
	v_cmp_gt_u32_e64 s[10:11], 2, v15
	s_waitcnt lgkmcnt(0)
	v_fma_f64 v[10:11], v[10:11], v[16:17], 0
	s_and_saveexec_b64 s[12:13], s[10:11]
	s_cbranch_execz .LBB38_64
; %bb.63:
	v_lshlrev_b32_e32 v16, 3, v0
	v_mov_b32_e32 v19, 0
	ds_read_b64 v[16:17], v16 offset:32736
	ds_read_b64 v[19:20], v19 offset:32760
	s_waitcnt lgkmcnt(0)
	v_fma_f64 v[10:11], v[16:17], v[19:20], v[10:11]
.LBB38_64:
	s_or_b64 exec, exec, s[12:13]
.LBB38_65:
	s_or_b64 exec, exec, s[0:1]
	v_mov_b32_e32 v16, 0x8000
	v_cmp_ne_u32_e64 s[10:11], 0, v12
	s_xor_b64 s[0:1], s[8:9], -1
	v_lshl_add_u32 v14, v14, 3, v16
	s_and_b64 s[28:29], s[10:11], s[0:1]
	s_and_saveexec_b64 s[8:9], s[28:29]
; %bb.66:
	v_xor_b32_e32 v17, 0x80000000, v11
	v_mov_b32_e32 v16, v10
	ds_write_b64 v14, v[16:17]
; %bb.67:
	s_or_b64 exec, exec, s[8:9]
	v_cmp_eq_u32_e64 s[8:9], 0, v12
	s_and_b64 s[26:27], s[8:9], s[0:1]
	s_waitcnt lgkmcnt(0)
	s_barrier
	s_and_saveexec_b64 s[0:1], s[26:27]
	s_cbranch_execz .LBB38_69
; %bb.68:
	v_mov_b32_e32 v16, 0
	ds_read_b64 v[16:17], v16 offset:31712
	ds_read_b64 v[19:20], v14
	s_waitcnt lgkmcnt(0)
	v_fma_f64 v[10:11], -v[16:17], v[19:20], v[10:11]
.LBB38_69:
	s_or_b64 exec, exec, s[0:1]
	s_barrier
	s_and_saveexec_b64 s[0:1], s[26:27]
; %bb.70:
	v_xor_b32_e32 v17, 0x80000000, v11
	v_mov_b32_e32 v16, v10
	ds_write_b64 v14, v[16:17]
; %bb.71:
	s_or_b64 exec, exec, s[0:1]
	s_waitcnt lgkmcnt(0)
	s_barrier
	s_barrier
	s_and_saveexec_b64 s[0:1], s[2:3]
; %bb.72:
	v_lshlrev_b32_e32 v16, 3, v12
	v_lshl_or_b32 v16, v13, 9, v16
	ds_write_b64 v16, v[10:11] offset:32224
; %bb.73:
	s_or_b64 exec, exec, s[0:1]
	v_cmp_eq_u32_e64 s[12:13], 0, v1
	v_cmp_gt_u32_e64 s[8:9], 2, v0
	s_and_b64 s[30:31], s[12:13], s[8:9]
	s_waitcnt lgkmcnt(0)
	s_barrier
	s_barrier
	s_and_saveexec_b64 s[0:1], s[30:31]
	s_cbranch_execz .LBB38_75
; %bb.74:
	v_lshlrev_b32_e32 v16, 3, v0
	s_movk_i32 s8, 0x1f8
	v_mad_u32_u24 v17, v0, s8, v16
	ds_read_b64 v[10:11], v17 offset:32224
	s_waitcnt lgkmcnt(0)
	ds_write_b64 v16, v[10:11] offset:31216
	ds_read_b64 v[10:11], v17 offset:32232
	s_waitcnt lgkmcnt(0)
	ds_write_b64 v16, v[10:11] offset:31728
.LBB38_75:
	s_or_b64 exec, exec, s[0:1]
	s_waitcnt lgkmcnt(0)
	s_barrier
	s_and_saveexec_b64 s[0:1], vcc
	s_cbranch_execz .LBB38_77
; %bb.76:
	v_mov_b32_e32 v19, 0
	ds_read_b64 v[21:22], v19 offset:31712
	v_mov_b32_e32 v20, 0x3ff00000
	ds_write_b64 v19, v[19:20] offset:31720
	s_waitcnt lgkmcnt(1)
	ds_write_b128 v19, v[19:22] offset:31200
.LBB38_77:
	s_or_b64 exec, exec, s[0:1]
	v_lshrrev_b32_e32 v19, 2, v15
	v_mov_b32_e32 v10, 0
	v_and_b32_e32 v16, 3, v0
	v_sub_u32_e32 v17, 3, v19
	v_cmp_lt_u32_e64 s[8:9], 15, v15
	v_mov_b32_e32 v11, 0
	v_cmp_gt_u32_e64 s[18:19], 16, v15
	s_waitcnt lgkmcnt(0)
	s_barrier
	buffer_wbinvl1_vol
	s_and_saveexec_b64 s[0:1], s[18:19]
	s_cbranch_execz .LBB38_83
; %bb.78:
	v_lshlrev_b32_e32 v21, 3, v16
	v_lshlrev_b32_e32 v20, 9, v17
	ds_read_b64 v[10:11], v21 offset:31168
	ds_read_b64 v[22:23], v20 offset:31200
	v_cmp_gt_u32_e64 s[10:11], 12, v15
	s_waitcnt lgkmcnt(0)
	v_fma_f64 v[10:11], v[10:11], v[22:23], 0
	s_and_saveexec_b64 s[14:15], s[10:11]
	s_cbranch_execnz .LBB38_1172
; %bb.79:
	s_or_b64 exec, exec, s[14:15]
	v_cmp_gt_u32_e64 s[10:11], 8, v15
	s_and_saveexec_b64 s[14:15], s[10:11]
	s_cbranch_execnz .LBB38_1173
.LBB38_80:
	s_or_b64 exec, exec, s[14:15]
	v_cmp_gt_u32_e64 s[10:11], 4, v15
	s_and_saveexec_b64 s[14:15], s[10:11]
	s_cbranch_execz .LBB38_82
.LBB38_81:
	v_lshlrev_b32_e32 v20, 3, v0
	v_mov_b32_e32 v22, 0
	ds_read_b64 v[20:21], v20 offset:32704
	ds_read_b64 v[22:23], v22 offset:32760
	s_waitcnt lgkmcnt(0)
	v_fma_f64 v[10:11], v[20:21], v[22:23], v[10:11]
.LBB38_82:
	s_or_b64 exec, exec, s[14:15]
.LBB38_83:
	s_or_b64 exec, exec, s[0:1]
	v_mov_b32_e32 v20, 0x8000
	v_cmp_eq_u32_e64 s[10:11], 3, v16
	s_xor_b64 s[0:1], s[8:9], -1
	v_lshl_add_u32 v19, v19, 3, v20
	s_and_b64 s[36:37], s[10:11], s[0:1]
	s_and_saveexec_b64 s[8:9], s[36:37]
; %bb.84:
	v_xor_b32_e32 v21, 0x80000000, v11
	v_mov_b32_e32 v20, v10
	ds_write_b64 v19, v[20:21]
; %bb.85:
	s_or_b64 exec, exec, s[8:9]
	v_cmp_ne_u32_e64 s[8:9], 3, v16
	s_and_b64 s[38:39], s[8:9], s[0:1]
	s_waitcnt lgkmcnt(0)
	s_barrier
	s_and_saveexec_b64 s[8:9], s[38:39]
	s_cbranch_execz .LBB38_87
; %bb.86:
	v_lshlrev_b32_e32 v20, 3, v16
	ds_read_b64 v[20:21], v20 offset:30656
	ds_read_b64 v[22:23], v19
	s_waitcnt lgkmcnt(0)
	v_fma_f64 v[10:11], -v[20:21], v[22:23], v[10:11]
.LBB38_87:
	s_or_b64 exec, exec, s[8:9]
	v_cmp_eq_u32_e64 s[8:9], 2, v16
	s_and_b64 s[42:43], s[8:9], s[0:1]
	s_barrier
	s_and_saveexec_b64 s[8:9], s[42:43]
; %bb.88:
	v_xor_b32_e32 v21, 0x80000000, v11
	v_mov_b32_e32 v20, v10
	ds_write_b64 v19, v[20:21]
; %bb.89:
	s_or_b64 exec, exec, s[8:9]
	v_cmp_gt_u32_e64 s[8:9], 2, v16
	s_and_b64 s[52:53], s[8:9], s[0:1]
	s_waitcnt lgkmcnt(0)
	s_barrier
	s_and_saveexec_b64 s[8:9], s[52:53]
	s_cbranch_execz .LBB38_91
; %bb.90:
	v_lshlrev_b32_e32 v20, 3, v16
	ds_read_b64 v[20:21], v20 offset:30144
	ds_read_b64 v[22:23], v19
	s_waitcnt lgkmcnt(0)
	v_fma_f64 v[10:11], -v[20:21], v[22:23], v[10:11]
.LBB38_91:
	s_or_b64 exec, exec, s[8:9]
	v_cmp_eq_u32_e64 s[8:9], 1, v16
	s_and_b64 s[54:55], s[8:9], s[0:1]
	s_barrier
	s_and_saveexec_b64 s[8:9], s[54:55]
; %bb.92:
	v_xor_b32_e32 v21, 0x80000000, v11
	v_mov_b32_e32 v20, v10
	ds_write_b64 v19, v[20:21]
; %bb.93:
	s_or_b64 exec, exec, s[8:9]
	v_cmp_eq_u32_e64 s[8:9], 0, v16
	s_and_b64 s[34:35], s[8:9], s[0:1]
	s_waitcnt lgkmcnt(0)
	s_barrier
	s_and_saveexec_b64 s[0:1], s[34:35]
	s_cbranch_execz .LBB38_95
; %bb.94:
	v_mov_b32_e32 v20, 0
	ds_read_b64 v[20:21], v20 offset:29632
	ds_read_b64 v[22:23], v19
	s_waitcnt lgkmcnt(0)
	v_fma_f64 v[10:11], -v[20:21], v[22:23], v[10:11]
.LBB38_95:
	s_or_b64 exec, exec, s[0:1]
	s_barrier
	s_and_saveexec_b64 s[0:1], s[34:35]
; %bb.96:
	v_xor_b32_e32 v21, 0x80000000, v11
	v_mov_b32_e32 v20, v10
	ds_write_b64 v19, v[20:21]
; %bb.97:
	s_or_b64 exec, exec, s[0:1]
	s_waitcnt lgkmcnt(0)
	s_barrier
	s_barrier
	s_and_saveexec_b64 s[0:1], s[18:19]
; %bb.98:
	v_lshlrev_b32_e32 v20, 3, v16
	v_lshl_or_b32 v20, v17, 9, v20
	ds_write_b64 v20, v[10:11] offset:31168
; %bb.99:
	s_or_b64 exec, exec, s[0:1]
	v_cmp_gt_u32_e64 s[8:9], 4, v0
	s_and_b64 s[56:57], s[12:13], s[8:9]
	s_waitcnt lgkmcnt(0)
	s_barrier
	s_barrier
	s_and_saveexec_b64 s[0:1], s[56:57]
	s_cbranch_execz .LBB38_101
; %bb.100:
	v_lshlrev_b32_e32 v20, 9, v0
	ds_read_b64 v[10:11], v20 offset:31168
	s_movk_i32 s8, 0xfe08
	v_mad_i32_i24 v21, v0, s8, v20
	s_waitcnt lgkmcnt(0)
	ds_write_b64 v21, v[10:11] offset:29152
	ds_read_b64 v[10:11], v20 offset:31176
	s_waitcnt lgkmcnt(0)
	ds_write_b64 v21, v[10:11] offset:29664
	ds_read_b64 v[10:11], v20 offset:31184
	;; [unrolled: 3-line block ×3, first 2 shown]
	s_waitcnt lgkmcnt(0)
	ds_write_b64 v21, v[10:11] offset:30688
.LBB38_101:
	s_or_b64 exec, exec, s[0:1]
	s_waitcnt lgkmcnt(0)
	s_barrier
	s_and_saveexec_b64 s[0:1], vcc
	s_cbranch_execz .LBB38_103
; %bb.102:
	v_mov_b32_e32 v20, 0
	ds_read_b64 v[22:23], v20 offset:30672
	v_mov_b32_e32 v21, 0x3ff00000
	ds_write_b64 v20, v[20:21] offset:30680
	s_waitcnt lgkmcnt(1)
	ds_write_b128 v20, v[20:23] offset:30160
.LBB38_103:
	s_or_b64 exec, exec, s[0:1]
	v_mov_b32_e32 v10, 0
	v_mov_b32_e32 v11, 0
	s_waitcnt lgkmcnt(0)
	s_barrier
	buffer_wbinvl1_vol
	s_and_saveexec_b64 s[0:1], s[2:3]
	s_cbranch_execz .LBB38_107
; %bb.104:
	v_lshlrev_b32_e32 v20, 9, v13
	v_lshlrev_b32_e32 v10, 3, v12
	ds_read_b64 v[10:11], v10 offset:30144
	ds_read_b64 v[20:21], v20 offset:30160
	v_cmp_gt_u32_e64 s[8:9], 2, v15
	s_waitcnt lgkmcnt(0)
	v_fma_f64 v[10:11], v[10:11], v[20:21], 0
	s_and_saveexec_b64 s[10:11], s[8:9]
	s_cbranch_execz .LBB38_106
; %bb.105:
	v_lshlrev_b32_e32 v20, 3, v0
	v_mov_b32_e32 v22, 0
	ds_read_b64 v[20:21], v20 offset:30656
	ds_read_b64 v[22:23], v22 offset:30680
	s_waitcnt lgkmcnt(0)
	v_fma_f64 v[10:11], v[20:21], v[22:23], v[10:11]
.LBB38_106:
	s_or_b64 exec, exec, s[10:11]
.LBB38_107:
	s_or_b64 exec, exec, s[0:1]
	s_and_saveexec_b64 s[0:1], s[28:29]
; %bb.108:
	v_xor_b32_e32 v21, 0x80000000, v11
	v_mov_b32_e32 v20, v10
	ds_write_b64 v14, v[20:21]
; %bb.109:
	s_or_b64 exec, exec, s[0:1]
	s_waitcnt lgkmcnt(0)
	s_barrier
	s_and_saveexec_b64 s[0:1], s[26:27]
	s_cbranch_execz .LBB38_111
; %bb.110:
	v_mov_b32_e32 v20, 0
	ds_read_b64 v[20:21], v20 offset:29632
	ds_read_b64 v[22:23], v14
	s_waitcnt lgkmcnt(0)
	v_fma_f64 v[10:11], -v[20:21], v[22:23], v[10:11]
.LBB38_111:
	s_or_b64 exec, exec, s[0:1]
	s_barrier
	s_and_saveexec_b64 s[0:1], s[26:27]
; %bb.112:
	v_xor_b32_e32 v21, 0x80000000, v11
	v_mov_b32_e32 v20, v10
	ds_write_b64 v14, v[20:21]
; %bb.113:
	s_or_b64 exec, exec, s[0:1]
	s_waitcnt lgkmcnt(0)
	s_barrier
	s_barrier
	s_and_saveexec_b64 s[0:1], s[2:3]
; %bb.114:
	v_lshlrev_b32_e32 v20, 3, v12
	v_lshl_or_b32 v20, v13, 9, v20
	ds_write_b64 v20, v[10:11] offset:30144
; %bb.115:
	s_or_b64 exec, exec, s[0:1]
	s_waitcnt lgkmcnt(0)
	s_barrier
	s_barrier
	s_and_saveexec_b64 s[0:1], s[30:31]
	s_cbranch_execz .LBB38_117
; %bb.116:
	v_lshlrev_b32_e32 v20, 3, v0
	s_movk_i32 s8, 0x1f8
	v_mad_u32_u24 v21, v0, s8, v20
	ds_read_b64 v[10:11], v21 offset:30144
	s_waitcnt lgkmcnt(0)
	ds_write_b64 v20, v[10:11] offset:29136
	ds_read_b64 v[10:11], v21 offset:30152
	s_waitcnt lgkmcnt(0)
	ds_write_b64 v20, v[10:11] offset:29648
.LBB38_117:
	s_or_b64 exec, exec, s[0:1]
	s_waitcnt lgkmcnt(0)
	s_barrier
	s_and_saveexec_b64 s[0:1], vcc
	s_cbranch_execz .LBB38_119
; %bb.118:
	v_mov_b32_e32 v20, 0
	ds_read_b64 v[22:23], v20 offset:29632
	v_mov_b32_e32 v21, 0x3ff00000
	ds_write_b64 v20, v[20:21] offset:29640
	s_waitcnt lgkmcnt(1)
	ds_write_b128 v20, v[20:23] offset:29120
.LBB38_119:
	s_or_b64 exec, exec, s[0:1]
	v_lshrrev_b32_e32 v22, 3, v15
	v_mov_b32_e32 v10, 0
	v_and_b32_e32 v20, 7, v0
	v_sub_u32_e32 v21, 7, v22
	v_cmp_lt_u32_e64 s[10:11], 63, v15
	v_mov_b32_e32 v11, 0
	v_cmp_gt_u32_e64 s[8:9], 64, v15
	s_waitcnt lgkmcnt(0)
	s_barrier
	buffer_wbinvl1_vol
	s_and_saveexec_b64 s[0:1], s[8:9]
	s_cbranch_execz .LBB38_129
; %bb.120:
	v_lshlrev_b32_e32 v24, 3, v20
	v_lshlrev_b32_e32 v23, 9, v21
	ds_read_b64 v[10:11], v24 offset:29056
	ds_read_b64 v[25:26], v23 offset:29120
	v_cmp_gt_u32_e64 s[14:15], 56, v15
	s_waitcnt lgkmcnt(0)
	v_fma_f64 v[10:11], v[10:11], v[25:26], 0
	s_and_saveexec_b64 s[16:17], s[14:15]
	s_cbranch_execnz .LBB38_1174
; %bb.121:
	s_or_b64 exec, exec, s[16:17]
	v_cmp_gt_u32_e64 s[14:15], 48, v15
	s_and_saveexec_b64 s[16:17], s[14:15]
	s_cbranch_execnz .LBB38_1175
.LBB38_122:
	s_or_b64 exec, exec, s[16:17]
	v_cmp_gt_u32_e64 s[14:15], 40, v15
	s_and_saveexec_b64 s[16:17], s[14:15]
	s_cbranch_execnz .LBB38_1176
.LBB38_123:
	s_or_b64 exec, exec, s[16:17]
	v_cmp_gt_u32_e64 s[14:15], 32, v15
	s_and_saveexec_b64 s[16:17], s[14:15]
	s_cbranch_execnz .LBB38_1177
.LBB38_124:
	s_or_b64 exec, exec, s[16:17]
	v_cmp_gt_u32_e64 s[14:15], 24, v15
	s_and_saveexec_b64 s[16:17], s[14:15]
	s_cbranch_execnz .LBB38_1178
.LBB38_125:
	s_or_b64 exec, exec, s[16:17]
	s_and_saveexec_b64 s[14:15], s[18:19]
	s_cbranch_execnz .LBB38_1179
.LBB38_126:
	s_or_b64 exec, exec, s[14:15]
	v_cmp_gt_u32_e64 s[14:15], 8, v15
	s_and_saveexec_b64 s[16:17], s[14:15]
	s_cbranch_execz .LBB38_128
.LBB38_127:
	v_lshlrev_b32_e32 v23, 3, v0
	v_mov_b32_e32 v25, 0
	ds_read_b64 v[23:24], v23 offset:32640
	ds_read_b64 v[25:26], v25 offset:32760
	s_waitcnt lgkmcnt(0)
	v_fma_f64 v[10:11], v[23:24], v[25:26], v[10:11]
.LBB38_128:
	s_or_b64 exec, exec, s[16:17]
.LBB38_129:
                                        ; implicit-def: $vgpr35 : SGPR spill to VGPR lane
	v_writelane_b32 v35, s58, 0
	v_writelane_b32 v35, s59, 1
	s_or_b64 exec, exec, s[0:1]
	v_mov_b32_e32 v23, 0x8000
	v_cmp_eq_u32_e64 s[14:15], 7, v20
	s_xor_b64 s[0:1], s[10:11], -1
	v_lshl_add_u32 v22, v22, 3, v23
	s_and_b64 s[58:59], s[14:15], s[0:1]
	s_and_saveexec_b64 s[10:11], s[58:59]
; %bb.130:
	v_xor_b32_e32 v24, 0x80000000, v11
	v_mov_b32_e32 v23, v10
	ds_write_b64 v22, v[23:24]
; %bb.131:
	s_or_b64 exec, exec, s[10:11]
	v_cmp_ne_u32_e64 s[10:11], 7, v20
	s_and_b64 s[60:61], s[10:11], s[0:1]
	s_waitcnt lgkmcnt(0)
	s_barrier
	s_and_saveexec_b64 s[10:11], s[60:61]
	s_cbranch_execz .LBB38_133
; %bb.132:
	v_lshlrev_b32_e32 v23, 3, v20
	ds_read_b64 v[23:24], v23 offset:28544
	ds_read_b64 v[25:26], v22
	s_waitcnt lgkmcnt(0)
	v_fma_f64 v[10:11], -v[23:24], v[25:26], v[10:11]
.LBB38_133:
	s_or_b64 exec, exec, s[10:11]
	v_cmp_eq_u32_e64 s[10:11], 6, v20
	s_and_b64 s[62:63], s[10:11], s[0:1]
	s_barrier
	s_and_saveexec_b64 s[10:11], s[62:63]
; %bb.134:
	v_xor_b32_e32 v24, 0x80000000, v11
	v_mov_b32_e32 v23, v10
	ds_write_b64 v22, v[23:24]
; %bb.135:
	s_or_b64 exec, exec, s[10:11]
	v_cmp_gt_u32_e64 s[10:11], 6, v20
	s_and_b64 s[64:65], s[10:11], s[0:1]
	s_waitcnt lgkmcnt(0)
	s_barrier
	s_and_saveexec_b64 s[10:11], s[64:65]
	s_cbranch_execz .LBB38_137
; %bb.136:
	v_lshlrev_b32_e32 v23, 3, v20
	ds_read_b64 v[23:24], v23 offset:28032
	ds_read_b64 v[25:26], v22
	s_waitcnt lgkmcnt(0)
	v_fma_f64 v[10:11], -v[23:24], v[25:26], v[10:11]
.LBB38_137:
	s_or_b64 exec, exec, s[10:11]
	v_cmp_eq_u32_e64 s[10:11], 5, v20
	s_and_b64 s[66:67], s[10:11], s[0:1]
	s_barrier
	s_and_saveexec_b64 s[10:11], s[66:67]
; %bb.138:
	v_xor_b32_e32 v24, 0x80000000, v11
	v_mov_b32_e32 v23, v10
	ds_write_b64 v22, v[23:24]
; %bb.139:
	s_or_b64 exec, exec, s[10:11]
	v_cmp_gt_u32_e64 s[10:11], 5, v20
	;; [unrolled: 24-line block ×5, first 2 shown]
	s_and_b64 s[82:83], s[10:11], s[0:1]
	s_waitcnt lgkmcnt(0)
	s_barrier
	s_and_saveexec_b64 s[10:11], s[82:83]
	s_cbranch_execz .LBB38_153
; %bb.152:
	v_lshlrev_b32_e32 v23, 3, v20
	ds_read_b64 v[23:24], v23 offset:25984
	ds_read_b64 v[25:26], v22
	s_waitcnt lgkmcnt(0)
	v_fma_f64 v[10:11], -v[23:24], v[25:26], v[10:11]
.LBB38_153:
	s_or_b64 exec, exec, s[10:11]
	v_cmp_eq_u32_e64 s[10:11], 1, v20
	s_and_b64 s[84:85], s[10:11], s[0:1]
	s_barrier
	s_and_saveexec_b64 s[10:11], s[84:85]
; %bb.154:
	v_xor_b32_e32 v24, 0x80000000, v11
	v_mov_b32_e32 v23, v10
	ds_write_b64 v22, v[23:24]
; %bb.155:
	s_or_b64 exec, exec, s[10:11]
	v_cmp_eq_u32_e64 s[10:11], 0, v20
	s_and_b64 s[68:69], s[10:11], s[0:1]
	s_waitcnt lgkmcnt(0)
	s_barrier
	s_and_saveexec_b64 s[0:1], s[68:69]
	s_cbranch_execz .LBB38_157
; %bb.156:
	v_mov_b32_e32 v23, 0
	ds_read_b64 v[23:24], v23 offset:25472
	ds_read_b64 v[25:26], v22
	s_waitcnt lgkmcnt(0)
	v_fma_f64 v[10:11], -v[23:24], v[25:26], v[10:11]
.LBB38_157:
	s_or_b64 exec, exec, s[0:1]
	s_barrier
	s_and_saveexec_b64 s[0:1], s[68:69]
; %bb.158:
	v_xor_b32_e32 v24, 0x80000000, v11
	v_mov_b32_e32 v23, v10
	ds_write_b64 v22, v[23:24]
; %bb.159:
	s_or_b64 exec, exec, s[0:1]
	s_waitcnt lgkmcnt(0)
	s_barrier
	s_barrier
	s_and_saveexec_b64 s[0:1], s[8:9]
; %bb.160:
	v_lshlrev_b32_e32 v23, 3, v20
	v_lshl_or_b32 v23, v21, 9, v23
	ds_write_b64 v23, v[10:11] offset:29056
; %bb.161:
	s_or_b64 exec, exec, s[0:1]
	v_cmp_gt_u32_e64 s[10:11], 8, v0
	s_and_b64 s[86:87], s[12:13], s[10:11]
	s_waitcnt lgkmcnt(0)
	s_barrier
	s_barrier
	s_and_saveexec_b64 s[0:1], s[86:87]
	s_cbranch_execz .LBB38_163
; %bb.162:
	v_lshlrev_b32_e32 v23, 9, v0
	ds_read_b64 v[10:11], v23 offset:29056
	s_movk_i32 s10, 0xfe08
	v_mad_i32_i24 v24, v0, s10, v23
	s_waitcnt lgkmcnt(0)
	ds_write_b64 v24, v[10:11] offset:25024
	ds_read_b64 v[10:11], v23 offset:29064
	s_waitcnt lgkmcnt(0)
	ds_write_b64 v24, v[10:11] offset:25536
	ds_read_b64 v[10:11], v23 offset:29072
	;; [unrolled: 3-line block ×7, first 2 shown]
	s_waitcnt lgkmcnt(0)
	ds_write_b64 v24, v[10:11] offset:28608
.LBB38_163:
	s_or_b64 exec, exec, s[0:1]
	s_waitcnt lgkmcnt(0)
	s_barrier
	s_and_saveexec_b64 s[0:1], vcc
	s_cbranch_execz .LBB38_165
; %bb.164:
	v_mov_b32_e32 v23, 0
	ds_read_b64 v[25:26], v23 offset:28592
	v_mov_b32_e32 v24, 0x3ff00000
	ds_write_b64 v23, v[23:24] offset:28600
	s_waitcnt lgkmcnt(1)
	ds_write_b128 v23, v[23:26] offset:28080
.LBB38_165:
	s_or_b64 exec, exec, s[0:1]
	v_mov_b32_e32 v10, 0
	v_mov_b32_e32 v11, 0
	s_waitcnt lgkmcnt(0)
	s_barrier
	buffer_wbinvl1_vol
	s_and_saveexec_b64 s[0:1], s[2:3]
	s_cbranch_execz .LBB38_169
; %bb.166:
	v_lshlrev_b32_e32 v23, 9, v13
	v_lshlrev_b32_e32 v10, 3, v12
	ds_read_b64 v[10:11], v10 offset:28064
	ds_read_b64 v[23:24], v23 offset:28080
	v_cmp_gt_u32_e64 s[10:11], 2, v15
	s_waitcnt lgkmcnt(0)
	v_fma_f64 v[10:11], v[10:11], v[23:24], 0
	s_and_saveexec_b64 s[14:15], s[10:11]
	s_cbranch_execz .LBB38_168
; %bb.167:
	v_lshlrev_b32_e32 v23, 3, v0
	v_mov_b32_e32 v25, 0
	ds_read_b64 v[23:24], v23 offset:28576
	ds_read_b64 v[25:26], v25 offset:28600
	s_waitcnt lgkmcnt(0)
	v_fma_f64 v[10:11], v[23:24], v[25:26], v[10:11]
.LBB38_168:
	s_or_b64 exec, exec, s[14:15]
.LBB38_169:
	s_or_b64 exec, exec, s[0:1]
	s_and_saveexec_b64 s[0:1], s[28:29]
; %bb.170:
	v_xor_b32_e32 v24, 0x80000000, v11
	v_mov_b32_e32 v23, v10
	ds_write_b64 v14, v[23:24]
; %bb.171:
	s_or_b64 exec, exec, s[0:1]
	s_waitcnt lgkmcnt(0)
	s_barrier
	s_and_saveexec_b64 s[0:1], s[26:27]
	s_cbranch_execz .LBB38_173
; %bb.172:
	v_mov_b32_e32 v23, 0
	ds_read_b64 v[23:24], v23 offset:27552
	ds_read_b64 v[25:26], v14
	s_waitcnt lgkmcnt(0)
	v_fma_f64 v[10:11], -v[23:24], v[25:26], v[10:11]
.LBB38_173:
	s_or_b64 exec, exec, s[0:1]
	s_barrier
	s_and_saveexec_b64 s[0:1], s[26:27]
; %bb.174:
	v_xor_b32_e32 v24, 0x80000000, v11
	v_mov_b32_e32 v23, v10
	ds_write_b64 v14, v[23:24]
; %bb.175:
	s_or_b64 exec, exec, s[0:1]
	s_waitcnt lgkmcnt(0)
	s_barrier
	s_barrier
	s_and_saveexec_b64 s[0:1], s[2:3]
; %bb.176:
	v_lshlrev_b32_e32 v23, 3, v12
	v_lshl_or_b32 v23, v13, 9, v23
	ds_write_b64 v23, v[10:11] offset:28064
; %bb.177:
	s_or_b64 exec, exec, s[0:1]
	s_waitcnt lgkmcnt(0)
	s_barrier
	s_barrier
	s_and_saveexec_b64 s[0:1], s[30:31]
	s_cbranch_execz .LBB38_179
; %bb.178:
	v_lshlrev_b32_e32 v23, 3, v0
	s_movk_i32 s10, 0x1f8
	v_mad_u32_u24 v24, v0, s10, v23
	ds_read_b64 v[10:11], v24 offset:28064
	s_waitcnt lgkmcnt(0)
	ds_write_b64 v23, v[10:11] offset:27056
	ds_read_b64 v[10:11], v24 offset:28072
	s_waitcnt lgkmcnt(0)
	ds_write_b64 v23, v[10:11] offset:27568
.LBB38_179:
	s_or_b64 exec, exec, s[0:1]
	s_waitcnt lgkmcnt(0)
	s_barrier
	s_and_saveexec_b64 s[0:1], vcc
	s_cbranch_execz .LBB38_181
; %bb.180:
	v_mov_b32_e32 v23, 0
	ds_read_b64 v[25:26], v23 offset:27552
	v_mov_b32_e32 v24, 0x3ff00000
	ds_write_b64 v23, v[23:24] offset:27560
	s_waitcnt lgkmcnt(1)
	ds_write_b128 v23, v[23:26] offset:27040
.LBB38_181:
	s_or_b64 exec, exec, s[0:1]
	v_mov_b32_e32 v10, 0
	v_mov_b32_e32 v11, 0
	s_waitcnt lgkmcnt(0)
	s_barrier
	buffer_wbinvl1_vol
	s_and_saveexec_b64 s[0:1], s[18:19]
	s_cbranch_execz .LBB38_187
; %bb.182:
	v_lshlrev_b32_e32 v24, 3, v16
	v_lshlrev_b32_e32 v23, 9, v17
	ds_read_b64 v[10:11], v24 offset:27008
	ds_read_b64 v[25:26], v23 offset:27040
	v_cmp_gt_u32_e64 s[10:11], 12, v15
	s_waitcnt lgkmcnt(0)
	v_fma_f64 v[10:11], v[10:11], v[25:26], 0
	s_and_saveexec_b64 s[14:15], s[10:11]
	s_cbranch_execnz .LBB38_1180
; %bb.183:
	s_or_b64 exec, exec, s[14:15]
	v_cmp_gt_u32_e64 s[10:11], 8, v15
	s_and_saveexec_b64 s[14:15], s[10:11]
	s_cbranch_execnz .LBB38_1181
.LBB38_184:
	s_or_b64 exec, exec, s[14:15]
	v_cmp_gt_u32_e64 s[10:11], 4, v15
	s_and_saveexec_b64 s[14:15], s[10:11]
	s_cbranch_execz .LBB38_186
.LBB38_185:
	v_lshlrev_b32_e32 v23, 3, v0
	v_mov_b32_e32 v25, 0
	ds_read_b64 v[23:24], v23 offset:28544
	ds_read_b64 v[25:26], v25 offset:28600
	s_waitcnt lgkmcnt(0)
	v_fma_f64 v[10:11], v[23:24], v[25:26], v[10:11]
.LBB38_186:
	s_or_b64 exec, exec, s[14:15]
.LBB38_187:
	s_or_b64 exec, exec, s[0:1]
	s_and_saveexec_b64 s[0:1], s[36:37]
; %bb.188:
	v_xor_b32_e32 v24, 0x80000000, v11
	v_mov_b32_e32 v23, v10
	ds_write_b64 v19, v[23:24]
; %bb.189:
	s_or_b64 exec, exec, s[0:1]
	s_waitcnt lgkmcnt(0)
	s_barrier
	s_and_saveexec_b64 s[0:1], s[38:39]
	s_cbranch_execz .LBB38_191
; %bb.190:
	v_lshlrev_b32_e32 v23, 3, v16
	ds_read_b64 v[23:24], v23 offset:26496
	ds_read_b64 v[25:26], v19
	s_waitcnt lgkmcnt(0)
	v_fma_f64 v[10:11], -v[23:24], v[25:26], v[10:11]
.LBB38_191:
	s_or_b64 exec, exec, s[0:1]
	s_barrier
	s_and_saveexec_b64 s[0:1], s[42:43]
; %bb.192:
	v_xor_b32_e32 v24, 0x80000000, v11
	v_mov_b32_e32 v23, v10
	ds_write_b64 v19, v[23:24]
; %bb.193:
	s_or_b64 exec, exec, s[0:1]
	s_waitcnt lgkmcnt(0)
	s_barrier
	s_and_saveexec_b64 s[0:1], s[52:53]
	s_cbranch_execz .LBB38_195
; %bb.194:
	v_lshlrev_b32_e32 v23, 3, v16
	ds_read_b64 v[23:24], v23 offset:25984
	ds_read_b64 v[25:26], v19
	s_waitcnt lgkmcnt(0)
	v_fma_f64 v[10:11], -v[23:24], v[25:26], v[10:11]
.LBB38_195:
	s_or_b64 exec, exec, s[0:1]
	s_barrier
	s_and_saveexec_b64 s[0:1], s[54:55]
; %bb.196:
	v_xor_b32_e32 v24, 0x80000000, v11
	v_mov_b32_e32 v23, v10
	ds_write_b64 v19, v[23:24]
; %bb.197:
	s_or_b64 exec, exec, s[0:1]
	s_waitcnt lgkmcnt(0)
	s_barrier
	s_and_saveexec_b64 s[0:1], s[34:35]
	s_cbranch_execz .LBB38_199
; %bb.198:
	v_mov_b32_e32 v23, 0
	ds_read_b64 v[23:24], v23 offset:25472
	ds_read_b64 v[25:26], v19
	s_waitcnt lgkmcnt(0)
	v_fma_f64 v[10:11], -v[23:24], v[25:26], v[10:11]
.LBB38_199:
	s_or_b64 exec, exec, s[0:1]
	s_barrier
	s_and_saveexec_b64 s[0:1], s[34:35]
; %bb.200:
	v_xor_b32_e32 v24, 0x80000000, v11
	v_mov_b32_e32 v23, v10
	ds_write_b64 v19, v[23:24]
; %bb.201:
	s_or_b64 exec, exec, s[0:1]
	s_waitcnt lgkmcnt(0)
	s_barrier
	s_barrier
	s_and_saveexec_b64 s[0:1], s[18:19]
; %bb.202:
	v_lshlrev_b32_e32 v23, 3, v16
	v_lshl_or_b32 v23, v17, 9, v23
	ds_write_b64 v23, v[10:11] offset:27008
; %bb.203:
	s_or_b64 exec, exec, s[0:1]
	s_waitcnt lgkmcnt(0)
	s_barrier
	s_barrier
	s_and_saveexec_b64 s[0:1], s[56:57]
	s_cbranch_execz .LBB38_205
; %bb.204:
	v_lshlrev_b32_e32 v23, 9, v0
	ds_read_b64 v[10:11], v23 offset:27008
	s_movk_i32 s10, 0xfe08
	v_mad_i32_i24 v24, v0, s10, v23
	s_waitcnt lgkmcnt(0)
	ds_write_b64 v24, v[10:11] offset:24992
	ds_read_b64 v[10:11], v23 offset:27016
	s_waitcnt lgkmcnt(0)
	ds_write_b64 v24, v[10:11] offset:25504
	ds_read_b64 v[10:11], v23 offset:27024
	;; [unrolled: 3-line block ×3, first 2 shown]
	s_waitcnt lgkmcnt(0)
	ds_write_b64 v24, v[10:11] offset:26528
.LBB38_205:
	s_or_b64 exec, exec, s[0:1]
	s_waitcnt lgkmcnt(0)
	s_barrier
	s_and_saveexec_b64 s[0:1], vcc
	s_cbranch_execz .LBB38_207
; %bb.206:
	v_mov_b32_e32 v23, 0
	ds_read_b64 v[25:26], v23 offset:26512
	v_mov_b32_e32 v24, 0x3ff00000
	ds_write_b64 v23, v[23:24] offset:26520
	s_waitcnt lgkmcnt(1)
	ds_write_b128 v23, v[23:26] offset:26000
.LBB38_207:
	s_or_b64 exec, exec, s[0:1]
	v_mov_b32_e32 v10, 0
	v_mov_b32_e32 v11, 0
	s_waitcnt lgkmcnt(0)
	s_barrier
	buffer_wbinvl1_vol
	s_and_saveexec_b64 s[0:1], s[2:3]
	s_cbranch_execz .LBB38_211
; %bb.208:
	v_lshlrev_b32_e32 v23, 9, v13
	v_lshlrev_b32_e32 v10, 3, v12
	ds_read_b64 v[10:11], v10 offset:25984
	ds_read_b64 v[23:24], v23 offset:26000
	v_cmp_gt_u32_e64 s[10:11], 2, v15
	s_waitcnt lgkmcnt(0)
	v_fma_f64 v[10:11], v[10:11], v[23:24], 0
	s_and_saveexec_b64 s[14:15], s[10:11]
	s_cbranch_execz .LBB38_210
; %bb.209:
	v_lshlrev_b32_e32 v23, 3, v0
	v_mov_b32_e32 v25, 0
	ds_read_b64 v[23:24], v23 offset:26496
	ds_read_b64 v[25:26], v25 offset:26520
	s_waitcnt lgkmcnt(0)
	v_fma_f64 v[10:11], v[23:24], v[25:26], v[10:11]
.LBB38_210:
	s_or_b64 exec, exec, s[14:15]
.LBB38_211:
	s_or_b64 exec, exec, s[0:1]
	s_and_saveexec_b64 s[0:1], s[28:29]
; %bb.212:
	v_xor_b32_e32 v24, 0x80000000, v11
	v_mov_b32_e32 v23, v10
	ds_write_b64 v14, v[23:24]
; %bb.213:
	s_or_b64 exec, exec, s[0:1]
	s_waitcnt lgkmcnt(0)
	s_barrier
	s_and_saveexec_b64 s[0:1], s[26:27]
	s_cbranch_execz .LBB38_215
; %bb.214:
	v_mov_b32_e32 v23, 0
	ds_read_b64 v[23:24], v23 offset:25472
	ds_read_b64 v[25:26], v14
	s_waitcnt lgkmcnt(0)
	v_fma_f64 v[10:11], -v[23:24], v[25:26], v[10:11]
.LBB38_215:
	s_or_b64 exec, exec, s[0:1]
	s_barrier
	s_and_saveexec_b64 s[0:1], s[26:27]
; %bb.216:
	v_xor_b32_e32 v24, 0x80000000, v11
	v_mov_b32_e32 v23, v10
	ds_write_b64 v14, v[23:24]
; %bb.217:
	s_or_b64 exec, exec, s[0:1]
	s_waitcnt lgkmcnt(0)
	s_barrier
	s_barrier
	s_and_saveexec_b64 s[0:1], s[2:3]
; %bb.218:
	v_lshlrev_b32_e32 v23, 3, v12
	v_lshl_or_b32 v23, v13, 9, v23
	ds_write_b64 v23, v[10:11] offset:25984
; %bb.219:
	s_or_b64 exec, exec, s[0:1]
	s_waitcnt lgkmcnt(0)
	s_barrier
	s_barrier
	s_and_saveexec_b64 s[0:1], s[30:31]
	s_cbranch_execz .LBB38_221
; %bb.220:
	v_lshlrev_b32_e32 v23, 3, v0
	s_movk_i32 s10, 0x1f8
	v_mad_u32_u24 v24, v0, s10, v23
	ds_read_b64 v[10:11], v24 offset:25984
	s_waitcnt lgkmcnt(0)
	ds_write_b64 v23, v[10:11] offset:24976
	ds_read_b64 v[10:11], v24 offset:25992
	s_waitcnt lgkmcnt(0)
	ds_write_b64 v23, v[10:11] offset:25488
.LBB38_221:
	s_or_b64 exec, exec, s[0:1]
	s_waitcnt lgkmcnt(0)
	s_barrier
	s_and_saveexec_b64 s[0:1], vcc
	s_cbranch_execz .LBB38_223
; %bb.222:
	v_mov_b32_e32 v23, 0
	ds_read_b64 v[25:26], v23 offset:25472
	v_mov_b32_e32 v24, 0x3ff00000
	ds_write_b64 v23, v[23:24] offset:25480
	s_waitcnt lgkmcnt(1)
	ds_write_b128 v23, v[23:26] offset:24960
.LBB38_223:
	s_or_b64 exec, exec, s[0:1]
	s_movk_i32 s0, 0xff
	v_lshrrev_b32_e32 v25, 4, v15
	v_cmp_lt_u32_e64 s[14:15], s0, v15
	s_movk_i32 s0, 0x100
	v_mov_b32_e32 v10, 0
	v_and_b32_e32 v23, 15, v0
	v_sub_u32_e32 v24, 15, v25
	v_mov_b32_e32 v11, 0
	v_cmp_gt_u32_e64 s[10:11], s0, v15
	s_waitcnt lgkmcnt(0)
	s_barrier
	buffer_wbinvl1_vol
	s_and_saveexec_b64 s[0:1], s[10:11]
	s_cbranch_execz .LBB38_251
; %bb.224:
	v_lshlrev_b32_e32 v27, 3, v23
	v_lshlrev_b32_e32 v26, 9, v24
	ds_read_b64 v[10:11], v27 offset:24832
	ds_read_b64 v[28:29], v26 offset:24960
	s_movk_i32 s16, 0xf0
	v_cmp_gt_u32_e64 s[16:17], s16, v15
	s_waitcnt lgkmcnt(0)
	v_fma_f64 v[10:11], v[10:11], v[28:29], 0
	s_and_saveexec_b64 s[20:21], s[16:17]
	s_cbranch_execz .LBB38_226
; %bb.225:
	ds_read_b64 v[28:29], v27 offset:25344
	ds_read_b64 v[30:31], v26 offset:24968
	s_waitcnt lgkmcnt(0)
	v_fma_f64 v[10:11], v[28:29], v[30:31], v[10:11]
.LBB38_226:
	s_or_b64 exec, exec, s[20:21]
	s_movk_i32 s16, 0xe0
	v_cmp_gt_u32_e64 s[16:17], s16, v15
	s_and_saveexec_b64 s[20:21], s[16:17]
	s_cbranch_execz .LBB38_228
; %bb.227:
	ds_read_b64 v[28:29], v27 offset:25856
	ds_read_b64 v[30:31], v26 offset:24976
	s_waitcnt lgkmcnt(0)
	v_fma_f64 v[10:11], v[28:29], v[30:31], v[10:11]
.LBB38_228:
	s_or_b64 exec, exec, s[20:21]
	s_movk_i32 s16, 0xd0
	v_cmp_gt_u32_e64 s[16:17], s16, v15
	;; [unrolled: 11-line block ×10, first 2 shown]
	s_and_saveexec_b64 s[20:21], s[16:17]
	s_cbranch_execnz .LBB38_1182
; %bb.245:
	s_or_b64 exec, exec, s[20:21]
	s_and_saveexec_b64 s[16:17], s[8:9]
	s_cbranch_execnz .LBB38_1183
.LBB38_246:
	s_or_b64 exec, exec, s[16:17]
	v_cmp_gt_u32_e64 s[16:17], 48, v15
	s_and_saveexec_b64 s[20:21], s[16:17]
	s_cbranch_execnz .LBB38_1184
.LBB38_247:
	s_or_b64 exec, exec, s[20:21]
	v_cmp_gt_u32_e64 s[16:17], 32, v15
	s_and_saveexec_b64 s[20:21], s[16:17]
	s_cbranch_execnz .LBB38_1185
.LBB38_248:
	s_or_b64 exec, exec, s[20:21]
	v_cmp_gt_u32_e64 s[16:17], 16, v15
	s_and_saveexec_b64 s[20:21], s[16:17]
	s_cbranch_execz .LBB38_250
.LBB38_249:
	v_lshlrev_b32_e32 v26, 3, v0
	v_mov_b32_e32 v28, 0
	ds_read_b64 v[26:27], v26 offset:32512
	ds_read_b64 v[28:29], v28 offset:32760
	s_waitcnt lgkmcnt(0)
	v_fma_f64 v[10:11], v[26:27], v[28:29], v[10:11]
.LBB38_250:
	s_or_b64 exec, exec, s[20:21]
.LBB38_251:
	s_or_b64 exec, exec, s[0:1]
	v_mov_b32_e32 v26, 0x8000
	v_lshl_add_u32 v25, v25, 3, v26
	v_cmp_eq_u32_e64 s[16:17], 15, v23
	s_xor_b64 s[20:21], s[14:15], -1
	s_and_b64 s[14:15], s[16:17], s[20:21]
	s_mov_b64 s[0:1], exec
	v_writelane_b32 v35, s14, 2
	v_writelane_b32 v35, s15, 3
	s_and_b64 s[14:15], s[0:1], s[14:15]
	s_mov_b64 exec, s[14:15]
; %bb.252:
	v_xor_b32_e32 v27, 0x80000000, v11
	v_mov_b32_e32 v26, v10
	ds_write_b64 v25, v[26:27]
; %bb.253:
	s_or_b64 exec, exec, s[0:1]
	v_cmp_ne_u32_e64 s[14:15], 15, v23
	s_waitcnt lgkmcnt(0)
	s_barrier
	s_and_b64 s[14:15], s[14:15], s[20:21]
	s_mov_b64 s[0:1], exec
	v_writelane_b32 v35, s14, 4
	v_writelane_b32 v35, s15, 5
	s_and_b64 s[14:15], s[0:1], s[14:15]
	s_mov_b64 exec, s[14:15]
	s_cbranch_execz .LBB38_255
; %bb.254:
	v_lshlrev_b32_e32 v26, 3, v23
	ds_read_b64 v[26:27], v26 offset:24320
	ds_read_b64 v[28:29], v25
	s_waitcnt lgkmcnt(0)
	v_fma_f64 v[10:11], -v[26:27], v[28:29], v[10:11]
.LBB38_255:
	s_or_b64 exec, exec, s[0:1]
	v_cmp_eq_u32_e64 s[14:15], 14, v23
	s_barrier
	s_and_b64 s[14:15], s[14:15], s[20:21]
	s_mov_b64 s[0:1], exec
	v_writelane_b32 v35, s14, 6
	v_writelane_b32 v35, s15, 7
	s_and_b64 s[14:15], s[0:1], s[14:15]
	s_mov_b64 exec, s[14:15]
; %bb.256:
	v_xor_b32_e32 v27, 0x80000000, v11
	v_mov_b32_e32 v26, v10
	ds_write_b64 v25, v[26:27]
; %bb.257:
	s_or_b64 exec, exec, s[0:1]
	v_cmp_gt_u32_e64 s[14:15], 14, v23
	s_waitcnt lgkmcnt(0)
	s_barrier
	s_and_b64 s[14:15], s[14:15], s[20:21]
	s_mov_b64 s[0:1], exec
	v_writelane_b32 v35, s14, 8
	v_writelane_b32 v35, s15, 9
	s_and_b64 s[14:15], s[0:1], s[14:15]
	s_mov_b64 exec, s[14:15]
	s_cbranch_execz .LBB38_259
; %bb.258:
	v_lshlrev_b32_e32 v26, 3, v23
	ds_read_b64 v[26:27], v26 offset:23808
	ds_read_b64 v[28:29], v25
	s_waitcnt lgkmcnt(0)
	v_fma_f64 v[10:11], -v[26:27], v[28:29], v[10:11]
.LBB38_259:
	s_or_b64 exec, exec, s[0:1]
	v_cmp_eq_u32_e64 s[14:15], 13, v23
	s_barrier
	s_and_b64 s[14:15], s[14:15], s[20:21]
	s_mov_b64 s[0:1], exec
	v_writelane_b32 v35, s14, 10
	v_writelane_b32 v35, s15, 11
	s_and_b64 s[14:15], s[0:1], s[14:15]
	s_mov_b64 exec, s[14:15]
; %bb.260:
	v_xor_b32_e32 v27, 0x80000000, v11
	v_mov_b32_e32 v26, v10
	ds_write_b64 v25, v[26:27]
; %bb.261:
	s_or_b64 exec, exec, s[0:1]
	v_cmp_gt_u32_e64 s[14:15], 13, v23
	;; [unrolled: 32-line block ×13, first 2 shown]
	s_waitcnt lgkmcnt(0)
	s_barrier
	s_and_b64 s[14:15], s[14:15], s[20:21]
	s_mov_b64 s[0:1], exec
	v_writelane_b32 v35, s14, 56
	v_writelane_b32 v35, s15, 57
	s_and_b64 s[14:15], s[0:1], s[14:15]
	s_mov_b64 exec, s[14:15]
	s_cbranch_execz .LBB38_307
; %bb.306:
	v_lshlrev_b32_e32 v26, 3, v23
	ds_read_b64 v[26:27], v26 offset:17664
	ds_read_b64 v[28:29], v25
	s_waitcnt lgkmcnt(0)
	v_fma_f64 v[10:11], -v[26:27], v[28:29], v[10:11]
.LBB38_307:
	s_or_b64 exec, exec, s[0:1]
	v_cmp_eq_u32_e64 s[14:15], 1, v23
	s_barrier
	s_and_b64 s[14:15], s[14:15], s[20:21]
	s_mov_b64 s[0:1], exec
	v_writelane_b32 v35, s14, 58
	v_writelane_b32 v35, s15, 59
	s_and_b64 s[14:15], s[0:1], s[14:15]
	s_mov_b64 exec, s[14:15]
; %bb.308:
	v_xor_b32_e32 v27, 0x80000000, v11
	v_mov_b32_e32 v26, v10
	ds_write_b64 v25, v[26:27]
; %bb.309:
	s_or_b64 exec, exec, s[0:1]
	v_cmp_eq_u32_e64 s[14:15], 0, v23
	s_and_b64 s[90:91], s[14:15], s[20:21]
	s_waitcnt lgkmcnt(0)
	s_barrier
	s_and_saveexec_b64 s[0:1], s[90:91]
	s_cbranch_execz .LBB38_311
; %bb.310:
	v_mov_b32_e32 v26, 0
	ds_read_b64 v[26:27], v26 offset:17152
	ds_read_b64 v[28:29], v25
	s_waitcnt lgkmcnt(0)
	v_fma_f64 v[10:11], -v[26:27], v[28:29], v[10:11]
.LBB38_311:
	s_or_b64 exec, exec, s[0:1]
	s_barrier
	s_and_saveexec_b64 s[0:1], s[90:91]
; %bb.312:
	v_xor_b32_e32 v27, 0x80000000, v11
	v_mov_b32_e32 v26, v10
	ds_write_b64 v25, v[26:27]
; %bb.313:
	s_or_b64 exec, exec, s[0:1]
	s_waitcnt lgkmcnt(0)
	s_barrier
	s_barrier
	s_and_saveexec_b64 s[0:1], s[10:11]
; %bb.314:
	v_lshlrev_b32_e32 v26, 3, v23
	v_lshl_or_b32 v26, v24, 9, v26
	ds_write_b64 v26, v[10:11] offset:24832
; %bb.315:
	s_or_b64 exec, exec, s[0:1]
	v_cmp_gt_u32_e64 s[14:15], 16, v0
	s_and_b64 s[92:93], s[12:13], s[14:15]
	s_waitcnt lgkmcnt(0)
	s_barrier
	s_barrier
	s_and_saveexec_b64 s[14:15], s[92:93]
	s_cbranch_execz .LBB38_317
; %bb.316:
	v_lshlrev_b32_e32 v26, 9, v0
	ds_read_b64 v[10:11], v26 offset:24832
	s_movk_i32 s0, 0xfe08
	v_mad_i32_i24 v27, v0, s0, v26
	s_waitcnt lgkmcnt(0)
	ds_write_b64 v27, v[10:11] offset:16768
	ds_read_b64 v[10:11], v26 offset:24840
	s_waitcnt lgkmcnt(0)
	ds_write_b64 v27, v[10:11] offset:17280
	ds_read_b64 v[10:11], v26 offset:24848
	;; [unrolled: 3-line block ×15, first 2 shown]
	s_waitcnt lgkmcnt(0)
	ds_write_b64 v27, v[10:11] offset:24448
.LBB38_317:
	s_or_b64 exec, exec, s[14:15]
	s_waitcnt lgkmcnt(0)
	s_barrier
	s_and_saveexec_b64 s[14:15], vcc
	s_cbranch_execz .LBB38_319
; %bb.318:
	v_mov_b32_e32 v26, 0
	ds_read_b64 v[28:29], v26 offset:24432
	v_mov_b32_e32 v27, 0x3ff00000
	ds_write_b64 v26, v[26:27] offset:24440
	s_waitcnt lgkmcnt(1)
	ds_write_b128 v26, v[26:29] offset:23920
.LBB38_319:
	s_or_b64 exec, exec, s[14:15]
	v_mov_b32_e32 v10, 0
	v_mov_b32_e32 v11, 0
	s_waitcnt lgkmcnt(0)
	s_barrier
	buffer_wbinvl1_vol
	s_and_saveexec_b64 s[16:17], s[2:3]
	s_cbranch_execz .LBB38_323
; %bb.320:
	v_lshlrev_b32_e32 v26, 9, v13
	v_lshlrev_b32_e32 v10, 3, v12
	ds_read_b64 v[10:11], v10 offset:23904
	ds_read_b64 v[26:27], v26 offset:23920
	v_cmp_gt_u32_e64 s[14:15], 2, v15
	s_waitcnt lgkmcnt(0)
	v_fma_f64 v[10:11], v[10:11], v[26:27], 0
	s_and_saveexec_b64 s[20:21], s[14:15]
	s_cbranch_execz .LBB38_322
; %bb.321:
	v_lshlrev_b32_e32 v26, 3, v0
	v_mov_b32_e32 v28, 0
	ds_read_b64 v[26:27], v26 offset:24416
	ds_read_b64 v[28:29], v28 offset:24440
	s_waitcnt lgkmcnt(0)
	v_fma_f64 v[10:11], v[26:27], v[28:29], v[10:11]
.LBB38_322:
	s_or_b64 exec, exec, s[20:21]
.LBB38_323:
	s_or_b64 exec, exec, s[16:17]
	s_and_saveexec_b64 s[0:1], s[28:29]
; %bb.324:
	v_xor_b32_e32 v27, 0x80000000, v11
	v_mov_b32_e32 v26, v10
	ds_write_b64 v14, v[26:27]
; %bb.325:
	s_or_b64 exec, exec, s[0:1]
	s_waitcnt lgkmcnt(0)
	s_barrier
	s_and_saveexec_b64 s[0:1], s[26:27]
	s_cbranch_execz .LBB38_327
; %bb.326:
	v_mov_b32_e32 v26, 0
	ds_read_b64 v[26:27], v26 offset:23392
	ds_read_b64 v[28:29], v14
	s_waitcnt lgkmcnt(0)
	v_fma_f64 v[10:11], -v[26:27], v[28:29], v[10:11]
.LBB38_327:
	s_or_b64 exec, exec, s[0:1]
	s_barrier
	s_and_saveexec_b64 s[0:1], s[26:27]
; %bb.328:
	v_xor_b32_e32 v27, 0x80000000, v11
	v_mov_b32_e32 v26, v10
	ds_write_b64 v14, v[26:27]
; %bb.329:
	s_or_b64 exec, exec, s[0:1]
	s_waitcnt lgkmcnt(0)
	s_barrier
	s_barrier
	s_and_saveexec_b64 s[0:1], s[2:3]
; %bb.330:
	v_lshlrev_b32_e32 v26, 3, v12
	v_lshl_or_b32 v26, v13, 9, v26
	ds_write_b64 v26, v[10:11] offset:23904
; %bb.331:
	s_or_b64 exec, exec, s[0:1]
	s_waitcnt lgkmcnt(0)
	s_barrier
	s_barrier
	s_and_saveexec_b64 s[14:15], s[30:31]
	s_cbranch_execz .LBB38_333
; %bb.332:
	v_lshlrev_b32_e32 v26, 3, v0
	s_movk_i32 s0, 0x1f8
	v_mad_u32_u24 v27, v0, s0, v26
	ds_read_b64 v[10:11], v27 offset:23904
	s_waitcnt lgkmcnt(0)
	ds_write_b64 v26, v[10:11] offset:22896
	ds_read_b64 v[10:11], v27 offset:23912
	s_waitcnt lgkmcnt(0)
	ds_write_b64 v26, v[10:11] offset:23408
.LBB38_333:
	s_or_b64 exec, exec, s[14:15]
	s_waitcnt lgkmcnt(0)
	s_barrier
	s_and_saveexec_b64 s[14:15], vcc
	s_cbranch_execz .LBB38_335
; %bb.334:
	v_mov_b32_e32 v26, 0
	ds_read_b64 v[28:29], v26 offset:23392
	v_mov_b32_e32 v27, 0x3ff00000
	ds_write_b64 v26, v[26:27] offset:23400
	s_waitcnt lgkmcnt(1)
	ds_write_b128 v26, v[26:29] offset:22880
.LBB38_335:
	s_or_b64 exec, exec, s[14:15]
	v_mov_b32_e32 v10, 0
	v_mov_b32_e32 v11, 0
	s_waitcnt lgkmcnt(0)
	s_barrier
	buffer_wbinvl1_vol
	s_and_saveexec_b64 s[16:17], s[18:19]
	s_cbranch_execz .LBB38_341
; %bb.336:
	v_lshlrev_b32_e32 v27, 3, v16
	v_lshlrev_b32_e32 v26, 9, v17
	ds_read_b64 v[10:11], v27 offset:22848
	ds_read_b64 v[28:29], v26 offset:22880
	v_cmp_gt_u32_e64 s[14:15], 12, v15
	s_waitcnt lgkmcnt(0)
	v_fma_f64 v[10:11], v[10:11], v[28:29], 0
	s_and_saveexec_b64 s[0:1], s[14:15]
	s_cbranch_execnz .LBB38_1186
; %bb.337:
	s_or_b64 exec, exec, s[0:1]
	v_cmp_gt_u32_e64 s[14:15], 8, v15
	s_and_saveexec_b64 s[0:1], s[14:15]
	s_cbranch_execnz .LBB38_1187
.LBB38_338:
	s_or_b64 exec, exec, s[0:1]
	v_cmp_gt_u32_e64 s[14:15], 4, v15
	s_and_saveexec_b64 s[20:21], s[14:15]
	s_cbranch_execz .LBB38_340
.LBB38_339:
	v_lshlrev_b32_e32 v26, 3, v0
	v_mov_b32_e32 v28, 0
	ds_read_b64 v[26:27], v26 offset:24384
	ds_read_b64 v[28:29], v28 offset:24440
	s_waitcnt lgkmcnt(0)
	v_fma_f64 v[10:11], v[26:27], v[28:29], v[10:11]
.LBB38_340:
	s_or_b64 exec, exec, s[20:21]
.LBB38_341:
	s_or_b64 exec, exec, s[16:17]
	s_and_saveexec_b64 s[0:1], s[36:37]
; %bb.342:
	v_xor_b32_e32 v27, 0x80000000, v11
	v_mov_b32_e32 v26, v10
	ds_write_b64 v19, v[26:27]
; %bb.343:
	s_or_b64 exec, exec, s[0:1]
	s_waitcnt lgkmcnt(0)
	s_barrier
	s_and_saveexec_b64 s[0:1], s[38:39]
	s_cbranch_execz .LBB38_345
; %bb.344:
	v_lshlrev_b32_e32 v26, 3, v16
	ds_read_b64 v[26:27], v26 offset:22336
	ds_read_b64 v[28:29], v19
	s_waitcnt lgkmcnt(0)
	v_fma_f64 v[10:11], -v[26:27], v[28:29], v[10:11]
.LBB38_345:
	s_or_b64 exec, exec, s[0:1]
	s_barrier
	s_and_saveexec_b64 s[0:1], s[42:43]
; %bb.346:
	v_xor_b32_e32 v27, 0x80000000, v11
	v_mov_b32_e32 v26, v10
	ds_write_b64 v19, v[26:27]
; %bb.347:
	s_or_b64 exec, exec, s[0:1]
	s_waitcnt lgkmcnt(0)
	s_barrier
	s_and_saveexec_b64 s[0:1], s[52:53]
	s_cbranch_execz .LBB38_349
; %bb.348:
	v_lshlrev_b32_e32 v26, 3, v16
	ds_read_b64 v[26:27], v26 offset:21824
	ds_read_b64 v[28:29], v19
	s_waitcnt lgkmcnt(0)
	v_fma_f64 v[10:11], -v[26:27], v[28:29], v[10:11]
.LBB38_349:
	s_or_b64 exec, exec, s[0:1]
	s_barrier
	s_and_saveexec_b64 s[0:1], s[54:55]
; %bb.350:
	v_xor_b32_e32 v27, 0x80000000, v11
	v_mov_b32_e32 v26, v10
	ds_write_b64 v19, v[26:27]
; %bb.351:
	s_or_b64 exec, exec, s[0:1]
	s_waitcnt lgkmcnt(0)
	s_barrier
	s_and_saveexec_b64 s[0:1], s[34:35]
	s_cbranch_execz .LBB38_353
; %bb.352:
	v_mov_b32_e32 v26, 0
	ds_read_b64 v[26:27], v26 offset:21312
	ds_read_b64 v[28:29], v19
	s_waitcnt lgkmcnt(0)
	v_fma_f64 v[10:11], -v[26:27], v[28:29], v[10:11]
.LBB38_353:
	s_or_b64 exec, exec, s[0:1]
	s_barrier
	s_and_saveexec_b64 s[0:1], s[34:35]
; %bb.354:
	v_xor_b32_e32 v27, 0x80000000, v11
	v_mov_b32_e32 v26, v10
	ds_write_b64 v19, v[26:27]
; %bb.355:
	s_or_b64 exec, exec, s[0:1]
	s_waitcnt lgkmcnt(0)
	s_barrier
	s_barrier
	s_and_saveexec_b64 s[0:1], s[18:19]
; %bb.356:
	v_lshlrev_b32_e32 v26, 3, v16
	v_lshl_or_b32 v26, v17, 9, v26
	ds_write_b64 v26, v[10:11] offset:22848
; %bb.357:
	s_or_b64 exec, exec, s[0:1]
	s_waitcnt lgkmcnt(0)
	s_barrier
	s_barrier
	s_and_saveexec_b64 s[14:15], s[56:57]
	s_cbranch_execz .LBB38_359
; %bb.358:
	v_lshlrev_b32_e32 v26, 9, v0
	ds_read_b64 v[10:11], v26 offset:22848
	s_movk_i32 s0, 0xfe08
	v_mad_i32_i24 v27, v0, s0, v26
	s_waitcnt lgkmcnt(0)
	ds_write_b64 v27, v[10:11] offset:20832
	ds_read_b64 v[10:11], v26 offset:22856
	s_waitcnt lgkmcnt(0)
	ds_write_b64 v27, v[10:11] offset:21344
	ds_read_b64 v[10:11], v26 offset:22864
	;; [unrolled: 3-line block ×3, first 2 shown]
	s_waitcnt lgkmcnt(0)
	ds_write_b64 v27, v[10:11] offset:22368
.LBB38_359:
	s_or_b64 exec, exec, s[14:15]
	s_waitcnt lgkmcnt(0)
	s_barrier
	s_and_saveexec_b64 s[14:15], vcc
	s_cbranch_execz .LBB38_361
; %bb.360:
	v_mov_b32_e32 v26, 0
	ds_read_b64 v[28:29], v26 offset:22352
	v_mov_b32_e32 v27, 0x3ff00000
	ds_write_b64 v26, v[26:27] offset:22360
	s_waitcnt lgkmcnt(1)
	ds_write_b128 v26, v[26:29] offset:21840
.LBB38_361:
	s_or_b64 exec, exec, s[14:15]
	v_mov_b32_e32 v10, 0
	v_mov_b32_e32 v11, 0
	s_waitcnt lgkmcnt(0)
	s_barrier
	buffer_wbinvl1_vol
	s_and_saveexec_b64 s[16:17], s[2:3]
	s_cbranch_execz .LBB38_365
; %bb.362:
	v_lshlrev_b32_e32 v26, 9, v13
	v_lshlrev_b32_e32 v10, 3, v12
	ds_read_b64 v[10:11], v10 offset:21824
	ds_read_b64 v[26:27], v26 offset:21840
	v_cmp_gt_u32_e64 s[14:15], 2, v15
	s_waitcnt lgkmcnt(0)
	v_fma_f64 v[10:11], v[10:11], v[26:27], 0
	s_and_saveexec_b64 s[20:21], s[14:15]
	s_cbranch_execz .LBB38_364
; %bb.363:
	v_lshlrev_b32_e32 v26, 3, v0
	v_mov_b32_e32 v28, 0
	ds_read_b64 v[26:27], v26 offset:22336
	ds_read_b64 v[28:29], v28 offset:22360
	s_waitcnt lgkmcnt(0)
	v_fma_f64 v[10:11], v[26:27], v[28:29], v[10:11]
.LBB38_364:
	s_or_b64 exec, exec, s[20:21]
.LBB38_365:
	s_or_b64 exec, exec, s[16:17]
	s_and_saveexec_b64 s[0:1], s[28:29]
; %bb.366:
	v_xor_b32_e32 v27, 0x80000000, v11
	v_mov_b32_e32 v26, v10
	ds_write_b64 v14, v[26:27]
; %bb.367:
	s_or_b64 exec, exec, s[0:1]
	s_waitcnt lgkmcnt(0)
	s_barrier
	s_and_saveexec_b64 s[0:1], s[26:27]
	s_cbranch_execz .LBB38_369
; %bb.368:
	v_mov_b32_e32 v26, 0
	ds_read_b64 v[26:27], v26 offset:21312
	ds_read_b64 v[28:29], v14
	s_waitcnt lgkmcnt(0)
	v_fma_f64 v[10:11], -v[26:27], v[28:29], v[10:11]
.LBB38_369:
	s_or_b64 exec, exec, s[0:1]
	s_barrier
	s_and_saveexec_b64 s[0:1], s[26:27]
; %bb.370:
	v_xor_b32_e32 v27, 0x80000000, v11
	v_mov_b32_e32 v26, v10
	ds_write_b64 v14, v[26:27]
; %bb.371:
	s_or_b64 exec, exec, s[0:1]
	s_waitcnt lgkmcnt(0)
	s_barrier
	s_barrier
	s_and_saveexec_b64 s[0:1], s[2:3]
; %bb.372:
	v_lshlrev_b32_e32 v26, 3, v12
	v_lshl_or_b32 v26, v13, 9, v26
	ds_write_b64 v26, v[10:11] offset:21824
; %bb.373:
	s_or_b64 exec, exec, s[0:1]
	s_waitcnt lgkmcnt(0)
	s_barrier
	s_barrier
	s_and_saveexec_b64 s[14:15], s[30:31]
	s_cbranch_execz .LBB38_375
; %bb.374:
	v_lshlrev_b32_e32 v26, 3, v0
	s_movk_i32 s0, 0x1f8
	v_mad_u32_u24 v27, v0, s0, v26
	ds_read_b64 v[10:11], v27 offset:21824
	s_waitcnt lgkmcnt(0)
	ds_write_b64 v26, v[10:11] offset:20816
	ds_read_b64 v[10:11], v27 offset:21832
	s_waitcnt lgkmcnt(0)
	ds_write_b64 v26, v[10:11] offset:21328
.LBB38_375:
	s_or_b64 exec, exec, s[14:15]
	s_waitcnt lgkmcnt(0)
	s_barrier
	s_and_saveexec_b64 s[14:15], vcc
	s_cbranch_execz .LBB38_377
; %bb.376:
	v_mov_b32_e32 v26, 0
	ds_read_b64 v[28:29], v26 offset:21312
	v_mov_b32_e32 v27, 0x3ff00000
	ds_write_b64 v26, v[26:27] offset:21320
	s_waitcnt lgkmcnt(1)
	ds_write_b128 v26, v[26:29] offset:20800
.LBB38_377:
	s_or_b64 exec, exec, s[14:15]
	v_mov_b32_e32 v10, 0
	v_mov_b32_e32 v11, 0
	s_waitcnt lgkmcnt(0)
	s_barrier
	buffer_wbinvl1_vol
	s_and_saveexec_b64 s[16:17], s[8:9]
	s_cbranch_execz .LBB38_387
; %bb.378:
	v_lshlrev_b32_e32 v27, 3, v20
	v_lshlrev_b32_e32 v26, 9, v21
	ds_read_b64 v[10:11], v27 offset:20736
	ds_read_b64 v[28:29], v26 offset:20800
	v_cmp_gt_u32_e64 s[14:15], 56, v15
	s_waitcnt lgkmcnt(0)
	v_fma_f64 v[10:11], v[10:11], v[28:29], 0
	s_and_saveexec_b64 s[0:1], s[14:15]
	s_cbranch_execnz .LBB38_1188
; %bb.379:
	s_or_b64 exec, exec, s[0:1]
	v_cmp_gt_u32_e64 s[14:15], 48, v15
	s_and_saveexec_b64 s[0:1], s[14:15]
	s_cbranch_execnz .LBB38_1189
.LBB38_380:
	s_or_b64 exec, exec, s[0:1]
	v_cmp_gt_u32_e64 s[14:15], 40, v15
	s_and_saveexec_b64 s[0:1], s[14:15]
	s_cbranch_execnz .LBB38_1190
.LBB38_381:
	s_or_b64 exec, exec, s[0:1]
	v_cmp_gt_u32_e64 s[14:15], 32, v15
	s_and_saveexec_b64 s[0:1], s[14:15]
	s_cbranch_execnz .LBB38_1191
.LBB38_382:
	s_or_b64 exec, exec, s[0:1]
	v_cmp_gt_u32_e64 s[14:15], 24, v15
	s_and_saveexec_b64 s[0:1], s[14:15]
	s_cbranch_execnz .LBB38_1192
.LBB38_383:
	s_or_b64 exec, exec, s[0:1]
	s_and_saveexec_b64 s[0:1], s[18:19]
	s_cbranch_execnz .LBB38_1193
.LBB38_384:
	s_or_b64 exec, exec, s[0:1]
	v_cmp_gt_u32_e64 s[14:15], 8, v15
	s_and_saveexec_b64 s[20:21], s[14:15]
	s_cbranch_execz .LBB38_386
.LBB38_385:
	v_lshlrev_b32_e32 v26, 3, v0
	v_mov_b32_e32 v28, 0
	ds_read_b64 v[26:27], v26 offset:24320
	ds_read_b64 v[28:29], v28 offset:24440
	s_waitcnt lgkmcnt(0)
	v_fma_f64 v[10:11], v[26:27], v[28:29], v[10:11]
.LBB38_386:
	s_or_b64 exec, exec, s[20:21]
.LBB38_387:
	s_or_b64 exec, exec, s[16:17]
	s_and_saveexec_b64 s[0:1], s[58:59]
; %bb.388:
	v_xor_b32_e32 v27, 0x80000000, v11
	v_mov_b32_e32 v26, v10
	ds_write_b64 v22, v[26:27]
; %bb.389:
	s_or_b64 exec, exec, s[0:1]
	s_waitcnt lgkmcnt(0)
	s_barrier
	s_and_saveexec_b64 s[0:1], s[60:61]
	s_cbranch_execz .LBB38_391
; %bb.390:
	v_lshlrev_b32_e32 v26, 3, v20
	ds_read_b64 v[26:27], v26 offset:20224
	ds_read_b64 v[28:29], v22
	s_waitcnt lgkmcnt(0)
	v_fma_f64 v[10:11], -v[26:27], v[28:29], v[10:11]
.LBB38_391:
	s_or_b64 exec, exec, s[0:1]
	s_barrier
	s_and_saveexec_b64 s[0:1], s[62:63]
; %bb.392:
	v_xor_b32_e32 v27, 0x80000000, v11
	v_mov_b32_e32 v26, v10
	ds_write_b64 v22, v[26:27]
; %bb.393:
	s_or_b64 exec, exec, s[0:1]
	s_waitcnt lgkmcnt(0)
	s_barrier
	s_and_saveexec_b64 s[0:1], s[64:65]
	s_cbranch_execz .LBB38_395
; %bb.394:
	v_lshlrev_b32_e32 v26, 3, v20
	ds_read_b64 v[26:27], v26 offset:19712
	ds_read_b64 v[28:29], v22
	s_waitcnt lgkmcnt(0)
	v_fma_f64 v[10:11], -v[26:27], v[28:29], v[10:11]
.LBB38_395:
	s_or_b64 exec, exec, s[0:1]
	s_barrier
	;; [unrolled: 20-line block ×6, first 2 shown]
	s_and_saveexec_b64 s[0:1], s[84:85]
; %bb.412:
	v_xor_b32_e32 v27, 0x80000000, v11
	v_mov_b32_e32 v26, v10
	ds_write_b64 v22, v[26:27]
; %bb.413:
	s_or_b64 exec, exec, s[0:1]
	s_waitcnt lgkmcnt(0)
	s_barrier
	s_and_saveexec_b64 s[0:1], s[68:69]
	s_cbranch_execz .LBB38_415
; %bb.414:
	v_mov_b32_e32 v26, 0
	ds_read_b64 v[26:27], v26 offset:17152
	ds_read_b64 v[28:29], v22
	s_waitcnt lgkmcnt(0)
	v_fma_f64 v[10:11], -v[26:27], v[28:29], v[10:11]
.LBB38_415:
	s_or_b64 exec, exec, s[0:1]
	s_barrier
	s_and_saveexec_b64 s[0:1], s[68:69]
; %bb.416:
	v_xor_b32_e32 v27, 0x80000000, v11
	v_mov_b32_e32 v26, v10
	ds_write_b64 v22, v[26:27]
; %bb.417:
	s_or_b64 exec, exec, s[0:1]
	s_waitcnt lgkmcnt(0)
	s_barrier
	s_barrier
	s_and_saveexec_b64 s[0:1], s[8:9]
; %bb.418:
	v_lshlrev_b32_e32 v26, 3, v20
	v_lshl_or_b32 v26, v21, 9, v26
	ds_write_b64 v26, v[10:11] offset:20736
; %bb.419:
	s_or_b64 exec, exec, s[0:1]
	s_waitcnt lgkmcnt(0)
	s_barrier
	s_barrier
	s_and_saveexec_b64 s[14:15], s[86:87]
	s_cbranch_execz .LBB38_421
; %bb.420:
	v_lshlrev_b32_e32 v26, 9, v0
	ds_read_b64 v[10:11], v26 offset:20736
	s_movk_i32 s0, 0xfe08
	v_mad_i32_i24 v27, v0, s0, v26
	s_waitcnt lgkmcnt(0)
	ds_write_b64 v27, v[10:11] offset:16704
	ds_read_b64 v[10:11], v26 offset:20744
	s_waitcnt lgkmcnt(0)
	ds_write_b64 v27, v[10:11] offset:17216
	ds_read_b64 v[10:11], v26 offset:20752
	;; [unrolled: 3-line block ×7, first 2 shown]
	s_waitcnt lgkmcnt(0)
	ds_write_b64 v27, v[10:11] offset:20288
.LBB38_421:
	s_or_b64 exec, exec, s[14:15]
	s_waitcnt lgkmcnt(0)
	s_barrier
	s_and_saveexec_b64 s[14:15], vcc
	s_cbranch_execz .LBB38_423
; %bb.422:
	v_mov_b32_e32 v26, 0
	ds_read_b64 v[28:29], v26 offset:20272
	v_mov_b32_e32 v27, 0x3ff00000
	ds_write_b64 v26, v[26:27] offset:20280
	s_waitcnt lgkmcnt(1)
	ds_write_b128 v26, v[26:29] offset:19760
.LBB38_423:
	s_or_b64 exec, exec, s[14:15]
	v_mov_b32_e32 v10, 0
	v_mov_b32_e32 v11, 0
	s_waitcnt lgkmcnt(0)
	s_barrier
	buffer_wbinvl1_vol
	s_and_saveexec_b64 s[16:17], s[2:3]
	s_cbranch_execz .LBB38_427
; %bb.424:
	v_lshlrev_b32_e32 v26, 9, v13
	v_lshlrev_b32_e32 v10, 3, v12
	ds_read_b64 v[10:11], v10 offset:19744
	ds_read_b64 v[26:27], v26 offset:19760
	v_cmp_gt_u32_e64 s[14:15], 2, v15
	s_waitcnt lgkmcnt(0)
	v_fma_f64 v[10:11], v[10:11], v[26:27], 0
	s_and_saveexec_b64 s[20:21], s[14:15]
	s_cbranch_execz .LBB38_426
; %bb.425:
	v_lshlrev_b32_e32 v26, 3, v0
	v_mov_b32_e32 v28, 0
	ds_read_b64 v[26:27], v26 offset:20256
	ds_read_b64 v[28:29], v28 offset:20280
	s_waitcnt lgkmcnt(0)
	v_fma_f64 v[10:11], v[26:27], v[28:29], v[10:11]
.LBB38_426:
	s_or_b64 exec, exec, s[20:21]
.LBB38_427:
	s_or_b64 exec, exec, s[16:17]
	s_and_saveexec_b64 s[0:1], s[28:29]
; %bb.428:
	v_xor_b32_e32 v27, 0x80000000, v11
	v_mov_b32_e32 v26, v10
	ds_write_b64 v14, v[26:27]
; %bb.429:
	s_or_b64 exec, exec, s[0:1]
	s_waitcnt lgkmcnt(0)
	s_barrier
	s_and_saveexec_b64 s[0:1], s[26:27]
	s_cbranch_execz .LBB38_431
; %bb.430:
	v_mov_b32_e32 v26, 0
	ds_read_b64 v[26:27], v26 offset:19232
	ds_read_b64 v[28:29], v14
	s_waitcnt lgkmcnt(0)
	v_fma_f64 v[10:11], -v[26:27], v[28:29], v[10:11]
.LBB38_431:
	s_or_b64 exec, exec, s[0:1]
	s_barrier
	s_and_saveexec_b64 s[0:1], s[26:27]
; %bb.432:
	v_xor_b32_e32 v27, 0x80000000, v11
	v_mov_b32_e32 v26, v10
	ds_write_b64 v14, v[26:27]
; %bb.433:
	s_or_b64 exec, exec, s[0:1]
	s_waitcnt lgkmcnt(0)
	s_barrier
	s_barrier
	s_and_saveexec_b64 s[0:1], s[2:3]
; %bb.434:
	v_lshlrev_b32_e32 v26, 3, v12
	v_lshl_or_b32 v26, v13, 9, v26
	ds_write_b64 v26, v[10:11] offset:19744
; %bb.435:
	s_or_b64 exec, exec, s[0:1]
	s_waitcnt lgkmcnt(0)
	s_barrier
	s_barrier
	s_and_saveexec_b64 s[14:15], s[30:31]
	s_cbranch_execz .LBB38_437
; %bb.436:
	v_lshlrev_b32_e32 v26, 3, v0
	s_movk_i32 s0, 0x1f8
	v_mad_u32_u24 v27, v0, s0, v26
	ds_read_b64 v[10:11], v27 offset:19744
	s_waitcnt lgkmcnt(0)
	ds_write_b64 v26, v[10:11] offset:18736
	ds_read_b64 v[10:11], v27 offset:19752
	s_waitcnt lgkmcnt(0)
	ds_write_b64 v26, v[10:11] offset:19248
.LBB38_437:
	s_or_b64 exec, exec, s[14:15]
	s_waitcnt lgkmcnt(0)
	s_barrier
	s_and_saveexec_b64 s[14:15], vcc
	s_cbranch_execz .LBB38_439
; %bb.438:
	v_mov_b32_e32 v26, 0
	ds_read_b64 v[28:29], v26 offset:19232
	v_mov_b32_e32 v27, 0x3ff00000
	ds_write_b64 v26, v[26:27] offset:19240
	s_waitcnt lgkmcnt(1)
	ds_write_b128 v26, v[26:29] offset:18720
.LBB38_439:
	s_or_b64 exec, exec, s[14:15]
	v_mov_b32_e32 v10, 0
	v_mov_b32_e32 v11, 0
	s_waitcnt lgkmcnt(0)
	s_barrier
	buffer_wbinvl1_vol
	s_and_saveexec_b64 s[16:17], s[18:19]
	s_cbranch_execz .LBB38_445
; %bb.440:
	v_lshlrev_b32_e32 v27, 3, v16
	v_lshlrev_b32_e32 v26, 9, v17
	ds_read_b64 v[10:11], v27 offset:18688
	ds_read_b64 v[28:29], v26 offset:18720
	v_cmp_gt_u32_e64 s[14:15], 12, v15
	s_waitcnt lgkmcnt(0)
	v_fma_f64 v[10:11], v[10:11], v[28:29], 0
	s_and_saveexec_b64 s[0:1], s[14:15]
	s_cbranch_execnz .LBB38_1194
; %bb.441:
	s_or_b64 exec, exec, s[0:1]
	v_cmp_gt_u32_e64 s[14:15], 8, v15
	s_and_saveexec_b64 s[0:1], s[14:15]
	s_cbranch_execnz .LBB38_1195
.LBB38_442:
	s_or_b64 exec, exec, s[0:1]
	v_cmp_gt_u32_e64 s[14:15], 4, v15
	s_and_saveexec_b64 s[20:21], s[14:15]
	s_cbranch_execz .LBB38_444
.LBB38_443:
	v_lshlrev_b32_e32 v26, 3, v0
	v_mov_b32_e32 v28, 0
	ds_read_b64 v[26:27], v26 offset:20224
	ds_read_b64 v[28:29], v28 offset:20280
	s_waitcnt lgkmcnt(0)
	v_fma_f64 v[10:11], v[26:27], v[28:29], v[10:11]
.LBB38_444:
	s_or_b64 exec, exec, s[20:21]
.LBB38_445:
	s_or_b64 exec, exec, s[16:17]
	s_and_saveexec_b64 s[0:1], s[36:37]
; %bb.446:
	v_xor_b32_e32 v27, 0x80000000, v11
	v_mov_b32_e32 v26, v10
	ds_write_b64 v19, v[26:27]
; %bb.447:
	s_or_b64 exec, exec, s[0:1]
	s_waitcnt lgkmcnt(0)
	s_barrier
	s_and_saveexec_b64 s[0:1], s[38:39]
	s_cbranch_execz .LBB38_449
; %bb.448:
	v_lshlrev_b32_e32 v26, 3, v16
	ds_read_b64 v[26:27], v26 offset:18176
	ds_read_b64 v[28:29], v19
	s_waitcnt lgkmcnt(0)
	v_fma_f64 v[10:11], -v[26:27], v[28:29], v[10:11]
.LBB38_449:
	s_or_b64 exec, exec, s[0:1]
	s_barrier
	s_and_saveexec_b64 s[0:1], s[42:43]
; %bb.450:
	v_xor_b32_e32 v27, 0x80000000, v11
	v_mov_b32_e32 v26, v10
	ds_write_b64 v19, v[26:27]
; %bb.451:
	s_or_b64 exec, exec, s[0:1]
	s_waitcnt lgkmcnt(0)
	s_barrier
	s_and_saveexec_b64 s[0:1], s[52:53]
	s_cbranch_execz .LBB38_453
; %bb.452:
	v_lshlrev_b32_e32 v26, 3, v16
	ds_read_b64 v[26:27], v26 offset:17664
	ds_read_b64 v[28:29], v19
	s_waitcnt lgkmcnt(0)
	v_fma_f64 v[10:11], -v[26:27], v[28:29], v[10:11]
.LBB38_453:
	s_or_b64 exec, exec, s[0:1]
	s_barrier
	s_and_saveexec_b64 s[0:1], s[54:55]
; %bb.454:
	v_xor_b32_e32 v27, 0x80000000, v11
	v_mov_b32_e32 v26, v10
	ds_write_b64 v19, v[26:27]
; %bb.455:
	s_or_b64 exec, exec, s[0:1]
	s_waitcnt lgkmcnt(0)
	s_barrier
	s_and_saveexec_b64 s[0:1], s[34:35]
	s_cbranch_execz .LBB38_457
; %bb.456:
	v_mov_b32_e32 v26, 0
	ds_read_b64 v[26:27], v26 offset:17152
	ds_read_b64 v[28:29], v19
	s_waitcnt lgkmcnt(0)
	v_fma_f64 v[10:11], -v[26:27], v[28:29], v[10:11]
.LBB38_457:
	s_or_b64 exec, exec, s[0:1]
	s_barrier
	s_and_saveexec_b64 s[0:1], s[34:35]
; %bb.458:
	v_xor_b32_e32 v27, 0x80000000, v11
	v_mov_b32_e32 v26, v10
	ds_write_b64 v19, v[26:27]
; %bb.459:
	s_or_b64 exec, exec, s[0:1]
	s_waitcnt lgkmcnt(0)
	s_barrier
	s_barrier
	s_and_saveexec_b64 s[0:1], s[18:19]
; %bb.460:
	v_lshlrev_b32_e32 v26, 3, v16
	v_lshl_or_b32 v26, v17, 9, v26
	ds_write_b64 v26, v[10:11] offset:18688
; %bb.461:
	s_or_b64 exec, exec, s[0:1]
	s_waitcnt lgkmcnt(0)
	s_barrier
	s_barrier
	s_and_saveexec_b64 s[14:15], s[56:57]
	s_cbranch_execz .LBB38_463
; %bb.462:
	v_lshlrev_b32_e32 v26, 9, v0
	ds_read_b64 v[10:11], v26 offset:18688
	s_movk_i32 s0, 0xfe08
	v_mad_i32_i24 v27, v0, s0, v26
	s_waitcnt lgkmcnt(0)
	ds_write_b64 v27, v[10:11] offset:16672
	ds_read_b64 v[10:11], v26 offset:18696
	s_waitcnt lgkmcnt(0)
	ds_write_b64 v27, v[10:11] offset:17184
	ds_read_b64 v[10:11], v26 offset:18704
	;; [unrolled: 3-line block ×3, first 2 shown]
	s_waitcnt lgkmcnt(0)
	ds_write_b64 v27, v[10:11] offset:18208
.LBB38_463:
	s_or_b64 exec, exec, s[14:15]
	s_waitcnt lgkmcnt(0)
	s_barrier
	s_and_saveexec_b64 s[14:15], vcc
	s_cbranch_execz .LBB38_465
; %bb.464:
	v_mov_b32_e32 v26, 0
	ds_read_b64 v[28:29], v26 offset:18192
	v_mov_b32_e32 v27, 0x3ff00000
	ds_write_b64 v26, v[26:27] offset:18200
	s_waitcnt lgkmcnt(1)
	ds_write_b128 v26, v[26:29] offset:17680
.LBB38_465:
	s_or_b64 exec, exec, s[14:15]
	v_mov_b32_e32 v10, 0
	v_mov_b32_e32 v11, 0
	s_waitcnt lgkmcnt(0)
	s_barrier
	buffer_wbinvl1_vol
	s_and_saveexec_b64 s[16:17], s[2:3]
	s_cbranch_execz .LBB38_469
; %bb.466:
	v_lshlrev_b32_e32 v26, 9, v13
	v_lshlrev_b32_e32 v10, 3, v12
	ds_read_b64 v[10:11], v10 offset:17664
	ds_read_b64 v[26:27], v26 offset:17680
	v_cmp_gt_u32_e64 s[14:15], 2, v15
	s_waitcnt lgkmcnt(0)
	v_fma_f64 v[10:11], v[10:11], v[26:27], 0
	s_and_saveexec_b64 s[20:21], s[14:15]
	s_cbranch_execz .LBB38_468
; %bb.467:
	v_lshlrev_b32_e32 v26, 3, v0
	v_mov_b32_e32 v28, 0
	ds_read_b64 v[26:27], v26 offset:18176
	ds_read_b64 v[28:29], v28 offset:18200
	s_waitcnt lgkmcnt(0)
	v_fma_f64 v[10:11], v[26:27], v[28:29], v[10:11]
.LBB38_468:
	s_or_b64 exec, exec, s[20:21]
.LBB38_469:
	s_or_b64 exec, exec, s[16:17]
	s_and_saveexec_b64 s[0:1], s[28:29]
; %bb.470:
	v_xor_b32_e32 v27, 0x80000000, v11
	v_mov_b32_e32 v26, v10
	ds_write_b64 v14, v[26:27]
; %bb.471:
	s_or_b64 exec, exec, s[0:1]
	s_waitcnt lgkmcnt(0)
	s_barrier
	s_and_saveexec_b64 s[0:1], s[26:27]
	s_cbranch_execz .LBB38_473
; %bb.472:
	v_mov_b32_e32 v26, 0
	ds_read_b64 v[26:27], v26 offset:17152
	ds_read_b64 v[28:29], v14
	s_waitcnt lgkmcnt(0)
	v_fma_f64 v[10:11], -v[26:27], v[28:29], v[10:11]
.LBB38_473:
	s_or_b64 exec, exec, s[0:1]
	s_barrier
	s_and_saveexec_b64 s[0:1], s[26:27]
; %bb.474:
	v_xor_b32_e32 v27, 0x80000000, v11
	v_mov_b32_e32 v26, v10
	ds_write_b64 v14, v[26:27]
; %bb.475:
	s_or_b64 exec, exec, s[0:1]
	s_waitcnt lgkmcnt(0)
	s_barrier
	s_barrier
	s_and_saveexec_b64 s[0:1], s[2:3]
; %bb.476:
	v_lshlrev_b32_e32 v26, 3, v12
	v_lshl_or_b32 v26, v13, 9, v26
	ds_write_b64 v26, v[10:11] offset:17664
; %bb.477:
	s_or_b64 exec, exec, s[0:1]
	s_waitcnt lgkmcnt(0)
	s_barrier
	s_barrier
	s_and_saveexec_b64 s[14:15], s[30:31]
	s_cbranch_execz .LBB38_479
; %bb.478:
	v_lshlrev_b32_e32 v26, 3, v0
	s_movk_i32 s0, 0x1f8
	v_mad_u32_u24 v27, v0, s0, v26
	ds_read_b64 v[10:11], v27 offset:17664
	s_waitcnt lgkmcnt(0)
	ds_write_b64 v26, v[10:11] offset:16656
	ds_read_b64 v[10:11], v27 offset:17672
	s_waitcnt lgkmcnt(0)
	ds_write_b64 v26, v[10:11] offset:17168
.LBB38_479:
	s_or_b64 exec, exec, s[14:15]
	s_waitcnt lgkmcnt(0)
	s_barrier
	s_and_saveexec_b64 s[14:15], vcc
	s_cbranch_execz .LBB38_481
; %bb.480:
	v_mov_b32_e32 v26, 0
	ds_read_b64 v[28:29], v26 offset:17152
	v_mov_b32_e32 v27, 0x3ff00000
	ds_write_b64 v26, v[26:27] offset:17160
	s_waitcnt lgkmcnt(1)
	ds_write_b128 v26, v[26:29] offset:16640
.LBB38_481:
	s_or_b64 exec, exec, s[14:15]
	s_movk_i32 s0, 0x3ff
	v_and_b32_e32 v28, 31, v0
	v_lshrrev_b32_e32 v29, 5, v15
	v_cmp_lt_u32_e64 s[16:17], s0, v15
	s_movk_i32 s0, 0x400
	v_mov_b32_e32 v10, 0
	v_sub_u32_e32 v26, 31, v29
	v_cmp_gt_u32_e64 s[14:15], s0, v15
	v_mov_b32_e32 v11, 0
	v_lshlrev_b32_e32 v27, 3, v28
	s_waitcnt lgkmcnt(0)
	s_barrier
	buffer_wbinvl1_vol
	s_and_saveexec_b64 s[94:95], s[14:15]
	s_cbranch_execz .LBB38_543
; %bb.482:
	v_lshlrev_b32_e32 v30, 9, v26
	ds_read_b64 v[10:11], v27 offset:16384
	ds_read_b64 v[31:32], v30 offset:16640
	s_movk_i32 s0, 0x3e0
	v_cmp_gt_u32_e64 s[20:21], s0, v15
	s_waitcnt lgkmcnt(0)
	v_fma_f64 v[10:11], v[10:11], v[31:32], 0
	s_and_saveexec_b64 s[0:1], s[20:21]
	s_cbranch_execz .LBB38_484
; %bb.483:
	ds_read_b64 v[31:32], v27 offset:16896
	ds_read_b64 v[33:34], v30 offset:16648
	s_waitcnt lgkmcnt(0)
	v_fma_f64 v[10:11], v[31:32], v[33:34], v[10:11]
.LBB38_484:
	s_or_b64 exec, exec, s[0:1]
	s_movk_i32 s0, 0x3c0
	v_cmp_gt_u32_e64 s[20:21], s0, v15
	s_and_saveexec_b64 s[0:1], s[20:21]
	s_cbranch_execz .LBB38_486
; %bb.485:
	ds_read_b64 v[31:32], v27 offset:17408
	ds_read_b64 v[33:34], v30 offset:16656
	s_waitcnt lgkmcnt(0)
	v_fma_f64 v[10:11], v[31:32], v[33:34], v[10:11]
.LBB38_486:
	s_or_b64 exec, exec, s[0:1]
	s_movk_i32 s0, 0x3a0
	v_cmp_gt_u32_e64 s[20:21], s0, v15
	;; [unrolled: 11-line block ×22, first 2 shown]
	s_and_saveexec_b64 s[0:1], s[20:21]
	s_cbranch_execz .LBB38_528
; %bb.527:
	ds_read_b64 v[31:32], v27 offset:28160
	ds_read_b64 v[33:34], v30 offset:16824
	s_waitcnt lgkmcnt(0)
	v_fma_f64 v[10:11], v[31:32], v[33:34], v[10:11]
.LBB38_528:
	s_or_b64 exec, exec, s[0:1]
	s_and_saveexec_b64 s[0:1], s[10:11]
	s_cbranch_execz .LBB38_530
; %bb.529:
	ds_read_b64 v[31:32], v27 offset:28672
	ds_read_b64 v[33:34], v30 offset:16832
	s_waitcnt lgkmcnt(0)
	v_fma_f64 v[10:11], v[31:32], v[33:34], v[10:11]
.LBB38_530:
	s_or_b64 exec, exec, s[0:1]
	s_movk_i32 s0, 0xe0
	v_cmp_gt_u32_e64 s[20:21], s0, v15
	s_and_saveexec_b64 s[0:1], s[20:21]
	s_cbranch_execz .LBB38_532
; %bb.531:
	ds_read_b64 v[31:32], v27 offset:29184
	ds_read_b64 v[33:34], v30 offset:16840
	s_waitcnt lgkmcnt(0)
	v_fma_f64 v[10:11], v[31:32], v[33:34], v[10:11]
.LBB38_532:
	s_or_b64 exec, exec, s[0:1]
	s_movk_i32 s0, 0xc0
	v_cmp_gt_u32_e64 s[20:21], s0, v15
	;; [unrolled: 11-line block ×5, first 2 shown]
	s_and_saveexec_b64 s[0:1], s[20:21]
	s_cbranch_execnz .LBB38_1196
; %bb.539:
	s_or_b64 exec, exec, s[0:1]
	s_and_saveexec_b64 s[0:1], s[8:9]
	s_cbranch_execnz .LBB38_1197
.LBB38_540:
	s_or_b64 exec, exec, s[0:1]
	v_cmp_gt_u32_e64 s[20:21], 32, v15
	s_and_saveexec_b64 s[0:1], s[20:21]
	s_cbranch_execz .LBB38_542
.LBB38_541:
	v_lshlrev_b32_e32 v30, 3, v0
	v_mov_b32_e32 v32, 0
	ds_read_b64 v[30:31], v30 offset:32256
	ds_read_b64 v[32:33], v32 offset:32760
	s_waitcnt lgkmcnt(0)
	v_fma_f64 v[10:11], v[30:31], v[32:33], v[10:11]
.LBB38_542:
	s_or_b64 exec, exec, s[0:1]
.LBB38_543:
	s_or_b64 exec, exec, s[94:95]
	v_mov_b32_e32 v30, 0x8000
	v_cmp_eq_u32_e64 s[20:21], 31, v28
	s_xor_b64 s[94:95], s[16:17], -1
	v_lshl_add_u32 v29, v29, 3, v30
	s_and_b64 s[16:17], s[94:95], s[20:21]
	s_and_saveexec_b64 s[0:1], s[16:17]
; %bb.544:
	v_xor_b32_e32 v31, 0x80000000, v11
	v_mov_b32_e32 v30, v10
	ds_write_b64 v29, v[30:31]
; %bb.545:
	s_or_b64 exec, exec, s[0:1]
	v_cmp_ne_u32_e64 s[16:17], 31, v28
	s_and_b64 s[16:17], s[94:95], s[16:17]
	s_waitcnt lgkmcnt(0)
	s_barrier
	s_and_saveexec_b64 s[0:1], s[16:17]
	s_cbranch_execz .LBB38_547
; %bb.546:
	ds_read_b64 v[30:31], v27 offset:15872
	ds_read_b64 v[32:33], v29
	s_waitcnt lgkmcnt(0)
	v_fma_f64 v[10:11], -v[30:31], v[32:33], v[10:11]
.LBB38_547:
	s_or_b64 exec, exec, s[0:1]
	v_cmp_eq_u32_e64 s[16:17], 30, v28
	s_and_b64 s[16:17], s[94:95], s[16:17]
	s_barrier
	s_and_saveexec_b64 s[0:1], s[16:17]
; %bb.548:
	v_xor_b32_e32 v31, 0x80000000, v11
	v_mov_b32_e32 v30, v10
	ds_write_b64 v29, v[30:31]
; %bb.549:
	s_or_b64 exec, exec, s[0:1]
	v_cmp_gt_u32_e64 s[16:17], 30, v28
	s_and_b64 s[16:17], s[94:95], s[16:17]
	s_waitcnt lgkmcnt(0)
	s_barrier
	s_and_saveexec_b64 s[0:1], s[16:17]
	s_cbranch_execz .LBB38_551
; %bb.550:
	ds_read_b64 v[30:31], v27 offset:15360
	ds_read_b64 v[32:33], v29
	s_waitcnt lgkmcnt(0)
	v_fma_f64 v[10:11], -v[30:31], v[32:33], v[10:11]
.LBB38_551:
	s_or_b64 exec, exec, s[0:1]
	v_cmp_eq_u32_e64 s[16:17], 29, v28
	s_and_b64 s[16:17], s[94:95], s[16:17]
	s_barrier
	s_and_saveexec_b64 s[0:1], s[16:17]
; %bb.552:
	v_xor_b32_e32 v31, 0x80000000, v11
	v_mov_b32_e32 v30, v10
	ds_write_b64 v29, v[30:31]
; %bb.553:
	s_or_b64 exec, exec, s[0:1]
	v_cmp_gt_u32_e64 s[16:17], 29, v28
	;; [unrolled: 23-line block ×29, first 2 shown]
	s_and_b64 s[16:17], s[94:95], s[16:17]
	s_waitcnt lgkmcnt(0)
	s_barrier
	s_and_saveexec_b64 s[0:1], s[16:17]
	s_cbranch_execz .LBB38_663
; %bb.662:
	ds_read_b64 v[30:31], v27 offset:1024
	ds_read_b64 v[32:33], v29
	s_waitcnt lgkmcnt(0)
	v_fma_f64 v[10:11], -v[30:31], v[32:33], v[10:11]
.LBB38_663:
	s_or_b64 exec, exec, s[0:1]
	v_cmp_eq_u32_e64 s[16:17], 1, v28
	s_and_b64 s[16:17], s[94:95], s[16:17]
	s_barrier
	s_and_saveexec_b64 s[0:1], s[16:17]
; %bb.664:
	v_xor_b32_e32 v31, 0x80000000, v11
	v_mov_b32_e32 v30, v10
	ds_write_b64 v29, v[30:31]
; %bb.665:
	s_or_b64 exec, exec, s[0:1]
	v_cmp_eq_u32_e64 s[16:17], 0, v28
	s_and_b64 s[16:17], s[94:95], s[16:17]
	s_waitcnt lgkmcnt(0)
	s_barrier
	s_and_saveexec_b64 s[0:1], s[16:17]
	s_cbranch_execz .LBB38_667
; %bb.666:
	ds_read_b64 v[30:31], v27 offset:512
	ds_read_b64 v[32:33], v29
	s_waitcnt lgkmcnt(0)
	v_fma_f64 v[10:11], -v[30:31], v[32:33], v[10:11]
.LBB38_667:
	s_or_b64 exec, exec, s[0:1]
	s_barrier
	s_and_saveexec_b64 s[0:1], s[16:17]
; %bb.668:
	v_xor_b32_e32 v31, 0x80000000, v11
	v_mov_b32_e32 v30, v10
	ds_write_b64 v29, v[30:31]
; %bb.669:
	s_or_b64 exec, exec, s[0:1]
	s_waitcnt lgkmcnt(0)
	s_barrier
	s_barrier
	s_and_saveexec_b64 s[0:1], s[14:15]
; %bb.670:
	v_lshl_or_b32 v26, v26, 9, v27
	ds_write_b64 v26, v[10:11] offset:16384
; %bb.671:
	s_or_b64 exec, exec, s[0:1]
	v_cmp_gt_u32_e64 s[14:15], 32, v0
	s_and_b64 s[0:1], s[12:13], s[14:15]
	s_waitcnt lgkmcnt(0)
	s_barrier
	s_barrier
	s_and_saveexec_b64 s[12:13], s[0:1]
	s_cbranch_execz .LBB38_673
; %bb.672:
	v_lshlrev_b32_e32 v26, 9, v0
	ds_read_b64 v[10:11], v26 offset:16384
	s_movk_i32 s0, 0xfe08
	v_mad_i32_i24 v27, v0, s0, v26
	s_waitcnt lgkmcnt(0)
	ds_write_b64 v27, v[10:11] offset:256
	ds_read_b64 v[10:11], v26 offset:16392
	s_waitcnt lgkmcnt(0)
	ds_write_b64 v27, v[10:11] offset:768
	ds_read_b64 v[10:11], v26 offset:16400
	;; [unrolled: 3-line block ×31, first 2 shown]
	s_waitcnt lgkmcnt(0)
	ds_write_b64 v27, v[10:11] offset:16128
.LBB38_673:
	s_or_b64 exec, exec, s[12:13]
	s_waitcnt lgkmcnt(0)
	s_barrier
	s_and_saveexec_b64 s[12:13], vcc
	s_cbranch_execz .LBB38_675
; %bb.674:
	v_mov_b32_e32 v26, 0
	ds_read_b64 v[28:29], v26 offset:16112
	v_mov_b32_e32 v27, 0x3ff00000
	ds_write_b64 v26, v[26:27] offset:16120
	s_waitcnt lgkmcnt(1)
	ds_write_b128 v26, v[26:29] offset:15600
.LBB38_675:
	s_or_b64 exec, exec, s[12:13]
	v_mov_b32_e32 v10, 0
	v_mov_b32_e32 v11, 0
	s_waitcnt lgkmcnt(0)
	s_barrier
	buffer_wbinvl1_vol
	s_and_saveexec_b64 s[14:15], s[2:3]
	s_cbranch_execz .LBB38_679
; %bb.676:
	v_lshlrev_b32_e32 v26, 9, v13
	v_lshlrev_b32_e32 v10, 3, v12
	ds_read_b64 v[10:11], v10 offset:15584
	ds_read_b64 v[26:27], v26 offset:15600
	v_cmp_gt_u32_e64 s[12:13], 2, v15
	s_waitcnt lgkmcnt(0)
	v_fma_f64 v[10:11], v[10:11], v[26:27], 0
	s_and_saveexec_b64 s[0:1], s[12:13]
	s_cbranch_execz .LBB38_678
; %bb.677:
	v_lshlrev_b32_e32 v26, 3, v0
	v_mov_b32_e32 v28, 0
	ds_read_b64 v[26:27], v26 offset:16096
	ds_read_b64 v[28:29], v28 offset:16120
	s_waitcnt lgkmcnt(0)
	v_fma_f64 v[10:11], v[26:27], v[28:29], v[10:11]
.LBB38_678:
	s_or_b64 exec, exec, s[0:1]
.LBB38_679:
	s_or_b64 exec, exec, s[14:15]
	s_and_saveexec_b64 s[0:1], s[28:29]
; %bb.680:
	v_xor_b32_e32 v27, 0x80000000, v11
	v_mov_b32_e32 v26, v10
	ds_write_b64 v14, v[26:27]
; %bb.681:
	s_or_b64 exec, exec, s[0:1]
	s_waitcnt lgkmcnt(0)
	s_barrier
	s_and_saveexec_b64 s[0:1], s[26:27]
	s_cbranch_execz .LBB38_683
; %bb.682:
	v_mov_b32_e32 v26, 0
	ds_read_b64 v[26:27], v26 offset:15072
	ds_read_b64 v[28:29], v14
	s_waitcnt lgkmcnt(0)
	v_fma_f64 v[10:11], -v[26:27], v[28:29], v[10:11]
.LBB38_683:
	s_or_b64 exec, exec, s[0:1]
	s_barrier
	s_and_saveexec_b64 s[0:1], s[26:27]
; %bb.684:
	v_xor_b32_e32 v27, 0x80000000, v11
	v_mov_b32_e32 v26, v10
	ds_write_b64 v14, v[26:27]
; %bb.685:
	s_or_b64 exec, exec, s[0:1]
	s_waitcnt lgkmcnt(0)
	s_barrier
	s_barrier
	s_and_saveexec_b64 s[0:1], s[2:3]
; %bb.686:
	v_lshlrev_b32_e32 v26, 3, v12
	v_lshl_or_b32 v26, v13, 9, v26
	ds_write_b64 v26, v[10:11] offset:15584
; %bb.687:
	s_or_b64 exec, exec, s[0:1]
	s_waitcnt lgkmcnt(0)
	s_barrier
	s_barrier
	s_and_saveexec_b64 s[0:1], s[30:31]
	s_cbranch_execz .LBB38_689
; %bb.688:
	v_lshlrev_b32_e32 v26, 3, v0
	s_movk_i32 s12, 0x1f8
	v_mad_u32_u24 v27, v0, s12, v26
	ds_read_b64 v[10:11], v27 offset:15584
	s_waitcnt lgkmcnt(0)
	ds_write_b64 v26, v[10:11] offset:14576
	ds_read_b64 v[10:11], v27 offset:15592
	s_waitcnt lgkmcnt(0)
	ds_write_b64 v26, v[10:11] offset:15088
.LBB38_689:
	s_or_b64 exec, exec, s[0:1]
	s_waitcnt lgkmcnt(0)
	s_barrier
	s_and_saveexec_b64 s[12:13], vcc
	s_cbranch_execz .LBB38_691
; %bb.690:
	v_mov_b32_e32 v26, 0
	ds_read_b64 v[28:29], v26 offset:15072
	v_mov_b32_e32 v27, 0x3ff00000
	ds_write_b64 v26, v[26:27] offset:15080
	s_waitcnt lgkmcnt(1)
	ds_write_b128 v26, v[26:29] offset:14560
.LBB38_691:
	s_or_b64 exec, exec, s[12:13]
	v_mov_b32_e32 v10, 0
	v_mov_b32_e32 v11, 0
	s_waitcnt lgkmcnt(0)
	s_barrier
	buffer_wbinvl1_vol
	s_and_saveexec_b64 s[14:15], s[18:19]
	s_cbranch_execz .LBB38_697
; %bb.692:
	v_lshlrev_b32_e32 v27, 3, v16
	v_lshlrev_b32_e32 v26, 9, v17
	ds_read_b64 v[10:11], v27 offset:14528
	ds_read_b64 v[28:29], v26 offset:14560
	v_cmp_gt_u32_e64 s[12:13], 12, v15
	s_waitcnt lgkmcnt(0)
	v_fma_f64 v[10:11], v[10:11], v[28:29], 0
	s_and_saveexec_b64 s[0:1], s[12:13]
	s_cbranch_execnz .LBB38_1198
; %bb.693:
	s_or_b64 exec, exec, s[0:1]
	v_cmp_gt_u32_e64 s[12:13], 8, v15
	s_and_saveexec_b64 s[0:1], s[12:13]
	s_cbranch_execnz .LBB38_1199
.LBB38_694:
	s_or_b64 exec, exec, s[0:1]
	v_cmp_gt_u32_e64 s[12:13], 4, v15
	s_and_saveexec_b64 s[0:1], s[12:13]
	s_cbranch_execz .LBB38_696
.LBB38_695:
	v_lshlrev_b32_e32 v26, 3, v0
	v_mov_b32_e32 v28, 0
	ds_read_b64 v[26:27], v26 offset:16064
	ds_read_b64 v[28:29], v28 offset:16120
	s_waitcnt lgkmcnt(0)
	v_fma_f64 v[10:11], v[26:27], v[28:29], v[10:11]
.LBB38_696:
	s_or_b64 exec, exec, s[0:1]
.LBB38_697:
	s_or_b64 exec, exec, s[14:15]
	s_and_saveexec_b64 s[0:1], s[36:37]
; %bb.698:
	v_xor_b32_e32 v27, 0x80000000, v11
	v_mov_b32_e32 v26, v10
	ds_write_b64 v19, v[26:27]
; %bb.699:
	s_or_b64 exec, exec, s[0:1]
	s_waitcnt lgkmcnt(0)
	s_barrier
	s_and_saveexec_b64 s[0:1], s[38:39]
	s_cbranch_execz .LBB38_701
; %bb.700:
	v_lshlrev_b32_e32 v26, 3, v16
	ds_read_b64 v[26:27], v26 offset:14016
	ds_read_b64 v[28:29], v19
	s_waitcnt lgkmcnt(0)
	v_fma_f64 v[10:11], -v[26:27], v[28:29], v[10:11]
.LBB38_701:
	s_or_b64 exec, exec, s[0:1]
	s_barrier
	s_and_saveexec_b64 s[0:1], s[42:43]
; %bb.702:
	v_xor_b32_e32 v27, 0x80000000, v11
	v_mov_b32_e32 v26, v10
	ds_write_b64 v19, v[26:27]
; %bb.703:
	s_or_b64 exec, exec, s[0:1]
	s_waitcnt lgkmcnt(0)
	s_barrier
	s_and_saveexec_b64 s[0:1], s[52:53]
	s_cbranch_execz .LBB38_705
; %bb.704:
	v_lshlrev_b32_e32 v26, 3, v16
	ds_read_b64 v[26:27], v26 offset:13504
	ds_read_b64 v[28:29], v19
	s_waitcnt lgkmcnt(0)
	v_fma_f64 v[10:11], -v[26:27], v[28:29], v[10:11]
.LBB38_705:
	s_or_b64 exec, exec, s[0:1]
	s_barrier
	s_and_saveexec_b64 s[0:1], s[54:55]
; %bb.706:
	v_xor_b32_e32 v27, 0x80000000, v11
	v_mov_b32_e32 v26, v10
	ds_write_b64 v19, v[26:27]
; %bb.707:
	s_or_b64 exec, exec, s[0:1]
	s_waitcnt lgkmcnt(0)
	s_barrier
	s_and_saveexec_b64 s[0:1], s[34:35]
	s_cbranch_execz .LBB38_709
; %bb.708:
	v_mov_b32_e32 v26, 0
	ds_read_b64 v[26:27], v26 offset:12992
	ds_read_b64 v[28:29], v19
	s_waitcnt lgkmcnt(0)
	v_fma_f64 v[10:11], -v[26:27], v[28:29], v[10:11]
.LBB38_709:
	s_or_b64 exec, exec, s[0:1]
	s_barrier
	s_and_saveexec_b64 s[0:1], s[34:35]
; %bb.710:
	v_xor_b32_e32 v27, 0x80000000, v11
	v_mov_b32_e32 v26, v10
	ds_write_b64 v19, v[26:27]
; %bb.711:
	s_or_b64 exec, exec, s[0:1]
	s_waitcnt lgkmcnt(0)
	s_barrier
	s_barrier
	s_and_saveexec_b64 s[0:1], s[18:19]
; %bb.712:
	v_lshlrev_b32_e32 v26, 3, v16
	v_lshl_or_b32 v26, v17, 9, v26
	ds_write_b64 v26, v[10:11] offset:14528
; %bb.713:
	s_or_b64 exec, exec, s[0:1]
	s_waitcnt lgkmcnt(0)
	s_barrier
	s_barrier
	s_and_saveexec_b64 s[12:13], s[56:57]
	s_cbranch_execz .LBB38_715
; %bb.714:
	v_lshlrev_b32_e32 v26, 9, v0
	ds_read_b64 v[10:11], v26 offset:14528
	s_movk_i32 s0, 0xfe08
	v_mad_i32_i24 v27, v0, s0, v26
	s_waitcnt lgkmcnt(0)
	ds_write_b64 v27, v[10:11] offset:12512
	ds_read_b64 v[10:11], v26 offset:14536
	s_waitcnt lgkmcnt(0)
	ds_write_b64 v27, v[10:11] offset:13024
	ds_read_b64 v[10:11], v26 offset:14544
	s_waitcnt lgkmcnt(0)
	ds_write_b64 v27, v[10:11] offset:13536
	ds_read_b64 v[10:11], v26 offset:14552
	s_waitcnt lgkmcnt(0)
	ds_write_b64 v27, v[10:11] offset:14048
.LBB38_715:
	s_or_b64 exec, exec, s[12:13]
	s_waitcnt lgkmcnt(0)
	s_barrier
	s_and_saveexec_b64 s[12:13], vcc
	s_cbranch_execz .LBB38_717
; %bb.716:
	v_mov_b32_e32 v26, 0
	ds_read_b64 v[28:29], v26 offset:14032
	v_mov_b32_e32 v27, 0x3ff00000
	ds_write_b64 v26, v[26:27] offset:14040
	s_waitcnt lgkmcnt(1)
	ds_write_b128 v26, v[26:29] offset:13520
.LBB38_717:
	s_or_b64 exec, exec, s[12:13]
	v_mov_b32_e32 v10, 0
	v_mov_b32_e32 v11, 0
	s_waitcnt lgkmcnt(0)
	s_barrier
	buffer_wbinvl1_vol
	s_and_saveexec_b64 s[14:15], s[2:3]
	s_cbranch_execz .LBB38_721
; %bb.718:
	v_lshlrev_b32_e32 v26, 9, v13
	v_lshlrev_b32_e32 v10, 3, v12
	ds_read_b64 v[10:11], v10 offset:13504
	ds_read_b64 v[26:27], v26 offset:13520
	v_cmp_gt_u32_e64 s[12:13], 2, v15
	s_waitcnt lgkmcnt(0)
	v_fma_f64 v[10:11], v[10:11], v[26:27], 0
	s_and_saveexec_b64 s[0:1], s[12:13]
	s_cbranch_execz .LBB38_720
; %bb.719:
	v_lshlrev_b32_e32 v26, 3, v0
	v_mov_b32_e32 v28, 0
	ds_read_b64 v[26:27], v26 offset:14016
	ds_read_b64 v[28:29], v28 offset:14040
	s_waitcnt lgkmcnt(0)
	v_fma_f64 v[10:11], v[26:27], v[28:29], v[10:11]
.LBB38_720:
	s_or_b64 exec, exec, s[0:1]
.LBB38_721:
	s_or_b64 exec, exec, s[14:15]
	s_and_saveexec_b64 s[0:1], s[28:29]
; %bb.722:
	v_xor_b32_e32 v27, 0x80000000, v11
	v_mov_b32_e32 v26, v10
	ds_write_b64 v14, v[26:27]
; %bb.723:
	s_or_b64 exec, exec, s[0:1]
	s_waitcnt lgkmcnt(0)
	s_barrier
	s_and_saveexec_b64 s[0:1], s[26:27]
	s_cbranch_execz .LBB38_725
; %bb.724:
	v_mov_b32_e32 v26, 0
	ds_read_b64 v[26:27], v26 offset:12992
	ds_read_b64 v[28:29], v14
	s_waitcnt lgkmcnt(0)
	v_fma_f64 v[10:11], -v[26:27], v[28:29], v[10:11]
.LBB38_725:
	s_or_b64 exec, exec, s[0:1]
	s_barrier
	s_and_saveexec_b64 s[0:1], s[26:27]
; %bb.726:
	v_xor_b32_e32 v27, 0x80000000, v11
	v_mov_b32_e32 v26, v10
	ds_write_b64 v14, v[26:27]
; %bb.727:
	s_or_b64 exec, exec, s[0:1]
	s_waitcnt lgkmcnt(0)
	s_barrier
	s_barrier
	s_and_saveexec_b64 s[0:1], s[2:3]
; %bb.728:
	v_lshlrev_b32_e32 v26, 3, v12
	v_lshl_or_b32 v26, v13, 9, v26
	ds_write_b64 v26, v[10:11] offset:13504
; %bb.729:
	s_or_b64 exec, exec, s[0:1]
	s_waitcnt lgkmcnt(0)
	s_barrier
	s_barrier
	s_and_saveexec_b64 s[0:1], s[30:31]
	s_cbranch_execz .LBB38_731
; %bb.730:
	v_lshlrev_b32_e32 v26, 3, v0
	s_movk_i32 s12, 0x1f8
	v_mad_u32_u24 v27, v0, s12, v26
	ds_read_b64 v[10:11], v27 offset:13504
	s_waitcnt lgkmcnt(0)
	ds_write_b64 v26, v[10:11] offset:12496
	ds_read_b64 v[10:11], v27 offset:13512
	s_waitcnt lgkmcnt(0)
	ds_write_b64 v26, v[10:11] offset:13008
.LBB38_731:
	s_or_b64 exec, exec, s[0:1]
	s_waitcnt lgkmcnt(0)
	s_barrier
	s_and_saveexec_b64 s[12:13], vcc
	s_cbranch_execz .LBB38_733
; %bb.732:
	v_mov_b32_e32 v26, 0
	ds_read_b64 v[28:29], v26 offset:12992
	v_mov_b32_e32 v27, 0x3ff00000
	ds_write_b64 v26, v[26:27] offset:13000
	s_waitcnt lgkmcnt(1)
	ds_write_b128 v26, v[26:29] offset:12480
.LBB38_733:
	s_or_b64 exec, exec, s[12:13]
	v_mov_b32_e32 v10, 0
	v_mov_b32_e32 v11, 0
	s_waitcnt lgkmcnt(0)
	s_barrier
	buffer_wbinvl1_vol
	s_and_saveexec_b64 s[14:15], s[8:9]
	s_cbranch_execz .LBB38_743
; %bb.734:
	v_lshlrev_b32_e32 v27, 3, v20
	v_lshlrev_b32_e32 v26, 9, v21
	ds_read_b64 v[10:11], v27 offset:12416
	ds_read_b64 v[28:29], v26 offset:12480
	v_cmp_gt_u32_e64 s[12:13], 56, v15
	s_waitcnt lgkmcnt(0)
	v_fma_f64 v[10:11], v[10:11], v[28:29], 0
	s_and_saveexec_b64 s[0:1], s[12:13]
	s_cbranch_execnz .LBB38_1200
; %bb.735:
	s_or_b64 exec, exec, s[0:1]
	v_cmp_gt_u32_e64 s[12:13], 48, v15
	s_and_saveexec_b64 s[0:1], s[12:13]
	s_cbranch_execnz .LBB38_1201
.LBB38_736:
	s_or_b64 exec, exec, s[0:1]
	v_cmp_gt_u32_e64 s[12:13], 40, v15
	s_and_saveexec_b64 s[0:1], s[12:13]
	s_cbranch_execnz .LBB38_1202
.LBB38_737:
	s_or_b64 exec, exec, s[0:1]
	v_cmp_gt_u32_e64 s[12:13], 32, v15
	s_and_saveexec_b64 s[0:1], s[12:13]
	s_cbranch_execnz .LBB38_1203
.LBB38_738:
	s_or_b64 exec, exec, s[0:1]
	v_cmp_gt_u32_e64 s[12:13], 24, v15
	s_and_saveexec_b64 s[0:1], s[12:13]
	s_cbranch_execnz .LBB38_1204
.LBB38_739:
	s_or_b64 exec, exec, s[0:1]
	s_and_saveexec_b64 s[0:1], s[18:19]
	s_cbranch_execnz .LBB38_1205
.LBB38_740:
	s_or_b64 exec, exec, s[0:1]
	v_cmp_gt_u32_e64 s[12:13], 8, v15
	s_and_saveexec_b64 s[0:1], s[12:13]
	s_cbranch_execz .LBB38_742
.LBB38_741:
	v_lshlrev_b32_e32 v26, 3, v0
	v_mov_b32_e32 v28, 0
	ds_read_b64 v[26:27], v26 offset:16000
	ds_read_b64 v[28:29], v28 offset:16120
	s_waitcnt lgkmcnt(0)
	v_fma_f64 v[10:11], v[26:27], v[28:29], v[10:11]
.LBB38_742:
	s_or_b64 exec, exec, s[0:1]
.LBB38_743:
	s_or_b64 exec, exec, s[14:15]
	s_and_saveexec_b64 s[0:1], s[58:59]
; %bb.744:
	v_xor_b32_e32 v27, 0x80000000, v11
	v_mov_b32_e32 v26, v10
	ds_write_b64 v22, v[26:27]
; %bb.745:
	s_or_b64 exec, exec, s[0:1]
	s_waitcnt lgkmcnt(0)
	s_barrier
	s_and_saveexec_b64 s[0:1], s[60:61]
	s_cbranch_execz .LBB38_747
; %bb.746:
	v_lshlrev_b32_e32 v26, 3, v20
	ds_read_b64 v[26:27], v26 offset:11904
	ds_read_b64 v[28:29], v22
	s_waitcnt lgkmcnt(0)
	v_fma_f64 v[10:11], -v[26:27], v[28:29], v[10:11]
.LBB38_747:
	s_or_b64 exec, exec, s[0:1]
	s_barrier
	s_and_saveexec_b64 s[0:1], s[62:63]
; %bb.748:
	v_xor_b32_e32 v27, 0x80000000, v11
	v_mov_b32_e32 v26, v10
	ds_write_b64 v22, v[26:27]
; %bb.749:
	s_or_b64 exec, exec, s[0:1]
	s_waitcnt lgkmcnt(0)
	s_barrier
	s_and_saveexec_b64 s[0:1], s[64:65]
	s_cbranch_execz .LBB38_751
; %bb.750:
	v_lshlrev_b32_e32 v26, 3, v20
	ds_read_b64 v[26:27], v26 offset:11392
	ds_read_b64 v[28:29], v22
	s_waitcnt lgkmcnt(0)
	v_fma_f64 v[10:11], -v[26:27], v[28:29], v[10:11]
.LBB38_751:
	s_or_b64 exec, exec, s[0:1]
	s_barrier
	;; [unrolled: 20-line block ×6, first 2 shown]
	s_and_saveexec_b64 s[0:1], s[84:85]
; %bb.768:
	v_xor_b32_e32 v27, 0x80000000, v11
	v_mov_b32_e32 v26, v10
	ds_write_b64 v22, v[26:27]
; %bb.769:
	s_or_b64 exec, exec, s[0:1]
	s_waitcnt lgkmcnt(0)
	s_barrier
	s_and_saveexec_b64 s[0:1], s[68:69]
	s_cbranch_execz .LBB38_771
; %bb.770:
	v_mov_b32_e32 v26, 0
	ds_read_b64 v[26:27], v26 offset:8832
	ds_read_b64 v[28:29], v22
	s_waitcnt lgkmcnt(0)
	v_fma_f64 v[10:11], -v[26:27], v[28:29], v[10:11]
.LBB38_771:
	s_or_b64 exec, exec, s[0:1]
	s_barrier
	s_and_saveexec_b64 s[0:1], s[68:69]
; %bb.772:
	v_xor_b32_e32 v27, 0x80000000, v11
	v_mov_b32_e32 v26, v10
	ds_write_b64 v22, v[26:27]
; %bb.773:
	s_or_b64 exec, exec, s[0:1]
	s_waitcnt lgkmcnt(0)
	s_barrier
	s_barrier
	s_and_saveexec_b64 s[0:1], s[8:9]
; %bb.774:
	v_lshlrev_b32_e32 v26, 3, v20
	v_lshl_or_b32 v26, v21, 9, v26
	ds_write_b64 v26, v[10:11] offset:12416
; %bb.775:
	s_or_b64 exec, exec, s[0:1]
	s_waitcnt lgkmcnt(0)
	s_barrier
	s_barrier
	s_and_saveexec_b64 s[12:13], s[86:87]
	s_cbranch_execz .LBB38_777
; %bb.776:
	v_lshlrev_b32_e32 v26, 9, v0
	ds_read_b64 v[10:11], v26 offset:12416
	s_movk_i32 s0, 0xfe08
	v_mad_i32_i24 v27, v0, s0, v26
	s_waitcnt lgkmcnt(0)
	ds_write_b64 v27, v[10:11] offset:8384
	ds_read_b64 v[10:11], v26 offset:12424
	s_waitcnt lgkmcnt(0)
	ds_write_b64 v27, v[10:11] offset:8896
	ds_read_b64 v[10:11], v26 offset:12432
	;; [unrolled: 3-line block ×7, first 2 shown]
	s_waitcnt lgkmcnt(0)
	ds_write_b64 v27, v[10:11] offset:11968
.LBB38_777:
	s_or_b64 exec, exec, s[12:13]
	s_waitcnt lgkmcnt(0)
	s_barrier
	s_and_saveexec_b64 s[12:13], vcc
	s_cbranch_execz .LBB38_779
; %bb.778:
	v_mov_b32_e32 v26, 0
	ds_read_b64 v[28:29], v26 offset:11952
	v_mov_b32_e32 v27, 0x3ff00000
	ds_write_b64 v26, v[26:27] offset:11960
	s_waitcnt lgkmcnt(1)
	ds_write_b128 v26, v[26:29] offset:11440
.LBB38_779:
	s_or_b64 exec, exec, s[12:13]
	v_mov_b32_e32 v10, 0
	v_mov_b32_e32 v11, 0
	s_waitcnt lgkmcnt(0)
	s_barrier
	buffer_wbinvl1_vol
	s_and_saveexec_b64 s[14:15], s[2:3]
	s_cbranch_execz .LBB38_783
; %bb.780:
	v_lshlrev_b32_e32 v26, 9, v13
	v_lshlrev_b32_e32 v10, 3, v12
	ds_read_b64 v[10:11], v10 offset:11424
	ds_read_b64 v[26:27], v26 offset:11440
	v_cmp_gt_u32_e64 s[12:13], 2, v15
	s_waitcnt lgkmcnt(0)
	v_fma_f64 v[10:11], v[10:11], v[26:27], 0
	s_and_saveexec_b64 s[0:1], s[12:13]
	s_cbranch_execz .LBB38_782
; %bb.781:
	v_lshlrev_b32_e32 v26, 3, v0
	v_mov_b32_e32 v28, 0
	ds_read_b64 v[26:27], v26 offset:11936
	ds_read_b64 v[28:29], v28 offset:11960
	s_waitcnt lgkmcnt(0)
	v_fma_f64 v[10:11], v[26:27], v[28:29], v[10:11]
.LBB38_782:
	s_or_b64 exec, exec, s[0:1]
.LBB38_783:
	s_or_b64 exec, exec, s[14:15]
	s_and_saveexec_b64 s[0:1], s[28:29]
; %bb.784:
	v_xor_b32_e32 v27, 0x80000000, v11
	v_mov_b32_e32 v26, v10
	ds_write_b64 v14, v[26:27]
; %bb.785:
	s_or_b64 exec, exec, s[0:1]
	s_waitcnt lgkmcnt(0)
	s_barrier
	s_and_saveexec_b64 s[0:1], s[26:27]
	s_cbranch_execz .LBB38_787
; %bb.786:
	v_mov_b32_e32 v26, 0
	ds_read_b64 v[26:27], v26 offset:10912
	ds_read_b64 v[28:29], v14
	s_waitcnt lgkmcnt(0)
	v_fma_f64 v[10:11], -v[26:27], v[28:29], v[10:11]
.LBB38_787:
	s_or_b64 exec, exec, s[0:1]
	s_barrier
	s_and_saveexec_b64 s[0:1], s[26:27]
; %bb.788:
	v_xor_b32_e32 v27, 0x80000000, v11
	v_mov_b32_e32 v26, v10
	ds_write_b64 v14, v[26:27]
; %bb.789:
	s_or_b64 exec, exec, s[0:1]
	s_waitcnt lgkmcnt(0)
	s_barrier
	s_barrier
	s_and_saveexec_b64 s[0:1], s[2:3]
; %bb.790:
	v_lshlrev_b32_e32 v26, 3, v12
	v_lshl_or_b32 v26, v13, 9, v26
	ds_write_b64 v26, v[10:11] offset:11424
; %bb.791:
	s_or_b64 exec, exec, s[0:1]
	s_waitcnt lgkmcnt(0)
	s_barrier
	s_barrier
	s_and_saveexec_b64 s[0:1], s[30:31]
	s_cbranch_execz .LBB38_793
; %bb.792:
	v_lshlrev_b32_e32 v26, 3, v0
	s_movk_i32 s12, 0x1f8
	v_mad_u32_u24 v27, v0, s12, v26
	ds_read_b64 v[10:11], v27 offset:11424
	s_waitcnt lgkmcnt(0)
	ds_write_b64 v26, v[10:11] offset:10416
	ds_read_b64 v[10:11], v27 offset:11432
	s_waitcnt lgkmcnt(0)
	ds_write_b64 v26, v[10:11] offset:10928
.LBB38_793:
	s_or_b64 exec, exec, s[0:1]
	s_waitcnt lgkmcnt(0)
	s_barrier
	s_and_saveexec_b64 s[12:13], vcc
	s_cbranch_execz .LBB38_795
; %bb.794:
	v_mov_b32_e32 v26, 0
	ds_read_b64 v[28:29], v26 offset:10912
	v_mov_b32_e32 v27, 0x3ff00000
	ds_write_b64 v26, v[26:27] offset:10920
	s_waitcnt lgkmcnt(1)
	ds_write_b128 v26, v[26:29] offset:10400
.LBB38_795:
	s_or_b64 exec, exec, s[12:13]
	v_mov_b32_e32 v10, 0
	v_mov_b32_e32 v11, 0
	s_waitcnt lgkmcnt(0)
	s_barrier
	buffer_wbinvl1_vol
	s_and_saveexec_b64 s[14:15], s[18:19]
	s_cbranch_execz .LBB38_801
; %bb.796:
	v_lshlrev_b32_e32 v27, 3, v16
	v_lshlrev_b32_e32 v26, 9, v17
	ds_read_b64 v[10:11], v27 offset:10368
	ds_read_b64 v[28:29], v26 offset:10400
	v_cmp_gt_u32_e64 s[12:13], 12, v15
	s_waitcnt lgkmcnt(0)
	v_fma_f64 v[10:11], v[10:11], v[28:29], 0
	s_and_saveexec_b64 s[0:1], s[12:13]
	s_cbranch_execnz .LBB38_1206
; %bb.797:
	s_or_b64 exec, exec, s[0:1]
	v_cmp_gt_u32_e64 s[12:13], 8, v15
	s_and_saveexec_b64 s[0:1], s[12:13]
	s_cbranch_execnz .LBB38_1207
.LBB38_798:
	s_or_b64 exec, exec, s[0:1]
	v_cmp_gt_u32_e64 s[12:13], 4, v15
	s_and_saveexec_b64 s[0:1], s[12:13]
	s_cbranch_execz .LBB38_800
.LBB38_799:
	v_lshlrev_b32_e32 v26, 3, v0
	v_mov_b32_e32 v28, 0
	ds_read_b64 v[26:27], v26 offset:11904
	ds_read_b64 v[28:29], v28 offset:11960
	s_waitcnt lgkmcnt(0)
	v_fma_f64 v[10:11], v[26:27], v[28:29], v[10:11]
.LBB38_800:
	s_or_b64 exec, exec, s[0:1]
.LBB38_801:
	s_or_b64 exec, exec, s[14:15]
	s_and_saveexec_b64 s[0:1], s[36:37]
; %bb.802:
	v_xor_b32_e32 v27, 0x80000000, v11
	v_mov_b32_e32 v26, v10
	ds_write_b64 v19, v[26:27]
; %bb.803:
	s_or_b64 exec, exec, s[0:1]
	s_waitcnt lgkmcnt(0)
	s_barrier
	s_and_saveexec_b64 s[0:1], s[38:39]
	s_cbranch_execz .LBB38_805
; %bb.804:
	v_lshlrev_b32_e32 v26, 3, v16
	ds_read_b64 v[26:27], v26 offset:9856
	ds_read_b64 v[28:29], v19
	s_waitcnt lgkmcnt(0)
	v_fma_f64 v[10:11], -v[26:27], v[28:29], v[10:11]
.LBB38_805:
	s_or_b64 exec, exec, s[0:1]
	s_barrier
	s_and_saveexec_b64 s[0:1], s[42:43]
; %bb.806:
	v_xor_b32_e32 v27, 0x80000000, v11
	v_mov_b32_e32 v26, v10
	ds_write_b64 v19, v[26:27]
; %bb.807:
	s_or_b64 exec, exec, s[0:1]
	s_waitcnt lgkmcnt(0)
	s_barrier
	s_and_saveexec_b64 s[0:1], s[52:53]
	s_cbranch_execz .LBB38_809
; %bb.808:
	v_lshlrev_b32_e32 v26, 3, v16
	ds_read_b64 v[26:27], v26 offset:9344
	ds_read_b64 v[28:29], v19
	s_waitcnt lgkmcnt(0)
	v_fma_f64 v[10:11], -v[26:27], v[28:29], v[10:11]
.LBB38_809:
	s_or_b64 exec, exec, s[0:1]
	s_barrier
	s_and_saveexec_b64 s[0:1], s[54:55]
; %bb.810:
	v_xor_b32_e32 v27, 0x80000000, v11
	v_mov_b32_e32 v26, v10
	ds_write_b64 v19, v[26:27]
; %bb.811:
	s_or_b64 exec, exec, s[0:1]
	s_waitcnt lgkmcnt(0)
	s_barrier
	s_and_saveexec_b64 s[0:1], s[34:35]
	s_cbranch_execz .LBB38_813
; %bb.812:
	v_mov_b32_e32 v26, 0
	ds_read_b64 v[26:27], v26 offset:8832
	ds_read_b64 v[28:29], v19
	s_waitcnt lgkmcnt(0)
	v_fma_f64 v[10:11], -v[26:27], v[28:29], v[10:11]
.LBB38_813:
	s_or_b64 exec, exec, s[0:1]
	s_barrier
	s_and_saveexec_b64 s[0:1], s[34:35]
; %bb.814:
	v_xor_b32_e32 v27, 0x80000000, v11
	v_mov_b32_e32 v26, v10
	ds_write_b64 v19, v[26:27]
; %bb.815:
	s_or_b64 exec, exec, s[0:1]
	s_waitcnt lgkmcnt(0)
	s_barrier
	s_barrier
	s_and_saveexec_b64 s[0:1], s[18:19]
; %bb.816:
	v_lshlrev_b32_e32 v26, 3, v16
	v_lshl_or_b32 v26, v17, 9, v26
	ds_write_b64 v26, v[10:11] offset:10368
; %bb.817:
	s_or_b64 exec, exec, s[0:1]
	s_waitcnt lgkmcnt(0)
	s_barrier
	s_barrier
	s_and_saveexec_b64 s[12:13], s[56:57]
	s_cbranch_execz .LBB38_819
; %bb.818:
	v_lshlrev_b32_e32 v26, 9, v0
	ds_read_b64 v[10:11], v26 offset:10368
	s_movk_i32 s0, 0xfe08
	v_mad_i32_i24 v27, v0, s0, v26
	s_waitcnt lgkmcnt(0)
	ds_write_b64 v27, v[10:11] offset:8352
	ds_read_b64 v[10:11], v26 offset:10376
	s_waitcnt lgkmcnt(0)
	ds_write_b64 v27, v[10:11] offset:8864
	ds_read_b64 v[10:11], v26 offset:10384
	s_waitcnt lgkmcnt(0)
	ds_write_b64 v27, v[10:11] offset:9376
	ds_read_b64 v[10:11], v26 offset:10392
	s_waitcnt lgkmcnt(0)
	ds_write_b64 v27, v[10:11] offset:9888
.LBB38_819:
	s_or_b64 exec, exec, s[12:13]
	s_waitcnt lgkmcnt(0)
	s_barrier
	s_and_saveexec_b64 s[12:13], vcc
	s_cbranch_execz .LBB38_821
; %bb.820:
	v_mov_b32_e32 v26, 0
	ds_read_b64 v[28:29], v26 offset:9872
	v_mov_b32_e32 v27, 0x3ff00000
	ds_write_b64 v26, v[26:27] offset:9880
	s_waitcnt lgkmcnt(1)
	ds_write_b128 v26, v[26:29] offset:9360
.LBB38_821:
	s_or_b64 exec, exec, s[12:13]
	v_mov_b32_e32 v10, 0
	v_mov_b32_e32 v11, 0
	s_waitcnt lgkmcnt(0)
	s_barrier
	buffer_wbinvl1_vol
	s_and_saveexec_b64 s[14:15], s[2:3]
	s_cbranch_execz .LBB38_825
; %bb.822:
	v_lshlrev_b32_e32 v26, 9, v13
	v_lshlrev_b32_e32 v10, 3, v12
	ds_read_b64 v[10:11], v10 offset:9344
	ds_read_b64 v[26:27], v26 offset:9360
	v_cmp_gt_u32_e64 s[12:13], 2, v15
	s_waitcnt lgkmcnt(0)
	v_fma_f64 v[10:11], v[10:11], v[26:27], 0
	s_and_saveexec_b64 s[0:1], s[12:13]
	s_cbranch_execz .LBB38_824
; %bb.823:
	v_lshlrev_b32_e32 v26, 3, v0
	v_mov_b32_e32 v28, 0
	ds_read_b64 v[26:27], v26 offset:9856
	ds_read_b64 v[28:29], v28 offset:9880
	s_waitcnt lgkmcnt(0)
	v_fma_f64 v[10:11], v[26:27], v[28:29], v[10:11]
.LBB38_824:
	s_or_b64 exec, exec, s[0:1]
.LBB38_825:
	s_or_b64 exec, exec, s[14:15]
	s_and_saveexec_b64 s[0:1], s[28:29]
; %bb.826:
	v_xor_b32_e32 v27, 0x80000000, v11
	v_mov_b32_e32 v26, v10
	ds_write_b64 v14, v[26:27]
; %bb.827:
	s_or_b64 exec, exec, s[0:1]
	s_waitcnt lgkmcnt(0)
	s_barrier
	s_and_saveexec_b64 s[0:1], s[26:27]
	s_cbranch_execz .LBB38_829
; %bb.828:
	v_mov_b32_e32 v26, 0
	ds_read_b64 v[26:27], v26 offset:8832
	ds_read_b64 v[28:29], v14
	s_waitcnt lgkmcnt(0)
	v_fma_f64 v[10:11], -v[26:27], v[28:29], v[10:11]
.LBB38_829:
	s_or_b64 exec, exec, s[0:1]
	s_barrier
	s_and_saveexec_b64 s[0:1], s[26:27]
; %bb.830:
	v_xor_b32_e32 v27, 0x80000000, v11
	v_mov_b32_e32 v26, v10
	ds_write_b64 v14, v[26:27]
; %bb.831:
	s_or_b64 exec, exec, s[0:1]
	s_waitcnt lgkmcnt(0)
	s_barrier
	s_barrier
	s_and_saveexec_b64 s[0:1], s[2:3]
; %bb.832:
	v_lshlrev_b32_e32 v26, 3, v12
	v_lshl_or_b32 v26, v13, 9, v26
	ds_write_b64 v26, v[10:11] offset:9344
; %bb.833:
	s_or_b64 exec, exec, s[0:1]
	s_waitcnt lgkmcnt(0)
	s_barrier
	s_barrier
	s_and_saveexec_b64 s[0:1], s[30:31]
	s_cbranch_execz .LBB38_835
; %bb.834:
	v_lshlrev_b32_e32 v26, 3, v0
	s_movk_i32 s12, 0x1f8
	v_mad_u32_u24 v27, v0, s12, v26
	ds_read_b64 v[10:11], v27 offset:9344
	s_waitcnt lgkmcnt(0)
	ds_write_b64 v26, v[10:11] offset:8336
	ds_read_b64 v[10:11], v27 offset:9352
	s_waitcnt lgkmcnt(0)
	ds_write_b64 v26, v[10:11] offset:8848
.LBB38_835:
	s_or_b64 exec, exec, s[0:1]
	s_waitcnt lgkmcnt(0)
	s_barrier
	s_and_saveexec_b64 s[12:13], vcc
	s_cbranch_execz .LBB38_837
; %bb.836:
	v_mov_b32_e32 v26, 0
	ds_read_b64 v[28:29], v26 offset:8832
	v_mov_b32_e32 v27, 0x3ff00000
	ds_write_b64 v26, v[26:27] offset:8840
	s_waitcnt lgkmcnt(1)
	ds_write_b128 v26, v[26:29] offset:8320
.LBB38_837:
	s_or_b64 exec, exec, s[12:13]
	v_mov_b32_e32 v10, 0
	v_mov_b32_e32 v11, 0
	s_waitcnt lgkmcnt(0)
	s_barrier
	buffer_wbinvl1_vol
	s_and_saveexec_b64 s[14:15], s[10:11]
	s_cbranch_execz .LBB38_865
; %bb.838:
	v_lshlrev_b32_e32 v27, 3, v23
	v_lshlrev_b32_e32 v26, 9, v24
	ds_read_b64 v[10:11], v27 offset:8192
	ds_read_b64 v[28:29], v26 offset:8320
	s_movk_i32 s0, 0xf0
	v_cmp_gt_u32_e64 s[12:13], s0, v15
	s_waitcnt lgkmcnt(0)
	v_fma_f64 v[10:11], v[10:11], v[28:29], 0
	s_and_saveexec_b64 s[0:1], s[12:13]
	s_cbranch_execz .LBB38_840
; %bb.839:
	ds_read_b64 v[28:29], v27 offset:8704
	ds_read_b64 v[30:31], v26 offset:8328
	s_waitcnt lgkmcnt(0)
	v_fma_f64 v[10:11], v[28:29], v[30:31], v[10:11]
.LBB38_840:
	s_or_b64 exec, exec, s[0:1]
	s_movk_i32 s0, 0xe0
	v_cmp_gt_u32_e64 s[12:13], s0, v15
	s_and_saveexec_b64 s[0:1], s[12:13]
	s_cbranch_execz .LBB38_842
; %bb.841:
	ds_read_b64 v[28:29], v27 offset:9216
	ds_read_b64 v[30:31], v26 offset:8336
	s_waitcnt lgkmcnt(0)
	v_fma_f64 v[10:11], v[28:29], v[30:31], v[10:11]
.LBB38_842:
	s_or_b64 exec, exec, s[0:1]
	s_movk_i32 s0, 0xd0
	v_cmp_gt_u32_e64 s[12:13], s0, v15
	;; [unrolled: 11-line block ×10, first 2 shown]
	s_and_saveexec_b64 s[0:1], s[12:13]
	s_cbranch_execnz .LBB38_1208
; %bb.859:
	s_or_b64 exec, exec, s[0:1]
	s_and_saveexec_b64 s[0:1], s[8:9]
	s_cbranch_execnz .LBB38_1209
.LBB38_860:
	s_or_b64 exec, exec, s[0:1]
	v_cmp_gt_u32_e64 s[12:13], 48, v15
	s_and_saveexec_b64 s[0:1], s[12:13]
	s_cbranch_execnz .LBB38_1210
.LBB38_861:
	s_or_b64 exec, exec, s[0:1]
	v_cmp_gt_u32_e64 s[12:13], 32, v15
	s_and_saveexec_b64 s[0:1], s[12:13]
	s_cbranch_execnz .LBB38_1211
.LBB38_862:
	s_or_b64 exec, exec, s[0:1]
	v_cmp_gt_u32_e64 s[12:13], 16, v15
	s_and_saveexec_b64 s[0:1], s[12:13]
	s_cbranch_execz .LBB38_864
.LBB38_863:
	v_lshlrev_b32_e32 v26, 3, v0
	v_mov_b32_e32 v28, 0
	ds_read_b64 v[26:27], v26 offset:15872
	ds_read_b64 v[28:29], v28 offset:16120
	s_waitcnt lgkmcnt(0)
	v_fma_f64 v[10:11], v[26:27], v[28:29], v[10:11]
.LBB38_864:
	s_or_b64 exec, exec, s[0:1]
.LBB38_865:
	s_or_b64 exec, exec, s[14:15]
	s_mov_b64 s[0:1], exec
	v_readlane_b32 s12, v35, 2
	v_readlane_b32 s13, v35, 3
	s_and_b64 s[12:13], s[0:1], s[12:13]
	s_mov_b64 exec, s[12:13]
; %bb.866:
	v_xor_b32_e32 v27, 0x80000000, v11
	v_mov_b32_e32 v26, v10
	ds_write_b64 v25, v[26:27]
; %bb.867:
	s_or_b64 exec, exec, s[0:1]
	s_waitcnt lgkmcnt(0)
	s_barrier
	s_mov_b64 s[0:1], exec
	v_readlane_b32 s12, v35, 4
	v_readlane_b32 s13, v35, 5
	s_and_b64 s[12:13], s[0:1], s[12:13]
	s_mov_b64 exec, s[12:13]
	s_cbranch_execz .LBB38_869
; %bb.868:
	v_lshlrev_b32_e32 v26, 3, v23
	ds_read_b64 v[26:27], v26 offset:7680
	ds_read_b64 v[28:29], v25
	s_waitcnt lgkmcnt(0)
	v_fma_f64 v[10:11], -v[26:27], v[28:29], v[10:11]
.LBB38_869:
	s_or_b64 exec, exec, s[0:1]
	s_barrier
	s_mov_b64 s[0:1], exec
	v_readlane_b32 s12, v35, 6
	v_readlane_b32 s13, v35, 7
	s_and_b64 s[12:13], s[0:1], s[12:13]
	s_mov_b64 exec, s[12:13]
; %bb.870:
	v_xor_b32_e32 v27, 0x80000000, v11
	v_mov_b32_e32 v26, v10
	ds_write_b64 v25, v[26:27]
; %bb.871:
	s_or_b64 exec, exec, s[0:1]
	s_waitcnt lgkmcnt(0)
	s_barrier
	s_mov_b64 s[0:1], exec
	v_readlane_b32 s12, v35, 8
	v_readlane_b32 s13, v35, 9
	s_and_b64 s[12:13], s[0:1], s[12:13]
	s_mov_b64 exec, s[12:13]
	s_cbranch_execz .LBB38_873
; %bb.872:
	v_lshlrev_b32_e32 v26, 3, v23
	ds_read_b64 v[26:27], v26 offset:7168
	ds_read_b64 v[28:29], v25
	s_waitcnt lgkmcnt(0)
	v_fma_f64 v[10:11], -v[26:27], v[28:29], v[10:11]
.LBB38_873:
	s_or_b64 exec, exec, s[0:1]
	s_barrier
	;; [unrolled: 28-line block ×14, first 2 shown]
	s_mov_b64 s[0:1], exec
	v_readlane_b32 s12, v35, 58
	v_readlane_b32 s13, v35, 59
	s_and_b64 s[12:13], s[0:1], s[12:13]
	s_mov_b64 exec, s[12:13]
; %bb.922:
	v_xor_b32_e32 v27, 0x80000000, v11
	v_mov_b32_e32 v26, v10
	ds_write_b64 v25, v[26:27]
; %bb.923:
	s_or_b64 exec, exec, s[0:1]
	s_waitcnt lgkmcnt(0)
	s_barrier
	s_and_saveexec_b64 s[0:1], s[90:91]
	s_cbranch_execz .LBB38_925
; %bb.924:
	v_mov_b32_e32 v26, 0
	ds_read_b64 v[26:27], v26 offset:512
	ds_read_b64 v[28:29], v25
	s_waitcnt lgkmcnt(0)
	v_fma_f64 v[10:11], -v[26:27], v[28:29], v[10:11]
.LBB38_925:
	s_or_b64 exec, exec, s[0:1]
	s_barrier
	s_and_saveexec_b64 s[0:1], s[90:91]
; %bb.926:
	v_xor_b32_e32 v27, 0x80000000, v11
	v_mov_b32_e32 v26, v10
	ds_write_b64 v25, v[26:27]
; %bb.927:
	s_or_b64 exec, exec, s[0:1]
	s_waitcnt lgkmcnt(0)
	s_barrier
	s_barrier
	s_and_saveexec_b64 s[0:1], s[10:11]
; %bb.928:
	v_lshlrev_b32_e32 v23, 3, v23
	v_lshl_or_b32 v23, v24, 9, v23
	ds_write_b64 v23, v[10:11] offset:8192
; %bb.929:
	s_or_b64 exec, exec, s[0:1]
	s_waitcnt lgkmcnt(0)
	s_barrier
	s_barrier
	s_and_saveexec_b64 s[0:1], s[92:93]
	s_cbranch_execz .LBB38_931
; %bb.930:
	v_lshlrev_b32_e32 v23, 9, v0
	ds_read_b64 v[10:11], v23 offset:8192
	s_movk_i32 s10, 0xfe08
	v_mad_i32_i24 v24, v0, s10, v23
	s_waitcnt lgkmcnt(0)
	ds_write_b64 v24, v[10:11] offset:128
	ds_read_b64 v[10:11], v23 offset:8200
	s_waitcnt lgkmcnt(0)
	ds_write_b64 v24, v[10:11] offset:640
	ds_read_b64 v[10:11], v23 offset:8208
	;; [unrolled: 3-line block ×15, first 2 shown]
	s_waitcnt lgkmcnt(0)
	ds_write_b64 v24, v[10:11] offset:7808
.LBB38_931:
	s_or_b64 exec, exec, s[0:1]
	s_waitcnt lgkmcnt(0)
	s_barrier
	s_and_saveexec_b64 s[0:1], vcc
	s_cbranch_execz .LBB38_933
; %bb.932:
	v_mov_b32_e32 v23, 0
	ds_read_b64 v[25:26], v23 offset:7792
	v_mov_b32_e32 v24, 0x3ff00000
	ds_write_b64 v23, v[23:24] offset:7800
	s_waitcnt lgkmcnt(1)
	ds_write_b128 v23, v[23:26] offset:7280
.LBB38_933:
	s_or_b64 exec, exec, s[0:1]
	v_mov_b32_e32 v10, 0
	v_mov_b32_e32 v11, 0
	s_waitcnt lgkmcnt(0)
	s_barrier
	buffer_wbinvl1_vol
	s_and_saveexec_b64 s[0:1], s[2:3]
	s_cbranch_execz .LBB38_937
; %bb.934:
	v_lshlrev_b32_e32 v23, 9, v13
	v_lshlrev_b32_e32 v10, 3, v12
	ds_read_b64 v[10:11], v10 offset:7264
	ds_read_b64 v[23:24], v23 offset:7280
	v_cmp_gt_u32_e64 s[10:11], 2, v15
	s_waitcnt lgkmcnt(0)
	v_fma_f64 v[10:11], v[10:11], v[23:24], 0
	s_and_saveexec_b64 s[12:13], s[10:11]
	s_cbranch_execz .LBB38_936
; %bb.935:
	v_lshlrev_b32_e32 v23, 3, v0
	v_mov_b32_e32 v25, 0
	ds_read_b64 v[23:24], v23 offset:7776
	ds_read_b64 v[25:26], v25 offset:7800
	s_waitcnt lgkmcnt(0)
	v_fma_f64 v[10:11], v[23:24], v[25:26], v[10:11]
.LBB38_936:
	s_or_b64 exec, exec, s[12:13]
.LBB38_937:
	s_or_b64 exec, exec, s[0:1]
	s_and_saveexec_b64 s[0:1], s[28:29]
; %bb.938:
	v_xor_b32_e32 v24, 0x80000000, v11
	v_mov_b32_e32 v23, v10
	ds_write_b64 v14, v[23:24]
; %bb.939:
	s_or_b64 exec, exec, s[0:1]
	s_waitcnt lgkmcnt(0)
	s_barrier
	s_and_saveexec_b64 s[0:1], s[26:27]
	s_cbranch_execz .LBB38_941
; %bb.940:
	v_mov_b32_e32 v23, 0
	ds_read_b64 v[23:24], v23 offset:6752
	ds_read_b64 v[25:26], v14
	s_waitcnt lgkmcnt(0)
	v_fma_f64 v[10:11], -v[23:24], v[25:26], v[10:11]
.LBB38_941:
	s_or_b64 exec, exec, s[0:1]
	s_barrier
	s_and_saveexec_b64 s[0:1], s[26:27]
; %bb.942:
	v_xor_b32_e32 v24, 0x80000000, v11
	v_mov_b32_e32 v23, v10
	ds_write_b64 v14, v[23:24]
; %bb.943:
	s_or_b64 exec, exec, s[0:1]
	s_waitcnt lgkmcnt(0)
	s_barrier
	s_barrier
	s_and_saveexec_b64 s[0:1], s[2:3]
; %bb.944:
	v_lshlrev_b32_e32 v23, 3, v12
	v_lshl_or_b32 v23, v13, 9, v23
	ds_write_b64 v23, v[10:11] offset:7264
; %bb.945:
	s_or_b64 exec, exec, s[0:1]
	s_waitcnt lgkmcnt(0)
	s_barrier
	s_barrier
	s_and_saveexec_b64 s[0:1], s[30:31]
	s_cbranch_execz .LBB38_947
; %bb.946:
	v_lshlrev_b32_e32 v23, 3, v0
	s_movk_i32 s10, 0x1f8
	v_mad_u32_u24 v24, v0, s10, v23
	ds_read_b64 v[10:11], v24 offset:7264
	s_waitcnt lgkmcnt(0)
	ds_write_b64 v23, v[10:11] offset:6256
	ds_read_b64 v[10:11], v24 offset:7272
	s_waitcnt lgkmcnt(0)
	ds_write_b64 v23, v[10:11] offset:6768
.LBB38_947:
	s_or_b64 exec, exec, s[0:1]
	s_waitcnt lgkmcnt(0)
	s_barrier
	s_and_saveexec_b64 s[0:1], vcc
	s_cbranch_execz .LBB38_949
; %bb.948:
	v_mov_b32_e32 v23, 0
	ds_read_b64 v[25:26], v23 offset:6752
	v_mov_b32_e32 v24, 0x3ff00000
	ds_write_b64 v23, v[23:24] offset:6760
	s_waitcnt lgkmcnt(1)
	ds_write_b128 v23, v[23:26] offset:6240
.LBB38_949:
	s_or_b64 exec, exec, s[0:1]
	v_mov_b32_e32 v10, 0
	v_mov_b32_e32 v11, 0
	s_waitcnt lgkmcnt(0)
	s_barrier
	buffer_wbinvl1_vol
	s_and_saveexec_b64 s[0:1], s[18:19]
	s_cbranch_execz .LBB38_955
; %bb.950:
	v_lshlrev_b32_e32 v24, 3, v16
	v_lshlrev_b32_e32 v23, 9, v17
	ds_read_b64 v[10:11], v24 offset:6208
	ds_read_b64 v[25:26], v23 offset:6240
	v_cmp_gt_u32_e64 s[10:11], 12, v15
	s_waitcnt lgkmcnt(0)
	v_fma_f64 v[10:11], v[10:11], v[25:26], 0
	s_and_saveexec_b64 s[12:13], s[10:11]
	s_cbranch_execnz .LBB38_1212
; %bb.951:
	s_or_b64 exec, exec, s[12:13]
	v_cmp_gt_u32_e64 s[10:11], 8, v15
	s_and_saveexec_b64 s[12:13], s[10:11]
	s_cbranch_execnz .LBB38_1213
.LBB38_952:
	s_or_b64 exec, exec, s[12:13]
	v_cmp_gt_u32_e64 s[10:11], 4, v15
	s_and_saveexec_b64 s[12:13], s[10:11]
	s_cbranch_execz .LBB38_954
.LBB38_953:
	v_lshlrev_b32_e32 v23, 3, v0
	v_mov_b32_e32 v25, 0
	ds_read_b64 v[23:24], v23 offset:7744
	ds_read_b64 v[25:26], v25 offset:7800
	s_waitcnt lgkmcnt(0)
	v_fma_f64 v[10:11], v[23:24], v[25:26], v[10:11]
.LBB38_954:
	s_or_b64 exec, exec, s[12:13]
.LBB38_955:
	s_or_b64 exec, exec, s[0:1]
	s_and_saveexec_b64 s[0:1], s[36:37]
; %bb.956:
	v_xor_b32_e32 v24, 0x80000000, v11
	v_mov_b32_e32 v23, v10
	ds_write_b64 v19, v[23:24]
; %bb.957:
	s_or_b64 exec, exec, s[0:1]
	s_waitcnt lgkmcnt(0)
	s_barrier
	s_and_saveexec_b64 s[0:1], s[38:39]
	s_cbranch_execz .LBB38_959
; %bb.958:
	v_lshlrev_b32_e32 v23, 3, v16
	ds_read_b64 v[23:24], v23 offset:5696
	ds_read_b64 v[25:26], v19
	s_waitcnt lgkmcnt(0)
	v_fma_f64 v[10:11], -v[23:24], v[25:26], v[10:11]
.LBB38_959:
	s_or_b64 exec, exec, s[0:1]
	s_barrier
	s_and_saveexec_b64 s[0:1], s[42:43]
; %bb.960:
	v_xor_b32_e32 v24, 0x80000000, v11
	v_mov_b32_e32 v23, v10
	ds_write_b64 v19, v[23:24]
; %bb.961:
	s_or_b64 exec, exec, s[0:1]
	s_waitcnt lgkmcnt(0)
	s_barrier
	s_and_saveexec_b64 s[0:1], s[52:53]
	s_cbranch_execz .LBB38_963
; %bb.962:
	v_lshlrev_b32_e32 v23, 3, v16
	ds_read_b64 v[23:24], v23 offset:5184
	ds_read_b64 v[25:26], v19
	s_waitcnt lgkmcnt(0)
	v_fma_f64 v[10:11], -v[23:24], v[25:26], v[10:11]
.LBB38_963:
	s_or_b64 exec, exec, s[0:1]
	s_barrier
	s_and_saveexec_b64 s[0:1], s[54:55]
; %bb.964:
	v_xor_b32_e32 v24, 0x80000000, v11
	v_mov_b32_e32 v23, v10
	ds_write_b64 v19, v[23:24]
; %bb.965:
	s_or_b64 exec, exec, s[0:1]
	s_waitcnt lgkmcnt(0)
	s_barrier
	s_and_saveexec_b64 s[0:1], s[34:35]
	s_cbranch_execz .LBB38_967
; %bb.966:
	v_mov_b32_e32 v23, 0
	ds_read_b64 v[23:24], v23 offset:4672
	ds_read_b64 v[25:26], v19
	s_waitcnt lgkmcnt(0)
	v_fma_f64 v[10:11], -v[23:24], v[25:26], v[10:11]
.LBB38_967:
	s_or_b64 exec, exec, s[0:1]
	s_barrier
	s_and_saveexec_b64 s[0:1], s[34:35]
; %bb.968:
	v_xor_b32_e32 v24, 0x80000000, v11
	v_mov_b32_e32 v23, v10
	ds_write_b64 v19, v[23:24]
; %bb.969:
	s_or_b64 exec, exec, s[0:1]
	s_waitcnt lgkmcnt(0)
	s_barrier
	s_barrier
	s_and_saveexec_b64 s[0:1], s[18:19]
; %bb.970:
	v_lshlrev_b32_e32 v23, 3, v16
	v_lshl_or_b32 v23, v17, 9, v23
	ds_write_b64 v23, v[10:11] offset:6208
; %bb.971:
	s_or_b64 exec, exec, s[0:1]
	s_waitcnt lgkmcnt(0)
	s_barrier
	s_barrier
	s_and_saveexec_b64 s[0:1], s[56:57]
	s_cbranch_execz .LBB38_973
; %bb.972:
	v_lshlrev_b32_e32 v23, 9, v0
	ds_read_b64 v[10:11], v23 offset:6208
	s_movk_i32 s10, 0xfe08
	v_mad_i32_i24 v24, v0, s10, v23
	s_waitcnt lgkmcnt(0)
	ds_write_b64 v24, v[10:11] offset:4192
	ds_read_b64 v[10:11], v23 offset:6216
	s_waitcnt lgkmcnt(0)
	ds_write_b64 v24, v[10:11] offset:4704
	ds_read_b64 v[10:11], v23 offset:6224
	s_waitcnt lgkmcnt(0)
	ds_write_b64 v24, v[10:11] offset:5216
	ds_read_b64 v[10:11], v23 offset:6232
	s_waitcnt lgkmcnt(0)
	ds_write_b64 v24, v[10:11] offset:5728
.LBB38_973:
	s_or_b64 exec, exec, s[0:1]
	s_waitcnt lgkmcnt(0)
	s_barrier
	s_and_saveexec_b64 s[0:1], vcc
	s_cbranch_execz .LBB38_975
; %bb.974:
	v_mov_b32_e32 v23, 0
	ds_read_b64 v[25:26], v23 offset:5712
	v_mov_b32_e32 v24, 0x3ff00000
	ds_write_b64 v23, v[23:24] offset:5720
	s_waitcnt lgkmcnt(1)
	ds_write_b128 v23, v[23:26] offset:5200
.LBB38_975:
	s_or_b64 exec, exec, s[0:1]
	v_mov_b32_e32 v10, 0
	v_mov_b32_e32 v11, 0
	s_waitcnt lgkmcnt(0)
	s_barrier
	buffer_wbinvl1_vol
	s_and_saveexec_b64 s[0:1], s[2:3]
	s_cbranch_execz .LBB38_979
; %bb.976:
	v_lshlrev_b32_e32 v23, 9, v13
	v_lshlrev_b32_e32 v10, 3, v12
	ds_read_b64 v[10:11], v10 offset:5184
	ds_read_b64 v[23:24], v23 offset:5200
	v_cmp_gt_u32_e64 s[10:11], 2, v15
	s_waitcnt lgkmcnt(0)
	v_fma_f64 v[10:11], v[10:11], v[23:24], 0
	s_and_saveexec_b64 s[12:13], s[10:11]
	s_cbranch_execz .LBB38_978
; %bb.977:
	v_lshlrev_b32_e32 v23, 3, v0
	v_mov_b32_e32 v25, 0
	ds_read_b64 v[23:24], v23 offset:5696
	ds_read_b64 v[25:26], v25 offset:5720
	s_waitcnt lgkmcnt(0)
	v_fma_f64 v[10:11], v[23:24], v[25:26], v[10:11]
.LBB38_978:
	s_or_b64 exec, exec, s[12:13]
.LBB38_979:
	s_or_b64 exec, exec, s[0:1]
	s_and_saveexec_b64 s[0:1], s[28:29]
; %bb.980:
	v_xor_b32_e32 v24, 0x80000000, v11
	v_mov_b32_e32 v23, v10
	ds_write_b64 v14, v[23:24]
; %bb.981:
	s_or_b64 exec, exec, s[0:1]
	s_waitcnt lgkmcnt(0)
	s_barrier
	s_and_saveexec_b64 s[0:1], s[26:27]
	s_cbranch_execz .LBB38_983
; %bb.982:
	v_mov_b32_e32 v23, 0
	ds_read_b64 v[23:24], v23 offset:4672
	ds_read_b64 v[25:26], v14
	s_waitcnt lgkmcnt(0)
	v_fma_f64 v[10:11], -v[23:24], v[25:26], v[10:11]
.LBB38_983:
	s_or_b64 exec, exec, s[0:1]
	s_barrier
	s_and_saveexec_b64 s[0:1], s[26:27]
; %bb.984:
	v_xor_b32_e32 v24, 0x80000000, v11
	v_mov_b32_e32 v23, v10
	ds_write_b64 v14, v[23:24]
; %bb.985:
	s_or_b64 exec, exec, s[0:1]
	s_waitcnt lgkmcnt(0)
	s_barrier
	s_barrier
	s_and_saveexec_b64 s[0:1], s[2:3]
; %bb.986:
	v_lshlrev_b32_e32 v23, 3, v12
	v_lshl_or_b32 v23, v13, 9, v23
	ds_write_b64 v23, v[10:11] offset:5184
; %bb.987:
	s_or_b64 exec, exec, s[0:1]
	s_waitcnt lgkmcnt(0)
	s_barrier
	s_barrier
	s_and_saveexec_b64 s[0:1], s[30:31]
	s_cbranch_execz .LBB38_989
; %bb.988:
	v_lshlrev_b32_e32 v23, 3, v0
	s_movk_i32 s10, 0x1f8
	v_mad_u32_u24 v24, v0, s10, v23
	ds_read_b64 v[10:11], v24 offset:5184
	s_waitcnt lgkmcnt(0)
	ds_write_b64 v23, v[10:11] offset:4176
	ds_read_b64 v[10:11], v24 offset:5192
	s_waitcnt lgkmcnt(0)
	ds_write_b64 v23, v[10:11] offset:4688
.LBB38_989:
	s_or_b64 exec, exec, s[0:1]
	s_waitcnt lgkmcnt(0)
	s_barrier
	s_and_saveexec_b64 s[0:1], vcc
	s_cbranch_execz .LBB38_991
; %bb.990:
	v_mov_b32_e32 v23, 0
	ds_read_b64 v[25:26], v23 offset:4672
	v_mov_b32_e32 v24, 0x3ff00000
	ds_write_b64 v23, v[23:24] offset:4680
	s_waitcnt lgkmcnt(1)
	ds_write_b128 v23, v[23:26] offset:4160
.LBB38_991:
	s_or_b64 exec, exec, s[0:1]
	v_mov_b32_e32 v10, 0
	v_mov_b32_e32 v11, 0
	s_waitcnt lgkmcnt(0)
	s_barrier
	buffer_wbinvl1_vol
	s_and_saveexec_b64 s[0:1], s[8:9]
	s_cbranch_execz .LBB38_1001
; %bb.992:
	v_lshlrev_b32_e32 v24, 3, v20
	v_lshlrev_b32_e32 v23, 9, v21
	ds_read_b64 v[10:11], v24 offset:4096
	ds_read_b64 v[25:26], v23 offset:4160
	v_cmp_gt_u32_e64 s[10:11], 56, v15
	s_waitcnt lgkmcnt(0)
	v_fma_f64 v[10:11], v[10:11], v[25:26], 0
	s_and_saveexec_b64 s[12:13], s[10:11]
	s_cbranch_execnz .LBB38_1214
; %bb.993:
	s_or_b64 exec, exec, s[12:13]
	v_cmp_gt_u32_e64 s[10:11], 48, v15
	s_and_saveexec_b64 s[12:13], s[10:11]
	s_cbranch_execnz .LBB38_1215
.LBB38_994:
	s_or_b64 exec, exec, s[12:13]
	v_cmp_gt_u32_e64 s[10:11], 40, v15
	s_and_saveexec_b64 s[12:13], s[10:11]
	s_cbranch_execnz .LBB38_1216
.LBB38_995:
	s_or_b64 exec, exec, s[12:13]
	v_cmp_gt_u32_e64 s[10:11], 32, v15
	s_and_saveexec_b64 s[12:13], s[10:11]
	s_cbranch_execnz .LBB38_1217
.LBB38_996:
	s_or_b64 exec, exec, s[12:13]
	v_cmp_gt_u32_e64 s[10:11], 24, v15
	s_and_saveexec_b64 s[12:13], s[10:11]
	s_cbranch_execnz .LBB38_1218
.LBB38_997:
	s_or_b64 exec, exec, s[12:13]
	s_and_saveexec_b64 s[10:11], s[18:19]
	s_cbranch_execnz .LBB38_1219
.LBB38_998:
	s_or_b64 exec, exec, s[10:11]
	v_cmp_gt_u32_e64 s[10:11], 8, v15
	s_and_saveexec_b64 s[12:13], s[10:11]
	s_cbranch_execz .LBB38_1000
.LBB38_999:
	v_lshlrev_b32_e32 v23, 3, v0
	v_mov_b32_e32 v25, 0
	ds_read_b64 v[23:24], v23 offset:7680
	ds_read_b64 v[25:26], v25 offset:7800
	s_waitcnt lgkmcnt(0)
	v_fma_f64 v[10:11], v[23:24], v[25:26], v[10:11]
.LBB38_1000:
	s_or_b64 exec, exec, s[12:13]
.LBB38_1001:
	s_or_b64 exec, exec, s[0:1]
	s_and_saveexec_b64 s[0:1], s[58:59]
; %bb.1002:
	v_xor_b32_e32 v24, 0x80000000, v11
	v_mov_b32_e32 v23, v10
	ds_write_b64 v22, v[23:24]
; %bb.1003:
	s_or_b64 exec, exec, s[0:1]
	s_waitcnt lgkmcnt(0)
	s_barrier
	s_and_saveexec_b64 s[0:1], s[60:61]
	v_readlane_b32 s58, v35, 0
	v_readlane_b32 s59, v35, 1
	s_cbranch_execz .LBB38_1005
; %bb.1004:
	v_lshlrev_b32_e32 v23, 3, v20
	ds_read_b64 v[23:24], v23 offset:3584
	ds_read_b64 v[25:26], v22
	s_waitcnt lgkmcnt(0)
	v_fma_f64 v[10:11], -v[23:24], v[25:26], v[10:11]
.LBB38_1005:
	s_or_b64 exec, exec, s[0:1]
	s_barrier
	s_and_saveexec_b64 s[0:1], s[62:63]
; %bb.1006:
	v_xor_b32_e32 v24, 0x80000000, v11
	v_mov_b32_e32 v23, v10
	ds_write_b64 v22, v[23:24]
; %bb.1007:
	s_or_b64 exec, exec, s[0:1]
	s_waitcnt lgkmcnt(0)
	s_barrier
	s_and_saveexec_b64 s[0:1], s[64:65]
	s_cbranch_execz .LBB38_1009
; %bb.1008:
	v_lshlrev_b32_e32 v23, 3, v20
	ds_read_b64 v[23:24], v23 offset:3072
	ds_read_b64 v[25:26], v22
	s_waitcnt lgkmcnt(0)
	v_fma_f64 v[10:11], -v[23:24], v[25:26], v[10:11]
.LBB38_1009:
	s_or_b64 exec, exec, s[0:1]
	s_barrier
	s_and_saveexec_b64 s[0:1], s[66:67]
; %bb.1010:
	v_xor_b32_e32 v24, 0x80000000, v11
	v_mov_b32_e32 v23, v10
	ds_write_b64 v22, v[23:24]
; %bb.1011:
	s_or_b64 exec, exec, s[0:1]
	s_waitcnt lgkmcnt(0)
	s_barrier
	s_and_saveexec_b64 s[0:1], s[70:71]
	;; [unrolled: 20-line block ×6, first 2 shown]
	s_cbranch_execz .LBB38_1029
; %bb.1028:
	v_mov_b32_e32 v23, 0
	ds_read_b64 v[23:24], v23 offset:512
	ds_read_b64 v[25:26], v22
	s_waitcnt lgkmcnt(0)
	v_fma_f64 v[10:11], -v[23:24], v[25:26], v[10:11]
.LBB38_1029:
	s_or_b64 exec, exec, s[0:1]
	s_barrier
	s_and_saveexec_b64 s[0:1], s[68:69]
; %bb.1030:
	v_xor_b32_e32 v24, 0x80000000, v11
	v_mov_b32_e32 v23, v10
	ds_write_b64 v22, v[23:24]
; %bb.1031:
	s_or_b64 exec, exec, s[0:1]
	s_waitcnt lgkmcnt(0)
	s_barrier
	s_barrier
	s_and_saveexec_b64 s[0:1], s[8:9]
; %bb.1032:
	v_lshlrev_b32_e32 v20, 3, v20
	v_lshl_or_b32 v20, v21, 9, v20
	ds_write_b64 v20, v[10:11] offset:4096
; %bb.1033:
	s_or_b64 exec, exec, s[0:1]
	s_waitcnt lgkmcnt(0)
	s_barrier
	s_barrier
	s_and_saveexec_b64 s[0:1], s[86:87]
	s_cbranch_execz .LBB38_1035
; %bb.1034:
	v_lshlrev_b32_e32 v20, 9, v0
	ds_read_b64 v[10:11], v20 offset:4096
	s_movk_i32 s8, 0xfe08
	v_mad_i32_i24 v21, v0, s8, v20
	s_waitcnt lgkmcnt(0)
	ds_write_b64 v21, v[10:11] offset:64
	ds_read_b64 v[10:11], v20 offset:4104
	s_waitcnt lgkmcnt(0)
	ds_write_b64 v21, v[10:11] offset:576
	ds_read_b64 v[10:11], v20 offset:4112
	;; [unrolled: 3-line block ×7, first 2 shown]
	s_waitcnt lgkmcnt(0)
	ds_write_b64 v21, v[10:11] offset:3648
.LBB38_1035:
	s_or_b64 exec, exec, s[0:1]
	s_waitcnt lgkmcnt(0)
	s_barrier
	s_and_saveexec_b64 s[0:1], vcc
	s_cbranch_execz .LBB38_1037
; %bb.1036:
	v_mov_b32_e32 v20, 0
	ds_read_b64 v[22:23], v20 offset:3632
	v_mov_b32_e32 v21, 0x3ff00000
	ds_write_b64 v20, v[20:21] offset:3640
	s_waitcnt lgkmcnt(1)
	ds_write_b128 v20, v[20:23] offset:3120
.LBB38_1037:
	s_or_b64 exec, exec, s[0:1]
	v_mov_b32_e32 v10, 0
	v_mov_b32_e32 v11, 0
	s_waitcnt lgkmcnt(0)
	s_barrier
	buffer_wbinvl1_vol
	s_and_saveexec_b64 s[0:1], s[2:3]
	s_cbranch_execz .LBB38_1041
; %bb.1038:
	v_lshlrev_b32_e32 v20, 9, v13
	v_lshlrev_b32_e32 v10, 3, v12
	ds_read_b64 v[10:11], v10 offset:3104
	ds_read_b64 v[20:21], v20 offset:3120
	v_cmp_gt_u32_e64 s[8:9], 2, v15
	s_waitcnt lgkmcnt(0)
	v_fma_f64 v[10:11], v[10:11], v[20:21], 0
	s_and_saveexec_b64 s[10:11], s[8:9]
	s_cbranch_execz .LBB38_1040
; %bb.1039:
	v_lshlrev_b32_e32 v20, 3, v0
	v_mov_b32_e32 v22, 0
	ds_read_b64 v[20:21], v20 offset:3616
	ds_read_b64 v[22:23], v22 offset:3640
	s_waitcnt lgkmcnt(0)
	v_fma_f64 v[10:11], v[20:21], v[22:23], v[10:11]
.LBB38_1040:
	s_or_b64 exec, exec, s[10:11]
.LBB38_1041:
	s_or_b64 exec, exec, s[0:1]
	s_and_saveexec_b64 s[0:1], s[28:29]
; %bb.1042:
	v_xor_b32_e32 v21, 0x80000000, v11
	v_mov_b32_e32 v20, v10
	ds_write_b64 v14, v[20:21]
; %bb.1043:
	s_or_b64 exec, exec, s[0:1]
	s_waitcnt lgkmcnt(0)
	s_barrier
	s_and_saveexec_b64 s[0:1], s[26:27]
	s_cbranch_execz .LBB38_1045
; %bb.1044:
	v_mov_b32_e32 v20, 0
	ds_read_b64 v[20:21], v20 offset:2592
	ds_read_b64 v[22:23], v14
	s_waitcnt lgkmcnt(0)
	v_fma_f64 v[10:11], -v[20:21], v[22:23], v[10:11]
.LBB38_1045:
	s_or_b64 exec, exec, s[0:1]
	s_barrier
	s_and_saveexec_b64 s[0:1], s[26:27]
; %bb.1046:
	v_xor_b32_e32 v21, 0x80000000, v11
	v_mov_b32_e32 v20, v10
	ds_write_b64 v14, v[20:21]
; %bb.1047:
	s_or_b64 exec, exec, s[0:1]
	s_waitcnt lgkmcnt(0)
	s_barrier
	s_barrier
	s_and_saveexec_b64 s[0:1], s[2:3]
; %bb.1048:
	v_lshlrev_b32_e32 v20, 3, v12
	v_lshl_or_b32 v20, v13, 9, v20
	ds_write_b64 v20, v[10:11] offset:3104
; %bb.1049:
	s_or_b64 exec, exec, s[0:1]
	s_waitcnt lgkmcnt(0)
	s_barrier
	s_barrier
	s_and_saveexec_b64 s[0:1], s[30:31]
	s_cbranch_execz .LBB38_1051
; %bb.1050:
	v_lshlrev_b32_e32 v20, 3, v0
	s_movk_i32 s8, 0x1f8
	v_mad_u32_u24 v21, v0, s8, v20
	ds_read_b64 v[10:11], v21 offset:3104
	s_waitcnt lgkmcnt(0)
	ds_write_b64 v20, v[10:11] offset:2096
	ds_read_b64 v[10:11], v21 offset:3112
	s_waitcnt lgkmcnt(0)
	ds_write_b64 v20, v[10:11] offset:2608
.LBB38_1051:
	s_or_b64 exec, exec, s[0:1]
	s_waitcnt lgkmcnt(0)
	s_barrier
	s_and_saveexec_b64 s[0:1], vcc
	s_cbranch_execz .LBB38_1053
; %bb.1052:
	v_mov_b32_e32 v20, 0
	ds_read_b64 v[22:23], v20 offset:2592
	v_mov_b32_e32 v21, 0x3ff00000
	ds_write_b64 v20, v[20:21] offset:2600
	s_waitcnt lgkmcnt(1)
	ds_write_b128 v20, v[20:23] offset:2080
.LBB38_1053:
	s_or_b64 exec, exec, s[0:1]
	v_mov_b32_e32 v10, 0
	v_mov_b32_e32 v11, 0
	s_waitcnt lgkmcnt(0)
	s_barrier
	buffer_wbinvl1_vol
	s_and_saveexec_b64 s[0:1], s[18:19]
	s_cbranch_execz .LBB38_1059
; %bb.1054:
	v_lshlrev_b32_e32 v21, 3, v16
	v_lshlrev_b32_e32 v20, 9, v17
	ds_read_b64 v[10:11], v21 offset:2048
	ds_read_b64 v[22:23], v20 offset:2080
	v_cmp_gt_u32_e64 s[8:9], 12, v15
	s_waitcnt lgkmcnt(0)
	v_fma_f64 v[10:11], v[10:11], v[22:23], 0
	s_and_saveexec_b64 s[10:11], s[8:9]
	s_cbranch_execnz .LBB38_1220
; %bb.1055:
	s_or_b64 exec, exec, s[10:11]
	v_cmp_gt_u32_e64 s[8:9], 8, v15
	s_and_saveexec_b64 s[10:11], s[8:9]
	s_cbranch_execnz .LBB38_1221
.LBB38_1056:
	s_or_b64 exec, exec, s[10:11]
	v_cmp_gt_u32_e64 s[8:9], 4, v15
	s_and_saveexec_b64 s[10:11], s[8:9]
	s_cbranch_execz .LBB38_1058
.LBB38_1057:
	v_lshlrev_b32_e32 v20, 3, v0
	v_mov_b32_e32 v22, 0
	ds_read_b64 v[20:21], v20 offset:3584
	ds_read_b64 v[22:23], v22 offset:3640
	s_waitcnt lgkmcnt(0)
	v_fma_f64 v[10:11], v[20:21], v[22:23], v[10:11]
.LBB38_1058:
	s_or_b64 exec, exec, s[10:11]
.LBB38_1059:
	s_or_b64 exec, exec, s[0:1]
	s_and_saveexec_b64 s[0:1], s[36:37]
; %bb.1060:
	v_xor_b32_e32 v21, 0x80000000, v11
	v_mov_b32_e32 v20, v10
	ds_write_b64 v19, v[20:21]
; %bb.1061:
	s_or_b64 exec, exec, s[0:1]
	s_waitcnt lgkmcnt(0)
	s_barrier
	s_and_saveexec_b64 s[0:1], s[38:39]
	s_load_dword s36, s[4:5], 0x6c
	s_cbranch_execz .LBB38_1063
; %bb.1062:
	v_lshlrev_b32_e32 v20, 3, v16
	ds_read_b64 v[20:21], v20 offset:1536
	ds_read_b64 v[22:23], v19
	s_waitcnt lgkmcnt(0)
	v_fma_f64 v[10:11], -v[20:21], v[22:23], v[10:11]
.LBB38_1063:
	s_or_b64 exec, exec, s[0:1]
	s_waitcnt lgkmcnt(0)
	s_barrier
	s_and_saveexec_b64 s[0:1], s[42:43]
; %bb.1064:
	v_xor_b32_e32 v21, 0x80000000, v11
	v_mov_b32_e32 v20, v10
	ds_write_b64 v19, v[20:21]
; %bb.1065:
	s_or_b64 exec, exec, s[0:1]
	s_waitcnt lgkmcnt(0)
	s_barrier
	s_and_saveexec_b64 s[0:1], s[52:53]
	s_cbranch_execz .LBB38_1067
; %bb.1066:
	v_lshlrev_b32_e32 v20, 3, v16
	ds_read_b64 v[20:21], v20 offset:1024
	ds_read_b64 v[22:23], v19
	s_waitcnt lgkmcnt(0)
	v_fma_f64 v[10:11], -v[20:21], v[22:23], v[10:11]
.LBB38_1067:
	s_or_b64 exec, exec, s[0:1]
	s_barrier
	s_and_saveexec_b64 s[0:1], s[54:55]
; %bb.1068:
	v_xor_b32_e32 v21, 0x80000000, v11
	v_mov_b32_e32 v20, v10
	ds_write_b64 v19, v[20:21]
; %bb.1069:
	s_or_b64 exec, exec, s[0:1]
	s_waitcnt lgkmcnt(0)
	s_barrier
	s_and_saveexec_b64 s[0:1], s[34:35]
	s_cbranch_execz .LBB38_1071
; %bb.1070:
	v_mov_b32_e32 v20, 0
	ds_read_b64 v[20:21], v20 offset:512
	ds_read_b64 v[22:23], v19
	s_waitcnt lgkmcnt(0)
	v_fma_f64 v[10:11], -v[20:21], v[22:23], v[10:11]
.LBB38_1071:
	s_or_b64 exec, exec, s[0:1]
	s_barrier
	s_and_saveexec_b64 s[0:1], s[34:35]
; %bb.1072:
	v_xor_b32_e32 v21, 0x80000000, v11
	v_mov_b32_e32 v20, v10
	ds_write_b64 v19, v[20:21]
; %bb.1073:
	s_or_b64 exec, exec, s[0:1]
	s_waitcnt lgkmcnt(0)
	s_barrier
	s_barrier
	s_and_saveexec_b64 s[0:1], s[18:19]
; %bb.1074:
	v_lshlrev_b32_e32 v16, 3, v16
	v_lshl_or_b32 v16, v17, 9, v16
	ds_write_b64 v16, v[10:11] offset:2048
; %bb.1075:
	s_or_b64 exec, exec, s[0:1]
	s_waitcnt lgkmcnt(0)
	s_barrier
	s_barrier
	s_and_saveexec_b64 s[0:1], s[56:57]
	s_cbranch_execz .LBB38_1077
; %bb.1076:
	v_lshlrev_b32_e32 v16, 9, v0
	ds_read_b64 v[10:11], v16 offset:2048
	s_movk_i32 s8, 0xfe08
	v_mad_i32_i24 v17, v0, s8, v16
	s_waitcnt lgkmcnt(0)
	ds_write_b64 v17, v[10:11] offset:32
	ds_read_b64 v[10:11], v16 offset:2056
	s_waitcnt lgkmcnt(0)
	ds_write_b64 v17, v[10:11] offset:544
	ds_read_b64 v[10:11], v16 offset:2064
	;; [unrolled: 3-line block ×3, first 2 shown]
	s_waitcnt lgkmcnt(0)
	ds_write_b64 v17, v[10:11] offset:1568
.LBB38_1077:
	s_or_b64 exec, exec, s[0:1]
	s_waitcnt lgkmcnt(0)
	s_barrier
	s_and_saveexec_b64 s[0:1], vcc
	s_cbranch_execz .LBB38_1079
; %bb.1078:
	v_mov_b32_e32 v19, 0
	ds_read_b64 v[21:22], v19 offset:1552
	v_mov_b32_e32 v20, 0x3ff00000
	ds_write_b64 v19, v[19:20] offset:1560
	s_waitcnt lgkmcnt(1)
	ds_write_b128 v19, v[19:22] offset:1040
.LBB38_1079:
	s_or_b64 exec, exec, s[0:1]
	v_mov_b32_e32 v10, 0
	v_mov_b32_e32 v11, 0
	s_waitcnt lgkmcnt(0)
	s_barrier
	buffer_wbinvl1_vol
	s_and_saveexec_b64 s[0:1], s[2:3]
	s_cbranch_execz .LBB38_1083
; %bb.1080:
	v_lshlrev_b32_e32 v16, 9, v13
	v_lshlrev_b32_e32 v10, 3, v12
	ds_read_b64 v[10:11], v10 offset:1024
	ds_read_b64 v[16:17], v16 offset:1040
	v_cmp_gt_u32_e64 s[8:9], 2, v15
	s_waitcnt lgkmcnt(0)
	v_fma_f64 v[10:11], v[10:11], v[16:17], 0
	s_and_saveexec_b64 s[10:11], s[8:9]
	s_cbranch_execz .LBB38_1082
; %bb.1081:
	v_lshlrev_b32_e32 v15, 3, v0
	v_mov_b32_e32 v17, 0
	ds_read_b64 v[15:16], v15 offset:1536
	ds_read_b64 v[19:20], v17 offset:1560
	s_waitcnt lgkmcnt(0)
	v_fma_f64 v[10:11], v[15:16], v[19:20], v[10:11]
.LBB38_1082:
	s_or_b64 exec, exec, s[10:11]
.LBB38_1083:
	s_or_b64 exec, exec, s[0:1]
	s_and_saveexec_b64 s[0:1], s[28:29]
; %bb.1084:
	v_xor_b32_e32 v16, 0x80000000, v11
	v_mov_b32_e32 v15, v10
	ds_write_b64 v14, v[15:16]
; %bb.1085:
	s_or_b64 exec, exec, s[0:1]
	s_waitcnt lgkmcnt(0)
	s_barrier
	s_and_saveexec_b64 s[0:1], s[26:27]
	s_cbranch_execz .LBB38_1087
; %bb.1086:
	v_mov_b32_e32 v15, 0
	ds_read_b64 v[15:16], v15 offset:512
	ds_read_b64 v[19:20], v14
	s_waitcnt lgkmcnt(0)
	v_fma_f64 v[10:11], -v[15:16], v[19:20], v[10:11]
.LBB38_1087:
	s_or_b64 exec, exec, s[0:1]
	s_barrier
	s_and_saveexec_b64 s[0:1], s[26:27]
; %bb.1088:
	v_xor_b32_e32 v16, 0x80000000, v11
	v_mov_b32_e32 v15, v10
	ds_write_b64 v14, v[15:16]
; %bb.1089:
	s_or_b64 exec, exec, s[0:1]
	s_waitcnt lgkmcnt(0)
	s_barrier
	s_barrier
	s_and_saveexec_b64 s[0:1], s[2:3]
; %bb.1090:
	v_lshlrev_b32_e32 v12, 3, v12
	v_lshl_or_b32 v12, v13, 9, v12
	ds_write_b64 v12, v[10:11] offset:1024
; %bb.1091:
	s_or_b64 exec, exec, s[0:1]
	s_waitcnt lgkmcnt(0)
	s_barrier
	s_barrier
	s_and_saveexec_b64 s[0:1], s[30:31]
	s_cbranch_execz .LBB38_1093
; %bb.1092:
	v_lshlrev_b32_e32 v12, 3, v0
	s_movk_i32 s2, 0x1f8
	v_mad_u32_u24 v13, v0, s2, v12
	ds_read_b64 v[10:11], v13 offset:1024
	s_waitcnt lgkmcnt(0)
	ds_write_b64 v12, v[10:11] offset:16
	ds_read_b64 v[10:11], v13 offset:1032
	s_waitcnt lgkmcnt(0)
	ds_write_b64 v12, v[10:11] offset:528
.LBB38_1093:
	s_or_b64 exec, exec, s[0:1]
	s_waitcnt lgkmcnt(0)
	s_barrier
	s_and_saveexec_b64 s[0:1], vcc
	s_cbranch_execz .LBB38_1095
; %bb.1094:
	v_mov_b32_e32 v10, 0
	ds_read_b64 v[12:13], v10 offset:512
	v_mov_b32_e32 v11, 0x3ff00000
	ds_write_b64 v10, v[10:11] offset:520
	s_waitcnt lgkmcnt(1)
	ds_write_b128 v10, v[10:13]
.LBB38_1095:
	s_or_b64 exec, exec, s[0:1]
.LBB38_1096:
	s_load_dwordx4 s[12:15], s[4:5], 0x48
	v_cmp_le_i32_e32 vcc, s7, v0
	v_mov_b32_e32 v10, 0
	v_mov_b32_e32 v11, 0
	v_lshl_add_u32 v12, s6, 6, v0
	s_waitcnt lgkmcnt(0)
	s_mul_i32 s1, s13, s22
	s_mul_hi_u32 s2, s12, s22
	s_mul_i32 s0, s12, s22
	s_add_i32 s1, s2, s1
	s_lshl_b64 s[0:1], s[0:1], 3
	s_add_u32 s2, s46, s0
	s_addc_u32 s3, s47, s1
	s_lshl_b64 s[0:1], s[48:49], 3
	s_add_u32 s20, s2, s0
	s_addc_u32 s21, s3, s1
	s_and_b64 s[16:17], vcc, s[24:25]
	v_cmp_eq_u32_e64 s[2:3], 0, v1
	s_xor_b64 s[0:1], s[16:17], -1
	s_and_b64 s[4:5], s[2:3], s[0:1]
	s_barrier
	s_and_saveexec_b64 s[0:1], s[4:5]
	s_cbranch_execz .LBB38_1098
; %bb.1097:
	v_ashrrev_i32_e32 v13, 31, v12
	v_mul_lo_u32 v14, s51, v12
	v_mad_u64_u32 v[10:11], s[4:5], s50, v12, 0
	v_mul_lo_u32 v13, s50, v13
	v_add3_u32 v11, v11, v13, v14
	v_lshlrev_b64 v[10:11], 3, v[10:11]
	v_mov_b32_e32 v13, s21
	v_add_co_u32_e32 v10, vcc, s20, v10
	v_addc_co_u32_e32 v11, vcc, v13, v11, vcc
	global_load_dwordx2 v[10:11], v[10:11], off
	s_waitcnt vmcnt(0)
	v_mul_f64 v[10:11], v[10:11], -s[44:45]
.LBB38_1098:
	s_or_b64 exec, exec, s[0:1]
	s_and_b32 s0, 0xffff, s36
	v_mad_u32_u24 v19, v1, s0, v0
	v_mov_b32_e32 v13, 0
	s_cmp_lt_i32 s6, 1
	v_cmp_eq_u32_e64 s[4:5], 0, v19
	s_cbranch_scc1 .LBB38_1124
; %bb.1099:
	v_mad_u64_u32 v[14:15], s[0:1], s40, v12, 0
	v_cmp_gt_i32_e64 s[8:9], s33, v12
	s_mov_b32 s26, 0
	v_mad_u64_u32 v[15:16], s[0:1], s41, v12, v[15:16]
	s_lshl_b64 s[0:1], s[22:23], 2
	s_add_u32 s0, s14, s0
	v_lshlrev_b64 v[14:15], 3, v[14:15]
	v_mov_b32_e32 v16, 0xa000
	v_mov_b32_e32 v12, s89
	v_add_co_u32_e32 v22, vcc, s88, v14
	s_addc_u32 s1, s15, s1
	v_cmp_gt_u32_e64 s[12:13], 64, v19
	v_lshl_add_u32 v20, v19, 3, v16
	v_lshl_or_b32 v21, v1, 3, v16
	s_add_i32 s27, s6, -1
	v_addc_co_u32_e32 v23, vcc, v12, v15, vcc
	v_mov_b32_e32 v24, -1
	s_branch .LBB38_1102
.LBB38_1100:                            ;   in Loop: Header=BB38_1102 Depth=1
	ds_read_b64 v[14:15], v21 offset:384
	s_waitcnt vmcnt(0) lgkmcnt(0)
	v_fma_f64 v[10:11], v[16:17], v[14:15], v[10:11]
.LBB38_1101:                            ;   in Loop: Header=BB38_1102 Depth=1
	s_or_b64 exec, exec, s[18:19]
	s_add_i32 s26, s26, 1
	s_cmp_eq_u32 s26, s6
	s_cbranch_scc1 .LBB38_1124
.LBB38_1102:                            ; =>This Loop Header: Depth=1
                                        ;     Child Loop BB38_1104 Depth 2
	v_cmp_gt_i32_e32 vcc, s26, v24
	s_and_b64 s[18:19], s[4:5], vcc
	s_and_saveexec_b64 s[10:11], s[18:19]
	s_cbranch_execz .LBB38_1105
; %bb.1103:                             ;   in Loop: Header=BB38_1102 Depth=1
	global_load_dword v24, v13, s[0:1]
	s_waitcnt vmcnt(0)
	v_cmp_le_i32_e32 vcc, s26, v24
	s_cbranch_vccnz .LBB38_1105
.LBB38_1104:                            ;   Parent Loop BB38_1102 Depth=1
                                        ; =>  This Inner Loop Header: Depth=2
	buffer_wbinvl1_vol
	global_load_dword v24, v13, s[0:1]
	s_waitcnt vmcnt(0)
	v_cmp_gt_i32_e32 vcc, s26, v24
	s_cbranch_vccnz .LBB38_1104
.LBB38_1105:                            ;   in Loop: Header=BB38_1102 Depth=1
	s_or_b64 exec, exec, s[10:11]
	s_lshl_b32 s28, s26, 6
	buffer_wbinvl1_vol
	s_barrier
	s_and_saveexec_b64 s[10:11], s[12:13]
	s_cbranch_execz .LBB38_1109
; %bb.1106:                             ;   in Loop: Header=BB38_1102 Depth=1
	v_or_b32_e32 v12, s28, v19
	v_mov_b32_e32 v14, 0
	v_mov_b32_e32 v15, 0
	v_cmp_gt_i32_e32 vcc, s33, v12
	s_and_saveexec_b64 s[18:19], vcc
	s_cbranch_execz .LBB38_1108
; %bb.1107:                             ;   in Loop: Header=BB38_1102 Depth=1
	v_mad_u64_u32 v[14:15], s[30:31], s50, v12, 0
	v_mad_u64_u32 v[15:16], s[30:31], s51, v12, v[15:16]
	v_mov_b32_e32 v12, s21
	v_lshlrev_b64 v[14:15], 3, v[14:15]
	v_add_co_u32_e32 v14, vcc, s20, v14
	v_addc_co_u32_e32 v15, vcc, v12, v15, vcc
	global_load_dwordx2 v[14:15], v[14:15], off
.LBB38_1108:                            ;   in Loop: Header=BB38_1102 Depth=1
	s_or_b64 exec, exec, s[18:19]
	s_waitcnt vmcnt(0)
	ds_write_b64 v20, v[14:15]
.LBB38_1109:                            ;   in Loop: Header=BB38_1102 Depth=1
	s_or_b64 exec, exec, s[10:11]
	v_add_u32_e32 v12, s28, v1
	v_lshlrev_b64 v[14:15], 3, v[12:13]
	s_cmp_lg_u32 s26, s27
	v_add_co_u32_e32 v14, vcc, v22, v14
	s_cselect_b64 s[10:11], -1, 0
	v_addc_co_u32_e32 v15, vcc, v23, v15, vcc
	v_cmp_gt_i32_e32 vcc, s33, v12
	v_cndmask_b32_e64 v16, 0, 1, s[10:11]
	s_and_b64 s[28:29], vcc, s[8:9]
	v_cmp_ne_u32_e64 s[10:11], 1, v16
	s_waitcnt lgkmcnt(0)
	s_barrier
	s_and_saveexec_b64 s[18:19], s[28:29]
	s_cbranch_execz .LBB38_1113
; %bb.1110:                             ;   in Loop: Header=BB38_1102 Depth=1
	v_mov_b32_e32 v17, v5
	s_and_b64 vcc, exec, s[10:11]
	v_mov_b32_e32 v16, v4
	s_cbranch_vccnz .LBB38_1112
; %bb.1111:                             ;   in Loop: Header=BB38_1102 Depth=1
	global_load_dwordx2 v[16:17], v[14:15], off
.LBB38_1112:                            ;   in Loop: Header=BB38_1102 Depth=1
	ds_read_b64 v[25:26], v21
	s_waitcnt vmcnt(0) lgkmcnt(0)
	v_fma_f64 v[10:11], v[16:17], v[25:26], v[10:11]
.LBB38_1113:                            ;   in Loop: Header=BB38_1102 Depth=1
	s_or_b64 exec, exec, s[18:19]
	v_add_u32_e32 v16, 16, v12
	v_cmp_gt_i32_e32 vcc, s33, v16
	s_and_b64 s[28:29], vcc, s[8:9]
	s_and_saveexec_b64 s[18:19], s[28:29]
	s_cbranch_execz .LBB38_1117
; %bb.1114:                             ;   in Loop: Header=BB38_1102 Depth=1
	v_mov_b32_e32 v17, v3
	s_and_b64 vcc, exec, s[10:11]
	v_mov_b32_e32 v16, v2
	s_cbranch_vccnz .LBB38_1116
; %bb.1115:                             ;   in Loop: Header=BB38_1102 Depth=1
	global_load_dwordx2 v[16:17], v[14:15], off offset:128
.LBB38_1116:                            ;   in Loop: Header=BB38_1102 Depth=1
	ds_read_b64 v[25:26], v21 offset:128
	s_waitcnt vmcnt(0) lgkmcnt(0)
	v_fma_f64 v[10:11], v[16:17], v[25:26], v[10:11]
.LBB38_1117:                            ;   in Loop: Header=BB38_1102 Depth=1
	s_or_b64 exec, exec, s[18:19]
	v_add_u32_e32 v16, 32, v12
	v_cmp_gt_i32_e32 vcc, s33, v16
	s_and_b64 s[28:29], vcc, s[8:9]
	s_and_saveexec_b64 s[18:19], s[28:29]
	s_cbranch_execz .LBB38_1121
; %bb.1118:                             ;   in Loop: Header=BB38_1102 Depth=1
	v_mov_b32_e32 v17, v9
	s_and_b64 vcc, exec, s[10:11]
	v_mov_b32_e32 v16, v8
	s_cbranch_vccnz .LBB38_1120
; %bb.1119:                             ;   in Loop: Header=BB38_1102 Depth=1
	global_load_dwordx2 v[16:17], v[14:15], off offset:256
.LBB38_1120:                            ;   in Loop: Header=BB38_1102 Depth=1
	ds_read_b64 v[25:26], v21 offset:256
	s_waitcnt vmcnt(0) lgkmcnt(0)
	v_fma_f64 v[10:11], v[16:17], v[25:26], v[10:11]
.LBB38_1121:                            ;   in Loop: Header=BB38_1102 Depth=1
	s_or_b64 exec, exec, s[18:19]
	v_add_u32_e32 v12, 48, v12
	v_cmp_gt_i32_e32 vcc, s33, v12
	s_and_b64 s[28:29], vcc, s[8:9]
	s_and_saveexec_b64 s[18:19], s[28:29]
	s_cbranch_execz .LBB38_1101
; %bb.1122:                             ;   in Loop: Header=BB38_1102 Depth=1
	v_mov_b32_e32 v17, v7
	s_and_b64 vcc, exec, s[10:11]
	v_mov_b32_e32 v16, v6
	s_cbranch_vccnz .LBB38_1100
; %bb.1123:                             ;   in Loop: Header=BB38_1102 Depth=1
	global_load_dwordx2 v[16:17], v[14:15], off offset:384
	s_branch .LBB38_1100
.LBB38_1124:
	v_lshl_add_u32 v2, v1, 6, v0
	s_xor_b64 s[0:1], s[24:25], -1
	v_lshlrev_b32_e32 v4, 3, v2
	ds_write_b64 v4, v[10:11] offset:32768
	s_waitcnt lgkmcnt(0)
	s_barrier
	s_and_saveexec_b64 s[4:5], s[2:3]
	s_cbranch_execz .LBB38_1126
; %bb.1125:
	v_lshlrev_b32_e32 v15, 3, v0
	ds_read2st64_b64 v[5:8], v15 offset0:65 offset1:66
	ds_read_b64 v[2:3], v15 offset:40448
	s_waitcnt lgkmcnt(1)
	v_add_f64 v[5:6], v[10:11], v[5:6]
	v_add_f64 v[13:14], v[5:6], v[7:8]
	ds_read2st64_b64 v[5:8], v15 offset0:67 offset1:68
	ds_read2st64_b64 v[9:12], v15 offset0:69 offset1:70
	s_waitcnt lgkmcnt(1)
	v_add_f64 v[5:6], v[13:14], v[5:6]
	v_add_f64 v[5:6], v[5:6], v[7:8]
	s_waitcnt lgkmcnt(0)
	v_add_f64 v[5:6], v[5:6], v[9:10]
	v_add_f64 v[13:14], v[5:6], v[11:12]
	ds_read2st64_b64 v[5:8], v15 offset0:71 offset1:72
	ds_read2st64_b64 v[9:12], v15 offset0:73 offset1:74
	s_waitcnt lgkmcnt(1)
	v_add_f64 v[5:6], v[13:14], v[5:6]
	v_add_f64 v[5:6], v[5:6], v[7:8]
	;; [unrolled: 8-line block ×3, first 2 shown]
	s_waitcnt lgkmcnt(0)
	v_add_f64 v[5:6], v[5:6], v[9:10]
	v_add_f64 v[5:6], v[5:6], v[11:12]
	;; [unrolled: 1-line block ×3, first 2 shown]
	v_xor_b32_e32 v3, 0x80000000, v3
	v_cndmask_b32_e64 v11, v3, 0, s[16:17]
	v_cndmask_b32_e64 v10, v2, 0, s[16:17]
.LBB38_1126:
	s_or_b64 exec, exec, s[4:5]
	s_and_b64 vcc, exec, s[58:59]
	s_cbranch_vccnz .LBB38_1140
; %bb.1127:
	v_mov_b32_e32 v2, 0xa000
	v_lshl_or_b32 v5, v1, 3, v2
	s_and_saveexec_b64 s[4:5], s[2:3]
; %bb.1128:
	v_lshl_add_u32 v2, v0, 3, v5
	ds_write_b64 v2, v[10:11]
; %bb.1129:
	s_or_b64 exec, exec, s[4:5]
	v_mov_b32_e32 v2, 0
	v_mov_b32_e32 v3, 0
	v_cmp_le_u32_e32 vcc, v1, v0
	s_waitcnt lgkmcnt(0)
	s_barrier
	s_and_saveexec_b64 s[4:5], vcc
	s_cbranch_execz .LBB38_1131
; %bb.1130:
	ds_read_b64 v[2:3], v4
	ds_read_b64 v[6:7], v5
	s_waitcnt lgkmcnt(0)
	v_fma_f64 v[2:3], v[2:3], v[6:7], 0
.LBB38_1131:
	s_or_b64 exec, exec, s[4:5]
	v_add_u32_e32 v6, 16, v1
	v_cmp_ge_u32_e32 vcc, v0, v6
	s_and_saveexec_b64 s[4:5], vcc
	s_cbranch_execz .LBB38_1133
; %bb.1132:
	ds_read_b64 v[6:7], v4 offset:8192
	ds_read_b64 v[8:9], v5 offset:128
	s_waitcnt lgkmcnt(0)
	v_fma_f64 v[2:3], v[6:7], v[8:9], v[2:3]
.LBB38_1133:
	s_or_b64 exec, exec, s[4:5]
	v_add_u32_e32 v6, 32, v1
	v_cmp_ge_u32_e32 vcc, v0, v6
	s_and_saveexec_b64 s[4:5], vcc
	s_cbranch_execz .LBB38_1135
; %bb.1134:
	ds_read_b64 v[6:7], v4 offset:16384
	ds_read_b64 v[8:9], v5 offset:256
	s_waitcnt lgkmcnt(0)
	v_fma_f64 v[2:3], v[6:7], v[8:9], v[2:3]
.LBB38_1135:
	s_or_b64 exec, exec, s[4:5]
	v_add_u32_e32 v1, 48, v1
	v_add_u32_e32 v6, 0x8000, v4
	v_cmp_ge_u32_e32 vcc, v0, v1
	s_and_saveexec_b64 s[4:5], vcc
	s_cbranch_execz .LBB38_1137
; %bb.1136:
	ds_read_b64 v[7:8], v4 offset:24576
	ds_read_b64 v[4:5], v5 offset:384
	s_waitcnt lgkmcnt(0)
	v_fma_f64 v[2:3], v[7:8], v[4:5], v[2:3]
.LBB38_1137:
	s_or_b64 exec, exec, s[4:5]
	s_mov_b64 s[8:9], 0
	s_mov_b64 s[4:5], 0
	ds_write_b64 v6, v[2:3]
	s_waitcnt lgkmcnt(0)
	s_barrier
                                        ; implicit-def: $vgpr6_vgpr7
                                        ; implicit-def: $vgpr4_vgpr5
	s_and_saveexec_b64 s[10:11], s[2:3]
	s_cbranch_execz .LBB38_1161
; %bb.1138:
	v_lshlrev_b32_e32 v9, 3, v0
	ds_read2st64_b64 v[4:7], v9 offset0:65 offset1:66
	ds_read_b64 v[12:13], v9 offset:40448
	s_mov_b64 s[4:5], exec
	s_waitcnt lgkmcnt(1)
	v_add_f64 v[1:2], v[2:3], v[4:5]
	v_add_f64 v[14:15], v[6:7], v[1:2]
	ds_read2st64_b64 v[1:4], v9 offset0:67 offset1:68
	ds_read2st64_b64 v[5:8], v9 offset0:69 offset1:70
	s_waitcnt lgkmcnt(1)
	v_add_f64 v[1:2], v[1:2], v[14:15]
	v_add_f64 v[1:2], v[3:4], v[1:2]
	s_waitcnt lgkmcnt(0)
	v_add_f64 v[1:2], v[5:6], v[1:2]
	v_add_f64 v[14:15], v[7:8], v[1:2]
	ds_read2st64_b64 v[1:4], v9 offset0:71 offset1:72
	ds_read2st64_b64 v[5:8], v9 offset0:73 offset1:74
	s_waitcnt lgkmcnt(1)
	v_add_f64 v[1:2], v[1:2], v[14:15]
	v_add_f64 v[1:2], v[3:4], v[1:2]
	;; [unrolled: 8-line block ×3, first 2 shown]
	v_lshl_add_u32 v3, s6, 6, v19
	s_waitcnt lgkmcnt(0)
	v_add_f64 v[1:2], v[5:6], v[1:2]
	v_mad_u64_u32 v[4:5], s[12:13], s50, v3, 0
	v_add_f64 v[1:2], v[7:8], v[1:2]
	v_add_f64 v[6:7], v[12:13], v[1:2]
	v_mov_b32_e32 v1, v5
	v_mad_u64_u32 v[1:2], s[12:13], s51, v3, v[1:2]
	v_mov_b32_e32 v5, v1
	s_or_b64 exec, exec, s[10:11]
	s_and_b64 vcc, exec, s[8:9]
	s_cbranch_vccnz .LBB38_1141
	s_branch .LBB38_1162
.LBB38_1139:
	v_mad_u64_u32 v[12:13], s[2:3], s40, v15, 0
	s_or_b64 s[10:11], s[10:11], exec
	v_mad_u64_u32 v[13:14], s[2:3], s41, v15, v[13:14]
	v_lshlrev_b64 v[12:13], 3, v[12:13]
	v_add_co_u32_e32 v10, vcc, v10, v12
	v_addc_co_u32_e32 v11, vcc, v11, v13, vcc
	global_load_dwordx2 v[12:13], v[10:11], off
	s_waitcnt vmcnt(0)
	v_xor_b32_e32 v13, 0x80000000, v13
	s_or_b64 exec, exec, s[8:9]
	s_xor_b64 s[0:1], s[0:1], -1
	s_and_saveexec_b64 s[2:3], s[10:11]
	s_cbranch_execnz .LBB38_57
	s_branch .LBB38_58
.LBB38_1140:
	s_mov_b64 s[4:5], 0
                                        ; implicit-def: $vgpr6_vgpr7
                                        ; implicit-def: $vgpr4_vgpr5
	s_cbranch_execz .LBB38_1162
.LBB38_1141:
	s_mov_b32 s10, 0
	v_mov_b32_e32 v1, 0
	v_mov_b32_e32 v2, v0
	s_branch .LBB38_1143
.LBB38_1142:                            ;   in Loop: Header=BB38_1143 Depth=1
	s_or_b64 exec, exec, s[8:9]
	s_add_i32 s10, s10, 4
	v_add_u32_e32 v18, 0x800, v18
	s_cmp_lg_u32 s10, 64
	v_add_u32_e32 v2, -4, v2
	s_barrier
	s_cbranch_scc0 .LBB38_1159
.LBB38_1143:                            ; =>This Inner Loop Header: Depth=1
	v_cmp_eq_u32_e32 vcc, 0, v2
	s_and_b64 s[12:13], s[2:3], vcc
	s_and_saveexec_b64 s[8:9], s[12:13]
; %bb.1144:                             ;   in Loop: Header=BB38_1143 Depth=1
	ds_write_b64 v1, v[10:11] offset:41472
; %bb.1145:                             ;   in Loop: Header=BB38_1143 Depth=1
	s_or_b64 exec, exec, s[8:9]
	v_cmp_lt_u32_e32 vcc, s10, v0
	s_and_b64 s[12:13], s[2:3], vcc
	s_waitcnt lgkmcnt(0)
	s_barrier
	s_and_saveexec_b64 s[8:9], s[12:13]
	s_cbranch_execz .LBB38_1147
; %bb.1146:                             ;   in Loop: Header=BB38_1143 Depth=1
	ds_read_b64 v[3:4], v18
	ds_read_b64 v[5:6], v1 offset:41472
	s_waitcnt lgkmcnt(0)
	v_fma_f64 v[10:11], v[3:4], v[5:6], v[10:11]
.LBB38_1147:                            ;   in Loop: Header=BB38_1143 Depth=1
	s_or_b64 exec, exec, s[8:9]
	s_or_b32 s11, s10, 1
	v_cmp_eq_u32_e32 vcc, s11, v0
	s_and_b64 s[12:13], s[2:3], vcc
	s_barrier
	s_and_saveexec_b64 s[8:9], s[12:13]
; %bb.1148:                             ;   in Loop: Header=BB38_1143 Depth=1
	ds_write_b64 v1, v[10:11] offset:41472
; %bb.1149:                             ;   in Loop: Header=BB38_1143 Depth=1
	s_or_b64 exec, exec, s[8:9]
	v_cmp_lt_u32_e32 vcc, s11, v0
	s_and_b64 s[12:13], s[2:3], vcc
	s_waitcnt lgkmcnt(0)
	s_barrier
	s_and_saveexec_b64 s[8:9], s[12:13]
	s_cbranch_execz .LBB38_1151
; %bb.1150:                             ;   in Loop: Header=BB38_1143 Depth=1
	ds_read_b64 v[3:4], v18 offset:512
	ds_read_b64 v[5:6], v1 offset:41472
	s_waitcnt lgkmcnt(0)
	v_fma_f64 v[10:11], v[3:4], v[5:6], v[10:11]
.LBB38_1151:                            ;   in Loop: Header=BB38_1143 Depth=1
	s_or_b64 exec, exec, s[8:9]
	s_or_b32 s11, s10, 2
	v_cmp_eq_u32_e32 vcc, s11, v0
	s_and_b64 s[12:13], s[2:3], vcc
	s_barrier
	s_and_saveexec_b64 s[8:9], s[12:13]
; %bb.1152:                             ;   in Loop: Header=BB38_1143 Depth=1
	ds_write_b64 v1, v[10:11] offset:41472
; %bb.1153:                             ;   in Loop: Header=BB38_1143 Depth=1
	s_or_b64 exec, exec, s[8:9]
	v_cmp_lt_u32_e32 vcc, s11, v0
	s_and_b64 s[12:13], s[2:3], vcc
	s_waitcnt lgkmcnt(0)
	s_barrier
	s_and_saveexec_b64 s[8:9], s[12:13]
	s_cbranch_execz .LBB38_1155
; %bb.1154:                             ;   in Loop: Header=BB38_1143 Depth=1
	ds_read_b64 v[3:4], v18 offset:1024
	ds_read_b64 v[5:6], v1 offset:41472
	s_waitcnt lgkmcnt(0)
	v_fma_f64 v[10:11], v[3:4], v[5:6], v[10:11]
.LBB38_1155:                            ;   in Loop: Header=BB38_1143 Depth=1
	s_or_b64 exec, exec, s[8:9]
	s_or_b32 s11, s10, 3
	v_cmp_eq_u32_e32 vcc, s11, v0
	s_and_b64 s[12:13], s[2:3], vcc
	s_barrier
	s_and_saveexec_b64 s[8:9], s[12:13]
; %bb.1156:                             ;   in Loop: Header=BB38_1143 Depth=1
	ds_write_b64 v1, v[10:11] offset:41472
; %bb.1157:                             ;   in Loop: Header=BB38_1143 Depth=1
	s_or_b64 exec, exec, s[8:9]
	v_cmp_lt_u32_e32 vcc, s11, v0
	s_and_b64 s[12:13], s[2:3], vcc
	s_waitcnt lgkmcnt(0)
	s_barrier
	s_and_saveexec_b64 s[8:9], s[12:13]
	s_cbranch_execz .LBB38_1142
; %bb.1158:                             ;   in Loop: Header=BB38_1143 Depth=1
	ds_read_b64 v[3:4], v18 offset:1536
	ds_read_b64 v[5:6], v1 offset:41472
	s_waitcnt lgkmcnt(0)
	v_fma_f64 v[10:11], v[3:4], v[5:6], v[10:11]
	s_branch .LBB38_1142
.LBB38_1159:
	s_and_b64 vcc, exec, s[0:1]
	s_cbranch_vccz .LBB38_1163
; %bb.1160:
	s_and_b64 s[0:1], s[2:3], exec
	s_cbranch_execz .LBB38_1164
	s_branch .LBB38_1165
.LBB38_1161:
	s_or_b64 exec, exec, s[10:11]
	s_and_b64 vcc, exec, s[8:9]
	s_cbranch_vccnz .LBB38_1141
.LBB38_1162:
	v_mov_b32_e32 v11, v7
	v_mov_b32_e32 v10, v6
	s_and_saveexec_b64 s[0:1], s[4:5]
	s_cbranch_execnz .LBB38_1168
	s_branch .LBB38_1169
.LBB38_1163:
	s_mov_b64 s[0:1], 0
.LBB38_1164:
	v_cmp_gt_i32_e32 vcc, s7, v0
	s_and_b64 s[2:3], s[2:3], vcc
	s_andn2_b64 s[0:1], s[0:1], exec
	s_and_b64 s[2:3], s[2:3], exec
	s_or_b64 s[0:1], s[0:1], s[2:3]
.LBB38_1165:
                                        ; implicit-def: $vgpr4_vgpr5
	s_and_saveexec_b64 s[2:3], s[0:1]
	s_cbranch_execz .LBB38_1167
; %bb.1166:
	s_lshl_b32 s0, s6, 6
	s_ashr_i32 s1, s0, 31
	v_mov_b32_e32 v0, s1
	v_add_co_u32_e32 v1, vcc, s0, v19
	v_addc_co_u32_e32 v0, vcc, 0, v0, vcc
	v_mul_lo_u32 v0, v0, s50
	v_mul_lo_u32 v2, v1, s51
	v_mad_u64_u32 v[4:5], s[0:1], v1, s50, 0
	s_or_b64 s[4:5], s[4:5], exec
	v_add3_u32 v5, v5, v2, v0
.LBB38_1167:
	s_or_b64 exec, exec, s[2:3]
	s_and_saveexec_b64 s[0:1], s[4:5]
	s_cbranch_execz .LBB38_1169
.LBB38_1168:
	v_lshlrev_b64 v[0:1], 3, v[4:5]
	v_mov_b32_e32 v2, s21
	v_add_co_u32_e32 v0, vcc, s20, v0
	v_addc_co_u32_e32 v1, vcc, v2, v1, vcc
	global_store_dwordx2 v[0:1], v[10:11], off
.LBB38_1169:
	s_or_b64 exec, exec, s[0:1]
	v_cmp_eq_u32_e32 vcc, 0, v19
	s_waitcnt vmcnt(0)
	buffer_wbinvl1_vol
	s_barrier
	s_and_saveexec_b64 s[0:1], vcc
	s_cbranch_execz .LBB38_1171
; %bb.1170:
	s_lshl_b64 s[2:3], s[22:23], 2
	s_add_u32 s2, s14, s2
	s_addc_u32 s3, s15, s3
	v_mov_b32_e32 v0, 0
	global_load_dword v1, v0, s[2:3]
	s_waitcnt vmcnt(0)
	v_add_u32_e32 v1, 1, v1
	global_store_dword v0, v1, s[2:3]
.LBB38_1171:
	s_or_b64 exec, exec, s[0:1]
	s_waitcnt vmcnt(0)
	buffer_wbinvl1_vol
	s_endpgm
.LBB38_1172:
	ds_read_b64 v[22:23], v21 offset:31680
	ds_read_b64 v[24:25], v20 offset:31208
	s_waitcnt lgkmcnt(0)
	v_fma_f64 v[10:11], v[22:23], v[24:25], v[10:11]
	s_or_b64 exec, exec, s[14:15]
	v_cmp_gt_u32_e64 s[10:11], 8, v15
	s_and_saveexec_b64 s[14:15], s[10:11]
	s_cbranch_execz .LBB38_80
.LBB38_1173:
	ds_read_b64 v[21:22], v21 offset:32192
	ds_read_b64 v[23:24], v20 offset:31216
	s_waitcnt lgkmcnt(0)
	v_fma_f64 v[10:11], v[21:22], v[23:24], v[10:11]
	s_or_b64 exec, exec, s[14:15]
	v_cmp_gt_u32_e64 s[10:11], 4, v15
	s_and_saveexec_b64 s[14:15], s[10:11]
	s_cbranch_execnz .LBB38_81
	s_branch .LBB38_82
.LBB38_1174:
	ds_read_b64 v[25:26], v24 offset:29568
	ds_read_b64 v[27:28], v23 offset:29128
	s_waitcnt lgkmcnt(0)
	v_fma_f64 v[10:11], v[25:26], v[27:28], v[10:11]
	s_or_b64 exec, exec, s[16:17]
	v_cmp_gt_u32_e64 s[14:15], 48, v15
	s_and_saveexec_b64 s[16:17], s[14:15]
	s_cbranch_execz .LBB38_122
.LBB38_1175:
	ds_read_b64 v[25:26], v24 offset:30080
	ds_read_b64 v[27:28], v23 offset:29136
	s_waitcnt lgkmcnt(0)
	v_fma_f64 v[10:11], v[25:26], v[27:28], v[10:11]
	s_or_b64 exec, exec, s[16:17]
	v_cmp_gt_u32_e64 s[14:15], 40, v15
	s_and_saveexec_b64 s[16:17], s[14:15]
	s_cbranch_execz .LBB38_123
.LBB38_1176:
	ds_read_b64 v[25:26], v24 offset:30592
	ds_read_b64 v[27:28], v23 offset:29144
	s_waitcnt lgkmcnt(0)
	v_fma_f64 v[10:11], v[25:26], v[27:28], v[10:11]
	s_or_b64 exec, exec, s[16:17]
	v_cmp_gt_u32_e64 s[14:15], 32, v15
	s_and_saveexec_b64 s[16:17], s[14:15]
	s_cbranch_execz .LBB38_124
.LBB38_1177:
	ds_read_b64 v[25:26], v24 offset:31104
	ds_read_b64 v[27:28], v23 offset:29152
	s_waitcnt lgkmcnt(0)
	v_fma_f64 v[10:11], v[25:26], v[27:28], v[10:11]
	s_or_b64 exec, exec, s[16:17]
	v_cmp_gt_u32_e64 s[14:15], 24, v15
	s_and_saveexec_b64 s[16:17], s[14:15]
	s_cbranch_execz .LBB38_125
.LBB38_1178:
	ds_read_b64 v[25:26], v24 offset:31616
	ds_read_b64 v[27:28], v23 offset:29160
	s_waitcnt lgkmcnt(0)
	v_fma_f64 v[10:11], v[25:26], v[27:28], v[10:11]
	s_or_b64 exec, exec, s[16:17]
	s_and_saveexec_b64 s[14:15], s[18:19]
	s_cbranch_execz .LBB38_126
.LBB38_1179:
	ds_read_b64 v[24:25], v24 offset:32128
	ds_read_b64 v[26:27], v23 offset:29168
	s_waitcnt lgkmcnt(0)
	v_fma_f64 v[10:11], v[24:25], v[26:27], v[10:11]
	s_or_b64 exec, exec, s[14:15]
	v_cmp_gt_u32_e64 s[14:15], 8, v15
	s_and_saveexec_b64 s[16:17], s[14:15]
	s_cbranch_execnz .LBB38_127
	s_branch .LBB38_128
.LBB38_1180:
	ds_read_b64 v[25:26], v24 offset:27520
	ds_read_b64 v[27:28], v23 offset:27048
	s_waitcnt lgkmcnt(0)
	v_fma_f64 v[10:11], v[25:26], v[27:28], v[10:11]
	s_or_b64 exec, exec, s[14:15]
	v_cmp_gt_u32_e64 s[10:11], 8, v15
	s_and_saveexec_b64 s[14:15], s[10:11]
	s_cbranch_execz .LBB38_184
.LBB38_1181:
	ds_read_b64 v[24:25], v24 offset:28032
	ds_read_b64 v[26:27], v23 offset:27056
	s_waitcnt lgkmcnt(0)
	v_fma_f64 v[10:11], v[24:25], v[26:27], v[10:11]
	s_or_b64 exec, exec, s[14:15]
	v_cmp_gt_u32_e64 s[10:11], 4, v15
	s_and_saveexec_b64 s[14:15], s[10:11]
	s_cbranch_execnz .LBB38_185
	s_branch .LBB38_186
.LBB38_1182:
	ds_read_b64 v[28:29], v27 offset:30464
	ds_read_b64 v[30:31], v26 offset:25048
	s_waitcnt lgkmcnt(0)
	v_fma_f64 v[10:11], v[28:29], v[30:31], v[10:11]
	s_or_b64 exec, exec, s[20:21]
	s_and_saveexec_b64 s[16:17], s[8:9]
	s_cbranch_execz .LBB38_246
.LBB38_1183:
	ds_read_b64 v[28:29], v27 offset:30976
	ds_read_b64 v[30:31], v26 offset:25056
	s_waitcnt lgkmcnt(0)
	v_fma_f64 v[10:11], v[28:29], v[30:31], v[10:11]
	s_or_b64 exec, exec, s[16:17]
	v_cmp_gt_u32_e64 s[16:17], 48, v15
	s_and_saveexec_b64 s[20:21], s[16:17]
	s_cbranch_execz .LBB38_247
.LBB38_1184:
	ds_read_b64 v[28:29], v27 offset:31488
	ds_read_b64 v[30:31], v26 offset:25064
	s_waitcnt lgkmcnt(0)
	v_fma_f64 v[10:11], v[28:29], v[30:31], v[10:11]
	s_or_b64 exec, exec, s[20:21]
	v_cmp_gt_u32_e64 s[16:17], 32, v15
	s_and_saveexec_b64 s[20:21], s[16:17]
	s_cbranch_execz .LBB38_248
.LBB38_1185:
	ds_read_b64 v[27:28], v27 offset:32000
	ds_read_b64 v[29:30], v26 offset:25072
	s_waitcnt lgkmcnt(0)
	v_fma_f64 v[10:11], v[27:28], v[29:30], v[10:11]
	s_or_b64 exec, exec, s[20:21]
	v_cmp_gt_u32_e64 s[16:17], 16, v15
	s_and_saveexec_b64 s[20:21], s[16:17]
	s_cbranch_execnz .LBB38_249
	s_branch .LBB38_250
.LBB38_1186:
	ds_read_b64 v[28:29], v27 offset:23360
	ds_read_b64 v[30:31], v26 offset:22888
	s_waitcnt lgkmcnt(0)
	v_fma_f64 v[10:11], v[28:29], v[30:31], v[10:11]
	s_or_b64 exec, exec, s[0:1]
	v_cmp_gt_u32_e64 s[14:15], 8, v15
	s_and_saveexec_b64 s[0:1], s[14:15]
	s_cbranch_execz .LBB38_338
.LBB38_1187:
	ds_read_b64 v[27:28], v27 offset:23872
	ds_read_b64 v[29:30], v26 offset:22896
	s_waitcnt lgkmcnt(0)
	v_fma_f64 v[10:11], v[27:28], v[29:30], v[10:11]
	s_or_b64 exec, exec, s[0:1]
	v_cmp_gt_u32_e64 s[14:15], 4, v15
	s_and_saveexec_b64 s[20:21], s[14:15]
	s_cbranch_execnz .LBB38_339
	s_branch .LBB38_340
.LBB38_1188:
	ds_read_b64 v[28:29], v27 offset:21248
	ds_read_b64 v[30:31], v26 offset:20808
	s_waitcnt lgkmcnt(0)
	v_fma_f64 v[10:11], v[28:29], v[30:31], v[10:11]
	s_or_b64 exec, exec, s[0:1]
	v_cmp_gt_u32_e64 s[14:15], 48, v15
	s_and_saveexec_b64 s[0:1], s[14:15]
	s_cbranch_execz .LBB38_380
.LBB38_1189:
	ds_read_b64 v[28:29], v27 offset:21760
	ds_read_b64 v[30:31], v26 offset:20816
	s_waitcnt lgkmcnt(0)
	v_fma_f64 v[10:11], v[28:29], v[30:31], v[10:11]
	s_or_b64 exec, exec, s[0:1]
	v_cmp_gt_u32_e64 s[14:15], 40, v15
	s_and_saveexec_b64 s[0:1], s[14:15]
	s_cbranch_execz .LBB38_381
.LBB38_1190:
	ds_read_b64 v[28:29], v27 offset:22272
	ds_read_b64 v[30:31], v26 offset:20824
	s_waitcnt lgkmcnt(0)
	v_fma_f64 v[10:11], v[28:29], v[30:31], v[10:11]
	s_or_b64 exec, exec, s[0:1]
	v_cmp_gt_u32_e64 s[14:15], 32, v15
	s_and_saveexec_b64 s[0:1], s[14:15]
	s_cbranch_execz .LBB38_382
.LBB38_1191:
	ds_read_b64 v[28:29], v27 offset:22784
	ds_read_b64 v[30:31], v26 offset:20832
	s_waitcnt lgkmcnt(0)
	v_fma_f64 v[10:11], v[28:29], v[30:31], v[10:11]
	s_or_b64 exec, exec, s[0:1]
	v_cmp_gt_u32_e64 s[14:15], 24, v15
	s_and_saveexec_b64 s[0:1], s[14:15]
	s_cbranch_execz .LBB38_383
.LBB38_1192:
	ds_read_b64 v[28:29], v27 offset:23296
	ds_read_b64 v[30:31], v26 offset:20840
	s_waitcnt lgkmcnt(0)
	v_fma_f64 v[10:11], v[28:29], v[30:31], v[10:11]
	s_or_b64 exec, exec, s[0:1]
	s_and_saveexec_b64 s[0:1], s[18:19]
	s_cbranch_execz .LBB38_384
.LBB38_1193:
	ds_read_b64 v[27:28], v27 offset:23808
	ds_read_b64 v[29:30], v26 offset:20848
	s_waitcnt lgkmcnt(0)
	v_fma_f64 v[10:11], v[27:28], v[29:30], v[10:11]
	s_or_b64 exec, exec, s[0:1]
	v_cmp_gt_u32_e64 s[14:15], 8, v15
	s_and_saveexec_b64 s[20:21], s[14:15]
	s_cbranch_execnz .LBB38_385
	s_branch .LBB38_386
.LBB38_1194:
	ds_read_b64 v[28:29], v27 offset:19200
	ds_read_b64 v[30:31], v26 offset:18728
	s_waitcnt lgkmcnt(0)
	v_fma_f64 v[10:11], v[28:29], v[30:31], v[10:11]
	s_or_b64 exec, exec, s[0:1]
	v_cmp_gt_u32_e64 s[14:15], 8, v15
	s_and_saveexec_b64 s[0:1], s[14:15]
	s_cbranch_execz .LBB38_442
.LBB38_1195:
	ds_read_b64 v[27:28], v27 offset:19712
	ds_read_b64 v[29:30], v26 offset:18736
	s_waitcnt lgkmcnt(0)
	v_fma_f64 v[10:11], v[27:28], v[29:30], v[10:11]
	s_or_b64 exec, exec, s[0:1]
	v_cmp_gt_u32_e64 s[14:15], 4, v15
	s_and_saveexec_b64 s[20:21], s[14:15]
	s_cbranch_execnz .LBB38_443
	s_branch .LBB38_444
.LBB38_1196:
	ds_read_b64 v[31:32], v27 offset:31232
	ds_read_b64 v[33:34], v30 offset:16872
	s_waitcnt lgkmcnt(0)
	v_fma_f64 v[10:11], v[31:32], v[33:34], v[10:11]
	s_or_b64 exec, exec, s[0:1]
	s_and_saveexec_b64 s[0:1], s[8:9]
	s_cbranch_execz .LBB38_540
.LBB38_1197:
	ds_read_b64 v[31:32], v27 offset:31744
	ds_read_b64 v[33:34], v30 offset:16880
	s_waitcnt lgkmcnt(0)
	v_fma_f64 v[10:11], v[31:32], v[33:34], v[10:11]
	s_or_b64 exec, exec, s[0:1]
	v_cmp_gt_u32_e64 s[20:21], 32, v15
	s_and_saveexec_b64 s[0:1], s[20:21]
	s_cbranch_execnz .LBB38_541
	s_branch .LBB38_542
.LBB38_1198:
	ds_read_b64 v[28:29], v27 offset:15040
	ds_read_b64 v[30:31], v26 offset:14568
	s_waitcnt lgkmcnt(0)
	v_fma_f64 v[10:11], v[28:29], v[30:31], v[10:11]
	s_or_b64 exec, exec, s[0:1]
	v_cmp_gt_u32_e64 s[12:13], 8, v15
	s_and_saveexec_b64 s[0:1], s[12:13]
	s_cbranch_execz .LBB38_694
.LBB38_1199:
	ds_read_b64 v[27:28], v27 offset:15552
	ds_read_b64 v[29:30], v26 offset:14576
	s_waitcnt lgkmcnt(0)
	v_fma_f64 v[10:11], v[27:28], v[29:30], v[10:11]
	s_or_b64 exec, exec, s[0:1]
	v_cmp_gt_u32_e64 s[12:13], 4, v15
	s_and_saveexec_b64 s[0:1], s[12:13]
	s_cbranch_execnz .LBB38_695
	s_branch .LBB38_696
.LBB38_1200:
	ds_read_b64 v[28:29], v27 offset:12928
	ds_read_b64 v[30:31], v26 offset:12488
	s_waitcnt lgkmcnt(0)
	v_fma_f64 v[10:11], v[28:29], v[30:31], v[10:11]
	s_or_b64 exec, exec, s[0:1]
	v_cmp_gt_u32_e64 s[12:13], 48, v15
	s_and_saveexec_b64 s[0:1], s[12:13]
	s_cbranch_execz .LBB38_736
.LBB38_1201:
	ds_read_b64 v[28:29], v27 offset:13440
	ds_read_b64 v[30:31], v26 offset:12496
	s_waitcnt lgkmcnt(0)
	v_fma_f64 v[10:11], v[28:29], v[30:31], v[10:11]
	s_or_b64 exec, exec, s[0:1]
	v_cmp_gt_u32_e64 s[12:13], 40, v15
	s_and_saveexec_b64 s[0:1], s[12:13]
	s_cbranch_execz .LBB38_737
.LBB38_1202:
	ds_read_b64 v[28:29], v27 offset:13952
	ds_read_b64 v[30:31], v26 offset:12504
	s_waitcnt lgkmcnt(0)
	v_fma_f64 v[10:11], v[28:29], v[30:31], v[10:11]
	s_or_b64 exec, exec, s[0:1]
	v_cmp_gt_u32_e64 s[12:13], 32, v15
	s_and_saveexec_b64 s[0:1], s[12:13]
	s_cbranch_execz .LBB38_738
.LBB38_1203:
	ds_read_b64 v[28:29], v27 offset:14464
	ds_read_b64 v[30:31], v26 offset:12512
	s_waitcnt lgkmcnt(0)
	v_fma_f64 v[10:11], v[28:29], v[30:31], v[10:11]
	s_or_b64 exec, exec, s[0:1]
	v_cmp_gt_u32_e64 s[12:13], 24, v15
	s_and_saveexec_b64 s[0:1], s[12:13]
	s_cbranch_execz .LBB38_739
.LBB38_1204:
	ds_read_b64 v[28:29], v27 offset:14976
	ds_read_b64 v[30:31], v26 offset:12520
	s_waitcnt lgkmcnt(0)
	v_fma_f64 v[10:11], v[28:29], v[30:31], v[10:11]
	s_or_b64 exec, exec, s[0:1]
	s_and_saveexec_b64 s[0:1], s[18:19]
	s_cbranch_execz .LBB38_740
.LBB38_1205:
	ds_read_b64 v[27:28], v27 offset:15488
	ds_read_b64 v[29:30], v26 offset:12528
	s_waitcnt lgkmcnt(0)
	v_fma_f64 v[10:11], v[27:28], v[29:30], v[10:11]
	s_or_b64 exec, exec, s[0:1]
	v_cmp_gt_u32_e64 s[12:13], 8, v15
	s_and_saveexec_b64 s[0:1], s[12:13]
	s_cbranch_execnz .LBB38_741
	s_branch .LBB38_742
.LBB38_1206:
	ds_read_b64 v[28:29], v27 offset:10880
	ds_read_b64 v[30:31], v26 offset:10408
	s_waitcnt lgkmcnt(0)
	v_fma_f64 v[10:11], v[28:29], v[30:31], v[10:11]
	s_or_b64 exec, exec, s[0:1]
	v_cmp_gt_u32_e64 s[12:13], 8, v15
	s_and_saveexec_b64 s[0:1], s[12:13]
	s_cbranch_execz .LBB38_798
.LBB38_1207:
	ds_read_b64 v[27:28], v27 offset:11392
	ds_read_b64 v[29:30], v26 offset:10416
	s_waitcnt lgkmcnt(0)
	v_fma_f64 v[10:11], v[27:28], v[29:30], v[10:11]
	s_or_b64 exec, exec, s[0:1]
	v_cmp_gt_u32_e64 s[12:13], 4, v15
	s_and_saveexec_b64 s[0:1], s[12:13]
	s_cbranch_execnz .LBB38_799
	s_branch .LBB38_800
.LBB38_1208:
	ds_read_b64 v[28:29], v27 offset:13824
	ds_read_b64 v[30:31], v26 offset:8408
	s_waitcnt lgkmcnt(0)
	v_fma_f64 v[10:11], v[28:29], v[30:31], v[10:11]
	s_or_b64 exec, exec, s[0:1]
	s_and_saveexec_b64 s[0:1], s[8:9]
	s_cbranch_execz .LBB38_860
.LBB38_1209:
	ds_read_b64 v[28:29], v27 offset:14336
	ds_read_b64 v[30:31], v26 offset:8416
	s_waitcnt lgkmcnt(0)
	v_fma_f64 v[10:11], v[28:29], v[30:31], v[10:11]
	s_or_b64 exec, exec, s[0:1]
	v_cmp_gt_u32_e64 s[12:13], 48, v15
	s_and_saveexec_b64 s[0:1], s[12:13]
	s_cbranch_execz .LBB38_861
.LBB38_1210:
	ds_read_b64 v[28:29], v27 offset:14848
	ds_read_b64 v[30:31], v26 offset:8424
	s_waitcnt lgkmcnt(0)
	v_fma_f64 v[10:11], v[28:29], v[30:31], v[10:11]
	s_or_b64 exec, exec, s[0:1]
	v_cmp_gt_u32_e64 s[12:13], 32, v15
	s_and_saveexec_b64 s[0:1], s[12:13]
	s_cbranch_execz .LBB38_862
.LBB38_1211:
	ds_read_b64 v[27:28], v27 offset:15360
	ds_read_b64 v[29:30], v26 offset:8432
	s_waitcnt lgkmcnt(0)
	v_fma_f64 v[10:11], v[27:28], v[29:30], v[10:11]
	s_or_b64 exec, exec, s[0:1]
	v_cmp_gt_u32_e64 s[12:13], 16, v15
	s_and_saveexec_b64 s[0:1], s[12:13]
	s_cbranch_execnz .LBB38_863
	s_branch .LBB38_864
.LBB38_1212:
	ds_read_b64 v[25:26], v24 offset:6720
	ds_read_b64 v[27:28], v23 offset:6248
	s_waitcnt lgkmcnt(0)
	v_fma_f64 v[10:11], v[25:26], v[27:28], v[10:11]
	s_or_b64 exec, exec, s[12:13]
	v_cmp_gt_u32_e64 s[10:11], 8, v15
	s_and_saveexec_b64 s[12:13], s[10:11]
	s_cbranch_execz .LBB38_952
.LBB38_1213:
	ds_read_b64 v[24:25], v24 offset:7232
	ds_read_b64 v[26:27], v23 offset:6256
	s_waitcnt lgkmcnt(0)
	v_fma_f64 v[10:11], v[24:25], v[26:27], v[10:11]
	s_or_b64 exec, exec, s[12:13]
	v_cmp_gt_u32_e64 s[10:11], 4, v15
	s_and_saveexec_b64 s[12:13], s[10:11]
	s_cbranch_execnz .LBB38_953
	s_branch .LBB38_954
.LBB38_1214:
	ds_read_b64 v[25:26], v24 offset:4608
	ds_read_b64 v[27:28], v23 offset:4168
	s_waitcnt lgkmcnt(0)
	v_fma_f64 v[10:11], v[25:26], v[27:28], v[10:11]
	s_or_b64 exec, exec, s[12:13]
	v_cmp_gt_u32_e64 s[10:11], 48, v15
	s_and_saveexec_b64 s[12:13], s[10:11]
	s_cbranch_execz .LBB38_994
.LBB38_1215:
	ds_read_b64 v[25:26], v24 offset:5120
	ds_read_b64 v[27:28], v23 offset:4176
	s_waitcnt lgkmcnt(0)
	v_fma_f64 v[10:11], v[25:26], v[27:28], v[10:11]
	s_or_b64 exec, exec, s[12:13]
	v_cmp_gt_u32_e64 s[10:11], 40, v15
	s_and_saveexec_b64 s[12:13], s[10:11]
	s_cbranch_execz .LBB38_995
.LBB38_1216:
	ds_read_b64 v[25:26], v24 offset:5632
	ds_read_b64 v[27:28], v23 offset:4184
	s_waitcnt lgkmcnt(0)
	v_fma_f64 v[10:11], v[25:26], v[27:28], v[10:11]
	s_or_b64 exec, exec, s[12:13]
	v_cmp_gt_u32_e64 s[10:11], 32, v15
	s_and_saveexec_b64 s[12:13], s[10:11]
	s_cbranch_execz .LBB38_996
.LBB38_1217:
	ds_read_b64 v[25:26], v24 offset:6144
	ds_read_b64 v[27:28], v23 offset:4192
	s_waitcnt lgkmcnt(0)
	v_fma_f64 v[10:11], v[25:26], v[27:28], v[10:11]
	s_or_b64 exec, exec, s[12:13]
	v_cmp_gt_u32_e64 s[10:11], 24, v15
	s_and_saveexec_b64 s[12:13], s[10:11]
	s_cbranch_execz .LBB38_997
.LBB38_1218:
	ds_read_b64 v[25:26], v24 offset:6656
	ds_read_b64 v[27:28], v23 offset:4200
	s_waitcnt lgkmcnt(0)
	v_fma_f64 v[10:11], v[25:26], v[27:28], v[10:11]
	s_or_b64 exec, exec, s[12:13]
	s_and_saveexec_b64 s[10:11], s[18:19]
	s_cbranch_execz .LBB38_998
.LBB38_1219:
	ds_read_b64 v[24:25], v24 offset:7168
	ds_read_b64 v[26:27], v23 offset:4208
	s_waitcnt lgkmcnt(0)
	v_fma_f64 v[10:11], v[24:25], v[26:27], v[10:11]
	s_or_b64 exec, exec, s[10:11]
	v_cmp_gt_u32_e64 s[10:11], 8, v15
	s_and_saveexec_b64 s[12:13], s[10:11]
	s_cbranch_execnz .LBB38_999
	s_branch .LBB38_1000
.LBB38_1220:
	ds_read_b64 v[22:23], v21 offset:2560
	ds_read_b64 v[24:25], v20 offset:2088
	s_waitcnt lgkmcnt(0)
	v_fma_f64 v[10:11], v[22:23], v[24:25], v[10:11]
	s_or_b64 exec, exec, s[10:11]
	v_cmp_gt_u32_e64 s[8:9], 8, v15
	s_and_saveexec_b64 s[10:11], s[8:9]
	s_cbranch_execz .LBB38_1056
.LBB38_1221:
	ds_read_b64 v[21:22], v21 offset:3072
	ds_read_b64 v[23:24], v20 offset:2096
	s_waitcnt lgkmcnt(0)
	v_fma_f64 v[10:11], v[21:22], v[23:24], v[10:11]
	s_or_b64 exec, exec, s[10:11]
	v_cmp_gt_u32_e64 s[8:9], 4, v15
	s_and_saveexec_b64 s[10:11], s[8:9]
	s_cbranch_execnz .LBB38_1057
	s_branch .LBB38_1058
	.section	.rodata,"a",@progbits
	.p2align	6, 0x0
	.amdhsa_kernel _ZL19rocblas_trsv_deviceILi64ELi16ELb0ELb1ELb0ELb1EddPKdPdEviT7_lllT6_T8_lllPii
		.amdhsa_group_segment_fixed_size 41480
		.amdhsa_private_segment_fixed_size 0
		.amdhsa_kernarg_size 352
		.amdhsa_user_sgpr_count 6
		.amdhsa_user_sgpr_private_segment_buffer 1
		.amdhsa_user_sgpr_dispatch_ptr 0
		.amdhsa_user_sgpr_queue_ptr 0
		.amdhsa_user_sgpr_kernarg_segment_ptr 1
		.amdhsa_user_sgpr_dispatch_id 0
		.amdhsa_user_sgpr_flat_scratch_init 0
		.amdhsa_user_sgpr_private_segment_size 0
		.amdhsa_uses_dynamic_stack 0
		.amdhsa_system_sgpr_private_segment_wavefront_offset 0
		.amdhsa_system_sgpr_workgroup_id_x 1
		.amdhsa_system_sgpr_workgroup_id_y 0
		.amdhsa_system_sgpr_workgroup_id_z 1
		.amdhsa_system_sgpr_workgroup_info 0
		.amdhsa_system_vgpr_workitem_id 1
		.amdhsa_next_free_vgpr 49
		.amdhsa_next_free_sgpr 98
		.amdhsa_reserve_vcc 1
		.amdhsa_reserve_flat_scratch 0
		.amdhsa_float_round_mode_32 0
		.amdhsa_float_round_mode_16_64 0
		.amdhsa_float_denorm_mode_32 3
		.amdhsa_float_denorm_mode_16_64 3
		.amdhsa_dx10_clamp 1
		.amdhsa_ieee_mode 1
		.amdhsa_fp16_overflow 0
		.amdhsa_exception_fp_ieee_invalid_op 0
		.amdhsa_exception_fp_denorm_src 0
		.amdhsa_exception_fp_ieee_div_zero 0
		.amdhsa_exception_fp_ieee_overflow 0
		.amdhsa_exception_fp_ieee_underflow 0
		.amdhsa_exception_fp_ieee_inexact 0
		.amdhsa_exception_int_div_zero 0
	.end_amdhsa_kernel
	.section	.text._ZL19rocblas_trsv_deviceILi64ELi16ELb0ELb1ELb0ELb1EddPKdPdEviT7_lllT6_T8_lllPii,"axG",@progbits,_ZL19rocblas_trsv_deviceILi64ELi16ELb0ELb1ELb0ELb1EddPKdPdEviT7_lllT6_T8_lllPii,comdat
.Lfunc_end38:
	.size	_ZL19rocblas_trsv_deviceILi64ELi16ELb0ELb1ELb0ELb1EddPKdPdEviT7_lllT6_T8_lllPii, .Lfunc_end38-_ZL19rocblas_trsv_deviceILi64ELi16ELb0ELb1ELb0ELb1EddPKdPdEviT7_lllT6_T8_lllPii
                                        ; -- End function
	.set _ZL19rocblas_trsv_deviceILi64ELi16ELb0ELb1ELb0ELb1EddPKdPdEviT7_lllT6_T8_lllPii.num_vgpr, 36
	.set _ZL19rocblas_trsv_deviceILi64ELi16ELb0ELb1ELb0ELb1EddPKdPdEviT7_lllT6_T8_lllPii.num_agpr, 0
	.set _ZL19rocblas_trsv_deviceILi64ELi16ELb0ELb1ELb0ELb1EddPKdPdEviT7_lllT6_T8_lllPii.numbered_sgpr, 96
	.set _ZL19rocblas_trsv_deviceILi64ELi16ELb0ELb1ELb0ELb1EddPKdPdEviT7_lllT6_T8_lllPii.num_named_barrier, 0
	.set _ZL19rocblas_trsv_deviceILi64ELi16ELb0ELb1ELb0ELb1EddPKdPdEviT7_lllT6_T8_lllPii.private_seg_size, 0
	.set _ZL19rocblas_trsv_deviceILi64ELi16ELb0ELb1ELb0ELb1EddPKdPdEviT7_lllT6_T8_lllPii.uses_vcc, 1
	.set _ZL19rocblas_trsv_deviceILi64ELi16ELb0ELb1ELb0ELb1EddPKdPdEviT7_lllT6_T8_lllPii.uses_flat_scratch, 0
	.set _ZL19rocblas_trsv_deviceILi64ELi16ELb0ELb1ELb0ELb1EddPKdPdEviT7_lllT6_T8_lllPii.has_dyn_sized_stack, 0
	.set _ZL19rocblas_trsv_deviceILi64ELi16ELb0ELb1ELb0ELb1EddPKdPdEviT7_lllT6_T8_lllPii.has_recursion, 0
	.set _ZL19rocblas_trsv_deviceILi64ELi16ELb0ELb1ELb0ELb1EddPKdPdEviT7_lllT6_T8_lllPii.has_indirect_call, 0
	.section	.AMDGPU.csdata,"",@progbits
; Kernel info:
; codeLenInByte = 36496
; TotalNumSgprs: 100
; NumVgprs: 36
; ScratchSize: 0
; MemoryBound: 0
; FloatMode: 240
; IeeeMode: 1
; LDSByteSize: 41480 bytes/workgroup (compile time only)
; SGPRBlocks: 12
; VGPRBlocks: 12
; NumSGPRsForWavesPerEU: 102
; NumVGPRsForWavesPerEU: 49
; Occupancy: 4
; WaveLimiterHint : 0
; COMPUTE_PGM_RSRC2:SCRATCH_EN: 0
; COMPUTE_PGM_RSRC2:USER_SGPR: 6
; COMPUTE_PGM_RSRC2:TRAP_HANDLER: 0
; COMPUTE_PGM_RSRC2:TGID_X_EN: 1
; COMPUTE_PGM_RSRC2:TGID_Y_EN: 0
; COMPUTE_PGM_RSRC2:TGID_Z_EN: 1
; COMPUTE_PGM_RSRC2:TIDIG_COMP_CNT: 1
	.section	.text._ZL19rocblas_trsv_deviceILi64ELi16ELb0ELb1ELb1ELb1EddPKdPdEviT7_lllT6_T8_lllPii,"axG",@progbits,_ZL19rocblas_trsv_deviceILi64ELi16ELb0ELb1ELb1ELb1EddPKdPdEviT7_lllT6_T8_lllPii,comdat
	.globl	_ZL19rocblas_trsv_deviceILi64ELi16ELb0ELb1ELb1ELb1EddPKdPdEviT7_lllT6_T8_lllPii ; -- Begin function _ZL19rocblas_trsv_deviceILi64ELi16ELb0ELb1ELb1ELb1EddPKdPdEviT7_lllT6_T8_lllPii
	.p2align	8
	.type	_ZL19rocblas_trsv_deviceILi64ELi16ELb0ELb1ELb1ELb1EddPKdPdEviT7_lllT6_T8_lllPii,@function
_ZL19rocblas_trsv_deviceILi64ELi16ELb0ELb1ELb1ELb1EddPKdPdEviT7_lllT6_T8_lllPii: ; @_ZL19rocblas_trsv_deviceILi64ELi16ELb0ELb1ELb1ELb1EddPKdPdEviT7_lllT6_T8_lllPii
; %bb.0:
	s_load_dwordx16 s[36:51], s[4:5], 0x8
	s_load_dword s33, s[4:5], 0x0
	s_mov_b32 s22, s7
	s_mov_b32 s23, 0
	s_waitcnt lgkmcnt(0)
	s_mul_i32 s0, s43, s7
	s_mul_hi_u32 s1, s42, s7
	s_add_i32 s1, s1, s0
	s_mul_i32 s0, s42, s7
	s_lshl_b64 s[0:1], s[0:1], 3
	s_add_u32 s2, s36, s0
	s_load_dword s36, s[4:5], 0x6c
	s_addc_u32 s3, s37, s1
	s_lshl_b64 s[0:1], s[38:39], 3
	s_add_u32 s88, s2, s0
	s_addc_u32 s89, s3, s1
	s_cmp_eq_u32 s6, 0
	s_cbranch_scc1 .LBB39_10
; %bb.1:
	s_lshl_b32 s2, s6, 6
	v_add_u32_e32 v4, s2, v0
	v_ashrrev_i32_e32 v2, 31, v4
	v_mul_lo_u32 v5, s40, v2
	v_mul_lo_u32 v6, s41, v4
	v_mad_u64_u32 v[2:3], s[0:1], s40, v4, 0
	v_add_u32_e32 v7, s2, v1
	v_subrev_u32_e32 v10, 64, v7
	v_add3_u32 v3, v3, v5, v6
	v_lshlrev_b64 v[2:3], 3, v[2:3]
	v_ashrrev_i32_e32 v11, 31, v10
	v_cmp_gt_i32_e32 vcc, s33, v4
	v_mov_b32_e32 v4, s89
	v_add_co_u32_e64 v5, s[0:1], s88, v2
	v_addc_co_u32_e64 v4, s[0:1], v4, v3, s[0:1]
	v_lshlrev_b64 v[2:3], 3, v[10:11]
	s_waitcnt lgkmcnt(0)
	v_add_co_u32_e64 v11, s[0:1], v5, v2
	v_addc_co_u32_e64 v12, s[0:1], v4, v3, s[0:1]
	v_cmp_gt_i32_e64 s[0:1], s33, v10
	v_mov_b32_e32 v2, 0
	v_mov_b32_e32 v4, 0
	;; [unrolled: 1-line block ×4, first 2 shown]
	s_and_b64 s[2:3], s[0:1], vcc
	s_barrier
	s_and_saveexec_b64 s[0:1], s[2:3]
	s_cbranch_execz .LBB39_3
; %bb.2:
	global_load_dwordx2 v[4:5], v[11:12], off
.LBB39_3:
	s_or_b64 exec, exec, s[0:1]
	v_add_u32_e32 v6, 16, v10
	v_cmp_gt_i32_e64 s[0:1], s33, v6
	s_and_b64 s[2:3], s[0:1], vcc
	s_waitcnt vmcnt(0)
	s_barrier
	s_and_saveexec_b64 s[0:1], s[2:3]
	s_cbranch_execz .LBB39_5
; %bb.4:
	global_load_dwordx2 v[2:3], v[11:12], off offset:128
.LBB39_5:
	s_or_b64 exec, exec, s[0:1]
	v_add_u32_e32 v6, 32, v10
	v_cmp_gt_i32_e64 s[0:1], s33, v6
	v_mov_b32_e32 v6, 0
	v_mov_b32_e32 v8, 0
	;; [unrolled: 1-line block ×4, first 2 shown]
	s_and_b64 s[2:3], s[0:1], vcc
	s_waitcnt vmcnt(0)
	s_barrier
	s_and_saveexec_b64 s[0:1], s[2:3]
	s_cbranch_execz .LBB39_7
; %bb.6:
	global_load_dwordx2 v[8:9], v[11:12], off offset:256
.LBB39_7:
	s_or_b64 exec, exec, s[0:1]
	v_add_u32_e32 v10, 48, v10
	v_cmp_gt_i32_e64 s[0:1], s33, v10
	s_and_b64 s[2:3], s[0:1], vcc
	s_waitcnt vmcnt(0)
	s_barrier
	s_and_saveexec_b64 s[0:1], s[2:3]
	s_cbranch_execz .LBB39_9
; %bb.8:
	global_load_dwordx2 v[6:7], v[11:12], off offset:384
.LBB39_9:
	s_or_b64 exec, exec, s[0:1]
	s_branch .LBB39_11
.LBB39_10:
                                        ; implicit-def: $vgpr6_vgpr7
                                        ; implicit-def: $vgpr8_vgpr9
                                        ; implicit-def: $vgpr2_vgpr3
                                        ; implicit-def: $vgpr4_vgpr5
.LBB39_11:
	s_ashr_i32 s0, s33, 31
	s_lshr_b32 s0, s0, 26
	s_add_i32 s0, s33, s0
	s_andn2_b32 s0, s0, 63
	s_sub_i32 s7, s33, s0
	s_add_i32 s0, s33, -1
	s_ashr_i32 s1, s0, 31
	s_lshr_b32 s1, s1, 26
	s_add_i32 s0, s0, s1
	s_ashr_i32 s0, s0, 6
	s_cmp_eq_u32 s0, s6
	s_cselect_b64 s[0:1], -1, 0
	s_cmp_lg_u32 s7, 0
	s_cselect_b64 s[2:3], -1, 0
	s_and_b64 s[24:25], s[2:3], s[0:1]
	s_cmp_lt_i32 s6, 5
	s_cselect_b64 s[2:3], -1, 0
	s_mov_b64 s[12:13], -1
	s_or_b64 s[0:1], s[2:3], s[24:25]
	v_lshlrev_b32_e32 v14, 6, v0
	s_and_b64 vcc, exec, s[24:25]
	v_cmp_le_u32_e64 s[8:9], v1, v0
	v_lshlrev_b32_e32 v18, 3, v0
	s_cbranch_vccnz .LBB39_33
; %bb.12:
	s_add_u32 s10, s40, 1
	s_addc_u32 s11, s41, 0
	s_lshl_b32 s12, s6, 6
	s_ashr_i32 s13, s12, 31
	s_mul_hi_u32 s14, s10, s12
	s_mul_i32 s13, s10, s13
	s_add_i32 s13, s14, s13
	s_mul_i32 s11, s11, s12
	s_add_i32 s11, s13, s11
	s_mul_i32 s10, s10, s12
	s_lshl_b64 s[10:11], s[10:11], 3
	s_add_u32 s10, s88, s10
	s_addc_u32 s11, s89, s11
	v_lshlrev_b32_e32 v10, 3, v0
	v_mov_b32_e32 v11, s11
	v_add_co_u32_e32 v10, vcc, s10, v10
	v_addc_co_u32_e32 v11, vcc, 0, v11, vcc
	s_mov_b64 s[10:11], 0
	s_and_saveexec_b64 s[12:13], s[8:9]
	s_xor_b64 s[8:9], exec, s[12:13]
; %bb.13:
	v_or_b32_e32 v12, v1, v0
	v_cmp_gt_u32_e32 vcc, 64, v12
	s_and_b64 s[10:11], vcc, exec
; %bb.14:
	s_or_saveexec_b64 s[8:9], s[8:9]
	v_mov_b32_e32 v12, 0
	v_mov_b32_e32 v13, 0
	s_xor_b64 exec, exec, s[8:9]
	s_cbranch_execz .LBB39_16
; %bb.15:
	v_mad_u64_u32 v[12:13], s[12:13], s40, v1, 0
	s_or_b64 s[10:11], s[10:11], exec
	v_mad_u64_u32 v[15:16], s[12:13], s41, v1, v[13:14]
	v_mov_b32_e32 v13, v15
	v_lshlrev_b64 v[12:13], 3, v[12:13]
	v_add_co_u32_e32 v12, vcc, v10, v12
	v_addc_co_u32_e32 v13, vcc, v11, v13, vcc
	global_load_dwordx2 v[12:13], v[12:13], off
	s_waitcnt vmcnt(0)
	v_xor_b32_e32 v13, 0x80000000, v13
.LBB39_16:
	s_or_b64 exec, exec, s[8:9]
	s_and_saveexec_b64 s[8:9], s[10:11]
; %bb.17:
	v_add_u32_e32 v15, v1, v14
	v_lshl_add_u32 v16, v1, 6, v0
	v_cndmask_b32_e64 v15, v16, v15, s[2:3]
	v_lshlrev_b32_e32 v15, 3, v15
	ds_write_b64 v15, v[12:13]
; %bb.18:
	s_or_b64 exec, exec, s[8:9]
	v_add_u32_e32 v15, 16, v1
	v_cmp_le_u32_e32 vcc, v15, v0
	s_mov_b64 s[2:3], 0
	s_and_saveexec_b64 s[8:9], vcc
	s_xor_b64 s[8:9], exec, s[8:9]
; %bb.19:
	v_or_b32_e32 v12, v15, v0
	v_cmp_gt_u32_e32 vcc, 64, v12
	s_and_b64 s[2:3], vcc, exec
; %bb.20:
	s_or_saveexec_b64 s[8:9], s[8:9]
	v_mov_b32_e32 v12, 0
	v_mov_b32_e32 v13, 0
	s_xor_b64 exec, exec, s[8:9]
	s_cbranch_execz .LBB39_22
; %bb.21:
	v_mad_u64_u32 v[12:13], s[10:11], s40, v15, 0
	s_or_b64 s[2:3], s[2:3], exec
	v_mad_u64_u32 v[16:17], s[10:11], s41, v15, v[13:14]
	v_mov_b32_e32 v13, v16
	v_lshlrev_b64 v[12:13], 3, v[12:13]
	v_add_co_u32_e32 v12, vcc, v10, v12
	v_addc_co_u32_e32 v13, vcc, v11, v13, vcc
	global_load_dwordx2 v[12:13], v[12:13], off
	s_waitcnt vmcnt(0)
	v_xor_b32_e32 v13, 0x80000000, v13
.LBB39_22:
	s_or_b64 exec, exec, s[8:9]
	s_and_saveexec_b64 s[8:9], s[2:3]
; %bb.23:
	v_add_u32_e32 v16, v15, v14
	v_lshl_add_u32 v15, v15, 6, v0
	v_cndmask_b32_e64 v15, v15, v16, s[0:1]
	v_lshlrev_b32_e32 v15, 3, v15
	ds_write_b64 v15, v[12:13]
; %bb.24:
	s_or_b64 exec, exec, s[8:9]
	v_add_u32_e32 v15, 32, v1
	v_cmp_le_u32_e32 vcc, v15, v0
	s_mov_b64 s[2:3], 0
	s_and_saveexec_b64 s[8:9], vcc
	s_xor_b64 s[8:9], exec, s[8:9]
; %bb.25:
	v_or_b32_e32 v12, v15, v0
	v_cmp_gt_u32_e32 vcc, 64, v12
	s_and_b64 s[2:3], vcc, exec
; %bb.26:
	s_or_saveexec_b64 s[8:9], s[8:9]
	v_mov_b32_e32 v12, 0
	v_mov_b32_e32 v13, 0
	s_xor_b64 exec, exec, s[8:9]
	s_cbranch_execz .LBB39_28
; %bb.27:
	v_mad_u64_u32 v[12:13], s[10:11], s40, v15, 0
	s_or_b64 s[2:3], s[2:3], exec
	v_mad_u64_u32 v[16:17], s[10:11], s41, v15, v[13:14]
	v_mov_b32_e32 v13, v16
	v_lshlrev_b64 v[12:13], 3, v[12:13]
	v_add_co_u32_e32 v12, vcc, v10, v12
	v_addc_co_u32_e32 v13, vcc, v11, v13, vcc
	global_load_dwordx2 v[12:13], v[12:13], off
	s_waitcnt vmcnt(0)
	v_xor_b32_e32 v13, 0x80000000, v13
.LBB39_28:
	s_or_b64 exec, exec, s[8:9]
	s_and_saveexec_b64 s[8:9], s[2:3]
; %bb.29:
	v_add_u32_e32 v16, v15, v14
	v_lshl_add_u32 v15, v15, 6, v0
	v_cndmask_b32_e64 v15, v15, v16, s[0:1]
	v_lshlrev_b32_e32 v15, 3, v15
	ds_write_b64 v15, v[12:13]
; %bb.30:
	s_or_b64 exec, exec, s[8:9]
	v_add_u32_e32 v15, 48, v1
	v_add_u32_e32 v12, v15, v14
	v_lshl_add_u32 v13, v15, 6, v0
	v_cmp_le_u32_e32 vcc, v15, v0
	s_mov_b64 s[2:3], -1
	s_mov_b64 s[12:13], 0
	s_mov_b64 s[10:11], 0
	s_and_saveexec_b64 s[8:9], vcc
	s_xor_b64 s[8:9], exec, s[8:9]
; %bb.31:
	v_or_b32_e32 v16, v15, v0
	v_cmp_gt_u32_e32 vcc, 64, v16
	s_and_b64 s[10:11], vcc, exec
	s_xor_b64 s[2:3], exec, -1
; %bb.32:
	s_or_b64 exec, exec, s[8:9]
	v_cndmask_b32_e64 v16, v13, v12, s[0:1]
	s_and_b64 vcc, exec, s[12:13]
	s_cbranch_vccnz .LBB39_34
	s_branch .LBB39_55
.LBB39_33:
	s_mov_b64 s[2:3], 0
	s_mov_b64 s[10:11], 0
                                        ; implicit-def: $vgpr16
                                        ; implicit-def: $vgpr10_vgpr11
                                        ; implicit-def: $vgpr15
	s_and_b64 vcc, exec, s[12:13]
	s_cbranch_vccz .LBB39_55
.LBB39_34:
	s_add_u32 s2, s40, 1
	s_addc_u32 s3, s41, 0
	s_lshl_b32 s8, s6, 6
	s_ashr_i32 s9, s8, 31
	s_mul_hi_u32 s12, s2, s8
	s_mul_i32 s9, s2, s9
	s_add_i32 s9, s12, s9
	s_mul_i32 s3, s3, s8
	s_add_i32 s3, s9, s3
	s_mul_i32 s2, s2, s8
	s_lshl_b64 s[2:3], s[2:3], 3
	s_add_u32 s2, s88, s2
	s_addc_u32 s3, s89, s3
	v_lshlrev_b32_e32 v10, 3, v0
	v_mov_b32_e32 v11, s3
	v_add_co_u32_e64 v10, s[2:3], s2, v10
	v_addc_co_u32_e64 v11, s[2:3], 0, v11, s[2:3]
	v_max_i32_e32 v12, v1, v0
	v_cmp_le_u32_e64 s[2:3], v1, v0
	v_cmp_le_i32_e64 s[8:9], s7, v12
	v_cmp_gt_i32_e32 vcc, s7, v0
	s_or_b64 s[2:3], s[8:9], s[2:3]
	s_mov_b64 s[8:9], 0
	s_and_saveexec_b64 s[12:13], s[2:3]
	s_xor_b64 s[12:13], exec, s[12:13]
; %bb.35:
	v_or_b32_e32 v12, v1, v0
	v_cmp_gt_u32_e64 s[2:3], 64, v12
	s_and_b64 s[8:9], s[2:3], exec
; %bb.36:
	s_or_saveexec_b64 s[12:13], s[12:13]
	v_mov_b32_e32 v12, 0
	v_mov_b32_e32 v13, 0
	s_xor_b64 exec, exec, s[12:13]
	s_cbranch_execz .LBB39_38
; %bb.37:
	v_mad_u64_u32 v[12:13], s[2:3], s40, v1, 0
	s_or_b64 s[8:9], s[8:9], exec
	v_mad_u64_u32 v[15:16], s[2:3], s41, v1, v[13:14]
	v_mov_b32_e32 v13, v15
	v_lshlrev_b64 v[12:13], 3, v[12:13]
	v_add_co_u32_e64 v12, s[2:3], v10, v12
	v_addc_co_u32_e64 v13, s[2:3], v11, v13, s[2:3]
	global_load_dwordx2 v[12:13], v[12:13], off
	s_waitcnt vmcnt(0)
	v_xor_b32_e32 v13, 0x80000000, v13
.LBB39_38:
	s_or_b64 exec, exec, s[12:13]
	s_and_saveexec_b64 s[2:3], s[8:9]
; %bb.39:
	v_lshlrev_b32_e32 v15, 3, v14
	v_lshl_add_u32 v15, v1, 3, v15
	ds_write_b64 v15, v[12:13]
; %bb.40:
	s_or_b64 exec, exec, s[2:3]
	v_add_u32_e32 v15, 16, v1
	v_cmp_gt_u32_e64 s[2:3], v15, v0
	v_cmp_gt_i32_e64 s[8:9], s7, v15
	s_and_b64 s[2:3], s[2:3], s[8:9]
	s_and_b64 s[2:3], s[2:3], vcc
	s_xor_b64 s[2:3], s[2:3], -1
	s_mov_b64 s[8:9], 0
	s_and_saveexec_b64 s[12:13], s[2:3]
	s_xor_b64 s[12:13], exec, s[12:13]
; %bb.41:
	v_or_b32_e32 v12, v15, v0
	v_cmp_gt_u32_e64 s[2:3], 64, v12
	s_and_b64 s[8:9], s[2:3], exec
; %bb.42:
	s_or_saveexec_b64 s[12:13], s[12:13]
	v_mov_b32_e32 v12, 0
	v_mov_b32_e32 v13, 0
	s_xor_b64 exec, exec, s[12:13]
	s_cbranch_execz .LBB39_44
; %bb.43:
	v_mad_u64_u32 v[12:13], s[2:3], s40, v15, 0
	s_or_b64 s[8:9], s[8:9], exec
	v_mad_u64_u32 v[16:17], s[2:3], s41, v15, v[13:14]
	v_mov_b32_e32 v13, v16
	v_lshlrev_b64 v[12:13], 3, v[12:13]
	v_add_co_u32_e64 v12, s[2:3], v10, v12
	v_addc_co_u32_e64 v13, s[2:3], v11, v13, s[2:3]
	global_load_dwordx2 v[12:13], v[12:13], off
	s_waitcnt vmcnt(0)
	v_xor_b32_e32 v13, 0x80000000, v13
.LBB39_44:
	s_or_b64 exec, exec, s[12:13]
	s_and_saveexec_b64 s[2:3], s[8:9]
; %bb.45:
	v_add_u32_e32 v16, v15, v14
	v_lshl_add_u32 v15, v15, 6, v0
	v_cndmask_b32_e64 v15, v15, v16, s[0:1]
	v_lshlrev_b32_e32 v15, 3, v15
	ds_write_b64 v15, v[12:13]
; %bb.46:
	s_or_b64 exec, exec, s[2:3]
	v_add_u32_e32 v15, 32, v1
	v_cmp_gt_u32_e64 s[2:3], v15, v0
	v_cmp_gt_i32_e64 s[8:9], s7, v15
	s_and_b64 s[2:3], s[2:3], s[8:9]
	s_and_b64 s[2:3], s[2:3], vcc
	s_xor_b64 s[2:3], s[2:3], -1
	s_mov_b64 s[8:9], 0
	s_and_saveexec_b64 s[12:13], s[2:3]
	s_xor_b64 s[12:13], exec, s[12:13]
; %bb.47:
	v_or_b32_e32 v12, v15, v0
	v_cmp_gt_u32_e64 s[2:3], 64, v12
	s_and_b64 s[8:9], s[2:3], exec
; %bb.48:
	s_or_saveexec_b64 s[12:13], s[12:13]
	v_mov_b32_e32 v12, 0
	v_mov_b32_e32 v13, 0
	s_xor_b64 exec, exec, s[12:13]
	s_cbranch_execz .LBB39_50
; %bb.49:
	v_mad_u64_u32 v[12:13], s[2:3], s40, v15, 0
	s_or_b64 s[8:9], s[8:9], exec
	v_mad_u64_u32 v[16:17], s[2:3], s41, v15, v[13:14]
	v_mov_b32_e32 v13, v16
	v_lshlrev_b64 v[12:13], 3, v[12:13]
	v_add_co_u32_e64 v12, s[2:3], v10, v12
	v_addc_co_u32_e64 v13, s[2:3], v11, v13, s[2:3]
	global_load_dwordx2 v[12:13], v[12:13], off
	s_waitcnt vmcnt(0)
	v_xor_b32_e32 v13, 0x80000000, v13
.LBB39_50:
	s_or_b64 exec, exec, s[12:13]
	s_and_saveexec_b64 s[2:3], s[8:9]
; %bb.51:
	v_add_u32_e32 v16, v15, v14
	v_lshl_add_u32 v15, v15, 6, v0
	v_cndmask_b32_e64 v15, v15, v16, s[0:1]
	v_lshlrev_b32_e32 v15, 3, v15
	ds_write_b64 v15, v[12:13]
; %bb.52:
	s_or_b64 exec, exec, s[2:3]
	v_add_u32_e32 v15, 48, v1
	v_cmp_gt_u32_e64 s[2:3], v15, v0
	v_cmp_gt_i32_e64 s[8:9], s7, v15
	s_and_b64 s[2:3], s[2:3], s[8:9]
	s_and_b64 s[8:9], s[2:3], vcc
	v_add_u32_e32 v12, v15, v14
	v_lshl_add_u32 v13, v15, 6, v0
	s_mov_b64 s[2:3], -1
	s_xor_b64 s[12:13], s[8:9], -1
	s_and_saveexec_b64 s[8:9], s[12:13]
; %bb.53:
	v_or_b32_e32 v14, v15, v0
	v_cmp_gt_u32_e32 vcc, 64, v14
	s_andn2_b64 s[2:3], s[10:11], exec
	s_and_b64 s[10:11], vcc, exec
	s_or_b64 s[10:11], s[2:3], s[10:11]
	s_xor_b64 s[2:3], exec, -1
; %bb.54:
	s_or_b64 exec, exec, s[8:9]
	v_cndmask_b32_e64 v16, v13, v12, s[0:1]
.LBB39_55:
	v_mov_b32_e32 v12, 0
	v_mov_b32_e32 v13, 0
	s_and_saveexec_b64 s[8:9], s[2:3]
	s_cbranch_execnz .LBB39_1139
; %bb.56:
	s_or_b64 exec, exec, s[8:9]
	s_xor_b64 s[0:1], s[0:1], -1
	s_and_saveexec_b64 s[2:3], s[10:11]
.LBB39_57:
	v_lshlrev_b32_e32 v10, 3, v16
	ds_write_b64 v10, v[12:13]
.LBB39_58:
	s_or_b64 exec, exec, s[2:3]
	v_cndmask_b32_e64 v10, 0, 1, s[0:1]
	v_cmp_ne_u32_e64 s[58:59], 1, v10
	s_andn2_b64 vcc, exec, s[0:1]
	s_waitcnt vmcnt(0) lgkmcnt(0)
	s_barrier
	s_cbranch_vccnz .LBB39_1096
; %bb.59:
	v_or_b32_e32 v10, v0, v1
	v_cmp_eq_u32_e32 vcc, 0, v10
	s_and_saveexec_b64 s[0:1], vcc
	s_cbranch_execz .LBB39_61
; %bb.60:
	v_mov_b32_e32 v10, 0
	ds_read_b64 v[12:13], v10 offset:32752
	v_mov_b32_e32 v11, 0x3ff00000
	ds_write_b64 v10, v[10:11] offset:32760
	s_waitcnt lgkmcnt(1)
	ds_write_b128 v10, v[10:13] offset:32240
.LBB39_61:
	s_or_b64 exec, exec, s[0:1]
	v_lshlrev_b32_e32 v10, 6, v1
	v_add_u32_e32 v15, v10, v0
	v_and_b32_e32 v11, v10, v0
	v_xor_b32_e32 v10, v10, v0
	v_lshrrev_b16_e32 v10, 1, v10
	v_add_u16_e32 v14, v11, v10
	v_mov_b32_e32 v10, 0
	v_and_b32_e32 v12, 1, v0
	v_sub_u32_e32 v13, 1, v14
	v_cmp_lt_u32_e64 s[8:9], 3, v15
	v_mov_b32_e32 v11, 0
	v_cmp_gt_u32_e64 s[2:3], 4, v15
	s_waitcnt lgkmcnt(0)
	s_barrier
	buffer_wbinvl1_vol
	s_and_saveexec_b64 s[0:1], s[2:3]
	s_cbranch_execz .LBB39_65
; %bb.62:
	v_lshlrev_b32_e32 v16, 9, v13
	v_lshlrev_b32_e32 v10, 3, v12
	ds_read_b64 v[10:11], v10 offset:32224
	ds_read_b64 v[16:17], v16 offset:32240
	v_cmp_gt_u32_e64 s[10:11], 2, v15
	s_waitcnt lgkmcnt(0)
	v_fma_f64 v[10:11], v[10:11], v[16:17], 0
	s_and_saveexec_b64 s[12:13], s[10:11]
	s_cbranch_execz .LBB39_64
; %bb.63:
	v_lshlrev_b32_e32 v16, 3, v0
	v_mov_b32_e32 v19, 0
	ds_read_b64 v[16:17], v16 offset:32736
	ds_read_b64 v[19:20], v19 offset:32760
	s_waitcnt lgkmcnt(0)
	v_fma_f64 v[10:11], v[16:17], v[19:20], v[10:11]
.LBB39_64:
	s_or_b64 exec, exec, s[12:13]
.LBB39_65:
	s_or_b64 exec, exec, s[0:1]
	v_mov_b32_e32 v16, 0x8000
	v_cmp_ne_u32_e64 s[10:11], 0, v12
	s_xor_b64 s[0:1], s[8:9], -1
	v_lshl_add_u32 v14, v14, 3, v16
	s_and_b64 s[28:29], s[10:11], s[0:1]
	s_and_saveexec_b64 s[8:9], s[28:29]
; %bb.66:
	v_xor_b32_e32 v17, 0x80000000, v11
	v_mov_b32_e32 v16, v10
	ds_write_b64 v14, v[16:17]
; %bb.67:
	s_or_b64 exec, exec, s[8:9]
	v_cmp_eq_u32_e64 s[8:9], 0, v12
	s_and_b64 s[26:27], s[8:9], s[0:1]
	s_waitcnt lgkmcnt(0)
	s_barrier
	s_and_saveexec_b64 s[0:1], s[26:27]
	s_cbranch_execz .LBB39_69
; %bb.68:
	v_mov_b32_e32 v16, 0
	ds_read_b64 v[16:17], v16 offset:31712
	ds_read_b64 v[19:20], v14
	s_waitcnt lgkmcnt(0)
	v_fma_f64 v[10:11], -v[16:17], v[19:20], v[10:11]
.LBB39_69:
	s_or_b64 exec, exec, s[0:1]
	s_barrier
	s_and_saveexec_b64 s[0:1], s[26:27]
; %bb.70:
	v_xor_b32_e32 v17, 0x80000000, v11
	v_mov_b32_e32 v16, v10
	ds_write_b64 v14, v[16:17]
; %bb.71:
	s_or_b64 exec, exec, s[0:1]
	s_waitcnt lgkmcnt(0)
	s_barrier
	s_barrier
	s_and_saveexec_b64 s[0:1], s[2:3]
; %bb.72:
	v_lshlrev_b32_e32 v16, 3, v12
	v_lshl_or_b32 v16, v13, 9, v16
	ds_write_b64 v16, v[10:11] offset:32224
; %bb.73:
	s_or_b64 exec, exec, s[0:1]
	v_cmp_eq_u32_e64 s[12:13], 0, v1
	v_cmp_gt_u32_e64 s[8:9], 2, v0
	s_and_b64 s[30:31], s[12:13], s[8:9]
	s_waitcnt lgkmcnt(0)
	s_barrier
	s_barrier
	s_and_saveexec_b64 s[0:1], s[30:31]
	s_cbranch_execz .LBB39_75
; %bb.74:
	v_lshlrev_b32_e32 v16, 3, v0
	s_movk_i32 s8, 0x1f8
	v_mad_u32_u24 v17, v0, s8, v16
	ds_read_b64 v[10:11], v17 offset:32224
	s_waitcnt lgkmcnt(0)
	ds_write_b64 v16, v[10:11] offset:31216
	ds_read_b64 v[10:11], v17 offset:32232
	s_waitcnt lgkmcnt(0)
	ds_write_b64 v16, v[10:11] offset:31728
.LBB39_75:
	s_or_b64 exec, exec, s[0:1]
	s_waitcnt lgkmcnt(0)
	s_barrier
	s_and_saveexec_b64 s[0:1], vcc
	s_cbranch_execz .LBB39_77
; %bb.76:
	v_mov_b32_e32 v19, 0
	ds_read_b64 v[21:22], v19 offset:31712
	v_mov_b32_e32 v20, 0x3ff00000
	ds_write_b64 v19, v[19:20] offset:31720
	s_waitcnt lgkmcnt(1)
	ds_write_b128 v19, v[19:22] offset:31200
.LBB39_77:
	s_or_b64 exec, exec, s[0:1]
	v_lshrrev_b32_e32 v19, 2, v15
	v_mov_b32_e32 v10, 0
	v_and_b32_e32 v16, 3, v0
	v_sub_u32_e32 v17, 3, v19
	v_cmp_lt_u32_e64 s[8:9], 15, v15
	v_mov_b32_e32 v11, 0
	v_cmp_gt_u32_e64 s[18:19], 16, v15
	s_waitcnt lgkmcnt(0)
	s_barrier
	buffer_wbinvl1_vol
	s_and_saveexec_b64 s[0:1], s[18:19]
	s_cbranch_execz .LBB39_83
; %bb.78:
	v_lshlrev_b32_e32 v21, 3, v16
	v_lshlrev_b32_e32 v20, 9, v17
	ds_read_b64 v[10:11], v21 offset:31168
	ds_read_b64 v[22:23], v20 offset:31200
	v_cmp_gt_u32_e64 s[10:11], 12, v15
	s_waitcnt lgkmcnt(0)
	v_fma_f64 v[10:11], v[10:11], v[22:23], 0
	s_and_saveexec_b64 s[14:15], s[10:11]
	s_cbranch_execnz .LBB39_1172
; %bb.79:
	s_or_b64 exec, exec, s[14:15]
	v_cmp_gt_u32_e64 s[10:11], 8, v15
	s_and_saveexec_b64 s[14:15], s[10:11]
	s_cbranch_execnz .LBB39_1173
.LBB39_80:
	s_or_b64 exec, exec, s[14:15]
	v_cmp_gt_u32_e64 s[10:11], 4, v15
	s_and_saveexec_b64 s[14:15], s[10:11]
	s_cbranch_execz .LBB39_82
.LBB39_81:
	v_lshlrev_b32_e32 v20, 3, v0
	v_mov_b32_e32 v22, 0
	ds_read_b64 v[20:21], v20 offset:32704
	ds_read_b64 v[22:23], v22 offset:32760
	s_waitcnt lgkmcnt(0)
	v_fma_f64 v[10:11], v[20:21], v[22:23], v[10:11]
.LBB39_82:
	s_or_b64 exec, exec, s[14:15]
.LBB39_83:
	s_or_b64 exec, exec, s[0:1]
	v_mov_b32_e32 v20, 0x8000
	v_cmp_eq_u32_e64 s[10:11], 3, v16
	s_xor_b64 s[0:1], s[8:9], -1
	v_lshl_add_u32 v19, v19, 3, v20
	s_and_b64 s[36:37], s[10:11], s[0:1]
	s_and_saveexec_b64 s[8:9], s[36:37]
; %bb.84:
	v_xor_b32_e32 v21, 0x80000000, v11
	v_mov_b32_e32 v20, v10
	ds_write_b64 v19, v[20:21]
; %bb.85:
	s_or_b64 exec, exec, s[8:9]
	v_cmp_ne_u32_e64 s[8:9], 3, v16
	s_and_b64 s[38:39], s[8:9], s[0:1]
	s_waitcnt lgkmcnt(0)
	s_barrier
	s_and_saveexec_b64 s[8:9], s[38:39]
	s_cbranch_execz .LBB39_87
; %bb.86:
	v_lshlrev_b32_e32 v20, 3, v16
	ds_read_b64 v[20:21], v20 offset:30656
	ds_read_b64 v[22:23], v19
	s_waitcnt lgkmcnt(0)
	v_fma_f64 v[10:11], -v[20:21], v[22:23], v[10:11]
.LBB39_87:
	s_or_b64 exec, exec, s[8:9]
	v_cmp_eq_u32_e64 s[8:9], 2, v16
	s_and_b64 s[42:43], s[8:9], s[0:1]
	s_barrier
	s_and_saveexec_b64 s[8:9], s[42:43]
; %bb.88:
	v_xor_b32_e32 v21, 0x80000000, v11
	v_mov_b32_e32 v20, v10
	ds_write_b64 v19, v[20:21]
; %bb.89:
	s_or_b64 exec, exec, s[8:9]
	v_cmp_gt_u32_e64 s[8:9], 2, v16
	s_and_b64 s[52:53], s[8:9], s[0:1]
	s_waitcnt lgkmcnt(0)
	s_barrier
	s_and_saveexec_b64 s[8:9], s[52:53]
	s_cbranch_execz .LBB39_91
; %bb.90:
	v_lshlrev_b32_e32 v20, 3, v16
	ds_read_b64 v[20:21], v20 offset:30144
	ds_read_b64 v[22:23], v19
	s_waitcnt lgkmcnt(0)
	v_fma_f64 v[10:11], -v[20:21], v[22:23], v[10:11]
.LBB39_91:
	s_or_b64 exec, exec, s[8:9]
	v_cmp_eq_u32_e64 s[8:9], 1, v16
	s_and_b64 s[54:55], s[8:9], s[0:1]
	s_barrier
	s_and_saveexec_b64 s[8:9], s[54:55]
; %bb.92:
	v_xor_b32_e32 v21, 0x80000000, v11
	v_mov_b32_e32 v20, v10
	ds_write_b64 v19, v[20:21]
; %bb.93:
	s_or_b64 exec, exec, s[8:9]
	v_cmp_eq_u32_e64 s[8:9], 0, v16
	s_and_b64 s[34:35], s[8:9], s[0:1]
	s_waitcnt lgkmcnt(0)
	s_barrier
	s_and_saveexec_b64 s[0:1], s[34:35]
	s_cbranch_execz .LBB39_95
; %bb.94:
	v_mov_b32_e32 v20, 0
	ds_read_b64 v[20:21], v20 offset:29632
	ds_read_b64 v[22:23], v19
	s_waitcnt lgkmcnt(0)
	v_fma_f64 v[10:11], -v[20:21], v[22:23], v[10:11]
.LBB39_95:
	s_or_b64 exec, exec, s[0:1]
	s_barrier
	s_and_saveexec_b64 s[0:1], s[34:35]
; %bb.96:
	v_xor_b32_e32 v21, 0x80000000, v11
	v_mov_b32_e32 v20, v10
	ds_write_b64 v19, v[20:21]
; %bb.97:
	s_or_b64 exec, exec, s[0:1]
	s_waitcnt lgkmcnt(0)
	s_barrier
	s_barrier
	s_and_saveexec_b64 s[0:1], s[18:19]
; %bb.98:
	v_lshlrev_b32_e32 v20, 3, v16
	v_lshl_or_b32 v20, v17, 9, v20
	ds_write_b64 v20, v[10:11] offset:31168
; %bb.99:
	s_or_b64 exec, exec, s[0:1]
	v_cmp_gt_u32_e64 s[8:9], 4, v0
	s_and_b64 s[56:57], s[12:13], s[8:9]
	s_waitcnt lgkmcnt(0)
	s_barrier
	s_barrier
	s_and_saveexec_b64 s[0:1], s[56:57]
	s_cbranch_execz .LBB39_101
; %bb.100:
	v_lshlrev_b32_e32 v20, 9, v0
	ds_read_b64 v[10:11], v20 offset:31168
	s_movk_i32 s8, 0xfe08
	v_mad_i32_i24 v21, v0, s8, v20
	s_waitcnt lgkmcnt(0)
	ds_write_b64 v21, v[10:11] offset:29152
	ds_read_b64 v[10:11], v20 offset:31176
	s_waitcnt lgkmcnt(0)
	ds_write_b64 v21, v[10:11] offset:29664
	ds_read_b64 v[10:11], v20 offset:31184
	;; [unrolled: 3-line block ×3, first 2 shown]
	s_waitcnt lgkmcnt(0)
	ds_write_b64 v21, v[10:11] offset:30688
.LBB39_101:
	s_or_b64 exec, exec, s[0:1]
	s_waitcnt lgkmcnt(0)
	s_barrier
	s_and_saveexec_b64 s[0:1], vcc
	s_cbranch_execz .LBB39_103
; %bb.102:
	v_mov_b32_e32 v20, 0
	ds_read_b64 v[22:23], v20 offset:30672
	v_mov_b32_e32 v21, 0x3ff00000
	ds_write_b64 v20, v[20:21] offset:30680
	s_waitcnt lgkmcnt(1)
	ds_write_b128 v20, v[20:23] offset:30160
.LBB39_103:
	s_or_b64 exec, exec, s[0:1]
	v_mov_b32_e32 v10, 0
	v_mov_b32_e32 v11, 0
	s_waitcnt lgkmcnt(0)
	s_barrier
	buffer_wbinvl1_vol
	s_and_saveexec_b64 s[0:1], s[2:3]
	s_cbranch_execz .LBB39_107
; %bb.104:
	v_lshlrev_b32_e32 v20, 9, v13
	v_lshlrev_b32_e32 v10, 3, v12
	ds_read_b64 v[10:11], v10 offset:30144
	ds_read_b64 v[20:21], v20 offset:30160
	v_cmp_gt_u32_e64 s[8:9], 2, v15
	s_waitcnt lgkmcnt(0)
	v_fma_f64 v[10:11], v[10:11], v[20:21], 0
	s_and_saveexec_b64 s[10:11], s[8:9]
	s_cbranch_execz .LBB39_106
; %bb.105:
	v_lshlrev_b32_e32 v20, 3, v0
	v_mov_b32_e32 v22, 0
	ds_read_b64 v[20:21], v20 offset:30656
	ds_read_b64 v[22:23], v22 offset:30680
	s_waitcnt lgkmcnt(0)
	v_fma_f64 v[10:11], v[20:21], v[22:23], v[10:11]
.LBB39_106:
	s_or_b64 exec, exec, s[10:11]
.LBB39_107:
	s_or_b64 exec, exec, s[0:1]
	s_and_saveexec_b64 s[0:1], s[28:29]
; %bb.108:
	v_xor_b32_e32 v21, 0x80000000, v11
	v_mov_b32_e32 v20, v10
	ds_write_b64 v14, v[20:21]
; %bb.109:
	s_or_b64 exec, exec, s[0:1]
	s_waitcnt lgkmcnt(0)
	s_barrier
	s_and_saveexec_b64 s[0:1], s[26:27]
	s_cbranch_execz .LBB39_111
; %bb.110:
	v_mov_b32_e32 v20, 0
	ds_read_b64 v[20:21], v20 offset:29632
	ds_read_b64 v[22:23], v14
	s_waitcnt lgkmcnt(0)
	v_fma_f64 v[10:11], -v[20:21], v[22:23], v[10:11]
.LBB39_111:
	s_or_b64 exec, exec, s[0:1]
	s_barrier
	s_and_saveexec_b64 s[0:1], s[26:27]
; %bb.112:
	v_xor_b32_e32 v21, 0x80000000, v11
	v_mov_b32_e32 v20, v10
	ds_write_b64 v14, v[20:21]
; %bb.113:
	s_or_b64 exec, exec, s[0:1]
	s_waitcnt lgkmcnt(0)
	s_barrier
	s_barrier
	s_and_saveexec_b64 s[0:1], s[2:3]
; %bb.114:
	v_lshlrev_b32_e32 v20, 3, v12
	v_lshl_or_b32 v20, v13, 9, v20
	ds_write_b64 v20, v[10:11] offset:30144
; %bb.115:
	s_or_b64 exec, exec, s[0:1]
	s_waitcnt lgkmcnt(0)
	s_barrier
	s_barrier
	s_and_saveexec_b64 s[0:1], s[30:31]
	s_cbranch_execz .LBB39_117
; %bb.116:
	v_lshlrev_b32_e32 v20, 3, v0
	s_movk_i32 s8, 0x1f8
	v_mad_u32_u24 v21, v0, s8, v20
	ds_read_b64 v[10:11], v21 offset:30144
	s_waitcnt lgkmcnt(0)
	ds_write_b64 v20, v[10:11] offset:29136
	ds_read_b64 v[10:11], v21 offset:30152
	s_waitcnt lgkmcnt(0)
	ds_write_b64 v20, v[10:11] offset:29648
.LBB39_117:
	s_or_b64 exec, exec, s[0:1]
	s_waitcnt lgkmcnt(0)
	s_barrier
	s_and_saveexec_b64 s[0:1], vcc
	s_cbranch_execz .LBB39_119
; %bb.118:
	v_mov_b32_e32 v20, 0
	ds_read_b64 v[22:23], v20 offset:29632
	v_mov_b32_e32 v21, 0x3ff00000
	ds_write_b64 v20, v[20:21] offset:29640
	s_waitcnt lgkmcnt(1)
	ds_write_b128 v20, v[20:23] offset:29120
.LBB39_119:
	s_or_b64 exec, exec, s[0:1]
	v_lshrrev_b32_e32 v22, 3, v15
	v_mov_b32_e32 v10, 0
	v_and_b32_e32 v20, 7, v0
	v_sub_u32_e32 v21, 7, v22
	v_cmp_lt_u32_e64 s[10:11], 63, v15
	v_mov_b32_e32 v11, 0
	v_cmp_gt_u32_e64 s[8:9], 64, v15
	s_waitcnt lgkmcnt(0)
	s_barrier
	buffer_wbinvl1_vol
	s_and_saveexec_b64 s[0:1], s[8:9]
	s_cbranch_execz .LBB39_129
; %bb.120:
	v_lshlrev_b32_e32 v24, 3, v20
	v_lshlrev_b32_e32 v23, 9, v21
	ds_read_b64 v[10:11], v24 offset:29056
	ds_read_b64 v[25:26], v23 offset:29120
	v_cmp_gt_u32_e64 s[14:15], 56, v15
	s_waitcnt lgkmcnt(0)
	v_fma_f64 v[10:11], v[10:11], v[25:26], 0
	s_and_saveexec_b64 s[16:17], s[14:15]
	s_cbranch_execnz .LBB39_1174
; %bb.121:
	s_or_b64 exec, exec, s[16:17]
	v_cmp_gt_u32_e64 s[14:15], 48, v15
	s_and_saveexec_b64 s[16:17], s[14:15]
	s_cbranch_execnz .LBB39_1175
.LBB39_122:
	s_or_b64 exec, exec, s[16:17]
	v_cmp_gt_u32_e64 s[14:15], 40, v15
	s_and_saveexec_b64 s[16:17], s[14:15]
	s_cbranch_execnz .LBB39_1176
.LBB39_123:
	s_or_b64 exec, exec, s[16:17]
	v_cmp_gt_u32_e64 s[14:15], 32, v15
	s_and_saveexec_b64 s[16:17], s[14:15]
	s_cbranch_execnz .LBB39_1177
.LBB39_124:
	s_or_b64 exec, exec, s[16:17]
	v_cmp_gt_u32_e64 s[14:15], 24, v15
	s_and_saveexec_b64 s[16:17], s[14:15]
	s_cbranch_execnz .LBB39_1178
.LBB39_125:
	s_or_b64 exec, exec, s[16:17]
	s_and_saveexec_b64 s[14:15], s[18:19]
	s_cbranch_execnz .LBB39_1179
.LBB39_126:
	s_or_b64 exec, exec, s[14:15]
	v_cmp_gt_u32_e64 s[14:15], 8, v15
	s_and_saveexec_b64 s[16:17], s[14:15]
	s_cbranch_execz .LBB39_128
.LBB39_127:
	v_lshlrev_b32_e32 v23, 3, v0
	v_mov_b32_e32 v25, 0
	ds_read_b64 v[23:24], v23 offset:32640
	ds_read_b64 v[25:26], v25 offset:32760
	s_waitcnt lgkmcnt(0)
	v_fma_f64 v[10:11], v[23:24], v[25:26], v[10:11]
.LBB39_128:
	s_or_b64 exec, exec, s[16:17]
.LBB39_129:
                                        ; implicit-def: $vgpr35 : SGPR spill to VGPR lane
	v_writelane_b32 v35, s58, 0
	v_writelane_b32 v35, s59, 1
	s_or_b64 exec, exec, s[0:1]
	v_mov_b32_e32 v23, 0x8000
	v_cmp_eq_u32_e64 s[14:15], 7, v20
	s_xor_b64 s[0:1], s[10:11], -1
	v_lshl_add_u32 v22, v22, 3, v23
	s_and_b64 s[58:59], s[14:15], s[0:1]
	s_and_saveexec_b64 s[10:11], s[58:59]
; %bb.130:
	v_xor_b32_e32 v24, 0x80000000, v11
	v_mov_b32_e32 v23, v10
	ds_write_b64 v22, v[23:24]
; %bb.131:
	s_or_b64 exec, exec, s[10:11]
	v_cmp_ne_u32_e64 s[10:11], 7, v20
	s_and_b64 s[60:61], s[10:11], s[0:1]
	s_waitcnt lgkmcnt(0)
	s_barrier
	s_and_saveexec_b64 s[10:11], s[60:61]
	s_cbranch_execz .LBB39_133
; %bb.132:
	v_lshlrev_b32_e32 v23, 3, v20
	ds_read_b64 v[23:24], v23 offset:28544
	ds_read_b64 v[25:26], v22
	s_waitcnt lgkmcnt(0)
	v_fma_f64 v[10:11], -v[23:24], v[25:26], v[10:11]
.LBB39_133:
	s_or_b64 exec, exec, s[10:11]
	v_cmp_eq_u32_e64 s[10:11], 6, v20
	s_and_b64 s[62:63], s[10:11], s[0:1]
	s_barrier
	s_and_saveexec_b64 s[10:11], s[62:63]
; %bb.134:
	v_xor_b32_e32 v24, 0x80000000, v11
	v_mov_b32_e32 v23, v10
	ds_write_b64 v22, v[23:24]
; %bb.135:
	s_or_b64 exec, exec, s[10:11]
	v_cmp_gt_u32_e64 s[10:11], 6, v20
	s_and_b64 s[64:65], s[10:11], s[0:1]
	s_waitcnt lgkmcnt(0)
	s_barrier
	s_and_saveexec_b64 s[10:11], s[64:65]
	s_cbranch_execz .LBB39_137
; %bb.136:
	v_lshlrev_b32_e32 v23, 3, v20
	ds_read_b64 v[23:24], v23 offset:28032
	ds_read_b64 v[25:26], v22
	s_waitcnt lgkmcnt(0)
	v_fma_f64 v[10:11], -v[23:24], v[25:26], v[10:11]
.LBB39_137:
	s_or_b64 exec, exec, s[10:11]
	v_cmp_eq_u32_e64 s[10:11], 5, v20
	s_and_b64 s[66:67], s[10:11], s[0:1]
	s_barrier
	s_and_saveexec_b64 s[10:11], s[66:67]
; %bb.138:
	v_xor_b32_e32 v24, 0x80000000, v11
	v_mov_b32_e32 v23, v10
	ds_write_b64 v22, v[23:24]
; %bb.139:
	s_or_b64 exec, exec, s[10:11]
	v_cmp_gt_u32_e64 s[10:11], 5, v20
	;; [unrolled: 24-line block ×5, first 2 shown]
	s_and_b64 s[82:83], s[10:11], s[0:1]
	s_waitcnt lgkmcnt(0)
	s_barrier
	s_and_saveexec_b64 s[10:11], s[82:83]
	s_cbranch_execz .LBB39_153
; %bb.152:
	v_lshlrev_b32_e32 v23, 3, v20
	ds_read_b64 v[23:24], v23 offset:25984
	ds_read_b64 v[25:26], v22
	s_waitcnt lgkmcnt(0)
	v_fma_f64 v[10:11], -v[23:24], v[25:26], v[10:11]
.LBB39_153:
	s_or_b64 exec, exec, s[10:11]
	v_cmp_eq_u32_e64 s[10:11], 1, v20
	s_and_b64 s[84:85], s[10:11], s[0:1]
	s_barrier
	s_and_saveexec_b64 s[10:11], s[84:85]
; %bb.154:
	v_xor_b32_e32 v24, 0x80000000, v11
	v_mov_b32_e32 v23, v10
	ds_write_b64 v22, v[23:24]
; %bb.155:
	s_or_b64 exec, exec, s[10:11]
	v_cmp_eq_u32_e64 s[10:11], 0, v20
	s_and_b64 s[68:69], s[10:11], s[0:1]
	s_waitcnt lgkmcnt(0)
	s_barrier
	s_and_saveexec_b64 s[0:1], s[68:69]
	s_cbranch_execz .LBB39_157
; %bb.156:
	v_mov_b32_e32 v23, 0
	ds_read_b64 v[23:24], v23 offset:25472
	ds_read_b64 v[25:26], v22
	s_waitcnt lgkmcnt(0)
	v_fma_f64 v[10:11], -v[23:24], v[25:26], v[10:11]
.LBB39_157:
	s_or_b64 exec, exec, s[0:1]
	s_barrier
	s_and_saveexec_b64 s[0:1], s[68:69]
; %bb.158:
	v_xor_b32_e32 v24, 0x80000000, v11
	v_mov_b32_e32 v23, v10
	ds_write_b64 v22, v[23:24]
; %bb.159:
	s_or_b64 exec, exec, s[0:1]
	s_waitcnt lgkmcnt(0)
	s_barrier
	s_barrier
	s_and_saveexec_b64 s[0:1], s[8:9]
; %bb.160:
	v_lshlrev_b32_e32 v23, 3, v20
	v_lshl_or_b32 v23, v21, 9, v23
	ds_write_b64 v23, v[10:11] offset:29056
; %bb.161:
	s_or_b64 exec, exec, s[0:1]
	v_cmp_gt_u32_e64 s[10:11], 8, v0
	s_and_b64 s[86:87], s[12:13], s[10:11]
	s_waitcnt lgkmcnt(0)
	s_barrier
	s_barrier
	s_and_saveexec_b64 s[0:1], s[86:87]
	s_cbranch_execz .LBB39_163
; %bb.162:
	v_lshlrev_b32_e32 v23, 9, v0
	ds_read_b64 v[10:11], v23 offset:29056
	s_movk_i32 s10, 0xfe08
	v_mad_i32_i24 v24, v0, s10, v23
	s_waitcnt lgkmcnt(0)
	ds_write_b64 v24, v[10:11] offset:25024
	ds_read_b64 v[10:11], v23 offset:29064
	s_waitcnt lgkmcnt(0)
	ds_write_b64 v24, v[10:11] offset:25536
	ds_read_b64 v[10:11], v23 offset:29072
	;; [unrolled: 3-line block ×7, first 2 shown]
	s_waitcnt lgkmcnt(0)
	ds_write_b64 v24, v[10:11] offset:28608
.LBB39_163:
	s_or_b64 exec, exec, s[0:1]
	s_waitcnt lgkmcnt(0)
	s_barrier
	s_and_saveexec_b64 s[0:1], vcc
	s_cbranch_execz .LBB39_165
; %bb.164:
	v_mov_b32_e32 v23, 0
	ds_read_b64 v[25:26], v23 offset:28592
	v_mov_b32_e32 v24, 0x3ff00000
	ds_write_b64 v23, v[23:24] offset:28600
	s_waitcnt lgkmcnt(1)
	ds_write_b128 v23, v[23:26] offset:28080
.LBB39_165:
	s_or_b64 exec, exec, s[0:1]
	v_mov_b32_e32 v10, 0
	v_mov_b32_e32 v11, 0
	s_waitcnt lgkmcnt(0)
	s_barrier
	buffer_wbinvl1_vol
	s_and_saveexec_b64 s[0:1], s[2:3]
	s_cbranch_execz .LBB39_169
; %bb.166:
	v_lshlrev_b32_e32 v23, 9, v13
	v_lshlrev_b32_e32 v10, 3, v12
	ds_read_b64 v[10:11], v10 offset:28064
	ds_read_b64 v[23:24], v23 offset:28080
	v_cmp_gt_u32_e64 s[10:11], 2, v15
	s_waitcnt lgkmcnt(0)
	v_fma_f64 v[10:11], v[10:11], v[23:24], 0
	s_and_saveexec_b64 s[14:15], s[10:11]
	s_cbranch_execz .LBB39_168
; %bb.167:
	v_lshlrev_b32_e32 v23, 3, v0
	v_mov_b32_e32 v25, 0
	ds_read_b64 v[23:24], v23 offset:28576
	ds_read_b64 v[25:26], v25 offset:28600
	s_waitcnt lgkmcnt(0)
	v_fma_f64 v[10:11], v[23:24], v[25:26], v[10:11]
.LBB39_168:
	s_or_b64 exec, exec, s[14:15]
.LBB39_169:
	s_or_b64 exec, exec, s[0:1]
	s_and_saveexec_b64 s[0:1], s[28:29]
; %bb.170:
	v_xor_b32_e32 v24, 0x80000000, v11
	v_mov_b32_e32 v23, v10
	ds_write_b64 v14, v[23:24]
; %bb.171:
	s_or_b64 exec, exec, s[0:1]
	s_waitcnt lgkmcnt(0)
	s_barrier
	s_and_saveexec_b64 s[0:1], s[26:27]
	s_cbranch_execz .LBB39_173
; %bb.172:
	v_mov_b32_e32 v23, 0
	ds_read_b64 v[23:24], v23 offset:27552
	ds_read_b64 v[25:26], v14
	s_waitcnt lgkmcnt(0)
	v_fma_f64 v[10:11], -v[23:24], v[25:26], v[10:11]
.LBB39_173:
	s_or_b64 exec, exec, s[0:1]
	s_barrier
	s_and_saveexec_b64 s[0:1], s[26:27]
; %bb.174:
	v_xor_b32_e32 v24, 0x80000000, v11
	v_mov_b32_e32 v23, v10
	ds_write_b64 v14, v[23:24]
; %bb.175:
	s_or_b64 exec, exec, s[0:1]
	s_waitcnt lgkmcnt(0)
	s_barrier
	s_barrier
	s_and_saveexec_b64 s[0:1], s[2:3]
; %bb.176:
	v_lshlrev_b32_e32 v23, 3, v12
	v_lshl_or_b32 v23, v13, 9, v23
	ds_write_b64 v23, v[10:11] offset:28064
; %bb.177:
	s_or_b64 exec, exec, s[0:1]
	s_waitcnt lgkmcnt(0)
	s_barrier
	s_barrier
	s_and_saveexec_b64 s[0:1], s[30:31]
	s_cbranch_execz .LBB39_179
; %bb.178:
	v_lshlrev_b32_e32 v23, 3, v0
	s_movk_i32 s10, 0x1f8
	v_mad_u32_u24 v24, v0, s10, v23
	ds_read_b64 v[10:11], v24 offset:28064
	s_waitcnt lgkmcnt(0)
	ds_write_b64 v23, v[10:11] offset:27056
	ds_read_b64 v[10:11], v24 offset:28072
	s_waitcnt lgkmcnt(0)
	ds_write_b64 v23, v[10:11] offset:27568
.LBB39_179:
	s_or_b64 exec, exec, s[0:1]
	s_waitcnt lgkmcnt(0)
	s_barrier
	s_and_saveexec_b64 s[0:1], vcc
	s_cbranch_execz .LBB39_181
; %bb.180:
	v_mov_b32_e32 v23, 0
	ds_read_b64 v[25:26], v23 offset:27552
	v_mov_b32_e32 v24, 0x3ff00000
	ds_write_b64 v23, v[23:24] offset:27560
	s_waitcnt lgkmcnt(1)
	ds_write_b128 v23, v[23:26] offset:27040
.LBB39_181:
	s_or_b64 exec, exec, s[0:1]
	v_mov_b32_e32 v10, 0
	v_mov_b32_e32 v11, 0
	s_waitcnt lgkmcnt(0)
	s_barrier
	buffer_wbinvl1_vol
	s_and_saveexec_b64 s[0:1], s[18:19]
	s_cbranch_execz .LBB39_187
; %bb.182:
	v_lshlrev_b32_e32 v24, 3, v16
	v_lshlrev_b32_e32 v23, 9, v17
	ds_read_b64 v[10:11], v24 offset:27008
	ds_read_b64 v[25:26], v23 offset:27040
	v_cmp_gt_u32_e64 s[10:11], 12, v15
	s_waitcnt lgkmcnt(0)
	v_fma_f64 v[10:11], v[10:11], v[25:26], 0
	s_and_saveexec_b64 s[14:15], s[10:11]
	s_cbranch_execnz .LBB39_1180
; %bb.183:
	s_or_b64 exec, exec, s[14:15]
	v_cmp_gt_u32_e64 s[10:11], 8, v15
	s_and_saveexec_b64 s[14:15], s[10:11]
	s_cbranch_execnz .LBB39_1181
.LBB39_184:
	s_or_b64 exec, exec, s[14:15]
	v_cmp_gt_u32_e64 s[10:11], 4, v15
	s_and_saveexec_b64 s[14:15], s[10:11]
	s_cbranch_execz .LBB39_186
.LBB39_185:
	v_lshlrev_b32_e32 v23, 3, v0
	v_mov_b32_e32 v25, 0
	ds_read_b64 v[23:24], v23 offset:28544
	ds_read_b64 v[25:26], v25 offset:28600
	s_waitcnt lgkmcnt(0)
	v_fma_f64 v[10:11], v[23:24], v[25:26], v[10:11]
.LBB39_186:
	s_or_b64 exec, exec, s[14:15]
.LBB39_187:
	s_or_b64 exec, exec, s[0:1]
	s_and_saveexec_b64 s[0:1], s[36:37]
; %bb.188:
	v_xor_b32_e32 v24, 0x80000000, v11
	v_mov_b32_e32 v23, v10
	ds_write_b64 v19, v[23:24]
; %bb.189:
	s_or_b64 exec, exec, s[0:1]
	s_waitcnt lgkmcnt(0)
	s_barrier
	s_and_saveexec_b64 s[0:1], s[38:39]
	s_cbranch_execz .LBB39_191
; %bb.190:
	v_lshlrev_b32_e32 v23, 3, v16
	ds_read_b64 v[23:24], v23 offset:26496
	ds_read_b64 v[25:26], v19
	s_waitcnt lgkmcnt(0)
	v_fma_f64 v[10:11], -v[23:24], v[25:26], v[10:11]
.LBB39_191:
	s_or_b64 exec, exec, s[0:1]
	s_barrier
	s_and_saveexec_b64 s[0:1], s[42:43]
; %bb.192:
	v_xor_b32_e32 v24, 0x80000000, v11
	v_mov_b32_e32 v23, v10
	ds_write_b64 v19, v[23:24]
; %bb.193:
	s_or_b64 exec, exec, s[0:1]
	s_waitcnt lgkmcnt(0)
	s_barrier
	s_and_saveexec_b64 s[0:1], s[52:53]
	s_cbranch_execz .LBB39_195
; %bb.194:
	v_lshlrev_b32_e32 v23, 3, v16
	ds_read_b64 v[23:24], v23 offset:25984
	ds_read_b64 v[25:26], v19
	s_waitcnt lgkmcnt(0)
	v_fma_f64 v[10:11], -v[23:24], v[25:26], v[10:11]
.LBB39_195:
	s_or_b64 exec, exec, s[0:1]
	s_barrier
	s_and_saveexec_b64 s[0:1], s[54:55]
; %bb.196:
	v_xor_b32_e32 v24, 0x80000000, v11
	v_mov_b32_e32 v23, v10
	ds_write_b64 v19, v[23:24]
; %bb.197:
	s_or_b64 exec, exec, s[0:1]
	s_waitcnt lgkmcnt(0)
	s_barrier
	s_and_saveexec_b64 s[0:1], s[34:35]
	s_cbranch_execz .LBB39_199
; %bb.198:
	v_mov_b32_e32 v23, 0
	ds_read_b64 v[23:24], v23 offset:25472
	ds_read_b64 v[25:26], v19
	s_waitcnt lgkmcnt(0)
	v_fma_f64 v[10:11], -v[23:24], v[25:26], v[10:11]
.LBB39_199:
	s_or_b64 exec, exec, s[0:1]
	s_barrier
	s_and_saveexec_b64 s[0:1], s[34:35]
; %bb.200:
	v_xor_b32_e32 v24, 0x80000000, v11
	v_mov_b32_e32 v23, v10
	ds_write_b64 v19, v[23:24]
; %bb.201:
	s_or_b64 exec, exec, s[0:1]
	s_waitcnt lgkmcnt(0)
	s_barrier
	s_barrier
	s_and_saveexec_b64 s[0:1], s[18:19]
; %bb.202:
	v_lshlrev_b32_e32 v23, 3, v16
	v_lshl_or_b32 v23, v17, 9, v23
	ds_write_b64 v23, v[10:11] offset:27008
; %bb.203:
	s_or_b64 exec, exec, s[0:1]
	s_waitcnt lgkmcnt(0)
	s_barrier
	s_barrier
	s_and_saveexec_b64 s[0:1], s[56:57]
	s_cbranch_execz .LBB39_205
; %bb.204:
	v_lshlrev_b32_e32 v23, 9, v0
	ds_read_b64 v[10:11], v23 offset:27008
	s_movk_i32 s10, 0xfe08
	v_mad_i32_i24 v24, v0, s10, v23
	s_waitcnt lgkmcnt(0)
	ds_write_b64 v24, v[10:11] offset:24992
	ds_read_b64 v[10:11], v23 offset:27016
	s_waitcnt lgkmcnt(0)
	ds_write_b64 v24, v[10:11] offset:25504
	ds_read_b64 v[10:11], v23 offset:27024
	;; [unrolled: 3-line block ×3, first 2 shown]
	s_waitcnt lgkmcnt(0)
	ds_write_b64 v24, v[10:11] offset:26528
.LBB39_205:
	s_or_b64 exec, exec, s[0:1]
	s_waitcnt lgkmcnt(0)
	s_barrier
	s_and_saveexec_b64 s[0:1], vcc
	s_cbranch_execz .LBB39_207
; %bb.206:
	v_mov_b32_e32 v23, 0
	ds_read_b64 v[25:26], v23 offset:26512
	v_mov_b32_e32 v24, 0x3ff00000
	ds_write_b64 v23, v[23:24] offset:26520
	s_waitcnt lgkmcnt(1)
	ds_write_b128 v23, v[23:26] offset:26000
.LBB39_207:
	s_or_b64 exec, exec, s[0:1]
	v_mov_b32_e32 v10, 0
	v_mov_b32_e32 v11, 0
	s_waitcnt lgkmcnt(0)
	s_barrier
	buffer_wbinvl1_vol
	s_and_saveexec_b64 s[0:1], s[2:3]
	s_cbranch_execz .LBB39_211
; %bb.208:
	v_lshlrev_b32_e32 v23, 9, v13
	v_lshlrev_b32_e32 v10, 3, v12
	ds_read_b64 v[10:11], v10 offset:25984
	ds_read_b64 v[23:24], v23 offset:26000
	v_cmp_gt_u32_e64 s[10:11], 2, v15
	s_waitcnt lgkmcnt(0)
	v_fma_f64 v[10:11], v[10:11], v[23:24], 0
	s_and_saveexec_b64 s[14:15], s[10:11]
	s_cbranch_execz .LBB39_210
; %bb.209:
	v_lshlrev_b32_e32 v23, 3, v0
	v_mov_b32_e32 v25, 0
	ds_read_b64 v[23:24], v23 offset:26496
	ds_read_b64 v[25:26], v25 offset:26520
	s_waitcnt lgkmcnt(0)
	v_fma_f64 v[10:11], v[23:24], v[25:26], v[10:11]
.LBB39_210:
	s_or_b64 exec, exec, s[14:15]
.LBB39_211:
	s_or_b64 exec, exec, s[0:1]
	s_and_saveexec_b64 s[0:1], s[28:29]
; %bb.212:
	v_xor_b32_e32 v24, 0x80000000, v11
	v_mov_b32_e32 v23, v10
	ds_write_b64 v14, v[23:24]
; %bb.213:
	s_or_b64 exec, exec, s[0:1]
	s_waitcnt lgkmcnt(0)
	s_barrier
	s_and_saveexec_b64 s[0:1], s[26:27]
	s_cbranch_execz .LBB39_215
; %bb.214:
	v_mov_b32_e32 v23, 0
	ds_read_b64 v[23:24], v23 offset:25472
	ds_read_b64 v[25:26], v14
	s_waitcnt lgkmcnt(0)
	v_fma_f64 v[10:11], -v[23:24], v[25:26], v[10:11]
.LBB39_215:
	s_or_b64 exec, exec, s[0:1]
	s_barrier
	s_and_saveexec_b64 s[0:1], s[26:27]
; %bb.216:
	v_xor_b32_e32 v24, 0x80000000, v11
	v_mov_b32_e32 v23, v10
	ds_write_b64 v14, v[23:24]
; %bb.217:
	s_or_b64 exec, exec, s[0:1]
	s_waitcnt lgkmcnt(0)
	s_barrier
	s_barrier
	s_and_saveexec_b64 s[0:1], s[2:3]
; %bb.218:
	v_lshlrev_b32_e32 v23, 3, v12
	v_lshl_or_b32 v23, v13, 9, v23
	ds_write_b64 v23, v[10:11] offset:25984
; %bb.219:
	s_or_b64 exec, exec, s[0:1]
	s_waitcnt lgkmcnt(0)
	s_barrier
	s_barrier
	s_and_saveexec_b64 s[0:1], s[30:31]
	s_cbranch_execz .LBB39_221
; %bb.220:
	v_lshlrev_b32_e32 v23, 3, v0
	s_movk_i32 s10, 0x1f8
	v_mad_u32_u24 v24, v0, s10, v23
	ds_read_b64 v[10:11], v24 offset:25984
	s_waitcnt lgkmcnt(0)
	ds_write_b64 v23, v[10:11] offset:24976
	ds_read_b64 v[10:11], v24 offset:25992
	s_waitcnt lgkmcnt(0)
	ds_write_b64 v23, v[10:11] offset:25488
.LBB39_221:
	s_or_b64 exec, exec, s[0:1]
	s_waitcnt lgkmcnt(0)
	s_barrier
	s_and_saveexec_b64 s[0:1], vcc
	s_cbranch_execz .LBB39_223
; %bb.222:
	v_mov_b32_e32 v23, 0
	ds_read_b64 v[25:26], v23 offset:25472
	v_mov_b32_e32 v24, 0x3ff00000
	ds_write_b64 v23, v[23:24] offset:25480
	s_waitcnt lgkmcnt(1)
	ds_write_b128 v23, v[23:26] offset:24960
.LBB39_223:
	s_or_b64 exec, exec, s[0:1]
	s_movk_i32 s0, 0xff
	v_lshrrev_b32_e32 v25, 4, v15
	v_cmp_lt_u32_e64 s[14:15], s0, v15
	s_movk_i32 s0, 0x100
	v_mov_b32_e32 v10, 0
	v_and_b32_e32 v23, 15, v0
	v_sub_u32_e32 v24, 15, v25
	v_mov_b32_e32 v11, 0
	v_cmp_gt_u32_e64 s[10:11], s0, v15
	s_waitcnt lgkmcnt(0)
	s_barrier
	buffer_wbinvl1_vol
	s_and_saveexec_b64 s[0:1], s[10:11]
	s_cbranch_execz .LBB39_251
; %bb.224:
	v_lshlrev_b32_e32 v27, 3, v23
	v_lshlrev_b32_e32 v26, 9, v24
	ds_read_b64 v[10:11], v27 offset:24832
	ds_read_b64 v[28:29], v26 offset:24960
	s_movk_i32 s16, 0xf0
	v_cmp_gt_u32_e64 s[16:17], s16, v15
	s_waitcnt lgkmcnt(0)
	v_fma_f64 v[10:11], v[10:11], v[28:29], 0
	s_and_saveexec_b64 s[20:21], s[16:17]
	s_cbranch_execz .LBB39_226
; %bb.225:
	ds_read_b64 v[28:29], v27 offset:25344
	ds_read_b64 v[30:31], v26 offset:24968
	s_waitcnt lgkmcnt(0)
	v_fma_f64 v[10:11], v[28:29], v[30:31], v[10:11]
.LBB39_226:
	s_or_b64 exec, exec, s[20:21]
	s_movk_i32 s16, 0xe0
	v_cmp_gt_u32_e64 s[16:17], s16, v15
	s_and_saveexec_b64 s[20:21], s[16:17]
	s_cbranch_execz .LBB39_228
; %bb.227:
	ds_read_b64 v[28:29], v27 offset:25856
	ds_read_b64 v[30:31], v26 offset:24976
	s_waitcnt lgkmcnt(0)
	v_fma_f64 v[10:11], v[28:29], v[30:31], v[10:11]
.LBB39_228:
	s_or_b64 exec, exec, s[20:21]
	s_movk_i32 s16, 0xd0
	v_cmp_gt_u32_e64 s[16:17], s16, v15
	;; [unrolled: 11-line block ×10, first 2 shown]
	s_and_saveexec_b64 s[20:21], s[16:17]
	s_cbranch_execnz .LBB39_1182
; %bb.245:
	s_or_b64 exec, exec, s[20:21]
	s_and_saveexec_b64 s[16:17], s[8:9]
	s_cbranch_execnz .LBB39_1183
.LBB39_246:
	s_or_b64 exec, exec, s[16:17]
	v_cmp_gt_u32_e64 s[16:17], 48, v15
	s_and_saveexec_b64 s[20:21], s[16:17]
	s_cbranch_execnz .LBB39_1184
.LBB39_247:
	s_or_b64 exec, exec, s[20:21]
	v_cmp_gt_u32_e64 s[16:17], 32, v15
	s_and_saveexec_b64 s[20:21], s[16:17]
	s_cbranch_execnz .LBB39_1185
.LBB39_248:
	s_or_b64 exec, exec, s[20:21]
	v_cmp_gt_u32_e64 s[16:17], 16, v15
	s_and_saveexec_b64 s[20:21], s[16:17]
	s_cbranch_execz .LBB39_250
.LBB39_249:
	v_lshlrev_b32_e32 v26, 3, v0
	v_mov_b32_e32 v28, 0
	ds_read_b64 v[26:27], v26 offset:32512
	ds_read_b64 v[28:29], v28 offset:32760
	s_waitcnt lgkmcnt(0)
	v_fma_f64 v[10:11], v[26:27], v[28:29], v[10:11]
.LBB39_250:
	s_or_b64 exec, exec, s[20:21]
.LBB39_251:
	s_or_b64 exec, exec, s[0:1]
	v_mov_b32_e32 v26, 0x8000
	v_lshl_add_u32 v25, v25, 3, v26
	v_cmp_eq_u32_e64 s[16:17], 15, v23
	s_xor_b64 s[20:21], s[14:15], -1
	s_and_b64 s[14:15], s[16:17], s[20:21]
	s_mov_b64 s[0:1], exec
	v_writelane_b32 v35, s14, 2
	v_writelane_b32 v35, s15, 3
	s_and_b64 s[14:15], s[0:1], s[14:15]
	s_mov_b64 exec, s[14:15]
; %bb.252:
	v_xor_b32_e32 v27, 0x80000000, v11
	v_mov_b32_e32 v26, v10
	ds_write_b64 v25, v[26:27]
; %bb.253:
	s_or_b64 exec, exec, s[0:1]
	v_cmp_ne_u32_e64 s[14:15], 15, v23
	s_waitcnt lgkmcnt(0)
	s_barrier
	s_and_b64 s[14:15], s[14:15], s[20:21]
	s_mov_b64 s[0:1], exec
	v_writelane_b32 v35, s14, 4
	v_writelane_b32 v35, s15, 5
	s_and_b64 s[14:15], s[0:1], s[14:15]
	s_mov_b64 exec, s[14:15]
	s_cbranch_execz .LBB39_255
; %bb.254:
	v_lshlrev_b32_e32 v26, 3, v23
	ds_read_b64 v[26:27], v26 offset:24320
	ds_read_b64 v[28:29], v25
	s_waitcnt lgkmcnt(0)
	v_fma_f64 v[10:11], -v[26:27], v[28:29], v[10:11]
.LBB39_255:
	s_or_b64 exec, exec, s[0:1]
	v_cmp_eq_u32_e64 s[14:15], 14, v23
	s_barrier
	s_and_b64 s[14:15], s[14:15], s[20:21]
	s_mov_b64 s[0:1], exec
	v_writelane_b32 v35, s14, 6
	v_writelane_b32 v35, s15, 7
	s_and_b64 s[14:15], s[0:1], s[14:15]
	s_mov_b64 exec, s[14:15]
; %bb.256:
	v_xor_b32_e32 v27, 0x80000000, v11
	v_mov_b32_e32 v26, v10
	ds_write_b64 v25, v[26:27]
; %bb.257:
	s_or_b64 exec, exec, s[0:1]
	v_cmp_gt_u32_e64 s[14:15], 14, v23
	s_waitcnt lgkmcnt(0)
	s_barrier
	s_and_b64 s[14:15], s[14:15], s[20:21]
	s_mov_b64 s[0:1], exec
	v_writelane_b32 v35, s14, 8
	v_writelane_b32 v35, s15, 9
	s_and_b64 s[14:15], s[0:1], s[14:15]
	s_mov_b64 exec, s[14:15]
	s_cbranch_execz .LBB39_259
; %bb.258:
	v_lshlrev_b32_e32 v26, 3, v23
	ds_read_b64 v[26:27], v26 offset:23808
	ds_read_b64 v[28:29], v25
	s_waitcnt lgkmcnt(0)
	v_fma_f64 v[10:11], -v[26:27], v[28:29], v[10:11]
.LBB39_259:
	s_or_b64 exec, exec, s[0:1]
	v_cmp_eq_u32_e64 s[14:15], 13, v23
	s_barrier
	s_and_b64 s[14:15], s[14:15], s[20:21]
	s_mov_b64 s[0:1], exec
	v_writelane_b32 v35, s14, 10
	v_writelane_b32 v35, s15, 11
	s_and_b64 s[14:15], s[0:1], s[14:15]
	s_mov_b64 exec, s[14:15]
; %bb.260:
	v_xor_b32_e32 v27, 0x80000000, v11
	v_mov_b32_e32 v26, v10
	ds_write_b64 v25, v[26:27]
; %bb.261:
	s_or_b64 exec, exec, s[0:1]
	v_cmp_gt_u32_e64 s[14:15], 13, v23
	;; [unrolled: 32-line block ×13, first 2 shown]
	s_waitcnt lgkmcnt(0)
	s_barrier
	s_and_b64 s[14:15], s[14:15], s[20:21]
	s_mov_b64 s[0:1], exec
	v_writelane_b32 v35, s14, 56
	v_writelane_b32 v35, s15, 57
	s_and_b64 s[14:15], s[0:1], s[14:15]
	s_mov_b64 exec, s[14:15]
	s_cbranch_execz .LBB39_307
; %bb.306:
	v_lshlrev_b32_e32 v26, 3, v23
	ds_read_b64 v[26:27], v26 offset:17664
	ds_read_b64 v[28:29], v25
	s_waitcnt lgkmcnt(0)
	v_fma_f64 v[10:11], -v[26:27], v[28:29], v[10:11]
.LBB39_307:
	s_or_b64 exec, exec, s[0:1]
	v_cmp_eq_u32_e64 s[14:15], 1, v23
	s_barrier
	s_and_b64 s[14:15], s[14:15], s[20:21]
	s_mov_b64 s[0:1], exec
	v_writelane_b32 v35, s14, 58
	v_writelane_b32 v35, s15, 59
	s_and_b64 s[14:15], s[0:1], s[14:15]
	s_mov_b64 exec, s[14:15]
; %bb.308:
	v_xor_b32_e32 v27, 0x80000000, v11
	v_mov_b32_e32 v26, v10
	ds_write_b64 v25, v[26:27]
; %bb.309:
	s_or_b64 exec, exec, s[0:1]
	v_cmp_eq_u32_e64 s[14:15], 0, v23
	s_and_b64 s[90:91], s[14:15], s[20:21]
	s_waitcnt lgkmcnt(0)
	s_barrier
	s_and_saveexec_b64 s[0:1], s[90:91]
	s_cbranch_execz .LBB39_311
; %bb.310:
	v_mov_b32_e32 v26, 0
	ds_read_b64 v[26:27], v26 offset:17152
	ds_read_b64 v[28:29], v25
	s_waitcnt lgkmcnt(0)
	v_fma_f64 v[10:11], -v[26:27], v[28:29], v[10:11]
.LBB39_311:
	s_or_b64 exec, exec, s[0:1]
	s_barrier
	s_and_saveexec_b64 s[0:1], s[90:91]
; %bb.312:
	v_xor_b32_e32 v27, 0x80000000, v11
	v_mov_b32_e32 v26, v10
	ds_write_b64 v25, v[26:27]
; %bb.313:
	s_or_b64 exec, exec, s[0:1]
	s_waitcnt lgkmcnt(0)
	s_barrier
	s_barrier
	s_and_saveexec_b64 s[0:1], s[10:11]
; %bb.314:
	v_lshlrev_b32_e32 v26, 3, v23
	v_lshl_or_b32 v26, v24, 9, v26
	ds_write_b64 v26, v[10:11] offset:24832
; %bb.315:
	s_or_b64 exec, exec, s[0:1]
	v_cmp_gt_u32_e64 s[14:15], 16, v0
	s_and_b64 s[92:93], s[12:13], s[14:15]
	s_waitcnt lgkmcnt(0)
	s_barrier
	s_barrier
	s_and_saveexec_b64 s[14:15], s[92:93]
	s_cbranch_execz .LBB39_317
; %bb.316:
	v_lshlrev_b32_e32 v26, 9, v0
	ds_read_b64 v[10:11], v26 offset:24832
	s_movk_i32 s0, 0xfe08
	v_mad_i32_i24 v27, v0, s0, v26
	s_waitcnt lgkmcnt(0)
	ds_write_b64 v27, v[10:11] offset:16768
	ds_read_b64 v[10:11], v26 offset:24840
	s_waitcnt lgkmcnt(0)
	ds_write_b64 v27, v[10:11] offset:17280
	ds_read_b64 v[10:11], v26 offset:24848
	;; [unrolled: 3-line block ×15, first 2 shown]
	s_waitcnt lgkmcnt(0)
	ds_write_b64 v27, v[10:11] offset:24448
.LBB39_317:
	s_or_b64 exec, exec, s[14:15]
	s_waitcnt lgkmcnt(0)
	s_barrier
	s_and_saveexec_b64 s[14:15], vcc
	s_cbranch_execz .LBB39_319
; %bb.318:
	v_mov_b32_e32 v26, 0
	ds_read_b64 v[28:29], v26 offset:24432
	v_mov_b32_e32 v27, 0x3ff00000
	ds_write_b64 v26, v[26:27] offset:24440
	s_waitcnt lgkmcnt(1)
	ds_write_b128 v26, v[26:29] offset:23920
.LBB39_319:
	s_or_b64 exec, exec, s[14:15]
	v_mov_b32_e32 v10, 0
	v_mov_b32_e32 v11, 0
	s_waitcnt lgkmcnt(0)
	s_barrier
	buffer_wbinvl1_vol
	s_and_saveexec_b64 s[16:17], s[2:3]
	s_cbranch_execz .LBB39_323
; %bb.320:
	v_lshlrev_b32_e32 v26, 9, v13
	v_lshlrev_b32_e32 v10, 3, v12
	ds_read_b64 v[10:11], v10 offset:23904
	ds_read_b64 v[26:27], v26 offset:23920
	v_cmp_gt_u32_e64 s[14:15], 2, v15
	s_waitcnt lgkmcnt(0)
	v_fma_f64 v[10:11], v[10:11], v[26:27], 0
	s_and_saveexec_b64 s[20:21], s[14:15]
	s_cbranch_execz .LBB39_322
; %bb.321:
	v_lshlrev_b32_e32 v26, 3, v0
	v_mov_b32_e32 v28, 0
	ds_read_b64 v[26:27], v26 offset:24416
	ds_read_b64 v[28:29], v28 offset:24440
	s_waitcnt lgkmcnt(0)
	v_fma_f64 v[10:11], v[26:27], v[28:29], v[10:11]
.LBB39_322:
	s_or_b64 exec, exec, s[20:21]
.LBB39_323:
	s_or_b64 exec, exec, s[16:17]
	s_and_saveexec_b64 s[0:1], s[28:29]
; %bb.324:
	v_xor_b32_e32 v27, 0x80000000, v11
	v_mov_b32_e32 v26, v10
	ds_write_b64 v14, v[26:27]
; %bb.325:
	s_or_b64 exec, exec, s[0:1]
	s_waitcnt lgkmcnt(0)
	s_barrier
	s_and_saveexec_b64 s[0:1], s[26:27]
	s_cbranch_execz .LBB39_327
; %bb.326:
	v_mov_b32_e32 v26, 0
	ds_read_b64 v[26:27], v26 offset:23392
	ds_read_b64 v[28:29], v14
	s_waitcnt lgkmcnt(0)
	v_fma_f64 v[10:11], -v[26:27], v[28:29], v[10:11]
.LBB39_327:
	s_or_b64 exec, exec, s[0:1]
	s_barrier
	s_and_saveexec_b64 s[0:1], s[26:27]
; %bb.328:
	v_xor_b32_e32 v27, 0x80000000, v11
	v_mov_b32_e32 v26, v10
	ds_write_b64 v14, v[26:27]
; %bb.329:
	s_or_b64 exec, exec, s[0:1]
	s_waitcnt lgkmcnt(0)
	s_barrier
	s_barrier
	s_and_saveexec_b64 s[0:1], s[2:3]
; %bb.330:
	v_lshlrev_b32_e32 v26, 3, v12
	v_lshl_or_b32 v26, v13, 9, v26
	ds_write_b64 v26, v[10:11] offset:23904
; %bb.331:
	s_or_b64 exec, exec, s[0:1]
	s_waitcnt lgkmcnt(0)
	s_barrier
	s_barrier
	s_and_saveexec_b64 s[14:15], s[30:31]
	s_cbranch_execz .LBB39_333
; %bb.332:
	v_lshlrev_b32_e32 v26, 3, v0
	s_movk_i32 s0, 0x1f8
	v_mad_u32_u24 v27, v0, s0, v26
	ds_read_b64 v[10:11], v27 offset:23904
	s_waitcnt lgkmcnt(0)
	ds_write_b64 v26, v[10:11] offset:22896
	ds_read_b64 v[10:11], v27 offset:23912
	s_waitcnt lgkmcnt(0)
	ds_write_b64 v26, v[10:11] offset:23408
.LBB39_333:
	s_or_b64 exec, exec, s[14:15]
	s_waitcnt lgkmcnt(0)
	s_barrier
	s_and_saveexec_b64 s[14:15], vcc
	s_cbranch_execz .LBB39_335
; %bb.334:
	v_mov_b32_e32 v26, 0
	ds_read_b64 v[28:29], v26 offset:23392
	v_mov_b32_e32 v27, 0x3ff00000
	ds_write_b64 v26, v[26:27] offset:23400
	s_waitcnt lgkmcnt(1)
	ds_write_b128 v26, v[26:29] offset:22880
.LBB39_335:
	s_or_b64 exec, exec, s[14:15]
	v_mov_b32_e32 v10, 0
	v_mov_b32_e32 v11, 0
	s_waitcnt lgkmcnt(0)
	s_barrier
	buffer_wbinvl1_vol
	s_and_saveexec_b64 s[16:17], s[18:19]
	s_cbranch_execz .LBB39_341
; %bb.336:
	v_lshlrev_b32_e32 v27, 3, v16
	v_lshlrev_b32_e32 v26, 9, v17
	ds_read_b64 v[10:11], v27 offset:22848
	ds_read_b64 v[28:29], v26 offset:22880
	v_cmp_gt_u32_e64 s[14:15], 12, v15
	s_waitcnt lgkmcnt(0)
	v_fma_f64 v[10:11], v[10:11], v[28:29], 0
	s_and_saveexec_b64 s[0:1], s[14:15]
	s_cbranch_execnz .LBB39_1186
; %bb.337:
	s_or_b64 exec, exec, s[0:1]
	v_cmp_gt_u32_e64 s[14:15], 8, v15
	s_and_saveexec_b64 s[0:1], s[14:15]
	s_cbranch_execnz .LBB39_1187
.LBB39_338:
	s_or_b64 exec, exec, s[0:1]
	v_cmp_gt_u32_e64 s[14:15], 4, v15
	s_and_saveexec_b64 s[20:21], s[14:15]
	s_cbranch_execz .LBB39_340
.LBB39_339:
	v_lshlrev_b32_e32 v26, 3, v0
	v_mov_b32_e32 v28, 0
	ds_read_b64 v[26:27], v26 offset:24384
	ds_read_b64 v[28:29], v28 offset:24440
	s_waitcnt lgkmcnt(0)
	v_fma_f64 v[10:11], v[26:27], v[28:29], v[10:11]
.LBB39_340:
	s_or_b64 exec, exec, s[20:21]
.LBB39_341:
	s_or_b64 exec, exec, s[16:17]
	s_and_saveexec_b64 s[0:1], s[36:37]
; %bb.342:
	v_xor_b32_e32 v27, 0x80000000, v11
	v_mov_b32_e32 v26, v10
	ds_write_b64 v19, v[26:27]
; %bb.343:
	s_or_b64 exec, exec, s[0:1]
	s_waitcnt lgkmcnt(0)
	s_barrier
	s_and_saveexec_b64 s[0:1], s[38:39]
	s_cbranch_execz .LBB39_345
; %bb.344:
	v_lshlrev_b32_e32 v26, 3, v16
	ds_read_b64 v[26:27], v26 offset:22336
	ds_read_b64 v[28:29], v19
	s_waitcnt lgkmcnt(0)
	v_fma_f64 v[10:11], -v[26:27], v[28:29], v[10:11]
.LBB39_345:
	s_or_b64 exec, exec, s[0:1]
	s_barrier
	s_and_saveexec_b64 s[0:1], s[42:43]
; %bb.346:
	v_xor_b32_e32 v27, 0x80000000, v11
	v_mov_b32_e32 v26, v10
	ds_write_b64 v19, v[26:27]
; %bb.347:
	s_or_b64 exec, exec, s[0:1]
	s_waitcnt lgkmcnt(0)
	s_barrier
	s_and_saveexec_b64 s[0:1], s[52:53]
	s_cbranch_execz .LBB39_349
; %bb.348:
	v_lshlrev_b32_e32 v26, 3, v16
	ds_read_b64 v[26:27], v26 offset:21824
	ds_read_b64 v[28:29], v19
	s_waitcnt lgkmcnt(0)
	v_fma_f64 v[10:11], -v[26:27], v[28:29], v[10:11]
.LBB39_349:
	s_or_b64 exec, exec, s[0:1]
	s_barrier
	s_and_saveexec_b64 s[0:1], s[54:55]
; %bb.350:
	v_xor_b32_e32 v27, 0x80000000, v11
	v_mov_b32_e32 v26, v10
	ds_write_b64 v19, v[26:27]
; %bb.351:
	s_or_b64 exec, exec, s[0:1]
	s_waitcnt lgkmcnt(0)
	s_barrier
	s_and_saveexec_b64 s[0:1], s[34:35]
	s_cbranch_execz .LBB39_353
; %bb.352:
	v_mov_b32_e32 v26, 0
	ds_read_b64 v[26:27], v26 offset:21312
	ds_read_b64 v[28:29], v19
	s_waitcnt lgkmcnt(0)
	v_fma_f64 v[10:11], -v[26:27], v[28:29], v[10:11]
.LBB39_353:
	s_or_b64 exec, exec, s[0:1]
	s_barrier
	s_and_saveexec_b64 s[0:1], s[34:35]
; %bb.354:
	v_xor_b32_e32 v27, 0x80000000, v11
	v_mov_b32_e32 v26, v10
	ds_write_b64 v19, v[26:27]
; %bb.355:
	s_or_b64 exec, exec, s[0:1]
	s_waitcnt lgkmcnt(0)
	s_barrier
	s_barrier
	s_and_saveexec_b64 s[0:1], s[18:19]
; %bb.356:
	v_lshlrev_b32_e32 v26, 3, v16
	v_lshl_or_b32 v26, v17, 9, v26
	ds_write_b64 v26, v[10:11] offset:22848
; %bb.357:
	s_or_b64 exec, exec, s[0:1]
	s_waitcnt lgkmcnt(0)
	s_barrier
	s_barrier
	s_and_saveexec_b64 s[14:15], s[56:57]
	s_cbranch_execz .LBB39_359
; %bb.358:
	v_lshlrev_b32_e32 v26, 9, v0
	ds_read_b64 v[10:11], v26 offset:22848
	s_movk_i32 s0, 0xfe08
	v_mad_i32_i24 v27, v0, s0, v26
	s_waitcnt lgkmcnt(0)
	ds_write_b64 v27, v[10:11] offset:20832
	ds_read_b64 v[10:11], v26 offset:22856
	s_waitcnt lgkmcnt(0)
	ds_write_b64 v27, v[10:11] offset:21344
	ds_read_b64 v[10:11], v26 offset:22864
	;; [unrolled: 3-line block ×3, first 2 shown]
	s_waitcnt lgkmcnt(0)
	ds_write_b64 v27, v[10:11] offset:22368
.LBB39_359:
	s_or_b64 exec, exec, s[14:15]
	s_waitcnt lgkmcnt(0)
	s_barrier
	s_and_saveexec_b64 s[14:15], vcc
	s_cbranch_execz .LBB39_361
; %bb.360:
	v_mov_b32_e32 v26, 0
	ds_read_b64 v[28:29], v26 offset:22352
	v_mov_b32_e32 v27, 0x3ff00000
	ds_write_b64 v26, v[26:27] offset:22360
	s_waitcnt lgkmcnt(1)
	ds_write_b128 v26, v[26:29] offset:21840
.LBB39_361:
	s_or_b64 exec, exec, s[14:15]
	v_mov_b32_e32 v10, 0
	v_mov_b32_e32 v11, 0
	s_waitcnt lgkmcnt(0)
	s_barrier
	buffer_wbinvl1_vol
	s_and_saveexec_b64 s[16:17], s[2:3]
	s_cbranch_execz .LBB39_365
; %bb.362:
	v_lshlrev_b32_e32 v26, 9, v13
	v_lshlrev_b32_e32 v10, 3, v12
	ds_read_b64 v[10:11], v10 offset:21824
	ds_read_b64 v[26:27], v26 offset:21840
	v_cmp_gt_u32_e64 s[14:15], 2, v15
	s_waitcnt lgkmcnt(0)
	v_fma_f64 v[10:11], v[10:11], v[26:27], 0
	s_and_saveexec_b64 s[20:21], s[14:15]
	s_cbranch_execz .LBB39_364
; %bb.363:
	v_lshlrev_b32_e32 v26, 3, v0
	v_mov_b32_e32 v28, 0
	ds_read_b64 v[26:27], v26 offset:22336
	ds_read_b64 v[28:29], v28 offset:22360
	s_waitcnt lgkmcnt(0)
	v_fma_f64 v[10:11], v[26:27], v[28:29], v[10:11]
.LBB39_364:
	s_or_b64 exec, exec, s[20:21]
.LBB39_365:
	s_or_b64 exec, exec, s[16:17]
	s_and_saveexec_b64 s[0:1], s[28:29]
; %bb.366:
	v_xor_b32_e32 v27, 0x80000000, v11
	v_mov_b32_e32 v26, v10
	ds_write_b64 v14, v[26:27]
; %bb.367:
	s_or_b64 exec, exec, s[0:1]
	s_waitcnt lgkmcnt(0)
	s_barrier
	s_and_saveexec_b64 s[0:1], s[26:27]
	s_cbranch_execz .LBB39_369
; %bb.368:
	v_mov_b32_e32 v26, 0
	ds_read_b64 v[26:27], v26 offset:21312
	ds_read_b64 v[28:29], v14
	s_waitcnt lgkmcnt(0)
	v_fma_f64 v[10:11], -v[26:27], v[28:29], v[10:11]
.LBB39_369:
	s_or_b64 exec, exec, s[0:1]
	s_barrier
	s_and_saveexec_b64 s[0:1], s[26:27]
; %bb.370:
	v_xor_b32_e32 v27, 0x80000000, v11
	v_mov_b32_e32 v26, v10
	ds_write_b64 v14, v[26:27]
; %bb.371:
	s_or_b64 exec, exec, s[0:1]
	s_waitcnt lgkmcnt(0)
	s_barrier
	s_barrier
	s_and_saveexec_b64 s[0:1], s[2:3]
; %bb.372:
	v_lshlrev_b32_e32 v26, 3, v12
	v_lshl_or_b32 v26, v13, 9, v26
	ds_write_b64 v26, v[10:11] offset:21824
; %bb.373:
	s_or_b64 exec, exec, s[0:1]
	s_waitcnt lgkmcnt(0)
	s_barrier
	s_barrier
	s_and_saveexec_b64 s[14:15], s[30:31]
	s_cbranch_execz .LBB39_375
; %bb.374:
	v_lshlrev_b32_e32 v26, 3, v0
	s_movk_i32 s0, 0x1f8
	v_mad_u32_u24 v27, v0, s0, v26
	ds_read_b64 v[10:11], v27 offset:21824
	s_waitcnt lgkmcnt(0)
	ds_write_b64 v26, v[10:11] offset:20816
	ds_read_b64 v[10:11], v27 offset:21832
	s_waitcnt lgkmcnt(0)
	ds_write_b64 v26, v[10:11] offset:21328
.LBB39_375:
	s_or_b64 exec, exec, s[14:15]
	s_waitcnt lgkmcnt(0)
	s_barrier
	s_and_saveexec_b64 s[14:15], vcc
	s_cbranch_execz .LBB39_377
; %bb.376:
	v_mov_b32_e32 v26, 0
	ds_read_b64 v[28:29], v26 offset:21312
	v_mov_b32_e32 v27, 0x3ff00000
	ds_write_b64 v26, v[26:27] offset:21320
	s_waitcnt lgkmcnt(1)
	ds_write_b128 v26, v[26:29] offset:20800
.LBB39_377:
	s_or_b64 exec, exec, s[14:15]
	v_mov_b32_e32 v10, 0
	v_mov_b32_e32 v11, 0
	s_waitcnt lgkmcnt(0)
	s_barrier
	buffer_wbinvl1_vol
	s_and_saveexec_b64 s[16:17], s[8:9]
	s_cbranch_execz .LBB39_387
; %bb.378:
	v_lshlrev_b32_e32 v27, 3, v20
	v_lshlrev_b32_e32 v26, 9, v21
	ds_read_b64 v[10:11], v27 offset:20736
	ds_read_b64 v[28:29], v26 offset:20800
	v_cmp_gt_u32_e64 s[14:15], 56, v15
	s_waitcnt lgkmcnt(0)
	v_fma_f64 v[10:11], v[10:11], v[28:29], 0
	s_and_saveexec_b64 s[0:1], s[14:15]
	s_cbranch_execnz .LBB39_1188
; %bb.379:
	s_or_b64 exec, exec, s[0:1]
	v_cmp_gt_u32_e64 s[14:15], 48, v15
	s_and_saveexec_b64 s[0:1], s[14:15]
	s_cbranch_execnz .LBB39_1189
.LBB39_380:
	s_or_b64 exec, exec, s[0:1]
	v_cmp_gt_u32_e64 s[14:15], 40, v15
	s_and_saveexec_b64 s[0:1], s[14:15]
	s_cbranch_execnz .LBB39_1190
.LBB39_381:
	s_or_b64 exec, exec, s[0:1]
	v_cmp_gt_u32_e64 s[14:15], 32, v15
	s_and_saveexec_b64 s[0:1], s[14:15]
	s_cbranch_execnz .LBB39_1191
.LBB39_382:
	s_or_b64 exec, exec, s[0:1]
	v_cmp_gt_u32_e64 s[14:15], 24, v15
	s_and_saveexec_b64 s[0:1], s[14:15]
	s_cbranch_execnz .LBB39_1192
.LBB39_383:
	s_or_b64 exec, exec, s[0:1]
	s_and_saveexec_b64 s[0:1], s[18:19]
	s_cbranch_execnz .LBB39_1193
.LBB39_384:
	s_or_b64 exec, exec, s[0:1]
	v_cmp_gt_u32_e64 s[14:15], 8, v15
	s_and_saveexec_b64 s[20:21], s[14:15]
	s_cbranch_execz .LBB39_386
.LBB39_385:
	v_lshlrev_b32_e32 v26, 3, v0
	v_mov_b32_e32 v28, 0
	ds_read_b64 v[26:27], v26 offset:24320
	ds_read_b64 v[28:29], v28 offset:24440
	s_waitcnt lgkmcnt(0)
	v_fma_f64 v[10:11], v[26:27], v[28:29], v[10:11]
.LBB39_386:
	s_or_b64 exec, exec, s[20:21]
.LBB39_387:
	s_or_b64 exec, exec, s[16:17]
	s_and_saveexec_b64 s[0:1], s[58:59]
; %bb.388:
	v_xor_b32_e32 v27, 0x80000000, v11
	v_mov_b32_e32 v26, v10
	ds_write_b64 v22, v[26:27]
; %bb.389:
	s_or_b64 exec, exec, s[0:1]
	s_waitcnt lgkmcnt(0)
	s_barrier
	s_and_saveexec_b64 s[0:1], s[60:61]
	s_cbranch_execz .LBB39_391
; %bb.390:
	v_lshlrev_b32_e32 v26, 3, v20
	ds_read_b64 v[26:27], v26 offset:20224
	ds_read_b64 v[28:29], v22
	s_waitcnt lgkmcnt(0)
	v_fma_f64 v[10:11], -v[26:27], v[28:29], v[10:11]
.LBB39_391:
	s_or_b64 exec, exec, s[0:1]
	s_barrier
	s_and_saveexec_b64 s[0:1], s[62:63]
; %bb.392:
	v_xor_b32_e32 v27, 0x80000000, v11
	v_mov_b32_e32 v26, v10
	ds_write_b64 v22, v[26:27]
; %bb.393:
	s_or_b64 exec, exec, s[0:1]
	s_waitcnt lgkmcnt(0)
	s_barrier
	s_and_saveexec_b64 s[0:1], s[64:65]
	s_cbranch_execz .LBB39_395
; %bb.394:
	v_lshlrev_b32_e32 v26, 3, v20
	ds_read_b64 v[26:27], v26 offset:19712
	ds_read_b64 v[28:29], v22
	s_waitcnt lgkmcnt(0)
	v_fma_f64 v[10:11], -v[26:27], v[28:29], v[10:11]
.LBB39_395:
	s_or_b64 exec, exec, s[0:1]
	s_barrier
	s_and_saveexec_b64 s[0:1], s[66:67]
; %bb.396:
	v_xor_b32_e32 v27, 0x80000000, v11
	v_mov_b32_e32 v26, v10
	ds_write_b64 v22, v[26:27]
; %bb.397:
	s_or_b64 exec, exec, s[0:1]
	s_waitcnt lgkmcnt(0)
	s_barrier
	s_and_saveexec_b64 s[0:1], s[70:71]
	s_cbranch_execz .LBB39_399
; %bb.398:
	v_lshlrev_b32_e32 v26, 3, v20
	ds_read_b64 v[26:27], v26 offset:19200
	ds_read_b64 v[28:29], v22
	s_waitcnt lgkmcnt(0)
	v_fma_f64 v[10:11], -v[26:27], v[28:29], v[10:11]
.LBB39_399:
	s_or_b64 exec, exec, s[0:1]
	s_barrier
	s_and_saveexec_b64 s[0:1], s[72:73]
; %bb.400:
	v_xor_b32_e32 v27, 0x80000000, v11
	v_mov_b32_e32 v26, v10
	ds_write_b64 v22, v[26:27]
; %bb.401:
	s_or_b64 exec, exec, s[0:1]
	s_waitcnt lgkmcnt(0)
	s_barrier
	s_and_saveexec_b64 s[0:1], s[74:75]
	s_cbranch_execz .LBB39_403
; %bb.402:
	v_lshlrev_b32_e32 v26, 3, v20
	ds_read_b64 v[26:27], v26 offset:18688
	ds_read_b64 v[28:29], v22
	s_waitcnt lgkmcnt(0)
	v_fma_f64 v[10:11], -v[26:27], v[28:29], v[10:11]
.LBB39_403:
	s_or_b64 exec, exec, s[0:1]
	s_barrier
	s_and_saveexec_b64 s[0:1], s[76:77]
; %bb.404:
	v_xor_b32_e32 v27, 0x80000000, v11
	v_mov_b32_e32 v26, v10
	ds_write_b64 v22, v[26:27]
; %bb.405:
	s_or_b64 exec, exec, s[0:1]
	s_waitcnt lgkmcnt(0)
	s_barrier
	s_and_saveexec_b64 s[0:1], s[78:79]
	s_cbranch_execz .LBB39_407
; %bb.406:
	v_lshlrev_b32_e32 v26, 3, v20
	ds_read_b64 v[26:27], v26 offset:18176
	ds_read_b64 v[28:29], v22
	s_waitcnt lgkmcnt(0)
	v_fma_f64 v[10:11], -v[26:27], v[28:29], v[10:11]
.LBB39_407:
	s_or_b64 exec, exec, s[0:1]
	s_barrier
	s_and_saveexec_b64 s[0:1], s[80:81]
; %bb.408:
	v_xor_b32_e32 v27, 0x80000000, v11
	v_mov_b32_e32 v26, v10
	ds_write_b64 v22, v[26:27]
; %bb.409:
	s_or_b64 exec, exec, s[0:1]
	s_waitcnt lgkmcnt(0)
	s_barrier
	s_and_saveexec_b64 s[0:1], s[82:83]
	s_cbranch_execz .LBB39_411
; %bb.410:
	v_lshlrev_b32_e32 v26, 3, v20
	ds_read_b64 v[26:27], v26 offset:17664
	ds_read_b64 v[28:29], v22
	s_waitcnt lgkmcnt(0)
	v_fma_f64 v[10:11], -v[26:27], v[28:29], v[10:11]
.LBB39_411:
	s_or_b64 exec, exec, s[0:1]
	s_barrier
	s_and_saveexec_b64 s[0:1], s[84:85]
; %bb.412:
	v_xor_b32_e32 v27, 0x80000000, v11
	v_mov_b32_e32 v26, v10
	ds_write_b64 v22, v[26:27]
; %bb.413:
	s_or_b64 exec, exec, s[0:1]
	s_waitcnt lgkmcnt(0)
	s_barrier
	s_and_saveexec_b64 s[0:1], s[68:69]
	s_cbranch_execz .LBB39_415
; %bb.414:
	v_mov_b32_e32 v26, 0
	ds_read_b64 v[26:27], v26 offset:17152
	ds_read_b64 v[28:29], v22
	s_waitcnt lgkmcnt(0)
	v_fma_f64 v[10:11], -v[26:27], v[28:29], v[10:11]
.LBB39_415:
	s_or_b64 exec, exec, s[0:1]
	s_barrier
	s_and_saveexec_b64 s[0:1], s[68:69]
; %bb.416:
	v_xor_b32_e32 v27, 0x80000000, v11
	v_mov_b32_e32 v26, v10
	ds_write_b64 v22, v[26:27]
; %bb.417:
	s_or_b64 exec, exec, s[0:1]
	s_waitcnt lgkmcnt(0)
	s_barrier
	s_barrier
	s_and_saveexec_b64 s[0:1], s[8:9]
; %bb.418:
	v_lshlrev_b32_e32 v26, 3, v20
	v_lshl_or_b32 v26, v21, 9, v26
	ds_write_b64 v26, v[10:11] offset:20736
; %bb.419:
	s_or_b64 exec, exec, s[0:1]
	s_waitcnt lgkmcnt(0)
	s_barrier
	s_barrier
	s_and_saveexec_b64 s[14:15], s[86:87]
	s_cbranch_execz .LBB39_421
; %bb.420:
	v_lshlrev_b32_e32 v26, 9, v0
	ds_read_b64 v[10:11], v26 offset:20736
	s_movk_i32 s0, 0xfe08
	v_mad_i32_i24 v27, v0, s0, v26
	s_waitcnt lgkmcnt(0)
	ds_write_b64 v27, v[10:11] offset:16704
	ds_read_b64 v[10:11], v26 offset:20744
	s_waitcnt lgkmcnt(0)
	ds_write_b64 v27, v[10:11] offset:17216
	ds_read_b64 v[10:11], v26 offset:20752
	;; [unrolled: 3-line block ×7, first 2 shown]
	s_waitcnt lgkmcnt(0)
	ds_write_b64 v27, v[10:11] offset:20288
.LBB39_421:
	s_or_b64 exec, exec, s[14:15]
	s_waitcnt lgkmcnt(0)
	s_barrier
	s_and_saveexec_b64 s[14:15], vcc
	s_cbranch_execz .LBB39_423
; %bb.422:
	v_mov_b32_e32 v26, 0
	ds_read_b64 v[28:29], v26 offset:20272
	v_mov_b32_e32 v27, 0x3ff00000
	ds_write_b64 v26, v[26:27] offset:20280
	s_waitcnt lgkmcnt(1)
	ds_write_b128 v26, v[26:29] offset:19760
.LBB39_423:
	s_or_b64 exec, exec, s[14:15]
	v_mov_b32_e32 v10, 0
	v_mov_b32_e32 v11, 0
	s_waitcnt lgkmcnt(0)
	s_barrier
	buffer_wbinvl1_vol
	s_and_saveexec_b64 s[16:17], s[2:3]
	s_cbranch_execz .LBB39_427
; %bb.424:
	v_lshlrev_b32_e32 v26, 9, v13
	v_lshlrev_b32_e32 v10, 3, v12
	ds_read_b64 v[10:11], v10 offset:19744
	ds_read_b64 v[26:27], v26 offset:19760
	v_cmp_gt_u32_e64 s[14:15], 2, v15
	s_waitcnt lgkmcnt(0)
	v_fma_f64 v[10:11], v[10:11], v[26:27], 0
	s_and_saveexec_b64 s[20:21], s[14:15]
	s_cbranch_execz .LBB39_426
; %bb.425:
	v_lshlrev_b32_e32 v26, 3, v0
	v_mov_b32_e32 v28, 0
	ds_read_b64 v[26:27], v26 offset:20256
	ds_read_b64 v[28:29], v28 offset:20280
	s_waitcnt lgkmcnt(0)
	v_fma_f64 v[10:11], v[26:27], v[28:29], v[10:11]
.LBB39_426:
	s_or_b64 exec, exec, s[20:21]
.LBB39_427:
	s_or_b64 exec, exec, s[16:17]
	s_and_saveexec_b64 s[0:1], s[28:29]
; %bb.428:
	v_xor_b32_e32 v27, 0x80000000, v11
	v_mov_b32_e32 v26, v10
	ds_write_b64 v14, v[26:27]
; %bb.429:
	s_or_b64 exec, exec, s[0:1]
	s_waitcnt lgkmcnt(0)
	s_barrier
	s_and_saveexec_b64 s[0:1], s[26:27]
	s_cbranch_execz .LBB39_431
; %bb.430:
	v_mov_b32_e32 v26, 0
	ds_read_b64 v[26:27], v26 offset:19232
	ds_read_b64 v[28:29], v14
	s_waitcnt lgkmcnt(0)
	v_fma_f64 v[10:11], -v[26:27], v[28:29], v[10:11]
.LBB39_431:
	s_or_b64 exec, exec, s[0:1]
	s_barrier
	s_and_saveexec_b64 s[0:1], s[26:27]
; %bb.432:
	v_xor_b32_e32 v27, 0x80000000, v11
	v_mov_b32_e32 v26, v10
	ds_write_b64 v14, v[26:27]
; %bb.433:
	s_or_b64 exec, exec, s[0:1]
	s_waitcnt lgkmcnt(0)
	s_barrier
	s_barrier
	s_and_saveexec_b64 s[0:1], s[2:3]
; %bb.434:
	v_lshlrev_b32_e32 v26, 3, v12
	v_lshl_or_b32 v26, v13, 9, v26
	ds_write_b64 v26, v[10:11] offset:19744
; %bb.435:
	s_or_b64 exec, exec, s[0:1]
	s_waitcnt lgkmcnt(0)
	s_barrier
	s_barrier
	s_and_saveexec_b64 s[14:15], s[30:31]
	s_cbranch_execz .LBB39_437
; %bb.436:
	v_lshlrev_b32_e32 v26, 3, v0
	s_movk_i32 s0, 0x1f8
	v_mad_u32_u24 v27, v0, s0, v26
	ds_read_b64 v[10:11], v27 offset:19744
	s_waitcnt lgkmcnt(0)
	ds_write_b64 v26, v[10:11] offset:18736
	ds_read_b64 v[10:11], v27 offset:19752
	s_waitcnt lgkmcnt(0)
	ds_write_b64 v26, v[10:11] offset:19248
.LBB39_437:
	s_or_b64 exec, exec, s[14:15]
	s_waitcnt lgkmcnt(0)
	s_barrier
	s_and_saveexec_b64 s[14:15], vcc
	s_cbranch_execz .LBB39_439
; %bb.438:
	v_mov_b32_e32 v26, 0
	ds_read_b64 v[28:29], v26 offset:19232
	v_mov_b32_e32 v27, 0x3ff00000
	ds_write_b64 v26, v[26:27] offset:19240
	s_waitcnt lgkmcnt(1)
	ds_write_b128 v26, v[26:29] offset:18720
.LBB39_439:
	s_or_b64 exec, exec, s[14:15]
	v_mov_b32_e32 v10, 0
	v_mov_b32_e32 v11, 0
	s_waitcnt lgkmcnt(0)
	s_barrier
	buffer_wbinvl1_vol
	s_and_saveexec_b64 s[16:17], s[18:19]
	s_cbranch_execz .LBB39_445
; %bb.440:
	v_lshlrev_b32_e32 v27, 3, v16
	v_lshlrev_b32_e32 v26, 9, v17
	ds_read_b64 v[10:11], v27 offset:18688
	ds_read_b64 v[28:29], v26 offset:18720
	v_cmp_gt_u32_e64 s[14:15], 12, v15
	s_waitcnt lgkmcnt(0)
	v_fma_f64 v[10:11], v[10:11], v[28:29], 0
	s_and_saveexec_b64 s[0:1], s[14:15]
	s_cbranch_execnz .LBB39_1194
; %bb.441:
	s_or_b64 exec, exec, s[0:1]
	v_cmp_gt_u32_e64 s[14:15], 8, v15
	s_and_saveexec_b64 s[0:1], s[14:15]
	s_cbranch_execnz .LBB39_1195
.LBB39_442:
	s_or_b64 exec, exec, s[0:1]
	v_cmp_gt_u32_e64 s[14:15], 4, v15
	s_and_saveexec_b64 s[20:21], s[14:15]
	s_cbranch_execz .LBB39_444
.LBB39_443:
	v_lshlrev_b32_e32 v26, 3, v0
	v_mov_b32_e32 v28, 0
	ds_read_b64 v[26:27], v26 offset:20224
	ds_read_b64 v[28:29], v28 offset:20280
	s_waitcnt lgkmcnt(0)
	v_fma_f64 v[10:11], v[26:27], v[28:29], v[10:11]
.LBB39_444:
	s_or_b64 exec, exec, s[20:21]
.LBB39_445:
	s_or_b64 exec, exec, s[16:17]
	s_and_saveexec_b64 s[0:1], s[36:37]
; %bb.446:
	v_xor_b32_e32 v27, 0x80000000, v11
	v_mov_b32_e32 v26, v10
	ds_write_b64 v19, v[26:27]
; %bb.447:
	s_or_b64 exec, exec, s[0:1]
	s_waitcnt lgkmcnt(0)
	s_barrier
	s_and_saveexec_b64 s[0:1], s[38:39]
	s_cbranch_execz .LBB39_449
; %bb.448:
	v_lshlrev_b32_e32 v26, 3, v16
	ds_read_b64 v[26:27], v26 offset:18176
	ds_read_b64 v[28:29], v19
	s_waitcnt lgkmcnt(0)
	v_fma_f64 v[10:11], -v[26:27], v[28:29], v[10:11]
.LBB39_449:
	s_or_b64 exec, exec, s[0:1]
	s_barrier
	s_and_saveexec_b64 s[0:1], s[42:43]
; %bb.450:
	v_xor_b32_e32 v27, 0x80000000, v11
	v_mov_b32_e32 v26, v10
	ds_write_b64 v19, v[26:27]
; %bb.451:
	s_or_b64 exec, exec, s[0:1]
	s_waitcnt lgkmcnt(0)
	s_barrier
	s_and_saveexec_b64 s[0:1], s[52:53]
	s_cbranch_execz .LBB39_453
; %bb.452:
	v_lshlrev_b32_e32 v26, 3, v16
	ds_read_b64 v[26:27], v26 offset:17664
	ds_read_b64 v[28:29], v19
	s_waitcnt lgkmcnt(0)
	v_fma_f64 v[10:11], -v[26:27], v[28:29], v[10:11]
.LBB39_453:
	s_or_b64 exec, exec, s[0:1]
	s_barrier
	s_and_saveexec_b64 s[0:1], s[54:55]
; %bb.454:
	v_xor_b32_e32 v27, 0x80000000, v11
	v_mov_b32_e32 v26, v10
	ds_write_b64 v19, v[26:27]
; %bb.455:
	s_or_b64 exec, exec, s[0:1]
	s_waitcnt lgkmcnt(0)
	s_barrier
	s_and_saveexec_b64 s[0:1], s[34:35]
	s_cbranch_execz .LBB39_457
; %bb.456:
	v_mov_b32_e32 v26, 0
	ds_read_b64 v[26:27], v26 offset:17152
	ds_read_b64 v[28:29], v19
	s_waitcnt lgkmcnt(0)
	v_fma_f64 v[10:11], -v[26:27], v[28:29], v[10:11]
.LBB39_457:
	s_or_b64 exec, exec, s[0:1]
	s_barrier
	s_and_saveexec_b64 s[0:1], s[34:35]
; %bb.458:
	v_xor_b32_e32 v27, 0x80000000, v11
	v_mov_b32_e32 v26, v10
	ds_write_b64 v19, v[26:27]
; %bb.459:
	s_or_b64 exec, exec, s[0:1]
	s_waitcnt lgkmcnt(0)
	s_barrier
	s_barrier
	s_and_saveexec_b64 s[0:1], s[18:19]
; %bb.460:
	v_lshlrev_b32_e32 v26, 3, v16
	v_lshl_or_b32 v26, v17, 9, v26
	ds_write_b64 v26, v[10:11] offset:18688
; %bb.461:
	s_or_b64 exec, exec, s[0:1]
	s_waitcnt lgkmcnt(0)
	s_barrier
	s_barrier
	s_and_saveexec_b64 s[14:15], s[56:57]
	s_cbranch_execz .LBB39_463
; %bb.462:
	v_lshlrev_b32_e32 v26, 9, v0
	ds_read_b64 v[10:11], v26 offset:18688
	s_movk_i32 s0, 0xfe08
	v_mad_i32_i24 v27, v0, s0, v26
	s_waitcnt lgkmcnt(0)
	ds_write_b64 v27, v[10:11] offset:16672
	ds_read_b64 v[10:11], v26 offset:18696
	s_waitcnt lgkmcnt(0)
	ds_write_b64 v27, v[10:11] offset:17184
	ds_read_b64 v[10:11], v26 offset:18704
	;; [unrolled: 3-line block ×3, first 2 shown]
	s_waitcnt lgkmcnt(0)
	ds_write_b64 v27, v[10:11] offset:18208
.LBB39_463:
	s_or_b64 exec, exec, s[14:15]
	s_waitcnt lgkmcnt(0)
	s_barrier
	s_and_saveexec_b64 s[14:15], vcc
	s_cbranch_execz .LBB39_465
; %bb.464:
	v_mov_b32_e32 v26, 0
	ds_read_b64 v[28:29], v26 offset:18192
	v_mov_b32_e32 v27, 0x3ff00000
	ds_write_b64 v26, v[26:27] offset:18200
	s_waitcnt lgkmcnt(1)
	ds_write_b128 v26, v[26:29] offset:17680
.LBB39_465:
	s_or_b64 exec, exec, s[14:15]
	v_mov_b32_e32 v10, 0
	v_mov_b32_e32 v11, 0
	s_waitcnt lgkmcnt(0)
	s_barrier
	buffer_wbinvl1_vol
	s_and_saveexec_b64 s[16:17], s[2:3]
	s_cbranch_execz .LBB39_469
; %bb.466:
	v_lshlrev_b32_e32 v26, 9, v13
	v_lshlrev_b32_e32 v10, 3, v12
	ds_read_b64 v[10:11], v10 offset:17664
	ds_read_b64 v[26:27], v26 offset:17680
	v_cmp_gt_u32_e64 s[14:15], 2, v15
	s_waitcnt lgkmcnt(0)
	v_fma_f64 v[10:11], v[10:11], v[26:27], 0
	s_and_saveexec_b64 s[20:21], s[14:15]
	s_cbranch_execz .LBB39_468
; %bb.467:
	v_lshlrev_b32_e32 v26, 3, v0
	v_mov_b32_e32 v28, 0
	ds_read_b64 v[26:27], v26 offset:18176
	ds_read_b64 v[28:29], v28 offset:18200
	s_waitcnt lgkmcnt(0)
	v_fma_f64 v[10:11], v[26:27], v[28:29], v[10:11]
.LBB39_468:
	s_or_b64 exec, exec, s[20:21]
.LBB39_469:
	s_or_b64 exec, exec, s[16:17]
	s_and_saveexec_b64 s[0:1], s[28:29]
; %bb.470:
	v_xor_b32_e32 v27, 0x80000000, v11
	v_mov_b32_e32 v26, v10
	ds_write_b64 v14, v[26:27]
; %bb.471:
	s_or_b64 exec, exec, s[0:1]
	s_waitcnt lgkmcnt(0)
	s_barrier
	s_and_saveexec_b64 s[0:1], s[26:27]
	s_cbranch_execz .LBB39_473
; %bb.472:
	v_mov_b32_e32 v26, 0
	ds_read_b64 v[26:27], v26 offset:17152
	ds_read_b64 v[28:29], v14
	s_waitcnt lgkmcnt(0)
	v_fma_f64 v[10:11], -v[26:27], v[28:29], v[10:11]
.LBB39_473:
	s_or_b64 exec, exec, s[0:1]
	s_barrier
	s_and_saveexec_b64 s[0:1], s[26:27]
; %bb.474:
	v_xor_b32_e32 v27, 0x80000000, v11
	v_mov_b32_e32 v26, v10
	ds_write_b64 v14, v[26:27]
; %bb.475:
	s_or_b64 exec, exec, s[0:1]
	s_waitcnt lgkmcnt(0)
	s_barrier
	s_barrier
	s_and_saveexec_b64 s[0:1], s[2:3]
; %bb.476:
	v_lshlrev_b32_e32 v26, 3, v12
	v_lshl_or_b32 v26, v13, 9, v26
	ds_write_b64 v26, v[10:11] offset:17664
; %bb.477:
	s_or_b64 exec, exec, s[0:1]
	s_waitcnt lgkmcnt(0)
	s_barrier
	s_barrier
	s_and_saveexec_b64 s[14:15], s[30:31]
	s_cbranch_execz .LBB39_479
; %bb.478:
	v_lshlrev_b32_e32 v26, 3, v0
	s_movk_i32 s0, 0x1f8
	v_mad_u32_u24 v27, v0, s0, v26
	ds_read_b64 v[10:11], v27 offset:17664
	s_waitcnt lgkmcnt(0)
	ds_write_b64 v26, v[10:11] offset:16656
	ds_read_b64 v[10:11], v27 offset:17672
	s_waitcnt lgkmcnt(0)
	ds_write_b64 v26, v[10:11] offset:17168
.LBB39_479:
	s_or_b64 exec, exec, s[14:15]
	s_waitcnt lgkmcnt(0)
	s_barrier
	s_and_saveexec_b64 s[14:15], vcc
	s_cbranch_execz .LBB39_481
; %bb.480:
	v_mov_b32_e32 v26, 0
	ds_read_b64 v[28:29], v26 offset:17152
	v_mov_b32_e32 v27, 0x3ff00000
	ds_write_b64 v26, v[26:27] offset:17160
	s_waitcnt lgkmcnt(1)
	ds_write_b128 v26, v[26:29] offset:16640
.LBB39_481:
	s_or_b64 exec, exec, s[14:15]
	s_movk_i32 s0, 0x3ff
	v_and_b32_e32 v28, 31, v0
	v_lshrrev_b32_e32 v29, 5, v15
	v_cmp_lt_u32_e64 s[16:17], s0, v15
	s_movk_i32 s0, 0x400
	v_mov_b32_e32 v10, 0
	v_sub_u32_e32 v26, 31, v29
	v_cmp_gt_u32_e64 s[14:15], s0, v15
	v_mov_b32_e32 v11, 0
	v_lshlrev_b32_e32 v27, 3, v28
	s_waitcnt lgkmcnt(0)
	s_barrier
	buffer_wbinvl1_vol
	s_and_saveexec_b64 s[94:95], s[14:15]
	s_cbranch_execz .LBB39_543
; %bb.482:
	v_lshlrev_b32_e32 v30, 9, v26
	ds_read_b64 v[10:11], v27 offset:16384
	ds_read_b64 v[31:32], v30 offset:16640
	s_movk_i32 s0, 0x3e0
	v_cmp_gt_u32_e64 s[20:21], s0, v15
	s_waitcnt lgkmcnt(0)
	v_fma_f64 v[10:11], v[10:11], v[31:32], 0
	s_and_saveexec_b64 s[0:1], s[20:21]
	s_cbranch_execz .LBB39_484
; %bb.483:
	ds_read_b64 v[31:32], v27 offset:16896
	ds_read_b64 v[33:34], v30 offset:16648
	s_waitcnt lgkmcnt(0)
	v_fma_f64 v[10:11], v[31:32], v[33:34], v[10:11]
.LBB39_484:
	s_or_b64 exec, exec, s[0:1]
	s_movk_i32 s0, 0x3c0
	v_cmp_gt_u32_e64 s[20:21], s0, v15
	s_and_saveexec_b64 s[0:1], s[20:21]
	s_cbranch_execz .LBB39_486
; %bb.485:
	ds_read_b64 v[31:32], v27 offset:17408
	ds_read_b64 v[33:34], v30 offset:16656
	s_waitcnt lgkmcnt(0)
	v_fma_f64 v[10:11], v[31:32], v[33:34], v[10:11]
.LBB39_486:
	s_or_b64 exec, exec, s[0:1]
	s_movk_i32 s0, 0x3a0
	v_cmp_gt_u32_e64 s[20:21], s0, v15
	;; [unrolled: 11-line block ×22, first 2 shown]
	s_and_saveexec_b64 s[0:1], s[20:21]
	s_cbranch_execz .LBB39_528
; %bb.527:
	ds_read_b64 v[31:32], v27 offset:28160
	ds_read_b64 v[33:34], v30 offset:16824
	s_waitcnt lgkmcnt(0)
	v_fma_f64 v[10:11], v[31:32], v[33:34], v[10:11]
.LBB39_528:
	s_or_b64 exec, exec, s[0:1]
	s_and_saveexec_b64 s[0:1], s[10:11]
	s_cbranch_execz .LBB39_530
; %bb.529:
	ds_read_b64 v[31:32], v27 offset:28672
	ds_read_b64 v[33:34], v30 offset:16832
	s_waitcnt lgkmcnt(0)
	v_fma_f64 v[10:11], v[31:32], v[33:34], v[10:11]
.LBB39_530:
	s_or_b64 exec, exec, s[0:1]
	s_movk_i32 s0, 0xe0
	v_cmp_gt_u32_e64 s[20:21], s0, v15
	s_and_saveexec_b64 s[0:1], s[20:21]
	s_cbranch_execz .LBB39_532
; %bb.531:
	ds_read_b64 v[31:32], v27 offset:29184
	ds_read_b64 v[33:34], v30 offset:16840
	s_waitcnt lgkmcnt(0)
	v_fma_f64 v[10:11], v[31:32], v[33:34], v[10:11]
.LBB39_532:
	s_or_b64 exec, exec, s[0:1]
	s_movk_i32 s0, 0xc0
	v_cmp_gt_u32_e64 s[20:21], s0, v15
	;; [unrolled: 11-line block ×5, first 2 shown]
	s_and_saveexec_b64 s[0:1], s[20:21]
	s_cbranch_execnz .LBB39_1196
; %bb.539:
	s_or_b64 exec, exec, s[0:1]
	s_and_saveexec_b64 s[0:1], s[8:9]
	s_cbranch_execnz .LBB39_1197
.LBB39_540:
	s_or_b64 exec, exec, s[0:1]
	v_cmp_gt_u32_e64 s[20:21], 32, v15
	s_and_saveexec_b64 s[0:1], s[20:21]
	s_cbranch_execz .LBB39_542
.LBB39_541:
	v_lshlrev_b32_e32 v30, 3, v0
	v_mov_b32_e32 v32, 0
	ds_read_b64 v[30:31], v30 offset:32256
	ds_read_b64 v[32:33], v32 offset:32760
	s_waitcnt lgkmcnt(0)
	v_fma_f64 v[10:11], v[30:31], v[32:33], v[10:11]
.LBB39_542:
	s_or_b64 exec, exec, s[0:1]
.LBB39_543:
	s_or_b64 exec, exec, s[94:95]
	v_mov_b32_e32 v30, 0x8000
	v_cmp_eq_u32_e64 s[20:21], 31, v28
	s_xor_b64 s[94:95], s[16:17], -1
	v_lshl_add_u32 v29, v29, 3, v30
	s_and_b64 s[16:17], s[94:95], s[20:21]
	s_and_saveexec_b64 s[0:1], s[16:17]
; %bb.544:
	v_xor_b32_e32 v31, 0x80000000, v11
	v_mov_b32_e32 v30, v10
	ds_write_b64 v29, v[30:31]
; %bb.545:
	s_or_b64 exec, exec, s[0:1]
	v_cmp_ne_u32_e64 s[16:17], 31, v28
	s_and_b64 s[16:17], s[94:95], s[16:17]
	s_waitcnt lgkmcnt(0)
	s_barrier
	s_and_saveexec_b64 s[0:1], s[16:17]
	s_cbranch_execz .LBB39_547
; %bb.546:
	ds_read_b64 v[30:31], v27 offset:15872
	ds_read_b64 v[32:33], v29
	s_waitcnt lgkmcnt(0)
	v_fma_f64 v[10:11], -v[30:31], v[32:33], v[10:11]
.LBB39_547:
	s_or_b64 exec, exec, s[0:1]
	v_cmp_eq_u32_e64 s[16:17], 30, v28
	s_and_b64 s[16:17], s[94:95], s[16:17]
	s_barrier
	s_and_saveexec_b64 s[0:1], s[16:17]
; %bb.548:
	v_xor_b32_e32 v31, 0x80000000, v11
	v_mov_b32_e32 v30, v10
	ds_write_b64 v29, v[30:31]
; %bb.549:
	s_or_b64 exec, exec, s[0:1]
	v_cmp_gt_u32_e64 s[16:17], 30, v28
	s_and_b64 s[16:17], s[94:95], s[16:17]
	s_waitcnt lgkmcnt(0)
	s_barrier
	s_and_saveexec_b64 s[0:1], s[16:17]
	s_cbranch_execz .LBB39_551
; %bb.550:
	ds_read_b64 v[30:31], v27 offset:15360
	ds_read_b64 v[32:33], v29
	s_waitcnt lgkmcnt(0)
	v_fma_f64 v[10:11], -v[30:31], v[32:33], v[10:11]
.LBB39_551:
	s_or_b64 exec, exec, s[0:1]
	v_cmp_eq_u32_e64 s[16:17], 29, v28
	s_and_b64 s[16:17], s[94:95], s[16:17]
	s_barrier
	s_and_saveexec_b64 s[0:1], s[16:17]
; %bb.552:
	v_xor_b32_e32 v31, 0x80000000, v11
	v_mov_b32_e32 v30, v10
	ds_write_b64 v29, v[30:31]
; %bb.553:
	s_or_b64 exec, exec, s[0:1]
	v_cmp_gt_u32_e64 s[16:17], 29, v28
	s_and_b64 s[16:17], s[94:95], s[16:17]
	s_waitcnt lgkmcnt(0)
	s_barrier
	s_and_saveexec_b64 s[0:1], s[16:17]
	s_cbranch_execz .LBB39_555
; %bb.554:
	ds_read_b64 v[30:31], v27 offset:14848
	ds_read_b64 v[32:33], v29
	s_waitcnt lgkmcnt(0)
	v_fma_f64 v[10:11], -v[30:31], v[32:33], v[10:11]
.LBB39_555:
	s_or_b64 exec, exec, s[0:1]
	v_cmp_eq_u32_e64 s[16:17], 28, v28
	s_and_b64 s[16:17], s[94:95], s[16:17]
	s_barrier
	s_and_saveexec_b64 s[0:1], s[16:17]
; %bb.556:
	v_xor_b32_e32 v31, 0x80000000, v11
	v_mov_b32_e32 v30, v10
	ds_write_b64 v29, v[30:31]
; %bb.557:
	s_or_b64 exec, exec, s[0:1]
	v_cmp_gt_u32_e64 s[16:17], 28, v28
	s_and_b64 s[16:17], s[94:95], s[16:17]
	s_waitcnt lgkmcnt(0)
	s_barrier
	s_and_saveexec_b64 s[0:1], s[16:17]
	s_cbranch_execz .LBB39_559
; %bb.558:
	ds_read_b64 v[30:31], v27 offset:14336
	ds_read_b64 v[32:33], v29
	s_waitcnt lgkmcnt(0)
	v_fma_f64 v[10:11], -v[30:31], v[32:33], v[10:11]
.LBB39_559:
	s_or_b64 exec, exec, s[0:1]
	v_cmp_eq_u32_e64 s[16:17], 27, v28
	s_and_b64 s[16:17], s[94:95], s[16:17]
	s_barrier
	s_and_saveexec_b64 s[0:1], s[16:17]
; %bb.560:
	v_xor_b32_e32 v31, 0x80000000, v11
	v_mov_b32_e32 v30, v10
	ds_write_b64 v29, v[30:31]
; %bb.561:
	s_or_b64 exec, exec, s[0:1]
	v_cmp_gt_u32_e64 s[16:17], 27, v28
	s_and_b64 s[16:17], s[94:95], s[16:17]
	s_waitcnt lgkmcnt(0)
	s_barrier
	s_and_saveexec_b64 s[0:1], s[16:17]
	s_cbranch_execz .LBB39_563
; %bb.562:
	ds_read_b64 v[30:31], v27 offset:13824
	ds_read_b64 v[32:33], v29
	s_waitcnt lgkmcnt(0)
	v_fma_f64 v[10:11], -v[30:31], v[32:33], v[10:11]
.LBB39_563:
	s_or_b64 exec, exec, s[0:1]
	v_cmp_eq_u32_e64 s[16:17], 26, v28
	s_and_b64 s[16:17], s[94:95], s[16:17]
	s_barrier
	s_and_saveexec_b64 s[0:1], s[16:17]
; %bb.564:
	v_xor_b32_e32 v31, 0x80000000, v11
	v_mov_b32_e32 v30, v10
	ds_write_b64 v29, v[30:31]
; %bb.565:
	s_or_b64 exec, exec, s[0:1]
	v_cmp_gt_u32_e64 s[16:17], 26, v28
	s_and_b64 s[16:17], s[94:95], s[16:17]
	s_waitcnt lgkmcnt(0)
	s_barrier
	s_and_saveexec_b64 s[0:1], s[16:17]
	s_cbranch_execz .LBB39_567
; %bb.566:
	ds_read_b64 v[30:31], v27 offset:13312
	ds_read_b64 v[32:33], v29
	s_waitcnt lgkmcnt(0)
	v_fma_f64 v[10:11], -v[30:31], v[32:33], v[10:11]
.LBB39_567:
	s_or_b64 exec, exec, s[0:1]
	v_cmp_eq_u32_e64 s[16:17], 25, v28
	s_and_b64 s[16:17], s[94:95], s[16:17]
	s_barrier
	s_and_saveexec_b64 s[0:1], s[16:17]
; %bb.568:
	v_xor_b32_e32 v31, 0x80000000, v11
	v_mov_b32_e32 v30, v10
	ds_write_b64 v29, v[30:31]
; %bb.569:
	s_or_b64 exec, exec, s[0:1]
	v_cmp_gt_u32_e64 s[16:17], 25, v28
	s_and_b64 s[16:17], s[94:95], s[16:17]
	s_waitcnt lgkmcnt(0)
	s_barrier
	s_and_saveexec_b64 s[0:1], s[16:17]
	s_cbranch_execz .LBB39_571
; %bb.570:
	ds_read_b64 v[30:31], v27 offset:12800
	ds_read_b64 v[32:33], v29
	s_waitcnt lgkmcnt(0)
	v_fma_f64 v[10:11], -v[30:31], v[32:33], v[10:11]
.LBB39_571:
	s_or_b64 exec, exec, s[0:1]
	v_cmp_eq_u32_e64 s[16:17], 24, v28
	s_and_b64 s[16:17], s[94:95], s[16:17]
	s_barrier
	s_and_saveexec_b64 s[0:1], s[16:17]
; %bb.572:
	v_xor_b32_e32 v31, 0x80000000, v11
	v_mov_b32_e32 v30, v10
	ds_write_b64 v29, v[30:31]
; %bb.573:
	s_or_b64 exec, exec, s[0:1]
	v_cmp_gt_u32_e64 s[16:17], 24, v28
	s_and_b64 s[16:17], s[94:95], s[16:17]
	s_waitcnt lgkmcnt(0)
	s_barrier
	s_and_saveexec_b64 s[0:1], s[16:17]
	s_cbranch_execz .LBB39_575
; %bb.574:
	ds_read_b64 v[30:31], v27 offset:12288
	ds_read_b64 v[32:33], v29
	s_waitcnt lgkmcnt(0)
	v_fma_f64 v[10:11], -v[30:31], v[32:33], v[10:11]
.LBB39_575:
	s_or_b64 exec, exec, s[0:1]
	v_cmp_eq_u32_e64 s[16:17], 23, v28
	s_and_b64 s[16:17], s[94:95], s[16:17]
	s_barrier
	s_and_saveexec_b64 s[0:1], s[16:17]
; %bb.576:
	v_xor_b32_e32 v31, 0x80000000, v11
	v_mov_b32_e32 v30, v10
	ds_write_b64 v29, v[30:31]
; %bb.577:
	s_or_b64 exec, exec, s[0:1]
	v_cmp_gt_u32_e64 s[16:17], 23, v28
	s_and_b64 s[16:17], s[94:95], s[16:17]
	s_waitcnt lgkmcnt(0)
	s_barrier
	s_and_saveexec_b64 s[0:1], s[16:17]
	s_cbranch_execz .LBB39_579
; %bb.578:
	ds_read_b64 v[30:31], v27 offset:11776
	ds_read_b64 v[32:33], v29
	s_waitcnt lgkmcnt(0)
	v_fma_f64 v[10:11], -v[30:31], v[32:33], v[10:11]
.LBB39_579:
	s_or_b64 exec, exec, s[0:1]
	v_cmp_eq_u32_e64 s[16:17], 22, v28
	s_and_b64 s[16:17], s[94:95], s[16:17]
	s_barrier
	s_and_saveexec_b64 s[0:1], s[16:17]
; %bb.580:
	v_xor_b32_e32 v31, 0x80000000, v11
	v_mov_b32_e32 v30, v10
	ds_write_b64 v29, v[30:31]
; %bb.581:
	s_or_b64 exec, exec, s[0:1]
	v_cmp_gt_u32_e64 s[16:17], 22, v28
	s_and_b64 s[16:17], s[94:95], s[16:17]
	s_waitcnt lgkmcnt(0)
	s_barrier
	s_and_saveexec_b64 s[0:1], s[16:17]
	s_cbranch_execz .LBB39_583
; %bb.582:
	ds_read_b64 v[30:31], v27 offset:11264
	ds_read_b64 v[32:33], v29
	s_waitcnt lgkmcnt(0)
	v_fma_f64 v[10:11], -v[30:31], v[32:33], v[10:11]
.LBB39_583:
	s_or_b64 exec, exec, s[0:1]
	v_cmp_eq_u32_e64 s[16:17], 21, v28
	s_and_b64 s[16:17], s[94:95], s[16:17]
	s_barrier
	s_and_saveexec_b64 s[0:1], s[16:17]
; %bb.584:
	v_xor_b32_e32 v31, 0x80000000, v11
	v_mov_b32_e32 v30, v10
	ds_write_b64 v29, v[30:31]
; %bb.585:
	s_or_b64 exec, exec, s[0:1]
	v_cmp_gt_u32_e64 s[16:17], 21, v28
	s_and_b64 s[16:17], s[94:95], s[16:17]
	s_waitcnt lgkmcnt(0)
	s_barrier
	s_and_saveexec_b64 s[0:1], s[16:17]
	s_cbranch_execz .LBB39_587
; %bb.586:
	ds_read_b64 v[30:31], v27 offset:10752
	ds_read_b64 v[32:33], v29
	s_waitcnt lgkmcnt(0)
	v_fma_f64 v[10:11], -v[30:31], v[32:33], v[10:11]
.LBB39_587:
	s_or_b64 exec, exec, s[0:1]
	v_cmp_eq_u32_e64 s[16:17], 20, v28
	s_and_b64 s[16:17], s[94:95], s[16:17]
	s_barrier
	s_and_saveexec_b64 s[0:1], s[16:17]
; %bb.588:
	v_xor_b32_e32 v31, 0x80000000, v11
	v_mov_b32_e32 v30, v10
	ds_write_b64 v29, v[30:31]
; %bb.589:
	s_or_b64 exec, exec, s[0:1]
	v_cmp_gt_u32_e64 s[16:17], 20, v28
	s_and_b64 s[16:17], s[94:95], s[16:17]
	s_waitcnt lgkmcnt(0)
	s_barrier
	s_and_saveexec_b64 s[0:1], s[16:17]
	s_cbranch_execz .LBB39_591
; %bb.590:
	ds_read_b64 v[30:31], v27 offset:10240
	ds_read_b64 v[32:33], v29
	s_waitcnt lgkmcnt(0)
	v_fma_f64 v[10:11], -v[30:31], v[32:33], v[10:11]
.LBB39_591:
	s_or_b64 exec, exec, s[0:1]
	v_cmp_eq_u32_e64 s[16:17], 19, v28
	s_and_b64 s[16:17], s[94:95], s[16:17]
	s_barrier
	s_and_saveexec_b64 s[0:1], s[16:17]
; %bb.592:
	v_xor_b32_e32 v31, 0x80000000, v11
	v_mov_b32_e32 v30, v10
	ds_write_b64 v29, v[30:31]
; %bb.593:
	s_or_b64 exec, exec, s[0:1]
	v_cmp_gt_u32_e64 s[16:17], 19, v28
	s_and_b64 s[16:17], s[94:95], s[16:17]
	s_waitcnt lgkmcnt(0)
	s_barrier
	s_and_saveexec_b64 s[0:1], s[16:17]
	s_cbranch_execz .LBB39_595
; %bb.594:
	ds_read_b64 v[30:31], v27 offset:9728
	ds_read_b64 v[32:33], v29
	s_waitcnt lgkmcnt(0)
	v_fma_f64 v[10:11], -v[30:31], v[32:33], v[10:11]
.LBB39_595:
	s_or_b64 exec, exec, s[0:1]
	v_cmp_eq_u32_e64 s[16:17], 18, v28
	s_and_b64 s[16:17], s[94:95], s[16:17]
	s_barrier
	s_and_saveexec_b64 s[0:1], s[16:17]
; %bb.596:
	v_xor_b32_e32 v31, 0x80000000, v11
	v_mov_b32_e32 v30, v10
	ds_write_b64 v29, v[30:31]
; %bb.597:
	s_or_b64 exec, exec, s[0:1]
	v_cmp_gt_u32_e64 s[16:17], 18, v28
	s_and_b64 s[16:17], s[94:95], s[16:17]
	s_waitcnt lgkmcnt(0)
	s_barrier
	s_and_saveexec_b64 s[0:1], s[16:17]
	s_cbranch_execz .LBB39_599
; %bb.598:
	ds_read_b64 v[30:31], v27 offset:9216
	ds_read_b64 v[32:33], v29
	s_waitcnt lgkmcnt(0)
	v_fma_f64 v[10:11], -v[30:31], v[32:33], v[10:11]
.LBB39_599:
	s_or_b64 exec, exec, s[0:1]
	v_cmp_eq_u32_e64 s[16:17], 17, v28
	s_and_b64 s[16:17], s[94:95], s[16:17]
	s_barrier
	s_and_saveexec_b64 s[0:1], s[16:17]
; %bb.600:
	v_xor_b32_e32 v31, 0x80000000, v11
	v_mov_b32_e32 v30, v10
	ds_write_b64 v29, v[30:31]
; %bb.601:
	s_or_b64 exec, exec, s[0:1]
	v_cmp_gt_u32_e64 s[16:17], 17, v28
	s_and_b64 s[16:17], s[94:95], s[16:17]
	s_waitcnt lgkmcnt(0)
	s_barrier
	s_and_saveexec_b64 s[0:1], s[16:17]
	s_cbranch_execz .LBB39_603
; %bb.602:
	ds_read_b64 v[30:31], v27 offset:8704
	ds_read_b64 v[32:33], v29
	s_waitcnt lgkmcnt(0)
	v_fma_f64 v[10:11], -v[30:31], v[32:33], v[10:11]
.LBB39_603:
	s_or_b64 exec, exec, s[0:1]
	v_cmp_eq_u32_e64 s[16:17], 16, v28
	s_and_b64 s[16:17], s[94:95], s[16:17]
	s_barrier
	s_and_saveexec_b64 s[0:1], s[16:17]
; %bb.604:
	v_xor_b32_e32 v31, 0x80000000, v11
	v_mov_b32_e32 v30, v10
	ds_write_b64 v29, v[30:31]
; %bb.605:
	s_or_b64 exec, exec, s[0:1]
	v_cmp_gt_u32_e64 s[16:17], 16, v28
	s_and_b64 s[16:17], s[94:95], s[16:17]
	s_waitcnt lgkmcnt(0)
	s_barrier
	s_and_saveexec_b64 s[0:1], s[16:17]
	s_cbranch_execz .LBB39_607
; %bb.606:
	ds_read_b64 v[30:31], v27 offset:8192
	ds_read_b64 v[32:33], v29
	s_waitcnt lgkmcnt(0)
	v_fma_f64 v[10:11], -v[30:31], v[32:33], v[10:11]
.LBB39_607:
	s_or_b64 exec, exec, s[0:1]
	v_cmp_eq_u32_e64 s[16:17], 15, v28
	s_and_b64 s[16:17], s[94:95], s[16:17]
	s_barrier
	s_and_saveexec_b64 s[0:1], s[16:17]
; %bb.608:
	v_xor_b32_e32 v31, 0x80000000, v11
	v_mov_b32_e32 v30, v10
	ds_write_b64 v29, v[30:31]
; %bb.609:
	s_or_b64 exec, exec, s[0:1]
	v_cmp_gt_u32_e64 s[16:17], 15, v28
	s_and_b64 s[16:17], s[94:95], s[16:17]
	s_waitcnt lgkmcnt(0)
	s_barrier
	s_and_saveexec_b64 s[0:1], s[16:17]
	s_cbranch_execz .LBB39_611
; %bb.610:
	ds_read_b64 v[30:31], v27 offset:7680
	ds_read_b64 v[32:33], v29
	s_waitcnt lgkmcnt(0)
	v_fma_f64 v[10:11], -v[30:31], v[32:33], v[10:11]
.LBB39_611:
	s_or_b64 exec, exec, s[0:1]
	v_cmp_eq_u32_e64 s[16:17], 14, v28
	s_and_b64 s[16:17], s[94:95], s[16:17]
	s_barrier
	s_and_saveexec_b64 s[0:1], s[16:17]
; %bb.612:
	v_xor_b32_e32 v31, 0x80000000, v11
	v_mov_b32_e32 v30, v10
	ds_write_b64 v29, v[30:31]
; %bb.613:
	s_or_b64 exec, exec, s[0:1]
	v_cmp_gt_u32_e64 s[16:17], 14, v28
	s_and_b64 s[16:17], s[94:95], s[16:17]
	s_waitcnt lgkmcnt(0)
	s_barrier
	s_and_saveexec_b64 s[0:1], s[16:17]
	s_cbranch_execz .LBB39_615
; %bb.614:
	ds_read_b64 v[30:31], v27 offset:7168
	ds_read_b64 v[32:33], v29
	s_waitcnt lgkmcnt(0)
	v_fma_f64 v[10:11], -v[30:31], v[32:33], v[10:11]
.LBB39_615:
	s_or_b64 exec, exec, s[0:1]
	v_cmp_eq_u32_e64 s[16:17], 13, v28
	s_and_b64 s[16:17], s[94:95], s[16:17]
	s_barrier
	s_and_saveexec_b64 s[0:1], s[16:17]
; %bb.616:
	v_xor_b32_e32 v31, 0x80000000, v11
	v_mov_b32_e32 v30, v10
	ds_write_b64 v29, v[30:31]
; %bb.617:
	s_or_b64 exec, exec, s[0:1]
	v_cmp_gt_u32_e64 s[16:17], 13, v28
	s_and_b64 s[16:17], s[94:95], s[16:17]
	s_waitcnt lgkmcnt(0)
	s_barrier
	s_and_saveexec_b64 s[0:1], s[16:17]
	s_cbranch_execz .LBB39_619
; %bb.618:
	ds_read_b64 v[30:31], v27 offset:6656
	ds_read_b64 v[32:33], v29
	s_waitcnt lgkmcnt(0)
	v_fma_f64 v[10:11], -v[30:31], v[32:33], v[10:11]
.LBB39_619:
	s_or_b64 exec, exec, s[0:1]
	v_cmp_eq_u32_e64 s[16:17], 12, v28
	s_and_b64 s[16:17], s[94:95], s[16:17]
	s_barrier
	s_and_saveexec_b64 s[0:1], s[16:17]
; %bb.620:
	v_xor_b32_e32 v31, 0x80000000, v11
	v_mov_b32_e32 v30, v10
	ds_write_b64 v29, v[30:31]
; %bb.621:
	s_or_b64 exec, exec, s[0:1]
	v_cmp_gt_u32_e64 s[16:17], 12, v28
	s_and_b64 s[16:17], s[94:95], s[16:17]
	s_waitcnt lgkmcnt(0)
	s_barrier
	s_and_saveexec_b64 s[0:1], s[16:17]
	s_cbranch_execz .LBB39_623
; %bb.622:
	ds_read_b64 v[30:31], v27 offset:6144
	ds_read_b64 v[32:33], v29
	s_waitcnt lgkmcnt(0)
	v_fma_f64 v[10:11], -v[30:31], v[32:33], v[10:11]
.LBB39_623:
	s_or_b64 exec, exec, s[0:1]
	v_cmp_eq_u32_e64 s[16:17], 11, v28
	s_and_b64 s[16:17], s[94:95], s[16:17]
	s_barrier
	s_and_saveexec_b64 s[0:1], s[16:17]
; %bb.624:
	v_xor_b32_e32 v31, 0x80000000, v11
	v_mov_b32_e32 v30, v10
	ds_write_b64 v29, v[30:31]
; %bb.625:
	s_or_b64 exec, exec, s[0:1]
	v_cmp_gt_u32_e64 s[16:17], 11, v28
	s_and_b64 s[16:17], s[94:95], s[16:17]
	s_waitcnt lgkmcnt(0)
	s_barrier
	s_and_saveexec_b64 s[0:1], s[16:17]
	s_cbranch_execz .LBB39_627
; %bb.626:
	ds_read_b64 v[30:31], v27 offset:5632
	ds_read_b64 v[32:33], v29
	s_waitcnt lgkmcnt(0)
	v_fma_f64 v[10:11], -v[30:31], v[32:33], v[10:11]
.LBB39_627:
	s_or_b64 exec, exec, s[0:1]
	v_cmp_eq_u32_e64 s[16:17], 10, v28
	s_and_b64 s[16:17], s[94:95], s[16:17]
	s_barrier
	s_and_saveexec_b64 s[0:1], s[16:17]
; %bb.628:
	v_xor_b32_e32 v31, 0x80000000, v11
	v_mov_b32_e32 v30, v10
	ds_write_b64 v29, v[30:31]
; %bb.629:
	s_or_b64 exec, exec, s[0:1]
	v_cmp_gt_u32_e64 s[16:17], 10, v28
	s_and_b64 s[16:17], s[94:95], s[16:17]
	s_waitcnt lgkmcnt(0)
	s_barrier
	s_and_saveexec_b64 s[0:1], s[16:17]
	s_cbranch_execz .LBB39_631
; %bb.630:
	ds_read_b64 v[30:31], v27 offset:5120
	ds_read_b64 v[32:33], v29
	s_waitcnt lgkmcnt(0)
	v_fma_f64 v[10:11], -v[30:31], v[32:33], v[10:11]
.LBB39_631:
	s_or_b64 exec, exec, s[0:1]
	v_cmp_eq_u32_e64 s[16:17], 9, v28
	s_and_b64 s[16:17], s[94:95], s[16:17]
	s_barrier
	s_and_saveexec_b64 s[0:1], s[16:17]
; %bb.632:
	v_xor_b32_e32 v31, 0x80000000, v11
	v_mov_b32_e32 v30, v10
	ds_write_b64 v29, v[30:31]
; %bb.633:
	s_or_b64 exec, exec, s[0:1]
	v_cmp_gt_u32_e64 s[16:17], 9, v28
	s_and_b64 s[16:17], s[94:95], s[16:17]
	s_waitcnt lgkmcnt(0)
	s_barrier
	s_and_saveexec_b64 s[0:1], s[16:17]
	s_cbranch_execz .LBB39_635
; %bb.634:
	ds_read_b64 v[30:31], v27 offset:4608
	ds_read_b64 v[32:33], v29
	s_waitcnt lgkmcnt(0)
	v_fma_f64 v[10:11], -v[30:31], v[32:33], v[10:11]
.LBB39_635:
	s_or_b64 exec, exec, s[0:1]
	v_cmp_eq_u32_e64 s[16:17], 8, v28
	s_and_b64 s[16:17], s[94:95], s[16:17]
	s_barrier
	s_and_saveexec_b64 s[0:1], s[16:17]
; %bb.636:
	v_xor_b32_e32 v31, 0x80000000, v11
	v_mov_b32_e32 v30, v10
	ds_write_b64 v29, v[30:31]
; %bb.637:
	s_or_b64 exec, exec, s[0:1]
	v_cmp_gt_u32_e64 s[16:17], 8, v28
	s_and_b64 s[16:17], s[94:95], s[16:17]
	s_waitcnt lgkmcnt(0)
	s_barrier
	s_and_saveexec_b64 s[0:1], s[16:17]
	s_cbranch_execz .LBB39_639
; %bb.638:
	ds_read_b64 v[30:31], v27 offset:4096
	ds_read_b64 v[32:33], v29
	s_waitcnt lgkmcnt(0)
	v_fma_f64 v[10:11], -v[30:31], v[32:33], v[10:11]
.LBB39_639:
	s_or_b64 exec, exec, s[0:1]
	v_cmp_eq_u32_e64 s[16:17], 7, v28
	s_and_b64 s[16:17], s[94:95], s[16:17]
	s_barrier
	s_and_saveexec_b64 s[0:1], s[16:17]
; %bb.640:
	v_xor_b32_e32 v31, 0x80000000, v11
	v_mov_b32_e32 v30, v10
	ds_write_b64 v29, v[30:31]
; %bb.641:
	s_or_b64 exec, exec, s[0:1]
	v_cmp_gt_u32_e64 s[16:17], 7, v28
	s_and_b64 s[16:17], s[94:95], s[16:17]
	s_waitcnt lgkmcnt(0)
	s_barrier
	s_and_saveexec_b64 s[0:1], s[16:17]
	s_cbranch_execz .LBB39_643
; %bb.642:
	ds_read_b64 v[30:31], v27 offset:3584
	ds_read_b64 v[32:33], v29
	s_waitcnt lgkmcnt(0)
	v_fma_f64 v[10:11], -v[30:31], v[32:33], v[10:11]
.LBB39_643:
	s_or_b64 exec, exec, s[0:1]
	v_cmp_eq_u32_e64 s[16:17], 6, v28
	s_and_b64 s[16:17], s[94:95], s[16:17]
	s_barrier
	s_and_saveexec_b64 s[0:1], s[16:17]
; %bb.644:
	v_xor_b32_e32 v31, 0x80000000, v11
	v_mov_b32_e32 v30, v10
	ds_write_b64 v29, v[30:31]
; %bb.645:
	s_or_b64 exec, exec, s[0:1]
	v_cmp_gt_u32_e64 s[16:17], 6, v28
	s_and_b64 s[16:17], s[94:95], s[16:17]
	s_waitcnt lgkmcnt(0)
	s_barrier
	s_and_saveexec_b64 s[0:1], s[16:17]
	s_cbranch_execz .LBB39_647
; %bb.646:
	ds_read_b64 v[30:31], v27 offset:3072
	ds_read_b64 v[32:33], v29
	s_waitcnt lgkmcnt(0)
	v_fma_f64 v[10:11], -v[30:31], v[32:33], v[10:11]
.LBB39_647:
	s_or_b64 exec, exec, s[0:1]
	v_cmp_eq_u32_e64 s[16:17], 5, v28
	s_and_b64 s[16:17], s[94:95], s[16:17]
	s_barrier
	s_and_saveexec_b64 s[0:1], s[16:17]
; %bb.648:
	v_xor_b32_e32 v31, 0x80000000, v11
	v_mov_b32_e32 v30, v10
	ds_write_b64 v29, v[30:31]
; %bb.649:
	s_or_b64 exec, exec, s[0:1]
	v_cmp_gt_u32_e64 s[16:17], 5, v28
	s_and_b64 s[16:17], s[94:95], s[16:17]
	s_waitcnt lgkmcnt(0)
	s_barrier
	s_and_saveexec_b64 s[0:1], s[16:17]
	s_cbranch_execz .LBB39_651
; %bb.650:
	ds_read_b64 v[30:31], v27 offset:2560
	ds_read_b64 v[32:33], v29
	s_waitcnt lgkmcnt(0)
	v_fma_f64 v[10:11], -v[30:31], v[32:33], v[10:11]
.LBB39_651:
	s_or_b64 exec, exec, s[0:1]
	v_cmp_eq_u32_e64 s[16:17], 4, v28
	s_and_b64 s[16:17], s[94:95], s[16:17]
	s_barrier
	s_and_saveexec_b64 s[0:1], s[16:17]
; %bb.652:
	v_xor_b32_e32 v31, 0x80000000, v11
	v_mov_b32_e32 v30, v10
	ds_write_b64 v29, v[30:31]
; %bb.653:
	s_or_b64 exec, exec, s[0:1]
	v_cmp_gt_u32_e64 s[16:17], 4, v28
	s_and_b64 s[16:17], s[94:95], s[16:17]
	s_waitcnt lgkmcnt(0)
	s_barrier
	s_and_saveexec_b64 s[0:1], s[16:17]
	s_cbranch_execz .LBB39_655
; %bb.654:
	ds_read_b64 v[30:31], v27 offset:2048
	ds_read_b64 v[32:33], v29
	s_waitcnt lgkmcnt(0)
	v_fma_f64 v[10:11], -v[30:31], v[32:33], v[10:11]
.LBB39_655:
	s_or_b64 exec, exec, s[0:1]
	v_cmp_eq_u32_e64 s[16:17], 3, v28
	s_and_b64 s[16:17], s[94:95], s[16:17]
	s_barrier
	s_and_saveexec_b64 s[0:1], s[16:17]
; %bb.656:
	v_xor_b32_e32 v31, 0x80000000, v11
	v_mov_b32_e32 v30, v10
	ds_write_b64 v29, v[30:31]
; %bb.657:
	s_or_b64 exec, exec, s[0:1]
	v_cmp_gt_u32_e64 s[16:17], 3, v28
	s_and_b64 s[16:17], s[94:95], s[16:17]
	s_waitcnt lgkmcnt(0)
	s_barrier
	s_and_saveexec_b64 s[0:1], s[16:17]
	s_cbranch_execz .LBB39_659
; %bb.658:
	ds_read_b64 v[30:31], v27 offset:1536
	ds_read_b64 v[32:33], v29
	s_waitcnt lgkmcnt(0)
	v_fma_f64 v[10:11], -v[30:31], v[32:33], v[10:11]
.LBB39_659:
	s_or_b64 exec, exec, s[0:1]
	v_cmp_eq_u32_e64 s[16:17], 2, v28
	s_and_b64 s[16:17], s[94:95], s[16:17]
	s_barrier
	s_and_saveexec_b64 s[0:1], s[16:17]
; %bb.660:
	v_xor_b32_e32 v31, 0x80000000, v11
	v_mov_b32_e32 v30, v10
	ds_write_b64 v29, v[30:31]
; %bb.661:
	s_or_b64 exec, exec, s[0:1]
	v_cmp_gt_u32_e64 s[16:17], 2, v28
	s_and_b64 s[16:17], s[94:95], s[16:17]
	s_waitcnt lgkmcnt(0)
	s_barrier
	s_and_saveexec_b64 s[0:1], s[16:17]
	s_cbranch_execz .LBB39_663
; %bb.662:
	ds_read_b64 v[30:31], v27 offset:1024
	ds_read_b64 v[32:33], v29
	s_waitcnt lgkmcnt(0)
	v_fma_f64 v[10:11], -v[30:31], v[32:33], v[10:11]
.LBB39_663:
	s_or_b64 exec, exec, s[0:1]
	v_cmp_eq_u32_e64 s[16:17], 1, v28
	s_and_b64 s[16:17], s[94:95], s[16:17]
	s_barrier
	s_and_saveexec_b64 s[0:1], s[16:17]
; %bb.664:
	v_xor_b32_e32 v31, 0x80000000, v11
	v_mov_b32_e32 v30, v10
	ds_write_b64 v29, v[30:31]
; %bb.665:
	s_or_b64 exec, exec, s[0:1]
	v_cmp_eq_u32_e64 s[16:17], 0, v28
	s_and_b64 s[16:17], s[94:95], s[16:17]
	s_waitcnt lgkmcnt(0)
	s_barrier
	s_and_saveexec_b64 s[0:1], s[16:17]
	s_cbranch_execz .LBB39_667
; %bb.666:
	ds_read_b64 v[30:31], v27 offset:512
	ds_read_b64 v[32:33], v29
	s_waitcnt lgkmcnt(0)
	v_fma_f64 v[10:11], -v[30:31], v[32:33], v[10:11]
.LBB39_667:
	s_or_b64 exec, exec, s[0:1]
	s_barrier
	s_and_saveexec_b64 s[0:1], s[16:17]
; %bb.668:
	v_xor_b32_e32 v31, 0x80000000, v11
	v_mov_b32_e32 v30, v10
	ds_write_b64 v29, v[30:31]
; %bb.669:
	s_or_b64 exec, exec, s[0:1]
	s_waitcnt lgkmcnt(0)
	s_barrier
	s_barrier
	s_and_saveexec_b64 s[0:1], s[14:15]
; %bb.670:
	v_lshl_or_b32 v26, v26, 9, v27
	ds_write_b64 v26, v[10:11] offset:16384
; %bb.671:
	s_or_b64 exec, exec, s[0:1]
	v_cmp_gt_u32_e64 s[14:15], 32, v0
	s_and_b64 s[0:1], s[12:13], s[14:15]
	s_waitcnt lgkmcnt(0)
	s_barrier
	s_barrier
	s_and_saveexec_b64 s[12:13], s[0:1]
	s_cbranch_execz .LBB39_673
; %bb.672:
	v_lshlrev_b32_e32 v26, 9, v0
	ds_read_b64 v[10:11], v26 offset:16384
	s_movk_i32 s0, 0xfe08
	v_mad_i32_i24 v27, v0, s0, v26
	s_waitcnt lgkmcnt(0)
	ds_write_b64 v27, v[10:11] offset:256
	ds_read_b64 v[10:11], v26 offset:16392
	s_waitcnt lgkmcnt(0)
	ds_write_b64 v27, v[10:11] offset:768
	ds_read_b64 v[10:11], v26 offset:16400
	;; [unrolled: 3-line block ×31, first 2 shown]
	s_waitcnt lgkmcnt(0)
	ds_write_b64 v27, v[10:11] offset:16128
.LBB39_673:
	s_or_b64 exec, exec, s[12:13]
	s_waitcnt lgkmcnt(0)
	s_barrier
	s_and_saveexec_b64 s[12:13], vcc
	s_cbranch_execz .LBB39_675
; %bb.674:
	v_mov_b32_e32 v26, 0
	ds_read_b64 v[28:29], v26 offset:16112
	v_mov_b32_e32 v27, 0x3ff00000
	ds_write_b64 v26, v[26:27] offset:16120
	s_waitcnt lgkmcnt(1)
	ds_write_b128 v26, v[26:29] offset:15600
.LBB39_675:
	s_or_b64 exec, exec, s[12:13]
	v_mov_b32_e32 v10, 0
	v_mov_b32_e32 v11, 0
	s_waitcnt lgkmcnt(0)
	s_barrier
	buffer_wbinvl1_vol
	s_and_saveexec_b64 s[14:15], s[2:3]
	s_cbranch_execz .LBB39_679
; %bb.676:
	v_lshlrev_b32_e32 v26, 9, v13
	v_lshlrev_b32_e32 v10, 3, v12
	ds_read_b64 v[10:11], v10 offset:15584
	ds_read_b64 v[26:27], v26 offset:15600
	v_cmp_gt_u32_e64 s[12:13], 2, v15
	s_waitcnt lgkmcnt(0)
	v_fma_f64 v[10:11], v[10:11], v[26:27], 0
	s_and_saveexec_b64 s[0:1], s[12:13]
	s_cbranch_execz .LBB39_678
; %bb.677:
	v_lshlrev_b32_e32 v26, 3, v0
	v_mov_b32_e32 v28, 0
	ds_read_b64 v[26:27], v26 offset:16096
	ds_read_b64 v[28:29], v28 offset:16120
	s_waitcnt lgkmcnt(0)
	v_fma_f64 v[10:11], v[26:27], v[28:29], v[10:11]
.LBB39_678:
	s_or_b64 exec, exec, s[0:1]
.LBB39_679:
	s_or_b64 exec, exec, s[14:15]
	s_and_saveexec_b64 s[0:1], s[28:29]
; %bb.680:
	v_xor_b32_e32 v27, 0x80000000, v11
	v_mov_b32_e32 v26, v10
	ds_write_b64 v14, v[26:27]
; %bb.681:
	s_or_b64 exec, exec, s[0:1]
	s_waitcnt lgkmcnt(0)
	s_barrier
	s_and_saveexec_b64 s[0:1], s[26:27]
	s_cbranch_execz .LBB39_683
; %bb.682:
	v_mov_b32_e32 v26, 0
	ds_read_b64 v[26:27], v26 offset:15072
	ds_read_b64 v[28:29], v14
	s_waitcnt lgkmcnt(0)
	v_fma_f64 v[10:11], -v[26:27], v[28:29], v[10:11]
.LBB39_683:
	s_or_b64 exec, exec, s[0:1]
	s_barrier
	s_and_saveexec_b64 s[0:1], s[26:27]
; %bb.684:
	v_xor_b32_e32 v27, 0x80000000, v11
	v_mov_b32_e32 v26, v10
	ds_write_b64 v14, v[26:27]
; %bb.685:
	s_or_b64 exec, exec, s[0:1]
	s_waitcnt lgkmcnt(0)
	s_barrier
	s_barrier
	s_and_saveexec_b64 s[0:1], s[2:3]
; %bb.686:
	v_lshlrev_b32_e32 v26, 3, v12
	v_lshl_or_b32 v26, v13, 9, v26
	ds_write_b64 v26, v[10:11] offset:15584
; %bb.687:
	s_or_b64 exec, exec, s[0:1]
	s_waitcnt lgkmcnt(0)
	s_barrier
	s_barrier
	s_and_saveexec_b64 s[0:1], s[30:31]
	s_cbranch_execz .LBB39_689
; %bb.688:
	v_lshlrev_b32_e32 v26, 3, v0
	s_movk_i32 s12, 0x1f8
	v_mad_u32_u24 v27, v0, s12, v26
	ds_read_b64 v[10:11], v27 offset:15584
	s_waitcnt lgkmcnt(0)
	ds_write_b64 v26, v[10:11] offset:14576
	ds_read_b64 v[10:11], v27 offset:15592
	s_waitcnt lgkmcnt(0)
	ds_write_b64 v26, v[10:11] offset:15088
.LBB39_689:
	s_or_b64 exec, exec, s[0:1]
	s_waitcnt lgkmcnt(0)
	s_barrier
	s_and_saveexec_b64 s[12:13], vcc
	s_cbranch_execz .LBB39_691
; %bb.690:
	v_mov_b32_e32 v26, 0
	ds_read_b64 v[28:29], v26 offset:15072
	v_mov_b32_e32 v27, 0x3ff00000
	ds_write_b64 v26, v[26:27] offset:15080
	s_waitcnt lgkmcnt(1)
	ds_write_b128 v26, v[26:29] offset:14560
.LBB39_691:
	s_or_b64 exec, exec, s[12:13]
	v_mov_b32_e32 v10, 0
	v_mov_b32_e32 v11, 0
	s_waitcnt lgkmcnt(0)
	s_barrier
	buffer_wbinvl1_vol
	s_and_saveexec_b64 s[14:15], s[18:19]
	s_cbranch_execz .LBB39_697
; %bb.692:
	v_lshlrev_b32_e32 v27, 3, v16
	v_lshlrev_b32_e32 v26, 9, v17
	ds_read_b64 v[10:11], v27 offset:14528
	ds_read_b64 v[28:29], v26 offset:14560
	v_cmp_gt_u32_e64 s[12:13], 12, v15
	s_waitcnt lgkmcnt(0)
	v_fma_f64 v[10:11], v[10:11], v[28:29], 0
	s_and_saveexec_b64 s[0:1], s[12:13]
	s_cbranch_execnz .LBB39_1198
; %bb.693:
	s_or_b64 exec, exec, s[0:1]
	v_cmp_gt_u32_e64 s[12:13], 8, v15
	s_and_saveexec_b64 s[0:1], s[12:13]
	s_cbranch_execnz .LBB39_1199
.LBB39_694:
	s_or_b64 exec, exec, s[0:1]
	v_cmp_gt_u32_e64 s[12:13], 4, v15
	s_and_saveexec_b64 s[0:1], s[12:13]
	s_cbranch_execz .LBB39_696
.LBB39_695:
	v_lshlrev_b32_e32 v26, 3, v0
	v_mov_b32_e32 v28, 0
	ds_read_b64 v[26:27], v26 offset:16064
	ds_read_b64 v[28:29], v28 offset:16120
	s_waitcnt lgkmcnt(0)
	v_fma_f64 v[10:11], v[26:27], v[28:29], v[10:11]
.LBB39_696:
	s_or_b64 exec, exec, s[0:1]
.LBB39_697:
	s_or_b64 exec, exec, s[14:15]
	s_and_saveexec_b64 s[0:1], s[36:37]
; %bb.698:
	v_xor_b32_e32 v27, 0x80000000, v11
	v_mov_b32_e32 v26, v10
	ds_write_b64 v19, v[26:27]
; %bb.699:
	s_or_b64 exec, exec, s[0:1]
	s_waitcnt lgkmcnt(0)
	s_barrier
	s_and_saveexec_b64 s[0:1], s[38:39]
	s_cbranch_execz .LBB39_701
; %bb.700:
	v_lshlrev_b32_e32 v26, 3, v16
	ds_read_b64 v[26:27], v26 offset:14016
	ds_read_b64 v[28:29], v19
	s_waitcnt lgkmcnt(0)
	v_fma_f64 v[10:11], -v[26:27], v[28:29], v[10:11]
.LBB39_701:
	s_or_b64 exec, exec, s[0:1]
	s_barrier
	s_and_saveexec_b64 s[0:1], s[42:43]
; %bb.702:
	v_xor_b32_e32 v27, 0x80000000, v11
	v_mov_b32_e32 v26, v10
	ds_write_b64 v19, v[26:27]
; %bb.703:
	s_or_b64 exec, exec, s[0:1]
	s_waitcnt lgkmcnt(0)
	s_barrier
	s_and_saveexec_b64 s[0:1], s[52:53]
	s_cbranch_execz .LBB39_705
; %bb.704:
	v_lshlrev_b32_e32 v26, 3, v16
	ds_read_b64 v[26:27], v26 offset:13504
	ds_read_b64 v[28:29], v19
	s_waitcnt lgkmcnt(0)
	v_fma_f64 v[10:11], -v[26:27], v[28:29], v[10:11]
.LBB39_705:
	s_or_b64 exec, exec, s[0:1]
	s_barrier
	s_and_saveexec_b64 s[0:1], s[54:55]
; %bb.706:
	v_xor_b32_e32 v27, 0x80000000, v11
	v_mov_b32_e32 v26, v10
	ds_write_b64 v19, v[26:27]
; %bb.707:
	s_or_b64 exec, exec, s[0:1]
	s_waitcnt lgkmcnt(0)
	s_barrier
	s_and_saveexec_b64 s[0:1], s[34:35]
	s_cbranch_execz .LBB39_709
; %bb.708:
	v_mov_b32_e32 v26, 0
	ds_read_b64 v[26:27], v26 offset:12992
	ds_read_b64 v[28:29], v19
	s_waitcnt lgkmcnt(0)
	v_fma_f64 v[10:11], -v[26:27], v[28:29], v[10:11]
.LBB39_709:
	s_or_b64 exec, exec, s[0:1]
	s_barrier
	s_and_saveexec_b64 s[0:1], s[34:35]
; %bb.710:
	v_xor_b32_e32 v27, 0x80000000, v11
	v_mov_b32_e32 v26, v10
	ds_write_b64 v19, v[26:27]
; %bb.711:
	s_or_b64 exec, exec, s[0:1]
	s_waitcnt lgkmcnt(0)
	s_barrier
	s_barrier
	s_and_saveexec_b64 s[0:1], s[18:19]
; %bb.712:
	v_lshlrev_b32_e32 v26, 3, v16
	v_lshl_or_b32 v26, v17, 9, v26
	ds_write_b64 v26, v[10:11] offset:14528
; %bb.713:
	s_or_b64 exec, exec, s[0:1]
	s_waitcnt lgkmcnt(0)
	s_barrier
	s_barrier
	s_and_saveexec_b64 s[12:13], s[56:57]
	s_cbranch_execz .LBB39_715
; %bb.714:
	v_lshlrev_b32_e32 v26, 9, v0
	ds_read_b64 v[10:11], v26 offset:14528
	s_movk_i32 s0, 0xfe08
	v_mad_i32_i24 v27, v0, s0, v26
	s_waitcnt lgkmcnt(0)
	ds_write_b64 v27, v[10:11] offset:12512
	ds_read_b64 v[10:11], v26 offset:14536
	s_waitcnt lgkmcnt(0)
	ds_write_b64 v27, v[10:11] offset:13024
	ds_read_b64 v[10:11], v26 offset:14544
	;; [unrolled: 3-line block ×3, first 2 shown]
	s_waitcnt lgkmcnt(0)
	ds_write_b64 v27, v[10:11] offset:14048
.LBB39_715:
	s_or_b64 exec, exec, s[12:13]
	s_waitcnt lgkmcnt(0)
	s_barrier
	s_and_saveexec_b64 s[12:13], vcc
	s_cbranch_execz .LBB39_717
; %bb.716:
	v_mov_b32_e32 v26, 0
	ds_read_b64 v[28:29], v26 offset:14032
	v_mov_b32_e32 v27, 0x3ff00000
	ds_write_b64 v26, v[26:27] offset:14040
	s_waitcnt lgkmcnt(1)
	ds_write_b128 v26, v[26:29] offset:13520
.LBB39_717:
	s_or_b64 exec, exec, s[12:13]
	v_mov_b32_e32 v10, 0
	v_mov_b32_e32 v11, 0
	s_waitcnt lgkmcnt(0)
	s_barrier
	buffer_wbinvl1_vol
	s_and_saveexec_b64 s[14:15], s[2:3]
	s_cbranch_execz .LBB39_721
; %bb.718:
	v_lshlrev_b32_e32 v26, 9, v13
	v_lshlrev_b32_e32 v10, 3, v12
	ds_read_b64 v[10:11], v10 offset:13504
	ds_read_b64 v[26:27], v26 offset:13520
	v_cmp_gt_u32_e64 s[12:13], 2, v15
	s_waitcnt lgkmcnt(0)
	v_fma_f64 v[10:11], v[10:11], v[26:27], 0
	s_and_saveexec_b64 s[0:1], s[12:13]
	s_cbranch_execz .LBB39_720
; %bb.719:
	v_lshlrev_b32_e32 v26, 3, v0
	v_mov_b32_e32 v28, 0
	ds_read_b64 v[26:27], v26 offset:14016
	ds_read_b64 v[28:29], v28 offset:14040
	s_waitcnt lgkmcnt(0)
	v_fma_f64 v[10:11], v[26:27], v[28:29], v[10:11]
.LBB39_720:
	s_or_b64 exec, exec, s[0:1]
.LBB39_721:
	s_or_b64 exec, exec, s[14:15]
	s_and_saveexec_b64 s[0:1], s[28:29]
; %bb.722:
	v_xor_b32_e32 v27, 0x80000000, v11
	v_mov_b32_e32 v26, v10
	ds_write_b64 v14, v[26:27]
; %bb.723:
	s_or_b64 exec, exec, s[0:1]
	s_waitcnt lgkmcnt(0)
	s_barrier
	s_and_saveexec_b64 s[0:1], s[26:27]
	s_cbranch_execz .LBB39_725
; %bb.724:
	v_mov_b32_e32 v26, 0
	ds_read_b64 v[26:27], v26 offset:12992
	ds_read_b64 v[28:29], v14
	s_waitcnt lgkmcnt(0)
	v_fma_f64 v[10:11], -v[26:27], v[28:29], v[10:11]
.LBB39_725:
	s_or_b64 exec, exec, s[0:1]
	s_barrier
	s_and_saveexec_b64 s[0:1], s[26:27]
; %bb.726:
	v_xor_b32_e32 v27, 0x80000000, v11
	v_mov_b32_e32 v26, v10
	ds_write_b64 v14, v[26:27]
; %bb.727:
	s_or_b64 exec, exec, s[0:1]
	s_waitcnt lgkmcnt(0)
	s_barrier
	s_barrier
	s_and_saveexec_b64 s[0:1], s[2:3]
; %bb.728:
	v_lshlrev_b32_e32 v26, 3, v12
	v_lshl_or_b32 v26, v13, 9, v26
	ds_write_b64 v26, v[10:11] offset:13504
; %bb.729:
	s_or_b64 exec, exec, s[0:1]
	s_waitcnt lgkmcnt(0)
	s_barrier
	s_barrier
	s_and_saveexec_b64 s[0:1], s[30:31]
	s_cbranch_execz .LBB39_731
; %bb.730:
	v_lshlrev_b32_e32 v26, 3, v0
	s_movk_i32 s12, 0x1f8
	v_mad_u32_u24 v27, v0, s12, v26
	ds_read_b64 v[10:11], v27 offset:13504
	s_waitcnt lgkmcnt(0)
	ds_write_b64 v26, v[10:11] offset:12496
	ds_read_b64 v[10:11], v27 offset:13512
	s_waitcnt lgkmcnt(0)
	ds_write_b64 v26, v[10:11] offset:13008
.LBB39_731:
	s_or_b64 exec, exec, s[0:1]
	s_waitcnt lgkmcnt(0)
	s_barrier
	s_and_saveexec_b64 s[12:13], vcc
	s_cbranch_execz .LBB39_733
; %bb.732:
	v_mov_b32_e32 v26, 0
	ds_read_b64 v[28:29], v26 offset:12992
	v_mov_b32_e32 v27, 0x3ff00000
	ds_write_b64 v26, v[26:27] offset:13000
	s_waitcnt lgkmcnt(1)
	ds_write_b128 v26, v[26:29] offset:12480
.LBB39_733:
	s_or_b64 exec, exec, s[12:13]
	v_mov_b32_e32 v10, 0
	v_mov_b32_e32 v11, 0
	s_waitcnt lgkmcnt(0)
	s_barrier
	buffer_wbinvl1_vol
	s_and_saveexec_b64 s[14:15], s[8:9]
	s_cbranch_execz .LBB39_743
; %bb.734:
	v_lshlrev_b32_e32 v27, 3, v20
	v_lshlrev_b32_e32 v26, 9, v21
	ds_read_b64 v[10:11], v27 offset:12416
	ds_read_b64 v[28:29], v26 offset:12480
	v_cmp_gt_u32_e64 s[12:13], 56, v15
	s_waitcnt lgkmcnt(0)
	v_fma_f64 v[10:11], v[10:11], v[28:29], 0
	s_and_saveexec_b64 s[0:1], s[12:13]
	s_cbranch_execnz .LBB39_1200
; %bb.735:
	s_or_b64 exec, exec, s[0:1]
	v_cmp_gt_u32_e64 s[12:13], 48, v15
	s_and_saveexec_b64 s[0:1], s[12:13]
	s_cbranch_execnz .LBB39_1201
.LBB39_736:
	s_or_b64 exec, exec, s[0:1]
	v_cmp_gt_u32_e64 s[12:13], 40, v15
	s_and_saveexec_b64 s[0:1], s[12:13]
	s_cbranch_execnz .LBB39_1202
.LBB39_737:
	s_or_b64 exec, exec, s[0:1]
	v_cmp_gt_u32_e64 s[12:13], 32, v15
	s_and_saveexec_b64 s[0:1], s[12:13]
	s_cbranch_execnz .LBB39_1203
.LBB39_738:
	s_or_b64 exec, exec, s[0:1]
	v_cmp_gt_u32_e64 s[12:13], 24, v15
	s_and_saveexec_b64 s[0:1], s[12:13]
	s_cbranch_execnz .LBB39_1204
.LBB39_739:
	s_or_b64 exec, exec, s[0:1]
	s_and_saveexec_b64 s[0:1], s[18:19]
	s_cbranch_execnz .LBB39_1205
.LBB39_740:
	s_or_b64 exec, exec, s[0:1]
	v_cmp_gt_u32_e64 s[12:13], 8, v15
	s_and_saveexec_b64 s[0:1], s[12:13]
	s_cbranch_execz .LBB39_742
.LBB39_741:
	v_lshlrev_b32_e32 v26, 3, v0
	v_mov_b32_e32 v28, 0
	ds_read_b64 v[26:27], v26 offset:16000
	ds_read_b64 v[28:29], v28 offset:16120
	s_waitcnt lgkmcnt(0)
	v_fma_f64 v[10:11], v[26:27], v[28:29], v[10:11]
.LBB39_742:
	s_or_b64 exec, exec, s[0:1]
.LBB39_743:
	s_or_b64 exec, exec, s[14:15]
	s_and_saveexec_b64 s[0:1], s[58:59]
; %bb.744:
	v_xor_b32_e32 v27, 0x80000000, v11
	v_mov_b32_e32 v26, v10
	ds_write_b64 v22, v[26:27]
; %bb.745:
	s_or_b64 exec, exec, s[0:1]
	s_waitcnt lgkmcnt(0)
	s_barrier
	s_and_saveexec_b64 s[0:1], s[60:61]
	s_cbranch_execz .LBB39_747
; %bb.746:
	v_lshlrev_b32_e32 v26, 3, v20
	ds_read_b64 v[26:27], v26 offset:11904
	ds_read_b64 v[28:29], v22
	s_waitcnt lgkmcnt(0)
	v_fma_f64 v[10:11], -v[26:27], v[28:29], v[10:11]
.LBB39_747:
	s_or_b64 exec, exec, s[0:1]
	s_barrier
	s_and_saveexec_b64 s[0:1], s[62:63]
; %bb.748:
	v_xor_b32_e32 v27, 0x80000000, v11
	v_mov_b32_e32 v26, v10
	ds_write_b64 v22, v[26:27]
; %bb.749:
	s_or_b64 exec, exec, s[0:1]
	s_waitcnt lgkmcnt(0)
	s_barrier
	s_and_saveexec_b64 s[0:1], s[64:65]
	s_cbranch_execz .LBB39_751
; %bb.750:
	v_lshlrev_b32_e32 v26, 3, v20
	ds_read_b64 v[26:27], v26 offset:11392
	ds_read_b64 v[28:29], v22
	s_waitcnt lgkmcnt(0)
	v_fma_f64 v[10:11], -v[26:27], v[28:29], v[10:11]
.LBB39_751:
	s_or_b64 exec, exec, s[0:1]
	s_barrier
	s_and_saveexec_b64 s[0:1], s[66:67]
; %bb.752:
	v_xor_b32_e32 v27, 0x80000000, v11
	v_mov_b32_e32 v26, v10
	ds_write_b64 v22, v[26:27]
; %bb.753:
	s_or_b64 exec, exec, s[0:1]
	s_waitcnt lgkmcnt(0)
	s_barrier
	s_and_saveexec_b64 s[0:1], s[70:71]
	s_cbranch_execz .LBB39_755
; %bb.754:
	v_lshlrev_b32_e32 v26, 3, v20
	ds_read_b64 v[26:27], v26 offset:10880
	ds_read_b64 v[28:29], v22
	s_waitcnt lgkmcnt(0)
	v_fma_f64 v[10:11], -v[26:27], v[28:29], v[10:11]
.LBB39_755:
	s_or_b64 exec, exec, s[0:1]
	s_barrier
	s_and_saveexec_b64 s[0:1], s[72:73]
; %bb.756:
	v_xor_b32_e32 v27, 0x80000000, v11
	v_mov_b32_e32 v26, v10
	ds_write_b64 v22, v[26:27]
; %bb.757:
	s_or_b64 exec, exec, s[0:1]
	s_waitcnt lgkmcnt(0)
	s_barrier
	s_and_saveexec_b64 s[0:1], s[74:75]
	s_cbranch_execz .LBB39_759
; %bb.758:
	v_lshlrev_b32_e32 v26, 3, v20
	ds_read_b64 v[26:27], v26 offset:10368
	ds_read_b64 v[28:29], v22
	s_waitcnt lgkmcnt(0)
	v_fma_f64 v[10:11], -v[26:27], v[28:29], v[10:11]
.LBB39_759:
	s_or_b64 exec, exec, s[0:1]
	s_barrier
	s_and_saveexec_b64 s[0:1], s[76:77]
; %bb.760:
	v_xor_b32_e32 v27, 0x80000000, v11
	v_mov_b32_e32 v26, v10
	ds_write_b64 v22, v[26:27]
; %bb.761:
	s_or_b64 exec, exec, s[0:1]
	s_waitcnt lgkmcnt(0)
	s_barrier
	s_and_saveexec_b64 s[0:1], s[78:79]
	s_cbranch_execz .LBB39_763
; %bb.762:
	v_lshlrev_b32_e32 v26, 3, v20
	ds_read_b64 v[26:27], v26 offset:9856
	ds_read_b64 v[28:29], v22
	s_waitcnt lgkmcnt(0)
	v_fma_f64 v[10:11], -v[26:27], v[28:29], v[10:11]
.LBB39_763:
	s_or_b64 exec, exec, s[0:1]
	s_barrier
	s_and_saveexec_b64 s[0:1], s[80:81]
; %bb.764:
	v_xor_b32_e32 v27, 0x80000000, v11
	v_mov_b32_e32 v26, v10
	ds_write_b64 v22, v[26:27]
; %bb.765:
	s_or_b64 exec, exec, s[0:1]
	s_waitcnt lgkmcnt(0)
	s_barrier
	s_and_saveexec_b64 s[0:1], s[82:83]
	s_cbranch_execz .LBB39_767
; %bb.766:
	v_lshlrev_b32_e32 v26, 3, v20
	ds_read_b64 v[26:27], v26 offset:9344
	ds_read_b64 v[28:29], v22
	s_waitcnt lgkmcnt(0)
	v_fma_f64 v[10:11], -v[26:27], v[28:29], v[10:11]
.LBB39_767:
	s_or_b64 exec, exec, s[0:1]
	s_barrier
	s_and_saveexec_b64 s[0:1], s[84:85]
; %bb.768:
	v_xor_b32_e32 v27, 0x80000000, v11
	v_mov_b32_e32 v26, v10
	ds_write_b64 v22, v[26:27]
; %bb.769:
	s_or_b64 exec, exec, s[0:1]
	s_waitcnt lgkmcnt(0)
	s_barrier
	s_and_saveexec_b64 s[0:1], s[68:69]
	s_cbranch_execz .LBB39_771
; %bb.770:
	v_mov_b32_e32 v26, 0
	ds_read_b64 v[26:27], v26 offset:8832
	ds_read_b64 v[28:29], v22
	s_waitcnt lgkmcnt(0)
	v_fma_f64 v[10:11], -v[26:27], v[28:29], v[10:11]
.LBB39_771:
	s_or_b64 exec, exec, s[0:1]
	s_barrier
	s_and_saveexec_b64 s[0:1], s[68:69]
; %bb.772:
	v_xor_b32_e32 v27, 0x80000000, v11
	v_mov_b32_e32 v26, v10
	ds_write_b64 v22, v[26:27]
; %bb.773:
	s_or_b64 exec, exec, s[0:1]
	s_waitcnt lgkmcnt(0)
	s_barrier
	s_barrier
	s_and_saveexec_b64 s[0:1], s[8:9]
; %bb.774:
	v_lshlrev_b32_e32 v26, 3, v20
	v_lshl_or_b32 v26, v21, 9, v26
	ds_write_b64 v26, v[10:11] offset:12416
; %bb.775:
	s_or_b64 exec, exec, s[0:1]
	s_waitcnt lgkmcnt(0)
	s_barrier
	s_barrier
	s_and_saveexec_b64 s[12:13], s[86:87]
	s_cbranch_execz .LBB39_777
; %bb.776:
	v_lshlrev_b32_e32 v26, 9, v0
	ds_read_b64 v[10:11], v26 offset:12416
	s_movk_i32 s0, 0xfe08
	v_mad_i32_i24 v27, v0, s0, v26
	s_waitcnt lgkmcnt(0)
	ds_write_b64 v27, v[10:11] offset:8384
	ds_read_b64 v[10:11], v26 offset:12424
	s_waitcnt lgkmcnt(0)
	ds_write_b64 v27, v[10:11] offset:8896
	ds_read_b64 v[10:11], v26 offset:12432
	s_waitcnt lgkmcnt(0)
	ds_write_b64 v27, v[10:11] offset:9408
	ds_read_b64 v[10:11], v26 offset:12440
	s_waitcnt lgkmcnt(0)
	ds_write_b64 v27, v[10:11] offset:9920
	ds_read_b64 v[10:11], v26 offset:12448
	s_waitcnt lgkmcnt(0)
	ds_write_b64 v27, v[10:11] offset:10432
	ds_read_b64 v[10:11], v26 offset:12456
	s_waitcnt lgkmcnt(0)
	ds_write_b64 v27, v[10:11] offset:10944
	ds_read_b64 v[10:11], v26 offset:12464
	s_waitcnt lgkmcnt(0)
	ds_write_b64 v27, v[10:11] offset:11456
	ds_read_b64 v[10:11], v26 offset:12472
	s_waitcnt lgkmcnt(0)
	ds_write_b64 v27, v[10:11] offset:11968
.LBB39_777:
	s_or_b64 exec, exec, s[12:13]
	s_waitcnt lgkmcnt(0)
	s_barrier
	s_and_saveexec_b64 s[12:13], vcc
	s_cbranch_execz .LBB39_779
; %bb.778:
	v_mov_b32_e32 v26, 0
	ds_read_b64 v[28:29], v26 offset:11952
	v_mov_b32_e32 v27, 0x3ff00000
	ds_write_b64 v26, v[26:27] offset:11960
	s_waitcnt lgkmcnt(1)
	ds_write_b128 v26, v[26:29] offset:11440
.LBB39_779:
	s_or_b64 exec, exec, s[12:13]
	v_mov_b32_e32 v10, 0
	v_mov_b32_e32 v11, 0
	s_waitcnt lgkmcnt(0)
	s_barrier
	buffer_wbinvl1_vol
	s_and_saveexec_b64 s[14:15], s[2:3]
	s_cbranch_execz .LBB39_783
; %bb.780:
	v_lshlrev_b32_e32 v26, 9, v13
	v_lshlrev_b32_e32 v10, 3, v12
	ds_read_b64 v[10:11], v10 offset:11424
	ds_read_b64 v[26:27], v26 offset:11440
	v_cmp_gt_u32_e64 s[12:13], 2, v15
	s_waitcnt lgkmcnt(0)
	v_fma_f64 v[10:11], v[10:11], v[26:27], 0
	s_and_saveexec_b64 s[0:1], s[12:13]
	s_cbranch_execz .LBB39_782
; %bb.781:
	v_lshlrev_b32_e32 v26, 3, v0
	v_mov_b32_e32 v28, 0
	ds_read_b64 v[26:27], v26 offset:11936
	ds_read_b64 v[28:29], v28 offset:11960
	s_waitcnt lgkmcnt(0)
	v_fma_f64 v[10:11], v[26:27], v[28:29], v[10:11]
.LBB39_782:
	s_or_b64 exec, exec, s[0:1]
.LBB39_783:
	s_or_b64 exec, exec, s[14:15]
	s_and_saveexec_b64 s[0:1], s[28:29]
; %bb.784:
	v_xor_b32_e32 v27, 0x80000000, v11
	v_mov_b32_e32 v26, v10
	ds_write_b64 v14, v[26:27]
; %bb.785:
	s_or_b64 exec, exec, s[0:1]
	s_waitcnt lgkmcnt(0)
	s_barrier
	s_and_saveexec_b64 s[0:1], s[26:27]
	s_cbranch_execz .LBB39_787
; %bb.786:
	v_mov_b32_e32 v26, 0
	ds_read_b64 v[26:27], v26 offset:10912
	ds_read_b64 v[28:29], v14
	s_waitcnt lgkmcnt(0)
	v_fma_f64 v[10:11], -v[26:27], v[28:29], v[10:11]
.LBB39_787:
	s_or_b64 exec, exec, s[0:1]
	s_barrier
	s_and_saveexec_b64 s[0:1], s[26:27]
; %bb.788:
	v_xor_b32_e32 v27, 0x80000000, v11
	v_mov_b32_e32 v26, v10
	ds_write_b64 v14, v[26:27]
; %bb.789:
	s_or_b64 exec, exec, s[0:1]
	s_waitcnt lgkmcnt(0)
	s_barrier
	s_barrier
	s_and_saveexec_b64 s[0:1], s[2:3]
; %bb.790:
	v_lshlrev_b32_e32 v26, 3, v12
	v_lshl_or_b32 v26, v13, 9, v26
	ds_write_b64 v26, v[10:11] offset:11424
; %bb.791:
	s_or_b64 exec, exec, s[0:1]
	s_waitcnt lgkmcnt(0)
	s_barrier
	s_barrier
	s_and_saveexec_b64 s[0:1], s[30:31]
	s_cbranch_execz .LBB39_793
; %bb.792:
	v_lshlrev_b32_e32 v26, 3, v0
	s_movk_i32 s12, 0x1f8
	v_mad_u32_u24 v27, v0, s12, v26
	ds_read_b64 v[10:11], v27 offset:11424
	s_waitcnt lgkmcnt(0)
	ds_write_b64 v26, v[10:11] offset:10416
	ds_read_b64 v[10:11], v27 offset:11432
	s_waitcnt lgkmcnt(0)
	ds_write_b64 v26, v[10:11] offset:10928
.LBB39_793:
	s_or_b64 exec, exec, s[0:1]
	s_waitcnt lgkmcnt(0)
	s_barrier
	s_and_saveexec_b64 s[12:13], vcc
	s_cbranch_execz .LBB39_795
; %bb.794:
	v_mov_b32_e32 v26, 0
	ds_read_b64 v[28:29], v26 offset:10912
	v_mov_b32_e32 v27, 0x3ff00000
	ds_write_b64 v26, v[26:27] offset:10920
	s_waitcnt lgkmcnt(1)
	ds_write_b128 v26, v[26:29] offset:10400
.LBB39_795:
	s_or_b64 exec, exec, s[12:13]
	v_mov_b32_e32 v10, 0
	v_mov_b32_e32 v11, 0
	s_waitcnt lgkmcnt(0)
	s_barrier
	buffer_wbinvl1_vol
	s_and_saveexec_b64 s[14:15], s[18:19]
	s_cbranch_execz .LBB39_801
; %bb.796:
	v_lshlrev_b32_e32 v27, 3, v16
	v_lshlrev_b32_e32 v26, 9, v17
	ds_read_b64 v[10:11], v27 offset:10368
	ds_read_b64 v[28:29], v26 offset:10400
	v_cmp_gt_u32_e64 s[12:13], 12, v15
	s_waitcnt lgkmcnt(0)
	v_fma_f64 v[10:11], v[10:11], v[28:29], 0
	s_and_saveexec_b64 s[0:1], s[12:13]
	s_cbranch_execnz .LBB39_1206
; %bb.797:
	s_or_b64 exec, exec, s[0:1]
	v_cmp_gt_u32_e64 s[12:13], 8, v15
	s_and_saveexec_b64 s[0:1], s[12:13]
	s_cbranch_execnz .LBB39_1207
.LBB39_798:
	s_or_b64 exec, exec, s[0:1]
	v_cmp_gt_u32_e64 s[12:13], 4, v15
	s_and_saveexec_b64 s[0:1], s[12:13]
	s_cbranch_execz .LBB39_800
.LBB39_799:
	v_lshlrev_b32_e32 v26, 3, v0
	v_mov_b32_e32 v28, 0
	ds_read_b64 v[26:27], v26 offset:11904
	ds_read_b64 v[28:29], v28 offset:11960
	s_waitcnt lgkmcnt(0)
	v_fma_f64 v[10:11], v[26:27], v[28:29], v[10:11]
.LBB39_800:
	s_or_b64 exec, exec, s[0:1]
.LBB39_801:
	s_or_b64 exec, exec, s[14:15]
	s_and_saveexec_b64 s[0:1], s[36:37]
; %bb.802:
	v_xor_b32_e32 v27, 0x80000000, v11
	v_mov_b32_e32 v26, v10
	ds_write_b64 v19, v[26:27]
; %bb.803:
	s_or_b64 exec, exec, s[0:1]
	s_waitcnt lgkmcnt(0)
	s_barrier
	s_and_saveexec_b64 s[0:1], s[38:39]
	s_cbranch_execz .LBB39_805
; %bb.804:
	v_lshlrev_b32_e32 v26, 3, v16
	ds_read_b64 v[26:27], v26 offset:9856
	ds_read_b64 v[28:29], v19
	s_waitcnt lgkmcnt(0)
	v_fma_f64 v[10:11], -v[26:27], v[28:29], v[10:11]
.LBB39_805:
	s_or_b64 exec, exec, s[0:1]
	s_barrier
	s_and_saveexec_b64 s[0:1], s[42:43]
; %bb.806:
	v_xor_b32_e32 v27, 0x80000000, v11
	v_mov_b32_e32 v26, v10
	ds_write_b64 v19, v[26:27]
; %bb.807:
	s_or_b64 exec, exec, s[0:1]
	s_waitcnt lgkmcnt(0)
	s_barrier
	s_and_saveexec_b64 s[0:1], s[52:53]
	s_cbranch_execz .LBB39_809
; %bb.808:
	v_lshlrev_b32_e32 v26, 3, v16
	ds_read_b64 v[26:27], v26 offset:9344
	ds_read_b64 v[28:29], v19
	s_waitcnt lgkmcnt(0)
	v_fma_f64 v[10:11], -v[26:27], v[28:29], v[10:11]
.LBB39_809:
	s_or_b64 exec, exec, s[0:1]
	s_barrier
	s_and_saveexec_b64 s[0:1], s[54:55]
; %bb.810:
	v_xor_b32_e32 v27, 0x80000000, v11
	v_mov_b32_e32 v26, v10
	ds_write_b64 v19, v[26:27]
; %bb.811:
	s_or_b64 exec, exec, s[0:1]
	s_waitcnt lgkmcnt(0)
	s_barrier
	s_and_saveexec_b64 s[0:1], s[34:35]
	s_cbranch_execz .LBB39_813
; %bb.812:
	v_mov_b32_e32 v26, 0
	ds_read_b64 v[26:27], v26 offset:8832
	ds_read_b64 v[28:29], v19
	s_waitcnt lgkmcnt(0)
	v_fma_f64 v[10:11], -v[26:27], v[28:29], v[10:11]
.LBB39_813:
	s_or_b64 exec, exec, s[0:1]
	s_barrier
	s_and_saveexec_b64 s[0:1], s[34:35]
; %bb.814:
	v_xor_b32_e32 v27, 0x80000000, v11
	v_mov_b32_e32 v26, v10
	ds_write_b64 v19, v[26:27]
; %bb.815:
	s_or_b64 exec, exec, s[0:1]
	s_waitcnt lgkmcnt(0)
	s_barrier
	s_barrier
	s_and_saveexec_b64 s[0:1], s[18:19]
; %bb.816:
	v_lshlrev_b32_e32 v26, 3, v16
	v_lshl_or_b32 v26, v17, 9, v26
	ds_write_b64 v26, v[10:11] offset:10368
; %bb.817:
	s_or_b64 exec, exec, s[0:1]
	s_waitcnt lgkmcnt(0)
	s_barrier
	s_barrier
	s_and_saveexec_b64 s[12:13], s[56:57]
	s_cbranch_execz .LBB39_819
; %bb.818:
	v_lshlrev_b32_e32 v26, 9, v0
	ds_read_b64 v[10:11], v26 offset:10368
	s_movk_i32 s0, 0xfe08
	v_mad_i32_i24 v27, v0, s0, v26
	s_waitcnt lgkmcnt(0)
	ds_write_b64 v27, v[10:11] offset:8352
	ds_read_b64 v[10:11], v26 offset:10376
	s_waitcnt lgkmcnt(0)
	ds_write_b64 v27, v[10:11] offset:8864
	ds_read_b64 v[10:11], v26 offset:10384
	;; [unrolled: 3-line block ×3, first 2 shown]
	s_waitcnt lgkmcnt(0)
	ds_write_b64 v27, v[10:11] offset:9888
.LBB39_819:
	s_or_b64 exec, exec, s[12:13]
	s_waitcnt lgkmcnt(0)
	s_barrier
	s_and_saveexec_b64 s[12:13], vcc
	s_cbranch_execz .LBB39_821
; %bb.820:
	v_mov_b32_e32 v26, 0
	ds_read_b64 v[28:29], v26 offset:9872
	v_mov_b32_e32 v27, 0x3ff00000
	ds_write_b64 v26, v[26:27] offset:9880
	s_waitcnt lgkmcnt(1)
	ds_write_b128 v26, v[26:29] offset:9360
.LBB39_821:
	s_or_b64 exec, exec, s[12:13]
	v_mov_b32_e32 v10, 0
	v_mov_b32_e32 v11, 0
	s_waitcnt lgkmcnt(0)
	s_barrier
	buffer_wbinvl1_vol
	s_and_saveexec_b64 s[14:15], s[2:3]
	s_cbranch_execz .LBB39_825
; %bb.822:
	v_lshlrev_b32_e32 v26, 9, v13
	v_lshlrev_b32_e32 v10, 3, v12
	ds_read_b64 v[10:11], v10 offset:9344
	ds_read_b64 v[26:27], v26 offset:9360
	v_cmp_gt_u32_e64 s[12:13], 2, v15
	s_waitcnt lgkmcnt(0)
	v_fma_f64 v[10:11], v[10:11], v[26:27], 0
	s_and_saveexec_b64 s[0:1], s[12:13]
	s_cbranch_execz .LBB39_824
; %bb.823:
	v_lshlrev_b32_e32 v26, 3, v0
	v_mov_b32_e32 v28, 0
	ds_read_b64 v[26:27], v26 offset:9856
	ds_read_b64 v[28:29], v28 offset:9880
	s_waitcnt lgkmcnt(0)
	v_fma_f64 v[10:11], v[26:27], v[28:29], v[10:11]
.LBB39_824:
	s_or_b64 exec, exec, s[0:1]
.LBB39_825:
	s_or_b64 exec, exec, s[14:15]
	s_and_saveexec_b64 s[0:1], s[28:29]
; %bb.826:
	v_xor_b32_e32 v27, 0x80000000, v11
	v_mov_b32_e32 v26, v10
	ds_write_b64 v14, v[26:27]
; %bb.827:
	s_or_b64 exec, exec, s[0:1]
	s_waitcnt lgkmcnt(0)
	s_barrier
	s_and_saveexec_b64 s[0:1], s[26:27]
	s_cbranch_execz .LBB39_829
; %bb.828:
	v_mov_b32_e32 v26, 0
	ds_read_b64 v[26:27], v26 offset:8832
	ds_read_b64 v[28:29], v14
	s_waitcnt lgkmcnt(0)
	v_fma_f64 v[10:11], -v[26:27], v[28:29], v[10:11]
.LBB39_829:
	s_or_b64 exec, exec, s[0:1]
	s_barrier
	s_and_saveexec_b64 s[0:1], s[26:27]
; %bb.830:
	v_xor_b32_e32 v27, 0x80000000, v11
	v_mov_b32_e32 v26, v10
	ds_write_b64 v14, v[26:27]
; %bb.831:
	s_or_b64 exec, exec, s[0:1]
	s_waitcnt lgkmcnt(0)
	s_barrier
	s_barrier
	s_and_saveexec_b64 s[0:1], s[2:3]
; %bb.832:
	v_lshlrev_b32_e32 v26, 3, v12
	v_lshl_or_b32 v26, v13, 9, v26
	ds_write_b64 v26, v[10:11] offset:9344
; %bb.833:
	s_or_b64 exec, exec, s[0:1]
	s_waitcnt lgkmcnt(0)
	s_barrier
	s_barrier
	s_and_saveexec_b64 s[0:1], s[30:31]
	s_cbranch_execz .LBB39_835
; %bb.834:
	v_lshlrev_b32_e32 v26, 3, v0
	s_movk_i32 s12, 0x1f8
	v_mad_u32_u24 v27, v0, s12, v26
	ds_read_b64 v[10:11], v27 offset:9344
	s_waitcnt lgkmcnt(0)
	ds_write_b64 v26, v[10:11] offset:8336
	ds_read_b64 v[10:11], v27 offset:9352
	s_waitcnt lgkmcnt(0)
	ds_write_b64 v26, v[10:11] offset:8848
.LBB39_835:
	s_or_b64 exec, exec, s[0:1]
	s_waitcnt lgkmcnt(0)
	s_barrier
	s_and_saveexec_b64 s[12:13], vcc
	s_cbranch_execz .LBB39_837
; %bb.836:
	v_mov_b32_e32 v26, 0
	ds_read_b64 v[28:29], v26 offset:8832
	v_mov_b32_e32 v27, 0x3ff00000
	ds_write_b64 v26, v[26:27] offset:8840
	s_waitcnt lgkmcnt(1)
	ds_write_b128 v26, v[26:29] offset:8320
.LBB39_837:
	s_or_b64 exec, exec, s[12:13]
	v_mov_b32_e32 v10, 0
	v_mov_b32_e32 v11, 0
	s_waitcnt lgkmcnt(0)
	s_barrier
	buffer_wbinvl1_vol
	s_and_saveexec_b64 s[14:15], s[10:11]
	s_cbranch_execz .LBB39_865
; %bb.838:
	v_lshlrev_b32_e32 v27, 3, v23
	v_lshlrev_b32_e32 v26, 9, v24
	ds_read_b64 v[10:11], v27 offset:8192
	ds_read_b64 v[28:29], v26 offset:8320
	s_movk_i32 s0, 0xf0
	v_cmp_gt_u32_e64 s[12:13], s0, v15
	s_waitcnt lgkmcnt(0)
	v_fma_f64 v[10:11], v[10:11], v[28:29], 0
	s_and_saveexec_b64 s[0:1], s[12:13]
	s_cbranch_execz .LBB39_840
; %bb.839:
	ds_read_b64 v[28:29], v27 offset:8704
	ds_read_b64 v[30:31], v26 offset:8328
	s_waitcnt lgkmcnt(0)
	v_fma_f64 v[10:11], v[28:29], v[30:31], v[10:11]
.LBB39_840:
	s_or_b64 exec, exec, s[0:1]
	s_movk_i32 s0, 0xe0
	v_cmp_gt_u32_e64 s[12:13], s0, v15
	s_and_saveexec_b64 s[0:1], s[12:13]
	s_cbranch_execz .LBB39_842
; %bb.841:
	ds_read_b64 v[28:29], v27 offset:9216
	ds_read_b64 v[30:31], v26 offset:8336
	s_waitcnt lgkmcnt(0)
	v_fma_f64 v[10:11], v[28:29], v[30:31], v[10:11]
.LBB39_842:
	s_or_b64 exec, exec, s[0:1]
	s_movk_i32 s0, 0xd0
	v_cmp_gt_u32_e64 s[12:13], s0, v15
	;; [unrolled: 11-line block ×10, first 2 shown]
	s_and_saveexec_b64 s[0:1], s[12:13]
	s_cbranch_execnz .LBB39_1208
; %bb.859:
	s_or_b64 exec, exec, s[0:1]
	s_and_saveexec_b64 s[0:1], s[8:9]
	s_cbranch_execnz .LBB39_1209
.LBB39_860:
	s_or_b64 exec, exec, s[0:1]
	v_cmp_gt_u32_e64 s[12:13], 48, v15
	s_and_saveexec_b64 s[0:1], s[12:13]
	s_cbranch_execnz .LBB39_1210
.LBB39_861:
	s_or_b64 exec, exec, s[0:1]
	v_cmp_gt_u32_e64 s[12:13], 32, v15
	s_and_saveexec_b64 s[0:1], s[12:13]
	s_cbranch_execnz .LBB39_1211
.LBB39_862:
	s_or_b64 exec, exec, s[0:1]
	v_cmp_gt_u32_e64 s[12:13], 16, v15
	s_and_saveexec_b64 s[0:1], s[12:13]
	s_cbranch_execz .LBB39_864
.LBB39_863:
	v_lshlrev_b32_e32 v26, 3, v0
	v_mov_b32_e32 v28, 0
	ds_read_b64 v[26:27], v26 offset:15872
	ds_read_b64 v[28:29], v28 offset:16120
	s_waitcnt lgkmcnt(0)
	v_fma_f64 v[10:11], v[26:27], v[28:29], v[10:11]
.LBB39_864:
	s_or_b64 exec, exec, s[0:1]
.LBB39_865:
	s_or_b64 exec, exec, s[14:15]
	s_mov_b64 s[0:1], exec
	v_readlane_b32 s12, v35, 2
	v_readlane_b32 s13, v35, 3
	s_and_b64 s[12:13], s[0:1], s[12:13]
	s_mov_b64 exec, s[12:13]
; %bb.866:
	v_xor_b32_e32 v27, 0x80000000, v11
	v_mov_b32_e32 v26, v10
	ds_write_b64 v25, v[26:27]
; %bb.867:
	s_or_b64 exec, exec, s[0:1]
	s_waitcnt lgkmcnt(0)
	s_barrier
	s_mov_b64 s[0:1], exec
	v_readlane_b32 s12, v35, 4
	v_readlane_b32 s13, v35, 5
	s_and_b64 s[12:13], s[0:1], s[12:13]
	s_mov_b64 exec, s[12:13]
	s_cbranch_execz .LBB39_869
; %bb.868:
	v_lshlrev_b32_e32 v26, 3, v23
	ds_read_b64 v[26:27], v26 offset:7680
	ds_read_b64 v[28:29], v25
	s_waitcnt lgkmcnt(0)
	v_fma_f64 v[10:11], -v[26:27], v[28:29], v[10:11]
.LBB39_869:
	s_or_b64 exec, exec, s[0:1]
	s_barrier
	s_mov_b64 s[0:1], exec
	v_readlane_b32 s12, v35, 6
	v_readlane_b32 s13, v35, 7
	s_and_b64 s[12:13], s[0:1], s[12:13]
	s_mov_b64 exec, s[12:13]
; %bb.870:
	v_xor_b32_e32 v27, 0x80000000, v11
	v_mov_b32_e32 v26, v10
	ds_write_b64 v25, v[26:27]
; %bb.871:
	s_or_b64 exec, exec, s[0:1]
	s_waitcnt lgkmcnt(0)
	s_barrier
	s_mov_b64 s[0:1], exec
	v_readlane_b32 s12, v35, 8
	v_readlane_b32 s13, v35, 9
	s_and_b64 s[12:13], s[0:1], s[12:13]
	s_mov_b64 exec, s[12:13]
	s_cbranch_execz .LBB39_873
; %bb.872:
	v_lshlrev_b32_e32 v26, 3, v23
	ds_read_b64 v[26:27], v26 offset:7168
	ds_read_b64 v[28:29], v25
	s_waitcnt lgkmcnt(0)
	v_fma_f64 v[10:11], -v[26:27], v[28:29], v[10:11]
.LBB39_873:
	s_or_b64 exec, exec, s[0:1]
	s_barrier
	;; [unrolled: 28-line block ×14, first 2 shown]
	s_mov_b64 s[0:1], exec
	v_readlane_b32 s12, v35, 58
	v_readlane_b32 s13, v35, 59
	s_and_b64 s[12:13], s[0:1], s[12:13]
	s_mov_b64 exec, s[12:13]
; %bb.922:
	v_xor_b32_e32 v27, 0x80000000, v11
	v_mov_b32_e32 v26, v10
	ds_write_b64 v25, v[26:27]
; %bb.923:
	s_or_b64 exec, exec, s[0:1]
	s_waitcnt lgkmcnt(0)
	s_barrier
	s_and_saveexec_b64 s[0:1], s[90:91]
	s_cbranch_execz .LBB39_925
; %bb.924:
	v_mov_b32_e32 v26, 0
	ds_read_b64 v[26:27], v26 offset:512
	ds_read_b64 v[28:29], v25
	s_waitcnt lgkmcnt(0)
	v_fma_f64 v[10:11], -v[26:27], v[28:29], v[10:11]
.LBB39_925:
	s_or_b64 exec, exec, s[0:1]
	s_barrier
	s_and_saveexec_b64 s[0:1], s[90:91]
; %bb.926:
	v_xor_b32_e32 v27, 0x80000000, v11
	v_mov_b32_e32 v26, v10
	ds_write_b64 v25, v[26:27]
; %bb.927:
	s_or_b64 exec, exec, s[0:1]
	s_waitcnt lgkmcnt(0)
	s_barrier
	s_barrier
	s_and_saveexec_b64 s[0:1], s[10:11]
; %bb.928:
	v_lshlrev_b32_e32 v23, 3, v23
	v_lshl_or_b32 v23, v24, 9, v23
	ds_write_b64 v23, v[10:11] offset:8192
; %bb.929:
	s_or_b64 exec, exec, s[0:1]
	s_waitcnt lgkmcnt(0)
	s_barrier
	s_barrier
	s_and_saveexec_b64 s[0:1], s[92:93]
	s_cbranch_execz .LBB39_931
; %bb.930:
	v_lshlrev_b32_e32 v23, 9, v0
	ds_read_b64 v[10:11], v23 offset:8192
	s_movk_i32 s10, 0xfe08
	v_mad_i32_i24 v24, v0, s10, v23
	s_waitcnt lgkmcnt(0)
	ds_write_b64 v24, v[10:11] offset:128
	ds_read_b64 v[10:11], v23 offset:8200
	s_waitcnt lgkmcnt(0)
	ds_write_b64 v24, v[10:11] offset:640
	ds_read_b64 v[10:11], v23 offset:8208
	;; [unrolled: 3-line block ×15, first 2 shown]
	s_waitcnt lgkmcnt(0)
	ds_write_b64 v24, v[10:11] offset:7808
.LBB39_931:
	s_or_b64 exec, exec, s[0:1]
	s_waitcnt lgkmcnt(0)
	s_barrier
	s_and_saveexec_b64 s[0:1], vcc
	s_cbranch_execz .LBB39_933
; %bb.932:
	v_mov_b32_e32 v23, 0
	ds_read_b64 v[25:26], v23 offset:7792
	v_mov_b32_e32 v24, 0x3ff00000
	ds_write_b64 v23, v[23:24] offset:7800
	s_waitcnt lgkmcnt(1)
	ds_write_b128 v23, v[23:26] offset:7280
.LBB39_933:
	s_or_b64 exec, exec, s[0:1]
	v_mov_b32_e32 v10, 0
	v_mov_b32_e32 v11, 0
	s_waitcnt lgkmcnt(0)
	s_barrier
	buffer_wbinvl1_vol
	s_and_saveexec_b64 s[0:1], s[2:3]
	s_cbranch_execz .LBB39_937
; %bb.934:
	v_lshlrev_b32_e32 v23, 9, v13
	v_lshlrev_b32_e32 v10, 3, v12
	ds_read_b64 v[10:11], v10 offset:7264
	ds_read_b64 v[23:24], v23 offset:7280
	v_cmp_gt_u32_e64 s[10:11], 2, v15
	s_waitcnt lgkmcnt(0)
	v_fma_f64 v[10:11], v[10:11], v[23:24], 0
	s_and_saveexec_b64 s[12:13], s[10:11]
	s_cbranch_execz .LBB39_936
; %bb.935:
	v_lshlrev_b32_e32 v23, 3, v0
	v_mov_b32_e32 v25, 0
	ds_read_b64 v[23:24], v23 offset:7776
	ds_read_b64 v[25:26], v25 offset:7800
	s_waitcnt lgkmcnt(0)
	v_fma_f64 v[10:11], v[23:24], v[25:26], v[10:11]
.LBB39_936:
	s_or_b64 exec, exec, s[12:13]
.LBB39_937:
	s_or_b64 exec, exec, s[0:1]
	s_and_saveexec_b64 s[0:1], s[28:29]
; %bb.938:
	v_xor_b32_e32 v24, 0x80000000, v11
	v_mov_b32_e32 v23, v10
	ds_write_b64 v14, v[23:24]
; %bb.939:
	s_or_b64 exec, exec, s[0:1]
	s_waitcnt lgkmcnt(0)
	s_barrier
	s_and_saveexec_b64 s[0:1], s[26:27]
	s_cbranch_execz .LBB39_941
; %bb.940:
	v_mov_b32_e32 v23, 0
	ds_read_b64 v[23:24], v23 offset:6752
	ds_read_b64 v[25:26], v14
	s_waitcnt lgkmcnt(0)
	v_fma_f64 v[10:11], -v[23:24], v[25:26], v[10:11]
.LBB39_941:
	s_or_b64 exec, exec, s[0:1]
	s_barrier
	s_and_saveexec_b64 s[0:1], s[26:27]
; %bb.942:
	v_xor_b32_e32 v24, 0x80000000, v11
	v_mov_b32_e32 v23, v10
	ds_write_b64 v14, v[23:24]
; %bb.943:
	s_or_b64 exec, exec, s[0:1]
	s_waitcnt lgkmcnt(0)
	s_barrier
	s_barrier
	s_and_saveexec_b64 s[0:1], s[2:3]
; %bb.944:
	v_lshlrev_b32_e32 v23, 3, v12
	v_lshl_or_b32 v23, v13, 9, v23
	ds_write_b64 v23, v[10:11] offset:7264
; %bb.945:
	s_or_b64 exec, exec, s[0:1]
	s_waitcnt lgkmcnt(0)
	s_barrier
	s_barrier
	s_and_saveexec_b64 s[0:1], s[30:31]
	s_cbranch_execz .LBB39_947
; %bb.946:
	v_lshlrev_b32_e32 v23, 3, v0
	s_movk_i32 s10, 0x1f8
	v_mad_u32_u24 v24, v0, s10, v23
	ds_read_b64 v[10:11], v24 offset:7264
	s_waitcnt lgkmcnt(0)
	ds_write_b64 v23, v[10:11] offset:6256
	ds_read_b64 v[10:11], v24 offset:7272
	s_waitcnt lgkmcnt(0)
	ds_write_b64 v23, v[10:11] offset:6768
.LBB39_947:
	s_or_b64 exec, exec, s[0:1]
	s_waitcnt lgkmcnt(0)
	s_barrier
	s_and_saveexec_b64 s[0:1], vcc
	s_cbranch_execz .LBB39_949
; %bb.948:
	v_mov_b32_e32 v23, 0
	ds_read_b64 v[25:26], v23 offset:6752
	v_mov_b32_e32 v24, 0x3ff00000
	ds_write_b64 v23, v[23:24] offset:6760
	s_waitcnt lgkmcnt(1)
	ds_write_b128 v23, v[23:26] offset:6240
.LBB39_949:
	s_or_b64 exec, exec, s[0:1]
	v_mov_b32_e32 v10, 0
	v_mov_b32_e32 v11, 0
	s_waitcnt lgkmcnt(0)
	s_barrier
	buffer_wbinvl1_vol
	s_and_saveexec_b64 s[0:1], s[18:19]
	s_cbranch_execz .LBB39_955
; %bb.950:
	v_lshlrev_b32_e32 v24, 3, v16
	v_lshlrev_b32_e32 v23, 9, v17
	ds_read_b64 v[10:11], v24 offset:6208
	ds_read_b64 v[25:26], v23 offset:6240
	v_cmp_gt_u32_e64 s[10:11], 12, v15
	s_waitcnt lgkmcnt(0)
	v_fma_f64 v[10:11], v[10:11], v[25:26], 0
	s_and_saveexec_b64 s[12:13], s[10:11]
	s_cbranch_execnz .LBB39_1212
; %bb.951:
	s_or_b64 exec, exec, s[12:13]
	v_cmp_gt_u32_e64 s[10:11], 8, v15
	s_and_saveexec_b64 s[12:13], s[10:11]
	s_cbranch_execnz .LBB39_1213
.LBB39_952:
	s_or_b64 exec, exec, s[12:13]
	v_cmp_gt_u32_e64 s[10:11], 4, v15
	s_and_saveexec_b64 s[12:13], s[10:11]
	s_cbranch_execz .LBB39_954
.LBB39_953:
	v_lshlrev_b32_e32 v23, 3, v0
	v_mov_b32_e32 v25, 0
	ds_read_b64 v[23:24], v23 offset:7744
	ds_read_b64 v[25:26], v25 offset:7800
	s_waitcnt lgkmcnt(0)
	v_fma_f64 v[10:11], v[23:24], v[25:26], v[10:11]
.LBB39_954:
	s_or_b64 exec, exec, s[12:13]
.LBB39_955:
	s_or_b64 exec, exec, s[0:1]
	s_and_saveexec_b64 s[0:1], s[36:37]
; %bb.956:
	v_xor_b32_e32 v24, 0x80000000, v11
	v_mov_b32_e32 v23, v10
	ds_write_b64 v19, v[23:24]
; %bb.957:
	s_or_b64 exec, exec, s[0:1]
	s_waitcnt lgkmcnt(0)
	s_barrier
	s_and_saveexec_b64 s[0:1], s[38:39]
	s_cbranch_execz .LBB39_959
; %bb.958:
	v_lshlrev_b32_e32 v23, 3, v16
	ds_read_b64 v[23:24], v23 offset:5696
	ds_read_b64 v[25:26], v19
	s_waitcnt lgkmcnt(0)
	v_fma_f64 v[10:11], -v[23:24], v[25:26], v[10:11]
.LBB39_959:
	s_or_b64 exec, exec, s[0:1]
	s_barrier
	s_and_saveexec_b64 s[0:1], s[42:43]
; %bb.960:
	v_xor_b32_e32 v24, 0x80000000, v11
	v_mov_b32_e32 v23, v10
	ds_write_b64 v19, v[23:24]
; %bb.961:
	s_or_b64 exec, exec, s[0:1]
	s_waitcnt lgkmcnt(0)
	s_barrier
	s_and_saveexec_b64 s[0:1], s[52:53]
	s_cbranch_execz .LBB39_963
; %bb.962:
	v_lshlrev_b32_e32 v23, 3, v16
	ds_read_b64 v[23:24], v23 offset:5184
	ds_read_b64 v[25:26], v19
	s_waitcnt lgkmcnt(0)
	v_fma_f64 v[10:11], -v[23:24], v[25:26], v[10:11]
.LBB39_963:
	s_or_b64 exec, exec, s[0:1]
	s_barrier
	s_and_saveexec_b64 s[0:1], s[54:55]
; %bb.964:
	v_xor_b32_e32 v24, 0x80000000, v11
	v_mov_b32_e32 v23, v10
	ds_write_b64 v19, v[23:24]
; %bb.965:
	s_or_b64 exec, exec, s[0:1]
	s_waitcnt lgkmcnt(0)
	s_barrier
	s_and_saveexec_b64 s[0:1], s[34:35]
	s_cbranch_execz .LBB39_967
; %bb.966:
	v_mov_b32_e32 v23, 0
	ds_read_b64 v[23:24], v23 offset:4672
	ds_read_b64 v[25:26], v19
	s_waitcnt lgkmcnt(0)
	v_fma_f64 v[10:11], -v[23:24], v[25:26], v[10:11]
.LBB39_967:
	s_or_b64 exec, exec, s[0:1]
	s_barrier
	s_and_saveexec_b64 s[0:1], s[34:35]
; %bb.968:
	v_xor_b32_e32 v24, 0x80000000, v11
	v_mov_b32_e32 v23, v10
	ds_write_b64 v19, v[23:24]
; %bb.969:
	s_or_b64 exec, exec, s[0:1]
	s_waitcnt lgkmcnt(0)
	s_barrier
	s_barrier
	s_and_saveexec_b64 s[0:1], s[18:19]
; %bb.970:
	v_lshlrev_b32_e32 v23, 3, v16
	v_lshl_or_b32 v23, v17, 9, v23
	ds_write_b64 v23, v[10:11] offset:6208
; %bb.971:
	s_or_b64 exec, exec, s[0:1]
	s_waitcnt lgkmcnt(0)
	s_barrier
	s_barrier
	s_and_saveexec_b64 s[0:1], s[56:57]
	s_cbranch_execz .LBB39_973
; %bb.972:
	v_lshlrev_b32_e32 v23, 9, v0
	ds_read_b64 v[10:11], v23 offset:6208
	s_movk_i32 s10, 0xfe08
	v_mad_i32_i24 v24, v0, s10, v23
	s_waitcnt lgkmcnt(0)
	ds_write_b64 v24, v[10:11] offset:4192
	ds_read_b64 v[10:11], v23 offset:6216
	s_waitcnt lgkmcnt(0)
	ds_write_b64 v24, v[10:11] offset:4704
	ds_read_b64 v[10:11], v23 offset:6224
	;; [unrolled: 3-line block ×3, first 2 shown]
	s_waitcnt lgkmcnt(0)
	ds_write_b64 v24, v[10:11] offset:5728
.LBB39_973:
	s_or_b64 exec, exec, s[0:1]
	s_waitcnt lgkmcnt(0)
	s_barrier
	s_and_saveexec_b64 s[0:1], vcc
	s_cbranch_execz .LBB39_975
; %bb.974:
	v_mov_b32_e32 v23, 0
	ds_read_b64 v[25:26], v23 offset:5712
	v_mov_b32_e32 v24, 0x3ff00000
	ds_write_b64 v23, v[23:24] offset:5720
	s_waitcnt lgkmcnt(1)
	ds_write_b128 v23, v[23:26] offset:5200
.LBB39_975:
	s_or_b64 exec, exec, s[0:1]
	v_mov_b32_e32 v10, 0
	v_mov_b32_e32 v11, 0
	s_waitcnt lgkmcnt(0)
	s_barrier
	buffer_wbinvl1_vol
	s_and_saveexec_b64 s[0:1], s[2:3]
	s_cbranch_execz .LBB39_979
; %bb.976:
	v_lshlrev_b32_e32 v23, 9, v13
	v_lshlrev_b32_e32 v10, 3, v12
	ds_read_b64 v[10:11], v10 offset:5184
	ds_read_b64 v[23:24], v23 offset:5200
	v_cmp_gt_u32_e64 s[10:11], 2, v15
	s_waitcnt lgkmcnt(0)
	v_fma_f64 v[10:11], v[10:11], v[23:24], 0
	s_and_saveexec_b64 s[12:13], s[10:11]
	s_cbranch_execz .LBB39_978
; %bb.977:
	v_lshlrev_b32_e32 v23, 3, v0
	v_mov_b32_e32 v25, 0
	ds_read_b64 v[23:24], v23 offset:5696
	ds_read_b64 v[25:26], v25 offset:5720
	s_waitcnt lgkmcnt(0)
	v_fma_f64 v[10:11], v[23:24], v[25:26], v[10:11]
.LBB39_978:
	s_or_b64 exec, exec, s[12:13]
.LBB39_979:
	s_or_b64 exec, exec, s[0:1]
	s_and_saveexec_b64 s[0:1], s[28:29]
; %bb.980:
	v_xor_b32_e32 v24, 0x80000000, v11
	v_mov_b32_e32 v23, v10
	ds_write_b64 v14, v[23:24]
; %bb.981:
	s_or_b64 exec, exec, s[0:1]
	s_waitcnt lgkmcnt(0)
	s_barrier
	s_and_saveexec_b64 s[0:1], s[26:27]
	s_cbranch_execz .LBB39_983
; %bb.982:
	v_mov_b32_e32 v23, 0
	ds_read_b64 v[23:24], v23 offset:4672
	ds_read_b64 v[25:26], v14
	s_waitcnt lgkmcnt(0)
	v_fma_f64 v[10:11], -v[23:24], v[25:26], v[10:11]
.LBB39_983:
	s_or_b64 exec, exec, s[0:1]
	s_barrier
	s_and_saveexec_b64 s[0:1], s[26:27]
; %bb.984:
	v_xor_b32_e32 v24, 0x80000000, v11
	v_mov_b32_e32 v23, v10
	ds_write_b64 v14, v[23:24]
; %bb.985:
	s_or_b64 exec, exec, s[0:1]
	s_waitcnt lgkmcnt(0)
	s_barrier
	s_barrier
	s_and_saveexec_b64 s[0:1], s[2:3]
; %bb.986:
	v_lshlrev_b32_e32 v23, 3, v12
	v_lshl_or_b32 v23, v13, 9, v23
	ds_write_b64 v23, v[10:11] offset:5184
; %bb.987:
	s_or_b64 exec, exec, s[0:1]
	s_waitcnt lgkmcnt(0)
	s_barrier
	s_barrier
	s_and_saveexec_b64 s[0:1], s[30:31]
	s_cbranch_execz .LBB39_989
; %bb.988:
	v_lshlrev_b32_e32 v23, 3, v0
	s_movk_i32 s10, 0x1f8
	v_mad_u32_u24 v24, v0, s10, v23
	ds_read_b64 v[10:11], v24 offset:5184
	s_waitcnt lgkmcnt(0)
	ds_write_b64 v23, v[10:11] offset:4176
	ds_read_b64 v[10:11], v24 offset:5192
	s_waitcnt lgkmcnt(0)
	ds_write_b64 v23, v[10:11] offset:4688
.LBB39_989:
	s_or_b64 exec, exec, s[0:1]
	s_waitcnt lgkmcnt(0)
	s_barrier
	s_and_saveexec_b64 s[0:1], vcc
	s_cbranch_execz .LBB39_991
; %bb.990:
	v_mov_b32_e32 v23, 0
	ds_read_b64 v[25:26], v23 offset:4672
	v_mov_b32_e32 v24, 0x3ff00000
	ds_write_b64 v23, v[23:24] offset:4680
	s_waitcnt lgkmcnt(1)
	ds_write_b128 v23, v[23:26] offset:4160
.LBB39_991:
	s_or_b64 exec, exec, s[0:1]
	v_mov_b32_e32 v10, 0
	v_mov_b32_e32 v11, 0
	s_waitcnt lgkmcnt(0)
	s_barrier
	buffer_wbinvl1_vol
	s_and_saveexec_b64 s[0:1], s[8:9]
	s_cbranch_execz .LBB39_1001
; %bb.992:
	v_lshlrev_b32_e32 v24, 3, v20
	v_lshlrev_b32_e32 v23, 9, v21
	ds_read_b64 v[10:11], v24 offset:4096
	ds_read_b64 v[25:26], v23 offset:4160
	v_cmp_gt_u32_e64 s[10:11], 56, v15
	s_waitcnt lgkmcnt(0)
	v_fma_f64 v[10:11], v[10:11], v[25:26], 0
	s_and_saveexec_b64 s[12:13], s[10:11]
	s_cbranch_execnz .LBB39_1214
; %bb.993:
	s_or_b64 exec, exec, s[12:13]
	v_cmp_gt_u32_e64 s[10:11], 48, v15
	s_and_saveexec_b64 s[12:13], s[10:11]
	s_cbranch_execnz .LBB39_1215
.LBB39_994:
	s_or_b64 exec, exec, s[12:13]
	v_cmp_gt_u32_e64 s[10:11], 40, v15
	s_and_saveexec_b64 s[12:13], s[10:11]
	s_cbranch_execnz .LBB39_1216
.LBB39_995:
	s_or_b64 exec, exec, s[12:13]
	v_cmp_gt_u32_e64 s[10:11], 32, v15
	s_and_saveexec_b64 s[12:13], s[10:11]
	s_cbranch_execnz .LBB39_1217
.LBB39_996:
	s_or_b64 exec, exec, s[12:13]
	v_cmp_gt_u32_e64 s[10:11], 24, v15
	s_and_saveexec_b64 s[12:13], s[10:11]
	s_cbranch_execnz .LBB39_1218
.LBB39_997:
	s_or_b64 exec, exec, s[12:13]
	s_and_saveexec_b64 s[10:11], s[18:19]
	s_cbranch_execnz .LBB39_1219
.LBB39_998:
	s_or_b64 exec, exec, s[10:11]
	v_cmp_gt_u32_e64 s[10:11], 8, v15
	s_and_saveexec_b64 s[12:13], s[10:11]
	s_cbranch_execz .LBB39_1000
.LBB39_999:
	v_lshlrev_b32_e32 v23, 3, v0
	v_mov_b32_e32 v25, 0
	ds_read_b64 v[23:24], v23 offset:7680
	ds_read_b64 v[25:26], v25 offset:7800
	s_waitcnt lgkmcnt(0)
	v_fma_f64 v[10:11], v[23:24], v[25:26], v[10:11]
.LBB39_1000:
	s_or_b64 exec, exec, s[12:13]
.LBB39_1001:
	s_or_b64 exec, exec, s[0:1]
	s_and_saveexec_b64 s[0:1], s[58:59]
; %bb.1002:
	v_xor_b32_e32 v24, 0x80000000, v11
	v_mov_b32_e32 v23, v10
	ds_write_b64 v22, v[23:24]
; %bb.1003:
	s_or_b64 exec, exec, s[0:1]
	s_waitcnt lgkmcnt(0)
	s_barrier
	s_and_saveexec_b64 s[0:1], s[60:61]
	v_readlane_b32 s58, v35, 0
	v_readlane_b32 s59, v35, 1
	s_cbranch_execz .LBB39_1005
; %bb.1004:
	v_lshlrev_b32_e32 v23, 3, v20
	ds_read_b64 v[23:24], v23 offset:3584
	ds_read_b64 v[25:26], v22
	s_waitcnt lgkmcnt(0)
	v_fma_f64 v[10:11], -v[23:24], v[25:26], v[10:11]
.LBB39_1005:
	s_or_b64 exec, exec, s[0:1]
	s_barrier
	s_and_saveexec_b64 s[0:1], s[62:63]
; %bb.1006:
	v_xor_b32_e32 v24, 0x80000000, v11
	v_mov_b32_e32 v23, v10
	ds_write_b64 v22, v[23:24]
; %bb.1007:
	s_or_b64 exec, exec, s[0:1]
	s_waitcnt lgkmcnt(0)
	s_barrier
	s_and_saveexec_b64 s[0:1], s[64:65]
	s_cbranch_execz .LBB39_1009
; %bb.1008:
	v_lshlrev_b32_e32 v23, 3, v20
	ds_read_b64 v[23:24], v23 offset:3072
	ds_read_b64 v[25:26], v22
	s_waitcnt lgkmcnt(0)
	v_fma_f64 v[10:11], -v[23:24], v[25:26], v[10:11]
.LBB39_1009:
	s_or_b64 exec, exec, s[0:1]
	s_barrier
	s_and_saveexec_b64 s[0:1], s[66:67]
; %bb.1010:
	v_xor_b32_e32 v24, 0x80000000, v11
	v_mov_b32_e32 v23, v10
	ds_write_b64 v22, v[23:24]
; %bb.1011:
	s_or_b64 exec, exec, s[0:1]
	s_waitcnt lgkmcnt(0)
	s_barrier
	s_and_saveexec_b64 s[0:1], s[70:71]
	;; [unrolled: 20-line block ×6, first 2 shown]
	s_cbranch_execz .LBB39_1029
; %bb.1028:
	v_mov_b32_e32 v23, 0
	ds_read_b64 v[23:24], v23 offset:512
	ds_read_b64 v[25:26], v22
	s_waitcnt lgkmcnt(0)
	v_fma_f64 v[10:11], -v[23:24], v[25:26], v[10:11]
.LBB39_1029:
	s_or_b64 exec, exec, s[0:1]
	s_barrier
	s_and_saveexec_b64 s[0:1], s[68:69]
; %bb.1030:
	v_xor_b32_e32 v24, 0x80000000, v11
	v_mov_b32_e32 v23, v10
	ds_write_b64 v22, v[23:24]
; %bb.1031:
	s_or_b64 exec, exec, s[0:1]
	s_waitcnt lgkmcnt(0)
	s_barrier
	s_barrier
	s_and_saveexec_b64 s[0:1], s[8:9]
; %bb.1032:
	v_lshlrev_b32_e32 v20, 3, v20
	v_lshl_or_b32 v20, v21, 9, v20
	ds_write_b64 v20, v[10:11] offset:4096
; %bb.1033:
	s_or_b64 exec, exec, s[0:1]
	s_waitcnt lgkmcnt(0)
	s_barrier
	s_barrier
	s_and_saveexec_b64 s[0:1], s[86:87]
	s_cbranch_execz .LBB39_1035
; %bb.1034:
	v_lshlrev_b32_e32 v20, 9, v0
	ds_read_b64 v[10:11], v20 offset:4096
	s_movk_i32 s8, 0xfe08
	v_mad_i32_i24 v21, v0, s8, v20
	s_waitcnt lgkmcnt(0)
	ds_write_b64 v21, v[10:11] offset:64
	ds_read_b64 v[10:11], v20 offset:4104
	s_waitcnt lgkmcnt(0)
	ds_write_b64 v21, v[10:11] offset:576
	ds_read_b64 v[10:11], v20 offset:4112
	;; [unrolled: 3-line block ×7, first 2 shown]
	s_waitcnt lgkmcnt(0)
	ds_write_b64 v21, v[10:11] offset:3648
.LBB39_1035:
	s_or_b64 exec, exec, s[0:1]
	s_waitcnt lgkmcnt(0)
	s_barrier
	s_and_saveexec_b64 s[0:1], vcc
	s_cbranch_execz .LBB39_1037
; %bb.1036:
	v_mov_b32_e32 v20, 0
	ds_read_b64 v[22:23], v20 offset:3632
	v_mov_b32_e32 v21, 0x3ff00000
	ds_write_b64 v20, v[20:21] offset:3640
	s_waitcnt lgkmcnt(1)
	ds_write_b128 v20, v[20:23] offset:3120
.LBB39_1037:
	s_or_b64 exec, exec, s[0:1]
	v_mov_b32_e32 v10, 0
	v_mov_b32_e32 v11, 0
	s_waitcnt lgkmcnt(0)
	s_barrier
	buffer_wbinvl1_vol
	s_and_saveexec_b64 s[0:1], s[2:3]
	s_cbranch_execz .LBB39_1041
; %bb.1038:
	v_lshlrev_b32_e32 v20, 9, v13
	v_lshlrev_b32_e32 v10, 3, v12
	ds_read_b64 v[10:11], v10 offset:3104
	ds_read_b64 v[20:21], v20 offset:3120
	v_cmp_gt_u32_e64 s[8:9], 2, v15
	s_waitcnt lgkmcnt(0)
	v_fma_f64 v[10:11], v[10:11], v[20:21], 0
	s_and_saveexec_b64 s[10:11], s[8:9]
	s_cbranch_execz .LBB39_1040
; %bb.1039:
	v_lshlrev_b32_e32 v20, 3, v0
	v_mov_b32_e32 v22, 0
	ds_read_b64 v[20:21], v20 offset:3616
	ds_read_b64 v[22:23], v22 offset:3640
	s_waitcnt lgkmcnt(0)
	v_fma_f64 v[10:11], v[20:21], v[22:23], v[10:11]
.LBB39_1040:
	s_or_b64 exec, exec, s[10:11]
.LBB39_1041:
	s_or_b64 exec, exec, s[0:1]
	s_and_saveexec_b64 s[0:1], s[28:29]
; %bb.1042:
	v_xor_b32_e32 v21, 0x80000000, v11
	v_mov_b32_e32 v20, v10
	ds_write_b64 v14, v[20:21]
; %bb.1043:
	s_or_b64 exec, exec, s[0:1]
	s_waitcnt lgkmcnt(0)
	s_barrier
	s_and_saveexec_b64 s[0:1], s[26:27]
	s_cbranch_execz .LBB39_1045
; %bb.1044:
	v_mov_b32_e32 v20, 0
	ds_read_b64 v[20:21], v20 offset:2592
	ds_read_b64 v[22:23], v14
	s_waitcnt lgkmcnt(0)
	v_fma_f64 v[10:11], -v[20:21], v[22:23], v[10:11]
.LBB39_1045:
	s_or_b64 exec, exec, s[0:1]
	s_barrier
	s_and_saveexec_b64 s[0:1], s[26:27]
; %bb.1046:
	v_xor_b32_e32 v21, 0x80000000, v11
	v_mov_b32_e32 v20, v10
	ds_write_b64 v14, v[20:21]
; %bb.1047:
	s_or_b64 exec, exec, s[0:1]
	s_waitcnt lgkmcnt(0)
	s_barrier
	s_barrier
	s_and_saveexec_b64 s[0:1], s[2:3]
; %bb.1048:
	v_lshlrev_b32_e32 v20, 3, v12
	v_lshl_or_b32 v20, v13, 9, v20
	ds_write_b64 v20, v[10:11] offset:3104
; %bb.1049:
	s_or_b64 exec, exec, s[0:1]
	s_waitcnt lgkmcnt(0)
	s_barrier
	s_barrier
	s_and_saveexec_b64 s[0:1], s[30:31]
	s_cbranch_execz .LBB39_1051
; %bb.1050:
	v_lshlrev_b32_e32 v20, 3, v0
	s_movk_i32 s8, 0x1f8
	v_mad_u32_u24 v21, v0, s8, v20
	ds_read_b64 v[10:11], v21 offset:3104
	s_waitcnt lgkmcnt(0)
	ds_write_b64 v20, v[10:11] offset:2096
	ds_read_b64 v[10:11], v21 offset:3112
	s_waitcnt lgkmcnt(0)
	ds_write_b64 v20, v[10:11] offset:2608
.LBB39_1051:
	s_or_b64 exec, exec, s[0:1]
	s_waitcnt lgkmcnt(0)
	s_barrier
	s_and_saveexec_b64 s[0:1], vcc
	s_cbranch_execz .LBB39_1053
; %bb.1052:
	v_mov_b32_e32 v20, 0
	ds_read_b64 v[22:23], v20 offset:2592
	v_mov_b32_e32 v21, 0x3ff00000
	ds_write_b64 v20, v[20:21] offset:2600
	s_waitcnt lgkmcnt(1)
	ds_write_b128 v20, v[20:23] offset:2080
.LBB39_1053:
	s_or_b64 exec, exec, s[0:1]
	v_mov_b32_e32 v10, 0
	v_mov_b32_e32 v11, 0
	s_waitcnt lgkmcnt(0)
	s_barrier
	buffer_wbinvl1_vol
	s_and_saveexec_b64 s[0:1], s[18:19]
	s_cbranch_execz .LBB39_1059
; %bb.1054:
	v_lshlrev_b32_e32 v21, 3, v16
	v_lshlrev_b32_e32 v20, 9, v17
	ds_read_b64 v[10:11], v21 offset:2048
	ds_read_b64 v[22:23], v20 offset:2080
	v_cmp_gt_u32_e64 s[8:9], 12, v15
	s_waitcnt lgkmcnt(0)
	v_fma_f64 v[10:11], v[10:11], v[22:23], 0
	s_and_saveexec_b64 s[10:11], s[8:9]
	s_cbranch_execnz .LBB39_1220
; %bb.1055:
	s_or_b64 exec, exec, s[10:11]
	v_cmp_gt_u32_e64 s[8:9], 8, v15
	s_and_saveexec_b64 s[10:11], s[8:9]
	s_cbranch_execnz .LBB39_1221
.LBB39_1056:
	s_or_b64 exec, exec, s[10:11]
	v_cmp_gt_u32_e64 s[8:9], 4, v15
	s_and_saveexec_b64 s[10:11], s[8:9]
	s_cbranch_execz .LBB39_1058
.LBB39_1057:
	v_lshlrev_b32_e32 v20, 3, v0
	v_mov_b32_e32 v22, 0
	ds_read_b64 v[20:21], v20 offset:3584
	ds_read_b64 v[22:23], v22 offset:3640
	s_waitcnt lgkmcnt(0)
	v_fma_f64 v[10:11], v[20:21], v[22:23], v[10:11]
.LBB39_1058:
	s_or_b64 exec, exec, s[10:11]
.LBB39_1059:
	s_or_b64 exec, exec, s[0:1]
	s_and_saveexec_b64 s[0:1], s[36:37]
; %bb.1060:
	v_xor_b32_e32 v21, 0x80000000, v11
	v_mov_b32_e32 v20, v10
	ds_write_b64 v19, v[20:21]
; %bb.1061:
	s_or_b64 exec, exec, s[0:1]
	s_waitcnt lgkmcnt(0)
	s_barrier
	s_and_saveexec_b64 s[0:1], s[38:39]
	s_load_dword s36, s[4:5], 0x6c
	s_cbranch_execz .LBB39_1063
; %bb.1062:
	v_lshlrev_b32_e32 v20, 3, v16
	ds_read_b64 v[20:21], v20 offset:1536
	ds_read_b64 v[22:23], v19
	s_waitcnt lgkmcnt(0)
	v_fma_f64 v[10:11], -v[20:21], v[22:23], v[10:11]
.LBB39_1063:
	s_or_b64 exec, exec, s[0:1]
	s_waitcnt lgkmcnt(0)
	s_barrier
	s_and_saveexec_b64 s[0:1], s[42:43]
; %bb.1064:
	v_xor_b32_e32 v21, 0x80000000, v11
	v_mov_b32_e32 v20, v10
	ds_write_b64 v19, v[20:21]
; %bb.1065:
	s_or_b64 exec, exec, s[0:1]
	s_waitcnt lgkmcnt(0)
	s_barrier
	s_and_saveexec_b64 s[0:1], s[52:53]
	s_cbranch_execz .LBB39_1067
; %bb.1066:
	v_lshlrev_b32_e32 v20, 3, v16
	ds_read_b64 v[20:21], v20 offset:1024
	ds_read_b64 v[22:23], v19
	s_waitcnt lgkmcnt(0)
	v_fma_f64 v[10:11], -v[20:21], v[22:23], v[10:11]
.LBB39_1067:
	s_or_b64 exec, exec, s[0:1]
	s_barrier
	s_and_saveexec_b64 s[0:1], s[54:55]
; %bb.1068:
	v_xor_b32_e32 v21, 0x80000000, v11
	v_mov_b32_e32 v20, v10
	ds_write_b64 v19, v[20:21]
; %bb.1069:
	s_or_b64 exec, exec, s[0:1]
	s_waitcnt lgkmcnt(0)
	s_barrier
	s_and_saveexec_b64 s[0:1], s[34:35]
	s_cbranch_execz .LBB39_1071
; %bb.1070:
	v_mov_b32_e32 v20, 0
	ds_read_b64 v[20:21], v20 offset:512
	ds_read_b64 v[22:23], v19
	s_waitcnt lgkmcnt(0)
	v_fma_f64 v[10:11], -v[20:21], v[22:23], v[10:11]
.LBB39_1071:
	s_or_b64 exec, exec, s[0:1]
	s_barrier
	s_and_saveexec_b64 s[0:1], s[34:35]
; %bb.1072:
	v_xor_b32_e32 v21, 0x80000000, v11
	v_mov_b32_e32 v20, v10
	ds_write_b64 v19, v[20:21]
; %bb.1073:
	s_or_b64 exec, exec, s[0:1]
	s_waitcnt lgkmcnt(0)
	s_barrier
	s_barrier
	s_and_saveexec_b64 s[0:1], s[18:19]
; %bb.1074:
	v_lshlrev_b32_e32 v16, 3, v16
	v_lshl_or_b32 v16, v17, 9, v16
	ds_write_b64 v16, v[10:11] offset:2048
; %bb.1075:
	s_or_b64 exec, exec, s[0:1]
	s_waitcnt lgkmcnt(0)
	s_barrier
	s_barrier
	s_and_saveexec_b64 s[0:1], s[56:57]
	s_cbranch_execz .LBB39_1077
; %bb.1076:
	v_lshlrev_b32_e32 v16, 9, v0
	ds_read_b64 v[10:11], v16 offset:2048
	s_movk_i32 s8, 0xfe08
	v_mad_i32_i24 v17, v0, s8, v16
	s_waitcnt lgkmcnt(0)
	ds_write_b64 v17, v[10:11] offset:32
	ds_read_b64 v[10:11], v16 offset:2056
	s_waitcnt lgkmcnt(0)
	ds_write_b64 v17, v[10:11] offset:544
	ds_read_b64 v[10:11], v16 offset:2064
	s_waitcnt lgkmcnt(0)
	ds_write_b64 v17, v[10:11] offset:1056
	ds_read_b64 v[10:11], v16 offset:2072
	s_waitcnt lgkmcnt(0)
	ds_write_b64 v17, v[10:11] offset:1568
.LBB39_1077:
	s_or_b64 exec, exec, s[0:1]
	s_waitcnt lgkmcnt(0)
	s_barrier
	s_and_saveexec_b64 s[0:1], vcc
	s_cbranch_execz .LBB39_1079
; %bb.1078:
	v_mov_b32_e32 v19, 0
	ds_read_b64 v[21:22], v19 offset:1552
	v_mov_b32_e32 v20, 0x3ff00000
	ds_write_b64 v19, v[19:20] offset:1560
	s_waitcnt lgkmcnt(1)
	ds_write_b128 v19, v[19:22] offset:1040
.LBB39_1079:
	s_or_b64 exec, exec, s[0:1]
	v_mov_b32_e32 v10, 0
	v_mov_b32_e32 v11, 0
	s_waitcnt lgkmcnt(0)
	s_barrier
	buffer_wbinvl1_vol
	s_and_saveexec_b64 s[0:1], s[2:3]
	s_cbranch_execz .LBB39_1083
; %bb.1080:
	v_lshlrev_b32_e32 v16, 9, v13
	v_lshlrev_b32_e32 v10, 3, v12
	ds_read_b64 v[10:11], v10 offset:1024
	ds_read_b64 v[16:17], v16 offset:1040
	v_cmp_gt_u32_e64 s[8:9], 2, v15
	s_waitcnt lgkmcnt(0)
	v_fma_f64 v[10:11], v[10:11], v[16:17], 0
	s_and_saveexec_b64 s[10:11], s[8:9]
	s_cbranch_execz .LBB39_1082
; %bb.1081:
	v_lshlrev_b32_e32 v15, 3, v0
	v_mov_b32_e32 v17, 0
	ds_read_b64 v[15:16], v15 offset:1536
	ds_read_b64 v[19:20], v17 offset:1560
	s_waitcnt lgkmcnt(0)
	v_fma_f64 v[10:11], v[15:16], v[19:20], v[10:11]
.LBB39_1082:
	s_or_b64 exec, exec, s[10:11]
.LBB39_1083:
	s_or_b64 exec, exec, s[0:1]
	s_and_saveexec_b64 s[0:1], s[28:29]
; %bb.1084:
	v_xor_b32_e32 v16, 0x80000000, v11
	v_mov_b32_e32 v15, v10
	ds_write_b64 v14, v[15:16]
; %bb.1085:
	s_or_b64 exec, exec, s[0:1]
	s_waitcnt lgkmcnt(0)
	s_barrier
	s_and_saveexec_b64 s[0:1], s[26:27]
	s_cbranch_execz .LBB39_1087
; %bb.1086:
	v_mov_b32_e32 v15, 0
	ds_read_b64 v[15:16], v15 offset:512
	ds_read_b64 v[19:20], v14
	s_waitcnt lgkmcnt(0)
	v_fma_f64 v[10:11], -v[15:16], v[19:20], v[10:11]
.LBB39_1087:
	s_or_b64 exec, exec, s[0:1]
	s_barrier
	s_and_saveexec_b64 s[0:1], s[26:27]
; %bb.1088:
	v_xor_b32_e32 v16, 0x80000000, v11
	v_mov_b32_e32 v15, v10
	ds_write_b64 v14, v[15:16]
; %bb.1089:
	s_or_b64 exec, exec, s[0:1]
	s_waitcnt lgkmcnt(0)
	s_barrier
	s_barrier
	s_and_saveexec_b64 s[0:1], s[2:3]
; %bb.1090:
	v_lshlrev_b32_e32 v12, 3, v12
	v_lshl_or_b32 v12, v13, 9, v12
	ds_write_b64 v12, v[10:11] offset:1024
; %bb.1091:
	s_or_b64 exec, exec, s[0:1]
	s_waitcnt lgkmcnt(0)
	s_barrier
	s_barrier
	s_and_saveexec_b64 s[0:1], s[30:31]
	s_cbranch_execz .LBB39_1093
; %bb.1092:
	v_lshlrev_b32_e32 v12, 3, v0
	s_movk_i32 s2, 0x1f8
	v_mad_u32_u24 v13, v0, s2, v12
	ds_read_b64 v[10:11], v13 offset:1024
	s_waitcnt lgkmcnt(0)
	ds_write_b64 v12, v[10:11] offset:16
	ds_read_b64 v[10:11], v13 offset:1032
	s_waitcnt lgkmcnt(0)
	ds_write_b64 v12, v[10:11] offset:528
.LBB39_1093:
	s_or_b64 exec, exec, s[0:1]
	s_waitcnt lgkmcnt(0)
	s_barrier
	s_and_saveexec_b64 s[0:1], vcc
	s_cbranch_execz .LBB39_1095
; %bb.1094:
	v_mov_b32_e32 v10, 0
	ds_read_b64 v[12:13], v10 offset:512
	v_mov_b32_e32 v11, 0x3ff00000
	ds_write_b64 v10, v[10:11] offset:520
	s_waitcnt lgkmcnt(1)
	ds_write_b128 v10, v[10:13]
.LBB39_1095:
	s_or_b64 exec, exec, s[0:1]
.LBB39_1096:
	s_load_dwordx4 s[12:15], s[4:5], 0x48
	v_cmp_le_i32_e32 vcc, s7, v0
	v_mov_b32_e32 v10, 0
	v_mov_b32_e32 v11, 0
	v_lshl_add_u32 v12, s6, 6, v0
	s_waitcnt lgkmcnt(0)
	s_mul_i32 s1, s13, s22
	s_mul_hi_u32 s2, s12, s22
	s_mul_i32 s0, s12, s22
	s_add_i32 s1, s2, s1
	s_lshl_b64 s[0:1], s[0:1], 3
	s_add_u32 s2, s46, s0
	s_addc_u32 s3, s47, s1
	s_lshl_b64 s[0:1], s[48:49], 3
	s_add_u32 s20, s2, s0
	s_addc_u32 s21, s3, s1
	s_and_b64 s[16:17], vcc, s[24:25]
	v_cmp_eq_u32_e64 s[2:3], 0, v1
	s_xor_b64 s[0:1], s[16:17], -1
	s_and_b64 s[4:5], s[2:3], s[0:1]
	s_barrier
	s_and_saveexec_b64 s[0:1], s[4:5]
	s_cbranch_execz .LBB39_1098
; %bb.1097:
	v_ashrrev_i32_e32 v13, 31, v12
	v_mul_lo_u32 v14, s51, v12
	v_mad_u64_u32 v[10:11], s[4:5], s50, v12, 0
	v_mul_lo_u32 v13, s50, v13
	v_add3_u32 v11, v11, v13, v14
	v_lshlrev_b64 v[10:11], 3, v[10:11]
	v_mov_b32_e32 v13, s21
	v_add_co_u32_e32 v10, vcc, s20, v10
	v_addc_co_u32_e32 v11, vcc, v13, v11, vcc
	global_load_dwordx2 v[10:11], v[10:11], off
	s_waitcnt vmcnt(0)
	v_mul_f64 v[10:11], v[10:11], -s[44:45]
.LBB39_1098:
	s_or_b64 exec, exec, s[0:1]
	s_and_b32 s0, 0xffff, s36
	v_mad_u32_u24 v19, v1, s0, v0
	v_mov_b32_e32 v13, 0
	s_cmp_lt_i32 s6, 1
	v_cmp_eq_u32_e64 s[4:5], 0, v19
	s_cbranch_scc1 .LBB39_1124
; %bb.1099:
	v_mad_u64_u32 v[14:15], s[0:1], s40, v12, 0
	v_cmp_gt_i32_e64 s[8:9], s33, v12
	s_mov_b32 s26, 0
	v_mad_u64_u32 v[15:16], s[0:1], s41, v12, v[15:16]
	s_lshl_b64 s[0:1], s[22:23], 2
	s_add_u32 s0, s14, s0
	v_lshlrev_b64 v[14:15], 3, v[14:15]
	v_mov_b32_e32 v16, 0xa000
	v_mov_b32_e32 v12, s89
	v_add_co_u32_e32 v22, vcc, s88, v14
	s_addc_u32 s1, s15, s1
	v_cmp_gt_u32_e64 s[12:13], 64, v19
	v_lshl_add_u32 v20, v19, 3, v16
	v_lshl_or_b32 v21, v1, 3, v16
	s_add_i32 s27, s6, -1
	v_addc_co_u32_e32 v23, vcc, v12, v15, vcc
	v_mov_b32_e32 v24, -1
	s_branch .LBB39_1102
.LBB39_1100:                            ;   in Loop: Header=BB39_1102 Depth=1
	ds_read_b64 v[14:15], v21 offset:384
	s_waitcnt vmcnt(0) lgkmcnt(0)
	v_fma_f64 v[10:11], v[16:17], v[14:15], v[10:11]
.LBB39_1101:                            ;   in Loop: Header=BB39_1102 Depth=1
	s_or_b64 exec, exec, s[18:19]
	s_add_i32 s26, s26, 1
	s_cmp_eq_u32 s26, s6
	s_cbranch_scc1 .LBB39_1124
.LBB39_1102:                            ; =>This Loop Header: Depth=1
                                        ;     Child Loop BB39_1104 Depth 2
	v_cmp_gt_i32_e32 vcc, s26, v24
	s_and_b64 s[18:19], s[4:5], vcc
	s_and_saveexec_b64 s[10:11], s[18:19]
	s_cbranch_execz .LBB39_1105
; %bb.1103:                             ;   in Loop: Header=BB39_1102 Depth=1
	global_load_dword v24, v13, s[0:1]
	s_waitcnt vmcnt(0)
	v_cmp_le_i32_e32 vcc, s26, v24
	s_cbranch_vccnz .LBB39_1105
.LBB39_1104:                            ;   Parent Loop BB39_1102 Depth=1
                                        ; =>  This Inner Loop Header: Depth=2
	buffer_wbinvl1_vol
	global_load_dword v24, v13, s[0:1]
	s_waitcnt vmcnt(0)
	v_cmp_gt_i32_e32 vcc, s26, v24
	s_cbranch_vccnz .LBB39_1104
.LBB39_1105:                            ;   in Loop: Header=BB39_1102 Depth=1
	s_or_b64 exec, exec, s[10:11]
	s_lshl_b32 s28, s26, 6
	buffer_wbinvl1_vol
	s_barrier
	s_and_saveexec_b64 s[10:11], s[12:13]
	s_cbranch_execz .LBB39_1109
; %bb.1106:                             ;   in Loop: Header=BB39_1102 Depth=1
	v_or_b32_e32 v12, s28, v19
	v_mov_b32_e32 v14, 0
	v_mov_b32_e32 v15, 0
	v_cmp_gt_i32_e32 vcc, s33, v12
	s_and_saveexec_b64 s[18:19], vcc
	s_cbranch_execz .LBB39_1108
; %bb.1107:                             ;   in Loop: Header=BB39_1102 Depth=1
	v_mad_u64_u32 v[14:15], s[30:31], s50, v12, 0
	v_mad_u64_u32 v[15:16], s[30:31], s51, v12, v[15:16]
	v_mov_b32_e32 v12, s21
	v_lshlrev_b64 v[14:15], 3, v[14:15]
	v_add_co_u32_e32 v14, vcc, s20, v14
	v_addc_co_u32_e32 v15, vcc, v12, v15, vcc
	global_load_dwordx2 v[14:15], v[14:15], off
.LBB39_1108:                            ;   in Loop: Header=BB39_1102 Depth=1
	s_or_b64 exec, exec, s[18:19]
	s_waitcnt vmcnt(0)
	ds_write_b64 v20, v[14:15]
.LBB39_1109:                            ;   in Loop: Header=BB39_1102 Depth=1
	s_or_b64 exec, exec, s[10:11]
	v_add_u32_e32 v12, s28, v1
	v_lshlrev_b64 v[14:15], 3, v[12:13]
	s_cmp_lg_u32 s26, s27
	v_add_co_u32_e32 v14, vcc, v22, v14
	s_cselect_b64 s[10:11], -1, 0
	v_addc_co_u32_e32 v15, vcc, v23, v15, vcc
	v_cmp_gt_i32_e32 vcc, s33, v12
	v_cndmask_b32_e64 v16, 0, 1, s[10:11]
	s_and_b64 s[28:29], vcc, s[8:9]
	v_cmp_ne_u32_e64 s[10:11], 1, v16
	s_waitcnt lgkmcnt(0)
	s_barrier
	s_and_saveexec_b64 s[18:19], s[28:29]
	s_cbranch_execz .LBB39_1113
; %bb.1110:                             ;   in Loop: Header=BB39_1102 Depth=1
	v_mov_b32_e32 v17, v5
	s_and_b64 vcc, exec, s[10:11]
	v_mov_b32_e32 v16, v4
	s_cbranch_vccnz .LBB39_1112
; %bb.1111:                             ;   in Loop: Header=BB39_1102 Depth=1
	global_load_dwordx2 v[16:17], v[14:15], off
.LBB39_1112:                            ;   in Loop: Header=BB39_1102 Depth=1
	ds_read_b64 v[25:26], v21
	s_waitcnt vmcnt(0) lgkmcnt(0)
	v_fma_f64 v[10:11], v[16:17], v[25:26], v[10:11]
.LBB39_1113:                            ;   in Loop: Header=BB39_1102 Depth=1
	s_or_b64 exec, exec, s[18:19]
	v_add_u32_e32 v16, 16, v12
	v_cmp_gt_i32_e32 vcc, s33, v16
	s_and_b64 s[28:29], vcc, s[8:9]
	s_and_saveexec_b64 s[18:19], s[28:29]
	s_cbranch_execz .LBB39_1117
; %bb.1114:                             ;   in Loop: Header=BB39_1102 Depth=1
	v_mov_b32_e32 v17, v3
	s_and_b64 vcc, exec, s[10:11]
	v_mov_b32_e32 v16, v2
	s_cbranch_vccnz .LBB39_1116
; %bb.1115:                             ;   in Loop: Header=BB39_1102 Depth=1
	global_load_dwordx2 v[16:17], v[14:15], off offset:128
.LBB39_1116:                            ;   in Loop: Header=BB39_1102 Depth=1
	ds_read_b64 v[25:26], v21 offset:128
	s_waitcnt vmcnt(0) lgkmcnt(0)
	v_fma_f64 v[10:11], v[16:17], v[25:26], v[10:11]
.LBB39_1117:                            ;   in Loop: Header=BB39_1102 Depth=1
	s_or_b64 exec, exec, s[18:19]
	v_add_u32_e32 v16, 32, v12
	v_cmp_gt_i32_e32 vcc, s33, v16
	s_and_b64 s[28:29], vcc, s[8:9]
	s_and_saveexec_b64 s[18:19], s[28:29]
	s_cbranch_execz .LBB39_1121
; %bb.1118:                             ;   in Loop: Header=BB39_1102 Depth=1
	v_mov_b32_e32 v17, v9
	s_and_b64 vcc, exec, s[10:11]
	v_mov_b32_e32 v16, v8
	s_cbranch_vccnz .LBB39_1120
; %bb.1119:                             ;   in Loop: Header=BB39_1102 Depth=1
	global_load_dwordx2 v[16:17], v[14:15], off offset:256
.LBB39_1120:                            ;   in Loop: Header=BB39_1102 Depth=1
	ds_read_b64 v[25:26], v21 offset:256
	s_waitcnt vmcnt(0) lgkmcnt(0)
	v_fma_f64 v[10:11], v[16:17], v[25:26], v[10:11]
.LBB39_1121:                            ;   in Loop: Header=BB39_1102 Depth=1
	s_or_b64 exec, exec, s[18:19]
	v_add_u32_e32 v12, 48, v12
	v_cmp_gt_i32_e32 vcc, s33, v12
	s_and_b64 s[28:29], vcc, s[8:9]
	s_and_saveexec_b64 s[18:19], s[28:29]
	s_cbranch_execz .LBB39_1101
; %bb.1122:                             ;   in Loop: Header=BB39_1102 Depth=1
	v_mov_b32_e32 v17, v7
	s_and_b64 vcc, exec, s[10:11]
	v_mov_b32_e32 v16, v6
	s_cbranch_vccnz .LBB39_1100
; %bb.1123:                             ;   in Loop: Header=BB39_1102 Depth=1
	global_load_dwordx2 v[16:17], v[14:15], off offset:384
	s_branch .LBB39_1100
.LBB39_1124:
	v_lshl_add_u32 v2, v1, 6, v0
	s_xor_b64 s[0:1], s[24:25], -1
	v_lshlrev_b32_e32 v4, 3, v2
	ds_write_b64 v4, v[10:11] offset:32768
	s_waitcnt lgkmcnt(0)
	s_barrier
	s_and_saveexec_b64 s[4:5], s[2:3]
	s_cbranch_execz .LBB39_1126
; %bb.1125:
	v_lshlrev_b32_e32 v15, 3, v0
	ds_read2st64_b64 v[5:8], v15 offset0:65 offset1:66
	ds_read_b64 v[2:3], v15 offset:40448
	s_waitcnt lgkmcnt(1)
	v_add_f64 v[5:6], v[10:11], v[5:6]
	v_add_f64 v[13:14], v[5:6], v[7:8]
	ds_read2st64_b64 v[5:8], v15 offset0:67 offset1:68
	ds_read2st64_b64 v[9:12], v15 offset0:69 offset1:70
	s_waitcnt lgkmcnt(1)
	v_add_f64 v[5:6], v[13:14], v[5:6]
	v_add_f64 v[5:6], v[5:6], v[7:8]
	s_waitcnt lgkmcnt(0)
	v_add_f64 v[5:6], v[5:6], v[9:10]
	v_add_f64 v[13:14], v[5:6], v[11:12]
	ds_read2st64_b64 v[5:8], v15 offset0:71 offset1:72
	ds_read2st64_b64 v[9:12], v15 offset0:73 offset1:74
	s_waitcnt lgkmcnt(1)
	v_add_f64 v[5:6], v[13:14], v[5:6]
	v_add_f64 v[5:6], v[5:6], v[7:8]
	;; [unrolled: 8-line block ×3, first 2 shown]
	s_waitcnt lgkmcnt(0)
	v_add_f64 v[5:6], v[5:6], v[9:10]
	v_add_f64 v[5:6], v[5:6], v[11:12]
	;; [unrolled: 1-line block ×3, first 2 shown]
	v_xor_b32_e32 v3, 0x80000000, v3
	v_cndmask_b32_e64 v11, v3, 0, s[16:17]
	v_cndmask_b32_e64 v10, v2, 0, s[16:17]
.LBB39_1126:
	s_or_b64 exec, exec, s[4:5]
	s_and_b64 vcc, exec, s[58:59]
	s_cbranch_vccnz .LBB39_1140
; %bb.1127:
	v_mov_b32_e32 v2, 0xa000
	v_lshl_or_b32 v5, v1, 3, v2
	s_and_saveexec_b64 s[4:5], s[2:3]
; %bb.1128:
	v_lshl_add_u32 v2, v0, 3, v5
	ds_write_b64 v2, v[10:11]
; %bb.1129:
	s_or_b64 exec, exec, s[4:5]
	v_mov_b32_e32 v2, 0
	v_mov_b32_e32 v3, 0
	v_cmp_le_u32_e32 vcc, v1, v0
	s_waitcnt lgkmcnt(0)
	s_barrier
	s_and_saveexec_b64 s[4:5], vcc
	s_cbranch_execz .LBB39_1131
; %bb.1130:
	ds_read_b64 v[2:3], v4
	ds_read_b64 v[6:7], v5
	s_waitcnt lgkmcnt(0)
	v_fma_f64 v[2:3], v[2:3], v[6:7], 0
.LBB39_1131:
	s_or_b64 exec, exec, s[4:5]
	v_add_u32_e32 v6, 16, v1
	v_cmp_ge_u32_e32 vcc, v0, v6
	s_and_saveexec_b64 s[4:5], vcc
	s_cbranch_execz .LBB39_1133
; %bb.1132:
	ds_read_b64 v[6:7], v4 offset:8192
	ds_read_b64 v[8:9], v5 offset:128
	s_waitcnt lgkmcnt(0)
	v_fma_f64 v[2:3], v[6:7], v[8:9], v[2:3]
.LBB39_1133:
	s_or_b64 exec, exec, s[4:5]
	v_add_u32_e32 v6, 32, v1
	v_cmp_ge_u32_e32 vcc, v0, v6
	s_and_saveexec_b64 s[4:5], vcc
	s_cbranch_execz .LBB39_1135
; %bb.1134:
	ds_read_b64 v[6:7], v4 offset:16384
	ds_read_b64 v[8:9], v5 offset:256
	s_waitcnt lgkmcnt(0)
	v_fma_f64 v[2:3], v[6:7], v[8:9], v[2:3]
.LBB39_1135:
	s_or_b64 exec, exec, s[4:5]
	v_add_u32_e32 v1, 48, v1
	v_add_u32_e32 v6, 0x8000, v4
	v_cmp_ge_u32_e32 vcc, v0, v1
	s_and_saveexec_b64 s[4:5], vcc
	s_cbranch_execz .LBB39_1137
; %bb.1136:
	ds_read_b64 v[7:8], v4 offset:24576
	ds_read_b64 v[4:5], v5 offset:384
	s_waitcnt lgkmcnt(0)
	v_fma_f64 v[2:3], v[7:8], v[4:5], v[2:3]
.LBB39_1137:
	s_or_b64 exec, exec, s[4:5]
	s_mov_b64 s[8:9], 0
	s_mov_b64 s[4:5], 0
	ds_write_b64 v6, v[2:3]
	s_waitcnt lgkmcnt(0)
	s_barrier
                                        ; implicit-def: $vgpr6_vgpr7
                                        ; implicit-def: $vgpr4_vgpr5
	s_and_saveexec_b64 s[10:11], s[2:3]
	s_cbranch_execz .LBB39_1161
; %bb.1138:
	v_lshlrev_b32_e32 v9, 3, v0
	ds_read2st64_b64 v[4:7], v9 offset0:65 offset1:66
	ds_read_b64 v[12:13], v9 offset:40448
	s_mov_b64 s[4:5], exec
	s_waitcnt lgkmcnt(1)
	v_add_f64 v[1:2], v[2:3], v[4:5]
	v_add_f64 v[14:15], v[6:7], v[1:2]
	ds_read2st64_b64 v[1:4], v9 offset0:67 offset1:68
	ds_read2st64_b64 v[5:8], v9 offset0:69 offset1:70
	s_waitcnt lgkmcnt(1)
	v_add_f64 v[1:2], v[1:2], v[14:15]
	v_add_f64 v[1:2], v[3:4], v[1:2]
	s_waitcnt lgkmcnt(0)
	v_add_f64 v[1:2], v[5:6], v[1:2]
	v_add_f64 v[14:15], v[7:8], v[1:2]
	ds_read2st64_b64 v[1:4], v9 offset0:71 offset1:72
	ds_read2st64_b64 v[5:8], v9 offset0:73 offset1:74
	s_waitcnt lgkmcnt(1)
	v_add_f64 v[1:2], v[1:2], v[14:15]
	v_add_f64 v[1:2], v[3:4], v[1:2]
	;; [unrolled: 8-line block ×3, first 2 shown]
	v_lshl_add_u32 v3, s6, 6, v19
	s_waitcnt lgkmcnt(0)
	v_add_f64 v[1:2], v[5:6], v[1:2]
	v_mad_u64_u32 v[4:5], s[12:13], s50, v3, 0
	v_add_f64 v[1:2], v[7:8], v[1:2]
	v_add_f64 v[6:7], v[12:13], v[1:2]
	v_mov_b32_e32 v1, v5
	v_mad_u64_u32 v[1:2], s[12:13], s51, v3, v[1:2]
	v_mov_b32_e32 v5, v1
	s_or_b64 exec, exec, s[10:11]
	s_and_b64 vcc, exec, s[8:9]
	s_cbranch_vccnz .LBB39_1141
	s_branch .LBB39_1162
.LBB39_1139:
	v_mad_u64_u32 v[12:13], s[2:3], s40, v15, 0
	s_or_b64 s[10:11], s[10:11], exec
	v_mad_u64_u32 v[13:14], s[2:3], s41, v15, v[13:14]
	v_lshlrev_b64 v[12:13], 3, v[12:13]
	v_add_co_u32_e32 v10, vcc, v10, v12
	v_addc_co_u32_e32 v11, vcc, v11, v13, vcc
	global_load_dwordx2 v[12:13], v[10:11], off
	s_waitcnt vmcnt(0)
	v_xor_b32_e32 v13, 0x80000000, v13
	s_or_b64 exec, exec, s[8:9]
	s_xor_b64 s[0:1], s[0:1], -1
	s_and_saveexec_b64 s[2:3], s[10:11]
	s_cbranch_execnz .LBB39_57
	s_branch .LBB39_58
.LBB39_1140:
	s_mov_b64 s[4:5], 0
                                        ; implicit-def: $vgpr6_vgpr7
                                        ; implicit-def: $vgpr4_vgpr5
	s_cbranch_execz .LBB39_1162
.LBB39_1141:
	s_mov_b32 s10, 0
	v_mov_b32_e32 v1, 0
	v_mov_b32_e32 v2, v0
	s_branch .LBB39_1143
.LBB39_1142:                            ;   in Loop: Header=BB39_1143 Depth=1
	s_or_b64 exec, exec, s[8:9]
	s_add_i32 s10, s10, 4
	v_add_u32_e32 v18, 0x800, v18
	s_cmp_lg_u32 s10, 64
	v_add_u32_e32 v2, -4, v2
	s_barrier
	s_cbranch_scc0 .LBB39_1159
.LBB39_1143:                            ; =>This Inner Loop Header: Depth=1
	v_cmp_eq_u32_e32 vcc, 0, v2
	s_and_b64 s[12:13], s[2:3], vcc
	s_and_saveexec_b64 s[8:9], s[12:13]
; %bb.1144:                             ;   in Loop: Header=BB39_1143 Depth=1
	ds_write_b64 v1, v[10:11] offset:41472
; %bb.1145:                             ;   in Loop: Header=BB39_1143 Depth=1
	s_or_b64 exec, exec, s[8:9]
	v_cmp_lt_u32_e32 vcc, s10, v0
	s_and_b64 s[12:13], s[2:3], vcc
	s_waitcnt lgkmcnt(0)
	s_barrier
	s_and_saveexec_b64 s[8:9], s[12:13]
	s_cbranch_execz .LBB39_1147
; %bb.1146:                             ;   in Loop: Header=BB39_1143 Depth=1
	ds_read_b64 v[3:4], v18
	ds_read_b64 v[5:6], v1 offset:41472
	s_waitcnt lgkmcnt(0)
	v_fma_f64 v[10:11], v[3:4], v[5:6], v[10:11]
.LBB39_1147:                            ;   in Loop: Header=BB39_1143 Depth=1
	s_or_b64 exec, exec, s[8:9]
	s_or_b32 s11, s10, 1
	v_cmp_eq_u32_e32 vcc, s11, v0
	s_and_b64 s[12:13], s[2:3], vcc
	s_barrier
	s_and_saveexec_b64 s[8:9], s[12:13]
; %bb.1148:                             ;   in Loop: Header=BB39_1143 Depth=1
	ds_write_b64 v1, v[10:11] offset:41472
; %bb.1149:                             ;   in Loop: Header=BB39_1143 Depth=1
	s_or_b64 exec, exec, s[8:9]
	v_cmp_lt_u32_e32 vcc, s11, v0
	s_and_b64 s[12:13], s[2:3], vcc
	s_waitcnt lgkmcnt(0)
	s_barrier
	s_and_saveexec_b64 s[8:9], s[12:13]
	s_cbranch_execz .LBB39_1151
; %bb.1150:                             ;   in Loop: Header=BB39_1143 Depth=1
	ds_read_b64 v[3:4], v18 offset:512
	ds_read_b64 v[5:6], v1 offset:41472
	s_waitcnt lgkmcnt(0)
	v_fma_f64 v[10:11], v[3:4], v[5:6], v[10:11]
.LBB39_1151:                            ;   in Loop: Header=BB39_1143 Depth=1
	s_or_b64 exec, exec, s[8:9]
	s_or_b32 s11, s10, 2
	v_cmp_eq_u32_e32 vcc, s11, v0
	s_and_b64 s[12:13], s[2:3], vcc
	s_barrier
	s_and_saveexec_b64 s[8:9], s[12:13]
; %bb.1152:                             ;   in Loop: Header=BB39_1143 Depth=1
	ds_write_b64 v1, v[10:11] offset:41472
; %bb.1153:                             ;   in Loop: Header=BB39_1143 Depth=1
	s_or_b64 exec, exec, s[8:9]
	v_cmp_lt_u32_e32 vcc, s11, v0
	s_and_b64 s[12:13], s[2:3], vcc
	s_waitcnt lgkmcnt(0)
	s_barrier
	s_and_saveexec_b64 s[8:9], s[12:13]
	s_cbranch_execz .LBB39_1155
; %bb.1154:                             ;   in Loop: Header=BB39_1143 Depth=1
	ds_read_b64 v[3:4], v18 offset:1024
	ds_read_b64 v[5:6], v1 offset:41472
	s_waitcnt lgkmcnt(0)
	v_fma_f64 v[10:11], v[3:4], v[5:6], v[10:11]
.LBB39_1155:                            ;   in Loop: Header=BB39_1143 Depth=1
	s_or_b64 exec, exec, s[8:9]
	s_or_b32 s11, s10, 3
	v_cmp_eq_u32_e32 vcc, s11, v0
	s_and_b64 s[12:13], s[2:3], vcc
	s_barrier
	s_and_saveexec_b64 s[8:9], s[12:13]
; %bb.1156:                             ;   in Loop: Header=BB39_1143 Depth=1
	ds_write_b64 v1, v[10:11] offset:41472
; %bb.1157:                             ;   in Loop: Header=BB39_1143 Depth=1
	s_or_b64 exec, exec, s[8:9]
	v_cmp_lt_u32_e32 vcc, s11, v0
	s_and_b64 s[12:13], s[2:3], vcc
	s_waitcnt lgkmcnt(0)
	s_barrier
	s_and_saveexec_b64 s[8:9], s[12:13]
	s_cbranch_execz .LBB39_1142
; %bb.1158:                             ;   in Loop: Header=BB39_1143 Depth=1
	ds_read_b64 v[3:4], v18 offset:1536
	ds_read_b64 v[5:6], v1 offset:41472
	s_waitcnt lgkmcnt(0)
	v_fma_f64 v[10:11], v[3:4], v[5:6], v[10:11]
	s_branch .LBB39_1142
.LBB39_1159:
	s_and_b64 vcc, exec, s[0:1]
	s_cbranch_vccz .LBB39_1163
; %bb.1160:
	s_and_b64 s[0:1], s[2:3], exec
	s_cbranch_execz .LBB39_1164
	s_branch .LBB39_1165
.LBB39_1161:
	s_or_b64 exec, exec, s[10:11]
	s_and_b64 vcc, exec, s[8:9]
	s_cbranch_vccnz .LBB39_1141
.LBB39_1162:
	v_mov_b32_e32 v11, v7
	v_mov_b32_e32 v10, v6
	s_and_saveexec_b64 s[0:1], s[4:5]
	s_cbranch_execnz .LBB39_1168
	s_branch .LBB39_1169
.LBB39_1163:
	s_mov_b64 s[0:1], 0
.LBB39_1164:
	v_cmp_gt_i32_e32 vcc, s7, v0
	s_and_b64 s[2:3], s[2:3], vcc
	s_andn2_b64 s[0:1], s[0:1], exec
	s_and_b64 s[2:3], s[2:3], exec
	s_or_b64 s[0:1], s[0:1], s[2:3]
.LBB39_1165:
                                        ; implicit-def: $vgpr4_vgpr5
	s_and_saveexec_b64 s[2:3], s[0:1]
	s_cbranch_execz .LBB39_1167
; %bb.1166:
	s_lshl_b32 s0, s6, 6
	s_ashr_i32 s1, s0, 31
	v_mov_b32_e32 v0, s1
	v_add_co_u32_e32 v1, vcc, s0, v19
	v_addc_co_u32_e32 v0, vcc, 0, v0, vcc
	v_mul_lo_u32 v0, v0, s50
	v_mul_lo_u32 v2, v1, s51
	v_mad_u64_u32 v[4:5], s[0:1], v1, s50, 0
	s_or_b64 s[4:5], s[4:5], exec
	v_add3_u32 v5, v5, v2, v0
.LBB39_1167:
	s_or_b64 exec, exec, s[2:3]
	s_and_saveexec_b64 s[0:1], s[4:5]
	s_cbranch_execz .LBB39_1169
.LBB39_1168:
	v_lshlrev_b64 v[0:1], 3, v[4:5]
	v_mov_b32_e32 v2, s21
	v_add_co_u32_e32 v0, vcc, s20, v0
	v_addc_co_u32_e32 v1, vcc, v2, v1, vcc
	global_store_dwordx2 v[0:1], v[10:11], off
.LBB39_1169:
	s_or_b64 exec, exec, s[0:1]
	v_cmp_eq_u32_e32 vcc, 0, v19
	s_waitcnt vmcnt(0)
	buffer_wbinvl1_vol
	s_barrier
	s_and_saveexec_b64 s[0:1], vcc
	s_cbranch_execz .LBB39_1171
; %bb.1170:
	s_lshl_b64 s[2:3], s[22:23], 2
	s_add_u32 s2, s14, s2
	s_addc_u32 s3, s15, s3
	v_mov_b32_e32 v0, 0
	global_load_dword v1, v0, s[2:3]
	s_waitcnt vmcnt(0)
	v_add_u32_e32 v1, 1, v1
	global_store_dword v0, v1, s[2:3]
.LBB39_1171:
	s_or_b64 exec, exec, s[0:1]
	s_waitcnt vmcnt(0)
	buffer_wbinvl1_vol
	s_endpgm
.LBB39_1172:
	ds_read_b64 v[22:23], v21 offset:31680
	ds_read_b64 v[24:25], v20 offset:31208
	s_waitcnt lgkmcnt(0)
	v_fma_f64 v[10:11], v[22:23], v[24:25], v[10:11]
	s_or_b64 exec, exec, s[14:15]
	v_cmp_gt_u32_e64 s[10:11], 8, v15
	s_and_saveexec_b64 s[14:15], s[10:11]
	s_cbranch_execz .LBB39_80
.LBB39_1173:
	ds_read_b64 v[21:22], v21 offset:32192
	ds_read_b64 v[23:24], v20 offset:31216
	s_waitcnt lgkmcnt(0)
	v_fma_f64 v[10:11], v[21:22], v[23:24], v[10:11]
	s_or_b64 exec, exec, s[14:15]
	v_cmp_gt_u32_e64 s[10:11], 4, v15
	s_and_saveexec_b64 s[14:15], s[10:11]
	s_cbranch_execnz .LBB39_81
	s_branch .LBB39_82
.LBB39_1174:
	ds_read_b64 v[25:26], v24 offset:29568
	ds_read_b64 v[27:28], v23 offset:29128
	s_waitcnt lgkmcnt(0)
	v_fma_f64 v[10:11], v[25:26], v[27:28], v[10:11]
	s_or_b64 exec, exec, s[16:17]
	v_cmp_gt_u32_e64 s[14:15], 48, v15
	s_and_saveexec_b64 s[16:17], s[14:15]
	s_cbranch_execz .LBB39_122
.LBB39_1175:
	ds_read_b64 v[25:26], v24 offset:30080
	ds_read_b64 v[27:28], v23 offset:29136
	s_waitcnt lgkmcnt(0)
	v_fma_f64 v[10:11], v[25:26], v[27:28], v[10:11]
	s_or_b64 exec, exec, s[16:17]
	v_cmp_gt_u32_e64 s[14:15], 40, v15
	s_and_saveexec_b64 s[16:17], s[14:15]
	s_cbranch_execz .LBB39_123
.LBB39_1176:
	ds_read_b64 v[25:26], v24 offset:30592
	ds_read_b64 v[27:28], v23 offset:29144
	s_waitcnt lgkmcnt(0)
	v_fma_f64 v[10:11], v[25:26], v[27:28], v[10:11]
	s_or_b64 exec, exec, s[16:17]
	v_cmp_gt_u32_e64 s[14:15], 32, v15
	s_and_saveexec_b64 s[16:17], s[14:15]
	s_cbranch_execz .LBB39_124
.LBB39_1177:
	ds_read_b64 v[25:26], v24 offset:31104
	ds_read_b64 v[27:28], v23 offset:29152
	s_waitcnt lgkmcnt(0)
	v_fma_f64 v[10:11], v[25:26], v[27:28], v[10:11]
	s_or_b64 exec, exec, s[16:17]
	v_cmp_gt_u32_e64 s[14:15], 24, v15
	s_and_saveexec_b64 s[16:17], s[14:15]
	s_cbranch_execz .LBB39_125
.LBB39_1178:
	ds_read_b64 v[25:26], v24 offset:31616
	ds_read_b64 v[27:28], v23 offset:29160
	s_waitcnt lgkmcnt(0)
	v_fma_f64 v[10:11], v[25:26], v[27:28], v[10:11]
	s_or_b64 exec, exec, s[16:17]
	s_and_saveexec_b64 s[14:15], s[18:19]
	s_cbranch_execz .LBB39_126
.LBB39_1179:
	ds_read_b64 v[24:25], v24 offset:32128
	ds_read_b64 v[26:27], v23 offset:29168
	s_waitcnt lgkmcnt(0)
	v_fma_f64 v[10:11], v[24:25], v[26:27], v[10:11]
	s_or_b64 exec, exec, s[14:15]
	v_cmp_gt_u32_e64 s[14:15], 8, v15
	s_and_saveexec_b64 s[16:17], s[14:15]
	s_cbranch_execnz .LBB39_127
	s_branch .LBB39_128
.LBB39_1180:
	ds_read_b64 v[25:26], v24 offset:27520
	ds_read_b64 v[27:28], v23 offset:27048
	s_waitcnt lgkmcnt(0)
	v_fma_f64 v[10:11], v[25:26], v[27:28], v[10:11]
	s_or_b64 exec, exec, s[14:15]
	v_cmp_gt_u32_e64 s[10:11], 8, v15
	s_and_saveexec_b64 s[14:15], s[10:11]
	s_cbranch_execz .LBB39_184
.LBB39_1181:
	ds_read_b64 v[24:25], v24 offset:28032
	ds_read_b64 v[26:27], v23 offset:27056
	s_waitcnt lgkmcnt(0)
	v_fma_f64 v[10:11], v[24:25], v[26:27], v[10:11]
	s_or_b64 exec, exec, s[14:15]
	v_cmp_gt_u32_e64 s[10:11], 4, v15
	s_and_saveexec_b64 s[14:15], s[10:11]
	s_cbranch_execnz .LBB39_185
	s_branch .LBB39_186
.LBB39_1182:
	ds_read_b64 v[28:29], v27 offset:30464
	ds_read_b64 v[30:31], v26 offset:25048
	s_waitcnt lgkmcnt(0)
	v_fma_f64 v[10:11], v[28:29], v[30:31], v[10:11]
	s_or_b64 exec, exec, s[20:21]
	s_and_saveexec_b64 s[16:17], s[8:9]
	s_cbranch_execz .LBB39_246
.LBB39_1183:
	ds_read_b64 v[28:29], v27 offset:30976
	ds_read_b64 v[30:31], v26 offset:25056
	s_waitcnt lgkmcnt(0)
	v_fma_f64 v[10:11], v[28:29], v[30:31], v[10:11]
	s_or_b64 exec, exec, s[16:17]
	v_cmp_gt_u32_e64 s[16:17], 48, v15
	s_and_saveexec_b64 s[20:21], s[16:17]
	s_cbranch_execz .LBB39_247
.LBB39_1184:
	ds_read_b64 v[28:29], v27 offset:31488
	ds_read_b64 v[30:31], v26 offset:25064
	s_waitcnt lgkmcnt(0)
	v_fma_f64 v[10:11], v[28:29], v[30:31], v[10:11]
	s_or_b64 exec, exec, s[20:21]
	v_cmp_gt_u32_e64 s[16:17], 32, v15
	s_and_saveexec_b64 s[20:21], s[16:17]
	s_cbranch_execz .LBB39_248
.LBB39_1185:
	ds_read_b64 v[27:28], v27 offset:32000
	ds_read_b64 v[29:30], v26 offset:25072
	s_waitcnt lgkmcnt(0)
	v_fma_f64 v[10:11], v[27:28], v[29:30], v[10:11]
	s_or_b64 exec, exec, s[20:21]
	v_cmp_gt_u32_e64 s[16:17], 16, v15
	s_and_saveexec_b64 s[20:21], s[16:17]
	s_cbranch_execnz .LBB39_249
	s_branch .LBB39_250
.LBB39_1186:
	ds_read_b64 v[28:29], v27 offset:23360
	ds_read_b64 v[30:31], v26 offset:22888
	s_waitcnt lgkmcnt(0)
	v_fma_f64 v[10:11], v[28:29], v[30:31], v[10:11]
	s_or_b64 exec, exec, s[0:1]
	v_cmp_gt_u32_e64 s[14:15], 8, v15
	s_and_saveexec_b64 s[0:1], s[14:15]
	s_cbranch_execz .LBB39_338
.LBB39_1187:
	ds_read_b64 v[27:28], v27 offset:23872
	ds_read_b64 v[29:30], v26 offset:22896
	s_waitcnt lgkmcnt(0)
	v_fma_f64 v[10:11], v[27:28], v[29:30], v[10:11]
	s_or_b64 exec, exec, s[0:1]
	v_cmp_gt_u32_e64 s[14:15], 4, v15
	s_and_saveexec_b64 s[20:21], s[14:15]
	s_cbranch_execnz .LBB39_339
	s_branch .LBB39_340
.LBB39_1188:
	ds_read_b64 v[28:29], v27 offset:21248
	ds_read_b64 v[30:31], v26 offset:20808
	s_waitcnt lgkmcnt(0)
	v_fma_f64 v[10:11], v[28:29], v[30:31], v[10:11]
	s_or_b64 exec, exec, s[0:1]
	v_cmp_gt_u32_e64 s[14:15], 48, v15
	s_and_saveexec_b64 s[0:1], s[14:15]
	s_cbranch_execz .LBB39_380
.LBB39_1189:
	ds_read_b64 v[28:29], v27 offset:21760
	ds_read_b64 v[30:31], v26 offset:20816
	s_waitcnt lgkmcnt(0)
	v_fma_f64 v[10:11], v[28:29], v[30:31], v[10:11]
	s_or_b64 exec, exec, s[0:1]
	v_cmp_gt_u32_e64 s[14:15], 40, v15
	s_and_saveexec_b64 s[0:1], s[14:15]
	s_cbranch_execz .LBB39_381
.LBB39_1190:
	ds_read_b64 v[28:29], v27 offset:22272
	ds_read_b64 v[30:31], v26 offset:20824
	s_waitcnt lgkmcnt(0)
	v_fma_f64 v[10:11], v[28:29], v[30:31], v[10:11]
	s_or_b64 exec, exec, s[0:1]
	v_cmp_gt_u32_e64 s[14:15], 32, v15
	s_and_saveexec_b64 s[0:1], s[14:15]
	s_cbranch_execz .LBB39_382
.LBB39_1191:
	ds_read_b64 v[28:29], v27 offset:22784
	ds_read_b64 v[30:31], v26 offset:20832
	s_waitcnt lgkmcnt(0)
	v_fma_f64 v[10:11], v[28:29], v[30:31], v[10:11]
	s_or_b64 exec, exec, s[0:1]
	v_cmp_gt_u32_e64 s[14:15], 24, v15
	s_and_saveexec_b64 s[0:1], s[14:15]
	s_cbranch_execz .LBB39_383
.LBB39_1192:
	ds_read_b64 v[28:29], v27 offset:23296
	ds_read_b64 v[30:31], v26 offset:20840
	s_waitcnt lgkmcnt(0)
	v_fma_f64 v[10:11], v[28:29], v[30:31], v[10:11]
	s_or_b64 exec, exec, s[0:1]
	s_and_saveexec_b64 s[0:1], s[18:19]
	s_cbranch_execz .LBB39_384
.LBB39_1193:
	ds_read_b64 v[27:28], v27 offset:23808
	ds_read_b64 v[29:30], v26 offset:20848
	s_waitcnt lgkmcnt(0)
	v_fma_f64 v[10:11], v[27:28], v[29:30], v[10:11]
	s_or_b64 exec, exec, s[0:1]
	v_cmp_gt_u32_e64 s[14:15], 8, v15
	s_and_saveexec_b64 s[20:21], s[14:15]
	s_cbranch_execnz .LBB39_385
	s_branch .LBB39_386
.LBB39_1194:
	ds_read_b64 v[28:29], v27 offset:19200
	ds_read_b64 v[30:31], v26 offset:18728
	s_waitcnt lgkmcnt(0)
	v_fma_f64 v[10:11], v[28:29], v[30:31], v[10:11]
	s_or_b64 exec, exec, s[0:1]
	v_cmp_gt_u32_e64 s[14:15], 8, v15
	s_and_saveexec_b64 s[0:1], s[14:15]
	s_cbranch_execz .LBB39_442
.LBB39_1195:
	ds_read_b64 v[27:28], v27 offset:19712
	ds_read_b64 v[29:30], v26 offset:18736
	s_waitcnt lgkmcnt(0)
	v_fma_f64 v[10:11], v[27:28], v[29:30], v[10:11]
	s_or_b64 exec, exec, s[0:1]
	v_cmp_gt_u32_e64 s[14:15], 4, v15
	s_and_saveexec_b64 s[20:21], s[14:15]
	s_cbranch_execnz .LBB39_443
	s_branch .LBB39_444
.LBB39_1196:
	ds_read_b64 v[31:32], v27 offset:31232
	ds_read_b64 v[33:34], v30 offset:16872
	s_waitcnt lgkmcnt(0)
	v_fma_f64 v[10:11], v[31:32], v[33:34], v[10:11]
	s_or_b64 exec, exec, s[0:1]
	s_and_saveexec_b64 s[0:1], s[8:9]
	s_cbranch_execz .LBB39_540
.LBB39_1197:
	ds_read_b64 v[31:32], v27 offset:31744
	ds_read_b64 v[33:34], v30 offset:16880
	s_waitcnt lgkmcnt(0)
	v_fma_f64 v[10:11], v[31:32], v[33:34], v[10:11]
	s_or_b64 exec, exec, s[0:1]
	v_cmp_gt_u32_e64 s[20:21], 32, v15
	s_and_saveexec_b64 s[0:1], s[20:21]
	s_cbranch_execnz .LBB39_541
	s_branch .LBB39_542
.LBB39_1198:
	ds_read_b64 v[28:29], v27 offset:15040
	ds_read_b64 v[30:31], v26 offset:14568
	s_waitcnt lgkmcnt(0)
	v_fma_f64 v[10:11], v[28:29], v[30:31], v[10:11]
	s_or_b64 exec, exec, s[0:1]
	v_cmp_gt_u32_e64 s[12:13], 8, v15
	s_and_saveexec_b64 s[0:1], s[12:13]
	s_cbranch_execz .LBB39_694
.LBB39_1199:
	ds_read_b64 v[27:28], v27 offset:15552
	ds_read_b64 v[29:30], v26 offset:14576
	s_waitcnt lgkmcnt(0)
	v_fma_f64 v[10:11], v[27:28], v[29:30], v[10:11]
	s_or_b64 exec, exec, s[0:1]
	v_cmp_gt_u32_e64 s[12:13], 4, v15
	s_and_saveexec_b64 s[0:1], s[12:13]
	s_cbranch_execnz .LBB39_695
	s_branch .LBB39_696
.LBB39_1200:
	ds_read_b64 v[28:29], v27 offset:12928
	ds_read_b64 v[30:31], v26 offset:12488
	s_waitcnt lgkmcnt(0)
	v_fma_f64 v[10:11], v[28:29], v[30:31], v[10:11]
	s_or_b64 exec, exec, s[0:1]
	v_cmp_gt_u32_e64 s[12:13], 48, v15
	s_and_saveexec_b64 s[0:1], s[12:13]
	s_cbranch_execz .LBB39_736
.LBB39_1201:
	ds_read_b64 v[28:29], v27 offset:13440
	ds_read_b64 v[30:31], v26 offset:12496
	s_waitcnt lgkmcnt(0)
	v_fma_f64 v[10:11], v[28:29], v[30:31], v[10:11]
	s_or_b64 exec, exec, s[0:1]
	v_cmp_gt_u32_e64 s[12:13], 40, v15
	s_and_saveexec_b64 s[0:1], s[12:13]
	s_cbranch_execz .LBB39_737
.LBB39_1202:
	ds_read_b64 v[28:29], v27 offset:13952
	ds_read_b64 v[30:31], v26 offset:12504
	s_waitcnt lgkmcnt(0)
	v_fma_f64 v[10:11], v[28:29], v[30:31], v[10:11]
	s_or_b64 exec, exec, s[0:1]
	v_cmp_gt_u32_e64 s[12:13], 32, v15
	s_and_saveexec_b64 s[0:1], s[12:13]
	s_cbranch_execz .LBB39_738
.LBB39_1203:
	ds_read_b64 v[28:29], v27 offset:14464
	ds_read_b64 v[30:31], v26 offset:12512
	s_waitcnt lgkmcnt(0)
	v_fma_f64 v[10:11], v[28:29], v[30:31], v[10:11]
	s_or_b64 exec, exec, s[0:1]
	v_cmp_gt_u32_e64 s[12:13], 24, v15
	s_and_saveexec_b64 s[0:1], s[12:13]
	s_cbranch_execz .LBB39_739
.LBB39_1204:
	ds_read_b64 v[28:29], v27 offset:14976
	ds_read_b64 v[30:31], v26 offset:12520
	s_waitcnt lgkmcnt(0)
	v_fma_f64 v[10:11], v[28:29], v[30:31], v[10:11]
	s_or_b64 exec, exec, s[0:1]
	s_and_saveexec_b64 s[0:1], s[18:19]
	s_cbranch_execz .LBB39_740
.LBB39_1205:
	ds_read_b64 v[27:28], v27 offset:15488
	ds_read_b64 v[29:30], v26 offset:12528
	s_waitcnt lgkmcnt(0)
	v_fma_f64 v[10:11], v[27:28], v[29:30], v[10:11]
	s_or_b64 exec, exec, s[0:1]
	v_cmp_gt_u32_e64 s[12:13], 8, v15
	s_and_saveexec_b64 s[0:1], s[12:13]
	s_cbranch_execnz .LBB39_741
	s_branch .LBB39_742
.LBB39_1206:
	ds_read_b64 v[28:29], v27 offset:10880
	ds_read_b64 v[30:31], v26 offset:10408
	s_waitcnt lgkmcnt(0)
	v_fma_f64 v[10:11], v[28:29], v[30:31], v[10:11]
	s_or_b64 exec, exec, s[0:1]
	v_cmp_gt_u32_e64 s[12:13], 8, v15
	s_and_saveexec_b64 s[0:1], s[12:13]
	s_cbranch_execz .LBB39_798
.LBB39_1207:
	ds_read_b64 v[27:28], v27 offset:11392
	ds_read_b64 v[29:30], v26 offset:10416
	s_waitcnt lgkmcnt(0)
	v_fma_f64 v[10:11], v[27:28], v[29:30], v[10:11]
	s_or_b64 exec, exec, s[0:1]
	v_cmp_gt_u32_e64 s[12:13], 4, v15
	s_and_saveexec_b64 s[0:1], s[12:13]
	s_cbranch_execnz .LBB39_799
	s_branch .LBB39_800
.LBB39_1208:
	ds_read_b64 v[28:29], v27 offset:13824
	ds_read_b64 v[30:31], v26 offset:8408
	s_waitcnt lgkmcnt(0)
	v_fma_f64 v[10:11], v[28:29], v[30:31], v[10:11]
	s_or_b64 exec, exec, s[0:1]
	s_and_saveexec_b64 s[0:1], s[8:9]
	s_cbranch_execz .LBB39_860
.LBB39_1209:
	ds_read_b64 v[28:29], v27 offset:14336
	ds_read_b64 v[30:31], v26 offset:8416
	s_waitcnt lgkmcnt(0)
	v_fma_f64 v[10:11], v[28:29], v[30:31], v[10:11]
	s_or_b64 exec, exec, s[0:1]
	v_cmp_gt_u32_e64 s[12:13], 48, v15
	s_and_saveexec_b64 s[0:1], s[12:13]
	s_cbranch_execz .LBB39_861
.LBB39_1210:
	ds_read_b64 v[28:29], v27 offset:14848
	ds_read_b64 v[30:31], v26 offset:8424
	s_waitcnt lgkmcnt(0)
	v_fma_f64 v[10:11], v[28:29], v[30:31], v[10:11]
	s_or_b64 exec, exec, s[0:1]
	v_cmp_gt_u32_e64 s[12:13], 32, v15
	s_and_saveexec_b64 s[0:1], s[12:13]
	s_cbranch_execz .LBB39_862
.LBB39_1211:
	ds_read_b64 v[27:28], v27 offset:15360
	ds_read_b64 v[29:30], v26 offset:8432
	s_waitcnt lgkmcnt(0)
	v_fma_f64 v[10:11], v[27:28], v[29:30], v[10:11]
	s_or_b64 exec, exec, s[0:1]
	v_cmp_gt_u32_e64 s[12:13], 16, v15
	s_and_saveexec_b64 s[0:1], s[12:13]
	s_cbranch_execnz .LBB39_863
	s_branch .LBB39_864
.LBB39_1212:
	ds_read_b64 v[25:26], v24 offset:6720
	ds_read_b64 v[27:28], v23 offset:6248
	s_waitcnt lgkmcnt(0)
	v_fma_f64 v[10:11], v[25:26], v[27:28], v[10:11]
	s_or_b64 exec, exec, s[12:13]
	v_cmp_gt_u32_e64 s[10:11], 8, v15
	s_and_saveexec_b64 s[12:13], s[10:11]
	s_cbranch_execz .LBB39_952
.LBB39_1213:
	ds_read_b64 v[24:25], v24 offset:7232
	ds_read_b64 v[26:27], v23 offset:6256
	s_waitcnt lgkmcnt(0)
	v_fma_f64 v[10:11], v[24:25], v[26:27], v[10:11]
	s_or_b64 exec, exec, s[12:13]
	v_cmp_gt_u32_e64 s[10:11], 4, v15
	s_and_saveexec_b64 s[12:13], s[10:11]
	s_cbranch_execnz .LBB39_953
	s_branch .LBB39_954
.LBB39_1214:
	ds_read_b64 v[25:26], v24 offset:4608
	ds_read_b64 v[27:28], v23 offset:4168
	s_waitcnt lgkmcnt(0)
	v_fma_f64 v[10:11], v[25:26], v[27:28], v[10:11]
	s_or_b64 exec, exec, s[12:13]
	v_cmp_gt_u32_e64 s[10:11], 48, v15
	s_and_saveexec_b64 s[12:13], s[10:11]
	s_cbranch_execz .LBB39_994
.LBB39_1215:
	ds_read_b64 v[25:26], v24 offset:5120
	ds_read_b64 v[27:28], v23 offset:4176
	s_waitcnt lgkmcnt(0)
	v_fma_f64 v[10:11], v[25:26], v[27:28], v[10:11]
	s_or_b64 exec, exec, s[12:13]
	v_cmp_gt_u32_e64 s[10:11], 40, v15
	s_and_saveexec_b64 s[12:13], s[10:11]
	s_cbranch_execz .LBB39_995
.LBB39_1216:
	ds_read_b64 v[25:26], v24 offset:5632
	ds_read_b64 v[27:28], v23 offset:4184
	s_waitcnt lgkmcnt(0)
	v_fma_f64 v[10:11], v[25:26], v[27:28], v[10:11]
	s_or_b64 exec, exec, s[12:13]
	v_cmp_gt_u32_e64 s[10:11], 32, v15
	s_and_saveexec_b64 s[12:13], s[10:11]
	s_cbranch_execz .LBB39_996
.LBB39_1217:
	ds_read_b64 v[25:26], v24 offset:6144
	ds_read_b64 v[27:28], v23 offset:4192
	s_waitcnt lgkmcnt(0)
	v_fma_f64 v[10:11], v[25:26], v[27:28], v[10:11]
	s_or_b64 exec, exec, s[12:13]
	v_cmp_gt_u32_e64 s[10:11], 24, v15
	s_and_saveexec_b64 s[12:13], s[10:11]
	s_cbranch_execz .LBB39_997
.LBB39_1218:
	ds_read_b64 v[25:26], v24 offset:6656
	ds_read_b64 v[27:28], v23 offset:4200
	s_waitcnt lgkmcnt(0)
	v_fma_f64 v[10:11], v[25:26], v[27:28], v[10:11]
	s_or_b64 exec, exec, s[12:13]
	s_and_saveexec_b64 s[10:11], s[18:19]
	s_cbranch_execz .LBB39_998
.LBB39_1219:
	ds_read_b64 v[24:25], v24 offset:7168
	ds_read_b64 v[26:27], v23 offset:4208
	s_waitcnt lgkmcnt(0)
	v_fma_f64 v[10:11], v[24:25], v[26:27], v[10:11]
	s_or_b64 exec, exec, s[10:11]
	v_cmp_gt_u32_e64 s[10:11], 8, v15
	s_and_saveexec_b64 s[12:13], s[10:11]
	s_cbranch_execnz .LBB39_999
	s_branch .LBB39_1000
.LBB39_1220:
	ds_read_b64 v[22:23], v21 offset:2560
	ds_read_b64 v[24:25], v20 offset:2088
	s_waitcnt lgkmcnt(0)
	v_fma_f64 v[10:11], v[22:23], v[24:25], v[10:11]
	s_or_b64 exec, exec, s[10:11]
	v_cmp_gt_u32_e64 s[8:9], 8, v15
	s_and_saveexec_b64 s[10:11], s[8:9]
	s_cbranch_execz .LBB39_1056
.LBB39_1221:
	ds_read_b64 v[21:22], v21 offset:3072
	ds_read_b64 v[23:24], v20 offset:2096
	s_waitcnt lgkmcnt(0)
	v_fma_f64 v[10:11], v[21:22], v[23:24], v[10:11]
	s_or_b64 exec, exec, s[10:11]
	v_cmp_gt_u32_e64 s[8:9], 4, v15
	s_and_saveexec_b64 s[10:11], s[8:9]
	s_cbranch_execnz .LBB39_1057
	s_branch .LBB39_1058
	.section	.rodata,"a",@progbits
	.p2align	6, 0x0
	.amdhsa_kernel _ZL19rocblas_trsv_deviceILi64ELi16ELb0ELb1ELb1ELb1EddPKdPdEviT7_lllT6_T8_lllPii
		.amdhsa_group_segment_fixed_size 41480
		.amdhsa_private_segment_fixed_size 0
		.amdhsa_kernarg_size 352
		.amdhsa_user_sgpr_count 6
		.amdhsa_user_sgpr_private_segment_buffer 1
		.amdhsa_user_sgpr_dispatch_ptr 0
		.amdhsa_user_sgpr_queue_ptr 0
		.amdhsa_user_sgpr_kernarg_segment_ptr 1
		.amdhsa_user_sgpr_dispatch_id 0
		.amdhsa_user_sgpr_flat_scratch_init 0
		.amdhsa_user_sgpr_private_segment_size 0
		.amdhsa_uses_dynamic_stack 0
		.amdhsa_system_sgpr_private_segment_wavefront_offset 0
		.amdhsa_system_sgpr_workgroup_id_x 1
		.amdhsa_system_sgpr_workgroup_id_y 0
		.amdhsa_system_sgpr_workgroup_id_z 1
		.amdhsa_system_sgpr_workgroup_info 0
		.amdhsa_system_vgpr_workitem_id 1
		.amdhsa_next_free_vgpr 49
		.amdhsa_next_free_sgpr 98
		.amdhsa_reserve_vcc 1
		.amdhsa_reserve_flat_scratch 0
		.amdhsa_float_round_mode_32 0
		.amdhsa_float_round_mode_16_64 0
		.amdhsa_float_denorm_mode_32 3
		.amdhsa_float_denorm_mode_16_64 3
		.amdhsa_dx10_clamp 1
		.amdhsa_ieee_mode 1
		.amdhsa_fp16_overflow 0
		.amdhsa_exception_fp_ieee_invalid_op 0
		.amdhsa_exception_fp_denorm_src 0
		.amdhsa_exception_fp_ieee_div_zero 0
		.amdhsa_exception_fp_ieee_overflow 0
		.amdhsa_exception_fp_ieee_underflow 0
		.amdhsa_exception_fp_ieee_inexact 0
		.amdhsa_exception_int_div_zero 0
	.end_amdhsa_kernel
	.section	.text._ZL19rocblas_trsv_deviceILi64ELi16ELb0ELb1ELb1ELb1EddPKdPdEviT7_lllT6_T8_lllPii,"axG",@progbits,_ZL19rocblas_trsv_deviceILi64ELi16ELb0ELb1ELb1ELb1EddPKdPdEviT7_lllT6_T8_lllPii,comdat
.Lfunc_end39:
	.size	_ZL19rocblas_trsv_deviceILi64ELi16ELb0ELb1ELb1ELb1EddPKdPdEviT7_lllT6_T8_lllPii, .Lfunc_end39-_ZL19rocblas_trsv_deviceILi64ELi16ELb0ELb1ELb1ELb1EddPKdPdEviT7_lllT6_T8_lllPii
                                        ; -- End function
	.set _ZL19rocblas_trsv_deviceILi64ELi16ELb0ELb1ELb1ELb1EddPKdPdEviT7_lllT6_T8_lllPii.num_vgpr, 36
	.set _ZL19rocblas_trsv_deviceILi64ELi16ELb0ELb1ELb1ELb1EddPKdPdEviT7_lllT6_T8_lllPii.num_agpr, 0
	.set _ZL19rocblas_trsv_deviceILi64ELi16ELb0ELb1ELb1ELb1EddPKdPdEviT7_lllT6_T8_lllPii.numbered_sgpr, 96
	.set _ZL19rocblas_trsv_deviceILi64ELi16ELb0ELb1ELb1ELb1EddPKdPdEviT7_lllT6_T8_lllPii.num_named_barrier, 0
	.set _ZL19rocblas_trsv_deviceILi64ELi16ELb0ELb1ELb1ELb1EddPKdPdEviT7_lllT6_T8_lllPii.private_seg_size, 0
	.set _ZL19rocblas_trsv_deviceILi64ELi16ELb0ELb1ELb1ELb1EddPKdPdEviT7_lllT6_T8_lllPii.uses_vcc, 1
	.set _ZL19rocblas_trsv_deviceILi64ELi16ELb0ELb1ELb1ELb1EddPKdPdEviT7_lllT6_T8_lllPii.uses_flat_scratch, 0
	.set _ZL19rocblas_trsv_deviceILi64ELi16ELb0ELb1ELb1ELb1EddPKdPdEviT7_lllT6_T8_lllPii.has_dyn_sized_stack, 0
	.set _ZL19rocblas_trsv_deviceILi64ELi16ELb0ELb1ELb1ELb1EddPKdPdEviT7_lllT6_T8_lllPii.has_recursion, 0
	.set _ZL19rocblas_trsv_deviceILi64ELi16ELb0ELb1ELb1ELb1EddPKdPdEviT7_lllT6_T8_lllPii.has_indirect_call, 0
	.section	.AMDGPU.csdata,"",@progbits
; Kernel info:
; codeLenInByte = 36496
; TotalNumSgprs: 100
; NumVgprs: 36
; ScratchSize: 0
; MemoryBound: 0
; FloatMode: 240
; IeeeMode: 1
; LDSByteSize: 41480 bytes/workgroup (compile time only)
; SGPRBlocks: 12
; VGPRBlocks: 12
; NumSGPRsForWavesPerEU: 102
; NumVGPRsForWavesPerEU: 49
; Occupancy: 4
; WaveLimiterHint : 0
; COMPUTE_PGM_RSRC2:SCRATCH_EN: 0
; COMPUTE_PGM_RSRC2:USER_SGPR: 6
; COMPUTE_PGM_RSRC2:TRAP_HANDLER: 0
; COMPUTE_PGM_RSRC2:TGID_X_EN: 1
; COMPUTE_PGM_RSRC2:TGID_Y_EN: 0
; COMPUTE_PGM_RSRC2:TGID_Z_EN: 1
; COMPUTE_PGM_RSRC2:TIDIG_COMP_CNT: 1
	.section	.text._ZL19rocblas_trsv_deviceILi64ELi16ELb0ELb0ELb0ELb0EddPKdPdEviT7_lllT6_T8_lllPii,"axG",@progbits,_ZL19rocblas_trsv_deviceILi64ELi16ELb0ELb0ELb0ELb0EddPKdPdEviT7_lllT6_T8_lllPii,comdat
	.globl	_ZL19rocblas_trsv_deviceILi64ELi16ELb0ELb0ELb0ELb0EddPKdPdEviT7_lllT6_T8_lllPii ; -- Begin function _ZL19rocblas_trsv_deviceILi64ELi16ELb0ELb0ELb0ELb0EddPKdPdEviT7_lllT6_T8_lllPii
	.p2align	8
	.type	_ZL19rocblas_trsv_deviceILi64ELi16ELb0ELb0ELb0ELb0EddPKdPdEviT7_lllT6_T8_lllPii,@function
_ZL19rocblas_trsv_deviceILi64ELi16ELb0ELb0ELb0ELb0EddPKdPdEviT7_lllT6_T8_lllPii: ; @_ZL19rocblas_trsv_deviceILi64ELi16ELb0ELb0ELb0ELb0EddPKdPdEviT7_lllT6_T8_lllPii
; %bb.0:
	s_load_dwordx16 s[16:31], s[4:5], 0x8
	s_load_dword s36, s[4:5], 0x0
	s_mov_b32 s34, s7
	v_mov_b32_e32 v2, v1
	s_mov_b32 s35, 0
	s_waitcnt lgkmcnt(0)
	s_mul_i32 s0, s23, s7
	s_mul_hi_u32 s1, s22, s7
	s_add_i32 s1, s1, s0
	s_mul_i32 s0, s22, s7
	s_load_dword s7, s[4:5], 0x60
	s_load_dword s44, s[4:5], 0x6c
	s_lshl_b64 s[0:1], s[0:1], 3
	s_add_u32 s2, s16, s0
	s_addc_u32 s3, s17, s1
	s_lshl_b64 s[0:1], s[18:19], 3
	s_add_u32 s93, s2, s0
	s_addc_u32 s94, s3, s1
	s_waitcnt lgkmcnt(0)
	s_add_i32 s7, s7, -1
	s_sub_i32 s95, s7, s6
	s_cmp_lg_u32 s6, 0
	s_cbranch_scc0 .LBB40_994
; %bb.1:
	s_lshl_b32 s33, s95, 6
	v_add3_u32 v1, v2, s33, 64
	v_ashrrev_i32_e32 v3, 31, v1
	v_mul_lo_u32 v7, s20, v3
	v_mul_lo_u32 v8, s21, v1
	v_mad_u64_u32 v[3:4], s[0:1], s20, v1, 0
	v_add_u32_e32 v5, s33, v0
	v_ashrrev_i32_e32 v6, 31, v5
	v_add3_u32 v4, v4, v7, v8
	v_lshlrev_b64 v[3:4], 3, v[3:4]
	v_mov_b32_e32 v7, s94
	v_add_co_u32_e64 v8, s[0:1], s93, v3
	v_addc_co_u32_e64 v7, s[0:1], v7, v4, s[0:1]
	v_lshlrev_b64 v[3:4], 3, v[5:6]
	v_cmp_gt_i32_e32 vcc, s36, v5
	v_add_co_u32_e64 v11, s[0:1], v8, v3
	v_addc_co_u32_e64 v12, s[0:1], v7, v4, s[0:1]
	v_cmp_gt_i32_e64 s[0:1], s36, v1
	v_mov_b32_e32 v5, 0
	v_mov_b32_e32 v3, 0
	;; [unrolled: 1-line block ×4, first 2 shown]
	s_and_b64 s[2:3], vcc, s[0:1]
	s_barrier
	s_and_saveexec_b64 s[0:1], s[2:3]
	s_cbranch_execz .LBB40_3
; %bb.2:
	global_load_dwordx2 v[3:4], v[11:12], off
.LBB40_3:
	s_or_b64 exec, exec, s[0:1]
	v_add_u32_e32 v7, 16, v1
	v_cmp_gt_i32_e64 s[0:1], s36, v7
	s_and_b64 s[0:1], vcc, s[0:1]
	s_waitcnt vmcnt(0)
	s_barrier
	s_and_saveexec_b64 s[2:3], s[0:1]
	s_cbranch_execz .LBB40_5
; %bb.4:
	s_lshl_b64 s[0:1], s[20:21], 7
	v_mov_b32_e32 v6, s1
	v_add_co_u32_e64 v5, s[0:1], s0, v11
	v_addc_co_u32_e64 v6, s[0:1], v12, v6, s[0:1]
	global_load_dwordx2 v[5:6], v[5:6], off
.LBB40_5:
	s_or_b64 exec, exec, s[2:3]
	v_add_u32_e32 v7, 32, v1
	v_cmp_gt_i32_e64 s[0:1], s36, v7
	v_mov_b32_e32 v7, 0
	v_mov_b32_e32 v9, 0
	;; [unrolled: 1-line block ×4, first 2 shown]
	s_and_b64 s[0:1], vcc, s[0:1]
	s_waitcnt vmcnt(0)
	s_barrier
	s_and_saveexec_b64 s[2:3], s[0:1]
	s_cbranch_execz .LBB40_7
; %bb.6:
	s_lshl_b64 s[0:1], s[20:21], 8
	v_mov_b32_e32 v10, s1
	v_add_co_u32_e64 v9, s[0:1], s0, v11
	v_addc_co_u32_e64 v10, s[0:1], v12, v10, s[0:1]
	global_load_dwordx2 v[9:10], v[9:10], off
.LBB40_7:
	s_or_b64 exec, exec, s[2:3]
	v_add_u32_e32 v1, 48, v1
	v_cmp_gt_i32_e64 s[0:1], s36, v1
	s_and_b64 s[2:3], vcc, s[0:1]
	s_waitcnt vmcnt(0)
	s_barrier
	s_and_saveexec_b64 s[0:1], s[2:3]
	s_cbranch_execz .LBB40_9
; %bb.8:
	v_mov_b32_e32 v1, 0x180
	v_mad_u64_u32 v[7:8], s[2:3], s20, v1, v[11:12]
	s_mul_i32 s2, s21, 0x180
	v_add_u32_e32 v8, s2, v8
	global_load_dwordx2 v[7:8], v[7:8], off
.LBB40_9:
	s_or_b64 exec, exec, s[0:1]
	s_branch .LBB40_11
.LBB40_10:
	s_lshl_b32 s33, s95, 6
                                        ; implicit-def: $vgpr3_vgpr4
                                        ; implicit-def: $vgpr5_vgpr6
                                        ; implicit-def: $vgpr9_vgpr10
                                        ; implicit-def: $vgpr7_vgpr8
.LBB40_11:
	s_ashr_i32 s37, s36, 31
	s_lshr_b32 s0, s37, 26
	s_add_i32 s0, s36, s0
	s_andn2_b32 s0, s0, 63
	s_sub_i32 s92, s36, s0
	s_add_i32 s0, s36, -1
	s_ashr_i32 s1, s0, 31
	s_lshr_b32 s1, s1, 26
	s_add_i32 s0, s0, s1
	s_ashr_i32 s0, s0, 6
	s_cmp_eq_u32 s0, s95
	s_cselect_b64 s[0:1], -1, 0
	s_cmp_lg_u32 s92, 0
	s_cselect_b64 s[2:3], -1, 0
	s_and_b64 s[18:19], s[2:3], s[0:1]
	s_ashr_i32 s54, s33, 31
	s_add_u32 s8, s20, 1
	v_mov_b32_e32 v1, 0
	v_mov_b32_e32 v11, s33
	v_mad_u64_u32 v[11:12], s[0:1], s8, v11, v[0:1]
	s_addc_u32 s9, s21, 0
	s_mul_i32 s0, s8, s54
	s_mul_i32 s9, s9, s33
	s_add_i32 s0, s0, s9
	s_mov_b64 s[2:3], -1
	v_add_u32_e32 v12, s0, v12
	s_and_b64 vcc, exec, s[18:19]
	v_cmp_le_u32_e64 s[0:1], v2, v0
	s_cbranch_vccnz .LBB40_33
; %bb.12:
	v_mad_u64_u32 v[15:16], s[2:3], s20, v2, v[11:12]
	v_mov_b32_e32 v1, v16
	v_mad_u64_u32 v[13:14], s[2:3], s21, v2, v[1:2]
	s_mov_b64 s[2:3], 0
	v_mov_b32_e32 v16, v13
                                        ; implicit-def: $vgpr13_vgpr14
	s_and_saveexec_b64 s[8:9], s[0:1]
	s_xor_b64 s[0:1], exec, s[8:9]
	s_cbranch_execnz .LBB40_995
; %bb.13:
	s_andn2_saveexec_b64 s[0:1], s[0:1]
	s_cbranch_execnz .LBB40_1000
.LBB40_14:
	s_or_b64 exec, exec, s[0:1]
	s_and_saveexec_b64 s[0:1], s[2:3]
.LBB40_15:
	v_lshlrev_b32_e32 v1, 3, v0
	v_lshl_add_u32 v1, v2, 9, v1
	ds_write_b64 v1, v[13:14]
.LBB40_16:
	s_or_b64 exec, exec, s[0:1]
	v_add_u32_e32 v1, 16, v2
	v_mad_u64_u32 v[15:16], s[0:1], s20, v1, v[11:12]
	v_cmp_le_u32_e32 vcc, v1, v0
	s_mov_b64 s[2:3], 0
	v_mov_b32_e32 v13, v16
	v_mad_u64_u32 v[13:14], s[0:1], s21, v1, v[13:14]
	v_mov_b32_e32 v16, v13
                                        ; implicit-def: $vgpr13_vgpr14
	s_and_saveexec_b64 s[0:1], vcc
	s_xor_b64 s[0:1], exec, s[0:1]
	s_cbranch_execnz .LBB40_1001
; %bb.17:
	s_andn2_saveexec_b64 s[0:1], s[0:1]
	s_cbranch_execnz .LBB40_1006
.LBB40_18:
	s_or_b64 exec, exec, s[0:1]
	s_and_saveexec_b64 s[0:1], s[2:3]
.LBB40_19:
	v_lshlrev_b32_e32 v15, 3, v0
	v_lshl_add_u32 v1, v1, 9, v15
	ds_write_b64 v1, v[13:14]
.LBB40_20:
	s_or_b64 exec, exec, s[0:1]
	v_add_u32_e32 v1, 32, v2
	v_mad_u64_u32 v[15:16], s[0:1], s20, v1, v[11:12]
	v_cmp_le_u32_e32 vcc, v1, v0
	s_mov_b64 s[2:3], 0
	v_mov_b32_e32 v13, v16
	v_mad_u64_u32 v[13:14], s[0:1], s21, v1, v[13:14]
	v_mov_b32_e32 v16, v13
                                        ; implicit-def: $vgpr13_vgpr14
	s_and_saveexec_b64 s[0:1], vcc
	s_xor_b64 s[0:1], exec, s[0:1]
	s_cbranch_execnz .LBB40_1007
; %bb.21:
	s_andn2_saveexec_b64 s[0:1], s[0:1]
	s_cbranch_execnz .LBB40_1012
.LBB40_22:
	s_or_b64 exec, exec, s[0:1]
	s_and_saveexec_b64 s[0:1], s[2:3]
.LBB40_23:
	v_lshlrev_b32_e32 v15, 3, v0
	v_lshl_add_u32 v1, v1, 9, v15
	ds_write_b64 v1, v[13:14]
.LBB40_24:
	s_or_b64 exec, exec, s[0:1]
	v_add_u32_e32 v1, 48, v2
	v_mad_u64_u32 v[15:16], s[0:1], s20, v1, v[11:12]
	v_cmp_le_u32_e32 vcc, v1, v0
	s_mov_b64 s[8:9], 0
	v_mov_b32_e32 v13, v16
	v_mad_u64_u32 v[13:14], s[0:1], s21, v1, v[13:14]
	v_mov_b32_e32 v16, v13
                                        ; implicit-def: $vgpr13_vgpr14
	s_and_saveexec_b64 s[0:1], vcc
	s_xor_b64 s[0:1], exec, s[0:1]
	s_cbranch_execz .LBB40_30
; %bb.25:
	v_cmp_ne_u32_e32 vcc, v0, v1
	s_mov_b64 s[2:3], 0
	s_and_saveexec_b64 s[8:9], vcc
	s_xor_b64 s[8:9], exec, s[8:9]
; %bb.26:
	v_or_b32_e32 v13, v1, v0
	v_cmp_gt_u32_e32 vcc, 64, v13
	s_and_b64 s[2:3], vcc, exec
                                        ; implicit-def: $vgpr15_vgpr16
; %bb.27:
	s_or_saveexec_b64 s[8:9], s[8:9]
	v_mov_b32_e32 v13, 0
	v_mov_b32_e32 v14, 0
	s_xor_b64 exec, exec, s[8:9]
	s_cbranch_execz .LBB40_29
; %bb.28:
	v_lshlrev_b64 v[13:14], 3, v[15:16]
	v_mov_b32_e32 v1, s94
	v_add_co_u32_e32 v13, vcc, s93, v13
	v_addc_co_u32_e32 v14, vcc, v1, v14, vcc
	global_load_dwordx2 v[13:14], v[13:14], off
	s_or_b64 s[2:3], s[2:3], exec
	v_mov_b32_e32 v1, v0
	s_waitcnt vmcnt(0)
	v_div_scale_f64 v[15:16], s[10:11], v[13:14], v[13:14], 1.0
	v_div_scale_f64 v[21:22], vcc, 1.0, v[13:14], 1.0
	v_rcp_f64_e32 v[17:18], v[15:16]
	v_fma_f64 v[19:20], -v[15:16], v[17:18], 1.0
	v_fma_f64 v[17:18], v[17:18], v[19:20], v[17:18]
	v_fma_f64 v[19:20], -v[15:16], v[17:18], 1.0
	v_fma_f64 v[17:18], v[17:18], v[19:20], v[17:18]
	v_mul_f64 v[19:20], v[21:22], v[17:18]
	v_fma_f64 v[15:16], -v[15:16], v[19:20], v[21:22]
	v_div_fmas_f64 v[15:16], v[15:16], v[17:18], v[19:20]
	v_div_fixup_f64 v[13:14], v[15:16], v[13:14], 1.0
.LBB40_29:
	s_or_b64 exec, exec, s[8:9]
	s_and_b64 s[8:9], s[2:3], exec
                                        ; implicit-def: $vgpr15_vgpr16
.LBB40_30:
	s_andn2_saveexec_b64 s[0:1], s[0:1]
	s_cbranch_execz .LBB40_32
; %bb.31:
	v_lshlrev_b64 v[13:14], 3, v[15:16]
	v_mov_b32_e32 v15, s94
	v_add_co_u32_e32 v13, vcc, s93, v13
	v_addc_co_u32_e32 v14, vcc, v15, v14, vcc
	global_load_dwordx2 v[13:14], v[13:14], off
	s_or_b64 s[8:9], s[8:9], exec
	s_waitcnt vmcnt(0)
	v_xor_b32_e32 v14, 0x80000000, v14
.LBB40_32:
	s_or_b64 exec, exec, s[0:1]
	s_branch .LBB40_55
.LBB40_33:
	s_mov_b64 s[8:9], 0
                                        ; implicit-def: $vgpr13_vgpr14
                                        ; implicit-def: $vgpr1
	s_and_b64 vcc, exec, s[2:3]
	s_cbranch_vccz .LBB40_55
; %bb.34:
	v_mad_u64_u32 v[13:14], s[0:1], s20, v2, v[11:12]
	v_cmp_le_u32_e32 vcc, v2, v0
	v_cmp_gt_i32_e64 s[0:1], s92, v0
	v_mov_b32_e32 v1, v14
	v_mad_u64_u32 v[14:15], s[2:3], s21, v2, v[1:2]
	v_max_i32_e32 v1, v2, v0
	v_cmp_le_i32_e64 s[2:3], s92, v1
	s_or_b64 s[2:3], s[2:3], vcc
	s_mov_b64 s[10:11], 0
                                        ; implicit-def: $vgpr15_vgpr16
	s_and_saveexec_b64 s[12:13], s[2:3]
	s_xor_b64 s[2:3], exec, s[12:13]
	s_cbranch_execnz .LBB40_1013
; %bb.35:
	s_andn2_saveexec_b64 s[2:3], s[2:3]
	s_cbranch_execnz .LBB40_1018
.LBB40_36:
	s_or_b64 exec, exec, s[2:3]
	s_and_saveexec_b64 s[2:3], s[10:11]
.LBB40_37:
	v_lshlrev_b32_e32 v1, 3, v0
	v_lshl_add_u32 v1, v2, 9, v1
	ds_write_b64 v1, v[15:16]
.LBB40_38:
	s_or_b64 exec, exec, s[2:3]
	v_add_u32_e32 v1, 16, v2
	v_mad_u64_u32 v[13:14], s[2:3], s20, v1, v[11:12]
	v_cmp_gt_u32_e32 vcc, v1, v0
	s_mov_b64 s[10:11], 0
	v_mad_u64_u32 v[14:15], s[2:3], s21, v1, v[14:15]
	v_cmp_gt_i32_e64 s[2:3], s92, v1
	s_and_b64 s[2:3], vcc, s[2:3]
	s_and_b64 s[2:3], s[0:1], s[2:3]
	s_xor_b64 s[2:3], s[2:3], -1
                                        ; implicit-def: $vgpr15_vgpr16
	s_and_saveexec_b64 s[12:13], s[2:3]
	s_xor_b64 s[2:3], exec, s[12:13]
	s_cbranch_execnz .LBB40_1019
; %bb.39:
	s_andn2_saveexec_b64 s[2:3], s[2:3]
	s_cbranch_execnz .LBB40_1024
.LBB40_40:
	s_or_b64 exec, exec, s[2:3]
	s_and_saveexec_b64 s[2:3], s[10:11]
.LBB40_41:
	v_lshlrev_b32_e32 v13, 3, v0
	v_lshl_add_u32 v1, v1, 9, v13
	ds_write_b64 v1, v[15:16]
.LBB40_42:
	s_or_b64 exec, exec, s[2:3]
	v_add_u32_e32 v1, 32, v2
	v_mad_u64_u32 v[13:14], s[2:3], s20, v1, v[11:12]
	v_cmp_gt_u32_e32 vcc, v1, v0
	s_mov_b64 s[10:11], 0
	v_mad_u64_u32 v[14:15], s[2:3], s21, v1, v[14:15]
	v_cmp_gt_i32_e64 s[2:3], s92, v1
	s_and_b64 s[2:3], vcc, s[2:3]
	s_and_b64 s[2:3], s[0:1], s[2:3]
	s_xor_b64 s[2:3], s[2:3], -1
                                        ; implicit-def: $vgpr15_vgpr16
	s_and_saveexec_b64 s[12:13], s[2:3]
	s_xor_b64 s[2:3], exec, s[12:13]
	s_cbranch_execnz .LBB40_1025
; %bb.43:
	s_andn2_saveexec_b64 s[2:3], s[2:3]
	s_cbranch_execnz .LBB40_1030
.LBB40_44:
	s_or_b64 exec, exec, s[2:3]
	s_and_saveexec_b64 s[2:3], s[10:11]
.LBB40_45:
	v_lshlrev_b32_e32 v13, 3, v0
	v_lshl_add_u32 v1, v1, 9, v13
	ds_write_b64 v1, v[15:16]
.LBB40_46:
	s_or_b64 exec, exec, s[2:3]
	v_add_u32_e32 v1, 48, v2
	v_mad_u64_u32 v[11:12], s[2:3], s20, v1, v[11:12]
	v_cmp_gt_u32_e32 vcc, v1, v0
	v_mad_u64_u32 v[12:13], s[2:3], s21, v1, v[12:13]
	v_cmp_gt_i32_e64 s[2:3], s92, v1
	s_and_b64 s[2:3], vcc, s[2:3]
	s_and_b64 s[2:3], s[0:1], s[2:3]
	s_xor_b64 s[2:3], s[2:3], -1
                                        ; implicit-def: $vgpr13_vgpr14
	s_and_saveexec_b64 s[10:11], s[2:3]
	s_xor_b64 s[2:3], exec, s[10:11]
	s_cbranch_execz .LBB40_52
; %bb.47:
	v_cmp_ne_u32_e32 vcc, v0, v1
	s_xor_b64 s[0:1], s[0:1], -1
	s_or_b64 s[10:11], s[0:1], vcc
	s_mov_b64 s[0:1], s[8:9]
	s_and_saveexec_b64 s[12:13], s[10:11]
	s_xor_b64 s[10:11], exec, s[12:13]
; %bb.48:
	v_or_b32_e32 v11, v1, v0
	v_cmp_gt_u32_e32 vcc, 64, v11
	s_andn2_b64 s[0:1], s[8:9], exec
	s_and_b64 s[12:13], vcc, exec
	s_or_b64 s[0:1], s[0:1], s[12:13]
                                        ; implicit-def: $vgpr11_vgpr12
; %bb.49:
	s_or_saveexec_b64 s[10:11], s[10:11]
	v_mov_b32_e32 v13, 0
	v_mov_b32_e32 v14, 0
	s_xor_b64 exec, exec, s[10:11]
	s_cbranch_execz .LBB40_51
; %bb.50:
	v_lshlrev_b64 v[11:12], 3, v[11:12]
	v_mov_b32_e32 v1, s94
	v_add_co_u32_e32 v11, vcc, s93, v11
	v_addc_co_u32_e32 v12, vcc, v1, v12, vcc
	global_load_dwordx2 v[11:12], v[11:12], off
	s_or_b64 s[0:1], s[0:1], exec
	v_mov_b32_e32 v1, v0
	s_waitcnt vmcnt(0)
	v_div_scale_f64 v[13:14], s[12:13], v[11:12], v[11:12], 1.0
	v_div_scale_f64 v[19:20], vcc, 1.0, v[11:12], 1.0
	v_rcp_f64_e32 v[15:16], v[13:14]
	v_fma_f64 v[17:18], -v[13:14], v[15:16], 1.0
	v_fma_f64 v[15:16], v[15:16], v[17:18], v[15:16]
	v_fma_f64 v[17:18], -v[13:14], v[15:16], 1.0
	v_fma_f64 v[15:16], v[15:16], v[17:18], v[15:16]
	v_mul_f64 v[17:18], v[19:20], v[15:16]
	v_fma_f64 v[13:14], -v[13:14], v[17:18], v[19:20]
	v_div_fmas_f64 v[13:14], v[13:14], v[15:16], v[17:18]
	v_div_fixup_f64 v[13:14], v[13:14], v[11:12], 1.0
.LBB40_51:
	s_or_b64 exec, exec, s[10:11]
	s_andn2_b64 s[8:9], s[8:9], exec
	s_and_b64 s[0:1], s[0:1], exec
	s_or_b64 s[8:9], s[8:9], s[0:1]
                                        ; implicit-def: $vgpr11_vgpr12
.LBB40_52:
	s_andn2_saveexec_b64 s[0:1], s[2:3]
	s_cbranch_execz .LBB40_54
; %bb.53:
	v_lshlrev_b64 v[11:12], 3, v[11:12]
	v_mov_b32_e32 v13, s94
	v_add_co_u32_e32 v11, vcc, s93, v11
	v_addc_co_u32_e32 v12, vcc, v13, v12, vcc
	global_load_dwordx2 v[13:14], v[11:12], off
	s_or_b64 s[8:9], s[8:9], exec
	s_waitcnt vmcnt(0)
	v_xor_b32_e32 v14, 0x80000000, v14
.LBB40_54:
	s_or_b64 exec, exec, s[0:1]
.LBB40_55:
	s_and_saveexec_b64 s[0:1], s[8:9]
; %bb.56:
	v_lshlrev_b32_e32 v11, 3, v0
	v_lshl_add_u32 v1, v1, 9, v11
	ds_write_b64 v1, v[13:14]
; %bb.57:
	s_or_b64 exec, exec, s[0:1]
	s_cmp_lt_i32 s6, 5
	s_cselect_b64 s[0:1], -1, 0
	s_or_b64 s[22:23], s[0:1], s[18:19]
	s_and_b64 vcc, exec, s[22:23]
	s_waitcnt vmcnt(0) lgkmcnt(0)
	s_barrier
	s_cbranch_vccnz .LBB40_925
; %bb.58:
	v_or_b32_e32 v1, v0, v2
	v_cmp_eq_u32_e32 vcc, 0, v1
	s_and_saveexec_b64 s[0:1], vcc
	s_cbranch_execz .LBB40_60
; %bb.59:
	v_mov_b32_e32 v1, 0
	ds_read_b128 v[11:14], v1 offset:32752
	ds_read_b64 v[15:16], v1 offset:32240
	s_waitcnt lgkmcnt(0)
	v_mul_f64 v[13:14], v[15:16], v[13:14]
	v_mul_f64 v[11:12], v[11:12], v[13:14]
	ds_write_b64 v1, v[11:12] offset:32752
.LBB40_60:
	s_or_b64 exec, exec, s[0:1]
	v_lshlrev_b32_e32 v11, 6, v2
	v_add_u32_e32 v15, v11, v0
	v_and_b32_e32 v12, v11, v0
	v_xor_b32_e32 v11, v11, v0
	v_lshrrev_b16_e32 v11, 1, v11
	v_add_u16_e32 v14, v12, v11
	v_mov_b32_e32 v11, 0
	v_and_b32_e32 v1, 1, v0
	v_sub_u32_e32 v13, 1, v14
	v_cmp_lt_u32_e64 s[2:3], 3, v15
	v_mov_b32_e32 v12, 0
	v_cmp_gt_u32_e64 s[0:1], 4, v15
	s_waitcnt lgkmcnt(0)
	s_barrier
	buffer_wbinvl1_vol
	s_and_saveexec_b64 s[10:11], s[0:1]
	s_cbranch_execz .LBB40_64
; %bb.61:
	v_lshlrev_b32_e32 v16, 9, v13
	v_lshlrev_b32_e32 v11, 3, v1
	ds_read_b64 v[11:12], v11 offset:32224
	ds_read_b64 v[16:17], v16 offset:32240
	v_cmp_gt_u32_e64 s[8:9], 2, v15
	s_waitcnt lgkmcnt(0)
	v_fma_f64 v[11:12], v[11:12], v[16:17], 0
	s_and_saveexec_b64 s[12:13], s[8:9]
	s_cbranch_execz .LBB40_63
; %bb.62:
	v_lshlrev_b32_e32 v16, 3, v0
	v_mov_b32_e32 v18, 0
	ds_read_b64 v[16:17], v16 offset:32736
	ds_read_b64 v[18:19], v18 offset:32760
	s_waitcnt lgkmcnt(0)
	v_fma_f64 v[11:12], v[16:17], v[18:19], v[11:12]
.LBB40_63:
	s_or_b64 exec, exec, s[12:13]
.LBB40_64:
	s_or_b64 exec, exec, s[10:11]
	v_mov_b32_e32 v16, 0x8000
	v_cmp_ne_u32_e64 s[8:9], 0, v1
	s_xor_b64 s[10:11], s[2:3], -1
	v_lshl_add_u32 v14, v14, 3, v16
	s_and_b64 s[40:41], s[8:9], s[10:11]
	s_and_saveexec_b64 s[2:3], s[40:41]
	s_cbranch_execz .LBB40_66
; %bb.65:
	v_mov_b32_e32 v16, 0
	ds_read_b64 v[16:17], v16 offset:31720
	s_waitcnt lgkmcnt(0)
	v_mul_f64 v[11:12], v[11:12], v[16:17]
	v_xor_b32_e32 v17, 0x80000000, v12
	v_mov_b32_e32 v16, v11
	ds_write_b64 v14, v[16:17]
.LBB40_66:
	s_or_b64 exec, exec, s[2:3]
	v_cmp_eq_u32_e64 s[2:3], 0, v1
	s_and_b64 s[38:39], s[2:3], s[10:11]
	s_waitcnt lgkmcnt(0)
	s_barrier
	s_and_saveexec_b64 s[2:3], s[38:39]
	s_cbranch_execz .LBB40_68
; %bb.67:
	v_mov_b32_e32 v16, 0
	ds_read_b64 v[16:17], v16 offset:31712
	ds_read_b64 v[18:19], v14
	s_waitcnt lgkmcnt(0)
	v_fma_f64 v[11:12], -v[16:17], v[18:19], v[11:12]
.LBB40_68:
	s_or_b64 exec, exec, s[2:3]
	s_barrier
	s_and_saveexec_b64 s[2:3], s[38:39]
	s_cbranch_execz .LBB40_70
; %bb.69:
	v_mov_b32_e32 v16, 0
	ds_read_b64 v[16:17], v16 offset:31200
	s_waitcnt lgkmcnt(0)
	v_mul_f64 v[11:12], v[11:12], v[16:17]
	v_xor_b32_e32 v17, 0x80000000, v12
	v_mov_b32_e32 v16, v11
	ds_write_b64 v14, v[16:17]
.LBB40_70:
	s_or_b64 exec, exec, s[2:3]
	s_waitcnt lgkmcnt(0)
	s_barrier
	s_barrier
	s_and_saveexec_b64 s[2:3], s[0:1]
; %bb.71:
	v_lshlrev_b32_e32 v16, 3, v1
	v_lshl_or_b32 v16, v13, 9, v16
	ds_write_b64 v16, v[11:12] offset:32224
; %bb.72:
	s_or_b64 exec, exec, s[2:3]
	s_waitcnt lgkmcnt(0)
	s_barrier
	s_barrier
	s_and_saveexec_b64 s[2:3], vcc
	s_cbranch_execz .LBB40_74
; %bb.73:
	v_mov_b32_e32 v20, 0
	ds_read_b128 v[16:19], v20 offset:31712
	ds_read_b64 v[11:12], v20 offset:31200
	s_waitcnt lgkmcnt(0)
	v_mul_f64 v[11:12], v[11:12], v[18:19]
	v_mul_f64 v[11:12], v[16:17], v[11:12]
	ds_write_b64 v20, v[11:12] offset:31712
.LBB40_74:
	s_or_b64 exec, exec, s[2:3]
	v_lshrrev_b32_e32 v18, 2, v15
	v_mov_b32_e32 v11, 0
	v_and_b32_e32 v16, 3, v0
	v_sub_u32_e32 v17, 3, v18
	v_cmp_lt_u32_e64 s[8:9], 15, v15
	v_mov_b32_e32 v12, 0
	v_cmp_gt_u32_e64 s[2:3], 16, v15
	s_waitcnt lgkmcnt(0)
	s_barrier
	buffer_wbinvl1_vol
	s_and_saveexec_b64 s[12:13], s[2:3]
	s_cbranch_execz .LBB40_80
; %bb.75:
	v_lshlrev_b32_e32 v20, 3, v16
	v_lshlrev_b32_e32 v19, 9, v17
	ds_read_b64 v[11:12], v20 offset:31168
	ds_read_b64 v[21:22], v19 offset:31200
	v_cmp_gt_u32_e64 s[10:11], 12, v15
	s_waitcnt lgkmcnt(0)
	v_fma_f64 v[11:12], v[11:12], v[21:22], 0
	s_and_saveexec_b64 s[14:15], s[10:11]
	s_cbranch_execnz .LBB40_1035
; %bb.76:
	s_or_b64 exec, exec, s[14:15]
	v_cmp_gt_u32_e64 s[10:11], 8, v15
	s_and_saveexec_b64 s[14:15], s[10:11]
	s_cbranch_execnz .LBB40_1036
.LBB40_77:
	s_or_b64 exec, exec, s[14:15]
	v_cmp_gt_u32_e64 s[10:11], 4, v15
	s_and_saveexec_b64 s[14:15], s[10:11]
	s_cbranch_execz .LBB40_79
.LBB40_78:
	v_lshlrev_b32_e32 v19, 3, v0
	v_mov_b32_e32 v21, 0
	ds_read_b64 v[19:20], v19 offset:32704
	ds_read_b64 v[21:22], v21 offset:32760
	s_waitcnt lgkmcnt(0)
	v_fma_f64 v[11:12], v[19:20], v[21:22], v[11:12]
.LBB40_79:
	s_or_b64 exec, exec, s[14:15]
.LBB40_80:
	s_or_b64 exec, exec, s[12:13]
	v_mov_b32_e32 v19, 0x8000
	v_cmp_eq_u32_e64 s[10:11], 3, v16
	s_xor_b64 s[12:13], s[8:9], -1
	v_lshl_add_u32 v18, v18, 3, v19
	s_and_b64 s[44:45], s[10:11], s[12:13]
	s_and_saveexec_b64 s[8:9], s[44:45]
	s_cbranch_execz .LBB40_82
; %bb.81:
	v_mov_b32_e32 v19, 0
	ds_read_b64 v[19:20], v19 offset:30680
	s_waitcnt lgkmcnt(0)
	v_mul_f64 v[11:12], v[11:12], v[19:20]
	v_xor_b32_e32 v20, 0x80000000, v12
	v_mov_b32_e32 v19, v11
	ds_write_b64 v18, v[19:20]
.LBB40_82:
	s_or_b64 exec, exec, s[8:9]
	v_cmp_ne_u32_e64 s[8:9], 3, v16
	s_and_b64 s[46:47], s[8:9], s[12:13]
	s_waitcnt lgkmcnt(0)
	s_barrier
	s_and_saveexec_b64 s[8:9], s[46:47]
	s_cbranch_execz .LBB40_84
; %bb.83:
	v_lshlrev_b32_e32 v19, 3, v16
	ds_read_b64 v[19:20], v19 offset:30656
	ds_read_b64 v[21:22], v18
	s_waitcnt lgkmcnt(0)
	v_fma_f64 v[11:12], -v[19:20], v[21:22], v[11:12]
.LBB40_84:
	s_or_b64 exec, exec, s[8:9]
	v_cmp_eq_u32_e64 s[8:9], 2, v16
	s_and_b64 s[48:49], s[8:9], s[12:13]
	s_barrier
	s_and_saveexec_b64 s[8:9], s[48:49]
	s_cbranch_execz .LBB40_86
; %bb.85:
	v_mov_b32_e32 v19, 0
	ds_read_b64 v[19:20], v19 offset:30160
	s_waitcnt lgkmcnt(0)
	v_mul_f64 v[11:12], v[11:12], v[19:20]
	v_xor_b32_e32 v20, 0x80000000, v12
	v_mov_b32_e32 v19, v11
	ds_write_b64 v18, v[19:20]
.LBB40_86:
	s_or_b64 exec, exec, s[8:9]
	v_cmp_gt_u32_e64 s[8:9], 2, v16
	s_and_b64 s[50:51], s[8:9], s[12:13]
	s_waitcnt lgkmcnt(0)
	s_barrier
	s_and_saveexec_b64 s[8:9], s[50:51]
	s_cbranch_execz .LBB40_88
; %bb.87:
	v_lshlrev_b32_e32 v19, 3, v16
	ds_read_b64 v[19:20], v19 offset:30144
	ds_read_b64 v[21:22], v18
	s_waitcnt lgkmcnt(0)
	v_fma_f64 v[11:12], -v[19:20], v[21:22], v[11:12]
.LBB40_88:
	s_or_b64 exec, exec, s[8:9]
	v_cmp_eq_u32_e64 s[8:9], 1, v16
	s_and_b64 s[52:53], s[8:9], s[12:13]
	s_barrier
	s_and_saveexec_b64 s[8:9], s[52:53]
	s_cbranch_execz .LBB40_90
; %bb.89:
	v_mov_b32_e32 v19, 0
	ds_read_b64 v[19:20], v19 offset:29640
	s_waitcnt lgkmcnt(0)
	v_mul_f64 v[11:12], v[11:12], v[19:20]
	v_xor_b32_e32 v20, 0x80000000, v12
	v_mov_b32_e32 v19, v11
	ds_write_b64 v18, v[19:20]
.LBB40_90:
	s_or_b64 exec, exec, s[8:9]
	v_cmp_eq_u32_e64 s[8:9], 0, v16
	s_and_b64 s[42:43], s[8:9], s[12:13]
	s_waitcnt lgkmcnt(0)
	s_barrier
	s_and_saveexec_b64 s[8:9], s[42:43]
	s_cbranch_execz .LBB40_92
; %bb.91:
	v_mov_b32_e32 v19, 0
	ds_read_b64 v[19:20], v19 offset:29632
	ds_read_b64 v[21:22], v18
	s_waitcnt lgkmcnt(0)
	v_fma_f64 v[11:12], -v[19:20], v[21:22], v[11:12]
.LBB40_92:
	s_or_b64 exec, exec, s[8:9]
	s_barrier
	s_and_saveexec_b64 s[8:9], s[42:43]
	s_cbranch_execz .LBB40_94
; %bb.93:
	v_mov_b32_e32 v19, 0
	ds_read_b64 v[19:20], v19 offset:29120
	s_waitcnt lgkmcnt(0)
	v_mul_f64 v[11:12], v[11:12], v[19:20]
	v_xor_b32_e32 v20, 0x80000000, v12
	v_mov_b32_e32 v19, v11
	ds_write_b64 v18, v[19:20]
.LBB40_94:
	s_or_b64 exec, exec, s[8:9]
	s_waitcnt lgkmcnt(0)
	s_barrier
	s_barrier
	s_and_saveexec_b64 s[8:9], s[2:3]
; %bb.95:
	v_lshlrev_b32_e32 v19, 3, v16
	v_lshl_or_b32 v19, v17, 9, v19
	ds_write_b64 v19, v[11:12] offset:31168
; %bb.96:
	s_or_b64 exec, exec, s[8:9]
	s_waitcnt lgkmcnt(0)
	s_barrier
	s_barrier
	s_and_saveexec_b64 s[8:9], vcc
	s_cbranch_execz .LBB40_98
; %bb.97:
	v_mov_b32_e32 v23, 0
	ds_read_b128 v[19:22], v23 offset:30672
	ds_read_b64 v[11:12], v23 offset:30160
	s_waitcnt lgkmcnt(0)
	v_mul_f64 v[11:12], v[11:12], v[21:22]
	v_mul_f64 v[11:12], v[19:20], v[11:12]
	ds_write_b64 v23, v[11:12] offset:30672
.LBB40_98:
	s_or_b64 exec, exec, s[8:9]
	v_mov_b32_e32 v11, 0
	v_mov_b32_e32 v12, 0
	s_waitcnt lgkmcnt(0)
	s_barrier
	buffer_wbinvl1_vol
	s_and_saveexec_b64 s[10:11], s[0:1]
	s_cbranch_execz .LBB40_102
; %bb.99:
	v_lshlrev_b32_e32 v19, 9, v13
	v_lshlrev_b32_e32 v11, 3, v1
	ds_read_b64 v[11:12], v11 offset:30144
	ds_read_b64 v[19:20], v19 offset:30160
	v_cmp_gt_u32_e64 s[8:9], 2, v15
	s_waitcnt lgkmcnt(0)
	v_fma_f64 v[11:12], v[11:12], v[19:20], 0
	s_and_saveexec_b64 s[12:13], s[8:9]
	s_cbranch_execz .LBB40_101
; %bb.100:
	v_lshlrev_b32_e32 v19, 3, v0
	v_mov_b32_e32 v21, 0
	ds_read_b64 v[19:20], v19 offset:30656
	ds_read_b64 v[21:22], v21 offset:30680
	s_waitcnt lgkmcnt(0)
	v_fma_f64 v[11:12], v[19:20], v[21:22], v[11:12]
.LBB40_101:
	s_or_b64 exec, exec, s[12:13]
.LBB40_102:
	s_or_b64 exec, exec, s[10:11]
	s_and_saveexec_b64 s[8:9], s[40:41]
	s_cbranch_execz .LBB40_104
; %bb.103:
	v_mov_b32_e32 v19, 0
	ds_read_b64 v[19:20], v19 offset:29640
	s_waitcnt lgkmcnt(0)
	v_mul_f64 v[11:12], v[11:12], v[19:20]
	v_xor_b32_e32 v20, 0x80000000, v12
	v_mov_b32_e32 v19, v11
	ds_write_b64 v14, v[19:20]
.LBB40_104:
	s_or_b64 exec, exec, s[8:9]
	s_waitcnt lgkmcnt(0)
	s_barrier
	s_and_saveexec_b64 s[8:9], s[38:39]
	s_cbranch_execz .LBB40_106
; %bb.105:
	v_mov_b32_e32 v19, 0
	ds_read_b64 v[19:20], v19 offset:29632
	ds_read_b64 v[21:22], v14
	s_waitcnt lgkmcnt(0)
	v_fma_f64 v[11:12], -v[19:20], v[21:22], v[11:12]
.LBB40_106:
	s_or_b64 exec, exec, s[8:9]
	s_barrier
	s_and_saveexec_b64 s[8:9], s[38:39]
	s_cbranch_execz .LBB40_108
; %bb.107:
	v_mov_b32_e32 v19, 0
	ds_read_b64 v[19:20], v19 offset:29120
	s_waitcnt lgkmcnt(0)
	v_mul_f64 v[11:12], v[11:12], v[19:20]
	v_xor_b32_e32 v20, 0x80000000, v12
	v_mov_b32_e32 v19, v11
	ds_write_b64 v14, v[19:20]
.LBB40_108:
	s_or_b64 exec, exec, s[8:9]
	s_waitcnt lgkmcnt(0)
	s_barrier
	s_barrier
	s_and_saveexec_b64 s[8:9], s[0:1]
; %bb.109:
	v_lshlrev_b32_e32 v19, 3, v1
	v_lshl_or_b32 v19, v13, 9, v19
	ds_write_b64 v19, v[11:12] offset:30144
; %bb.110:
	s_or_b64 exec, exec, s[8:9]
	s_waitcnt lgkmcnt(0)
	s_barrier
	s_barrier
	s_and_saveexec_b64 s[8:9], vcc
	s_cbranch_execz .LBB40_112
; %bb.111:
	v_mov_b32_e32 v23, 0
	ds_read_b128 v[19:22], v23 offset:29632
	ds_read_b64 v[11:12], v23 offset:29120
	s_waitcnt lgkmcnt(0)
	v_mul_f64 v[11:12], v[11:12], v[21:22]
	v_mul_f64 v[11:12], v[19:20], v[11:12]
	ds_write_b64 v23, v[11:12] offset:29632
.LBB40_112:
	s_or_b64 exec, exec, s[8:9]
	v_lshrrev_b32_e32 v21, 3, v15
	v_mov_b32_e32 v11, 0
	v_and_b32_e32 v19, 7, v0
	v_sub_u32_e32 v20, 7, v21
	v_cmp_lt_u32_e64 s[8:9], 63, v15
	v_mov_b32_e32 v12, 0
	v_cmp_gt_u32_e64 s[14:15], 64, v15
	s_waitcnt lgkmcnt(0)
	s_barrier
	buffer_wbinvl1_vol
	s_and_saveexec_b64 s[12:13], s[14:15]
	s_cbranch_execz .LBB40_122
; %bb.113:
	v_lshlrev_b32_e32 v23, 3, v19
	v_lshlrev_b32_e32 v22, 9, v20
	ds_read_b64 v[11:12], v23 offset:29056
	ds_read_b64 v[24:25], v22 offset:29120
	v_cmp_gt_u32_e64 s[10:11], 56, v15
	s_waitcnt lgkmcnt(0)
	v_fma_f64 v[11:12], v[11:12], v[24:25], 0
	s_and_saveexec_b64 s[16:17], s[10:11]
	s_cbranch_execnz .LBB40_1037
; %bb.114:
	s_or_b64 exec, exec, s[16:17]
	v_cmp_gt_u32_e64 s[10:11], 48, v15
	s_and_saveexec_b64 s[16:17], s[10:11]
	s_cbranch_execnz .LBB40_1038
.LBB40_115:
	s_or_b64 exec, exec, s[16:17]
	v_cmp_gt_u32_e64 s[10:11], 40, v15
	s_and_saveexec_b64 s[16:17], s[10:11]
	s_cbranch_execnz .LBB40_1039
.LBB40_116:
	s_or_b64 exec, exec, s[16:17]
	v_cmp_gt_u32_e64 s[10:11], 32, v15
	s_and_saveexec_b64 s[16:17], s[10:11]
	s_cbranch_execnz .LBB40_1040
.LBB40_117:
	s_or_b64 exec, exec, s[16:17]
	v_cmp_gt_u32_e64 s[10:11], 24, v15
	s_and_saveexec_b64 s[16:17], s[10:11]
	s_cbranch_execnz .LBB40_1041
.LBB40_118:
	s_or_b64 exec, exec, s[16:17]
	s_and_saveexec_b64 s[10:11], s[2:3]
	s_cbranch_execnz .LBB40_1042
.LBB40_119:
	s_or_b64 exec, exec, s[10:11]
	v_cmp_gt_u32_e64 s[10:11], 8, v15
	s_and_saveexec_b64 s[16:17], s[10:11]
	s_cbranch_execz .LBB40_121
.LBB40_120:
	v_lshlrev_b32_e32 v22, 3, v0
	v_mov_b32_e32 v24, 0
	ds_read_b64 v[22:23], v22 offset:32640
	ds_read_b64 v[24:25], v24 offset:32760
	s_waitcnt lgkmcnt(0)
	v_fma_f64 v[11:12], v[22:23], v[24:25], v[11:12]
.LBB40_121:
	s_or_b64 exec, exec, s[16:17]
.LBB40_122:
                                        ; implicit-def: $vgpr36 : SGPR spill to VGPR lane
	v_writelane_b32 v36, s54, 0
	s_or_b64 exec, exec, s[12:13]
	v_mov_b32_e32 v22, 0x8000
	v_cmp_eq_u32_e64 s[10:11], 7, v19
	s_xor_b64 s[12:13], s[8:9], -1
	v_lshl_add_u32 v21, v21, 3, v22
	s_and_b64 s[54:55], s[10:11], s[12:13]
	s_and_saveexec_b64 s[8:9], s[54:55]
	s_cbranch_execz .LBB40_124
; %bb.123:
	v_mov_b32_e32 v22, 0
	ds_read_b64 v[22:23], v22 offset:28600
	s_waitcnt lgkmcnt(0)
	v_mul_f64 v[11:12], v[11:12], v[22:23]
	v_xor_b32_e32 v23, 0x80000000, v12
	v_mov_b32_e32 v22, v11
	ds_write_b64 v21, v[22:23]
.LBB40_124:
	s_or_b64 exec, exec, s[8:9]
	v_cmp_ne_u32_e64 s[8:9], 7, v19
	s_and_b64 s[56:57], s[8:9], s[12:13]
	s_waitcnt lgkmcnt(0)
	s_barrier
	s_and_saveexec_b64 s[8:9], s[56:57]
	s_cbranch_execz .LBB40_126
; %bb.125:
	v_lshlrev_b32_e32 v22, 3, v19
	ds_read_b64 v[22:23], v22 offset:28544
	ds_read_b64 v[24:25], v21
	s_waitcnt lgkmcnt(0)
	v_fma_f64 v[11:12], -v[22:23], v[24:25], v[11:12]
.LBB40_126:
	s_or_b64 exec, exec, s[8:9]
	v_cmp_eq_u32_e64 s[8:9], 6, v19
	s_and_b64 s[58:59], s[8:9], s[12:13]
	s_barrier
	s_and_saveexec_b64 s[8:9], s[58:59]
	s_cbranch_execz .LBB40_128
; %bb.127:
	v_mov_b32_e32 v22, 0
	ds_read_b64 v[22:23], v22 offset:28080
	s_waitcnt lgkmcnt(0)
	v_mul_f64 v[11:12], v[11:12], v[22:23]
	v_xor_b32_e32 v23, 0x80000000, v12
	v_mov_b32_e32 v22, v11
	ds_write_b64 v21, v[22:23]
.LBB40_128:
	s_or_b64 exec, exec, s[8:9]
	v_cmp_gt_u32_e64 s[8:9], 6, v19
	s_and_b64 s[60:61], s[8:9], s[12:13]
	s_waitcnt lgkmcnt(0)
	s_barrier
	s_and_saveexec_b64 s[8:9], s[60:61]
	s_cbranch_execz .LBB40_130
; %bb.129:
	v_lshlrev_b32_e32 v22, 3, v19
	ds_read_b64 v[22:23], v22 offset:28032
	ds_read_b64 v[24:25], v21
	s_waitcnt lgkmcnt(0)
	v_fma_f64 v[11:12], -v[22:23], v[24:25], v[11:12]
.LBB40_130:
	s_or_b64 exec, exec, s[8:9]
	v_cmp_eq_u32_e64 s[8:9], 5, v19
	s_and_b64 s[62:63], s[8:9], s[12:13]
	s_barrier
	s_and_saveexec_b64 s[8:9], s[62:63]
	s_cbranch_execz .LBB40_132
; %bb.131:
	v_mov_b32_e32 v22, 0
	ds_read_b64 v[22:23], v22 offset:27560
	s_waitcnt lgkmcnt(0)
	v_mul_f64 v[11:12], v[11:12], v[22:23]
	v_xor_b32_e32 v23, 0x80000000, v12
	v_mov_b32_e32 v22, v11
	ds_write_b64 v21, v[22:23]
.LBB40_132:
	s_or_b64 exec, exec, s[8:9]
	v_cmp_gt_u32_e64 s[8:9], 5, v19
	;; [unrolled: 29-line block ×5, first 2 shown]
	s_and_b64 s[78:79], s[8:9], s[12:13]
	s_waitcnt lgkmcnt(0)
	s_barrier
	s_and_saveexec_b64 s[8:9], s[78:79]
	s_cbranch_execz .LBB40_146
; %bb.145:
	v_lshlrev_b32_e32 v22, 3, v19
	ds_read_b64 v[22:23], v22 offset:25984
	ds_read_b64 v[24:25], v21
	s_waitcnt lgkmcnt(0)
	v_fma_f64 v[11:12], -v[22:23], v[24:25], v[11:12]
.LBB40_146:
	s_or_b64 exec, exec, s[8:9]
	v_cmp_eq_u32_e64 s[8:9], 1, v19
	s_and_b64 s[80:81], s[8:9], s[12:13]
	s_barrier
	s_and_saveexec_b64 s[8:9], s[80:81]
	s_cbranch_execz .LBB40_148
; %bb.147:
	v_mov_b32_e32 v22, 0
	ds_read_b64 v[22:23], v22 offset:25480
	s_waitcnt lgkmcnt(0)
	v_mul_f64 v[11:12], v[11:12], v[22:23]
	v_xor_b32_e32 v23, 0x80000000, v12
	v_mov_b32_e32 v22, v11
	ds_write_b64 v21, v[22:23]
.LBB40_148:
	s_or_b64 exec, exec, s[8:9]
	v_cmp_eq_u32_e64 s[8:9], 0, v19
	s_and_b64 s[64:65], s[8:9], s[12:13]
	s_waitcnt lgkmcnt(0)
	s_barrier
	s_and_saveexec_b64 s[8:9], s[64:65]
	s_cbranch_execz .LBB40_150
; %bb.149:
	v_mov_b32_e32 v22, 0
	ds_read_b64 v[22:23], v22 offset:25472
	ds_read_b64 v[24:25], v21
	s_waitcnt lgkmcnt(0)
	v_fma_f64 v[11:12], -v[22:23], v[24:25], v[11:12]
.LBB40_150:
	s_or_b64 exec, exec, s[8:9]
	s_barrier
	s_and_saveexec_b64 s[8:9], s[64:65]
	s_cbranch_execz .LBB40_152
; %bb.151:
	v_mov_b32_e32 v22, 0
	ds_read_b64 v[22:23], v22 offset:24960
	s_waitcnt lgkmcnt(0)
	v_mul_f64 v[11:12], v[11:12], v[22:23]
	v_xor_b32_e32 v23, 0x80000000, v12
	v_mov_b32_e32 v22, v11
	ds_write_b64 v21, v[22:23]
.LBB40_152:
	s_or_b64 exec, exec, s[8:9]
	s_waitcnt lgkmcnt(0)
	s_barrier
	s_barrier
	s_and_saveexec_b64 s[8:9], s[14:15]
; %bb.153:
	v_lshlrev_b32_e32 v22, 3, v19
	v_lshl_or_b32 v22, v20, 9, v22
	ds_write_b64 v22, v[11:12] offset:29056
; %bb.154:
	s_or_b64 exec, exec, s[8:9]
	s_waitcnt lgkmcnt(0)
	s_barrier
	s_barrier
	s_and_saveexec_b64 s[8:9], vcc
	s_cbranch_execz .LBB40_156
; %bb.155:
	v_mov_b32_e32 v26, 0
	ds_read_b128 v[22:25], v26 offset:28592
	ds_read_b64 v[11:12], v26 offset:28080
	s_waitcnt lgkmcnt(0)
	v_mul_f64 v[11:12], v[11:12], v[24:25]
	v_mul_f64 v[11:12], v[22:23], v[11:12]
	ds_write_b64 v26, v[11:12] offset:28592
.LBB40_156:
	s_or_b64 exec, exec, s[8:9]
	v_mov_b32_e32 v11, 0
	v_mov_b32_e32 v12, 0
	s_waitcnt lgkmcnt(0)
	s_barrier
	buffer_wbinvl1_vol
	s_and_saveexec_b64 s[10:11], s[0:1]
	s_cbranch_execz .LBB40_160
; %bb.157:
	v_lshlrev_b32_e32 v22, 9, v13
	v_lshlrev_b32_e32 v11, 3, v1
	ds_read_b64 v[11:12], v11 offset:28064
	ds_read_b64 v[22:23], v22 offset:28080
	v_cmp_gt_u32_e64 s[8:9], 2, v15
	s_waitcnt lgkmcnt(0)
	v_fma_f64 v[11:12], v[11:12], v[22:23], 0
	s_and_saveexec_b64 s[12:13], s[8:9]
	s_cbranch_execz .LBB40_159
; %bb.158:
	v_lshlrev_b32_e32 v22, 3, v0
	v_mov_b32_e32 v24, 0
	ds_read_b64 v[22:23], v22 offset:28576
	ds_read_b64 v[24:25], v24 offset:28600
	s_waitcnt lgkmcnt(0)
	v_fma_f64 v[11:12], v[22:23], v[24:25], v[11:12]
.LBB40_159:
	s_or_b64 exec, exec, s[12:13]
.LBB40_160:
	s_or_b64 exec, exec, s[10:11]
	s_and_saveexec_b64 s[8:9], s[40:41]
	s_cbranch_execz .LBB40_162
; %bb.161:
	v_mov_b32_e32 v22, 0
	ds_read_b64 v[22:23], v22 offset:27560
	s_waitcnt lgkmcnt(0)
	v_mul_f64 v[11:12], v[11:12], v[22:23]
	v_xor_b32_e32 v23, 0x80000000, v12
	v_mov_b32_e32 v22, v11
	ds_write_b64 v14, v[22:23]
.LBB40_162:
	s_or_b64 exec, exec, s[8:9]
	s_waitcnt lgkmcnt(0)
	s_barrier
	s_and_saveexec_b64 s[8:9], s[38:39]
	s_cbranch_execz .LBB40_164
; %bb.163:
	v_mov_b32_e32 v22, 0
	ds_read_b64 v[22:23], v22 offset:27552
	ds_read_b64 v[24:25], v14
	s_waitcnt lgkmcnt(0)
	v_fma_f64 v[11:12], -v[22:23], v[24:25], v[11:12]
.LBB40_164:
	s_or_b64 exec, exec, s[8:9]
	s_barrier
	s_and_saveexec_b64 s[8:9], s[38:39]
	s_cbranch_execz .LBB40_166
; %bb.165:
	v_mov_b32_e32 v22, 0
	ds_read_b64 v[22:23], v22 offset:27040
	s_waitcnt lgkmcnt(0)
	v_mul_f64 v[11:12], v[11:12], v[22:23]
	v_xor_b32_e32 v23, 0x80000000, v12
	v_mov_b32_e32 v22, v11
	ds_write_b64 v14, v[22:23]
.LBB40_166:
	s_or_b64 exec, exec, s[8:9]
	s_waitcnt lgkmcnt(0)
	s_barrier
	s_barrier
	s_and_saveexec_b64 s[8:9], s[0:1]
; %bb.167:
	v_lshlrev_b32_e32 v22, 3, v1
	v_lshl_or_b32 v22, v13, 9, v22
	ds_write_b64 v22, v[11:12] offset:28064
; %bb.168:
	s_or_b64 exec, exec, s[8:9]
	s_waitcnt lgkmcnt(0)
	s_barrier
	s_barrier
	s_and_saveexec_b64 s[8:9], vcc
	s_cbranch_execz .LBB40_170
; %bb.169:
	v_mov_b32_e32 v26, 0
	ds_read_b128 v[22:25], v26 offset:27552
	ds_read_b64 v[11:12], v26 offset:27040
	s_waitcnt lgkmcnt(0)
	v_mul_f64 v[11:12], v[11:12], v[24:25]
	v_mul_f64 v[11:12], v[22:23], v[11:12]
	ds_write_b64 v26, v[11:12] offset:27552
.LBB40_170:
	s_or_b64 exec, exec, s[8:9]
	v_mov_b32_e32 v11, 0
	v_mov_b32_e32 v12, 0
	s_waitcnt lgkmcnt(0)
	s_barrier
	buffer_wbinvl1_vol
	s_and_saveexec_b64 s[10:11], s[2:3]
	s_cbranch_execz .LBB40_176
; %bb.171:
	v_lshlrev_b32_e32 v23, 3, v16
	v_lshlrev_b32_e32 v22, 9, v17
	ds_read_b64 v[11:12], v23 offset:27008
	ds_read_b64 v[24:25], v22 offset:27040
	v_cmp_gt_u32_e64 s[8:9], 12, v15
	s_waitcnt lgkmcnt(0)
	v_fma_f64 v[11:12], v[11:12], v[24:25], 0
	s_and_saveexec_b64 s[12:13], s[8:9]
	s_cbranch_execnz .LBB40_1043
; %bb.172:
	s_or_b64 exec, exec, s[12:13]
	v_cmp_gt_u32_e64 s[8:9], 8, v15
	s_and_saveexec_b64 s[12:13], s[8:9]
	s_cbranch_execnz .LBB40_1044
.LBB40_173:
	s_or_b64 exec, exec, s[12:13]
	v_cmp_gt_u32_e64 s[8:9], 4, v15
	s_and_saveexec_b64 s[12:13], s[8:9]
	s_cbranch_execz .LBB40_175
.LBB40_174:
	v_lshlrev_b32_e32 v22, 3, v0
	v_mov_b32_e32 v24, 0
	ds_read_b64 v[22:23], v22 offset:28544
	ds_read_b64 v[24:25], v24 offset:28600
	s_waitcnt lgkmcnt(0)
	v_fma_f64 v[11:12], v[22:23], v[24:25], v[11:12]
.LBB40_175:
	s_or_b64 exec, exec, s[12:13]
.LBB40_176:
	s_or_b64 exec, exec, s[10:11]
	s_and_saveexec_b64 s[8:9], s[44:45]
	s_cbranch_execz .LBB40_178
; %bb.177:
	v_mov_b32_e32 v22, 0
	ds_read_b64 v[22:23], v22 offset:26520
	s_waitcnt lgkmcnt(0)
	v_mul_f64 v[11:12], v[11:12], v[22:23]
	v_xor_b32_e32 v23, 0x80000000, v12
	v_mov_b32_e32 v22, v11
	ds_write_b64 v18, v[22:23]
.LBB40_178:
	s_or_b64 exec, exec, s[8:9]
	s_waitcnt lgkmcnt(0)
	s_barrier
	s_and_saveexec_b64 s[8:9], s[46:47]
	s_cbranch_execz .LBB40_180
; %bb.179:
	v_lshlrev_b32_e32 v22, 3, v16
	ds_read_b64 v[22:23], v22 offset:26496
	ds_read_b64 v[24:25], v18
	s_waitcnt lgkmcnt(0)
	v_fma_f64 v[11:12], -v[22:23], v[24:25], v[11:12]
.LBB40_180:
	s_or_b64 exec, exec, s[8:9]
	s_barrier
	s_and_saveexec_b64 s[8:9], s[48:49]
	s_cbranch_execz .LBB40_182
; %bb.181:
	v_mov_b32_e32 v22, 0
	ds_read_b64 v[22:23], v22 offset:26000
	s_waitcnt lgkmcnt(0)
	v_mul_f64 v[11:12], v[11:12], v[22:23]
	v_xor_b32_e32 v23, 0x80000000, v12
	v_mov_b32_e32 v22, v11
	ds_write_b64 v18, v[22:23]
.LBB40_182:
	s_or_b64 exec, exec, s[8:9]
	s_waitcnt lgkmcnt(0)
	s_barrier
	s_and_saveexec_b64 s[8:9], s[50:51]
	s_cbranch_execz .LBB40_184
; %bb.183:
	v_lshlrev_b32_e32 v22, 3, v16
	ds_read_b64 v[22:23], v22 offset:25984
	ds_read_b64 v[24:25], v18
	s_waitcnt lgkmcnt(0)
	v_fma_f64 v[11:12], -v[22:23], v[24:25], v[11:12]
.LBB40_184:
	s_or_b64 exec, exec, s[8:9]
	s_barrier
	s_and_saveexec_b64 s[8:9], s[52:53]
	s_cbranch_execz .LBB40_186
; %bb.185:
	v_mov_b32_e32 v22, 0
	ds_read_b64 v[22:23], v22 offset:25480
	s_waitcnt lgkmcnt(0)
	v_mul_f64 v[11:12], v[11:12], v[22:23]
	v_xor_b32_e32 v23, 0x80000000, v12
	v_mov_b32_e32 v22, v11
	ds_write_b64 v18, v[22:23]
.LBB40_186:
	s_or_b64 exec, exec, s[8:9]
	s_waitcnt lgkmcnt(0)
	s_barrier
	s_and_saveexec_b64 s[8:9], s[42:43]
	s_cbranch_execz .LBB40_188
; %bb.187:
	v_mov_b32_e32 v22, 0
	ds_read_b64 v[22:23], v22 offset:25472
	ds_read_b64 v[24:25], v18
	s_waitcnt lgkmcnt(0)
	v_fma_f64 v[11:12], -v[22:23], v[24:25], v[11:12]
.LBB40_188:
	s_or_b64 exec, exec, s[8:9]
	s_barrier
	s_and_saveexec_b64 s[8:9], s[42:43]
	s_cbranch_execz .LBB40_190
; %bb.189:
	v_mov_b32_e32 v22, 0
	ds_read_b64 v[22:23], v22 offset:24960
	s_waitcnt lgkmcnt(0)
	v_mul_f64 v[11:12], v[11:12], v[22:23]
	v_xor_b32_e32 v23, 0x80000000, v12
	v_mov_b32_e32 v22, v11
	ds_write_b64 v18, v[22:23]
.LBB40_190:
	s_or_b64 exec, exec, s[8:9]
	s_waitcnt lgkmcnt(0)
	s_barrier
	s_barrier
	s_and_saveexec_b64 s[8:9], s[2:3]
; %bb.191:
	v_lshlrev_b32_e32 v22, 3, v16
	v_lshl_or_b32 v22, v17, 9, v22
	ds_write_b64 v22, v[11:12] offset:27008
; %bb.192:
	s_or_b64 exec, exec, s[8:9]
	s_waitcnt lgkmcnt(0)
	s_barrier
	s_barrier
	s_and_saveexec_b64 s[8:9], vcc
	s_cbranch_execz .LBB40_194
; %bb.193:
	v_mov_b32_e32 v26, 0
	ds_read_b128 v[22:25], v26 offset:26512
	ds_read_b64 v[11:12], v26 offset:26000
	s_waitcnt lgkmcnt(0)
	v_mul_f64 v[11:12], v[11:12], v[24:25]
	v_mul_f64 v[11:12], v[22:23], v[11:12]
	ds_write_b64 v26, v[11:12] offset:26512
.LBB40_194:
	s_or_b64 exec, exec, s[8:9]
	v_mov_b32_e32 v11, 0
	v_mov_b32_e32 v12, 0
	s_waitcnt lgkmcnt(0)
	s_barrier
	buffer_wbinvl1_vol
	s_and_saveexec_b64 s[10:11], s[0:1]
	s_cbranch_execz .LBB40_198
; %bb.195:
	v_lshlrev_b32_e32 v22, 9, v13
	v_lshlrev_b32_e32 v11, 3, v1
	ds_read_b64 v[11:12], v11 offset:25984
	ds_read_b64 v[22:23], v22 offset:26000
	v_cmp_gt_u32_e64 s[8:9], 2, v15
	s_waitcnt lgkmcnt(0)
	v_fma_f64 v[11:12], v[11:12], v[22:23], 0
	s_and_saveexec_b64 s[12:13], s[8:9]
	s_cbranch_execz .LBB40_197
; %bb.196:
	v_lshlrev_b32_e32 v22, 3, v0
	v_mov_b32_e32 v24, 0
	ds_read_b64 v[22:23], v22 offset:26496
	ds_read_b64 v[24:25], v24 offset:26520
	s_waitcnt lgkmcnt(0)
	v_fma_f64 v[11:12], v[22:23], v[24:25], v[11:12]
.LBB40_197:
	s_or_b64 exec, exec, s[12:13]
.LBB40_198:
	s_or_b64 exec, exec, s[10:11]
	s_and_saveexec_b64 s[8:9], s[40:41]
	s_cbranch_execz .LBB40_200
; %bb.199:
	v_mov_b32_e32 v22, 0
	ds_read_b64 v[22:23], v22 offset:25480
	s_waitcnt lgkmcnt(0)
	v_mul_f64 v[11:12], v[11:12], v[22:23]
	v_xor_b32_e32 v23, 0x80000000, v12
	v_mov_b32_e32 v22, v11
	ds_write_b64 v14, v[22:23]
.LBB40_200:
	s_or_b64 exec, exec, s[8:9]
	s_waitcnt lgkmcnt(0)
	s_barrier
	s_and_saveexec_b64 s[8:9], s[38:39]
	s_cbranch_execz .LBB40_202
; %bb.201:
	v_mov_b32_e32 v22, 0
	ds_read_b64 v[22:23], v22 offset:25472
	ds_read_b64 v[24:25], v14
	s_waitcnt lgkmcnt(0)
	v_fma_f64 v[11:12], -v[22:23], v[24:25], v[11:12]
.LBB40_202:
	s_or_b64 exec, exec, s[8:9]
	s_barrier
	s_and_saveexec_b64 s[8:9], s[38:39]
	s_cbranch_execz .LBB40_204
; %bb.203:
	v_mov_b32_e32 v22, 0
	ds_read_b64 v[22:23], v22 offset:24960
	s_waitcnt lgkmcnt(0)
	v_mul_f64 v[11:12], v[11:12], v[22:23]
	v_xor_b32_e32 v23, 0x80000000, v12
	v_mov_b32_e32 v22, v11
	ds_write_b64 v14, v[22:23]
.LBB40_204:
	s_or_b64 exec, exec, s[8:9]
	s_waitcnt lgkmcnt(0)
	s_barrier
	s_barrier
	s_and_saveexec_b64 s[8:9], s[0:1]
; %bb.205:
	v_lshlrev_b32_e32 v22, 3, v1
	v_lshl_or_b32 v22, v13, 9, v22
	ds_write_b64 v22, v[11:12] offset:25984
; %bb.206:
	s_or_b64 exec, exec, s[8:9]
	s_waitcnt lgkmcnt(0)
	s_barrier
	s_barrier
	s_and_saveexec_b64 s[8:9], vcc
	s_cbranch_execz .LBB40_208
; %bb.207:
	v_mov_b32_e32 v26, 0
	ds_read_b128 v[22:25], v26 offset:25472
	ds_read_b64 v[11:12], v26 offset:24960
	s_waitcnt lgkmcnt(0)
	v_mul_f64 v[11:12], v[11:12], v[24:25]
	v_mul_f64 v[11:12], v[22:23], v[11:12]
	ds_write_b64 v26, v[11:12] offset:25472
.LBB40_208:
	s_or_b64 exec, exec, s[8:9]
	s_movk_i32 s8, 0xff
	v_lshrrev_b32_e32 v24, 4, v15
	v_cmp_lt_u32_e64 s[10:11], s8, v15
	s_movk_i32 s8, 0x100
	v_mov_b32_e32 v11, 0
	v_and_b32_e32 v22, 15, v0
	v_sub_u32_e32 v23, 15, v24
	v_mov_b32_e32 v12, 0
	v_cmp_gt_u32_e64 s[8:9], s8, v15
	s_waitcnt lgkmcnt(0)
	s_barrier
	buffer_wbinvl1_vol
	s_and_saveexec_b64 s[16:17], s[8:9]
	s_cbranch_execz .LBB40_236
; %bb.209:
	v_lshlrev_b32_e32 v26, 3, v22
	v_lshlrev_b32_e32 v25, 9, v23
	ds_read_b64 v[11:12], v26 offset:24832
	ds_read_b64 v[27:28], v25 offset:24960
	s_movk_i32 s12, 0xf0
	v_cmp_gt_u32_e64 s[12:13], s12, v15
	s_waitcnt lgkmcnt(0)
	v_fma_f64 v[11:12], v[11:12], v[27:28], 0
	s_and_saveexec_b64 s[82:83], s[12:13]
	s_cbranch_execz .LBB40_211
; %bb.210:
	ds_read_b64 v[27:28], v26 offset:25344
	ds_read_b64 v[29:30], v25 offset:24968
	s_waitcnt lgkmcnt(0)
	v_fma_f64 v[11:12], v[27:28], v[29:30], v[11:12]
.LBB40_211:
	s_or_b64 exec, exec, s[82:83]
	s_movk_i32 s12, 0xe0
	v_cmp_gt_u32_e64 s[12:13], s12, v15
	s_and_saveexec_b64 s[82:83], s[12:13]
	s_cbranch_execz .LBB40_213
; %bb.212:
	ds_read_b64 v[27:28], v26 offset:25856
	ds_read_b64 v[29:30], v25 offset:24976
	s_waitcnt lgkmcnt(0)
	v_fma_f64 v[11:12], v[27:28], v[29:30], v[11:12]
.LBB40_213:
	s_or_b64 exec, exec, s[82:83]
	s_movk_i32 s12, 0xd0
	v_cmp_gt_u32_e64 s[12:13], s12, v15
	;; [unrolled: 11-line block ×10, first 2 shown]
	s_and_saveexec_b64 s[82:83], s[12:13]
	s_cbranch_execnz .LBB40_1045
; %bb.230:
	s_or_b64 exec, exec, s[82:83]
	s_and_saveexec_b64 s[12:13], s[14:15]
	s_cbranch_execnz .LBB40_1046
.LBB40_231:
	s_or_b64 exec, exec, s[12:13]
	v_cmp_gt_u32_e64 s[12:13], 48, v15
	s_and_saveexec_b64 s[82:83], s[12:13]
	s_cbranch_execnz .LBB40_1047
.LBB40_232:
	s_or_b64 exec, exec, s[82:83]
	v_cmp_gt_u32_e64 s[12:13], 32, v15
	s_and_saveexec_b64 s[82:83], s[12:13]
	s_cbranch_execnz .LBB40_1048
.LBB40_233:
	s_or_b64 exec, exec, s[82:83]
	v_cmp_gt_u32_e64 s[12:13], 16, v15
	s_and_saveexec_b64 s[82:83], s[12:13]
	s_cbranch_execz .LBB40_235
.LBB40_234:
	v_lshlrev_b32_e32 v25, 3, v0
	v_mov_b32_e32 v27, 0
	ds_read_b64 v[25:26], v25 offset:32512
	ds_read_b64 v[27:28], v27 offset:32760
	s_waitcnt lgkmcnt(0)
	v_fma_f64 v[11:12], v[25:26], v[27:28], v[11:12]
.LBB40_235:
	s_or_b64 exec, exec, s[82:83]
.LBB40_236:
	s_or_b64 exec, exec, s[16:17]
	v_mov_b32_e32 v25, 0x8000
	v_lshl_add_u32 v24, v24, 3, v25
	v_cmp_eq_u32_e64 s[12:13], 15, v22
	s_xor_b64 s[16:17], s[10:11], -1
	s_and_b64 s[12:13], s[12:13], s[16:17]
	s_mov_b64 s[10:11], exec
	v_writelane_b32 v36, s12, 1
	v_writelane_b32 v36, s13, 2
	s_and_b64 s[12:13], s[10:11], s[12:13]
	s_mov_b64 exec, s[12:13]
	s_cbranch_execz .LBB40_238
; %bb.237:
	v_mov_b32_e32 v25, 0
	ds_read_b64 v[25:26], v25 offset:24440
	s_waitcnt lgkmcnt(0)
	v_mul_f64 v[11:12], v[11:12], v[25:26]
	v_xor_b32_e32 v26, 0x80000000, v12
	v_mov_b32_e32 v25, v11
	ds_write_b64 v24, v[25:26]
.LBB40_238:
	s_or_b64 exec, exec, s[10:11]
	v_cmp_ne_u32_e64 s[10:11], 15, v22
	s_waitcnt lgkmcnt(0)
	s_barrier
	s_and_b64 s[12:13], s[10:11], s[16:17]
	s_mov_b64 s[10:11], exec
	v_writelane_b32 v36, s12, 3
	v_writelane_b32 v36, s13, 4
	s_and_b64 s[12:13], s[10:11], s[12:13]
	s_mov_b64 exec, s[12:13]
	s_cbranch_execz .LBB40_240
; %bb.239:
	v_lshlrev_b32_e32 v25, 3, v22
	ds_read_b64 v[25:26], v25 offset:24320
	ds_read_b64 v[27:28], v24
	s_waitcnt lgkmcnt(0)
	v_fma_f64 v[11:12], -v[25:26], v[27:28], v[11:12]
.LBB40_240:
	s_or_b64 exec, exec, s[10:11]
	v_cmp_eq_u32_e64 s[10:11], 14, v22
	s_barrier
	s_and_b64 s[12:13], s[10:11], s[16:17]
	s_mov_b64 s[10:11], exec
	v_writelane_b32 v36, s12, 5
	v_writelane_b32 v36, s13, 6
	s_and_b64 s[12:13], s[10:11], s[12:13]
	s_mov_b64 exec, s[12:13]
	s_cbranch_execz .LBB40_242
; %bb.241:
	v_mov_b32_e32 v25, 0
	ds_read_b64 v[25:26], v25 offset:23920
	s_waitcnt lgkmcnt(0)
	v_mul_f64 v[11:12], v[11:12], v[25:26]
	v_xor_b32_e32 v26, 0x80000000, v12
	v_mov_b32_e32 v25, v11
	ds_write_b64 v24, v[25:26]
.LBB40_242:
	s_or_b64 exec, exec, s[10:11]
	v_cmp_gt_u32_e64 s[10:11], 14, v22
	s_waitcnt lgkmcnt(0)
	s_barrier
	s_and_b64 s[12:13], s[10:11], s[16:17]
	s_mov_b64 s[10:11], exec
	v_writelane_b32 v36, s12, 7
	v_writelane_b32 v36, s13, 8
	s_and_b64 s[12:13], s[10:11], s[12:13]
	s_mov_b64 exec, s[12:13]
	s_cbranch_execz .LBB40_244
; %bb.243:
	v_lshlrev_b32_e32 v25, 3, v22
	ds_read_b64 v[25:26], v25 offset:23808
	ds_read_b64 v[27:28], v24
	s_waitcnt lgkmcnt(0)
	v_fma_f64 v[11:12], -v[25:26], v[27:28], v[11:12]
.LBB40_244:
	s_or_b64 exec, exec, s[10:11]
	v_cmp_eq_u32_e64 s[10:11], 13, v22
	s_barrier
	s_and_b64 s[12:13], s[10:11], s[16:17]
	s_mov_b64 s[10:11], exec
	v_writelane_b32 v36, s12, 9
	v_writelane_b32 v36, s13, 10
	s_and_b64 s[12:13], s[10:11], s[12:13]
	s_mov_b64 exec, s[12:13]
	s_cbranch_execz .LBB40_246
; %bb.245:
	v_mov_b32_e32 v25, 0
	ds_read_b64 v[25:26], v25 offset:23400
	s_waitcnt lgkmcnt(0)
	v_mul_f64 v[11:12], v[11:12], v[25:26]
	v_xor_b32_e32 v26, 0x80000000, v12
	v_mov_b32_e32 v25, v11
	ds_write_b64 v24, v[25:26]
.LBB40_246:
	s_or_b64 exec, exec, s[10:11]
	v_cmp_gt_u32_e64 s[10:11], 13, v22
	;; [unrolled: 37-line block ×13, first 2 shown]
	s_and_b64 s[84:85], s[10:11], s[16:17]
	s_waitcnt lgkmcnt(0)
	s_barrier
	s_and_saveexec_b64 s[10:11], s[84:85]
	s_cbranch_execz .LBB40_292
; %bb.291:
	v_lshlrev_b32_e32 v25, 3, v22
	ds_read_b64 v[25:26], v25 offset:17664
	ds_read_b64 v[27:28], v24
	s_waitcnt lgkmcnt(0)
	v_fma_f64 v[11:12], -v[25:26], v[27:28], v[11:12]
.LBB40_292:
	s_or_b64 exec, exec, s[10:11]
	v_cmp_eq_u32_e64 s[10:11], 1, v22
	s_and_b64 s[86:87], s[10:11], s[16:17]
	s_barrier
	s_and_saveexec_b64 s[10:11], s[86:87]
	s_cbranch_execz .LBB40_294
; %bb.293:
	v_mov_b32_e32 v25, 0
	ds_read_b64 v[25:26], v25 offset:17160
	s_waitcnt lgkmcnt(0)
	v_mul_f64 v[11:12], v[11:12], v[25:26]
	v_xor_b32_e32 v26, 0x80000000, v12
	v_mov_b32_e32 v25, v11
	ds_write_b64 v24, v[25:26]
.LBB40_294:
	s_or_b64 exec, exec, s[10:11]
	v_cmp_eq_u32_e64 s[10:11], 0, v22
	s_and_b64 s[82:83], s[10:11], s[16:17]
	s_waitcnt lgkmcnt(0)
	s_barrier
	s_and_saveexec_b64 s[10:11], s[82:83]
	s_cbranch_execz .LBB40_296
; %bb.295:
	v_mov_b32_e32 v25, 0
	ds_read_b64 v[25:26], v25 offset:17152
	ds_read_b64 v[27:28], v24
	s_waitcnt lgkmcnt(0)
	v_fma_f64 v[11:12], -v[25:26], v[27:28], v[11:12]
.LBB40_296:
	s_or_b64 exec, exec, s[10:11]
	s_barrier
	s_and_saveexec_b64 s[10:11], s[82:83]
	s_cbranch_execz .LBB40_298
; %bb.297:
	v_mov_b32_e32 v25, 0
	ds_read_b64 v[25:26], v25 offset:16640
	s_waitcnt lgkmcnt(0)
	v_mul_f64 v[11:12], v[11:12], v[25:26]
	v_xor_b32_e32 v26, 0x80000000, v12
	v_mov_b32_e32 v25, v11
	ds_write_b64 v24, v[25:26]
.LBB40_298:
	s_or_b64 exec, exec, s[10:11]
	s_waitcnt lgkmcnt(0)
	s_barrier
	s_barrier
	s_and_saveexec_b64 s[10:11], s[8:9]
; %bb.299:
	v_lshlrev_b32_e32 v25, 3, v22
	v_lshl_or_b32 v25, v23, 9, v25
	ds_write_b64 v25, v[11:12] offset:24832
; %bb.300:
	s_or_b64 exec, exec, s[10:11]
	s_waitcnt lgkmcnt(0)
	s_barrier
	s_barrier
	s_and_saveexec_b64 s[10:11], vcc
	s_cbranch_execz .LBB40_302
; %bb.301:
	v_mov_b32_e32 v29, 0
	ds_read_b128 v[25:28], v29 offset:24432
	ds_read_b64 v[11:12], v29 offset:23920
	s_waitcnt lgkmcnt(0)
	v_mul_f64 v[11:12], v[11:12], v[27:28]
	v_mul_f64 v[11:12], v[25:26], v[11:12]
	ds_write_b64 v29, v[11:12] offset:24432
.LBB40_302:
	s_or_b64 exec, exec, s[10:11]
	v_mov_b32_e32 v11, 0
	v_mov_b32_e32 v12, 0
	s_waitcnt lgkmcnt(0)
	s_barrier
	buffer_wbinvl1_vol
	s_and_saveexec_b64 s[12:13], s[0:1]
	s_cbranch_execz .LBB40_306
; %bb.303:
	v_lshlrev_b32_e32 v25, 9, v13
	v_lshlrev_b32_e32 v11, 3, v1
	ds_read_b64 v[11:12], v11 offset:23904
	ds_read_b64 v[25:26], v25 offset:23920
	v_cmp_gt_u32_e64 s[10:11], 2, v15
	s_waitcnt lgkmcnt(0)
	v_fma_f64 v[11:12], v[11:12], v[25:26], 0
	s_and_saveexec_b64 s[16:17], s[10:11]
	s_cbranch_execz .LBB40_305
; %bb.304:
	v_lshlrev_b32_e32 v25, 3, v0
	v_mov_b32_e32 v27, 0
	ds_read_b64 v[25:26], v25 offset:24416
	ds_read_b64 v[27:28], v27 offset:24440
	s_waitcnt lgkmcnt(0)
	v_fma_f64 v[11:12], v[25:26], v[27:28], v[11:12]
.LBB40_305:
	s_or_b64 exec, exec, s[16:17]
.LBB40_306:
	s_or_b64 exec, exec, s[12:13]
	s_and_saveexec_b64 s[10:11], s[40:41]
	s_cbranch_execz .LBB40_308
; %bb.307:
	v_mov_b32_e32 v25, 0
	ds_read_b64 v[25:26], v25 offset:23400
	s_waitcnt lgkmcnt(0)
	v_mul_f64 v[11:12], v[11:12], v[25:26]
	v_xor_b32_e32 v26, 0x80000000, v12
	v_mov_b32_e32 v25, v11
	ds_write_b64 v14, v[25:26]
.LBB40_308:
	s_or_b64 exec, exec, s[10:11]
	s_waitcnt lgkmcnt(0)
	s_barrier
	s_and_saveexec_b64 s[10:11], s[38:39]
	s_cbranch_execz .LBB40_310
; %bb.309:
	v_mov_b32_e32 v25, 0
	ds_read_b64 v[25:26], v25 offset:23392
	ds_read_b64 v[27:28], v14
	s_waitcnt lgkmcnt(0)
	v_fma_f64 v[11:12], -v[25:26], v[27:28], v[11:12]
.LBB40_310:
	s_or_b64 exec, exec, s[10:11]
	s_barrier
	s_and_saveexec_b64 s[10:11], s[38:39]
	s_cbranch_execz .LBB40_312
; %bb.311:
	v_mov_b32_e32 v25, 0
	ds_read_b64 v[25:26], v25 offset:22880
	s_waitcnt lgkmcnt(0)
	v_mul_f64 v[11:12], v[11:12], v[25:26]
	v_xor_b32_e32 v26, 0x80000000, v12
	v_mov_b32_e32 v25, v11
	ds_write_b64 v14, v[25:26]
.LBB40_312:
	s_or_b64 exec, exec, s[10:11]
	s_waitcnt lgkmcnt(0)
	s_barrier
	s_barrier
	s_and_saveexec_b64 s[10:11], s[0:1]
; %bb.313:
	v_lshlrev_b32_e32 v25, 3, v1
	v_lshl_or_b32 v25, v13, 9, v25
	ds_write_b64 v25, v[11:12] offset:23904
; %bb.314:
	s_or_b64 exec, exec, s[10:11]
	s_waitcnt lgkmcnt(0)
	s_barrier
	s_barrier
	s_and_saveexec_b64 s[10:11], vcc
	s_cbranch_execz .LBB40_316
; %bb.315:
	v_mov_b32_e32 v29, 0
	ds_read_b128 v[25:28], v29 offset:23392
	ds_read_b64 v[11:12], v29 offset:22880
	s_waitcnt lgkmcnt(0)
	v_mul_f64 v[11:12], v[11:12], v[27:28]
	v_mul_f64 v[11:12], v[25:26], v[11:12]
	ds_write_b64 v29, v[11:12] offset:23392
.LBB40_316:
	s_or_b64 exec, exec, s[10:11]
	v_mov_b32_e32 v11, 0
	v_mov_b32_e32 v12, 0
	s_waitcnt lgkmcnt(0)
	s_barrier
	buffer_wbinvl1_vol
	s_and_saveexec_b64 s[12:13], s[2:3]
	s_cbranch_execz .LBB40_322
; %bb.317:
	v_lshlrev_b32_e32 v26, 3, v16
	v_lshlrev_b32_e32 v25, 9, v17
	ds_read_b64 v[11:12], v26 offset:22848
	ds_read_b64 v[27:28], v25 offset:22880
	v_cmp_gt_u32_e64 s[10:11], 12, v15
	s_waitcnt lgkmcnt(0)
	v_fma_f64 v[11:12], v[11:12], v[27:28], 0
	s_and_saveexec_b64 s[16:17], s[10:11]
	s_cbranch_execnz .LBB40_1049
; %bb.318:
	s_or_b64 exec, exec, s[16:17]
	v_cmp_gt_u32_e64 s[10:11], 8, v15
	s_and_saveexec_b64 s[16:17], s[10:11]
	s_cbranch_execnz .LBB40_1050
.LBB40_319:
	s_or_b64 exec, exec, s[16:17]
	v_cmp_gt_u32_e64 s[10:11], 4, v15
	s_and_saveexec_b64 s[16:17], s[10:11]
	s_cbranch_execz .LBB40_321
.LBB40_320:
	v_lshlrev_b32_e32 v25, 3, v0
	v_mov_b32_e32 v27, 0
	ds_read_b64 v[25:26], v25 offset:24384
	ds_read_b64 v[27:28], v27 offset:24440
	s_waitcnt lgkmcnt(0)
	v_fma_f64 v[11:12], v[25:26], v[27:28], v[11:12]
.LBB40_321:
	s_or_b64 exec, exec, s[16:17]
.LBB40_322:
	s_or_b64 exec, exec, s[12:13]
	s_and_saveexec_b64 s[10:11], s[44:45]
	s_cbranch_execz .LBB40_324
; %bb.323:
	v_mov_b32_e32 v25, 0
	ds_read_b64 v[25:26], v25 offset:22360
	s_waitcnt lgkmcnt(0)
	v_mul_f64 v[11:12], v[11:12], v[25:26]
	v_xor_b32_e32 v26, 0x80000000, v12
	v_mov_b32_e32 v25, v11
	ds_write_b64 v18, v[25:26]
.LBB40_324:
	s_or_b64 exec, exec, s[10:11]
	s_waitcnt lgkmcnt(0)
	s_barrier
	s_and_saveexec_b64 s[10:11], s[46:47]
	s_cbranch_execz .LBB40_326
; %bb.325:
	v_lshlrev_b32_e32 v25, 3, v16
	ds_read_b64 v[25:26], v25 offset:22336
	ds_read_b64 v[27:28], v18
	s_waitcnt lgkmcnt(0)
	v_fma_f64 v[11:12], -v[25:26], v[27:28], v[11:12]
.LBB40_326:
	s_or_b64 exec, exec, s[10:11]
	s_barrier
	s_and_saveexec_b64 s[10:11], s[48:49]
	s_cbranch_execz .LBB40_328
; %bb.327:
	v_mov_b32_e32 v25, 0
	ds_read_b64 v[25:26], v25 offset:21840
	s_waitcnt lgkmcnt(0)
	v_mul_f64 v[11:12], v[11:12], v[25:26]
	v_xor_b32_e32 v26, 0x80000000, v12
	v_mov_b32_e32 v25, v11
	ds_write_b64 v18, v[25:26]
.LBB40_328:
	s_or_b64 exec, exec, s[10:11]
	s_waitcnt lgkmcnt(0)
	s_barrier
	s_and_saveexec_b64 s[10:11], s[50:51]
	s_cbranch_execz .LBB40_330
; %bb.329:
	v_lshlrev_b32_e32 v25, 3, v16
	ds_read_b64 v[25:26], v25 offset:21824
	ds_read_b64 v[27:28], v18
	s_waitcnt lgkmcnt(0)
	v_fma_f64 v[11:12], -v[25:26], v[27:28], v[11:12]
.LBB40_330:
	s_or_b64 exec, exec, s[10:11]
	s_barrier
	s_and_saveexec_b64 s[10:11], s[52:53]
	s_cbranch_execz .LBB40_332
; %bb.331:
	v_mov_b32_e32 v25, 0
	ds_read_b64 v[25:26], v25 offset:21320
	s_waitcnt lgkmcnt(0)
	v_mul_f64 v[11:12], v[11:12], v[25:26]
	v_xor_b32_e32 v26, 0x80000000, v12
	v_mov_b32_e32 v25, v11
	ds_write_b64 v18, v[25:26]
.LBB40_332:
	s_or_b64 exec, exec, s[10:11]
	s_waitcnt lgkmcnt(0)
	s_barrier
	s_and_saveexec_b64 s[10:11], s[42:43]
	s_cbranch_execz .LBB40_334
; %bb.333:
	v_mov_b32_e32 v25, 0
	ds_read_b64 v[25:26], v25 offset:21312
	ds_read_b64 v[27:28], v18
	s_waitcnt lgkmcnt(0)
	v_fma_f64 v[11:12], -v[25:26], v[27:28], v[11:12]
.LBB40_334:
	s_or_b64 exec, exec, s[10:11]
	s_barrier
	s_and_saveexec_b64 s[10:11], s[42:43]
	s_cbranch_execz .LBB40_336
; %bb.335:
	v_mov_b32_e32 v25, 0
	ds_read_b64 v[25:26], v25 offset:20800
	s_waitcnt lgkmcnt(0)
	v_mul_f64 v[11:12], v[11:12], v[25:26]
	v_xor_b32_e32 v26, 0x80000000, v12
	v_mov_b32_e32 v25, v11
	ds_write_b64 v18, v[25:26]
.LBB40_336:
	s_or_b64 exec, exec, s[10:11]
	s_waitcnt lgkmcnt(0)
	s_barrier
	s_barrier
	s_and_saveexec_b64 s[10:11], s[2:3]
; %bb.337:
	v_lshlrev_b32_e32 v25, 3, v16
	v_lshl_or_b32 v25, v17, 9, v25
	ds_write_b64 v25, v[11:12] offset:22848
; %bb.338:
	s_or_b64 exec, exec, s[10:11]
	s_waitcnt lgkmcnt(0)
	s_barrier
	s_barrier
	s_and_saveexec_b64 s[10:11], vcc
	s_cbranch_execz .LBB40_340
; %bb.339:
	v_mov_b32_e32 v29, 0
	ds_read_b128 v[25:28], v29 offset:22352
	ds_read_b64 v[11:12], v29 offset:21840
	s_waitcnt lgkmcnt(0)
	v_mul_f64 v[11:12], v[11:12], v[27:28]
	v_mul_f64 v[11:12], v[25:26], v[11:12]
	ds_write_b64 v29, v[11:12] offset:22352
.LBB40_340:
	s_or_b64 exec, exec, s[10:11]
	v_mov_b32_e32 v11, 0
	v_mov_b32_e32 v12, 0
	s_waitcnt lgkmcnt(0)
	s_barrier
	buffer_wbinvl1_vol
	s_and_saveexec_b64 s[12:13], s[0:1]
	s_cbranch_execz .LBB40_344
; %bb.341:
	v_lshlrev_b32_e32 v25, 9, v13
	v_lshlrev_b32_e32 v11, 3, v1
	ds_read_b64 v[11:12], v11 offset:21824
	ds_read_b64 v[25:26], v25 offset:21840
	v_cmp_gt_u32_e64 s[10:11], 2, v15
	s_waitcnt lgkmcnt(0)
	v_fma_f64 v[11:12], v[11:12], v[25:26], 0
	s_and_saveexec_b64 s[16:17], s[10:11]
	s_cbranch_execz .LBB40_343
; %bb.342:
	v_lshlrev_b32_e32 v25, 3, v0
	v_mov_b32_e32 v27, 0
	ds_read_b64 v[25:26], v25 offset:22336
	ds_read_b64 v[27:28], v27 offset:22360
	s_waitcnt lgkmcnt(0)
	v_fma_f64 v[11:12], v[25:26], v[27:28], v[11:12]
.LBB40_343:
	s_or_b64 exec, exec, s[16:17]
.LBB40_344:
	s_or_b64 exec, exec, s[12:13]
	s_and_saveexec_b64 s[10:11], s[40:41]
	s_cbranch_execz .LBB40_346
; %bb.345:
	v_mov_b32_e32 v25, 0
	ds_read_b64 v[25:26], v25 offset:21320
	s_waitcnt lgkmcnt(0)
	v_mul_f64 v[11:12], v[11:12], v[25:26]
	v_xor_b32_e32 v26, 0x80000000, v12
	v_mov_b32_e32 v25, v11
	ds_write_b64 v14, v[25:26]
.LBB40_346:
	s_or_b64 exec, exec, s[10:11]
	s_waitcnt lgkmcnt(0)
	s_barrier
	s_and_saveexec_b64 s[10:11], s[38:39]
	s_cbranch_execz .LBB40_348
; %bb.347:
	v_mov_b32_e32 v25, 0
	ds_read_b64 v[25:26], v25 offset:21312
	ds_read_b64 v[27:28], v14
	s_waitcnt lgkmcnt(0)
	v_fma_f64 v[11:12], -v[25:26], v[27:28], v[11:12]
.LBB40_348:
	s_or_b64 exec, exec, s[10:11]
	s_barrier
	s_and_saveexec_b64 s[10:11], s[38:39]
	s_cbranch_execz .LBB40_350
; %bb.349:
	v_mov_b32_e32 v25, 0
	ds_read_b64 v[25:26], v25 offset:20800
	s_waitcnt lgkmcnt(0)
	v_mul_f64 v[11:12], v[11:12], v[25:26]
	v_xor_b32_e32 v26, 0x80000000, v12
	v_mov_b32_e32 v25, v11
	ds_write_b64 v14, v[25:26]
.LBB40_350:
	s_or_b64 exec, exec, s[10:11]
	s_waitcnt lgkmcnt(0)
	s_barrier
	s_barrier
	s_and_saveexec_b64 s[10:11], s[0:1]
; %bb.351:
	v_lshlrev_b32_e32 v25, 3, v1
	v_lshl_or_b32 v25, v13, 9, v25
	ds_write_b64 v25, v[11:12] offset:21824
; %bb.352:
	s_or_b64 exec, exec, s[10:11]
	s_waitcnt lgkmcnt(0)
	s_barrier
	s_barrier
	s_and_saveexec_b64 s[10:11], vcc
	s_cbranch_execz .LBB40_354
; %bb.353:
	v_mov_b32_e32 v29, 0
	ds_read_b128 v[25:28], v29 offset:21312
	ds_read_b64 v[11:12], v29 offset:20800
	s_waitcnt lgkmcnt(0)
	v_mul_f64 v[11:12], v[11:12], v[27:28]
	v_mul_f64 v[11:12], v[25:26], v[11:12]
	ds_write_b64 v29, v[11:12] offset:21312
.LBB40_354:
	s_or_b64 exec, exec, s[10:11]
	v_mov_b32_e32 v11, 0
	v_mov_b32_e32 v12, 0
	s_waitcnt lgkmcnt(0)
	s_barrier
	buffer_wbinvl1_vol
	s_and_saveexec_b64 s[12:13], s[14:15]
	s_cbranch_execz .LBB40_364
; %bb.355:
	v_lshlrev_b32_e32 v26, 3, v19
	v_lshlrev_b32_e32 v25, 9, v20
	ds_read_b64 v[11:12], v26 offset:20736
	ds_read_b64 v[27:28], v25 offset:20800
	v_cmp_gt_u32_e64 s[10:11], 56, v15
	s_waitcnt lgkmcnt(0)
	v_fma_f64 v[11:12], v[11:12], v[27:28], 0
	s_and_saveexec_b64 s[16:17], s[10:11]
	s_cbranch_execnz .LBB40_1051
; %bb.356:
	s_or_b64 exec, exec, s[16:17]
	v_cmp_gt_u32_e64 s[10:11], 48, v15
	s_and_saveexec_b64 s[16:17], s[10:11]
	s_cbranch_execnz .LBB40_1052
.LBB40_357:
	s_or_b64 exec, exec, s[16:17]
	v_cmp_gt_u32_e64 s[10:11], 40, v15
	s_and_saveexec_b64 s[16:17], s[10:11]
	s_cbranch_execnz .LBB40_1053
.LBB40_358:
	s_or_b64 exec, exec, s[16:17]
	v_cmp_gt_u32_e64 s[10:11], 32, v15
	s_and_saveexec_b64 s[16:17], s[10:11]
	s_cbranch_execnz .LBB40_1054
.LBB40_359:
	s_or_b64 exec, exec, s[16:17]
	v_cmp_gt_u32_e64 s[10:11], 24, v15
	s_and_saveexec_b64 s[16:17], s[10:11]
	s_cbranch_execnz .LBB40_1055
.LBB40_360:
	s_or_b64 exec, exec, s[16:17]
	s_and_saveexec_b64 s[10:11], s[2:3]
	s_cbranch_execnz .LBB40_1056
.LBB40_361:
	s_or_b64 exec, exec, s[10:11]
	v_cmp_gt_u32_e64 s[10:11], 8, v15
	s_and_saveexec_b64 s[16:17], s[10:11]
	s_cbranch_execz .LBB40_363
.LBB40_362:
	v_lshlrev_b32_e32 v25, 3, v0
	v_mov_b32_e32 v27, 0
	ds_read_b64 v[25:26], v25 offset:24320
	ds_read_b64 v[27:28], v27 offset:24440
	s_waitcnt lgkmcnt(0)
	v_fma_f64 v[11:12], v[25:26], v[27:28], v[11:12]
.LBB40_363:
	s_or_b64 exec, exec, s[16:17]
.LBB40_364:
	s_or_b64 exec, exec, s[12:13]
	s_and_saveexec_b64 s[10:11], s[54:55]
	s_cbranch_execz .LBB40_366
; %bb.365:
	v_mov_b32_e32 v25, 0
	ds_read_b64 v[25:26], v25 offset:20280
	s_waitcnt lgkmcnt(0)
	v_mul_f64 v[11:12], v[11:12], v[25:26]
	v_xor_b32_e32 v26, 0x80000000, v12
	v_mov_b32_e32 v25, v11
	ds_write_b64 v21, v[25:26]
.LBB40_366:
	s_or_b64 exec, exec, s[10:11]
	s_waitcnt lgkmcnt(0)
	s_barrier
	s_and_saveexec_b64 s[10:11], s[56:57]
	s_cbranch_execz .LBB40_368
; %bb.367:
	v_lshlrev_b32_e32 v25, 3, v19
	ds_read_b64 v[25:26], v25 offset:20224
	ds_read_b64 v[27:28], v21
	s_waitcnt lgkmcnt(0)
	v_fma_f64 v[11:12], -v[25:26], v[27:28], v[11:12]
.LBB40_368:
	s_or_b64 exec, exec, s[10:11]
	s_barrier
	s_and_saveexec_b64 s[10:11], s[58:59]
	s_cbranch_execz .LBB40_370
; %bb.369:
	v_mov_b32_e32 v25, 0
	ds_read_b64 v[25:26], v25 offset:19760
	s_waitcnt lgkmcnt(0)
	v_mul_f64 v[11:12], v[11:12], v[25:26]
	v_xor_b32_e32 v26, 0x80000000, v12
	v_mov_b32_e32 v25, v11
	ds_write_b64 v21, v[25:26]
.LBB40_370:
	s_or_b64 exec, exec, s[10:11]
	s_waitcnt lgkmcnt(0)
	s_barrier
	s_and_saveexec_b64 s[10:11], s[60:61]
	s_cbranch_execz .LBB40_372
; %bb.371:
	v_lshlrev_b32_e32 v25, 3, v19
	ds_read_b64 v[25:26], v25 offset:19712
	ds_read_b64 v[27:28], v21
	s_waitcnt lgkmcnt(0)
	v_fma_f64 v[11:12], -v[25:26], v[27:28], v[11:12]
.LBB40_372:
	s_or_b64 exec, exec, s[10:11]
	s_barrier
	s_and_saveexec_b64 s[10:11], s[62:63]
	s_cbranch_execz .LBB40_374
; %bb.373:
	v_mov_b32_e32 v25, 0
	ds_read_b64 v[25:26], v25 offset:19240
	s_waitcnt lgkmcnt(0)
	v_mul_f64 v[11:12], v[11:12], v[25:26]
	v_xor_b32_e32 v26, 0x80000000, v12
	v_mov_b32_e32 v25, v11
	ds_write_b64 v21, v[25:26]
.LBB40_374:
	s_or_b64 exec, exec, s[10:11]
	s_waitcnt lgkmcnt(0)
	s_barrier
	s_and_saveexec_b64 s[10:11], s[66:67]
	s_cbranch_execz .LBB40_376
; %bb.375:
	v_lshlrev_b32_e32 v25, 3, v19
	ds_read_b64 v[25:26], v25 offset:19200
	ds_read_b64 v[27:28], v21
	s_waitcnt lgkmcnt(0)
	v_fma_f64 v[11:12], -v[25:26], v[27:28], v[11:12]
.LBB40_376:
	s_or_b64 exec, exec, s[10:11]
	s_barrier
	s_and_saveexec_b64 s[10:11], s[68:69]
	s_cbranch_execz .LBB40_378
; %bb.377:
	v_mov_b32_e32 v25, 0
	ds_read_b64 v[25:26], v25 offset:18720
	s_waitcnt lgkmcnt(0)
	v_mul_f64 v[11:12], v[11:12], v[25:26]
	v_xor_b32_e32 v26, 0x80000000, v12
	v_mov_b32_e32 v25, v11
	ds_write_b64 v21, v[25:26]
.LBB40_378:
	s_or_b64 exec, exec, s[10:11]
	s_waitcnt lgkmcnt(0)
	s_barrier
	s_and_saveexec_b64 s[10:11], s[70:71]
	s_cbranch_execz .LBB40_380
; %bb.379:
	v_lshlrev_b32_e32 v25, 3, v19
	ds_read_b64 v[25:26], v25 offset:18688
	ds_read_b64 v[27:28], v21
	s_waitcnt lgkmcnt(0)
	v_fma_f64 v[11:12], -v[25:26], v[27:28], v[11:12]
.LBB40_380:
	s_or_b64 exec, exec, s[10:11]
	s_barrier
	s_and_saveexec_b64 s[10:11], s[72:73]
	s_cbranch_execz .LBB40_382
; %bb.381:
	v_mov_b32_e32 v25, 0
	ds_read_b64 v[25:26], v25 offset:18200
	s_waitcnt lgkmcnt(0)
	v_mul_f64 v[11:12], v[11:12], v[25:26]
	v_xor_b32_e32 v26, 0x80000000, v12
	v_mov_b32_e32 v25, v11
	ds_write_b64 v21, v[25:26]
.LBB40_382:
	s_or_b64 exec, exec, s[10:11]
	s_waitcnt lgkmcnt(0)
	s_barrier
	s_and_saveexec_b64 s[10:11], s[74:75]
	s_cbranch_execz .LBB40_384
; %bb.383:
	v_lshlrev_b32_e32 v25, 3, v19
	ds_read_b64 v[25:26], v25 offset:18176
	ds_read_b64 v[27:28], v21
	s_waitcnt lgkmcnt(0)
	v_fma_f64 v[11:12], -v[25:26], v[27:28], v[11:12]
.LBB40_384:
	s_or_b64 exec, exec, s[10:11]
	s_barrier
	s_and_saveexec_b64 s[10:11], s[76:77]
	s_cbranch_execz .LBB40_386
; %bb.385:
	v_mov_b32_e32 v25, 0
	ds_read_b64 v[25:26], v25 offset:17680
	s_waitcnt lgkmcnt(0)
	v_mul_f64 v[11:12], v[11:12], v[25:26]
	v_xor_b32_e32 v26, 0x80000000, v12
	v_mov_b32_e32 v25, v11
	ds_write_b64 v21, v[25:26]
.LBB40_386:
	s_or_b64 exec, exec, s[10:11]
	s_waitcnt lgkmcnt(0)
	s_barrier
	s_and_saveexec_b64 s[10:11], s[78:79]
	s_cbranch_execz .LBB40_388
; %bb.387:
	v_lshlrev_b32_e32 v25, 3, v19
	ds_read_b64 v[25:26], v25 offset:17664
	ds_read_b64 v[27:28], v21
	s_waitcnt lgkmcnt(0)
	v_fma_f64 v[11:12], -v[25:26], v[27:28], v[11:12]
.LBB40_388:
	s_or_b64 exec, exec, s[10:11]
	s_barrier
	s_and_saveexec_b64 s[10:11], s[80:81]
	s_cbranch_execz .LBB40_390
; %bb.389:
	v_mov_b32_e32 v25, 0
	ds_read_b64 v[25:26], v25 offset:17160
	s_waitcnt lgkmcnt(0)
	v_mul_f64 v[11:12], v[11:12], v[25:26]
	v_xor_b32_e32 v26, 0x80000000, v12
	v_mov_b32_e32 v25, v11
	ds_write_b64 v21, v[25:26]
.LBB40_390:
	s_or_b64 exec, exec, s[10:11]
	s_waitcnt lgkmcnt(0)
	s_barrier
	s_and_saveexec_b64 s[10:11], s[64:65]
	s_cbranch_execz .LBB40_392
; %bb.391:
	v_mov_b32_e32 v25, 0
	ds_read_b64 v[25:26], v25 offset:17152
	ds_read_b64 v[27:28], v21
	s_waitcnt lgkmcnt(0)
	v_fma_f64 v[11:12], -v[25:26], v[27:28], v[11:12]
.LBB40_392:
	s_or_b64 exec, exec, s[10:11]
	s_barrier
	s_and_saveexec_b64 s[10:11], s[64:65]
	s_cbranch_execz .LBB40_394
; %bb.393:
	v_mov_b32_e32 v25, 0
	ds_read_b64 v[25:26], v25 offset:16640
	s_waitcnt lgkmcnt(0)
	v_mul_f64 v[11:12], v[11:12], v[25:26]
	v_xor_b32_e32 v26, 0x80000000, v12
	v_mov_b32_e32 v25, v11
	ds_write_b64 v21, v[25:26]
.LBB40_394:
	s_or_b64 exec, exec, s[10:11]
	s_waitcnt lgkmcnt(0)
	s_barrier
	s_barrier
	s_and_saveexec_b64 s[10:11], s[14:15]
; %bb.395:
	v_lshlrev_b32_e32 v25, 3, v19
	v_lshl_or_b32 v25, v20, 9, v25
	ds_write_b64 v25, v[11:12] offset:20736
; %bb.396:
	s_or_b64 exec, exec, s[10:11]
	s_waitcnt lgkmcnt(0)
	s_barrier
	s_barrier
	s_and_saveexec_b64 s[10:11], vcc
	s_cbranch_execz .LBB40_398
; %bb.397:
	v_mov_b32_e32 v29, 0
	ds_read_b128 v[25:28], v29 offset:20272
	ds_read_b64 v[11:12], v29 offset:19760
	s_waitcnt lgkmcnt(0)
	v_mul_f64 v[11:12], v[11:12], v[27:28]
	v_mul_f64 v[11:12], v[25:26], v[11:12]
	ds_write_b64 v29, v[11:12] offset:20272
.LBB40_398:
	s_or_b64 exec, exec, s[10:11]
	v_mov_b32_e32 v11, 0
	v_mov_b32_e32 v12, 0
	s_waitcnt lgkmcnt(0)
	s_barrier
	buffer_wbinvl1_vol
	s_and_saveexec_b64 s[12:13], s[0:1]
	s_cbranch_execz .LBB40_402
; %bb.399:
	v_lshlrev_b32_e32 v25, 9, v13
	v_lshlrev_b32_e32 v11, 3, v1
	ds_read_b64 v[11:12], v11 offset:19744
	ds_read_b64 v[25:26], v25 offset:19760
	v_cmp_gt_u32_e64 s[10:11], 2, v15
	s_waitcnt lgkmcnt(0)
	v_fma_f64 v[11:12], v[11:12], v[25:26], 0
	s_and_saveexec_b64 s[16:17], s[10:11]
	s_cbranch_execz .LBB40_401
; %bb.400:
	v_lshlrev_b32_e32 v25, 3, v0
	v_mov_b32_e32 v27, 0
	ds_read_b64 v[25:26], v25 offset:20256
	ds_read_b64 v[27:28], v27 offset:20280
	s_waitcnt lgkmcnt(0)
	v_fma_f64 v[11:12], v[25:26], v[27:28], v[11:12]
.LBB40_401:
	s_or_b64 exec, exec, s[16:17]
.LBB40_402:
	s_or_b64 exec, exec, s[12:13]
	s_and_saveexec_b64 s[10:11], s[40:41]
	s_cbranch_execz .LBB40_404
; %bb.403:
	v_mov_b32_e32 v25, 0
	ds_read_b64 v[25:26], v25 offset:19240
	s_waitcnt lgkmcnt(0)
	v_mul_f64 v[11:12], v[11:12], v[25:26]
	v_xor_b32_e32 v26, 0x80000000, v12
	v_mov_b32_e32 v25, v11
	ds_write_b64 v14, v[25:26]
.LBB40_404:
	s_or_b64 exec, exec, s[10:11]
	s_waitcnt lgkmcnt(0)
	s_barrier
	s_and_saveexec_b64 s[10:11], s[38:39]
	s_cbranch_execz .LBB40_406
; %bb.405:
	v_mov_b32_e32 v25, 0
	ds_read_b64 v[25:26], v25 offset:19232
	ds_read_b64 v[27:28], v14
	s_waitcnt lgkmcnt(0)
	v_fma_f64 v[11:12], -v[25:26], v[27:28], v[11:12]
.LBB40_406:
	s_or_b64 exec, exec, s[10:11]
	s_barrier
	s_and_saveexec_b64 s[10:11], s[38:39]
	s_cbranch_execz .LBB40_408
; %bb.407:
	v_mov_b32_e32 v25, 0
	ds_read_b64 v[25:26], v25 offset:18720
	s_waitcnt lgkmcnt(0)
	v_mul_f64 v[11:12], v[11:12], v[25:26]
	v_xor_b32_e32 v26, 0x80000000, v12
	v_mov_b32_e32 v25, v11
	ds_write_b64 v14, v[25:26]
.LBB40_408:
	s_or_b64 exec, exec, s[10:11]
	s_waitcnt lgkmcnt(0)
	s_barrier
	s_barrier
	s_and_saveexec_b64 s[10:11], s[0:1]
; %bb.409:
	v_lshlrev_b32_e32 v25, 3, v1
	v_lshl_or_b32 v25, v13, 9, v25
	ds_write_b64 v25, v[11:12] offset:19744
; %bb.410:
	s_or_b64 exec, exec, s[10:11]
	s_waitcnt lgkmcnt(0)
	s_barrier
	s_barrier
	s_and_saveexec_b64 s[10:11], vcc
	s_cbranch_execz .LBB40_412
; %bb.411:
	v_mov_b32_e32 v29, 0
	ds_read_b128 v[25:28], v29 offset:19232
	ds_read_b64 v[11:12], v29 offset:18720
	s_waitcnt lgkmcnt(0)
	v_mul_f64 v[11:12], v[11:12], v[27:28]
	v_mul_f64 v[11:12], v[25:26], v[11:12]
	ds_write_b64 v29, v[11:12] offset:19232
.LBB40_412:
	s_or_b64 exec, exec, s[10:11]
	v_mov_b32_e32 v11, 0
	v_mov_b32_e32 v12, 0
	s_waitcnt lgkmcnt(0)
	s_barrier
	buffer_wbinvl1_vol
	s_and_saveexec_b64 s[12:13], s[2:3]
	s_cbranch_execz .LBB40_418
; %bb.413:
	v_lshlrev_b32_e32 v26, 3, v16
	v_lshlrev_b32_e32 v25, 9, v17
	ds_read_b64 v[11:12], v26 offset:18688
	ds_read_b64 v[27:28], v25 offset:18720
	v_cmp_gt_u32_e64 s[10:11], 12, v15
	s_waitcnt lgkmcnt(0)
	v_fma_f64 v[11:12], v[11:12], v[27:28], 0
	s_and_saveexec_b64 s[16:17], s[10:11]
	s_cbranch_execnz .LBB40_1057
; %bb.414:
	s_or_b64 exec, exec, s[16:17]
	v_cmp_gt_u32_e64 s[10:11], 8, v15
	s_and_saveexec_b64 s[16:17], s[10:11]
	s_cbranch_execnz .LBB40_1058
.LBB40_415:
	s_or_b64 exec, exec, s[16:17]
	v_cmp_gt_u32_e64 s[10:11], 4, v15
	s_and_saveexec_b64 s[16:17], s[10:11]
	s_cbranch_execz .LBB40_417
.LBB40_416:
	v_lshlrev_b32_e32 v25, 3, v0
	v_mov_b32_e32 v27, 0
	ds_read_b64 v[25:26], v25 offset:20224
	ds_read_b64 v[27:28], v27 offset:20280
	s_waitcnt lgkmcnt(0)
	v_fma_f64 v[11:12], v[25:26], v[27:28], v[11:12]
.LBB40_417:
	s_or_b64 exec, exec, s[16:17]
.LBB40_418:
	s_or_b64 exec, exec, s[12:13]
	s_and_saveexec_b64 s[10:11], s[44:45]
	s_cbranch_execz .LBB40_420
; %bb.419:
	v_mov_b32_e32 v25, 0
	ds_read_b64 v[25:26], v25 offset:18200
	s_waitcnt lgkmcnt(0)
	v_mul_f64 v[11:12], v[11:12], v[25:26]
	v_xor_b32_e32 v26, 0x80000000, v12
	v_mov_b32_e32 v25, v11
	ds_write_b64 v18, v[25:26]
.LBB40_420:
	s_or_b64 exec, exec, s[10:11]
	s_waitcnt lgkmcnt(0)
	s_barrier
	s_and_saveexec_b64 s[10:11], s[46:47]
	s_cbranch_execz .LBB40_422
; %bb.421:
	v_lshlrev_b32_e32 v25, 3, v16
	ds_read_b64 v[25:26], v25 offset:18176
	ds_read_b64 v[27:28], v18
	s_waitcnt lgkmcnt(0)
	v_fma_f64 v[11:12], -v[25:26], v[27:28], v[11:12]
.LBB40_422:
	s_or_b64 exec, exec, s[10:11]
	s_barrier
	s_and_saveexec_b64 s[10:11], s[48:49]
	s_cbranch_execz .LBB40_424
; %bb.423:
	v_mov_b32_e32 v25, 0
	ds_read_b64 v[25:26], v25 offset:17680
	s_waitcnt lgkmcnt(0)
	v_mul_f64 v[11:12], v[11:12], v[25:26]
	v_xor_b32_e32 v26, 0x80000000, v12
	v_mov_b32_e32 v25, v11
	ds_write_b64 v18, v[25:26]
.LBB40_424:
	s_or_b64 exec, exec, s[10:11]
	s_waitcnt lgkmcnt(0)
	s_barrier
	s_and_saveexec_b64 s[10:11], s[50:51]
	s_cbranch_execz .LBB40_426
; %bb.425:
	v_lshlrev_b32_e32 v25, 3, v16
	ds_read_b64 v[25:26], v25 offset:17664
	ds_read_b64 v[27:28], v18
	s_waitcnt lgkmcnt(0)
	v_fma_f64 v[11:12], -v[25:26], v[27:28], v[11:12]
.LBB40_426:
	s_or_b64 exec, exec, s[10:11]
	s_barrier
	s_and_saveexec_b64 s[10:11], s[52:53]
	s_cbranch_execz .LBB40_428
; %bb.427:
	v_mov_b32_e32 v25, 0
	ds_read_b64 v[25:26], v25 offset:17160
	s_waitcnt lgkmcnt(0)
	v_mul_f64 v[11:12], v[11:12], v[25:26]
	v_xor_b32_e32 v26, 0x80000000, v12
	v_mov_b32_e32 v25, v11
	ds_write_b64 v18, v[25:26]
.LBB40_428:
	s_or_b64 exec, exec, s[10:11]
	s_waitcnt lgkmcnt(0)
	s_barrier
	s_and_saveexec_b64 s[10:11], s[42:43]
	s_cbranch_execz .LBB40_430
; %bb.429:
	v_mov_b32_e32 v25, 0
	ds_read_b64 v[25:26], v25 offset:17152
	ds_read_b64 v[27:28], v18
	s_waitcnt lgkmcnt(0)
	v_fma_f64 v[11:12], -v[25:26], v[27:28], v[11:12]
.LBB40_430:
	s_or_b64 exec, exec, s[10:11]
	s_barrier
	s_and_saveexec_b64 s[10:11], s[42:43]
	s_cbranch_execz .LBB40_432
; %bb.431:
	v_mov_b32_e32 v25, 0
	ds_read_b64 v[25:26], v25 offset:16640
	s_waitcnt lgkmcnt(0)
	v_mul_f64 v[11:12], v[11:12], v[25:26]
	v_xor_b32_e32 v26, 0x80000000, v12
	v_mov_b32_e32 v25, v11
	ds_write_b64 v18, v[25:26]
.LBB40_432:
	s_or_b64 exec, exec, s[10:11]
	s_waitcnt lgkmcnt(0)
	s_barrier
	s_barrier
	s_and_saveexec_b64 s[10:11], s[2:3]
; %bb.433:
	v_lshlrev_b32_e32 v25, 3, v16
	v_lshl_or_b32 v25, v17, 9, v25
	ds_write_b64 v25, v[11:12] offset:18688
; %bb.434:
	s_or_b64 exec, exec, s[10:11]
	s_waitcnt lgkmcnt(0)
	s_barrier
	s_barrier
	s_and_saveexec_b64 s[10:11], vcc
	s_cbranch_execz .LBB40_436
; %bb.435:
	v_mov_b32_e32 v29, 0
	ds_read_b128 v[25:28], v29 offset:18192
	ds_read_b64 v[11:12], v29 offset:17680
	s_waitcnt lgkmcnt(0)
	v_mul_f64 v[11:12], v[11:12], v[27:28]
	v_mul_f64 v[11:12], v[25:26], v[11:12]
	ds_write_b64 v29, v[11:12] offset:18192
.LBB40_436:
	s_or_b64 exec, exec, s[10:11]
	v_mov_b32_e32 v11, 0
	v_mov_b32_e32 v12, 0
	s_waitcnt lgkmcnt(0)
	s_barrier
	buffer_wbinvl1_vol
	s_and_saveexec_b64 s[12:13], s[0:1]
	s_cbranch_execz .LBB40_440
; %bb.437:
	v_lshlrev_b32_e32 v25, 9, v13
	v_lshlrev_b32_e32 v11, 3, v1
	ds_read_b64 v[11:12], v11 offset:17664
	ds_read_b64 v[25:26], v25 offset:17680
	v_cmp_gt_u32_e64 s[10:11], 2, v15
	s_waitcnt lgkmcnt(0)
	v_fma_f64 v[11:12], v[11:12], v[25:26], 0
	s_and_saveexec_b64 s[16:17], s[10:11]
	s_cbranch_execz .LBB40_439
; %bb.438:
	v_lshlrev_b32_e32 v25, 3, v0
	v_mov_b32_e32 v27, 0
	ds_read_b64 v[25:26], v25 offset:18176
	ds_read_b64 v[27:28], v27 offset:18200
	s_waitcnt lgkmcnt(0)
	v_fma_f64 v[11:12], v[25:26], v[27:28], v[11:12]
.LBB40_439:
	s_or_b64 exec, exec, s[16:17]
.LBB40_440:
	s_or_b64 exec, exec, s[12:13]
	s_and_saveexec_b64 s[10:11], s[40:41]
	s_cbranch_execz .LBB40_442
; %bb.441:
	v_mov_b32_e32 v25, 0
	ds_read_b64 v[25:26], v25 offset:17160
	s_waitcnt lgkmcnt(0)
	v_mul_f64 v[11:12], v[11:12], v[25:26]
	v_xor_b32_e32 v26, 0x80000000, v12
	v_mov_b32_e32 v25, v11
	ds_write_b64 v14, v[25:26]
.LBB40_442:
	s_or_b64 exec, exec, s[10:11]
	s_waitcnt lgkmcnt(0)
	s_barrier
	s_and_saveexec_b64 s[10:11], s[38:39]
	s_cbranch_execz .LBB40_444
; %bb.443:
	v_mov_b32_e32 v25, 0
	ds_read_b64 v[25:26], v25 offset:17152
	ds_read_b64 v[27:28], v14
	s_waitcnt lgkmcnt(0)
	v_fma_f64 v[11:12], -v[25:26], v[27:28], v[11:12]
.LBB40_444:
	s_or_b64 exec, exec, s[10:11]
	s_barrier
	s_and_saveexec_b64 s[10:11], s[38:39]
	s_cbranch_execz .LBB40_446
; %bb.445:
	v_mov_b32_e32 v25, 0
	ds_read_b64 v[25:26], v25 offset:16640
	s_waitcnt lgkmcnt(0)
	v_mul_f64 v[11:12], v[11:12], v[25:26]
	v_xor_b32_e32 v26, 0x80000000, v12
	v_mov_b32_e32 v25, v11
	ds_write_b64 v14, v[25:26]
.LBB40_446:
	s_or_b64 exec, exec, s[10:11]
	s_waitcnt lgkmcnt(0)
	s_barrier
	s_barrier
	s_and_saveexec_b64 s[10:11], s[0:1]
; %bb.447:
	v_lshlrev_b32_e32 v25, 3, v1
	v_lshl_or_b32 v25, v13, 9, v25
	ds_write_b64 v25, v[11:12] offset:17664
; %bb.448:
	s_or_b64 exec, exec, s[10:11]
	s_waitcnt lgkmcnt(0)
	s_barrier
	s_barrier
	s_and_saveexec_b64 s[10:11], vcc
	s_cbranch_execz .LBB40_450
; %bb.449:
	v_mov_b32_e32 v29, 0
	ds_read_b128 v[25:28], v29 offset:17152
	ds_read_b64 v[11:12], v29 offset:16640
	s_waitcnt lgkmcnt(0)
	v_mul_f64 v[11:12], v[11:12], v[27:28]
	v_mul_f64 v[11:12], v[25:26], v[11:12]
	ds_write_b64 v29, v[11:12] offset:17152
.LBB40_450:
	s_or_b64 exec, exec, s[10:11]
	s_movk_i32 s10, 0x3ff
	v_lshrrev_b32_e32 v27, 5, v15
	v_cmp_lt_u32_e64 s[12:13], s10, v15
	s_movk_i32 s10, 0x400
	v_mov_b32_e32 v11, 0
	v_and_b32_e32 v25, 31, v0
	v_sub_u32_e32 v26, 31, v27
	v_mov_b32_e32 v12, 0
	v_cmp_gt_u32_e64 s[10:11], s10, v15
	s_waitcnt lgkmcnt(0)
	s_barrier
	buffer_wbinvl1_vol
	s_and_saveexec_b64 s[88:89], s[10:11]
	s_cbranch_execz .LBB40_512
; %bb.451:
	v_lshlrev_b32_e32 v29, 3, v25
	v_lshlrev_b32_e32 v28, 9, v26
	ds_read_b64 v[11:12], v29 offset:16384
	ds_read_b64 v[30:31], v28 offset:16640
	s_movk_i32 s16, 0x3e0
	v_cmp_gt_u32_e64 s[16:17], s16, v15
	s_waitcnt lgkmcnt(0)
	v_fma_f64 v[11:12], v[11:12], v[30:31], 0
	s_and_saveexec_b64 s[90:91], s[16:17]
	s_cbranch_execz .LBB40_453
; %bb.452:
	ds_read_b64 v[30:31], v29 offset:16896
	ds_read_b64 v[32:33], v28 offset:16648
	s_waitcnt lgkmcnt(0)
	v_fma_f64 v[11:12], v[30:31], v[32:33], v[11:12]
.LBB40_453:
	s_or_b64 exec, exec, s[90:91]
	s_movk_i32 s16, 0x3c0
	v_cmp_gt_u32_e64 s[16:17], s16, v15
	s_and_saveexec_b64 s[90:91], s[16:17]
	s_cbranch_execz .LBB40_455
; %bb.454:
	ds_read_b64 v[30:31], v29 offset:17408
	ds_read_b64 v[32:33], v28 offset:16656
	s_waitcnt lgkmcnt(0)
	v_fma_f64 v[11:12], v[30:31], v[32:33], v[11:12]
.LBB40_455:
	s_or_b64 exec, exec, s[90:91]
	s_movk_i32 s16, 0x3a0
	v_cmp_gt_u32_e64 s[16:17], s16, v15
	;; [unrolled: 11-line block ×22, first 2 shown]
	s_and_saveexec_b64 s[90:91], s[16:17]
	s_cbranch_execz .LBB40_497
; %bb.496:
	ds_read_b64 v[30:31], v29 offset:28160
	ds_read_b64 v[32:33], v28 offset:16824
	s_waitcnt lgkmcnt(0)
	v_fma_f64 v[11:12], v[30:31], v[32:33], v[11:12]
.LBB40_497:
	s_or_b64 exec, exec, s[90:91]
	s_and_saveexec_b64 s[16:17], s[8:9]
	s_cbranch_execz .LBB40_499
; %bb.498:
	ds_read_b64 v[30:31], v29 offset:28672
	ds_read_b64 v[32:33], v28 offset:16832
	s_waitcnt lgkmcnt(0)
	v_fma_f64 v[11:12], v[30:31], v[32:33], v[11:12]
.LBB40_499:
	s_or_b64 exec, exec, s[16:17]
	s_movk_i32 s16, 0xe0
	v_cmp_gt_u32_e64 s[16:17], s16, v15
	s_and_saveexec_b64 s[90:91], s[16:17]
	s_cbranch_execz .LBB40_501
; %bb.500:
	ds_read_b64 v[30:31], v29 offset:29184
	ds_read_b64 v[32:33], v28 offset:16840
	s_waitcnt lgkmcnt(0)
	v_fma_f64 v[11:12], v[30:31], v[32:33], v[11:12]
.LBB40_501:
	s_or_b64 exec, exec, s[90:91]
	s_movk_i32 s16, 0xc0
	v_cmp_gt_u32_e64 s[16:17], s16, v15
	;; [unrolled: 11-line block ×5, first 2 shown]
	s_and_saveexec_b64 s[90:91], s[16:17]
	s_cbranch_execnz .LBB40_1059
; %bb.508:
	s_or_b64 exec, exec, s[90:91]
	s_and_saveexec_b64 s[16:17], s[14:15]
	s_cbranch_execnz .LBB40_1060
.LBB40_509:
	s_or_b64 exec, exec, s[16:17]
	v_cmp_gt_u32_e64 s[16:17], 32, v15
	s_and_saveexec_b64 s[90:91], s[16:17]
	s_cbranch_execz .LBB40_511
.LBB40_510:
	v_lshlrev_b32_e32 v28, 3, v0
	v_mov_b32_e32 v30, 0
	ds_read_b64 v[28:29], v28 offset:32256
	ds_read_b64 v[30:31], v30 offset:32760
	s_waitcnt lgkmcnt(0)
	v_fma_f64 v[11:12], v[28:29], v[30:31], v[11:12]
.LBB40_511:
	s_or_b64 exec, exec, s[90:91]
.LBB40_512:
	s_or_b64 exec, exec, s[88:89]
	v_mov_b32_e32 v28, 0x8000
	s_movk_i32 s16, 0x208
	v_lshlrev_b32_e32 v29, 9, v25
	v_mov_b32_e32 v30, 0x3800
	v_lshl_add_u32 v27, v27, 3, v28
	v_mul_u32_u24_e32 v28, 0x208, v25
	v_sub_u32_e32 v29, 0, v29
	v_mad_u32_u24 v30, v25, s16, v30
	s_mov_b32 s88, 31
	s_xor_b64 s[16:17], s[12:13], -1
	s_branch .LBB40_514
.LBB40_513:                             ;   in Loop: Header=BB40_514 Depth=1
	s_or_b64 exec, exec, s[12:13]
	s_add_i32 s88, s88, -4
	s_cmp_eq_u32 s89, 0
	v_add_u32_e32 v29, 0xfffff800, v29
	s_barrier
	s_cbranch_scc1 .LBB40_530
.LBB40_514:                             ; =>This Inner Loop Header: Depth=1
	s_movk_i32 s12, 0xc200
	v_cmp_eq_u32_e64 s[12:13], s12, v29
	s_and_b64 s[90:91], s[16:17], s[12:13]
	s_and_saveexec_b64 s[12:13], s[90:91]
	s_cbranch_execz .LBB40_516
; %bb.515:                              ;   in Loop: Header=BB40_514 Depth=1
	ds_read_b64 v[31:32], v28
	s_waitcnt lgkmcnt(0)
	v_mul_f64 v[11:12], v[11:12], v[31:32]
	v_xor_b32_e32 v32, 0x80000000, v12
	v_mov_b32_e32 v31, v11
	ds_write_b64 v27, v[31:32]
.LBB40_516:                             ;   in Loop: Header=BB40_514 Depth=1
	s_or_b64 exec, exec, s[12:13]
	v_cmp_gt_u32_e64 s[12:13], s88, v25
	s_and_b64 s[90:91], s[16:17], s[12:13]
	v_add_u32_e32 v31, v30, v29
	s_waitcnt lgkmcnt(0)
	s_barrier
	s_and_saveexec_b64 s[12:13], s[90:91]
	s_cbranch_execz .LBB40_518
; %bb.517:                              ;   in Loop: Header=BB40_514 Depth=1
	ds_read_b64 v[32:33], v31 offset:1536
	ds_read_b64 v[34:35], v27
	s_waitcnt lgkmcnt(0)
	v_fma_f64 v[11:12], -v[32:33], v[34:35], v[11:12]
.LBB40_518:                             ;   in Loop: Header=BB40_514 Depth=1
	s_or_b64 exec, exec, s[12:13]
	s_add_i32 s89, s88, -1
	v_cmp_eq_u32_e64 s[12:13], s89, v25
	s_and_b64 s[90:91], s[16:17], s[12:13]
	s_barrier
	s_and_saveexec_b64 s[12:13], s[90:91]
	s_cbranch_execz .LBB40_520
; %bb.519:                              ;   in Loop: Header=BB40_514 Depth=1
	ds_read_b64 v[32:33], v28
	s_waitcnt lgkmcnt(0)
	v_mul_f64 v[11:12], v[11:12], v[32:33]
	v_xor_b32_e32 v33, 0x80000000, v12
	v_mov_b32_e32 v32, v11
	ds_write_b64 v27, v[32:33]
.LBB40_520:                             ;   in Loop: Header=BB40_514 Depth=1
	s_or_b64 exec, exec, s[12:13]
	v_cmp_gt_u32_e64 s[12:13], s89, v25
	s_and_b64 s[90:91], s[16:17], s[12:13]
	s_waitcnt lgkmcnt(0)
	s_barrier
	s_and_saveexec_b64 s[12:13], s[90:91]
	s_cbranch_execz .LBB40_522
; %bb.521:                              ;   in Loop: Header=BB40_514 Depth=1
	ds_read_b64 v[32:33], v31 offset:1024
	ds_read_b64 v[34:35], v27
	s_waitcnt lgkmcnt(0)
	v_fma_f64 v[11:12], -v[32:33], v[34:35], v[11:12]
.LBB40_522:                             ;   in Loop: Header=BB40_514 Depth=1
	s_or_b64 exec, exec, s[12:13]
	s_add_i32 s89, s88, -2
	v_cmp_eq_u32_e64 s[12:13], s89, v25
	s_and_b64 s[90:91], s[16:17], s[12:13]
	s_barrier
	s_and_saveexec_b64 s[12:13], s[90:91]
	s_cbranch_execz .LBB40_524
; %bb.523:                              ;   in Loop: Header=BB40_514 Depth=1
	ds_read_b64 v[32:33], v28
	s_waitcnt lgkmcnt(0)
	v_mul_f64 v[11:12], v[11:12], v[32:33]
	v_xor_b32_e32 v33, 0x80000000, v12
	v_mov_b32_e32 v32, v11
	ds_write_b64 v27, v[32:33]
.LBB40_524:                             ;   in Loop: Header=BB40_514 Depth=1
	s_or_b64 exec, exec, s[12:13]
	v_cmp_gt_u32_e64 s[12:13], s89, v25
	s_and_b64 s[90:91], s[16:17], s[12:13]
	;; [unrolled: 28-line block ×3, first 2 shown]
	s_waitcnt lgkmcnt(0)
	s_barrier
	s_and_saveexec_b64 s[12:13], s[90:91]
	s_cbranch_execz .LBB40_513
; %bb.529:                              ;   in Loop: Header=BB40_514 Depth=1
	ds_read_b64 v[31:32], v31
	ds_read_b64 v[33:34], v27
	s_waitcnt lgkmcnt(0)
	v_fma_f64 v[11:12], -v[31:32], v[33:34], v[11:12]
	s_branch .LBB40_513
.LBB40_530:
	s_and_saveexec_b64 s[12:13], s[10:11]
; %bb.531:
	v_lshlrev_b32_e32 v25, 3, v25
	v_lshl_or_b32 v25, v26, 9, v25
	ds_write_b64 v25, v[11:12] offset:16384
; %bb.532:
	s_or_b64 exec, exec, s[12:13]
	s_waitcnt lgkmcnt(0)
	s_barrier
	s_barrier
	s_and_saveexec_b64 s[10:11], vcc
	s_cbranch_execz .LBB40_534
; %bb.533:
	v_mov_b32_e32 v29, 0
	ds_read_b128 v[25:28], v29 offset:16112
	ds_read_b64 v[11:12], v29 offset:15600
	s_waitcnt lgkmcnt(0)
	v_mul_f64 v[11:12], v[11:12], v[27:28]
	v_mul_f64 v[11:12], v[25:26], v[11:12]
	ds_write_b64 v29, v[11:12] offset:16112
.LBB40_534:
	s_or_b64 exec, exec, s[10:11]
	v_mov_b32_e32 v11, 0
	v_mov_b32_e32 v12, 0
	s_waitcnt lgkmcnt(0)
	s_barrier
	buffer_wbinvl1_vol
	s_and_saveexec_b64 s[12:13], s[0:1]
	s_cbranch_execz .LBB40_538
; %bb.535:
	v_lshlrev_b32_e32 v25, 9, v13
	v_lshlrev_b32_e32 v11, 3, v1
	ds_read_b64 v[11:12], v11 offset:15584
	ds_read_b64 v[25:26], v25 offset:15600
	v_cmp_gt_u32_e64 s[10:11], 2, v15
	s_waitcnt lgkmcnt(0)
	v_fma_f64 v[11:12], v[11:12], v[25:26], 0
	s_and_saveexec_b64 s[16:17], s[10:11]
	s_cbranch_execz .LBB40_537
; %bb.536:
	v_lshlrev_b32_e32 v25, 3, v0
	v_mov_b32_e32 v27, 0
	ds_read_b64 v[25:26], v25 offset:16096
	ds_read_b64 v[27:28], v27 offset:16120
	s_waitcnt lgkmcnt(0)
	v_fma_f64 v[11:12], v[25:26], v[27:28], v[11:12]
.LBB40_537:
	s_or_b64 exec, exec, s[16:17]
.LBB40_538:
	s_or_b64 exec, exec, s[12:13]
	s_and_saveexec_b64 s[10:11], s[40:41]
	s_cbranch_execz .LBB40_540
; %bb.539:
	v_mov_b32_e32 v25, 0
	ds_read_b64 v[25:26], v25 offset:15080
	s_waitcnt lgkmcnt(0)
	v_mul_f64 v[11:12], v[11:12], v[25:26]
	v_xor_b32_e32 v26, 0x80000000, v12
	v_mov_b32_e32 v25, v11
	ds_write_b64 v14, v[25:26]
.LBB40_540:
	s_or_b64 exec, exec, s[10:11]
	s_waitcnt lgkmcnt(0)
	s_barrier
	s_and_saveexec_b64 s[10:11], s[38:39]
	s_cbranch_execz .LBB40_542
; %bb.541:
	v_mov_b32_e32 v25, 0
	ds_read_b64 v[25:26], v25 offset:15072
	ds_read_b64 v[27:28], v14
	s_waitcnt lgkmcnt(0)
	v_fma_f64 v[11:12], -v[25:26], v[27:28], v[11:12]
.LBB40_542:
	s_or_b64 exec, exec, s[10:11]
	s_barrier
	s_and_saveexec_b64 s[10:11], s[38:39]
	s_cbranch_execz .LBB40_544
; %bb.543:
	v_mov_b32_e32 v25, 0
	ds_read_b64 v[25:26], v25 offset:14560
	s_waitcnt lgkmcnt(0)
	v_mul_f64 v[11:12], v[11:12], v[25:26]
	v_xor_b32_e32 v26, 0x80000000, v12
	v_mov_b32_e32 v25, v11
	ds_write_b64 v14, v[25:26]
.LBB40_544:
	s_or_b64 exec, exec, s[10:11]
	s_waitcnt lgkmcnt(0)
	s_barrier
	s_barrier
	s_and_saveexec_b64 s[10:11], s[0:1]
; %bb.545:
	v_lshlrev_b32_e32 v25, 3, v1
	v_lshl_or_b32 v25, v13, 9, v25
	ds_write_b64 v25, v[11:12] offset:15584
; %bb.546:
	s_or_b64 exec, exec, s[10:11]
	s_waitcnt lgkmcnt(0)
	s_barrier
	s_barrier
	s_and_saveexec_b64 s[10:11], vcc
	s_cbranch_execz .LBB40_548
; %bb.547:
	v_mov_b32_e32 v29, 0
	ds_read_b128 v[25:28], v29 offset:15072
	ds_read_b64 v[11:12], v29 offset:14560
	s_waitcnt lgkmcnt(0)
	v_mul_f64 v[11:12], v[11:12], v[27:28]
	v_mul_f64 v[11:12], v[25:26], v[11:12]
	ds_write_b64 v29, v[11:12] offset:15072
.LBB40_548:
	s_or_b64 exec, exec, s[10:11]
	v_mov_b32_e32 v11, 0
	v_mov_b32_e32 v12, 0
	s_waitcnt lgkmcnt(0)
	s_barrier
	buffer_wbinvl1_vol
	s_and_saveexec_b64 s[12:13], s[2:3]
	s_cbranch_execz .LBB40_554
; %bb.549:
	v_lshlrev_b32_e32 v26, 3, v16
	v_lshlrev_b32_e32 v25, 9, v17
	ds_read_b64 v[11:12], v26 offset:14528
	ds_read_b64 v[27:28], v25 offset:14560
	v_cmp_gt_u32_e64 s[10:11], 12, v15
	s_waitcnt lgkmcnt(0)
	v_fma_f64 v[11:12], v[11:12], v[27:28], 0
	s_and_saveexec_b64 s[16:17], s[10:11]
	s_cbranch_execnz .LBB40_1061
; %bb.550:
	s_or_b64 exec, exec, s[16:17]
	v_cmp_gt_u32_e64 s[10:11], 8, v15
	s_and_saveexec_b64 s[16:17], s[10:11]
	s_cbranch_execnz .LBB40_1062
.LBB40_551:
	s_or_b64 exec, exec, s[16:17]
	v_cmp_gt_u32_e64 s[10:11], 4, v15
	s_and_saveexec_b64 s[16:17], s[10:11]
	s_cbranch_execz .LBB40_553
.LBB40_552:
	v_lshlrev_b32_e32 v25, 3, v0
	v_mov_b32_e32 v27, 0
	ds_read_b64 v[25:26], v25 offset:16064
	ds_read_b64 v[27:28], v27 offset:16120
	s_waitcnt lgkmcnt(0)
	v_fma_f64 v[11:12], v[25:26], v[27:28], v[11:12]
.LBB40_553:
	s_or_b64 exec, exec, s[16:17]
.LBB40_554:
	s_or_b64 exec, exec, s[12:13]
	s_and_saveexec_b64 s[10:11], s[44:45]
	s_cbranch_execz .LBB40_556
; %bb.555:
	v_mov_b32_e32 v25, 0
	ds_read_b64 v[25:26], v25 offset:14040
	s_waitcnt lgkmcnt(0)
	v_mul_f64 v[11:12], v[11:12], v[25:26]
	v_xor_b32_e32 v26, 0x80000000, v12
	v_mov_b32_e32 v25, v11
	ds_write_b64 v18, v[25:26]
.LBB40_556:
	s_or_b64 exec, exec, s[10:11]
	s_waitcnt lgkmcnt(0)
	s_barrier
	s_and_saveexec_b64 s[10:11], s[46:47]
	s_cbranch_execz .LBB40_558
; %bb.557:
	v_lshlrev_b32_e32 v25, 3, v16
	ds_read_b64 v[25:26], v25 offset:14016
	ds_read_b64 v[27:28], v18
	s_waitcnt lgkmcnt(0)
	v_fma_f64 v[11:12], -v[25:26], v[27:28], v[11:12]
.LBB40_558:
	s_or_b64 exec, exec, s[10:11]
	s_barrier
	s_and_saveexec_b64 s[10:11], s[48:49]
	s_cbranch_execz .LBB40_560
; %bb.559:
	v_mov_b32_e32 v25, 0
	ds_read_b64 v[25:26], v25 offset:13520
	s_waitcnt lgkmcnt(0)
	v_mul_f64 v[11:12], v[11:12], v[25:26]
	v_xor_b32_e32 v26, 0x80000000, v12
	v_mov_b32_e32 v25, v11
	ds_write_b64 v18, v[25:26]
.LBB40_560:
	s_or_b64 exec, exec, s[10:11]
	s_waitcnt lgkmcnt(0)
	s_barrier
	s_and_saveexec_b64 s[10:11], s[50:51]
	s_cbranch_execz .LBB40_562
; %bb.561:
	v_lshlrev_b32_e32 v25, 3, v16
	ds_read_b64 v[25:26], v25 offset:13504
	ds_read_b64 v[27:28], v18
	s_waitcnt lgkmcnt(0)
	v_fma_f64 v[11:12], -v[25:26], v[27:28], v[11:12]
.LBB40_562:
	s_or_b64 exec, exec, s[10:11]
	s_barrier
	s_and_saveexec_b64 s[10:11], s[52:53]
	s_cbranch_execz .LBB40_564
; %bb.563:
	v_mov_b32_e32 v25, 0
	ds_read_b64 v[25:26], v25 offset:13000
	s_waitcnt lgkmcnt(0)
	v_mul_f64 v[11:12], v[11:12], v[25:26]
	v_xor_b32_e32 v26, 0x80000000, v12
	v_mov_b32_e32 v25, v11
	ds_write_b64 v18, v[25:26]
.LBB40_564:
	s_or_b64 exec, exec, s[10:11]
	s_waitcnt lgkmcnt(0)
	s_barrier
	s_and_saveexec_b64 s[10:11], s[42:43]
	s_cbranch_execz .LBB40_566
; %bb.565:
	v_mov_b32_e32 v25, 0
	ds_read_b64 v[25:26], v25 offset:12992
	ds_read_b64 v[27:28], v18
	s_waitcnt lgkmcnt(0)
	v_fma_f64 v[11:12], -v[25:26], v[27:28], v[11:12]
.LBB40_566:
	s_or_b64 exec, exec, s[10:11]
	s_barrier
	s_and_saveexec_b64 s[10:11], s[42:43]
	s_cbranch_execz .LBB40_568
; %bb.567:
	v_mov_b32_e32 v25, 0
	ds_read_b64 v[25:26], v25 offset:12480
	s_waitcnt lgkmcnt(0)
	v_mul_f64 v[11:12], v[11:12], v[25:26]
	v_xor_b32_e32 v26, 0x80000000, v12
	v_mov_b32_e32 v25, v11
	ds_write_b64 v18, v[25:26]
.LBB40_568:
	s_or_b64 exec, exec, s[10:11]
	s_waitcnt lgkmcnt(0)
	s_barrier
	s_barrier
	s_and_saveexec_b64 s[10:11], s[2:3]
; %bb.569:
	v_lshlrev_b32_e32 v25, 3, v16
	v_lshl_or_b32 v25, v17, 9, v25
	ds_write_b64 v25, v[11:12] offset:14528
; %bb.570:
	s_or_b64 exec, exec, s[10:11]
	s_waitcnt lgkmcnt(0)
	s_barrier
	s_barrier
	s_and_saveexec_b64 s[10:11], vcc
	s_cbranch_execz .LBB40_572
; %bb.571:
	v_mov_b32_e32 v29, 0
	ds_read_b128 v[25:28], v29 offset:14032
	ds_read_b64 v[11:12], v29 offset:13520
	s_waitcnt lgkmcnt(0)
	v_mul_f64 v[11:12], v[11:12], v[27:28]
	v_mul_f64 v[11:12], v[25:26], v[11:12]
	ds_write_b64 v29, v[11:12] offset:14032
.LBB40_572:
	s_or_b64 exec, exec, s[10:11]
	v_mov_b32_e32 v11, 0
	v_mov_b32_e32 v12, 0
	s_waitcnt lgkmcnt(0)
	s_barrier
	buffer_wbinvl1_vol
	s_and_saveexec_b64 s[12:13], s[0:1]
	s_cbranch_execz .LBB40_576
; %bb.573:
	v_lshlrev_b32_e32 v25, 9, v13
	v_lshlrev_b32_e32 v11, 3, v1
	ds_read_b64 v[11:12], v11 offset:13504
	ds_read_b64 v[25:26], v25 offset:13520
	v_cmp_gt_u32_e64 s[10:11], 2, v15
	s_waitcnt lgkmcnt(0)
	v_fma_f64 v[11:12], v[11:12], v[25:26], 0
	s_and_saveexec_b64 s[16:17], s[10:11]
	s_cbranch_execz .LBB40_575
; %bb.574:
	v_lshlrev_b32_e32 v25, 3, v0
	v_mov_b32_e32 v27, 0
	ds_read_b64 v[25:26], v25 offset:14016
	ds_read_b64 v[27:28], v27 offset:14040
	s_waitcnt lgkmcnt(0)
	v_fma_f64 v[11:12], v[25:26], v[27:28], v[11:12]
.LBB40_575:
	s_or_b64 exec, exec, s[16:17]
.LBB40_576:
	s_or_b64 exec, exec, s[12:13]
	s_and_saveexec_b64 s[10:11], s[40:41]
	s_cbranch_execz .LBB40_578
; %bb.577:
	v_mov_b32_e32 v25, 0
	ds_read_b64 v[25:26], v25 offset:13000
	s_waitcnt lgkmcnt(0)
	v_mul_f64 v[11:12], v[11:12], v[25:26]
	v_xor_b32_e32 v26, 0x80000000, v12
	v_mov_b32_e32 v25, v11
	ds_write_b64 v14, v[25:26]
.LBB40_578:
	s_or_b64 exec, exec, s[10:11]
	s_waitcnt lgkmcnt(0)
	s_barrier
	s_and_saveexec_b64 s[10:11], s[38:39]
	s_cbranch_execz .LBB40_580
; %bb.579:
	v_mov_b32_e32 v25, 0
	ds_read_b64 v[25:26], v25 offset:12992
	ds_read_b64 v[27:28], v14
	s_waitcnt lgkmcnt(0)
	v_fma_f64 v[11:12], -v[25:26], v[27:28], v[11:12]
.LBB40_580:
	s_or_b64 exec, exec, s[10:11]
	s_barrier
	s_and_saveexec_b64 s[10:11], s[38:39]
	s_cbranch_execz .LBB40_582
; %bb.581:
	v_mov_b32_e32 v25, 0
	ds_read_b64 v[25:26], v25 offset:12480
	s_waitcnt lgkmcnt(0)
	v_mul_f64 v[11:12], v[11:12], v[25:26]
	v_xor_b32_e32 v26, 0x80000000, v12
	v_mov_b32_e32 v25, v11
	ds_write_b64 v14, v[25:26]
.LBB40_582:
	s_or_b64 exec, exec, s[10:11]
	s_waitcnt lgkmcnt(0)
	s_barrier
	s_barrier
	s_and_saveexec_b64 s[10:11], s[0:1]
; %bb.583:
	v_lshlrev_b32_e32 v25, 3, v1
	v_lshl_or_b32 v25, v13, 9, v25
	ds_write_b64 v25, v[11:12] offset:13504
; %bb.584:
	s_or_b64 exec, exec, s[10:11]
	s_waitcnt lgkmcnt(0)
	s_barrier
	s_barrier
	s_and_saveexec_b64 s[10:11], vcc
	s_cbranch_execz .LBB40_586
; %bb.585:
	v_mov_b32_e32 v29, 0
	ds_read_b128 v[25:28], v29 offset:12992
	ds_read_b64 v[11:12], v29 offset:12480
	s_waitcnt lgkmcnt(0)
	v_mul_f64 v[11:12], v[11:12], v[27:28]
	v_mul_f64 v[11:12], v[25:26], v[11:12]
	ds_write_b64 v29, v[11:12] offset:12992
.LBB40_586:
	s_or_b64 exec, exec, s[10:11]
	v_mov_b32_e32 v11, 0
	v_mov_b32_e32 v12, 0
	s_waitcnt lgkmcnt(0)
	s_barrier
	buffer_wbinvl1_vol
	s_and_saveexec_b64 s[12:13], s[14:15]
	s_cbranch_execz .LBB40_596
; %bb.587:
	v_lshlrev_b32_e32 v26, 3, v19
	v_lshlrev_b32_e32 v25, 9, v20
	ds_read_b64 v[11:12], v26 offset:12416
	ds_read_b64 v[27:28], v25 offset:12480
	v_cmp_gt_u32_e64 s[10:11], 56, v15
	s_waitcnt lgkmcnt(0)
	v_fma_f64 v[11:12], v[11:12], v[27:28], 0
	s_and_saveexec_b64 s[16:17], s[10:11]
	s_cbranch_execnz .LBB40_1063
; %bb.588:
	s_or_b64 exec, exec, s[16:17]
	v_cmp_gt_u32_e64 s[10:11], 48, v15
	s_and_saveexec_b64 s[16:17], s[10:11]
	s_cbranch_execnz .LBB40_1064
.LBB40_589:
	s_or_b64 exec, exec, s[16:17]
	v_cmp_gt_u32_e64 s[10:11], 40, v15
	s_and_saveexec_b64 s[16:17], s[10:11]
	s_cbranch_execnz .LBB40_1065
.LBB40_590:
	s_or_b64 exec, exec, s[16:17]
	v_cmp_gt_u32_e64 s[10:11], 32, v15
	s_and_saveexec_b64 s[16:17], s[10:11]
	s_cbranch_execnz .LBB40_1066
.LBB40_591:
	s_or_b64 exec, exec, s[16:17]
	v_cmp_gt_u32_e64 s[10:11], 24, v15
	s_and_saveexec_b64 s[16:17], s[10:11]
	s_cbranch_execnz .LBB40_1067
.LBB40_592:
	s_or_b64 exec, exec, s[16:17]
	s_and_saveexec_b64 s[10:11], s[2:3]
	s_cbranch_execnz .LBB40_1068
.LBB40_593:
	s_or_b64 exec, exec, s[10:11]
	v_cmp_gt_u32_e64 s[10:11], 8, v15
	s_and_saveexec_b64 s[16:17], s[10:11]
	s_cbranch_execz .LBB40_595
.LBB40_594:
	v_lshlrev_b32_e32 v25, 3, v0
	v_mov_b32_e32 v27, 0
	ds_read_b64 v[25:26], v25 offset:16000
	ds_read_b64 v[27:28], v27 offset:16120
	s_waitcnt lgkmcnt(0)
	v_fma_f64 v[11:12], v[25:26], v[27:28], v[11:12]
.LBB40_595:
	s_or_b64 exec, exec, s[16:17]
.LBB40_596:
	s_or_b64 exec, exec, s[12:13]
	s_and_saveexec_b64 s[10:11], s[54:55]
	s_cbranch_execz .LBB40_598
; %bb.597:
	v_mov_b32_e32 v25, 0
	ds_read_b64 v[25:26], v25 offset:11960
	s_waitcnt lgkmcnt(0)
	v_mul_f64 v[11:12], v[11:12], v[25:26]
	v_xor_b32_e32 v26, 0x80000000, v12
	v_mov_b32_e32 v25, v11
	ds_write_b64 v21, v[25:26]
.LBB40_598:
	s_or_b64 exec, exec, s[10:11]
	s_waitcnt lgkmcnt(0)
	s_barrier
	s_and_saveexec_b64 s[10:11], s[56:57]
	s_cbranch_execz .LBB40_600
; %bb.599:
	v_lshlrev_b32_e32 v25, 3, v19
	ds_read_b64 v[25:26], v25 offset:11904
	ds_read_b64 v[27:28], v21
	s_waitcnt lgkmcnt(0)
	v_fma_f64 v[11:12], -v[25:26], v[27:28], v[11:12]
.LBB40_600:
	s_or_b64 exec, exec, s[10:11]
	s_barrier
	s_and_saveexec_b64 s[10:11], s[58:59]
	s_cbranch_execz .LBB40_602
; %bb.601:
	v_mov_b32_e32 v25, 0
	ds_read_b64 v[25:26], v25 offset:11440
	s_waitcnt lgkmcnt(0)
	v_mul_f64 v[11:12], v[11:12], v[25:26]
	v_xor_b32_e32 v26, 0x80000000, v12
	v_mov_b32_e32 v25, v11
	ds_write_b64 v21, v[25:26]
.LBB40_602:
	s_or_b64 exec, exec, s[10:11]
	s_waitcnt lgkmcnt(0)
	s_barrier
	s_and_saveexec_b64 s[10:11], s[60:61]
	s_cbranch_execz .LBB40_604
; %bb.603:
	v_lshlrev_b32_e32 v25, 3, v19
	ds_read_b64 v[25:26], v25 offset:11392
	ds_read_b64 v[27:28], v21
	s_waitcnt lgkmcnt(0)
	v_fma_f64 v[11:12], -v[25:26], v[27:28], v[11:12]
.LBB40_604:
	s_or_b64 exec, exec, s[10:11]
	s_barrier
	;; [unrolled: 25-line block ×6, first 2 shown]
	s_and_saveexec_b64 s[10:11], s[80:81]
	s_cbranch_execz .LBB40_622
; %bb.621:
	v_mov_b32_e32 v25, 0
	ds_read_b64 v[25:26], v25 offset:8840
	s_waitcnt lgkmcnt(0)
	v_mul_f64 v[11:12], v[11:12], v[25:26]
	v_xor_b32_e32 v26, 0x80000000, v12
	v_mov_b32_e32 v25, v11
	ds_write_b64 v21, v[25:26]
.LBB40_622:
	s_or_b64 exec, exec, s[10:11]
	s_waitcnt lgkmcnt(0)
	s_barrier
	s_and_saveexec_b64 s[10:11], s[64:65]
	s_cbranch_execz .LBB40_624
; %bb.623:
	v_mov_b32_e32 v25, 0
	ds_read_b64 v[25:26], v25 offset:8832
	ds_read_b64 v[27:28], v21
	s_waitcnt lgkmcnt(0)
	v_fma_f64 v[11:12], -v[25:26], v[27:28], v[11:12]
.LBB40_624:
	s_or_b64 exec, exec, s[10:11]
	s_barrier
	s_and_saveexec_b64 s[10:11], s[64:65]
	s_cbranch_execz .LBB40_626
; %bb.625:
	v_mov_b32_e32 v25, 0
	ds_read_b64 v[25:26], v25 offset:8320
	s_waitcnt lgkmcnt(0)
	v_mul_f64 v[11:12], v[11:12], v[25:26]
	v_xor_b32_e32 v26, 0x80000000, v12
	v_mov_b32_e32 v25, v11
	ds_write_b64 v21, v[25:26]
.LBB40_626:
	s_or_b64 exec, exec, s[10:11]
	s_waitcnt lgkmcnt(0)
	s_barrier
	s_barrier
	s_and_saveexec_b64 s[10:11], s[14:15]
; %bb.627:
	v_lshlrev_b32_e32 v25, 3, v19
	v_lshl_or_b32 v25, v20, 9, v25
	ds_write_b64 v25, v[11:12] offset:12416
; %bb.628:
	s_or_b64 exec, exec, s[10:11]
	s_waitcnt lgkmcnt(0)
	s_barrier
	s_barrier
	s_and_saveexec_b64 s[10:11], vcc
	s_cbranch_execz .LBB40_630
; %bb.629:
	v_mov_b32_e32 v29, 0
	ds_read_b128 v[25:28], v29 offset:11952
	ds_read_b64 v[11:12], v29 offset:11440
	s_waitcnt lgkmcnt(0)
	v_mul_f64 v[11:12], v[11:12], v[27:28]
	v_mul_f64 v[11:12], v[25:26], v[11:12]
	ds_write_b64 v29, v[11:12] offset:11952
.LBB40_630:
	s_or_b64 exec, exec, s[10:11]
	v_mov_b32_e32 v11, 0
	v_mov_b32_e32 v12, 0
	s_waitcnt lgkmcnt(0)
	s_barrier
	buffer_wbinvl1_vol
	s_and_saveexec_b64 s[12:13], s[0:1]
	s_cbranch_execz .LBB40_634
; %bb.631:
	v_lshlrev_b32_e32 v25, 9, v13
	v_lshlrev_b32_e32 v11, 3, v1
	ds_read_b64 v[11:12], v11 offset:11424
	ds_read_b64 v[25:26], v25 offset:11440
	v_cmp_gt_u32_e64 s[10:11], 2, v15
	s_waitcnt lgkmcnt(0)
	v_fma_f64 v[11:12], v[11:12], v[25:26], 0
	s_and_saveexec_b64 s[16:17], s[10:11]
	s_cbranch_execz .LBB40_633
; %bb.632:
	v_lshlrev_b32_e32 v25, 3, v0
	v_mov_b32_e32 v27, 0
	ds_read_b64 v[25:26], v25 offset:11936
	ds_read_b64 v[27:28], v27 offset:11960
	s_waitcnt lgkmcnt(0)
	v_fma_f64 v[11:12], v[25:26], v[27:28], v[11:12]
.LBB40_633:
	s_or_b64 exec, exec, s[16:17]
.LBB40_634:
	s_or_b64 exec, exec, s[12:13]
	s_and_saveexec_b64 s[10:11], s[40:41]
	s_cbranch_execz .LBB40_636
; %bb.635:
	v_mov_b32_e32 v25, 0
	ds_read_b64 v[25:26], v25 offset:10920
	s_waitcnt lgkmcnt(0)
	v_mul_f64 v[11:12], v[11:12], v[25:26]
	v_xor_b32_e32 v26, 0x80000000, v12
	v_mov_b32_e32 v25, v11
	ds_write_b64 v14, v[25:26]
.LBB40_636:
	s_or_b64 exec, exec, s[10:11]
	s_waitcnt lgkmcnt(0)
	s_barrier
	s_and_saveexec_b64 s[10:11], s[38:39]
	s_cbranch_execz .LBB40_638
; %bb.637:
	v_mov_b32_e32 v25, 0
	ds_read_b64 v[25:26], v25 offset:10912
	ds_read_b64 v[27:28], v14
	s_waitcnt lgkmcnt(0)
	v_fma_f64 v[11:12], -v[25:26], v[27:28], v[11:12]
.LBB40_638:
	s_or_b64 exec, exec, s[10:11]
	s_barrier
	s_and_saveexec_b64 s[10:11], s[38:39]
	s_cbranch_execz .LBB40_640
; %bb.639:
	v_mov_b32_e32 v25, 0
	ds_read_b64 v[25:26], v25 offset:10400
	s_waitcnt lgkmcnt(0)
	v_mul_f64 v[11:12], v[11:12], v[25:26]
	v_xor_b32_e32 v26, 0x80000000, v12
	v_mov_b32_e32 v25, v11
	ds_write_b64 v14, v[25:26]
.LBB40_640:
	s_or_b64 exec, exec, s[10:11]
	s_waitcnt lgkmcnt(0)
	s_barrier
	s_barrier
	s_and_saveexec_b64 s[10:11], s[0:1]
; %bb.641:
	v_lshlrev_b32_e32 v25, 3, v1
	v_lshl_or_b32 v25, v13, 9, v25
	ds_write_b64 v25, v[11:12] offset:11424
; %bb.642:
	s_or_b64 exec, exec, s[10:11]
	s_waitcnt lgkmcnt(0)
	s_barrier
	s_barrier
	s_and_saveexec_b64 s[10:11], vcc
	s_cbranch_execz .LBB40_644
; %bb.643:
	v_mov_b32_e32 v29, 0
	ds_read_b128 v[25:28], v29 offset:10912
	ds_read_b64 v[11:12], v29 offset:10400
	s_waitcnt lgkmcnt(0)
	v_mul_f64 v[11:12], v[11:12], v[27:28]
	v_mul_f64 v[11:12], v[25:26], v[11:12]
	ds_write_b64 v29, v[11:12] offset:10912
.LBB40_644:
	s_or_b64 exec, exec, s[10:11]
	v_mov_b32_e32 v11, 0
	v_mov_b32_e32 v12, 0
	s_waitcnt lgkmcnt(0)
	s_barrier
	buffer_wbinvl1_vol
	s_and_saveexec_b64 s[12:13], s[2:3]
	s_cbranch_execz .LBB40_650
; %bb.645:
	v_lshlrev_b32_e32 v26, 3, v16
	v_lshlrev_b32_e32 v25, 9, v17
	ds_read_b64 v[11:12], v26 offset:10368
	ds_read_b64 v[27:28], v25 offset:10400
	v_cmp_gt_u32_e64 s[10:11], 12, v15
	s_waitcnt lgkmcnt(0)
	v_fma_f64 v[11:12], v[11:12], v[27:28], 0
	s_and_saveexec_b64 s[16:17], s[10:11]
	s_cbranch_execnz .LBB40_1069
; %bb.646:
	s_or_b64 exec, exec, s[16:17]
	v_cmp_gt_u32_e64 s[10:11], 8, v15
	s_and_saveexec_b64 s[16:17], s[10:11]
	s_cbranch_execnz .LBB40_1070
.LBB40_647:
	s_or_b64 exec, exec, s[16:17]
	v_cmp_gt_u32_e64 s[10:11], 4, v15
	s_and_saveexec_b64 s[16:17], s[10:11]
	s_cbranch_execz .LBB40_649
.LBB40_648:
	v_lshlrev_b32_e32 v25, 3, v0
	v_mov_b32_e32 v27, 0
	ds_read_b64 v[25:26], v25 offset:11904
	ds_read_b64 v[27:28], v27 offset:11960
	s_waitcnt lgkmcnt(0)
	v_fma_f64 v[11:12], v[25:26], v[27:28], v[11:12]
.LBB40_649:
	s_or_b64 exec, exec, s[16:17]
.LBB40_650:
	s_or_b64 exec, exec, s[12:13]
	s_and_saveexec_b64 s[10:11], s[44:45]
	s_cbranch_execz .LBB40_652
; %bb.651:
	v_mov_b32_e32 v25, 0
	ds_read_b64 v[25:26], v25 offset:9880
	s_waitcnt lgkmcnt(0)
	v_mul_f64 v[11:12], v[11:12], v[25:26]
	v_xor_b32_e32 v26, 0x80000000, v12
	v_mov_b32_e32 v25, v11
	ds_write_b64 v18, v[25:26]
.LBB40_652:
	s_or_b64 exec, exec, s[10:11]
	s_waitcnt lgkmcnt(0)
	s_barrier
	s_and_saveexec_b64 s[10:11], s[46:47]
	s_cbranch_execz .LBB40_654
; %bb.653:
	v_lshlrev_b32_e32 v25, 3, v16
	ds_read_b64 v[25:26], v25 offset:9856
	ds_read_b64 v[27:28], v18
	s_waitcnt lgkmcnt(0)
	v_fma_f64 v[11:12], -v[25:26], v[27:28], v[11:12]
.LBB40_654:
	s_or_b64 exec, exec, s[10:11]
	s_barrier
	s_and_saveexec_b64 s[10:11], s[48:49]
	s_cbranch_execz .LBB40_656
; %bb.655:
	v_mov_b32_e32 v25, 0
	ds_read_b64 v[25:26], v25 offset:9360
	s_waitcnt lgkmcnt(0)
	v_mul_f64 v[11:12], v[11:12], v[25:26]
	v_xor_b32_e32 v26, 0x80000000, v12
	v_mov_b32_e32 v25, v11
	ds_write_b64 v18, v[25:26]
.LBB40_656:
	s_or_b64 exec, exec, s[10:11]
	s_waitcnt lgkmcnt(0)
	s_barrier
	s_and_saveexec_b64 s[10:11], s[50:51]
	s_cbranch_execz .LBB40_658
; %bb.657:
	v_lshlrev_b32_e32 v25, 3, v16
	ds_read_b64 v[25:26], v25 offset:9344
	ds_read_b64 v[27:28], v18
	s_waitcnt lgkmcnt(0)
	v_fma_f64 v[11:12], -v[25:26], v[27:28], v[11:12]
.LBB40_658:
	s_or_b64 exec, exec, s[10:11]
	s_barrier
	s_and_saveexec_b64 s[10:11], s[52:53]
	s_cbranch_execz .LBB40_660
; %bb.659:
	v_mov_b32_e32 v25, 0
	ds_read_b64 v[25:26], v25 offset:8840
	s_waitcnt lgkmcnt(0)
	v_mul_f64 v[11:12], v[11:12], v[25:26]
	v_xor_b32_e32 v26, 0x80000000, v12
	v_mov_b32_e32 v25, v11
	ds_write_b64 v18, v[25:26]
.LBB40_660:
	s_or_b64 exec, exec, s[10:11]
	s_waitcnt lgkmcnt(0)
	s_barrier
	s_and_saveexec_b64 s[10:11], s[42:43]
	s_cbranch_execz .LBB40_662
; %bb.661:
	v_mov_b32_e32 v25, 0
	ds_read_b64 v[25:26], v25 offset:8832
	ds_read_b64 v[27:28], v18
	s_waitcnt lgkmcnt(0)
	v_fma_f64 v[11:12], -v[25:26], v[27:28], v[11:12]
.LBB40_662:
	s_or_b64 exec, exec, s[10:11]
	s_barrier
	s_and_saveexec_b64 s[10:11], s[42:43]
	s_cbranch_execz .LBB40_664
; %bb.663:
	v_mov_b32_e32 v25, 0
	ds_read_b64 v[25:26], v25 offset:8320
	s_waitcnt lgkmcnt(0)
	v_mul_f64 v[11:12], v[11:12], v[25:26]
	v_xor_b32_e32 v26, 0x80000000, v12
	v_mov_b32_e32 v25, v11
	ds_write_b64 v18, v[25:26]
.LBB40_664:
	s_or_b64 exec, exec, s[10:11]
	s_waitcnt lgkmcnt(0)
	s_barrier
	s_barrier
	s_and_saveexec_b64 s[10:11], s[2:3]
; %bb.665:
	v_lshlrev_b32_e32 v25, 3, v16
	v_lshl_or_b32 v25, v17, 9, v25
	ds_write_b64 v25, v[11:12] offset:10368
; %bb.666:
	s_or_b64 exec, exec, s[10:11]
	s_waitcnt lgkmcnt(0)
	s_barrier
	s_barrier
	s_and_saveexec_b64 s[10:11], vcc
	s_cbranch_execz .LBB40_668
; %bb.667:
	v_mov_b32_e32 v29, 0
	ds_read_b128 v[25:28], v29 offset:9872
	ds_read_b64 v[11:12], v29 offset:9360
	s_waitcnt lgkmcnt(0)
	v_mul_f64 v[11:12], v[11:12], v[27:28]
	v_mul_f64 v[11:12], v[25:26], v[11:12]
	ds_write_b64 v29, v[11:12] offset:9872
.LBB40_668:
	s_or_b64 exec, exec, s[10:11]
	v_mov_b32_e32 v11, 0
	v_mov_b32_e32 v12, 0
	s_waitcnt lgkmcnt(0)
	s_barrier
	buffer_wbinvl1_vol
	s_and_saveexec_b64 s[12:13], s[0:1]
	s_cbranch_execz .LBB40_672
; %bb.669:
	v_lshlrev_b32_e32 v25, 9, v13
	v_lshlrev_b32_e32 v11, 3, v1
	ds_read_b64 v[11:12], v11 offset:9344
	ds_read_b64 v[25:26], v25 offset:9360
	v_cmp_gt_u32_e64 s[10:11], 2, v15
	s_waitcnt lgkmcnt(0)
	v_fma_f64 v[11:12], v[11:12], v[25:26], 0
	s_and_saveexec_b64 s[16:17], s[10:11]
	s_cbranch_execz .LBB40_671
; %bb.670:
	v_lshlrev_b32_e32 v25, 3, v0
	v_mov_b32_e32 v27, 0
	ds_read_b64 v[25:26], v25 offset:9856
	ds_read_b64 v[27:28], v27 offset:9880
	s_waitcnt lgkmcnt(0)
	v_fma_f64 v[11:12], v[25:26], v[27:28], v[11:12]
.LBB40_671:
	s_or_b64 exec, exec, s[16:17]
.LBB40_672:
	s_or_b64 exec, exec, s[12:13]
	s_and_saveexec_b64 s[10:11], s[40:41]
	s_cbranch_execz .LBB40_674
; %bb.673:
	v_mov_b32_e32 v25, 0
	ds_read_b64 v[25:26], v25 offset:8840
	s_waitcnt lgkmcnt(0)
	v_mul_f64 v[11:12], v[11:12], v[25:26]
	v_xor_b32_e32 v26, 0x80000000, v12
	v_mov_b32_e32 v25, v11
	ds_write_b64 v14, v[25:26]
.LBB40_674:
	s_or_b64 exec, exec, s[10:11]
	s_waitcnt lgkmcnt(0)
	s_barrier
	s_and_saveexec_b64 s[10:11], s[38:39]
	s_cbranch_execz .LBB40_676
; %bb.675:
	v_mov_b32_e32 v25, 0
	ds_read_b64 v[25:26], v25 offset:8832
	ds_read_b64 v[27:28], v14
	s_waitcnt lgkmcnt(0)
	v_fma_f64 v[11:12], -v[25:26], v[27:28], v[11:12]
.LBB40_676:
	s_or_b64 exec, exec, s[10:11]
	s_barrier
	s_and_saveexec_b64 s[10:11], s[38:39]
	s_cbranch_execz .LBB40_678
; %bb.677:
	v_mov_b32_e32 v25, 0
	ds_read_b64 v[25:26], v25 offset:8320
	s_waitcnt lgkmcnt(0)
	v_mul_f64 v[11:12], v[11:12], v[25:26]
	v_xor_b32_e32 v26, 0x80000000, v12
	v_mov_b32_e32 v25, v11
	ds_write_b64 v14, v[25:26]
.LBB40_678:
	s_or_b64 exec, exec, s[10:11]
	s_waitcnt lgkmcnt(0)
	s_barrier
	s_barrier
	s_and_saveexec_b64 s[10:11], s[0:1]
; %bb.679:
	v_lshlrev_b32_e32 v25, 3, v1
	v_lshl_or_b32 v25, v13, 9, v25
	ds_write_b64 v25, v[11:12] offset:9344
; %bb.680:
	s_or_b64 exec, exec, s[10:11]
	s_waitcnt lgkmcnt(0)
	s_barrier
	s_barrier
	s_and_saveexec_b64 s[10:11], vcc
	s_cbranch_execz .LBB40_682
; %bb.681:
	v_mov_b32_e32 v29, 0
	ds_read_b128 v[25:28], v29 offset:8832
	ds_read_b64 v[11:12], v29 offset:8320
	s_waitcnt lgkmcnt(0)
	v_mul_f64 v[11:12], v[11:12], v[27:28]
	v_mul_f64 v[11:12], v[25:26], v[11:12]
	ds_write_b64 v29, v[11:12] offset:8832
.LBB40_682:
	s_or_b64 exec, exec, s[10:11]
	v_mov_b32_e32 v11, 0
	v_mov_b32_e32 v12, 0
	s_waitcnt lgkmcnt(0)
	s_barrier
	buffer_wbinvl1_vol
	s_and_saveexec_b64 s[12:13], s[8:9]
	s_cbranch_execz .LBB40_710
; %bb.683:
	v_lshlrev_b32_e32 v26, 3, v22
	v_lshlrev_b32_e32 v25, 9, v23
	ds_read_b64 v[11:12], v26 offset:8192
	ds_read_b64 v[27:28], v25 offset:8320
	s_movk_i32 s10, 0xf0
	v_cmp_gt_u32_e64 s[10:11], s10, v15
	s_waitcnt lgkmcnt(0)
	v_fma_f64 v[11:12], v[11:12], v[27:28], 0
	s_and_saveexec_b64 s[16:17], s[10:11]
	s_cbranch_execz .LBB40_685
; %bb.684:
	ds_read_b64 v[27:28], v26 offset:8704
	ds_read_b64 v[29:30], v25 offset:8328
	s_waitcnt lgkmcnt(0)
	v_fma_f64 v[11:12], v[27:28], v[29:30], v[11:12]
.LBB40_685:
	s_or_b64 exec, exec, s[16:17]
	s_movk_i32 s10, 0xe0
	v_cmp_gt_u32_e64 s[10:11], s10, v15
	s_and_saveexec_b64 s[16:17], s[10:11]
	s_cbranch_execz .LBB40_687
; %bb.686:
	ds_read_b64 v[27:28], v26 offset:9216
	ds_read_b64 v[29:30], v25 offset:8336
	s_waitcnt lgkmcnt(0)
	v_fma_f64 v[11:12], v[27:28], v[29:30], v[11:12]
.LBB40_687:
	s_or_b64 exec, exec, s[16:17]
	s_movk_i32 s10, 0xd0
	v_cmp_gt_u32_e64 s[10:11], s10, v15
	;; [unrolled: 11-line block ×10, first 2 shown]
	s_and_saveexec_b64 s[16:17], s[10:11]
	s_cbranch_execnz .LBB40_1071
; %bb.704:
	s_or_b64 exec, exec, s[16:17]
	s_and_saveexec_b64 s[10:11], s[14:15]
	s_cbranch_execnz .LBB40_1072
.LBB40_705:
	s_or_b64 exec, exec, s[10:11]
	v_cmp_gt_u32_e64 s[10:11], 48, v15
	s_and_saveexec_b64 s[16:17], s[10:11]
	s_cbranch_execnz .LBB40_1073
.LBB40_706:
	s_or_b64 exec, exec, s[16:17]
	v_cmp_gt_u32_e64 s[10:11], 32, v15
	s_and_saveexec_b64 s[16:17], s[10:11]
	s_cbranch_execnz .LBB40_1074
.LBB40_707:
	s_or_b64 exec, exec, s[16:17]
	v_cmp_gt_u32_e64 s[10:11], 16, v15
	s_and_saveexec_b64 s[16:17], s[10:11]
	s_cbranch_execz .LBB40_709
.LBB40_708:
	v_lshlrev_b32_e32 v25, 3, v0
	v_mov_b32_e32 v27, 0
	ds_read_b64 v[25:26], v25 offset:15872
	ds_read_b64 v[27:28], v27 offset:16120
	s_waitcnt lgkmcnt(0)
	v_fma_f64 v[11:12], v[25:26], v[27:28], v[11:12]
.LBB40_709:
	s_or_b64 exec, exec, s[16:17]
.LBB40_710:
	s_or_b64 exec, exec, s[12:13]
	s_mov_b64 s[10:11], exec
	v_readlane_b32 s12, v36, 1
	v_readlane_b32 s13, v36, 2
	s_and_b64 s[12:13], s[10:11], s[12:13]
	s_mov_b64 exec, s[12:13]
	s_cbranch_execz .LBB40_712
; %bb.711:
	v_mov_b32_e32 v25, 0
	ds_read_b64 v[25:26], v25 offset:7800
	s_waitcnt lgkmcnt(0)
	v_mul_f64 v[11:12], v[11:12], v[25:26]
	v_xor_b32_e32 v26, 0x80000000, v12
	v_mov_b32_e32 v25, v11
	ds_write_b64 v24, v[25:26]
.LBB40_712:
	s_or_b64 exec, exec, s[10:11]
	s_waitcnt lgkmcnt(0)
	s_barrier
	s_mov_b64 s[10:11], exec
	v_readlane_b32 s12, v36, 3
	v_readlane_b32 s13, v36, 4
	s_and_b64 s[12:13], s[10:11], s[12:13]
	s_mov_b64 exec, s[12:13]
	s_cbranch_execz .LBB40_714
; %bb.713:
	v_lshlrev_b32_e32 v25, 3, v22
	ds_read_b64 v[25:26], v25 offset:7680
	ds_read_b64 v[27:28], v24
	s_waitcnt lgkmcnt(0)
	v_fma_f64 v[11:12], -v[25:26], v[27:28], v[11:12]
.LBB40_714:
	s_or_b64 exec, exec, s[10:11]
	s_barrier
	s_mov_b64 s[10:11], exec
	v_readlane_b32 s12, v36, 5
	v_readlane_b32 s13, v36, 6
	s_and_b64 s[12:13], s[10:11], s[12:13]
	s_mov_b64 exec, s[12:13]
	s_cbranch_execz .LBB40_716
; %bb.715:
	v_mov_b32_e32 v25, 0
	ds_read_b64 v[25:26], v25 offset:7280
	s_waitcnt lgkmcnt(0)
	v_mul_f64 v[11:12], v[11:12], v[25:26]
	v_xor_b32_e32 v26, 0x80000000, v12
	v_mov_b32_e32 v25, v11
	ds_write_b64 v24, v[25:26]
.LBB40_716:
	s_or_b64 exec, exec, s[10:11]
	s_waitcnt lgkmcnt(0)
	s_barrier
	s_mov_b64 s[10:11], exec
	v_readlane_b32 s12, v36, 7
	v_readlane_b32 s13, v36, 8
	s_and_b64 s[12:13], s[10:11], s[12:13]
	s_mov_b64 exec, s[12:13]
	s_cbranch_execz .LBB40_718
; %bb.717:
	v_lshlrev_b32_e32 v25, 3, v22
	ds_read_b64 v[25:26], v25 offset:7168
	ds_read_b64 v[27:28], v24
	s_waitcnt lgkmcnt(0)
	v_fma_f64 v[11:12], -v[25:26], v[27:28], v[11:12]
.LBB40_718:
	s_or_b64 exec, exec, s[10:11]
	s_barrier
	;; [unrolled: 33-line block ×13, first 2 shown]
	s_mov_b64 s[10:11], exec
	v_readlane_b32 s12, v36, 53
	v_readlane_b32 s13, v36, 54
	s_and_b64 s[12:13], s[10:11], s[12:13]
	s_mov_b64 exec, s[12:13]
	s_cbranch_execz .LBB40_764
; %bb.763:
	v_mov_b32_e32 v25, 0
	ds_read_b64 v[25:26], v25 offset:1040
	s_waitcnt lgkmcnt(0)
	v_mul_f64 v[11:12], v[11:12], v[25:26]
	v_xor_b32_e32 v26, 0x80000000, v12
	v_mov_b32_e32 v25, v11
	ds_write_b64 v24, v[25:26]
.LBB40_764:
	s_or_b64 exec, exec, s[10:11]
	s_waitcnt lgkmcnt(0)
	s_barrier
	s_and_saveexec_b64 s[10:11], s[84:85]
	s_cbranch_execz .LBB40_766
; %bb.765:
	v_lshlrev_b32_e32 v25, 3, v22
	ds_read_b64 v[25:26], v25 offset:1024
	ds_read_b64 v[27:28], v24
	s_waitcnt lgkmcnt(0)
	v_fma_f64 v[11:12], -v[25:26], v[27:28], v[11:12]
.LBB40_766:
	s_or_b64 exec, exec, s[10:11]
	s_barrier
	s_and_saveexec_b64 s[10:11], s[86:87]
	s_cbranch_execz .LBB40_768
; %bb.767:
	v_mov_b32_e32 v25, 0
	ds_read_b64 v[25:26], v25 offset:520
	s_waitcnt lgkmcnt(0)
	v_mul_f64 v[11:12], v[11:12], v[25:26]
	v_xor_b32_e32 v26, 0x80000000, v12
	v_mov_b32_e32 v25, v11
	ds_write_b64 v24, v[25:26]
.LBB40_768:
	s_or_b64 exec, exec, s[10:11]
	s_waitcnt lgkmcnt(0)
	s_barrier
	s_and_saveexec_b64 s[10:11], s[82:83]
	s_cbranch_execz .LBB40_770
; %bb.769:
	v_mov_b32_e32 v25, 0
	ds_read_b64 v[25:26], v25 offset:512
	ds_read_b64 v[27:28], v24
	s_waitcnt lgkmcnt(0)
	v_fma_f64 v[11:12], -v[25:26], v[27:28], v[11:12]
.LBB40_770:
	s_or_b64 exec, exec, s[10:11]
	s_barrier
	s_and_saveexec_b64 s[10:11], s[82:83]
	s_cbranch_execz .LBB40_772
; %bb.771:
	v_mov_b32_e32 v25, 0
	ds_read_b64 v[25:26], v25
	s_waitcnt lgkmcnt(0)
	v_mul_f64 v[11:12], v[11:12], v[25:26]
	v_xor_b32_e32 v26, 0x80000000, v12
	v_mov_b32_e32 v25, v11
	ds_write_b64 v24, v[25:26]
.LBB40_772:
	s_or_b64 exec, exec, s[10:11]
	s_waitcnt lgkmcnt(0)
	s_barrier
	s_barrier
	s_and_saveexec_b64 s[10:11], s[8:9]
; %bb.773:
	v_lshlrev_b32_e32 v22, 3, v22
	v_lshl_or_b32 v22, v23, 9, v22
	ds_write_b64 v22, v[11:12] offset:8192
; %bb.774:
	s_or_b64 exec, exec, s[10:11]
	s_waitcnt lgkmcnt(0)
	s_barrier
	s_barrier
	s_and_saveexec_b64 s[8:9], vcc
	s_cbranch_execz .LBB40_776
; %bb.775:
	v_mov_b32_e32 v26, 0
	ds_read_b128 v[22:25], v26 offset:7792
	ds_read_b64 v[11:12], v26 offset:7280
	s_waitcnt lgkmcnt(0)
	v_mul_f64 v[11:12], v[11:12], v[24:25]
	v_mul_f64 v[11:12], v[22:23], v[11:12]
	ds_write_b64 v26, v[11:12] offset:7792
.LBB40_776:
	s_or_b64 exec, exec, s[8:9]
	v_mov_b32_e32 v11, 0
	v_mov_b32_e32 v12, 0
	s_waitcnt lgkmcnt(0)
	s_barrier
	buffer_wbinvl1_vol
	s_and_saveexec_b64 s[10:11], s[0:1]
	s_cbranch_execz .LBB40_780
; %bb.777:
	v_lshlrev_b32_e32 v22, 9, v13
	v_lshlrev_b32_e32 v11, 3, v1
	ds_read_b64 v[11:12], v11 offset:7264
	ds_read_b64 v[22:23], v22 offset:7280
	v_cmp_gt_u32_e64 s[8:9], 2, v15
	s_waitcnt lgkmcnt(0)
	v_fma_f64 v[11:12], v[11:12], v[22:23], 0
	s_and_saveexec_b64 s[12:13], s[8:9]
	s_cbranch_execz .LBB40_779
; %bb.778:
	v_lshlrev_b32_e32 v22, 3, v0
	v_mov_b32_e32 v24, 0
	ds_read_b64 v[22:23], v22 offset:7776
	ds_read_b64 v[24:25], v24 offset:7800
	s_waitcnt lgkmcnt(0)
	v_fma_f64 v[11:12], v[22:23], v[24:25], v[11:12]
.LBB40_779:
	s_or_b64 exec, exec, s[12:13]
.LBB40_780:
	s_or_b64 exec, exec, s[10:11]
	s_and_saveexec_b64 s[8:9], s[40:41]
	s_cbranch_execz .LBB40_782
; %bb.781:
	v_mov_b32_e32 v22, 0
	ds_read_b64 v[22:23], v22 offset:6760
	s_waitcnt lgkmcnt(0)
	v_mul_f64 v[11:12], v[11:12], v[22:23]
	v_xor_b32_e32 v23, 0x80000000, v12
	v_mov_b32_e32 v22, v11
	ds_write_b64 v14, v[22:23]
.LBB40_782:
	s_or_b64 exec, exec, s[8:9]
	s_waitcnt lgkmcnt(0)
	s_barrier
	s_and_saveexec_b64 s[8:9], s[38:39]
	s_cbranch_execz .LBB40_784
; %bb.783:
	v_mov_b32_e32 v22, 0
	ds_read_b64 v[22:23], v22 offset:6752
	ds_read_b64 v[24:25], v14
	s_waitcnt lgkmcnt(0)
	v_fma_f64 v[11:12], -v[22:23], v[24:25], v[11:12]
.LBB40_784:
	s_or_b64 exec, exec, s[8:9]
	s_barrier
	s_and_saveexec_b64 s[8:9], s[38:39]
	s_cbranch_execz .LBB40_786
; %bb.785:
	v_mov_b32_e32 v22, 0
	ds_read_b64 v[22:23], v22 offset:6240
	s_waitcnt lgkmcnt(0)
	v_mul_f64 v[11:12], v[11:12], v[22:23]
	v_xor_b32_e32 v23, 0x80000000, v12
	v_mov_b32_e32 v22, v11
	ds_write_b64 v14, v[22:23]
.LBB40_786:
	s_or_b64 exec, exec, s[8:9]
	s_waitcnt lgkmcnt(0)
	s_barrier
	s_barrier
	s_and_saveexec_b64 s[8:9], s[0:1]
; %bb.787:
	v_lshlrev_b32_e32 v22, 3, v1
	v_lshl_or_b32 v22, v13, 9, v22
	ds_write_b64 v22, v[11:12] offset:7264
; %bb.788:
	s_or_b64 exec, exec, s[8:9]
	s_waitcnt lgkmcnt(0)
	s_barrier
	s_barrier
	s_and_saveexec_b64 s[8:9], vcc
	s_cbranch_execz .LBB40_790
; %bb.789:
	v_mov_b32_e32 v26, 0
	ds_read_b128 v[22:25], v26 offset:6752
	ds_read_b64 v[11:12], v26 offset:6240
	s_waitcnt lgkmcnt(0)
	v_mul_f64 v[11:12], v[11:12], v[24:25]
	v_mul_f64 v[11:12], v[22:23], v[11:12]
	ds_write_b64 v26, v[11:12] offset:6752
.LBB40_790:
	s_or_b64 exec, exec, s[8:9]
	v_mov_b32_e32 v11, 0
	v_mov_b32_e32 v12, 0
	s_waitcnt lgkmcnt(0)
	s_barrier
	buffer_wbinvl1_vol
	s_and_saveexec_b64 s[10:11], s[2:3]
	s_cbranch_execz .LBB40_796
; %bb.791:
	v_lshlrev_b32_e32 v23, 3, v16
	v_lshlrev_b32_e32 v22, 9, v17
	ds_read_b64 v[11:12], v23 offset:6208
	ds_read_b64 v[24:25], v22 offset:6240
	v_cmp_gt_u32_e64 s[8:9], 12, v15
	s_waitcnt lgkmcnt(0)
	v_fma_f64 v[11:12], v[11:12], v[24:25], 0
	s_and_saveexec_b64 s[12:13], s[8:9]
	s_cbranch_execnz .LBB40_1075
; %bb.792:
	s_or_b64 exec, exec, s[12:13]
	v_cmp_gt_u32_e64 s[8:9], 8, v15
	s_and_saveexec_b64 s[12:13], s[8:9]
	s_cbranch_execnz .LBB40_1076
.LBB40_793:
	s_or_b64 exec, exec, s[12:13]
	v_cmp_gt_u32_e64 s[8:9], 4, v15
	s_and_saveexec_b64 s[12:13], s[8:9]
	s_cbranch_execz .LBB40_795
.LBB40_794:
	v_lshlrev_b32_e32 v22, 3, v0
	v_mov_b32_e32 v24, 0
	ds_read_b64 v[22:23], v22 offset:7744
	ds_read_b64 v[24:25], v24 offset:7800
	s_waitcnt lgkmcnt(0)
	v_fma_f64 v[11:12], v[22:23], v[24:25], v[11:12]
.LBB40_795:
	s_or_b64 exec, exec, s[12:13]
.LBB40_796:
	s_or_b64 exec, exec, s[10:11]
	s_and_saveexec_b64 s[8:9], s[44:45]
	s_cbranch_execz .LBB40_798
; %bb.797:
	v_mov_b32_e32 v22, 0
	ds_read_b64 v[22:23], v22 offset:5720
	s_waitcnt lgkmcnt(0)
	v_mul_f64 v[11:12], v[11:12], v[22:23]
	v_xor_b32_e32 v23, 0x80000000, v12
	v_mov_b32_e32 v22, v11
	ds_write_b64 v18, v[22:23]
.LBB40_798:
	s_or_b64 exec, exec, s[8:9]
	s_waitcnt lgkmcnt(0)
	s_barrier
	s_and_saveexec_b64 s[8:9], s[46:47]
	s_cbranch_execz .LBB40_800
; %bb.799:
	v_lshlrev_b32_e32 v22, 3, v16
	ds_read_b64 v[22:23], v22 offset:5696
	ds_read_b64 v[24:25], v18
	s_waitcnt lgkmcnt(0)
	v_fma_f64 v[11:12], -v[22:23], v[24:25], v[11:12]
.LBB40_800:
	s_or_b64 exec, exec, s[8:9]
	s_barrier
	s_and_saveexec_b64 s[8:9], s[48:49]
	s_cbranch_execz .LBB40_802
; %bb.801:
	v_mov_b32_e32 v22, 0
	ds_read_b64 v[22:23], v22 offset:5200
	s_waitcnt lgkmcnt(0)
	v_mul_f64 v[11:12], v[11:12], v[22:23]
	v_xor_b32_e32 v23, 0x80000000, v12
	v_mov_b32_e32 v22, v11
	ds_write_b64 v18, v[22:23]
.LBB40_802:
	s_or_b64 exec, exec, s[8:9]
	s_waitcnt lgkmcnt(0)
	s_barrier
	s_and_saveexec_b64 s[8:9], s[50:51]
	s_cbranch_execz .LBB40_804
; %bb.803:
	v_lshlrev_b32_e32 v22, 3, v16
	ds_read_b64 v[22:23], v22 offset:5184
	ds_read_b64 v[24:25], v18
	s_waitcnt lgkmcnt(0)
	v_fma_f64 v[11:12], -v[22:23], v[24:25], v[11:12]
.LBB40_804:
	s_or_b64 exec, exec, s[8:9]
	s_barrier
	s_and_saveexec_b64 s[8:9], s[52:53]
	s_cbranch_execz .LBB40_806
; %bb.805:
	v_mov_b32_e32 v22, 0
	ds_read_b64 v[22:23], v22 offset:4680
	s_waitcnt lgkmcnt(0)
	v_mul_f64 v[11:12], v[11:12], v[22:23]
	v_xor_b32_e32 v23, 0x80000000, v12
	v_mov_b32_e32 v22, v11
	ds_write_b64 v18, v[22:23]
.LBB40_806:
	s_or_b64 exec, exec, s[8:9]
	s_waitcnt lgkmcnt(0)
	s_barrier
	s_and_saveexec_b64 s[8:9], s[42:43]
	s_cbranch_execz .LBB40_808
; %bb.807:
	v_mov_b32_e32 v22, 0
	ds_read_b64 v[22:23], v22 offset:4672
	ds_read_b64 v[24:25], v18
	s_waitcnt lgkmcnt(0)
	v_fma_f64 v[11:12], -v[22:23], v[24:25], v[11:12]
.LBB40_808:
	s_or_b64 exec, exec, s[8:9]
	s_barrier
	s_and_saveexec_b64 s[8:9], s[42:43]
	s_cbranch_execz .LBB40_810
; %bb.809:
	v_mov_b32_e32 v22, 0
	ds_read_b64 v[22:23], v22 offset:4160
	s_waitcnt lgkmcnt(0)
	v_mul_f64 v[11:12], v[11:12], v[22:23]
	v_xor_b32_e32 v23, 0x80000000, v12
	v_mov_b32_e32 v22, v11
	ds_write_b64 v18, v[22:23]
.LBB40_810:
	s_or_b64 exec, exec, s[8:9]
	s_waitcnt lgkmcnt(0)
	s_barrier
	s_barrier
	s_and_saveexec_b64 s[8:9], s[2:3]
; %bb.811:
	v_lshlrev_b32_e32 v22, 3, v16
	v_lshl_or_b32 v22, v17, 9, v22
	ds_write_b64 v22, v[11:12] offset:6208
; %bb.812:
	s_or_b64 exec, exec, s[8:9]
	s_waitcnt lgkmcnt(0)
	s_barrier
	s_barrier
	s_and_saveexec_b64 s[8:9], vcc
	s_cbranch_execz .LBB40_814
; %bb.813:
	v_mov_b32_e32 v26, 0
	ds_read_b128 v[22:25], v26 offset:5712
	ds_read_b64 v[11:12], v26 offset:5200
	s_waitcnt lgkmcnt(0)
	v_mul_f64 v[11:12], v[11:12], v[24:25]
	v_mul_f64 v[11:12], v[22:23], v[11:12]
	ds_write_b64 v26, v[11:12] offset:5712
.LBB40_814:
	s_or_b64 exec, exec, s[8:9]
	v_mov_b32_e32 v11, 0
	v_mov_b32_e32 v12, 0
	s_waitcnt lgkmcnt(0)
	s_barrier
	buffer_wbinvl1_vol
	s_and_saveexec_b64 s[10:11], s[0:1]
	s_cbranch_execz .LBB40_818
; %bb.815:
	v_lshlrev_b32_e32 v22, 9, v13
	v_lshlrev_b32_e32 v11, 3, v1
	ds_read_b64 v[11:12], v11 offset:5184
	ds_read_b64 v[22:23], v22 offset:5200
	v_cmp_gt_u32_e64 s[8:9], 2, v15
	s_waitcnt lgkmcnt(0)
	v_fma_f64 v[11:12], v[11:12], v[22:23], 0
	s_and_saveexec_b64 s[12:13], s[8:9]
	s_cbranch_execz .LBB40_817
; %bb.816:
	v_lshlrev_b32_e32 v22, 3, v0
	v_mov_b32_e32 v24, 0
	ds_read_b64 v[22:23], v22 offset:5696
	ds_read_b64 v[24:25], v24 offset:5720
	s_waitcnt lgkmcnt(0)
	v_fma_f64 v[11:12], v[22:23], v[24:25], v[11:12]
.LBB40_817:
	s_or_b64 exec, exec, s[12:13]
.LBB40_818:
	s_or_b64 exec, exec, s[10:11]
	s_and_saveexec_b64 s[8:9], s[40:41]
	s_cbranch_execz .LBB40_820
; %bb.819:
	v_mov_b32_e32 v22, 0
	ds_read_b64 v[22:23], v22 offset:4680
	s_waitcnt lgkmcnt(0)
	v_mul_f64 v[11:12], v[11:12], v[22:23]
	v_xor_b32_e32 v23, 0x80000000, v12
	v_mov_b32_e32 v22, v11
	ds_write_b64 v14, v[22:23]
.LBB40_820:
	s_or_b64 exec, exec, s[8:9]
	s_waitcnt lgkmcnt(0)
	s_barrier
	s_and_saveexec_b64 s[8:9], s[38:39]
	s_cbranch_execz .LBB40_822
; %bb.821:
	v_mov_b32_e32 v22, 0
	ds_read_b64 v[22:23], v22 offset:4672
	ds_read_b64 v[24:25], v14
	s_waitcnt lgkmcnt(0)
	v_fma_f64 v[11:12], -v[22:23], v[24:25], v[11:12]
.LBB40_822:
	s_or_b64 exec, exec, s[8:9]
	s_barrier
	s_and_saveexec_b64 s[8:9], s[38:39]
	s_cbranch_execz .LBB40_824
; %bb.823:
	v_mov_b32_e32 v22, 0
	ds_read_b64 v[22:23], v22 offset:4160
	s_waitcnt lgkmcnt(0)
	v_mul_f64 v[11:12], v[11:12], v[22:23]
	v_xor_b32_e32 v23, 0x80000000, v12
	v_mov_b32_e32 v22, v11
	ds_write_b64 v14, v[22:23]
.LBB40_824:
	s_or_b64 exec, exec, s[8:9]
	s_waitcnt lgkmcnt(0)
	s_barrier
	s_barrier
	s_and_saveexec_b64 s[8:9], s[0:1]
; %bb.825:
	v_lshlrev_b32_e32 v22, 3, v1
	v_lshl_or_b32 v22, v13, 9, v22
	ds_write_b64 v22, v[11:12] offset:5184
; %bb.826:
	s_or_b64 exec, exec, s[8:9]
	s_waitcnt lgkmcnt(0)
	s_barrier
	s_barrier
	s_and_saveexec_b64 s[8:9], vcc
	s_cbranch_execz .LBB40_828
; %bb.827:
	v_mov_b32_e32 v26, 0
	ds_read_b128 v[22:25], v26 offset:4672
	ds_read_b64 v[11:12], v26 offset:4160
	s_waitcnt lgkmcnt(0)
	v_mul_f64 v[11:12], v[11:12], v[24:25]
	v_mul_f64 v[11:12], v[22:23], v[11:12]
	ds_write_b64 v26, v[11:12] offset:4672
.LBB40_828:
	s_or_b64 exec, exec, s[8:9]
	v_mov_b32_e32 v11, 0
	v_mov_b32_e32 v12, 0
	s_waitcnt lgkmcnt(0)
	s_barrier
	buffer_wbinvl1_vol
	s_and_saveexec_b64 s[10:11], s[14:15]
	s_cbranch_execz .LBB40_838
; %bb.829:
	v_lshlrev_b32_e32 v23, 3, v19
	v_lshlrev_b32_e32 v22, 9, v20
	ds_read_b64 v[11:12], v23 offset:4096
	ds_read_b64 v[24:25], v22 offset:4160
	v_cmp_gt_u32_e64 s[8:9], 56, v15
	s_waitcnt lgkmcnt(0)
	v_fma_f64 v[11:12], v[11:12], v[24:25], 0
	s_and_saveexec_b64 s[12:13], s[8:9]
	s_cbranch_execnz .LBB40_1077
; %bb.830:
	s_or_b64 exec, exec, s[12:13]
	v_cmp_gt_u32_e64 s[8:9], 48, v15
	s_and_saveexec_b64 s[12:13], s[8:9]
	s_cbranch_execnz .LBB40_1078
.LBB40_831:
	s_or_b64 exec, exec, s[12:13]
	v_cmp_gt_u32_e64 s[8:9], 40, v15
	s_and_saveexec_b64 s[12:13], s[8:9]
	s_cbranch_execnz .LBB40_1079
.LBB40_832:
	s_or_b64 exec, exec, s[12:13]
	v_cmp_gt_u32_e64 s[8:9], 32, v15
	s_and_saveexec_b64 s[12:13], s[8:9]
	s_cbranch_execnz .LBB40_1080
.LBB40_833:
	s_or_b64 exec, exec, s[12:13]
	v_cmp_gt_u32_e64 s[8:9], 24, v15
	s_and_saveexec_b64 s[12:13], s[8:9]
	s_cbranch_execnz .LBB40_1081
.LBB40_834:
	s_or_b64 exec, exec, s[12:13]
	s_and_saveexec_b64 s[8:9], s[2:3]
	s_cbranch_execnz .LBB40_1082
.LBB40_835:
	s_or_b64 exec, exec, s[8:9]
	v_cmp_gt_u32_e64 s[8:9], 8, v15
	s_and_saveexec_b64 s[12:13], s[8:9]
	s_cbranch_execz .LBB40_837
.LBB40_836:
	v_lshlrev_b32_e32 v22, 3, v0
	v_mov_b32_e32 v24, 0
	ds_read_b64 v[22:23], v22 offset:7680
	ds_read_b64 v[24:25], v24 offset:7800
	s_waitcnt lgkmcnt(0)
	v_fma_f64 v[11:12], v[22:23], v[24:25], v[11:12]
.LBB40_837:
	s_or_b64 exec, exec, s[12:13]
.LBB40_838:
	s_or_b64 exec, exec, s[10:11]
	s_and_saveexec_b64 s[8:9], s[54:55]
	s_cbranch_execz .LBB40_840
; %bb.839:
	v_mov_b32_e32 v22, 0
	ds_read_b64 v[22:23], v22 offset:3640
	s_waitcnt lgkmcnt(0)
	v_mul_f64 v[11:12], v[11:12], v[22:23]
	v_xor_b32_e32 v23, 0x80000000, v12
	v_mov_b32_e32 v22, v11
	ds_write_b64 v21, v[22:23]
.LBB40_840:
	s_or_b64 exec, exec, s[8:9]
	s_waitcnt lgkmcnt(0)
	s_barrier
	s_and_saveexec_b64 s[8:9], s[56:57]
	v_readlane_b32 s54, v36, 0
	s_cbranch_execz .LBB40_842
; %bb.841:
	v_lshlrev_b32_e32 v22, 3, v19
	ds_read_b64 v[22:23], v22 offset:3584
	ds_read_b64 v[24:25], v21
	s_waitcnt lgkmcnt(0)
	v_fma_f64 v[11:12], -v[22:23], v[24:25], v[11:12]
.LBB40_842:
	s_or_b64 exec, exec, s[8:9]
	s_barrier
	s_and_saveexec_b64 s[8:9], s[58:59]
	s_cbranch_execz .LBB40_844
; %bb.843:
	v_mov_b32_e32 v22, 0
	ds_read_b64 v[22:23], v22 offset:3120
	s_waitcnt lgkmcnt(0)
	v_mul_f64 v[11:12], v[11:12], v[22:23]
	v_xor_b32_e32 v23, 0x80000000, v12
	v_mov_b32_e32 v22, v11
	ds_write_b64 v21, v[22:23]
.LBB40_844:
	s_or_b64 exec, exec, s[8:9]
	s_waitcnt lgkmcnt(0)
	s_barrier
	s_and_saveexec_b64 s[8:9], s[60:61]
	s_cbranch_execz .LBB40_846
; %bb.845:
	v_lshlrev_b32_e32 v22, 3, v19
	ds_read_b64 v[22:23], v22 offset:3072
	ds_read_b64 v[24:25], v21
	s_waitcnt lgkmcnt(0)
	v_fma_f64 v[11:12], -v[22:23], v[24:25], v[11:12]
.LBB40_846:
	s_or_b64 exec, exec, s[8:9]
	s_barrier
	s_and_saveexec_b64 s[8:9], s[62:63]
	s_cbranch_execz .LBB40_848
; %bb.847:
	v_mov_b32_e32 v22, 0
	ds_read_b64 v[22:23], v22 offset:2600
	s_waitcnt lgkmcnt(0)
	v_mul_f64 v[11:12], v[11:12], v[22:23]
	v_xor_b32_e32 v23, 0x80000000, v12
	v_mov_b32_e32 v22, v11
	ds_write_b64 v21, v[22:23]
.LBB40_848:
	s_or_b64 exec, exec, s[8:9]
	s_waitcnt lgkmcnt(0)
	s_barrier
	s_and_saveexec_b64 s[8:9], s[66:67]
	;; [unrolled: 25-line block ×6, first 2 shown]
	s_cbranch_execz .LBB40_866
; %bb.865:
	v_mov_b32_e32 v22, 0
	ds_read_b64 v[22:23], v22 offset:512
	ds_read_b64 v[24:25], v21
	s_waitcnt lgkmcnt(0)
	v_fma_f64 v[11:12], -v[22:23], v[24:25], v[11:12]
.LBB40_866:
	s_or_b64 exec, exec, s[8:9]
	s_barrier
	s_and_saveexec_b64 s[8:9], s[64:65]
	s_cbranch_execz .LBB40_868
; %bb.867:
	v_mov_b32_e32 v22, 0
	ds_read_b64 v[22:23], v22
	s_waitcnt lgkmcnt(0)
	v_mul_f64 v[11:12], v[11:12], v[22:23]
	v_xor_b32_e32 v23, 0x80000000, v12
	v_mov_b32_e32 v22, v11
	ds_write_b64 v21, v[22:23]
.LBB40_868:
	s_or_b64 exec, exec, s[8:9]
	s_waitcnt lgkmcnt(0)
	s_barrier
	s_barrier
	s_and_saveexec_b64 s[8:9], s[14:15]
; %bb.869:
	v_lshlrev_b32_e32 v19, 3, v19
	v_lshl_or_b32 v19, v20, 9, v19
	ds_write_b64 v19, v[11:12] offset:4096
; %bb.870:
	s_or_b64 exec, exec, s[8:9]
	s_waitcnt lgkmcnt(0)
	s_barrier
	s_barrier
	s_and_saveexec_b64 s[8:9], vcc
	s_cbranch_execz .LBB40_872
; %bb.871:
	v_mov_b32_e32 v23, 0
	ds_read_b128 v[19:22], v23 offset:3632
	ds_read_b64 v[11:12], v23 offset:3120
	s_waitcnt lgkmcnt(0)
	v_mul_f64 v[11:12], v[11:12], v[21:22]
	v_mul_f64 v[11:12], v[19:20], v[11:12]
	ds_write_b64 v23, v[11:12] offset:3632
.LBB40_872:
	s_or_b64 exec, exec, s[8:9]
	v_mov_b32_e32 v11, 0
	v_mov_b32_e32 v12, 0
	s_waitcnt lgkmcnt(0)
	s_barrier
	buffer_wbinvl1_vol
	s_and_saveexec_b64 s[10:11], s[0:1]
	s_cbranch_execz .LBB40_876
; %bb.873:
	v_lshlrev_b32_e32 v19, 9, v13
	v_lshlrev_b32_e32 v11, 3, v1
	ds_read_b64 v[11:12], v11 offset:3104
	ds_read_b64 v[19:20], v19 offset:3120
	v_cmp_gt_u32_e64 s[8:9], 2, v15
	s_waitcnt lgkmcnt(0)
	v_fma_f64 v[11:12], v[11:12], v[19:20], 0
	s_and_saveexec_b64 s[12:13], s[8:9]
	s_cbranch_execz .LBB40_875
; %bb.874:
	v_lshlrev_b32_e32 v19, 3, v0
	v_mov_b32_e32 v21, 0
	ds_read_b64 v[19:20], v19 offset:3616
	ds_read_b64 v[21:22], v21 offset:3640
	s_waitcnt lgkmcnt(0)
	v_fma_f64 v[11:12], v[19:20], v[21:22], v[11:12]
.LBB40_875:
	s_or_b64 exec, exec, s[12:13]
.LBB40_876:
	s_or_b64 exec, exec, s[10:11]
	s_and_saveexec_b64 s[8:9], s[40:41]
	s_cbranch_execz .LBB40_878
; %bb.877:
	v_mov_b32_e32 v19, 0
	ds_read_b64 v[19:20], v19 offset:2600
	s_waitcnt lgkmcnt(0)
	v_mul_f64 v[11:12], v[11:12], v[19:20]
	v_xor_b32_e32 v20, 0x80000000, v12
	v_mov_b32_e32 v19, v11
	ds_write_b64 v14, v[19:20]
.LBB40_878:
	s_or_b64 exec, exec, s[8:9]
	s_waitcnt lgkmcnt(0)
	s_barrier
	s_and_saveexec_b64 s[8:9], s[38:39]
	s_cbranch_execz .LBB40_880
; %bb.879:
	v_mov_b32_e32 v19, 0
	ds_read_b64 v[19:20], v19 offset:2592
	ds_read_b64 v[21:22], v14
	s_waitcnt lgkmcnt(0)
	v_fma_f64 v[11:12], -v[19:20], v[21:22], v[11:12]
.LBB40_880:
	s_or_b64 exec, exec, s[8:9]
	s_barrier
	s_and_saveexec_b64 s[8:9], s[38:39]
	s_cbranch_execz .LBB40_882
; %bb.881:
	v_mov_b32_e32 v19, 0
	ds_read_b64 v[19:20], v19 offset:2080
	s_waitcnt lgkmcnt(0)
	v_mul_f64 v[11:12], v[11:12], v[19:20]
	v_xor_b32_e32 v20, 0x80000000, v12
	v_mov_b32_e32 v19, v11
	ds_write_b64 v14, v[19:20]
.LBB40_882:
	s_or_b64 exec, exec, s[8:9]
	s_waitcnt lgkmcnt(0)
	s_barrier
	s_barrier
	s_and_saveexec_b64 s[8:9], s[0:1]
; %bb.883:
	v_lshlrev_b32_e32 v19, 3, v1
	v_lshl_or_b32 v19, v13, 9, v19
	ds_write_b64 v19, v[11:12] offset:3104
; %bb.884:
	s_or_b64 exec, exec, s[8:9]
	s_waitcnt lgkmcnt(0)
	s_barrier
	s_barrier
	s_and_saveexec_b64 s[8:9], vcc
	s_cbranch_execz .LBB40_886
; %bb.885:
	v_mov_b32_e32 v23, 0
	ds_read_b128 v[19:22], v23 offset:2592
	ds_read_b64 v[11:12], v23 offset:2080
	s_waitcnt lgkmcnt(0)
	v_mul_f64 v[11:12], v[11:12], v[21:22]
	v_mul_f64 v[11:12], v[19:20], v[11:12]
	ds_write_b64 v23, v[11:12] offset:2592
.LBB40_886:
	s_or_b64 exec, exec, s[8:9]
	v_mov_b32_e32 v11, 0
	v_mov_b32_e32 v12, 0
	s_waitcnt lgkmcnt(0)
	s_barrier
	buffer_wbinvl1_vol
	s_and_saveexec_b64 s[10:11], s[2:3]
	s_cbranch_execz .LBB40_892
; %bb.887:
	v_lshlrev_b32_e32 v20, 3, v16
	v_lshlrev_b32_e32 v19, 9, v17
	ds_read_b64 v[11:12], v20 offset:2048
	ds_read_b64 v[21:22], v19 offset:2080
	v_cmp_gt_u32_e64 s[8:9], 12, v15
	s_waitcnt lgkmcnt(0)
	v_fma_f64 v[11:12], v[11:12], v[21:22], 0
	s_and_saveexec_b64 s[12:13], s[8:9]
	s_cbranch_execnz .LBB40_1083
; %bb.888:
	s_or_b64 exec, exec, s[12:13]
	v_cmp_gt_u32_e64 s[8:9], 8, v15
	s_and_saveexec_b64 s[12:13], s[8:9]
	s_cbranch_execnz .LBB40_1084
.LBB40_889:
	s_or_b64 exec, exec, s[12:13]
	v_cmp_gt_u32_e64 s[8:9], 4, v15
	s_and_saveexec_b64 s[12:13], s[8:9]
	s_cbranch_execz .LBB40_891
.LBB40_890:
	v_lshlrev_b32_e32 v19, 3, v0
	v_mov_b32_e32 v21, 0
	ds_read_b64 v[19:20], v19 offset:3584
	ds_read_b64 v[21:22], v21 offset:3640
	s_waitcnt lgkmcnt(0)
	v_fma_f64 v[11:12], v[19:20], v[21:22], v[11:12]
.LBB40_891:
	s_or_b64 exec, exec, s[12:13]
.LBB40_892:
	s_or_b64 exec, exec, s[10:11]
	s_and_saveexec_b64 s[8:9], s[44:45]
	s_cbranch_execz .LBB40_894
; %bb.893:
	v_mov_b32_e32 v19, 0
	ds_read_b64 v[19:20], v19 offset:1560
	s_waitcnt lgkmcnt(0)
	v_mul_f64 v[11:12], v[11:12], v[19:20]
	v_xor_b32_e32 v20, 0x80000000, v12
	v_mov_b32_e32 v19, v11
	ds_write_b64 v18, v[19:20]
.LBB40_894:
	s_or_b64 exec, exec, s[8:9]
	s_waitcnt lgkmcnt(0)
	s_barrier
	s_and_saveexec_b64 s[8:9], s[46:47]
	s_load_dword s44, s[4:5], 0x6c
	s_cbranch_execz .LBB40_896
; %bb.895:
	v_lshlrev_b32_e32 v19, 3, v16
	ds_read_b64 v[19:20], v19 offset:1536
	ds_read_b64 v[21:22], v18
	s_waitcnt lgkmcnt(0)
	v_fma_f64 v[11:12], -v[19:20], v[21:22], v[11:12]
.LBB40_896:
	s_or_b64 exec, exec, s[8:9]
	s_waitcnt lgkmcnt(0)
	s_barrier
	s_and_saveexec_b64 s[8:9], s[48:49]
	s_cbranch_execz .LBB40_898
; %bb.897:
	v_mov_b32_e32 v19, 0
	ds_read_b64 v[19:20], v19 offset:1040
	s_waitcnt lgkmcnt(0)
	v_mul_f64 v[11:12], v[11:12], v[19:20]
	v_xor_b32_e32 v20, 0x80000000, v12
	v_mov_b32_e32 v19, v11
	ds_write_b64 v18, v[19:20]
.LBB40_898:
	s_or_b64 exec, exec, s[8:9]
	s_waitcnt lgkmcnt(0)
	s_barrier
	s_and_saveexec_b64 s[8:9], s[50:51]
	s_cbranch_execz .LBB40_900
; %bb.899:
	v_lshlrev_b32_e32 v19, 3, v16
	ds_read_b64 v[19:20], v19 offset:1024
	ds_read_b64 v[21:22], v18
	s_waitcnt lgkmcnt(0)
	v_fma_f64 v[11:12], -v[19:20], v[21:22], v[11:12]
.LBB40_900:
	s_or_b64 exec, exec, s[8:9]
	s_barrier
	s_and_saveexec_b64 s[8:9], s[52:53]
	s_cbranch_execz .LBB40_902
; %bb.901:
	v_mov_b32_e32 v19, 0
	ds_read_b64 v[19:20], v19 offset:520
	s_waitcnt lgkmcnt(0)
	v_mul_f64 v[11:12], v[11:12], v[19:20]
	v_xor_b32_e32 v20, 0x80000000, v12
	v_mov_b32_e32 v19, v11
	ds_write_b64 v18, v[19:20]
.LBB40_902:
	s_or_b64 exec, exec, s[8:9]
	s_waitcnt lgkmcnt(0)
	s_barrier
	s_and_saveexec_b64 s[8:9], s[42:43]
	s_cbranch_execz .LBB40_904
; %bb.903:
	v_mov_b32_e32 v19, 0
	ds_read_b64 v[19:20], v19 offset:512
	ds_read_b64 v[21:22], v18
	s_waitcnt lgkmcnt(0)
	v_fma_f64 v[11:12], -v[19:20], v[21:22], v[11:12]
.LBB40_904:
	s_or_b64 exec, exec, s[8:9]
	s_barrier
	s_and_saveexec_b64 s[8:9], s[42:43]
	s_cbranch_execz .LBB40_906
; %bb.905:
	v_mov_b32_e32 v19, 0
	ds_read_b64 v[19:20], v19
	s_waitcnt lgkmcnt(0)
	v_mul_f64 v[11:12], v[11:12], v[19:20]
	v_xor_b32_e32 v20, 0x80000000, v12
	v_mov_b32_e32 v19, v11
	ds_write_b64 v18, v[19:20]
.LBB40_906:
	s_or_b64 exec, exec, s[8:9]
	s_waitcnt lgkmcnt(0)
	s_barrier
	s_barrier
	s_and_saveexec_b64 s[8:9], s[2:3]
; %bb.907:
	v_lshlrev_b32_e32 v16, 3, v16
	v_lshl_or_b32 v16, v17, 9, v16
	ds_write_b64 v16, v[11:12] offset:2048
; %bb.908:
	s_or_b64 exec, exec, s[8:9]
	s_waitcnt lgkmcnt(0)
	s_barrier
	s_barrier
	s_and_saveexec_b64 s[2:3], vcc
	s_cbranch_execz .LBB40_910
; %bb.909:
	v_mov_b32_e32 v20, 0
	ds_read_b128 v[16:19], v20 offset:1552
	ds_read_b64 v[11:12], v20 offset:1040
	s_waitcnt lgkmcnt(0)
	v_mul_f64 v[11:12], v[11:12], v[18:19]
	v_mul_f64 v[11:12], v[16:17], v[11:12]
	ds_write_b64 v20, v[11:12] offset:1552
.LBB40_910:
	s_or_b64 exec, exec, s[2:3]
	v_mov_b32_e32 v11, 0
	v_mov_b32_e32 v12, 0
	s_waitcnt lgkmcnt(0)
	s_barrier
	buffer_wbinvl1_vol
	s_and_saveexec_b64 s[8:9], s[0:1]
	s_cbranch_execz .LBB40_914
; %bb.911:
	v_lshlrev_b32_e32 v16, 9, v13
	v_lshlrev_b32_e32 v11, 3, v1
	ds_read_b64 v[11:12], v11 offset:1024
	ds_read_b64 v[16:17], v16 offset:1040
	v_cmp_gt_u32_e64 s[2:3], 2, v15
	s_waitcnt lgkmcnt(0)
	v_fma_f64 v[11:12], v[11:12], v[16:17], 0
	s_and_saveexec_b64 s[10:11], s[2:3]
	s_cbranch_execz .LBB40_913
; %bb.912:
	v_lshlrev_b32_e32 v15, 3, v0
	v_mov_b32_e32 v17, 0
	ds_read_b64 v[15:16], v15 offset:1536
	ds_read_b64 v[17:18], v17 offset:1560
	s_waitcnt lgkmcnt(0)
	v_fma_f64 v[11:12], v[15:16], v[17:18], v[11:12]
.LBB40_913:
	s_or_b64 exec, exec, s[10:11]
.LBB40_914:
	s_or_b64 exec, exec, s[8:9]
	s_and_saveexec_b64 s[2:3], s[40:41]
	s_cbranch_execz .LBB40_916
; %bb.915:
	v_mov_b32_e32 v15, 0
	ds_read_b64 v[15:16], v15 offset:520
	s_waitcnt lgkmcnt(0)
	v_mul_f64 v[11:12], v[11:12], v[15:16]
	v_xor_b32_e32 v16, 0x80000000, v12
	v_mov_b32_e32 v15, v11
	ds_write_b64 v14, v[15:16]
.LBB40_916:
	s_or_b64 exec, exec, s[2:3]
	s_waitcnt lgkmcnt(0)
	s_barrier
	s_and_saveexec_b64 s[2:3], s[38:39]
	s_cbranch_execz .LBB40_918
; %bb.917:
	v_mov_b32_e32 v15, 0
	ds_read_b64 v[15:16], v15 offset:512
	ds_read_b64 v[17:18], v14
	s_waitcnt lgkmcnt(0)
	v_fma_f64 v[11:12], -v[15:16], v[17:18], v[11:12]
.LBB40_918:
	s_or_b64 exec, exec, s[2:3]
	s_barrier
	s_and_saveexec_b64 s[2:3], s[38:39]
	s_cbranch_execz .LBB40_920
; %bb.919:
	v_mov_b32_e32 v15, 0
	ds_read_b64 v[15:16], v15
	s_waitcnt lgkmcnt(0)
	v_mul_f64 v[11:12], v[11:12], v[15:16]
	v_xor_b32_e32 v16, 0x80000000, v12
	v_mov_b32_e32 v15, v11
	ds_write_b64 v14, v[15:16]
.LBB40_920:
	s_or_b64 exec, exec, s[2:3]
	s_waitcnt lgkmcnt(0)
	s_barrier
	s_barrier
	s_and_saveexec_b64 s[2:3], s[0:1]
; %bb.921:
	v_lshlrev_b32_e32 v1, 3, v1
	v_lshl_or_b32 v1, v13, 9, v1
	ds_write_b64 v1, v[11:12] offset:1024
; %bb.922:
	s_or_b64 exec, exec, s[2:3]
	s_waitcnt lgkmcnt(0)
	s_barrier
	s_barrier
	s_and_saveexec_b64 s[0:1], vcc
	s_cbranch_execz .LBB40_924
; %bb.923:
	v_mov_b32_e32 v1, 0
	ds_read_b128 v[11:14], v1 offset:512
	ds_read_b64 v[15:16], v1
	s_waitcnt lgkmcnt(0)
	v_mul_f64 v[13:14], v[15:16], v[13:14]
	v_mul_f64 v[11:12], v[11:12], v[13:14]
	ds_write_b64 v1, v[11:12] offset:512
.LBB40_924:
	s_or_b64 exec, exec, s[0:1]
.LBB40_925:
	s_load_dwordx4 s[12:15], s[4:5], 0x48
	v_cmp_le_i32_e32 vcc, s92, v0
	v_mov_b32_e32 v11, 0
	v_mov_b32_e32 v12, 0
	v_add_u32_e32 v13, s33, v0
	s_waitcnt lgkmcnt(0)
	s_mul_i32 s1, s13, s34
	s_mul_hi_u32 s2, s12, s34
	s_mul_i32 s0, s12, s34
	s_add_i32 s1, s2, s1
	s_lshl_b64 s[0:1], s[0:1], 3
	s_add_u32 s2, s26, s0
	s_addc_u32 s3, s27, s1
	s_lshl_b64 s[0:1], s[28:29], 3
	s_add_u32 s38, s2, s0
	s_addc_u32 s39, s3, s1
	s_and_b64 s[12:13], vcc, s[18:19]
	v_cmp_eq_u32_e64 s[0:1], 0, v2
	s_xor_b64 s[2:3], s[12:13], -1
	s_and_b64 s[4:5], s[0:1], s[2:3]
	s_barrier
	s_and_saveexec_b64 s[2:3], s[4:5]
	s_cbranch_execz .LBB40_927
; %bb.926:
	v_ashrrev_i32_e32 v1, 31, v13
	v_mul_lo_u32 v14, s31, v13
	v_mad_u64_u32 v[11:12], s[4:5], s30, v13, 0
	v_mul_lo_u32 v1, s30, v1
	v_add3_u32 v12, v12, v1, v14
	v_lshlrev_b64 v[11:12], 3, v[11:12]
	v_mov_b32_e32 v1, s39
	v_add_co_u32_e32 v11, vcc, s38, v11
	v_addc_co_u32_e32 v12, vcc, v1, v12, vcc
	global_load_dwordx2 v[11:12], v[11:12], off
	s_waitcnt vmcnt(0)
	v_mul_f64 v[11:12], v[11:12], -s[24:25]
.LBB40_927:
	s_or_b64 exec, exec, s[2:3]
	s_and_b32 s2, 0xffff, s44
	v_mad_u32_u24 v17, v2, s2, v0
	v_mov_b32_e32 v1, 0
	s_cmp_lt_i32 s6, 1
	v_cmp_eq_u32_e64 s[2:3], 0, v17
	s_cbranch_scc1 .LBB40_953
; %bb.928:
	v_ashrrev_i32_e32 v14, 31, v13
	v_cmp_gt_i32_e64 s[10:11], s36, v13
	v_lshlrev_b64 v[13:14], 3, v[13:14]
	s_lshl_b64 s[4:5], s[34:35], 2
	v_mov_b32_e32 v15, 0xa000
	s_add_u32 s16, s14, s4
	v_lshl_add_u32 v18, v17, 3, v15
	v_lshl_or_b32 v19, v2, 3, v15
	v_mov_b32_e32 v15, s94
	v_add_co_u32_e32 v20, vcc, s93, v13
	s_mul_i32 s8, s21, 0x180
	s_mul_hi_u32 s9, s20, 0x180
	s_mov_b32 s40, 0
	s_addc_u32 s17, s15, s5
	v_cmp_gt_u32_e64 s[4:5], 64, v17
	s_add_i32 s95, s95, 1
	v_addc_co_u32_e32 v21, vcc, v15, v14, vcc
	s_lshl_b64 s[24:25], s[20:21], 7
	s_lshl_b64 s[26:27], s[20:21], 8
	s_add_i32 s41, s9, s8
	s_mul_i32 s42, s20, 0x180
	v_mov_b32_e32 v22, -1
	s_branch .LBB40_931
.LBB40_929:                             ;   in Loop: Header=BB40_931 Depth=1
	ds_read_b64 v[13:14], v19 offset:384
	s_waitcnt vmcnt(0) lgkmcnt(0)
	v_fma_f64 v[11:12], v[15:16], v[13:14], v[11:12]
.LBB40_930:                             ;   in Loop: Header=BB40_931 Depth=1
	s_or_b64 exec, exec, s[28:29]
	s_add_i32 s40, s40, 1
	s_cmp_eq_u32 s40, s6
	s_cbranch_scc1 .LBB40_953
.LBB40_931:                             ; =>This Loop Header: Depth=1
                                        ;     Child Loop BB40_933 Depth 2
	v_cmp_gt_i32_e32 vcc, s40, v22
	s_and_b64 s[28:29], s[2:3], vcc
	s_and_saveexec_b64 s[8:9], s[28:29]
	s_cbranch_execz .LBB40_934
; %bb.932:                              ;   in Loop: Header=BB40_931 Depth=1
	global_load_dword v22, v1, s[16:17]
	s_waitcnt vmcnt(0)
	v_cmp_le_i32_e32 vcc, s40, v22
	s_cbranch_vccnz .LBB40_934
.LBB40_933:                             ;   Parent Loop BB40_931 Depth=1
                                        ; =>  This Inner Loop Header: Depth=2
	buffer_wbinvl1_vol
	global_load_dword v22, v1, s[16:17]
	s_waitcnt vmcnt(0)
	v_cmp_gt_i32_e32 vcc, s40, v22
	s_cbranch_vccnz .LBB40_933
.LBB40_934:                             ;   in Loop: Header=BB40_931 Depth=1
	s_or_b64 exec, exec, s[8:9]
	s_sub_i32 s43, s7, s40
	s_lshl_b32 s44, s43, 6
	buffer_wbinvl1_vol
	s_barrier
	s_and_saveexec_b64 s[8:9], s[4:5]
	s_cbranch_execz .LBB40_938
; %bb.935:                              ;   in Loop: Header=BB40_931 Depth=1
	s_ashr_i32 s28, s44, 31
	v_mov_b32_e32 v14, s28
	v_or_b32_e32 v13, s44, v17
	v_cmp_gt_i64_e32 vcc, s[36:37], v[13:14]
	v_mov_b32_e32 v15, 0
	v_mov_b32_e32 v16, 0
	s_and_saveexec_b64 s[28:29], vcc
	s_cbranch_execz .LBB40_937
; %bb.936:                              ;   in Loop: Header=BB40_931 Depth=1
	v_mul_lo_u32 v15, v14, s30
	v_mul_lo_u32 v16, v13, s31
	v_mad_u64_u32 v[13:14], s[46:47], v13, s30, 0
	v_add3_u32 v14, v14, v16, v15
	v_lshlrev_b64 v[13:14], 3, v[13:14]
	v_mov_b32_e32 v15, s39
	v_add_co_u32_e32 v13, vcc, s38, v13
	v_addc_co_u32_e32 v14, vcc, v15, v14, vcc
	global_load_dwordx2 v[15:16], v[13:14], off
.LBB40_937:                             ;   in Loop: Header=BB40_931 Depth=1
	s_or_b64 exec, exec, s[28:29]
	s_waitcnt vmcnt(0)
	ds_write_b64 v18, v[15:16]
.LBB40_938:                             ;   in Loop: Header=BB40_931 Depth=1
	s_or_b64 exec, exec, s[8:9]
	v_add_u32_e32 v23, s44, v2
	v_ashrrev_i32_e32 v15, 31, v23
	v_mul_lo_u32 v16, s21, v23
	v_mad_u64_u32 v[13:14], s[8:9], s20, v23, 0
	v_mul_lo_u32 v15, s20, v15
	s_cmp_lg_u32 s43, s95
	s_cselect_b64 s[8:9], -1, 0
	s_waitcnt lgkmcnt(0)
	v_add3_u32 v14, v14, v15, v16
	v_lshlrev_b64 v[13:14], 3, v[13:14]
	v_cndmask_b32_e64 v15, 0, 1, s[8:9]
	v_add_co_u32_e32 v13, vcc, v20, v13
	v_addc_co_u32_e32 v14, vcc, v21, v14, vcc
	v_cmp_gt_i32_e32 vcc, s36, v23
	s_and_b64 s[44:45], s[10:11], vcc
	v_cmp_ne_u32_e64 s[8:9], 1, v15
	s_barrier
	s_and_saveexec_b64 s[28:29], s[44:45]
	s_cbranch_execz .LBB40_942
; %bb.939:                              ;   in Loop: Header=BB40_931 Depth=1
	v_mov_b32_e32 v16, v4
	s_and_b64 vcc, exec, s[8:9]
	v_mov_b32_e32 v15, v3
	s_cbranch_vccnz .LBB40_941
; %bb.940:                              ;   in Loop: Header=BB40_931 Depth=1
	global_load_dwordx2 v[15:16], v[13:14], off
.LBB40_941:                             ;   in Loop: Header=BB40_931 Depth=1
	ds_read_b64 v[24:25], v19
	s_waitcnt vmcnt(0) lgkmcnt(0)
	v_fma_f64 v[11:12], v[15:16], v[24:25], v[11:12]
.LBB40_942:                             ;   in Loop: Header=BB40_931 Depth=1
	s_or_b64 exec, exec, s[28:29]
	v_add_u32_e32 v15, 16, v23
	v_cmp_gt_i32_e32 vcc, s36, v15
	s_and_b64 s[44:45], s[10:11], vcc
	s_and_saveexec_b64 s[28:29], s[44:45]
	s_cbranch_execz .LBB40_946
; %bb.943:                              ;   in Loop: Header=BB40_931 Depth=1
	v_mov_b32_e32 v16, v6
	s_and_b64 vcc, exec, s[8:9]
	v_mov_b32_e32 v15, v5
	s_cbranch_vccnz .LBB40_945
; %bb.944:                              ;   in Loop: Header=BB40_931 Depth=1
	v_mov_b32_e32 v16, s25
	v_add_co_u32_e32 v15, vcc, s24, v13
	v_addc_co_u32_e32 v16, vcc, v14, v16, vcc
	global_load_dwordx2 v[15:16], v[15:16], off
.LBB40_945:                             ;   in Loop: Header=BB40_931 Depth=1
	ds_read_b64 v[24:25], v19 offset:128
	s_waitcnt vmcnt(0) lgkmcnt(0)
	v_fma_f64 v[11:12], v[15:16], v[24:25], v[11:12]
.LBB40_946:                             ;   in Loop: Header=BB40_931 Depth=1
	s_or_b64 exec, exec, s[28:29]
	v_add_u32_e32 v15, 32, v23
	v_cmp_gt_i32_e32 vcc, s36, v15
	s_and_b64 s[44:45], s[10:11], vcc
	s_and_saveexec_b64 s[28:29], s[44:45]
	s_cbranch_execz .LBB40_950
; %bb.947:                              ;   in Loop: Header=BB40_931 Depth=1
	v_mov_b32_e32 v16, v10
	s_and_b64 vcc, exec, s[8:9]
	v_mov_b32_e32 v15, v9
	s_cbranch_vccnz .LBB40_949
; %bb.948:                              ;   in Loop: Header=BB40_931 Depth=1
	v_mov_b32_e32 v16, s27
	v_add_co_u32_e32 v15, vcc, s26, v13
	v_addc_co_u32_e32 v16, vcc, v14, v16, vcc
	global_load_dwordx2 v[15:16], v[15:16], off
.LBB40_949:                             ;   in Loop: Header=BB40_931 Depth=1
	ds_read_b64 v[24:25], v19 offset:256
	s_waitcnt vmcnt(0) lgkmcnt(0)
	v_fma_f64 v[11:12], v[15:16], v[24:25], v[11:12]
.LBB40_950:                             ;   in Loop: Header=BB40_931 Depth=1
	s_or_b64 exec, exec, s[28:29]
	v_add_u32_e32 v15, 48, v23
	v_cmp_gt_i32_e32 vcc, s36, v15
	s_and_b64 s[44:45], s[10:11], vcc
	s_and_saveexec_b64 s[28:29], s[44:45]
	s_cbranch_execz .LBB40_930
; %bb.951:                              ;   in Loop: Header=BB40_931 Depth=1
	v_mov_b32_e32 v16, v8
	s_and_b64 vcc, exec, s[8:9]
	v_mov_b32_e32 v15, v7
	s_cbranch_vccnz .LBB40_929
; %bb.952:                              ;   in Loop: Header=BB40_931 Depth=1
	v_mov_b32_e32 v15, s41
	v_add_co_u32_e32 v13, vcc, s42, v13
	v_addc_co_u32_e32 v14, vcc, v14, v15, vcc
	global_load_dwordx2 v[15:16], v[13:14], off
	s_branch .LBB40_929
.LBB40_953:
	v_lshl_add_u32 v1, v2, 6, v0
	s_xor_b64 s[2:3], s[18:19], -1
	s_xor_b64 s[4:5], s[22:23], -1
	v_lshlrev_b32_e32 v1, 3, v1
	ds_write_b64 v1, v[11:12] offset:32768
	s_waitcnt lgkmcnt(0)
	s_barrier
	s_and_saveexec_b64 s[6:7], s[0:1]
	s_cbranch_execz .LBB40_955
; %bb.954:
	v_lshlrev_b32_e32 v15, 3, v0
	ds_read2st64_b64 v[3:6], v15 offset0:65 offset1:66
	ds_read_b64 v[13:14], v15 offset:40448
	s_waitcnt lgkmcnt(1)
	v_add_f64 v[3:4], v[11:12], v[3:4]
	v_add_f64 v[11:12], v[3:4], v[5:6]
	ds_read2st64_b64 v[3:6], v15 offset0:67 offset1:68
	ds_read2st64_b64 v[7:10], v15 offset0:69 offset1:70
	s_waitcnt lgkmcnt(1)
	v_add_f64 v[3:4], v[11:12], v[3:4]
	v_add_f64 v[3:4], v[3:4], v[5:6]
	s_waitcnt lgkmcnt(0)
	v_add_f64 v[3:4], v[3:4], v[7:8]
	v_add_f64 v[11:12], v[3:4], v[9:10]
	ds_read2st64_b64 v[3:6], v15 offset0:71 offset1:72
	ds_read2st64_b64 v[7:10], v15 offset0:73 offset1:74
	s_waitcnt lgkmcnt(1)
	v_add_f64 v[3:4], v[11:12], v[3:4]
	v_add_f64 v[3:4], v[3:4], v[5:6]
	;; [unrolled: 8-line block ×3, first 2 shown]
	s_waitcnt lgkmcnt(0)
	v_add_f64 v[3:4], v[3:4], v[7:8]
	v_add_f64 v[3:4], v[3:4], v[9:10]
	;; [unrolled: 1-line block ×3, first 2 shown]
	v_xor_b32_e32 v4, 0x80000000, v4
	v_cndmask_b32_e64 v12, v4, 0, s[12:13]
	v_cndmask_b32_e64 v11, v3, 0, s[12:13]
.LBB40_955:
	s_or_b64 exec, exec, s[6:7]
	s_andn2_b64 vcc, exec, s[4:5]
	s_cbranch_vccnz .LBB40_968
; %bb.956:
	v_mov_b32_e32 v3, 0xa000
	v_lshl_or_b32 v5, v2, 3, v3
	s_and_saveexec_b64 s[4:5], s[0:1]
; %bb.957:
	v_lshl_add_u32 v3, v0, 3, v5
	ds_write_b64 v3, v[11:12]
; %bb.958:
	s_or_b64 exec, exec, s[4:5]
	v_mov_b32_e32 v3, 0
	v_mov_b32_e32 v4, 0
	v_cmp_le_u32_e32 vcc, v0, v2
	s_waitcnt lgkmcnt(0)
	s_barrier
	s_and_saveexec_b64 s[4:5], vcc
	s_cbranch_execz .LBB40_960
; %bb.959:
	ds_read_b64 v[3:4], v1
	ds_read_b64 v[6:7], v5
	s_waitcnt lgkmcnt(0)
	v_fma_f64 v[3:4], v[3:4], v[6:7], 0
.LBB40_960:
	s_or_b64 exec, exec, s[4:5]
	v_add_u32_e32 v6, 16, v2
	v_cmp_le_u32_e32 vcc, v0, v6
	s_and_saveexec_b64 s[4:5], vcc
	s_cbranch_execz .LBB40_962
; %bb.961:
	ds_read_b64 v[6:7], v1 offset:8192
	ds_read_b64 v[8:9], v5 offset:128
	s_waitcnt lgkmcnt(0)
	v_fma_f64 v[3:4], v[6:7], v[8:9], v[3:4]
.LBB40_962:
	s_or_b64 exec, exec, s[4:5]
	v_add_u32_e32 v6, 32, v2
	v_cmp_le_u32_e32 vcc, v0, v6
	s_and_saveexec_b64 s[4:5], vcc
	s_cbranch_execz .LBB40_964
; %bb.963:
	ds_read_b64 v[6:7], v1 offset:16384
	ds_read_b64 v[8:9], v5 offset:256
	s_waitcnt lgkmcnt(0)
	v_fma_f64 v[3:4], v[6:7], v[8:9], v[3:4]
.LBB40_964:
	s_or_b64 exec, exec, s[4:5]
	v_add_u32_e32 v2, 48, v2
	v_add_u32_e32 v6, 0x8000, v1
	v_cmp_le_u32_e32 vcc, v0, v2
	s_and_saveexec_b64 s[4:5], vcc
	s_cbranch_execz .LBB40_966
; %bb.965:
	ds_read_b64 v[1:2], v1 offset:24576
	ds_read_b64 v[7:8], v5 offset:384
	s_waitcnt lgkmcnt(0)
	v_fma_f64 v[3:4], v[1:2], v[7:8], v[3:4]
.LBB40_966:
	s_or_b64 exec, exec, s[4:5]
	s_mov_b64 s[6:7], 0
	s_mov_b64 s[4:5], 0
	ds_write_b64 v6, v[3:4]
	s_waitcnt lgkmcnt(0)
	s_barrier
                                        ; implicit-def: $vgpr1_vgpr2
	s_and_saveexec_b64 s[8:9], s[0:1]
	s_cbranch_execz .LBB40_1031
; %bb.967:
	v_lshlrev_b32_e32 v15, 3, v0
	ds_read2st64_b64 v[5:8], v15 offset0:65 offset1:66
	ds_read_b64 v[9:10], v15 offset:40448
	s_mov_b64 s[4:5], exec
	s_waitcnt lgkmcnt(1)
	v_add_f64 v[1:2], v[3:4], v[5:6]
	v_add_f64 v[13:14], v[7:8], v[1:2]
	ds_read2st64_b64 v[1:4], v15 offset0:67 offset1:68
	ds_read2st64_b64 v[5:8], v15 offset0:69 offset1:70
	s_waitcnt lgkmcnt(1)
	v_add_f64 v[1:2], v[1:2], v[13:14]
	v_add_f64 v[1:2], v[3:4], v[1:2]
	s_waitcnt lgkmcnt(0)
	v_add_f64 v[1:2], v[5:6], v[1:2]
	v_add_f64 v[13:14], v[7:8], v[1:2]
	ds_read2st64_b64 v[1:4], v15 offset0:71 offset1:72
	ds_read2st64_b64 v[5:8], v15 offset0:73 offset1:74
	s_waitcnt lgkmcnt(1)
	v_add_f64 v[1:2], v[1:2], v[13:14]
	v_add_f64 v[1:2], v[3:4], v[1:2]
	;; [unrolled: 8-line block ×3, first 2 shown]
	s_waitcnt lgkmcnt(0)
	v_add_f64 v[1:2], v[5:6], v[1:2]
	v_add_f64 v[1:2], v[7:8], v[1:2]
	;; [unrolled: 1-line block ×3, first 2 shown]
	s_or_b64 exec, exec, s[8:9]
	s_and_b64 vcc, exec, s[6:7]
	s_cbranch_vccnz .LBB40_969
	s_branch .LBB40_1032
.LBB40_968:
	s_mov_b64 s[4:5], 0
                                        ; implicit-def: $vgpr1_vgpr2
	s_cbranch_execz .LBB40_1032
.LBB40_969:
	s_movk_i32 s6, 0x208
	v_lshlrev_b32_e32 v2, 9, v0
	v_mov_b32_e32 v3, 0x7800
	v_mul_u32_u24_e32 v1, 0x208, v0
	v_sub_u32_e32 v2, 0, v2
	v_mad_u32_u24 v3, v0, s6, v3
	s_mov_b32 s8, 63
	s_movk_i32 s9, 0x8200
	v_mov_b32_e32 v4, 0
	s_branch .LBB40_971
.LBB40_970:                             ;   in Loop: Header=BB40_971 Depth=1
	s_or_b64 exec, exec, s[6:7]
	s_add_i32 s8, s8, -4
	s_cmp_lg_u32 s10, 0
	v_add_u32_e32 v2, 0xfffff800, v2
	s_barrier
	s_cbranch_scc0 .LBB40_987
.LBB40_971:                             ; =>This Inner Loop Header: Depth=1
	v_cmp_eq_u32_e32 vcc, s9, v2
	s_and_b64 s[10:11], s[0:1], vcc
	s_and_saveexec_b64 s[6:7], s[10:11]
	s_cbranch_execz .LBB40_973
; %bb.972:                              ;   in Loop: Header=BB40_971 Depth=1
	ds_read_b64 v[5:6], v1
	s_waitcnt lgkmcnt(0)
	v_mul_f64 v[11:12], v[11:12], v[5:6]
	ds_write_b64 v4, v[11:12] offset:41472
.LBB40_973:                             ;   in Loop: Header=BB40_971 Depth=1
	s_or_b64 exec, exec, s[6:7]
	v_cmp_gt_u32_e32 vcc, s8, v0
	s_and_b64 s[10:11], s[0:1], vcc
	v_add_u32_e32 v5, v3, v2
	s_waitcnt lgkmcnt(0)
	s_barrier
	s_and_saveexec_b64 s[6:7], s[10:11]
	s_cbranch_execz .LBB40_975
; %bb.974:                              ;   in Loop: Header=BB40_971 Depth=1
	ds_read_b64 v[6:7], v5 offset:1536
	ds_read_b64 v[8:9], v4 offset:41472
	s_waitcnt lgkmcnt(0)
	v_fma_f64 v[11:12], v[6:7], v[8:9], v[11:12]
.LBB40_975:                             ;   in Loop: Header=BB40_971 Depth=1
	s_or_b64 exec, exec, s[6:7]
	s_add_i32 s10, s8, -1
	v_cmp_eq_u32_e32 vcc, s10, v0
	s_and_b64 s[12:13], s[0:1], vcc
	s_barrier
	s_and_saveexec_b64 s[6:7], s[12:13]
	s_cbranch_execz .LBB40_977
; %bb.976:                              ;   in Loop: Header=BB40_971 Depth=1
	ds_read_b64 v[6:7], v1
	s_waitcnt lgkmcnt(0)
	v_mul_f64 v[11:12], v[11:12], v[6:7]
	ds_write_b64 v4, v[11:12] offset:41472
.LBB40_977:                             ;   in Loop: Header=BB40_971 Depth=1
	s_or_b64 exec, exec, s[6:7]
	v_cmp_gt_u32_e32 vcc, s10, v0
	s_and_b64 s[10:11], s[0:1], vcc
	s_waitcnt lgkmcnt(0)
	s_barrier
	s_and_saveexec_b64 s[6:7], s[10:11]
	s_cbranch_execz .LBB40_979
; %bb.978:                              ;   in Loop: Header=BB40_971 Depth=1
	ds_read_b64 v[6:7], v5 offset:1024
	ds_read_b64 v[8:9], v4 offset:41472
	s_waitcnt lgkmcnt(0)
	v_fma_f64 v[11:12], v[6:7], v[8:9], v[11:12]
.LBB40_979:                             ;   in Loop: Header=BB40_971 Depth=1
	s_or_b64 exec, exec, s[6:7]
	s_add_i32 s10, s8, -2
	v_cmp_eq_u32_e32 vcc, s10, v0
	s_and_b64 s[12:13], s[0:1], vcc
	s_barrier
	s_and_saveexec_b64 s[6:7], s[12:13]
	s_cbranch_execz .LBB40_981
; %bb.980:                              ;   in Loop: Header=BB40_971 Depth=1
	ds_read_b64 v[6:7], v1
	s_waitcnt lgkmcnt(0)
	v_mul_f64 v[11:12], v[11:12], v[6:7]
	ds_write_b64 v4, v[11:12] offset:41472
.LBB40_981:                             ;   in Loop: Header=BB40_971 Depth=1
	s_or_b64 exec, exec, s[6:7]
	v_cmp_gt_u32_e32 vcc, s10, v0
	s_and_b64 s[10:11], s[0:1], vcc
	s_waitcnt lgkmcnt(0)
	s_barrier
	s_and_saveexec_b64 s[6:7], s[10:11]
	s_cbranch_execz .LBB40_983
; %bb.982:                              ;   in Loop: Header=BB40_971 Depth=1
	ds_read_b64 v[6:7], v5 offset:512
	ds_read_b64 v[8:9], v4 offset:41472
	s_waitcnt lgkmcnt(0)
	v_fma_f64 v[11:12], v[6:7], v[8:9], v[11:12]
.LBB40_983:                             ;   in Loop: Header=BB40_971 Depth=1
	s_or_b64 exec, exec, s[6:7]
	s_add_i32 s10, s8, -3
	v_cmp_eq_u32_e32 vcc, s10, v0
	s_and_b64 s[12:13], s[0:1], vcc
	s_barrier
	s_and_saveexec_b64 s[6:7], s[12:13]
	s_cbranch_execz .LBB40_985
; %bb.984:                              ;   in Loop: Header=BB40_971 Depth=1
	ds_read_b64 v[6:7], v1
	s_waitcnt lgkmcnt(0)
	v_mul_f64 v[11:12], v[11:12], v[6:7]
	ds_write_b64 v4, v[11:12] offset:41472
.LBB40_985:                             ;   in Loop: Header=BB40_971 Depth=1
	s_or_b64 exec, exec, s[6:7]
	v_cmp_gt_u32_e32 vcc, s10, v0
	s_and_b64 s[12:13], s[0:1], vcc
	s_waitcnt lgkmcnt(0)
	s_barrier
	s_and_saveexec_b64 s[6:7], s[12:13]
	s_cbranch_execz .LBB40_970
; %bb.986:                              ;   in Loop: Header=BB40_971 Depth=1
	ds_read_b64 v[5:6], v5
	ds_read_b64 v[7:8], v4 offset:41472
	s_waitcnt lgkmcnt(0)
	v_fma_f64 v[11:12], v[5:6], v[7:8], v[11:12]
	s_branch .LBB40_970
.LBB40_987:
	s_mov_b64 s[6:7], -1
	s_and_b64 vcc, exec, s[2:3]
	s_cbranch_vccnz .LBB40_1033
; %bb.988:
	s_andn2_b64 vcc, exec, s[6:7]
	s_cbranch_vccz .LBB40_1034
.LBB40_989:
	s_and_saveexec_b64 s[0:1], s[4:5]
	s_cbranch_execz .LBB40_991
.LBB40_990:
	v_mov_b32_e32 v0, s54
	v_add_co_u32_e32 v1, vcc, s33, v17
	v_addc_co_u32_e32 v0, vcc, 0, v0, vcc
	v_mul_lo_u32 v2, v0, s30
	v_mul_lo_u32 v3, v1, s31
	v_mad_u64_u32 v[0:1], s[2:3], v1, s30, 0
	v_add3_u32 v1, v1, v3, v2
	v_lshlrev_b64 v[0:1], 3, v[0:1]
	v_mov_b32_e32 v2, s39
	v_add_co_u32_e32 v0, vcc, s38, v0
	v_addc_co_u32_e32 v1, vcc, v2, v1, vcc
	global_store_dwordx2 v[0:1], v[11:12], off
.LBB40_991:
	s_or_b64 exec, exec, s[0:1]
	v_cmp_eq_u32_e32 vcc, 0, v17
	s_waitcnt vmcnt(0)
	buffer_wbinvl1_vol
	s_barrier
	s_and_saveexec_b64 s[0:1], vcc
	s_cbranch_execz .LBB40_993
; %bb.992:
	s_lshl_b64 s[2:3], s[34:35], 2
	s_add_u32 s2, s14, s2
	s_addc_u32 s3, s15, s3
	v_mov_b32_e32 v0, 0
	global_load_dword v1, v0, s[2:3]
	s_waitcnt vmcnt(0)
	v_add_u32_e32 v1, 1, v1
	global_store_dword v0, v1, s[2:3]
.LBB40_993:
	s_or_b64 exec, exec, s[0:1]
	s_waitcnt vmcnt(0)
	buffer_wbinvl1_vol
	s_endpgm
.LBB40_994:
                                        ; implicit-def: $vgpr7_vgpr8
                                        ; implicit-def: $vgpr9_vgpr10
                                        ; implicit-def: $vgpr5_vgpr6
                                        ; implicit-def: $vgpr3_vgpr4
                                        ; implicit-def: $sgpr33
	s_cbranch_execnz .LBB40_10
	s_branch .LBB40_11
.LBB40_995:
	v_cmp_ne_u32_e32 vcc, v0, v2
	s_and_saveexec_b64 s[8:9], vcc
	s_xor_b64 s[8:9], exec, s[8:9]
; %bb.996:
	v_or_b32_e32 v1, v2, v0
	v_cmp_gt_u32_e32 vcc, 64, v1
	s_and_b64 s[2:3], vcc, exec
                                        ; implicit-def: $vgpr15_vgpr16
; %bb.997:
	s_or_saveexec_b64 s[8:9], s[8:9]
	v_mov_b32_e32 v13, 0
	v_mov_b32_e32 v14, 0
	s_xor_b64 exec, exec, s[8:9]
	s_cbranch_execz .LBB40_999
; %bb.998:
	v_lshlrev_b64 v[13:14], 3, v[15:16]
	v_mov_b32_e32 v1, s94
	v_add_co_u32_e32 v13, vcc, s93, v13
	v_addc_co_u32_e32 v14, vcc, v1, v14, vcc
	global_load_dwordx2 v[13:14], v[13:14], off
	s_or_b64 s[2:3], s[2:3], exec
	s_waitcnt vmcnt(0)
	v_div_scale_f64 v[15:16], s[10:11], v[13:14], v[13:14], 1.0
	v_div_scale_f64 v[21:22], vcc, 1.0, v[13:14], 1.0
	v_rcp_f64_e32 v[17:18], v[15:16]
	v_fma_f64 v[19:20], -v[15:16], v[17:18], 1.0
	v_fma_f64 v[17:18], v[17:18], v[19:20], v[17:18]
	v_fma_f64 v[19:20], -v[15:16], v[17:18], 1.0
	v_fma_f64 v[17:18], v[17:18], v[19:20], v[17:18]
	v_mul_f64 v[19:20], v[21:22], v[17:18]
	v_fma_f64 v[15:16], -v[15:16], v[19:20], v[21:22]
	v_div_fmas_f64 v[15:16], v[15:16], v[17:18], v[19:20]
	v_div_fixup_f64 v[13:14], v[15:16], v[13:14], 1.0
.LBB40_999:
	s_or_b64 exec, exec, s[8:9]
	s_and_b64 s[2:3], s[2:3], exec
                                        ; implicit-def: $vgpr15_vgpr16
	s_andn2_saveexec_b64 s[0:1], s[0:1]
	s_cbranch_execz .LBB40_14
.LBB40_1000:
	v_lshlrev_b64 v[13:14], 3, v[15:16]
	v_mov_b32_e32 v1, s94
	v_add_co_u32_e32 v13, vcc, s93, v13
	v_addc_co_u32_e32 v14, vcc, v1, v14, vcc
	global_load_dwordx2 v[13:14], v[13:14], off
	s_or_b64 s[2:3], s[2:3], exec
	s_waitcnt vmcnt(0)
	v_xor_b32_e32 v14, 0x80000000, v14
	s_or_b64 exec, exec, s[0:1]
	s_and_saveexec_b64 s[0:1], s[2:3]
	s_cbranch_execnz .LBB40_15
	s_branch .LBB40_16
.LBB40_1001:
	v_cmp_ne_u32_e32 vcc, v0, v1
	s_and_saveexec_b64 s[8:9], vcc
	s_xor_b64 s[8:9], exec, s[8:9]
; %bb.1002:
	v_or_b32_e32 v13, v1, v0
	v_cmp_gt_u32_e32 vcc, 64, v13
	s_and_b64 s[2:3], vcc, exec
                                        ; implicit-def: $vgpr15_vgpr16
; %bb.1003:
	s_or_saveexec_b64 s[8:9], s[8:9]
	v_mov_b32_e32 v13, 0
	v_mov_b32_e32 v14, 0
	s_xor_b64 exec, exec, s[8:9]
	s_cbranch_execz .LBB40_1005
; %bb.1004:
	v_lshlrev_b64 v[13:14], 3, v[15:16]
	v_mov_b32_e32 v15, s94
	v_add_co_u32_e32 v13, vcc, s93, v13
	v_addc_co_u32_e32 v14, vcc, v15, v14, vcc
	global_load_dwordx2 v[13:14], v[13:14], off
	s_or_b64 s[2:3], s[2:3], exec
	s_waitcnt vmcnt(0)
	v_div_scale_f64 v[15:16], s[10:11], v[13:14], v[13:14], 1.0
	v_div_scale_f64 v[21:22], vcc, 1.0, v[13:14], 1.0
	v_rcp_f64_e32 v[17:18], v[15:16]
	v_fma_f64 v[19:20], -v[15:16], v[17:18], 1.0
	v_fma_f64 v[17:18], v[17:18], v[19:20], v[17:18]
	v_fma_f64 v[19:20], -v[15:16], v[17:18], 1.0
	v_fma_f64 v[17:18], v[17:18], v[19:20], v[17:18]
	v_mul_f64 v[19:20], v[21:22], v[17:18]
	v_fma_f64 v[15:16], -v[15:16], v[19:20], v[21:22]
	v_div_fmas_f64 v[15:16], v[15:16], v[17:18], v[19:20]
	v_div_fixup_f64 v[13:14], v[15:16], v[13:14], 1.0
.LBB40_1005:
	s_or_b64 exec, exec, s[8:9]
	s_and_b64 s[2:3], s[2:3], exec
                                        ; implicit-def: $vgpr15_vgpr16
	s_andn2_saveexec_b64 s[0:1], s[0:1]
	s_cbranch_execz .LBB40_18
.LBB40_1006:
	v_lshlrev_b64 v[13:14], 3, v[15:16]
	v_mov_b32_e32 v15, s94
	v_add_co_u32_e32 v13, vcc, s93, v13
	v_addc_co_u32_e32 v14, vcc, v15, v14, vcc
	global_load_dwordx2 v[13:14], v[13:14], off
	s_or_b64 s[2:3], s[2:3], exec
	s_waitcnt vmcnt(0)
	v_xor_b32_e32 v14, 0x80000000, v14
	s_or_b64 exec, exec, s[0:1]
	s_and_saveexec_b64 s[0:1], s[2:3]
	s_cbranch_execnz .LBB40_19
	s_branch .LBB40_20
.LBB40_1007:
	v_cmp_ne_u32_e32 vcc, v0, v1
	s_and_saveexec_b64 s[8:9], vcc
	s_xor_b64 s[8:9], exec, s[8:9]
; %bb.1008:
	v_or_b32_e32 v13, v1, v0
	v_cmp_gt_u32_e32 vcc, 64, v13
	s_and_b64 s[2:3], vcc, exec
                                        ; implicit-def: $vgpr15_vgpr16
; %bb.1009:
	s_or_saveexec_b64 s[8:9], s[8:9]
	v_mov_b32_e32 v13, 0
	v_mov_b32_e32 v14, 0
	s_xor_b64 exec, exec, s[8:9]
	s_cbranch_execz .LBB40_1011
; %bb.1010:
	v_lshlrev_b64 v[13:14], 3, v[15:16]
	v_mov_b32_e32 v15, s94
	v_add_co_u32_e32 v13, vcc, s93, v13
	v_addc_co_u32_e32 v14, vcc, v15, v14, vcc
	global_load_dwordx2 v[13:14], v[13:14], off
	s_or_b64 s[2:3], s[2:3], exec
	s_waitcnt vmcnt(0)
	v_div_scale_f64 v[15:16], s[10:11], v[13:14], v[13:14], 1.0
	v_div_scale_f64 v[21:22], vcc, 1.0, v[13:14], 1.0
	v_rcp_f64_e32 v[17:18], v[15:16]
	v_fma_f64 v[19:20], -v[15:16], v[17:18], 1.0
	v_fma_f64 v[17:18], v[17:18], v[19:20], v[17:18]
	v_fma_f64 v[19:20], -v[15:16], v[17:18], 1.0
	v_fma_f64 v[17:18], v[17:18], v[19:20], v[17:18]
	v_mul_f64 v[19:20], v[21:22], v[17:18]
	v_fma_f64 v[15:16], -v[15:16], v[19:20], v[21:22]
	v_div_fmas_f64 v[15:16], v[15:16], v[17:18], v[19:20]
	v_div_fixup_f64 v[13:14], v[15:16], v[13:14], 1.0
.LBB40_1011:
	s_or_b64 exec, exec, s[8:9]
	s_and_b64 s[2:3], s[2:3], exec
                                        ; implicit-def: $vgpr15_vgpr16
	s_andn2_saveexec_b64 s[0:1], s[0:1]
	s_cbranch_execz .LBB40_22
.LBB40_1012:
	v_lshlrev_b64 v[13:14], 3, v[15:16]
	v_mov_b32_e32 v15, s94
	v_add_co_u32_e32 v13, vcc, s93, v13
	v_addc_co_u32_e32 v14, vcc, v15, v14, vcc
	global_load_dwordx2 v[13:14], v[13:14], off
	s_or_b64 s[2:3], s[2:3], exec
	s_waitcnt vmcnt(0)
	v_xor_b32_e32 v14, 0x80000000, v14
	s_or_b64 exec, exec, s[0:1]
	s_and_saveexec_b64 s[0:1], s[2:3]
	s_cbranch_execnz .LBB40_23
	s_branch .LBB40_24
.LBB40_1013:
	v_cmp_ne_u32_e32 vcc, v0, v2
	s_xor_b64 s[10:11], s[0:1], -1
	s_or_b64 s[12:13], s[10:11], vcc
	s_mov_b64 s[10:11], 0
	s_and_saveexec_b64 s[14:15], s[12:13]
	s_xor_b64 s[12:13], exec, s[14:15]
; %bb.1014:
	v_or_b32_e32 v1, v2, v0
	v_cmp_gt_u32_e32 vcc, 64, v1
	s_and_b64 s[10:11], vcc, exec
                                        ; implicit-def: $vgpr13_vgpr14
; %bb.1015:
	s_or_saveexec_b64 s[12:13], s[12:13]
	v_mov_b32_e32 v15, 0
	v_mov_b32_e32 v16, 0
	s_xor_b64 exec, exec, s[12:13]
	s_cbranch_execz .LBB40_1017
; %bb.1016:
	v_lshlrev_b64 v[13:14], 3, v[13:14]
	v_mov_b32_e32 v1, s94
	v_add_co_u32_e32 v13, vcc, s93, v13
	v_addc_co_u32_e32 v14, vcc, v1, v14, vcc
	global_load_dwordx2 v[13:14], v[13:14], off
	s_or_b64 s[10:11], s[10:11], exec
	s_waitcnt vmcnt(0)
	v_div_scale_f64 v[15:16], s[14:15], v[13:14], v[13:14], 1.0
	v_div_scale_f64 v[21:22], vcc, 1.0, v[13:14], 1.0
	v_rcp_f64_e32 v[17:18], v[15:16]
	v_fma_f64 v[19:20], -v[15:16], v[17:18], 1.0
	v_fma_f64 v[17:18], v[17:18], v[19:20], v[17:18]
	v_fma_f64 v[19:20], -v[15:16], v[17:18], 1.0
	v_fma_f64 v[17:18], v[17:18], v[19:20], v[17:18]
	v_mul_f64 v[19:20], v[21:22], v[17:18]
	v_fma_f64 v[15:16], -v[15:16], v[19:20], v[21:22]
	v_div_fmas_f64 v[15:16], v[15:16], v[17:18], v[19:20]
	v_div_fixup_f64 v[15:16], v[15:16], v[13:14], 1.0
.LBB40_1017:
	s_or_b64 exec, exec, s[12:13]
	s_and_b64 s[10:11], s[10:11], exec
                                        ; implicit-def: $vgpr13_vgpr14
	s_andn2_saveexec_b64 s[2:3], s[2:3]
	s_cbranch_execz .LBB40_36
.LBB40_1018:
	v_lshlrev_b64 v[13:14], 3, v[13:14]
	v_mov_b32_e32 v1, s94
	v_add_co_u32_e32 v13, vcc, s93, v13
	v_addc_co_u32_e32 v14, vcc, v1, v14, vcc
	global_load_dwordx2 v[15:16], v[13:14], off
	s_or_b64 s[10:11], s[10:11], exec
	s_waitcnt vmcnt(0)
	v_xor_b32_e32 v16, 0x80000000, v16
	s_or_b64 exec, exec, s[2:3]
	s_and_saveexec_b64 s[2:3], s[10:11]
	s_cbranch_execnz .LBB40_37
	s_branch .LBB40_38
.LBB40_1019:
	v_cmp_ne_u32_e32 vcc, v0, v1
	s_xor_b64 s[10:11], s[0:1], -1
	s_or_b64 s[12:13], s[10:11], vcc
	s_mov_b64 s[10:11], 0
	s_and_saveexec_b64 s[14:15], s[12:13]
	s_xor_b64 s[12:13], exec, s[14:15]
; %bb.1020:
	v_or_b32_e32 v13, v1, v0
	v_cmp_gt_u32_e32 vcc, 64, v13
	s_and_b64 s[10:11], vcc, exec
                                        ; implicit-def: $vgpr13_vgpr14
; %bb.1021:
	s_or_saveexec_b64 s[12:13], s[12:13]
	v_mov_b32_e32 v15, 0
	v_mov_b32_e32 v16, 0
	s_xor_b64 exec, exec, s[12:13]
	s_cbranch_execz .LBB40_1023
; %bb.1022:
	v_lshlrev_b64 v[13:14], 3, v[13:14]
	v_mov_b32_e32 v15, s94
	v_add_co_u32_e32 v13, vcc, s93, v13
	v_addc_co_u32_e32 v14, vcc, v15, v14, vcc
	global_load_dwordx2 v[13:14], v[13:14], off
	s_or_b64 s[10:11], s[10:11], exec
	s_waitcnt vmcnt(0)
	v_div_scale_f64 v[15:16], s[14:15], v[13:14], v[13:14], 1.0
	v_div_scale_f64 v[21:22], vcc, 1.0, v[13:14], 1.0
	v_rcp_f64_e32 v[17:18], v[15:16]
	v_fma_f64 v[19:20], -v[15:16], v[17:18], 1.0
	v_fma_f64 v[17:18], v[17:18], v[19:20], v[17:18]
	v_fma_f64 v[19:20], -v[15:16], v[17:18], 1.0
	v_fma_f64 v[17:18], v[17:18], v[19:20], v[17:18]
	v_mul_f64 v[19:20], v[21:22], v[17:18]
	v_fma_f64 v[15:16], -v[15:16], v[19:20], v[21:22]
	v_div_fmas_f64 v[15:16], v[15:16], v[17:18], v[19:20]
	v_div_fixup_f64 v[15:16], v[15:16], v[13:14], 1.0
.LBB40_1023:
	s_or_b64 exec, exec, s[12:13]
	s_and_b64 s[10:11], s[10:11], exec
                                        ; implicit-def: $vgpr13_vgpr14
	s_andn2_saveexec_b64 s[2:3], s[2:3]
	s_cbranch_execz .LBB40_40
.LBB40_1024:
	v_lshlrev_b64 v[13:14], 3, v[13:14]
	v_mov_b32_e32 v15, s94
	v_add_co_u32_e32 v13, vcc, s93, v13
	v_addc_co_u32_e32 v14, vcc, v15, v14, vcc
	global_load_dwordx2 v[15:16], v[13:14], off
	s_or_b64 s[10:11], s[10:11], exec
	s_waitcnt vmcnt(0)
	v_xor_b32_e32 v16, 0x80000000, v16
	s_or_b64 exec, exec, s[2:3]
	s_and_saveexec_b64 s[2:3], s[10:11]
	s_cbranch_execnz .LBB40_41
	s_branch .LBB40_42
.LBB40_1025:
	v_cmp_ne_u32_e32 vcc, v0, v1
	s_xor_b64 s[10:11], s[0:1], -1
	s_or_b64 s[12:13], s[10:11], vcc
	s_mov_b64 s[10:11], 0
	s_and_saveexec_b64 s[14:15], s[12:13]
	s_xor_b64 s[12:13], exec, s[14:15]
; %bb.1026:
	v_or_b32_e32 v13, v1, v0
	v_cmp_gt_u32_e32 vcc, 64, v13
	s_and_b64 s[10:11], vcc, exec
                                        ; implicit-def: $vgpr13_vgpr14
; %bb.1027:
	s_or_saveexec_b64 s[12:13], s[12:13]
	v_mov_b32_e32 v15, 0
	v_mov_b32_e32 v16, 0
	s_xor_b64 exec, exec, s[12:13]
	s_cbranch_execz .LBB40_1029
; %bb.1028:
	v_lshlrev_b64 v[13:14], 3, v[13:14]
	v_mov_b32_e32 v15, s94
	v_add_co_u32_e32 v13, vcc, s93, v13
	v_addc_co_u32_e32 v14, vcc, v15, v14, vcc
	global_load_dwordx2 v[13:14], v[13:14], off
	s_or_b64 s[10:11], s[10:11], exec
	s_waitcnt vmcnt(0)
	v_div_scale_f64 v[15:16], s[14:15], v[13:14], v[13:14], 1.0
	v_div_scale_f64 v[21:22], vcc, 1.0, v[13:14], 1.0
	v_rcp_f64_e32 v[17:18], v[15:16]
	v_fma_f64 v[19:20], -v[15:16], v[17:18], 1.0
	v_fma_f64 v[17:18], v[17:18], v[19:20], v[17:18]
	v_fma_f64 v[19:20], -v[15:16], v[17:18], 1.0
	v_fma_f64 v[17:18], v[17:18], v[19:20], v[17:18]
	v_mul_f64 v[19:20], v[21:22], v[17:18]
	v_fma_f64 v[15:16], -v[15:16], v[19:20], v[21:22]
	v_div_fmas_f64 v[15:16], v[15:16], v[17:18], v[19:20]
	v_div_fixup_f64 v[15:16], v[15:16], v[13:14], 1.0
.LBB40_1029:
	s_or_b64 exec, exec, s[12:13]
	s_and_b64 s[10:11], s[10:11], exec
                                        ; implicit-def: $vgpr13_vgpr14
	s_andn2_saveexec_b64 s[2:3], s[2:3]
	s_cbranch_execz .LBB40_44
.LBB40_1030:
	v_lshlrev_b64 v[13:14], 3, v[13:14]
	v_mov_b32_e32 v15, s94
	v_add_co_u32_e32 v13, vcc, s93, v13
	v_addc_co_u32_e32 v14, vcc, v15, v14, vcc
	global_load_dwordx2 v[15:16], v[13:14], off
	s_or_b64 s[10:11], s[10:11], exec
	s_waitcnt vmcnt(0)
	v_xor_b32_e32 v16, 0x80000000, v16
	s_or_b64 exec, exec, s[2:3]
	s_and_saveexec_b64 s[2:3], s[10:11]
	s_cbranch_execnz .LBB40_45
	s_branch .LBB40_46
.LBB40_1031:
	s_or_b64 exec, exec, s[8:9]
	s_and_b64 vcc, exec, s[6:7]
	s_cbranch_vccnz .LBB40_969
.LBB40_1032:
	v_mov_b32_e32 v12, v2
	v_mov_b32_e32 v11, v1
	s_and_saveexec_b64 s[0:1], s[4:5]
	s_cbranch_execnz .LBB40_990
	s_branch .LBB40_991
.LBB40_1033:
	s_andn2_b64 s[2:3], s[4:5], exec
	s_and_b64 s[4:5], s[0:1], exec
	s_or_b64 s[4:5], s[2:3], s[4:5]
	s_cbranch_execnz .LBB40_989
.LBB40_1034:
	v_cmp_gt_i32_e32 vcc, s92, v0
	s_and_b64 s[0:1], s[0:1], vcc
	s_andn2_b64 s[2:3], s[4:5], exec
	s_and_b64 s[0:1], s[0:1], exec
	s_or_b64 s[4:5], s[2:3], s[0:1]
	s_and_saveexec_b64 s[0:1], s[4:5]
	s_cbranch_execnz .LBB40_990
	s_branch .LBB40_991
.LBB40_1035:
	ds_read_b64 v[21:22], v20 offset:31680
	ds_read_b64 v[23:24], v19 offset:31208
	s_waitcnt lgkmcnt(0)
	v_fma_f64 v[11:12], v[21:22], v[23:24], v[11:12]
	s_or_b64 exec, exec, s[14:15]
	v_cmp_gt_u32_e64 s[10:11], 8, v15
	s_and_saveexec_b64 s[14:15], s[10:11]
	s_cbranch_execz .LBB40_77
.LBB40_1036:
	ds_read_b64 v[20:21], v20 offset:32192
	ds_read_b64 v[22:23], v19 offset:31216
	s_waitcnt lgkmcnt(0)
	v_fma_f64 v[11:12], v[20:21], v[22:23], v[11:12]
	s_or_b64 exec, exec, s[14:15]
	v_cmp_gt_u32_e64 s[10:11], 4, v15
	s_and_saveexec_b64 s[14:15], s[10:11]
	s_cbranch_execnz .LBB40_78
	s_branch .LBB40_79
.LBB40_1037:
	ds_read_b64 v[24:25], v23 offset:29568
	ds_read_b64 v[26:27], v22 offset:29128
	s_waitcnt lgkmcnt(0)
	v_fma_f64 v[11:12], v[24:25], v[26:27], v[11:12]
	s_or_b64 exec, exec, s[16:17]
	v_cmp_gt_u32_e64 s[10:11], 48, v15
	s_and_saveexec_b64 s[16:17], s[10:11]
	s_cbranch_execz .LBB40_115
.LBB40_1038:
	ds_read_b64 v[24:25], v23 offset:30080
	ds_read_b64 v[26:27], v22 offset:29136
	s_waitcnt lgkmcnt(0)
	v_fma_f64 v[11:12], v[24:25], v[26:27], v[11:12]
	s_or_b64 exec, exec, s[16:17]
	v_cmp_gt_u32_e64 s[10:11], 40, v15
	s_and_saveexec_b64 s[16:17], s[10:11]
	s_cbranch_execz .LBB40_116
.LBB40_1039:
	ds_read_b64 v[24:25], v23 offset:30592
	ds_read_b64 v[26:27], v22 offset:29144
	s_waitcnt lgkmcnt(0)
	v_fma_f64 v[11:12], v[24:25], v[26:27], v[11:12]
	s_or_b64 exec, exec, s[16:17]
	v_cmp_gt_u32_e64 s[10:11], 32, v15
	s_and_saveexec_b64 s[16:17], s[10:11]
	s_cbranch_execz .LBB40_117
.LBB40_1040:
	ds_read_b64 v[24:25], v23 offset:31104
	ds_read_b64 v[26:27], v22 offset:29152
	s_waitcnt lgkmcnt(0)
	v_fma_f64 v[11:12], v[24:25], v[26:27], v[11:12]
	s_or_b64 exec, exec, s[16:17]
	v_cmp_gt_u32_e64 s[10:11], 24, v15
	s_and_saveexec_b64 s[16:17], s[10:11]
	s_cbranch_execz .LBB40_118
.LBB40_1041:
	ds_read_b64 v[24:25], v23 offset:31616
	ds_read_b64 v[26:27], v22 offset:29160
	s_waitcnt lgkmcnt(0)
	v_fma_f64 v[11:12], v[24:25], v[26:27], v[11:12]
	s_or_b64 exec, exec, s[16:17]
	s_and_saveexec_b64 s[10:11], s[2:3]
	s_cbranch_execz .LBB40_119
.LBB40_1042:
	ds_read_b64 v[23:24], v23 offset:32128
	ds_read_b64 v[25:26], v22 offset:29168
	s_waitcnt lgkmcnt(0)
	v_fma_f64 v[11:12], v[23:24], v[25:26], v[11:12]
	s_or_b64 exec, exec, s[10:11]
	v_cmp_gt_u32_e64 s[10:11], 8, v15
	s_and_saveexec_b64 s[16:17], s[10:11]
	s_cbranch_execnz .LBB40_120
	s_branch .LBB40_121
.LBB40_1043:
	ds_read_b64 v[24:25], v23 offset:27520
	ds_read_b64 v[26:27], v22 offset:27048
	s_waitcnt lgkmcnt(0)
	v_fma_f64 v[11:12], v[24:25], v[26:27], v[11:12]
	s_or_b64 exec, exec, s[12:13]
	v_cmp_gt_u32_e64 s[8:9], 8, v15
	s_and_saveexec_b64 s[12:13], s[8:9]
	s_cbranch_execz .LBB40_173
.LBB40_1044:
	ds_read_b64 v[23:24], v23 offset:28032
	ds_read_b64 v[25:26], v22 offset:27056
	s_waitcnt lgkmcnt(0)
	v_fma_f64 v[11:12], v[23:24], v[25:26], v[11:12]
	s_or_b64 exec, exec, s[12:13]
	v_cmp_gt_u32_e64 s[8:9], 4, v15
	s_and_saveexec_b64 s[12:13], s[8:9]
	s_cbranch_execnz .LBB40_174
	s_branch .LBB40_175
.LBB40_1045:
	ds_read_b64 v[27:28], v26 offset:30464
	ds_read_b64 v[29:30], v25 offset:25048
	s_waitcnt lgkmcnt(0)
	v_fma_f64 v[11:12], v[27:28], v[29:30], v[11:12]
	s_or_b64 exec, exec, s[82:83]
	s_and_saveexec_b64 s[12:13], s[14:15]
	s_cbranch_execz .LBB40_231
.LBB40_1046:
	ds_read_b64 v[27:28], v26 offset:30976
	ds_read_b64 v[29:30], v25 offset:25056
	s_waitcnt lgkmcnt(0)
	v_fma_f64 v[11:12], v[27:28], v[29:30], v[11:12]
	s_or_b64 exec, exec, s[12:13]
	v_cmp_gt_u32_e64 s[12:13], 48, v15
	s_and_saveexec_b64 s[82:83], s[12:13]
	s_cbranch_execz .LBB40_232
.LBB40_1047:
	ds_read_b64 v[27:28], v26 offset:31488
	ds_read_b64 v[29:30], v25 offset:25064
	s_waitcnt lgkmcnt(0)
	v_fma_f64 v[11:12], v[27:28], v[29:30], v[11:12]
	s_or_b64 exec, exec, s[82:83]
	v_cmp_gt_u32_e64 s[12:13], 32, v15
	s_and_saveexec_b64 s[82:83], s[12:13]
	s_cbranch_execz .LBB40_233
.LBB40_1048:
	ds_read_b64 v[26:27], v26 offset:32000
	ds_read_b64 v[28:29], v25 offset:25072
	s_waitcnt lgkmcnt(0)
	v_fma_f64 v[11:12], v[26:27], v[28:29], v[11:12]
	s_or_b64 exec, exec, s[82:83]
	v_cmp_gt_u32_e64 s[12:13], 16, v15
	s_and_saveexec_b64 s[82:83], s[12:13]
	s_cbranch_execnz .LBB40_234
	s_branch .LBB40_235
.LBB40_1049:
	ds_read_b64 v[27:28], v26 offset:23360
	ds_read_b64 v[29:30], v25 offset:22888
	s_waitcnt lgkmcnt(0)
	v_fma_f64 v[11:12], v[27:28], v[29:30], v[11:12]
	s_or_b64 exec, exec, s[16:17]
	v_cmp_gt_u32_e64 s[10:11], 8, v15
	s_and_saveexec_b64 s[16:17], s[10:11]
	s_cbranch_execz .LBB40_319
.LBB40_1050:
	ds_read_b64 v[26:27], v26 offset:23872
	ds_read_b64 v[28:29], v25 offset:22896
	s_waitcnt lgkmcnt(0)
	v_fma_f64 v[11:12], v[26:27], v[28:29], v[11:12]
	s_or_b64 exec, exec, s[16:17]
	v_cmp_gt_u32_e64 s[10:11], 4, v15
	s_and_saveexec_b64 s[16:17], s[10:11]
	s_cbranch_execnz .LBB40_320
	s_branch .LBB40_321
.LBB40_1051:
	ds_read_b64 v[27:28], v26 offset:21248
	ds_read_b64 v[29:30], v25 offset:20808
	s_waitcnt lgkmcnt(0)
	v_fma_f64 v[11:12], v[27:28], v[29:30], v[11:12]
	s_or_b64 exec, exec, s[16:17]
	v_cmp_gt_u32_e64 s[10:11], 48, v15
	s_and_saveexec_b64 s[16:17], s[10:11]
	s_cbranch_execz .LBB40_357
.LBB40_1052:
	ds_read_b64 v[27:28], v26 offset:21760
	ds_read_b64 v[29:30], v25 offset:20816
	s_waitcnt lgkmcnt(0)
	v_fma_f64 v[11:12], v[27:28], v[29:30], v[11:12]
	s_or_b64 exec, exec, s[16:17]
	v_cmp_gt_u32_e64 s[10:11], 40, v15
	s_and_saveexec_b64 s[16:17], s[10:11]
	s_cbranch_execz .LBB40_358
.LBB40_1053:
	ds_read_b64 v[27:28], v26 offset:22272
	ds_read_b64 v[29:30], v25 offset:20824
	s_waitcnt lgkmcnt(0)
	v_fma_f64 v[11:12], v[27:28], v[29:30], v[11:12]
	s_or_b64 exec, exec, s[16:17]
	v_cmp_gt_u32_e64 s[10:11], 32, v15
	s_and_saveexec_b64 s[16:17], s[10:11]
	s_cbranch_execz .LBB40_359
.LBB40_1054:
	ds_read_b64 v[27:28], v26 offset:22784
	ds_read_b64 v[29:30], v25 offset:20832
	s_waitcnt lgkmcnt(0)
	v_fma_f64 v[11:12], v[27:28], v[29:30], v[11:12]
	s_or_b64 exec, exec, s[16:17]
	v_cmp_gt_u32_e64 s[10:11], 24, v15
	s_and_saveexec_b64 s[16:17], s[10:11]
	s_cbranch_execz .LBB40_360
.LBB40_1055:
	ds_read_b64 v[27:28], v26 offset:23296
	ds_read_b64 v[29:30], v25 offset:20840
	s_waitcnt lgkmcnt(0)
	v_fma_f64 v[11:12], v[27:28], v[29:30], v[11:12]
	s_or_b64 exec, exec, s[16:17]
	s_and_saveexec_b64 s[10:11], s[2:3]
	s_cbranch_execz .LBB40_361
.LBB40_1056:
	ds_read_b64 v[26:27], v26 offset:23808
	ds_read_b64 v[28:29], v25 offset:20848
	s_waitcnt lgkmcnt(0)
	v_fma_f64 v[11:12], v[26:27], v[28:29], v[11:12]
	s_or_b64 exec, exec, s[10:11]
	v_cmp_gt_u32_e64 s[10:11], 8, v15
	s_and_saveexec_b64 s[16:17], s[10:11]
	s_cbranch_execnz .LBB40_362
	s_branch .LBB40_363
.LBB40_1057:
	ds_read_b64 v[27:28], v26 offset:19200
	ds_read_b64 v[29:30], v25 offset:18728
	s_waitcnt lgkmcnt(0)
	v_fma_f64 v[11:12], v[27:28], v[29:30], v[11:12]
	s_or_b64 exec, exec, s[16:17]
	v_cmp_gt_u32_e64 s[10:11], 8, v15
	s_and_saveexec_b64 s[16:17], s[10:11]
	s_cbranch_execz .LBB40_415
.LBB40_1058:
	ds_read_b64 v[26:27], v26 offset:19712
	ds_read_b64 v[28:29], v25 offset:18736
	s_waitcnt lgkmcnt(0)
	v_fma_f64 v[11:12], v[26:27], v[28:29], v[11:12]
	s_or_b64 exec, exec, s[16:17]
	v_cmp_gt_u32_e64 s[10:11], 4, v15
	s_and_saveexec_b64 s[16:17], s[10:11]
	s_cbranch_execnz .LBB40_416
	s_branch .LBB40_417
.LBB40_1059:
	ds_read_b64 v[30:31], v29 offset:31232
	ds_read_b64 v[32:33], v28 offset:16872
	s_waitcnt lgkmcnt(0)
	v_fma_f64 v[11:12], v[30:31], v[32:33], v[11:12]
	s_or_b64 exec, exec, s[90:91]
	s_and_saveexec_b64 s[16:17], s[14:15]
	s_cbranch_execz .LBB40_509
.LBB40_1060:
	ds_read_b64 v[29:30], v29 offset:31744
	ds_read_b64 v[31:32], v28 offset:16880
	s_waitcnt lgkmcnt(0)
	v_fma_f64 v[11:12], v[29:30], v[31:32], v[11:12]
	s_or_b64 exec, exec, s[16:17]
	v_cmp_gt_u32_e64 s[16:17], 32, v15
	s_and_saveexec_b64 s[90:91], s[16:17]
	s_cbranch_execnz .LBB40_510
	s_branch .LBB40_511
.LBB40_1061:
	ds_read_b64 v[27:28], v26 offset:15040
	ds_read_b64 v[29:30], v25 offset:14568
	s_waitcnt lgkmcnt(0)
	v_fma_f64 v[11:12], v[27:28], v[29:30], v[11:12]
	s_or_b64 exec, exec, s[16:17]
	v_cmp_gt_u32_e64 s[10:11], 8, v15
	s_and_saveexec_b64 s[16:17], s[10:11]
	s_cbranch_execz .LBB40_551
.LBB40_1062:
	ds_read_b64 v[26:27], v26 offset:15552
	ds_read_b64 v[28:29], v25 offset:14576
	s_waitcnt lgkmcnt(0)
	v_fma_f64 v[11:12], v[26:27], v[28:29], v[11:12]
	s_or_b64 exec, exec, s[16:17]
	v_cmp_gt_u32_e64 s[10:11], 4, v15
	s_and_saveexec_b64 s[16:17], s[10:11]
	s_cbranch_execnz .LBB40_552
	s_branch .LBB40_553
.LBB40_1063:
	ds_read_b64 v[27:28], v26 offset:12928
	ds_read_b64 v[29:30], v25 offset:12488
	s_waitcnt lgkmcnt(0)
	v_fma_f64 v[11:12], v[27:28], v[29:30], v[11:12]
	s_or_b64 exec, exec, s[16:17]
	v_cmp_gt_u32_e64 s[10:11], 48, v15
	s_and_saveexec_b64 s[16:17], s[10:11]
	s_cbranch_execz .LBB40_589
.LBB40_1064:
	ds_read_b64 v[27:28], v26 offset:13440
	ds_read_b64 v[29:30], v25 offset:12496
	s_waitcnt lgkmcnt(0)
	v_fma_f64 v[11:12], v[27:28], v[29:30], v[11:12]
	s_or_b64 exec, exec, s[16:17]
	v_cmp_gt_u32_e64 s[10:11], 40, v15
	s_and_saveexec_b64 s[16:17], s[10:11]
	s_cbranch_execz .LBB40_590
.LBB40_1065:
	ds_read_b64 v[27:28], v26 offset:13952
	ds_read_b64 v[29:30], v25 offset:12504
	s_waitcnt lgkmcnt(0)
	v_fma_f64 v[11:12], v[27:28], v[29:30], v[11:12]
	s_or_b64 exec, exec, s[16:17]
	v_cmp_gt_u32_e64 s[10:11], 32, v15
	s_and_saveexec_b64 s[16:17], s[10:11]
	s_cbranch_execz .LBB40_591
.LBB40_1066:
	ds_read_b64 v[27:28], v26 offset:14464
	ds_read_b64 v[29:30], v25 offset:12512
	s_waitcnt lgkmcnt(0)
	v_fma_f64 v[11:12], v[27:28], v[29:30], v[11:12]
	s_or_b64 exec, exec, s[16:17]
	v_cmp_gt_u32_e64 s[10:11], 24, v15
	s_and_saveexec_b64 s[16:17], s[10:11]
	s_cbranch_execz .LBB40_592
.LBB40_1067:
	ds_read_b64 v[27:28], v26 offset:14976
	ds_read_b64 v[29:30], v25 offset:12520
	s_waitcnt lgkmcnt(0)
	v_fma_f64 v[11:12], v[27:28], v[29:30], v[11:12]
	s_or_b64 exec, exec, s[16:17]
	s_and_saveexec_b64 s[10:11], s[2:3]
	s_cbranch_execz .LBB40_593
.LBB40_1068:
	ds_read_b64 v[26:27], v26 offset:15488
	ds_read_b64 v[28:29], v25 offset:12528
	s_waitcnt lgkmcnt(0)
	v_fma_f64 v[11:12], v[26:27], v[28:29], v[11:12]
	s_or_b64 exec, exec, s[10:11]
	v_cmp_gt_u32_e64 s[10:11], 8, v15
	s_and_saveexec_b64 s[16:17], s[10:11]
	s_cbranch_execnz .LBB40_594
	s_branch .LBB40_595
.LBB40_1069:
	ds_read_b64 v[27:28], v26 offset:10880
	ds_read_b64 v[29:30], v25 offset:10408
	s_waitcnt lgkmcnt(0)
	v_fma_f64 v[11:12], v[27:28], v[29:30], v[11:12]
	s_or_b64 exec, exec, s[16:17]
	v_cmp_gt_u32_e64 s[10:11], 8, v15
	s_and_saveexec_b64 s[16:17], s[10:11]
	s_cbranch_execz .LBB40_647
.LBB40_1070:
	ds_read_b64 v[26:27], v26 offset:11392
	ds_read_b64 v[28:29], v25 offset:10416
	s_waitcnt lgkmcnt(0)
	v_fma_f64 v[11:12], v[26:27], v[28:29], v[11:12]
	s_or_b64 exec, exec, s[16:17]
	v_cmp_gt_u32_e64 s[10:11], 4, v15
	s_and_saveexec_b64 s[16:17], s[10:11]
	s_cbranch_execnz .LBB40_648
	s_branch .LBB40_649
.LBB40_1071:
	ds_read_b64 v[27:28], v26 offset:13824
	ds_read_b64 v[29:30], v25 offset:8408
	s_waitcnt lgkmcnt(0)
	v_fma_f64 v[11:12], v[27:28], v[29:30], v[11:12]
	s_or_b64 exec, exec, s[16:17]
	s_and_saveexec_b64 s[10:11], s[14:15]
	s_cbranch_execz .LBB40_705
.LBB40_1072:
	ds_read_b64 v[27:28], v26 offset:14336
	ds_read_b64 v[29:30], v25 offset:8416
	s_waitcnt lgkmcnt(0)
	v_fma_f64 v[11:12], v[27:28], v[29:30], v[11:12]
	s_or_b64 exec, exec, s[10:11]
	v_cmp_gt_u32_e64 s[10:11], 48, v15
	s_and_saveexec_b64 s[16:17], s[10:11]
	s_cbranch_execz .LBB40_706
.LBB40_1073:
	ds_read_b64 v[27:28], v26 offset:14848
	ds_read_b64 v[29:30], v25 offset:8424
	s_waitcnt lgkmcnt(0)
	v_fma_f64 v[11:12], v[27:28], v[29:30], v[11:12]
	s_or_b64 exec, exec, s[16:17]
	v_cmp_gt_u32_e64 s[10:11], 32, v15
	s_and_saveexec_b64 s[16:17], s[10:11]
	s_cbranch_execz .LBB40_707
.LBB40_1074:
	ds_read_b64 v[26:27], v26 offset:15360
	ds_read_b64 v[28:29], v25 offset:8432
	s_waitcnt lgkmcnt(0)
	v_fma_f64 v[11:12], v[26:27], v[28:29], v[11:12]
	s_or_b64 exec, exec, s[16:17]
	v_cmp_gt_u32_e64 s[10:11], 16, v15
	s_and_saveexec_b64 s[16:17], s[10:11]
	s_cbranch_execnz .LBB40_708
	s_branch .LBB40_709
.LBB40_1075:
	ds_read_b64 v[24:25], v23 offset:6720
	ds_read_b64 v[26:27], v22 offset:6248
	s_waitcnt lgkmcnt(0)
	v_fma_f64 v[11:12], v[24:25], v[26:27], v[11:12]
	s_or_b64 exec, exec, s[12:13]
	v_cmp_gt_u32_e64 s[8:9], 8, v15
	s_and_saveexec_b64 s[12:13], s[8:9]
	s_cbranch_execz .LBB40_793
.LBB40_1076:
	ds_read_b64 v[23:24], v23 offset:7232
	ds_read_b64 v[25:26], v22 offset:6256
	s_waitcnt lgkmcnt(0)
	v_fma_f64 v[11:12], v[23:24], v[25:26], v[11:12]
	s_or_b64 exec, exec, s[12:13]
	v_cmp_gt_u32_e64 s[8:9], 4, v15
	s_and_saveexec_b64 s[12:13], s[8:9]
	s_cbranch_execnz .LBB40_794
	s_branch .LBB40_795
.LBB40_1077:
	ds_read_b64 v[24:25], v23 offset:4608
	ds_read_b64 v[26:27], v22 offset:4168
	s_waitcnt lgkmcnt(0)
	v_fma_f64 v[11:12], v[24:25], v[26:27], v[11:12]
	s_or_b64 exec, exec, s[12:13]
	v_cmp_gt_u32_e64 s[8:9], 48, v15
	s_and_saveexec_b64 s[12:13], s[8:9]
	s_cbranch_execz .LBB40_831
.LBB40_1078:
	ds_read_b64 v[24:25], v23 offset:5120
	ds_read_b64 v[26:27], v22 offset:4176
	s_waitcnt lgkmcnt(0)
	v_fma_f64 v[11:12], v[24:25], v[26:27], v[11:12]
	s_or_b64 exec, exec, s[12:13]
	v_cmp_gt_u32_e64 s[8:9], 40, v15
	s_and_saveexec_b64 s[12:13], s[8:9]
	s_cbranch_execz .LBB40_832
.LBB40_1079:
	ds_read_b64 v[24:25], v23 offset:5632
	ds_read_b64 v[26:27], v22 offset:4184
	s_waitcnt lgkmcnt(0)
	v_fma_f64 v[11:12], v[24:25], v[26:27], v[11:12]
	s_or_b64 exec, exec, s[12:13]
	v_cmp_gt_u32_e64 s[8:9], 32, v15
	s_and_saveexec_b64 s[12:13], s[8:9]
	s_cbranch_execz .LBB40_833
.LBB40_1080:
	ds_read_b64 v[24:25], v23 offset:6144
	ds_read_b64 v[26:27], v22 offset:4192
	s_waitcnt lgkmcnt(0)
	v_fma_f64 v[11:12], v[24:25], v[26:27], v[11:12]
	s_or_b64 exec, exec, s[12:13]
	v_cmp_gt_u32_e64 s[8:9], 24, v15
	s_and_saveexec_b64 s[12:13], s[8:9]
	s_cbranch_execz .LBB40_834
.LBB40_1081:
	ds_read_b64 v[24:25], v23 offset:6656
	ds_read_b64 v[26:27], v22 offset:4200
	s_waitcnt lgkmcnt(0)
	v_fma_f64 v[11:12], v[24:25], v[26:27], v[11:12]
	s_or_b64 exec, exec, s[12:13]
	s_and_saveexec_b64 s[8:9], s[2:3]
	s_cbranch_execz .LBB40_835
.LBB40_1082:
	ds_read_b64 v[23:24], v23 offset:7168
	ds_read_b64 v[25:26], v22 offset:4208
	s_waitcnt lgkmcnt(0)
	v_fma_f64 v[11:12], v[23:24], v[25:26], v[11:12]
	s_or_b64 exec, exec, s[8:9]
	v_cmp_gt_u32_e64 s[8:9], 8, v15
	s_and_saveexec_b64 s[12:13], s[8:9]
	s_cbranch_execnz .LBB40_836
	s_branch .LBB40_837
.LBB40_1083:
	ds_read_b64 v[21:22], v20 offset:2560
	ds_read_b64 v[23:24], v19 offset:2088
	s_waitcnt lgkmcnt(0)
	v_fma_f64 v[11:12], v[21:22], v[23:24], v[11:12]
	s_or_b64 exec, exec, s[12:13]
	v_cmp_gt_u32_e64 s[8:9], 8, v15
	s_and_saveexec_b64 s[12:13], s[8:9]
	s_cbranch_execz .LBB40_889
.LBB40_1084:
	ds_read_b64 v[20:21], v20 offset:3072
	ds_read_b64 v[22:23], v19 offset:2096
	s_waitcnt lgkmcnt(0)
	v_fma_f64 v[11:12], v[20:21], v[22:23], v[11:12]
	s_or_b64 exec, exec, s[12:13]
	v_cmp_gt_u32_e64 s[8:9], 4, v15
	s_and_saveexec_b64 s[12:13], s[8:9]
	s_cbranch_execnz .LBB40_890
	s_branch .LBB40_891
	.section	.rodata,"a",@progbits
	.p2align	6, 0x0
	.amdhsa_kernel _ZL19rocblas_trsv_deviceILi64ELi16ELb0ELb0ELb0ELb0EddPKdPdEviT7_lllT6_T8_lllPii
		.amdhsa_group_segment_fixed_size 41480
		.amdhsa_private_segment_fixed_size 0
		.amdhsa_kernarg_size 352
		.amdhsa_user_sgpr_count 6
		.amdhsa_user_sgpr_private_segment_buffer 1
		.amdhsa_user_sgpr_dispatch_ptr 0
		.amdhsa_user_sgpr_queue_ptr 0
		.amdhsa_user_sgpr_kernarg_segment_ptr 1
		.amdhsa_user_sgpr_dispatch_id 0
		.amdhsa_user_sgpr_flat_scratch_init 0
		.amdhsa_user_sgpr_private_segment_size 0
		.amdhsa_uses_dynamic_stack 0
		.amdhsa_system_sgpr_private_segment_wavefront_offset 0
		.amdhsa_system_sgpr_workgroup_id_x 1
		.amdhsa_system_sgpr_workgroup_id_y 0
		.amdhsa_system_sgpr_workgroup_id_z 1
		.amdhsa_system_sgpr_workgroup_info 0
		.amdhsa_system_vgpr_workitem_id 1
		.amdhsa_next_free_vgpr 49
		.amdhsa_next_free_sgpr 98
		.amdhsa_reserve_vcc 1
		.amdhsa_reserve_flat_scratch 0
		.amdhsa_float_round_mode_32 0
		.amdhsa_float_round_mode_16_64 0
		.amdhsa_float_denorm_mode_32 3
		.amdhsa_float_denorm_mode_16_64 3
		.amdhsa_dx10_clamp 1
		.amdhsa_ieee_mode 1
		.amdhsa_fp16_overflow 0
		.amdhsa_exception_fp_ieee_invalid_op 0
		.amdhsa_exception_fp_denorm_src 0
		.amdhsa_exception_fp_ieee_div_zero 0
		.amdhsa_exception_fp_ieee_overflow 0
		.amdhsa_exception_fp_ieee_underflow 0
		.amdhsa_exception_fp_ieee_inexact 0
		.amdhsa_exception_int_div_zero 0
	.end_amdhsa_kernel
	.section	.text._ZL19rocblas_trsv_deviceILi64ELi16ELb0ELb0ELb0ELb0EddPKdPdEviT7_lllT6_T8_lllPii,"axG",@progbits,_ZL19rocblas_trsv_deviceILi64ELi16ELb0ELb0ELb0ELb0EddPKdPdEviT7_lllT6_T8_lllPii,comdat
.Lfunc_end40:
	.size	_ZL19rocblas_trsv_deviceILi64ELi16ELb0ELb0ELb0ELb0EddPKdPdEviT7_lllT6_T8_lllPii, .Lfunc_end40-_ZL19rocblas_trsv_deviceILi64ELi16ELb0ELb0ELb0ELb0EddPKdPdEviT7_lllT6_T8_lllPii
                                        ; -- End function
	.set _ZL19rocblas_trsv_deviceILi64ELi16ELb0ELb0ELb0ELb0EddPKdPdEviT7_lllT6_T8_lllPii.num_vgpr, 37
	.set _ZL19rocblas_trsv_deviceILi64ELi16ELb0ELb0ELb0ELb0EddPKdPdEviT7_lllT6_T8_lllPii.num_agpr, 0
	.set _ZL19rocblas_trsv_deviceILi64ELi16ELb0ELb0ELb0ELb0EddPKdPdEviT7_lllT6_T8_lllPii.numbered_sgpr, 96
	.set _ZL19rocblas_trsv_deviceILi64ELi16ELb0ELb0ELb0ELb0EddPKdPdEviT7_lllT6_T8_lllPii.num_named_barrier, 0
	.set _ZL19rocblas_trsv_deviceILi64ELi16ELb0ELb0ELb0ELb0EddPKdPdEviT7_lllT6_T8_lllPii.private_seg_size, 0
	.set _ZL19rocblas_trsv_deviceILi64ELi16ELb0ELb0ELb0ELb0EddPKdPdEviT7_lllT6_T8_lllPii.uses_vcc, 1
	.set _ZL19rocblas_trsv_deviceILi64ELi16ELb0ELb0ELb0ELb0EddPKdPdEviT7_lllT6_T8_lllPii.uses_flat_scratch, 0
	.set _ZL19rocblas_trsv_deviceILi64ELi16ELb0ELb0ELb0ELb0EddPKdPdEviT7_lllT6_T8_lllPii.has_dyn_sized_stack, 0
	.set _ZL19rocblas_trsv_deviceILi64ELi16ELb0ELb0ELb0ELb0EddPKdPdEviT7_lllT6_T8_lllPii.has_recursion, 0
	.set _ZL19rocblas_trsv_deviceILi64ELi16ELb0ELb0ELb0ELb0EddPKdPdEviT7_lllT6_T8_lllPii.has_indirect_call, 0
	.section	.AMDGPU.csdata,"",@progbits
; Kernel info:
; codeLenInByte = 34744
; TotalNumSgprs: 100
; NumVgprs: 37
; ScratchSize: 0
; MemoryBound: 0
; FloatMode: 240
; IeeeMode: 1
; LDSByteSize: 41480 bytes/workgroup (compile time only)
; SGPRBlocks: 12
; VGPRBlocks: 12
; NumSGPRsForWavesPerEU: 102
; NumVGPRsForWavesPerEU: 49
; Occupancy: 4
; WaveLimiterHint : 0
; COMPUTE_PGM_RSRC2:SCRATCH_EN: 0
; COMPUTE_PGM_RSRC2:USER_SGPR: 6
; COMPUTE_PGM_RSRC2:TRAP_HANDLER: 0
; COMPUTE_PGM_RSRC2:TGID_X_EN: 1
; COMPUTE_PGM_RSRC2:TGID_Y_EN: 0
; COMPUTE_PGM_RSRC2:TGID_Z_EN: 1
; COMPUTE_PGM_RSRC2:TIDIG_COMP_CNT: 1
	.section	.text._ZL19rocblas_trsv_deviceILi64ELi16ELb0ELb1ELb0ELb0EddPKdPdEviT7_lllT6_T8_lllPii,"axG",@progbits,_ZL19rocblas_trsv_deviceILi64ELi16ELb0ELb1ELb0ELb0EddPKdPdEviT7_lllT6_T8_lllPii,comdat
	.globl	_ZL19rocblas_trsv_deviceILi64ELi16ELb0ELb1ELb0ELb0EddPKdPdEviT7_lllT6_T8_lllPii ; -- Begin function _ZL19rocblas_trsv_deviceILi64ELi16ELb0ELb1ELb0ELb0EddPKdPdEviT7_lllT6_T8_lllPii
	.p2align	8
	.type	_ZL19rocblas_trsv_deviceILi64ELi16ELb0ELb1ELb0ELb0EddPKdPdEviT7_lllT6_T8_lllPii,@function
_ZL19rocblas_trsv_deviceILi64ELi16ELb0ELb1ELb0ELb0EddPKdPdEviT7_lllT6_T8_lllPii: ; @_ZL19rocblas_trsv_deviceILi64ELi16ELb0ELb1ELb0ELb0EddPKdPdEviT7_lllT6_T8_lllPii
; %bb.0:
	s_mov_b32 s22, s7
	s_load_dwordx16 s[36:51], s[4:5], 0x8
	s_load_dword s7, s[4:5], 0x0
	s_load_dword s93, s[4:5], 0x6c
	v_mov_b32_e32 v2, v1
	s_mov_b32 s23, 0
	s_waitcnt lgkmcnt(0)
	s_mul_i32 s0, s43, s22
	s_mul_hi_u32 s1, s42, s22
	s_add_i32 s1, s1, s0
	s_mul_i32 s0, s42, s22
	s_lshl_b64 s[0:1], s[0:1], 3
	s_add_u32 s2, s36, s0
	s_addc_u32 s3, s37, s1
	s_lshl_b64 s[0:1], s[38:39], 3
	s_add_u32 s89, s2, s0
	s_addc_u32 s92, s3, s1
	s_cmp_eq_u32 s6, 0
	s_cbranch_scc1 .LBB41_10
; %bb.1:
	s_lshl_b32 s33, s6, 6
	v_add_u32_e32 v1, s33, v0
	v_ashrrev_i32_e32 v3, 31, v1
	v_mul_lo_u32 v5, s40, v3
	v_mul_lo_u32 v6, s41, v1
	v_mad_u64_u32 v[3:4], s[0:1], s40, v1, 0
	v_add_u32_e32 v7, s33, v2
	v_subrev_u32_e32 v11, 64, v7
	v_add3_u32 v4, v4, v5, v6
	v_lshlrev_b64 v[3:4], 3, v[3:4]
	v_ashrrev_i32_e32 v12, 31, v11
	v_cmp_gt_i32_e32 vcc, s7, v1
	v_mov_b32_e32 v1, s92
	v_add_co_u32_e64 v5, s[0:1], s89, v3
	v_addc_co_u32_e64 v1, s[0:1], v1, v4, s[0:1]
	v_lshlrev_b64 v[3:4], 3, v[11:12]
	v_add_co_u32_e64 v12, s[0:1], v5, v3
	v_addc_co_u32_e64 v13, s[0:1], v1, v4, s[0:1]
	v_cmp_gt_i32_e64 s[0:1], s7, v11
	v_mov_b32_e32 v3, 0
	v_mov_b32_e32 v5, 0
	;; [unrolled: 1-line block ×4, first 2 shown]
	s_and_b64 s[2:3], s[0:1], vcc
	s_barrier
	s_and_saveexec_b64 s[0:1], s[2:3]
	s_cbranch_execz .LBB41_3
; %bb.2:
	global_load_dwordx2 v[5:6], v[12:13], off
.LBB41_3:
	s_or_b64 exec, exec, s[0:1]
	v_add_u32_e32 v1, 16, v11
	v_cmp_gt_i32_e64 s[0:1], s7, v1
	s_and_b64 s[2:3], s[0:1], vcc
	s_waitcnt vmcnt(0)
	s_barrier
	s_and_saveexec_b64 s[0:1], s[2:3]
	s_cbranch_execz .LBB41_5
; %bb.4:
	global_load_dwordx2 v[3:4], v[12:13], off offset:128
.LBB41_5:
	s_or_b64 exec, exec, s[0:1]
	v_add_u32_e32 v1, 32, v11
	v_cmp_gt_i32_e64 s[0:1], s7, v1
	v_mov_b32_e32 v7, 0
	v_mov_b32_e32 v9, 0
	;; [unrolled: 1-line block ×4, first 2 shown]
	s_and_b64 s[2:3], s[0:1], vcc
	s_waitcnt vmcnt(0)
	s_barrier
	s_and_saveexec_b64 s[0:1], s[2:3]
	s_cbranch_execz .LBB41_7
; %bb.6:
	global_load_dwordx2 v[9:10], v[12:13], off offset:256
.LBB41_7:
	s_or_b64 exec, exec, s[0:1]
	v_add_u32_e32 v1, 48, v11
	v_cmp_gt_i32_e64 s[0:1], s7, v1
	s_and_b64 s[2:3], s[0:1], vcc
	s_waitcnt vmcnt(0)
	s_barrier
	s_and_saveexec_b64 s[0:1], s[2:3]
	s_cbranch_execz .LBB41_9
; %bb.8:
	global_load_dwordx2 v[7:8], v[12:13], off offset:384
.LBB41_9:
	s_or_b64 exec, exec, s[0:1]
	s_branch .LBB41_11
.LBB41_10:
                                        ; implicit-def: $vgpr7_vgpr8
                                        ; implicit-def: $vgpr9_vgpr10
                                        ; implicit-def: $vgpr3_vgpr4
                                        ; implicit-def: $vgpr5_vgpr6
	s_mov_b32 s33, s23
.LBB41_11:
	s_ashr_i32 s0, s7, 31
	s_lshr_b32 s0, s0, 26
	s_add_i32 s0, s7, s0
	s_andn2_b32 s0, s0, 63
	s_sub_i32 s88, s7, s0
	s_add_i32 s0, s7, -1
	s_ashr_i32 s1, s0, 31
	s_lshr_b32 s1, s1, 26
	s_add_i32 s0, s0, s1
	s_ashr_i32 s0, s0, 6
	s_cmp_eq_u32 s0, s6
	s_cselect_b64 s[0:1], -1, 0
	s_cmp_lg_u32 s88, 0
	s_cselect_b64 s[2:3], -1, 0
	s_and_b64 s[24:25], s[2:3], s[0:1]
	s_cmp_lt_i32 s6, 5
	s_cselect_b64 s[2:3], -1, 0
	s_or_b64 s[0:1], s[2:3], s[24:25]
	s_ashr_i32 s36, s33, 31
	s_add_u32 s10, s40, 1
	v_mov_b32_e32 v1, 0
	v_mov_b32_e32 v11, s33
	v_mad_u64_u32 v[11:12], s[8:9], s10, v11, v[0:1]
	s_addc_u32 s11, s41, 0
	s_mul_i32 s8, s10, s36
	s_mul_i32 s11, s11, s33
	s_add_i32 s8, s8, s11
	s_mov_b64 s[12:13], -1
	v_lshlrev_b32_e32 v17, 6, v0
	v_add_u32_e32 v12, s8, v12
	s_and_b64 vcc, exec, s[24:25]
	v_cmp_le_u32_e64 s[8:9], v2, v0
	s_cbranch_vccnz .LBB41_33
; %bb.12:
	v_mad_u64_u32 v[15:16], s[10:11], s40, v2, v[11:12]
	v_mov_b32_e32 v1, v16
	v_mad_u64_u32 v[13:14], s[10:11], s41, v2, v[1:2]
	s_mov_b64 s[10:11], 0
	v_mov_b32_e32 v16, v13
                                        ; implicit-def: $vgpr13_vgpr14
	s_and_saveexec_b64 s[12:13], s[8:9]
	s_xor_b64 s[8:9], exec, s[12:13]
	s_cbranch_execnz .LBB41_1051
; %bb.13:
	s_andn2_saveexec_b64 s[8:9], s[8:9]
	s_cbranch_execnz .LBB41_1056
.LBB41_14:
	s_or_b64 exec, exec, s[8:9]
	s_and_saveexec_b64 s[8:9], s[10:11]
.LBB41_15:
	v_add_u32_e32 v1, v2, v17
	v_lshl_add_u32 v15, v2, 6, v0
	v_cndmask_b32_e64 v1, v15, v1, s[2:3]
	v_lshlrev_b32_e32 v1, 3, v1
	ds_write_b64 v1, v[13:14]
.LBB41_16:
	s_or_b64 exec, exec, s[8:9]
	v_add_u32_e32 v1, 16, v2
	v_mad_u64_u32 v[15:16], s[2:3], s40, v1, v[11:12]
	v_cmp_le_u32_e32 vcc, v1, v0
	s_mov_b64 s[8:9], 0
	v_mov_b32_e32 v13, v16
	v_mad_u64_u32 v[13:14], s[2:3], s41, v1, v[13:14]
	v_mov_b32_e32 v16, v13
                                        ; implicit-def: $vgpr13_vgpr14
	s_and_saveexec_b64 s[2:3], vcc
	s_xor_b64 s[2:3], exec, s[2:3]
	s_cbranch_execnz .LBB41_1057
; %bb.17:
	s_andn2_saveexec_b64 s[2:3], s[2:3]
	s_cbranch_execnz .LBB41_1062
.LBB41_18:
	s_or_b64 exec, exec, s[2:3]
	s_and_saveexec_b64 s[2:3], s[8:9]
.LBB41_19:
	v_add_u32_e32 v15, v1, v17
	v_lshl_add_u32 v1, v1, 6, v0
	v_cndmask_b32_e64 v1, v1, v15, s[0:1]
	v_lshlrev_b32_e32 v1, 3, v1
	ds_write_b64 v1, v[13:14]
.LBB41_20:
	s_or_b64 exec, exec, s[2:3]
	v_add_u32_e32 v1, 32, v2
	v_mad_u64_u32 v[15:16], s[2:3], s40, v1, v[11:12]
	v_cmp_le_u32_e32 vcc, v1, v0
	s_mov_b64 s[8:9], 0
	v_mov_b32_e32 v13, v16
	v_mad_u64_u32 v[13:14], s[2:3], s41, v1, v[13:14]
	v_mov_b32_e32 v16, v13
                                        ; implicit-def: $vgpr13_vgpr14
	s_and_saveexec_b64 s[2:3], vcc
	s_xor_b64 s[2:3], exec, s[2:3]
	s_cbranch_execnz .LBB41_1063
; %bb.21:
	s_andn2_saveexec_b64 s[2:3], s[2:3]
	s_cbranch_execnz .LBB41_1068
.LBB41_22:
	s_or_b64 exec, exec, s[2:3]
	s_and_saveexec_b64 s[2:3], s[8:9]
.LBB41_23:
	v_add_u32_e32 v15, v1, v17
	v_lshl_add_u32 v1, v1, 6, v0
	v_cndmask_b32_e64 v1, v1, v15, s[0:1]
	v_lshlrev_b32_e32 v1, 3, v1
	ds_write_b64 v1, v[13:14]
.LBB41_24:
	s_or_b64 exec, exec, s[2:3]
	v_add_u32_e32 v1, 48, v2
	v_mad_u64_u32 v[15:16], s[2:3], s40, v1, v[11:12]
	v_cmp_le_u32_e32 vcc, v1, v0
	s_mov_b64 s[10:11], 0
	v_mov_b32_e32 v13, v16
	v_mad_u64_u32 v[13:14], s[2:3], s41, v1, v[13:14]
	v_mov_b32_e32 v16, v13
                                        ; implicit-def: $vgpr13_vgpr14
	s_and_saveexec_b64 s[2:3], vcc
	s_xor_b64 s[2:3], exec, s[2:3]
	s_cbranch_execz .LBB41_30
; %bb.25:
	v_cmp_ne_u32_e32 vcc, v0, v1
	s_mov_b64 s[8:9], 0
	s_and_saveexec_b64 s[10:11], vcc
	s_xor_b64 s[10:11], exec, s[10:11]
; %bb.26:
	v_or_b32_e32 v13, v1, v0
	v_cmp_gt_u32_e32 vcc, 64, v13
	s_and_b64 s[8:9], vcc, exec
                                        ; implicit-def: $vgpr15_vgpr16
; %bb.27:
	s_or_saveexec_b64 s[10:11], s[10:11]
	v_mov_b32_e32 v13, 0
	v_mov_b32_e32 v14, 0
	s_xor_b64 exec, exec, s[10:11]
	s_cbranch_execz .LBB41_29
; %bb.28:
	v_lshlrev_b64 v[13:14], 3, v[15:16]
	v_mov_b32_e32 v15, s92
	v_add_co_u32_e32 v13, vcc, s89, v13
	v_addc_co_u32_e32 v14, vcc, v15, v14, vcc
	global_load_dwordx2 v[13:14], v[13:14], off
	s_or_b64 s[8:9], s[8:9], exec
	s_waitcnt vmcnt(0)
	v_div_scale_f64 v[15:16], s[12:13], v[13:14], v[13:14], 1.0
	v_div_scale_f64 v[22:23], vcc, 1.0, v[13:14], 1.0
	v_rcp_f64_e32 v[18:19], v[15:16]
	v_fma_f64 v[20:21], -v[15:16], v[18:19], 1.0
	v_fma_f64 v[18:19], v[18:19], v[20:21], v[18:19]
	v_fma_f64 v[20:21], -v[15:16], v[18:19], 1.0
	v_fma_f64 v[18:19], v[18:19], v[20:21], v[18:19]
	v_mul_f64 v[20:21], v[22:23], v[18:19]
	v_fma_f64 v[15:16], -v[15:16], v[20:21], v[22:23]
	v_div_fmas_f64 v[15:16], v[15:16], v[18:19], v[20:21]
	v_div_fixup_f64 v[13:14], v[15:16], v[13:14], 1.0
.LBB41_29:
	s_or_b64 exec, exec, s[10:11]
	s_and_b64 s[10:11], s[8:9], exec
                                        ; implicit-def: $vgpr15_vgpr16
.LBB41_30:
	s_or_saveexec_b64 s[2:3], s[2:3]
	v_add_u32_e32 v18, v1, v17
	v_lshl_add_u32 v1, v1, 6, v0
	s_xor_b64 exec, exec, s[2:3]
	s_cbranch_execz .LBB41_32
; %bb.31:
	v_lshlrev_b64 v[13:14], 3, v[15:16]
	v_mov_b32_e32 v15, s92
	v_add_co_u32_e32 v13, vcc, s89, v13
	v_addc_co_u32_e32 v14, vcc, v15, v14, vcc
	global_load_dwordx2 v[13:14], v[13:14], off
	s_or_b64 s[10:11], s[10:11], exec
	s_waitcnt vmcnt(0)
	v_xor_b32_e32 v14, 0x80000000, v14
.LBB41_32:
	s_or_b64 exec, exec, s[2:3]
	v_cndmask_b32_e64 v1, v1, v18, s[0:1]
	s_branch .LBB41_55
.LBB41_33:
	s_mov_b64 s[10:11], 0
                                        ; implicit-def: $vgpr13_vgpr14
                                        ; implicit-def: $vgpr1
	s_and_b64 vcc, exec, s[12:13]
	s_cbranch_vccz .LBB41_55
; %bb.34:
	v_mad_u64_u32 v[13:14], s[2:3], s40, v2, v[11:12]
	v_cmp_le_u32_e32 vcc, v2, v0
	v_cmp_gt_i32_e64 s[2:3], s88, v0
	v_mov_b32_e32 v1, v14
	v_mad_u64_u32 v[14:15], s[8:9], s41, v2, v[1:2]
	v_max_i32_e32 v1, v2, v0
	v_cmp_le_i32_e64 s[8:9], s88, v1
	s_or_b64 s[8:9], s[8:9], vcc
	s_mov_b64 s[12:13], 0
                                        ; implicit-def: $vgpr15_vgpr16
	s_and_saveexec_b64 s[14:15], s[8:9]
	s_xor_b64 s[8:9], exec, s[14:15]
	s_cbranch_execnz .LBB41_1069
; %bb.35:
	s_andn2_saveexec_b64 s[8:9], s[8:9]
	s_cbranch_execnz .LBB41_1074
.LBB41_36:
	s_or_b64 exec, exec, s[8:9]
	s_and_saveexec_b64 s[8:9], s[12:13]
.LBB41_37:
	v_lshlrev_b32_e32 v1, 3, v17
	v_lshl_add_u32 v1, v2, 3, v1
	ds_write_b64 v1, v[15:16]
.LBB41_38:
	s_or_b64 exec, exec, s[8:9]
	v_add_u32_e32 v1, 16, v2
	v_mad_u64_u32 v[13:14], s[8:9], s40, v1, v[11:12]
	v_cmp_gt_u32_e32 vcc, v1, v0
	s_mov_b64 s[12:13], 0
	v_mad_u64_u32 v[14:15], s[8:9], s41, v1, v[14:15]
	v_cmp_gt_i32_e64 s[8:9], s88, v1
	s_and_b64 s[8:9], vcc, s[8:9]
	s_and_b64 s[8:9], s[2:3], s[8:9]
	s_xor_b64 s[8:9], s[8:9], -1
                                        ; implicit-def: $vgpr15_vgpr16
	s_and_saveexec_b64 s[14:15], s[8:9]
	s_xor_b64 s[8:9], exec, s[14:15]
	s_cbranch_execnz .LBB41_1075
; %bb.39:
	s_andn2_saveexec_b64 s[8:9], s[8:9]
	s_cbranch_execnz .LBB41_1080
.LBB41_40:
	s_or_b64 exec, exec, s[8:9]
	s_and_saveexec_b64 s[8:9], s[12:13]
.LBB41_41:
	v_add_u32_e32 v13, v1, v17
	v_lshl_add_u32 v1, v1, 6, v0
	v_cndmask_b32_e64 v1, v1, v13, s[0:1]
	v_lshlrev_b32_e32 v1, 3, v1
	ds_write_b64 v1, v[15:16]
.LBB41_42:
	s_or_b64 exec, exec, s[8:9]
	v_add_u32_e32 v1, 32, v2
	v_mad_u64_u32 v[13:14], s[8:9], s40, v1, v[11:12]
	v_cmp_gt_u32_e32 vcc, v1, v0
	s_mov_b64 s[12:13], 0
	v_mad_u64_u32 v[14:15], s[8:9], s41, v1, v[14:15]
	v_cmp_gt_i32_e64 s[8:9], s88, v1
	s_and_b64 s[8:9], vcc, s[8:9]
	s_and_b64 s[8:9], s[2:3], s[8:9]
	s_xor_b64 s[8:9], s[8:9], -1
                                        ; implicit-def: $vgpr15_vgpr16
	s_and_saveexec_b64 s[14:15], s[8:9]
	s_xor_b64 s[8:9], exec, s[14:15]
	s_cbranch_execnz .LBB41_1081
; %bb.43:
	s_andn2_saveexec_b64 s[8:9], s[8:9]
	s_cbranch_execnz .LBB41_1086
.LBB41_44:
	s_or_b64 exec, exec, s[8:9]
	s_and_saveexec_b64 s[8:9], s[12:13]
.LBB41_45:
	v_add_u32_e32 v13, v1, v17
	v_lshl_add_u32 v1, v1, 6, v0
	v_cndmask_b32_e64 v1, v1, v13, s[0:1]
	v_lshlrev_b32_e32 v1, 3, v1
	ds_write_b64 v1, v[15:16]
.LBB41_46:
	s_or_b64 exec, exec, s[8:9]
	v_add_u32_e32 v1, 48, v2
	v_mad_u64_u32 v[11:12], s[8:9], s40, v1, v[11:12]
	v_cmp_gt_u32_e32 vcc, v1, v0
	v_mad_u64_u32 v[12:13], s[8:9], s41, v1, v[12:13]
	v_cmp_gt_i32_e64 s[8:9], s88, v1
	s_and_b64 s[8:9], vcc, s[8:9]
	s_and_b64 s[8:9], s[2:3], s[8:9]
	s_xor_b64 s[8:9], s[8:9], -1
                                        ; implicit-def: $vgpr13_vgpr14
	s_and_saveexec_b64 s[12:13], s[8:9]
	s_xor_b64 s[8:9], exec, s[12:13]
	s_cbranch_execz .LBB41_52
; %bb.47:
	v_cmp_ne_u32_e32 vcc, v0, v1
	s_xor_b64 s[2:3], s[2:3], -1
	s_or_b64 s[12:13], s[2:3], vcc
	s_mov_b64 s[2:3], s[10:11]
	s_and_saveexec_b64 s[14:15], s[12:13]
	s_xor_b64 s[12:13], exec, s[14:15]
; %bb.48:
	v_or_b32_e32 v11, v1, v0
	v_cmp_gt_u32_e32 vcc, 64, v11
	s_andn2_b64 s[2:3], s[10:11], exec
	s_and_b64 s[14:15], vcc, exec
	s_or_b64 s[2:3], s[2:3], s[14:15]
                                        ; implicit-def: $vgpr11_vgpr12
; %bb.49:
	s_or_saveexec_b64 s[12:13], s[12:13]
	v_mov_b32_e32 v13, 0
	v_mov_b32_e32 v14, 0
	s_xor_b64 exec, exec, s[12:13]
	s_cbranch_execz .LBB41_51
; %bb.50:
	v_lshlrev_b64 v[11:12], 3, v[11:12]
	v_mov_b32_e32 v13, s92
	v_add_co_u32_e32 v11, vcc, s89, v11
	v_addc_co_u32_e32 v12, vcc, v13, v12, vcc
	global_load_dwordx2 v[11:12], v[11:12], off
	s_or_b64 s[2:3], s[2:3], exec
	s_waitcnt vmcnt(0)
	v_div_scale_f64 v[13:14], s[14:15], v[11:12], v[11:12], 1.0
	v_div_scale_f64 v[20:21], vcc, 1.0, v[11:12], 1.0
	v_rcp_f64_e32 v[15:16], v[13:14]
	v_fma_f64 v[18:19], -v[13:14], v[15:16], 1.0
	v_fma_f64 v[15:16], v[15:16], v[18:19], v[15:16]
	v_fma_f64 v[18:19], -v[13:14], v[15:16], 1.0
	v_fma_f64 v[15:16], v[15:16], v[18:19], v[15:16]
	v_mul_f64 v[18:19], v[20:21], v[15:16]
	v_fma_f64 v[13:14], -v[13:14], v[18:19], v[20:21]
	v_div_fmas_f64 v[13:14], v[13:14], v[15:16], v[18:19]
	v_div_fixup_f64 v[13:14], v[13:14], v[11:12], 1.0
.LBB41_51:
	s_or_b64 exec, exec, s[12:13]
	s_andn2_b64 s[10:11], s[10:11], exec
	s_and_b64 s[2:3], s[2:3], exec
	s_or_b64 s[10:11], s[10:11], s[2:3]
                                        ; implicit-def: $vgpr11_vgpr12
.LBB41_52:
	s_or_saveexec_b64 s[2:3], s[8:9]
	v_add_u32_e32 v15, v1, v17
	v_lshl_add_u32 v1, v1, 6, v0
	s_xor_b64 exec, exec, s[2:3]
	s_cbranch_execz .LBB41_54
; %bb.53:
	v_lshlrev_b64 v[11:12], 3, v[11:12]
	v_mov_b32_e32 v13, s92
	v_add_co_u32_e32 v11, vcc, s89, v11
	v_addc_co_u32_e32 v12, vcc, v13, v12, vcc
	global_load_dwordx2 v[13:14], v[11:12], off
	s_or_b64 s[10:11], s[10:11], exec
	s_waitcnt vmcnt(0)
	v_xor_b32_e32 v14, 0x80000000, v14
.LBB41_54:
	s_or_b64 exec, exec, s[2:3]
	v_cndmask_b32_e64 v1, v1, v15, s[0:1]
.LBB41_55:
	s_xor_b64 s[0:1], s[0:1], -1
	s_and_saveexec_b64 s[2:3], s[10:11]
; %bb.56:
	v_lshlrev_b32_e32 v1, 3, v1
	ds_write_b64 v1, v[13:14]
; %bb.57:
	s_or_b64 exec, exec, s[2:3]
	v_cndmask_b32_e64 v1, 0, 1, s[0:1]
	v_cmp_ne_u32_e64 s[58:59], 1, v1
	s_andn2_b64 vcc, exec, s[0:1]
	s_waitcnt vmcnt(0) lgkmcnt(0)
	s_barrier
	s_cbranch_vccnz .LBB41_987
; %bb.58:
	v_or_b32_e32 v1, v0, v2
	v_cmp_eq_u32_e32 vcc, 0, v1
	s_and_saveexec_b64 s[0:1], vcc
	s_cbranch_execz .LBB41_60
; %bb.59:
	v_mov_b32_e32 v1, 0
	ds_read_b128 v[11:14], v1 offset:32752
	ds_read_b64 v[15:16], v1 offset:32240
	s_movk_i32 s2, 0x7800
	v_add_u32_e64 v1, s2, 0
	s_waitcnt lgkmcnt(0)
	v_mul_f64 v[13:14], v[15:16], v[13:14]
	v_mul_f64 v[11:12], v[11:12], v[13:14]
	ds_write2_b64 v1, v[11:12], v[11:12] offset0:191 offset1:254
.LBB41_60:
	s_or_b64 exec, exec, s[0:1]
	v_lshlrev_b32_e32 v11, 6, v2
	v_add_u32_e32 v15, v11, v0
	v_and_b32_e32 v12, v11, v0
	v_xor_b32_e32 v11, v11, v0
	v_lshrrev_b16_e32 v11, 1, v11
	v_add_u16_e32 v14, v12, v11
	v_mov_b32_e32 v11, 0
	v_and_b32_e32 v1, 1, v0
	v_sub_u32_e32 v13, 1, v14
	v_cmp_lt_u32_e64 s[8:9], 3, v15
	v_mov_b32_e32 v12, 0
	v_cmp_gt_u32_e64 s[2:3], 4, v15
	s_waitcnt lgkmcnt(0)
	s_barrier
	buffer_wbinvl1_vol
	s_and_saveexec_b64 s[0:1], s[2:3]
	s_cbranch_execz .LBB41_64
; %bb.61:
	v_lshlrev_b32_e32 v16, 9, v13
	v_lshlrev_b32_e32 v11, 3, v1
	ds_read_b64 v[11:12], v11 offset:32224
	ds_read_b64 v[16:17], v16 offset:32240
	v_cmp_gt_u32_e64 s[10:11], 2, v15
	s_waitcnt lgkmcnt(0)
	v_fma_f64 v[11:12], v[11:12], v[16:17], 0
	s_and_saveexec_b64 s[12:13], s[10:11]
	s_cbranch_execz .LBB41_63
; %bb.62:
	v_lshlrev_b32_e32 v16, 3, v0
	v_mov_b32_e32 v18, 0
	ds_read_b64 v[16:17], v16 offset:32736
	ds_read_b64 v[18:19], v18 offset:32760
	s_waitcnt lgkmcnt(0)
	v_fma_f64 v[11:12], v[16:17], v[18:19], v[11:12]
.LBB41_63:
	s_or_b64 exec, exec, s[12:13]
.LBB41_64:
	s_or_b64 exec, exec, s[0:1]
	v_mov_b32_e32 v16, 0x8000
	v_cmp_ne_u32_e64 s[10:11], 0, v1
	s_xor_b64 s[0:1], s[8:9], -1
	v_lshl_add_u32 v14, v14, 3, v16
	s_and_b64 s[28:29], s[10:11], s[0:1]
	s_and_saveexec_b64 s[8:9], s[28:29]
	s_cbranch_execz .LBB41_66
; %bb.65:
	v_mov_b32_e32 v16, 0
	ds_read_b64 v[16:17], v16 offset:31720
	s_waitcnt lgkmcnt(0)
	v_mul_f64 v[11:12], v[11:12], v[16:17]
	v_xor_b32_e32 v17, 0x80000000, v12
	v_mov_b32_e32 v16, v11
	ds_write_b64 v14, v[16:17]
.LBB41_66:
	s_or_b64 exec, exec, s[8:9]
	v_cmp_eq_u32_e64 s[8:9], 0, v1
	s_and_b64 s[26:27], s[8:9], s[0:1]
	s_waitcnt lgkmcnt(0)
	s_barrier
	s_and_saveexec_b64 s[0:1], s[26:27]
	s_cbranch_execz .LBB41_68
; %bb.67:
	v_mov_b32_e32 v16, 0
	ds_read_b64 v[16:17], v16 offset:31712
	ds_read_b64 v[18:19], v14
	s_waitcnt lgkmcnt(0)
	v_fma_f64 v[11:12], -v[16:17], v[18:19], v[11:12]
.LBB41_68:
	s_or_b64 exec, exec, s[0:1]
	s_barrier
	s_and_saveexec_b64 s[0:1], s[26:27]
	s_cbranch_execz .LBB41_70
; %bb.69:
	v_mov_b32_e32 v16, 0
	ds_read_b64 v[16:17], v16 offset:31200
	s_waitcnt lgkmcnt(0)
	v_mul_f64 v[11:12], v[11:12], v[16:17]
	v_xor_b32_e32 v17, 0x80000000, v12
	v_mov_b32_e32 v16, v11
	ds_write_b64 v14, v[16:17]
.LBB41_70:
	s_or_b64 exec, exec, s[0:1]
	s_waitcnt lgkmcnt(0)
	s_barrier
	s_barrier
	s_and_saveexec_b64 s[0:1], s[2:3]
; %bb.71:
	v_lshlrev_b32_e32 v16, 3, v1
	v_lshl_or_b32 v16, v13, 9, v16
	ds_write_b64 v16, v[11:12] offset:32224
; %bb.72:
	s_or_b64 exec, exec, s[0:1]
	v_cmp_eq_u32_e64 s[12:13], 0, v2
	v_cmp_gt_u32_e64 s[8:9], 2, v0
	s_and_b64 s[30:31], s[12:13], s[8:9]
	s_waitcnt lgkmcnt(0)
	s_barrier
	s_barrier
	s_and_saveexec_b64 s[0:1], s[30:31]
	s_cbranch_execz .LBB41_74
; %bb.73:
	v_lshlrev_b32_e32 v16, 3, v0
	s_movk_i32 s8, 0x1f8
	v_mad_u32_u24 v17, v0, s8, v16
	ds_read_b64 v[11:12], v17 offset:32224
	s_waitcnt lgkmcnt(0)
	ds_write_b64 v16, v[11:12] offset:31216
	ds_read_b64 v[11:12], v17 offset:32232
	s_waitcnt lgkmcnt(0)
	ds_write_b64 v16, v[11:12] offset:31728
.LBB41_74:
	s_or_b64 exec, exec, s[0:1]
	s_waitcnt lgkmcnt(0)
	s_barrier
	s_and_saveexec_b64 s[0:1], vcc
	s_cbranch_execz .LBB41_76
; %bb.75:
	v_mov_b32_e32 v11, 0
	ds_read_b128 v[16:19], v11 offset:31712
	ds_read_b64 v[11:12], v11 offset:31200
	s_movk_i32 s8, 0x7800
	s_waitcnt lgkmcnt(0)
	v_mul_f64 v[11:12], v[11:12], v[18:19]
	v_mul_f64 v[11:12], v[16:17], v[11:12]
	v_add_u32_e64 v16, s8, 0
	ds_write2_b64 v16, v[11:12], v[11:12] offset0:61 offset1:124
.LBB41_76:
	s_or_b64 exec, exec, s[0:1]
	v_lshrrev_b32_e32 v18, 2, v15
	v_mov_b32_e32 v11, 0
	v_and_b32_e32 v16, 3, v0
	v_sub_u32_e32 v17, 3, v18
	v_cmp_lt_u32_e64 s[8:9], 15, v15
	v_mov_b32_e32 v12, 0
	v_cmp_gt_u32_e64 s[18:19], 16, v15
	s_waitcnt lgkmcnt(0)
	s_barrier
	buffer_wbinvl1_vol
	s_and_saveexec_b64 s[0:1], s[18:19]
	s_cbranch_execz .LBB41_82
; %bb.77:
	v_lshlrev_b32_e32 v20, 3, v16
	v_lshlrev_b32_e32 v19, 9, v17
	ds_read_b64 v[11:12], v20 offset:31168
	ds_read_b64 v[21:22], v19 offset:31200
	v_cmp_gt_u32_e64 s[10:11], 12, v15
	s_waitcnt lgkmcnt(0)
	v_fma_f64 v[11:12], v[11:12], v[21:22], 0
	s_and_saveexec_b64 s[14:15], s[10:11]
	s_cbranch_execnz .LBB41_1098
; %bb.78:
	s_or_b64 exec, exec, s[14:15]
	v_cmp_gt_u32_e64 s[10:11], 8, v15
	s_and_saveexec_b64 s[14:15], s[10:11]
	s_cbranch_execnz .LBB41_1099
.LBB41_79:
	s_or_b64 exec, exec, s[14:15]
	v_cmp_gt_u32_e64 s[10:11], 4, v15
	s_and_saveexec_b64 s[14:15], s[10:11]
	s_cbranch_execz .LBB41_81
.LBB41_80:
	v_lshlrev_b32_e32 v19, 3, v0
	v_mov_b32_e32 v21, 0
	ds_read_b64 v[19:20], v19 offset:32704
	ds_read_b64 v[21:22], v21 offset:32760
	s_waitcnt lgkmcnt(0)
	v_fma_f64 v[11:12], v[19:20], v[21:22], v[11:12]
.LBB41_81:
	s_or_b64 exec, exec, s[14:15]
.LBB41_82:
                                        ; implicit-def: $vgpr36 : SGPR spill to VGPR lane
	v_writelane_b32 v36, s36, 0
	s_or_b64 exec, exec, s[0:1]
	v_mov_b32_e32 v19, 0x8000
	v_cmp_eq_u32_e64 s[10:11], 3, v16
	s_xor_b64 s[0:1], s[8:9], -1
	v_lshl_add_u32 v18, v18, 3, v19
	s_and_b64 s[36:37], s[10:11], s[0:1]
	s_and_saveexec_b64 s[8:9], s[36:37]
	s_cbranch_execz .LBB41_84
; %bb.83:
	v_mov_b32_e32 v19, 0
	ds_read_b64 v[19:20], v19 offset:30680
	s_waitcnt lgkmcnt(0)
	v_mul_f64 v[11:12], v[11:12], v[19:20]
	v_xor_b32_e32 v20, 0x80000000, v12
	v_mov_b32_e32 v19, v11
	ds_write_b64 v18, v[19:20]
.LBB41_84:
	s_or_b64 exec, exec, s[8:9]
	v_cmp_ne_u32_e64 s[8:9], 3, v16
	s_and_b64 s[38:39], s[8:9], s[0:1]
	s_waitcnt lgkmcnt(0)
	s_barrier
	s_and_saveexec_b64 s[8:9], s[38:39]
	s_cbranch_execz .LBB41_86
; %bb.85:
	v_lshlrev_b32_e32 v19, 3, v16
	ds_read_b64 v[19:20], v19 offset:30656
	ds_read_b64 v[21:22], v18
	s_waitcnt lgkmcnt(0)
	v_fma_f64 v[11:12], -v[19:20], v[21:22], v[11:12]
.LBB41_86:
	s_or_b64 exec, exec, s[8:9]
	v_cmp_eq_u32_e64 s[8:9], 2, v16
	s_and_b64 s[42:43], s[8:9], s[0:1]
	s_barrier
	s_and_saveexec_b64 s[8:9], s[42:43]
	s_cbranch_execz .LBB41_88
; %bb.87:
	v_mov_b32_e32 v19, 0
	ds_read_b64 v[19:20], v19 offset:30160
	s_waitcnt lgkmcnt(0)
	v_mul_f64 v[11:12], v[11:12], v[19:20]
	v_xor_b32_e32 v20, 0x80000000, v12
	v_mov_b32_e32 v19, v11
	ds_write_b64 v18, v[19:20]
.LBB41_88:
	s_or_b64 exec, exec, s[8:9]
	v_cmp_gt_u32_e64 s[8:9], 2, v16
	s_and_b64 s[52:53], s[8:9], s[0:1]
	s_waitcnt lgkmcnt(0)
	s_barrier
	s_and_saveexec_b64 s[8:9], s[52:53]
	s_cbranch_execz .LBB41_90
; %bb.89:
	v_lshlrev_b32_e32 v19, 3, v16
	ds_read_b64 v[19:20], v19 offset:30144
	ds_read_b64 v[21:22], v18
	s_waitcnt lgkmcnt(0)
	v_fma_f64 v[11:12], -v[19:20], v[21:22], v[11:12]
.LBB41_90:
	s_or_b64 exec, exec, s[8:9]
	v_cmp_eq_u32_e64 s[8:9], 1, v16
	s_and_b64 s[54:55], s[8:9], s[0:1]
	s_barrier
	s_and_saveexec_b64 s[8:9], s[54:55]
	s_cbranch_execz .LBB41_92
; %bb.91:
	v_mov_b32_e32 v19, 0
	ds_read_b64 v[19:20], v19 offset:29640
	s_waitcnt lgkmcnt(0)
	v_mul_f64 v[11:12], v[11:12], v[19:20]
	v_xor_b32_e32 v20, 0x80000000, v12
	v_mov_b32_e32 v19, v11
	ds_write_b64 v18, v[19:20]
.LBB41_92:
	s_or_b64 exec, exec, s[8:9]
	v_cmp_eq_u32_e64 s[8:9], 0, v16
	s_and_b64 s[34:35], s[8:9], s[0:1]
	s_waitcnt lgkmcnt(0)
	s_barrier
	s_and_saveexec_b64 s[0:1], s[34:35]
	s_cbranch_execz .LBB41_94
; %bb.93:
	v_mov_b32_e32 v19, 0
	ds_read_b64 v[19:20], v19 offset:29632
	ds_read_b64 v[21:22], v18
	s_waitcnt lgkmcnt(0)
	v_fma_f64 v[11:12], -v[19:20], v[21:22], v[11:12]
.LBB41_94:
	s_or_b64 exec, exec, s[0:1]
	s_barrier
	s_and_saveexec_b64 s[0:1], s[34:35]
	s_cbranch_execz .LBB41_96
; %bb.95:
	v_mov_b32_e32 v19, 0
	ds_read_b64 v[19:20], v19 offset:29120
	s_waitcnt lgkmcnt(0)
	v_mul_f64 v[11:12], v[11:12], v[19:20]
	v_xor_b32_e32 v20, 0x80000000, v12
	v_mov_b32_e32 v19, v11
	ds_write_b64 v18, v[19:20]
.LBB41_96:
	s_or_b64 exec, exec, s[0:1]
	s_waitcnt lgkmcnt(0)
	s_barrier
	s_barrier
	s_and_saveexec_b64 s[0:1], s[18:19]
; %bb.97:
	v_lshlrev_b32_e32 v19, 3, v16
	v_lshl_or_b32 v19, v17, 9, v19
	ds_write_b64 v19, v[11:12] offset:31168
; %bb.98:
	s_or_b64 exec, exec, s[0:1]
	v_cmp_gt_u32_e64 s[8:9], 4, v0
	s_and_b64 s[56:57], s[12:13], s[8:9]
	s_waitcnt lgkmcnt(0)
	s_barrier
	s_barrier
	s_and_saveexec_b64 s[0:1], s[56:57]
	s_cbranch_execz .LBB41_100
; %bb.99:
	v_lshlrev_b32_e32 v19, 9, v0
	ds_read_b64 v[11:12], v19 offset:31168
	s_movk_i32 s8, 0xfe08
	v_mad_i32_i24 v20, v0, s8, v19
	s_waitcnt lgkmcnt(0)
	ds_write_b64 v20, v[11:12] offset:29152
	ds_read_b64 v[11:12], v19 offset:31176
	s_waitcnt lgkmcnt(0)
	ds_write_b64 v20, v[11:12] offset:29664
	ds_read_b64 v[11:12], v19 offset:31184
	s_waitcnt lgkmcnt(0)
	ds_write_b64 v20, v[11:12] offset:30176
	ds_read_b64 v[11:12], v19 offset:31192
	s_waitcnt lgkmcnt(0)
	ds_write_b64 v20, v[11:12] offset:30688
.LBB41_100:
	s_or_b64 exec, exec, s[0:1]
	s_waitcnt lgkmcnt(0)
	s_barrier
	s_and_saveexec_b64 s[0:1], vcc
	s_cbranch_execz .LBB41_102
; %bb.101:
	v_mov_b32_e32 v11, 0
	ds_read_b128 v[19:22], v11 offset:30672
	ds_read_b64 v[11:12], v11 offset:30160
	s_movk_i32 s8, 0x7000
	s_waitcnt lgkmcnt(0)
	v_mul_f64 v[11:12], v[11:12], v[21:22]
	v_mul_f64 v[11:12], v[19:20], v[11:12]
	v_add_u32_e64 v19, s8, 0
	ds_write2_b64 v19, v[11:12], v[11:12] offset0:187 offset1:250
.LBB41_102:
	s_or_b64 exec, exec, s[0:1]
	v_mov_b32_e32 v11, 0
	v_mov_b32_e32 v12, 0
	s_waitcnt lgkmcnt(0)
	s_barrier
	buffer_wbinvl1_vol
	s_and_saveexec_b64 s[0:1], s[2:3]
	s_cbranch_execz .LBB41_106
; %bb.103:
	v_lshlrev_b32_e32 v19, 9, v13
	v_lshlrev_b32_e32 v11, 3, v1
	ds_read_b64 v[11:12], v11 offset:30144
	ds_read_b64 v[19:20], v19 offset:30160
	v_cmp_gt_u32_e64 s[8:9], 2, v15
	s_waitcnt lgkmcnt(0)
	v_fma_f64 v[11:12], v[11:12], v[19:20], 0
	s_and_saveexec_b64 s[10:11], s[8:9]
	s_cbranch_execz .LBB41_105
; %bb.104:
	v_lshlrev_b32_e32 v19, 3, v0
	v_mov_b32_e32 v21, 0
	ds_read_b64 v[19:20], v19 offset:30656
	ds_read_b64 v[21:22], v21 offset:30680
	s_waitcnt lgkmcnt(0)
	v_fma_f64 v[11:12], v[19:20], v[21:22], v[11:12]
.LBB41_105:
	s_or_b64 exec, exec, s[10:11]
.LBB41_106:
	s_or_b64 exec, exec, s[0:1]
	s_and_saveexec_b64 s[0:1], s[28:29]
	s_cbranch_execz .LBB41_108
; %bb.107:
	v_mov_b32_e32 v19, 0
	ds_read_b64 v[19:20], v19 offset:29640
	s_waitcnt lgkmcnt(0)
	v_mul_f64 v[11:12], v[11:12], v[19:20]
	v_xor_b32_e32 v20, 0x80000000, v12
	v_mov_b32_e32 v19, v11
	ds_write_b64 v14, v[19:20]
.LBB41_108:
	s_or_b64 exec, exec, s[0:1]
	s_waitcnt lgkmcnt(0)
	s_barrier
	s_and_saveexec_b64 s[0:1], s[26:27]
	s_cbranch_execz .LBB41_110
; %bb.109:
	v_mov_b32_e32 v19, 0
	ds_read_b64 v[19:20], v19 offset:29632
	ds_read_b64 v[21:22], v14
	s_waitcnt lgkmcnt(0)
	v_fma_f64 v[11:12], -v[19:20], v[21:22], v[11:12]
.LBB41_110:
	s_or_b64 exec, exec, s[0:1]
	s_barrier
	s_and_saveexec_b64 s[0:1], s[26:27]
	s_cbranch_execz .LBB41_112
; %bb.111:
	v_mov_b32_e32 v19, 0
	ds_read_b64 v[19:20], v19 offset:29120
	s_waitcnt lgkmcnt(0)
	v_mul_f64 v[11:12], v[11:12], v[19:20]
	v_xor_b32_e32 v20, 0x80000000, v12
	v_mov_b32_e32 v19, v11
	ds_write_b64 v14, v[19:20]
.LBB41_112:
	s_or_b64 exec, exec, s[0:1]
	s_waitcnt lgkmcnt(0)
	s_barrier
	s_barrier
	s_and_saveexec_b64 s[0:1], s[2:3]
; %bb.113:
	v_lshlrev_b32_e32 v19, 3, v1
	v_lshl_or_b32 v19, v13, 9, v19
	ds_write_b64 v19, v[11:12] offset:30144
; %bb.114:
	s_or_b64 exec, exec, s[0:1]
	s_waitcnt lgkmcnt(0)
	s_barrier
	s_barrier
	s_and_saveexec_b64 s[0:1], s[30:31]
	s_cbranch_execz .LBB41_116
; %bb.115:
	v_lshlrev_b32_e32 v19, 3, v0
	s_movk_i32 s8, 0x1f8
	v_mad_u32_u24 v20, v0, s8, v19
	ds_read_b64 v[11:12], v20 offset:30144
	s_waitcnt lgkmcnt(0)
	ds_write_b64 v19, v[11:12] offset:29136
	ds_read_b64 v[11:12], v20 offset:30152
	s_waitcnt lgkmcnt(0)
	ds_write_b64 v19, v[11:12] offset:29648
.LBB41_116:
	s_or_b64 exec, exec, s[0:1]
	s_waitcnt lgkmcnt(0)
	s_barrier
	s_and_saveexec_b64 s[0:1], vcc
	s_cbranch_execz .LBB41_118
; %bb.117:
	v_mov_b32_e32 v11, 0
	ds_read_b128 v[19:22], v11 offset:29632
	ds_read_b64 v[11:12], v11 offset:29120
	s_movk_i32 s8, 0x7000
	s_waitcnt lgkmcnt(0)
	v_mul_f64 v[11:12], v[11:12], v[21:22]
	v_mul_f64 v[11:12], v[19:20], v[11:12]
	v_add_u32_e64 v19, s8, 0
	ds_write2_b64 v19, v[11:12], v[11:12] offset0:57 offset1:120
.LBB41_118:
	s_or_b64 exec, exec, s[0:1]
	v_lshrrev_b32_e32 v21, 3, v15
	v_mov_b32_e32 v11, 0
	v_and_b32_e32 v19, 7, v0
	v_sub_u32_e32 v20, 7, v21
	v_cmp_lt_u32_e64 s[10:11], 63, v15
	v_mov_b32_e32 v12, 0
	v_cmp_gt_u32_e64 s[8:9], 64, v15
	s_waitcnt lgkmcnt(0)
	s_barrier
	buffer_wbinvl1_vol
	s_and_saveexec_b64 s[0:1], s[8:9]
	s_cbranch_execz .LBB41_128
; %bb.119:
	v_lshlrev_b32_e32 v23, 3, v19
	v_lshlrev_b32_e32 v22, 9, v20
	ds_read_b64 v[11:12], v23 offset:29056
	ds_read_b64 v[24:25], v22 offset:29120
	v_cmp_gt_u32_e64 s[14:15], 56, v15
	s_waitcnt lgkmcnt(0)
	v_fma_f64 v[11:12], v[11:12], v[24:25], 0
	s_and_saveexec_b64 s[16:17], s[14:15]
	s_cbranch_execnz .LBB41_1100
; %bb.120:
	s_or_b64 exec, exec, s[16:17]
	v_cmp_gt_u32_e64 s[14:15], 48, v15
	s_and_saveexec_b64 s[16:17], s[14:15]
	s_cbranch_execnz .LBB41_1101
.LBB41_121:
	s_or_b64 exec, exec, s[16:17]
	v_cmp_gt_u32_e64 s[14:15], 40, v15
	s_and_saveexec_b64 s[16:17], s[14:15]
	s_cbranch_execnz .LBB41_1102
.LBB41_122:
	s_or_b64 exec, exec, s[16:17]
	v_cmp_gt_u32_e64 s[14:15], 32, v15
	s_and_saveexec_b64 s[16:17], s[14:15]
	s_cbranch_execnz .LBB41_1103
.LBB41_123:
	s_or_b64 exec, exec, s[16:17]
	v_cmp_gt_u32_e64 s[14:15], 24, v15
	s_and_saveexec_b64 s[16:17], s[14:15]
	s_cbranch_execnz .LBB41_1104
.LBB41_124:
	s_or_b64 exec, exec, s[16:17]
	s_and_saveexec_b64 s[14:15], s[18:19]
	s_cbranch_execnz .LBB41_1105
.LBB41_125:
	s_or_b64 exec, exec, s[14:15]
	v_cmp_gt_u32_e64 s[14:15], 8, v15
	s_and_saveexec_b64 s[16:17], s[14:15]
	s_cbranch_execz .LBB41_127
.LBB41_126:
	v_lshlrev_b32_e32 v22, 3, v0
	v_mov_b32_e32 v24, 0
	ds_read_b64 v[22:23], v22 offset:32640
	ds_read_b64 v[24:25], v24 offset:32760
	s_waitcnt lgkmcnt(0)
	v_fma_f64 v[11:12], v[22:23], v[24:25], v[11:12]
.LBB41_127:
	s_or_b64 exec, exec, s[16:17]
.LBB41_128:
	v_writelane_b32 v36, s58, 1
	v_writelane_b32 v36, s59, 2
	s_or_b64 exec, exec, s[0:1]
	v_mov_b32_e32 v22, 0x8000
	v_cmp_eq_u32_e64 s[14:15], 7, v19
	s_xor_b64 s[0:1], s[10:11], -1
	v_lshl_add_u32 v21, v21, 3, v22
	s_and_b64 s[58:59], s[14:15], s[0:1]
	s_and_saveexec_b64 s[10:11], s[58:59]
	s_cbranch_execz .LBB41_130
; %bb.129:
	v_mov_b32_e32 v22, 0
	ds_read_b64 v[22:23], v22 offset:28600
	s_waitcnt lgkmcnt(0)
	v_mul_f64 v[11:12], v[11:12], v[22:23]
	v_xor_b32_e32 v23, 0x80000000, v12
	v_mov_b32_e32 v22, v11
	ds_write_b64 v21, v[22:23]
.LBB41_130:
	s_or_b64 exec, exec, s[10:11]
	v_cmp_ne_u32_e64 s[10:11], 7, v19
	s_and_b64 s[60:61], s[10:11], s[0:1]
	s_waitcnt lgkmcnt(0)
	s_barrier
	s_and_saveexec_b64 s[10:11], s[60:61]
	s_cbranch_execz .LBB41_132
; %bb.131:
	v_lshlrev_b32_e32 v22, 3, v19
	ds_read_b64 v[22:23], v22 offset:28544
	ds_read_b64 v[24:25], v21
	s_waitcnt lgkmcnt(0)
	v_fma_f64 v[11:12], -v[22:23], v[24:25], v[11:12]
.LBB41_132:
	s_or_b64 exec, exec, s[10:11]
	v_cmp_eq_u32_e64 s[10:11], 6, v19
	s_and_b64 s[62:63], s[10:11], s[0:1]
	s_barrier
	s_and_saveexec_b64 s[10:11], s[62:63]
	s_cbranch_execz .LBB41_134
; %bb.133:
	v_mov_b32_e32 v22, 0
	ds_read_b64 v[22:23], v22 offset:28080
	s_waitcnt lgkmcnt(0)
	v_mul_f64 v[11:12], v[11:12], v[22:23]
	v_xor_b32_e32 v23, 0x80000000, v12
	v_mov_b32_e32 v22, v11
	ds_write_b64 v21, v[22:23]
.LBB41_134:
	s_or_b64 exec, exec, s[10:11]
	v_cmp_gt_u32_e64 s[10:11], 6, v19
	s_and_b64 s[64:65], s[10:11], s[0:1]
	s_waitcnt lgkmcnt(0)
	s_barrier
	s_and_saveexec_b64 s[10:11], s[64:65]
	s_cbranch_execz .LBB41_136
; %bb.135:
	v_lshlrev_b32_e32 v22, 3, v19
	ds_read_b64 v[22:23], v22 offset:28032
	ds_read_b64 v[24:25], v21
	s_waitcnt lgkmcnt(0)
	v_fma_f64 v[11:12], -v[22:23], v[24:25], v[11:12]
.LBB41_136:
	s_or_b64 exec, exec, s[10:11]
	v_cmp_eq_u32_e64 s[10:11], 5, v19
	s_and_b64 s[66:67], s[10:11], s[0:1]
	s_barrier
	s_and_saveexec_b64 s[10:11], s[66:67]
	s_cbranch_execz .LBB41_138
; %bb.137:
	v_mov_b32_e32 v22, 0
	ds_read_b64 v[22:23], v22 offset:27560
	s_waitcnt lgkmcnt(0)
	v_mul_f64 v[11:12], v[11:12], v[22:23]
	v_xor_b32_e32 v23, 0x80000000, v12
	v_mov_b32_e32 v22, v11
	ds_write_b64 v21, v[22:23]
.LBB41_138:
	s_or_b64 exec, exec, s[10:11]
	v_cmp_gt_u32_e64 s[10:11], 5, v19
	;; [unrolled: 29-line block ×5, first 2 shown]
	s_and_b64 s[82:83], s[10:11], s[0:1]
	s_waitcnt lgkmcnt(0)
	s_barrier
	s_and_saveexec_b64 s[10:11], s[82:83]
	s_cbranch_execz .LBB41_152
; %bb.151:
	v_lshlrev_b32_e32 v22, 3, v19
	ds_read_b64 v[22:23], v22 offset:25984
	ds_read_b64 v[24:25], v21
	s_waitcnt lgkmcnt(0)
	v_fma_f64 v[11:12], -v[22:23], v[24:25], v[11:12]
.LBB41_152:
	s_or_b64 exec, exec, s[10:11]
	v_cmp_eq_u32_e64 s[10:11], 1, v19
	s_and_b64 s[84:85], s[10:11], s[0:1]
	s_barrier
	s_and_saveexec_b64 s[10:11], s[84:85]
	s_cbranch_execz .LBB41_154
; %bb.153:
	v_mov_b32_e32 v22, 0
	ds_read_b64 v[22:23], v22 offset:25480
	s_waitcnt lgkmcnt(0)
	v_mul_f64 v[11:12], v[11:12], v[22:23]
	v_xor_b32_e32 v23, 0x80000000, v12
	v_mov_b32_e32 v22, v11
	ds_write_b64 v21, v[22:23]
.LBB41_154:
	s_or_b64 exec, exec, s[10:11]
	v_cmp_eq_u32_e64 s[10:11], 0, v19
	s_and_b64 s[68:69], s[10:11], s[0:1]
	s_waitcnt lgkmcnt(0)
	s_barrier
	s_and_saveexec_b64 s[0:1], s[68:69]
	s_cbranch_execz .LBB41_156
; %bb.155:
	v_mov_b32_e32 v22, 0
	ds_read_b64 v[22:23], v22 offset:25472
	ds_read_b64 v[24:25], v21
	s_waitcnt lgkmcnt(0)
	v_fma_f64 v[11:12], -v[22:23], v[24:25], v[11:12]
.LBB41_156:
	s_or_b64 exec, exec, s[0:1]
	s_barrier
	s_and_saveexec_b64 s[0:1], s[68:69]
	s_cbranch_execz .LBB41_158
; %bb.157:
	v_mov_b32_e32 v22, 0
	ds_read_b64 v[22:23], v22 offset:24960
	s_waitcnt lgkmcnt(0)
	v_mul_f64 v[11:12], v[11:12], v[22:23]
	v_xor_b32_e32 v23, 0x80000000, v12
	v_mov_b32_e32 v22, v11
	ds_write_b64 v21, v[22:23]
.LBB41_158:
	s_or_b64 exec, exec, s[0:1]
	s_waitcnt lgkmcnt(0)
	s_barrier
	s_barrier
	s_and_saveexec_b64 s[0:1], s[8:9]
; %bb.159:
	v_lshlrev_b32_e32 v22, 3, v19
	v_lshl_or_b32 v22, v20, 9, v22
	ds_write_b64 v22, v[11:12] offset:29056
; %bb.160:
	s_or_b64 exec, exec, s[0:1]
	v_cmp_gt_u32_e64 s[10:11], 8, v0
	s_and_b64 s[86:87], s[12:13], s[10:11]
	s_waitcnt lgkmcnt(0)
	s_barrier
	s_barrier
	s_and_saveexec_b64 s[0:1], s[86:87]
	s_cbranch_execz .LBB41_162
; %bb.161:
	v_lshlrev_b32_e32 v22, 9, v0
	ds_read_b64 v[11:12], v22 offset:29056
	s_movk_i32 s10, 0xfe08
	v_mad_i32_i24 v23, v0, s10, v22
	s_waitcnt lgkmcnt(0)
	ds_write_b64 v23, v[11:12] offset:25024
	ds_read_b64 v[11:12], v22 offset:29064
	s_waitcnt lgkmcnt(0)
	ds_write_b64 v23, v[11:12] offset:25536
	ds_read_b64 v[11:12], v22 offset:29072
	;; [unrolled: 3-line block ×7, first 2 shown]
	s_waitcnt lgkmcnt(0)
	ds_write_b64 v23, v[11:12] offset:28608
.LBB41_162:
	s_or_b64 exec, exec, s[0:1]
	s_waitcnt lgkmcnt(0)
	s_barrier
	s_and_saveexec_b64 s[0:1], vcc
	s_cbranch_execz .LBB41_164
; %bb.163:
	v_mov_b32_e32 v11, 0
	ds_read_b128 v[22:25], v11 offset:28592
	ds_read_b64 v[11:12], v11 offset:28080
	s_movk_i32 s10, 0x6800
	s_waitcnt lgkmcnt(0)
	v_mul_f64 v[11:12], v[11:12], v[24:25]
	v_mul_f64 v[11:12], v[22:23], v[11:12]
	v_add_u32_e64 v22, s10, 0
	ds_write2_b64 v22, v[11:12], v[11:12] offset0:183 offset1:246
.LBB41_164:
	s_or_b64 exec, exec, s[0:1]
	v_mov_b32_e32 v11, 0
	v_mov_b32_e32 v12, 0
	s_waitcnt lgkmcnt(0)
	s_barrier
	buffer_wbinvl1_vol
	s_and_saveexec_b64 s[0:1], s[2:3]
	s_cbranch_execz .LBB41_168
; %bb.165:
	v_lshlrev_b32_e32 v22, 9, v13
	v_lshlrev_b32_e32 v11, 3, v1
	ds_read_b64 v[11:12], v11 offset:28064
	ds_read_b64 v[22:23], v22 offset:28080
	v_cmp_gt_u32_e64 s[10:11], 2, v15
	s_waitcnt lgkmcnt(0)
	v_fma_f64 v[11:12], v[11:12], v[22:23], 0
	s_and_saveexec_b64 s[14:15], s[10:11]
	s_cbranch_execz .LBB41_167
; %bb.166:
	v_lshlrev_b32_e32 v22, 3, v0
	v_mov_b32_e32 v24, 0
	ds_read_b64 v[22:23], v22 offset:28576
	ds_read_b64 v[24:25], v24 offset:28600
	s_waitcnt lgkmcnt(0)
	v_fma_f64 v[11:12], v[22:23], v[24:25], v[11:12]
.LBB41_167:
	s_or_b64 exec, exec, s[14:15]
.LBB41_168:
	s_or_b64 exec, exec, s[0:1]
	s_and_saveexec_b64 s[0:1], s[28:29]
	s_cbranch_execz .LBB41_170
; %bb.169:
	v_mov_b32_e32 v22, 0
	ds_read_b64 v[22:23], v22 offset:27560
	s_waitcnt lgkmcnt(0)
	v_mul_f64 v[11:12], v[11:12], v[22:23]
	v_xor_b32_e32 v23, 0x80000000, v12
	v_mov_b32_e32 v22, v11
	ds_write_b64 v14, v[22:23]
.LBB41_170:
	s_or_b64 exec, exec, s[0:1]
	s_waitcnt lgkmcnt(0)
	s_barrier
	s_and_saveexec_b64 s[0:1], s[26:27]
	s_cbranch_execz .LBB41_172
; %bb.171:
	v_mov_b32_e32 v22, 0
	ds_read_b64 v[22:23], v22 offset:27552
	ds_read_b64 v[24:25], v14
	s_waitcnt lgkmcnt(0)
	v_fma_f64 v[11:12], -v[22:23], v[24:25], v[11:12]
.LBB41_172:
	s_or_b64 exec, exec, s[0:1]
	s_barrier
	s_and_saveexec_b64 s[0:1], s[26:27]
	s_cbranch_execz .LBB41_174
; %bb.173:
	v_mov_b32_e32 v22, 0
	ds_read_b64 v[22:23], v22 offset:27040
	s_waitcnt lgkmcnt(0)
	v_mul_f64 v[11:12], v[11:12], v[22:23]
	v_xor_b32_e32 v23, 0x80000000, v12
	v_mov_b32_e32 v22, v11
	ds_write_b64 v14, v[22:23]
.LBB41_174:
	s_or_b64 exec, exec, s[0:1]
	s_waitcnt lgkmcnt(0)
	s_barrier
	s_barrier
	s_and_saveexec_b64 s[0:1], s[2:3]
; %bb.175:
	v_lshlrev_b32_e32 v22, 3, v1
	v_lshl_or_b32 v22, v13, 9, v22
	ds_write_b64 v22, v[11:12] offset:28064
; %bb.176:
	s_or_b64 exec, exec, s[0:1]
	s_waitcnt lgkmcnt(0)
	s_barrier
	s_barrier
	s_and_saveexec_b64 s[0:1], s[30:31]
	s_cbranch_execz .LBB41_178
; %bb.177:
	v_lshlrev_b32_e32 v22, 3, v0
	s_movk_i32 s10, 0x1f8
	v_mad_u32_u24 v23, v0, s10, v22
	ds_read_b64 v[11:12], v23 offset:28064
	s_waitcnt lgkmcnt(0)
	ds_write_b64 v22, v[11:12] offset:27056
	ds_read_b64 v[11:12], v23 offset:28072
	s_waitcnt lgkmcnt(0)
	ds_write_b64 v22, v[11:12] offset:27568
.LBB41_178:
	s_or_b64 exec, exec, s[0:1]
	s_waitcnt lgkmcnt(0)
	s_barrier
	s_and_saveexec_b64 s[0:1], vcc
	s_cbranch_execz .LBB41_180
; %bb.179:
	v_mov_b32_e32 v11, 0
	ds_read_b128 v[22:25], v11 offset:27552
	ds_read_b64 v[11:12], v11 offset:27040
	s_movk_i32 s10, 0x6800
	s_waitcnt lgkmcnt(0)
	v_mul_f64 v[11:12], v[11:12], v[24:25]
	v_mul_f64 v[11:12], v[22:23], v[11:12]
	v_add_u32_e64 v22, s10, 0
	ds_write2_b64 v22, v[11:12], v[11:12] offset0:53 offset1:116
.LBB41_180:
	s_or_b64 exec, exec, s[0:1]
	v_mov_b32_e32 v11, 0
	v_mov_b32_e32 v12, 0
	s_waitcnt lgkmcnt(0)
	s_barrier
	buffer_wbinvl1_vol
	s_and_saveexec_b64 s[0:1], s[18:19]
	s_cbranch_execz .LBB41_186
; %bb.181:
	v_lshlrev_b32_e32 v23, 3, v16
	v_lshlrev_b32_e32 v22, 9, v17
	ds_read_b64 v[11:12], v23 offset:27008
	ds_read_b64 v[24:25], v22 offset:27040
	v_cmp_gt_u32_e64 s[10:11], 12, v15
	s_waitcnt lgkmcnt(0)
	v_fma_f64 v[11:12], v[11:12], v[24:25], 0
	s_and_saveexec_b64 s[14:15], s[10:11]
	s_cbranch_execnz .LBB41_1106
; %bb.182:
	s_or_b64 exec, exec, s[14:15]
	v_cmp_gt_u32_e64 s[10:11], 8, v15
	s_and_saveexec_b64 s[14:15], s[10:11]
	s_cbranch_execnz .LBB41_1107
.LBB41_183:
	s_or_b64 exec, exec, s[14:15]
	v_cmp_gt_u32_e64 s[10:11], 4, v15
	s_and_saveexec_b64 s[14:15], s[10:11]
	s_cbranch_execz .LBB41_185
.LBB41_184:
	v_lshlrev_b32_e32 v22, 3, v0
	v_mov_b32_e32 v24, 0
	ds_read_b64 v[22:23], v22 offset:28544
	ds_read_b64 v[24:25], v24 offset:28600
	s_waitcnt lgkmcnt(0)
	v_fma_f64 v[11:12], v[22:23], v[24:25], v[11:12]
.LBB41_185:
	s_or_b64 exec, exec, s[14:15]
.LBB41_186:
	s_or_b64 exec, exec, s[0:1]
	s_and_saveexec_b64 s[0:1], s[36:37]
	s_cbranch_execz .LBB41_188
; %bb.187:
	v_mov_b32_e32 v22, 0
	ds_read_b64 v[22:23], v22 offset:26520
	s_waitcnt lgkmcnt(0)
	v_mul_f64 v[11:12], v[11:12], v[22:23]
	v_xor_b32_e32 v23, 0x80000000, v12
	v_mov_b32_e32 v22, v11
	ds_write_b64 v18, v[22:23]
.LBB41_188:
	s_or_b64 exec, exec, s[0:1]
	s_waitcnt lgkmcnt(0)
	s_barrier
	s_and_saveexec_b64 s[0:1], s[38:39]
	s_cbranch_execz .LBB41_190
; %bb.189:
	v_lshlrev_b32_e32 v22, 3, v16
	ds_read_b64 v[22:23], v22 offset:26496
	ds_read_b64 v[24:25], v18
	s_waitcnt lgkmcnt(0)
	v_fma_f64 v[11:12], -v[22:23], v[24:25], v[11:12]
.LBB41_190:
	s_or_b64 exec, exec, s[0:1]
	s_barrier
	s_and_saveexec_b64 s[0:1], s[42:43]
	s_cbranch_execz .LBB41_192
; %bb.191:
	v_mov_b32_e32 v22, 0
	ds_read_b64 v[22:23], v22 offset:26000
	s_waitcnt lgkmcnt(0)
	v_mul_f64 v[11:12], v[11:12], v[22:23]
	v_xor_b32_e32 v23, 0x80000000, v12
	v_mov_b32_e32 v22, v11
	ds_write_b64 v18, v[22:23]
.LBB41_192:
	s_or_b64 exec, exec, s[0:1]
	s_waitcnt lgkmcnt(0)
	s_barrier
	s_and_saveexec_b64 s[0:1], s[52:53]
	s_cbranch_execz .LBB41_194
; %bb.193:
	v_lshlrev_b32_e32 v22, 3, v16
	ds_read_b64 v[22:23], v22 offset:25984
	ds_read_b64 v[24:25], v18
	s_waitcnt lgkmcnt(0)
	v_fma_f64 v[11:12], -v[22:23], v[24:25], v[11:12]
.LBB41_194:
	s_or_b64 exec, exec, s[0:1]
	s_barrier
	s_and_saveexec_b64 s[0:1], s[54:55]
	s_cbranch_execz .LBB41_196
; %bb.195:
	v_mov_b32_e32 v22, 0
	ds_read_b64 v[22:23], v22 offset:25480
	s_waitcnt lgkmcnt(0)
	v_mul_f64 v[11:12], v[11:12], v[22:23]
	v_xor_b32_e32 v23, 0x80000000, v12
	v_mov_b32_e32 v22, v11
	ds_write_b64 v18, v[22:23]
.LBB41_196:
	s_or_b64 exec, exec, s[0:1]
	s_waitcnt lgkmcnt(0)
	s_barrier
	s_and_saveexec_b64 s[0:1], s[34:35]
	s_cbranch_execz .LBB41_198
; %bb.197:
	v_mov_b32_e32 v22, 0
	ds_read_b64 v[22:23], v22 offset:25472
	ds_read_b64 v[24:25], v18
	s_waitcnt lgkmcnt(0)
	v_fma_f64 v[11:12], -v[22:23], v[24:25], v[11:12]
.LBB41_198:
	s_or_b64 exec, exec, s[0:1]
	s_barrier
	s_and_saveexec_b64 s[0:1], s[34:35]
	s_cbranch_execz .LBB41_200
; %bb.199:
	v_mov_b32_e32 v22, 0
	ds_read_b64 v[22:23], v22 offset:24960
	s_waitcnt lgkmcnt(0)
	v_mul_f64 v[11:12], v[11:12], v[22:23]
	v_xor_b32_e32 v23, 0x80000000, v12
	v_mov_b32_e32 v22, v11
	ds_write_b64 v18, v[22:23]
.LBB41_200:
	s_or_b64 exec, exec, s[0:1]
	s_waitcnt lgkmcnt(0)
	s_barrier
	s_barrier
	s_and_saveexec_b64 s[0:1], s[18:19]
; %bb.201:
	v_lshlrev_b32_e32 v22, 3, v16
	v_lshl_or_b32 v22, v17, 9, v22
	ds_write_b64 v22, v[11:12] offset:27008
; %bb.202:
	s_or_b64 exec, exec, s[0:1]
	s_waitcnt lgkmcnt(0)
	s_barrier
	s_barrier
	s_and_saveexec_b64 s[0:1], s[56:57]
	s_cbranch_execz .LBB41_204
; %bb.203:
	v_lshlrev_b32_e32 v22, 9, v0
	ds_read_b64 v[11:12], v22 offset:27008
	s_movk_i32 s10, 0xfe08
	v_mad_i32_i24 v23, v0, s10, v22
	s_waitcnt lgkmcnt(0)
	ds_write_b64 v23, v[11:12] offset:24992
	ds_read_b64 v[11:12], v22 offset:27016
	s_waitcnt lgkmcnt(0)
	ds_write_b64 v23, v[11:12] offset:25504
	ds_read_b64 v[11:12], v22 offset:27024
	;; [unrolled: 3-line block ×3, first 2 shown]
	s_waitcnt lgkmcnt(0)
	ds_write_b64 v23, v[11:12] offset:26528
.LBB41_204:
	s_or_b64 exec, exec, s[0:1]
	s_waitcnt lgkmcnt(0)
	s_barrier
	s_and_saveexec_b64 s[0:1], vcc
	s_cbranch_execz .LBB41_206
; %bb.205:
	v_mov_b32_e32 v11, 0
	ds_read_b128 v[22:25], v11 offset:26512
	ds_read_b64 v[11:12], v11 offset:26000
	s_movk_i32 s10, 0x6000
	s_waitcnt lgkmcnt(0)
	v_mul_f64 v[11:12], v[11:12], v[24:25]
	v_mul_f64 v[11:12], v[22:23], v[11:12]
	v_add_u32_e64 v22, s10, 0
	ds_write2_b64 v22, v[11:12], v[11:12] offset0:179 offset1:242
.LBB41_206:
	s_or_b64 exec, exec, s[0:1]
	v_mov_b32_e32 v11, 0
	v_mov_b32_e32 v12, 0
	s_waitcnt lgkmcnt(0)
	s_barrier
	buffer_wbinvl1_vol
	s_and_saveexec_b64 s[0:1], s[2:3]
	s_cbranch_execz .LBB41_210
; %bb.207:
	v_lshlrev_b32_e32 v22, 9, v13
	v_lshlrev_b32_e32 v11, 3, v1
	ds_read_b64 v[11:12], v11 offset:25984
	ds_read_b64 v[22:23], v22 offset:26000
	v_cmp_gt_u32_e64 s[10:11], 2, v15
	s_waitcnt lgkmcnt(0)
	v_fma_f64 v[11:12], v[11:12], v[22:23], 0
	s_and_saveexec_b64 s[14:15], s[10:11]
	s_cbranch_execz .LBB41_209
; %bb.208:
	v_lshlrev_b32_e32 v22, 3, v0
	v_mov_b32_e32 v24, 0
	ds_read_b64 v[22:23], v22 offset:26496
	ds_read_b64 v[24:25], v24 offset:26520
	s_waitcnt lgkmcnt(0)
	v_fma_f64 v[11:12], v[22:23], v[24:25], v[11:12]
.LBB41_209:
	s_or_b64 exec, exec, s[14:15]
.LBB41_210:
	s_or_b64 exec, exec, s[0:1]
	s_and_saveexec_b64 s[0:1], s[28:29]
	s_cbranch_execz .LBB41_212
; %bb.211:
	v_mov_b32_e32 v22, 0
	ds_read_b64 v[22:23], v22 offset:25480
	s_waitcnt lgkmcnt(0)
	v_mul_f64 v[11:12], v[11:12], v[22:23]
	v_xor_b32_e32 v23, 0x80000000, v12
	v_mov_b32_e32 v22, v11
	ds_write_b64 v14, v[22:23]
.LBB41_212:
	s_or_b64 exec, exec, s[0:1]
	s_waitcnt lgkmcnt(0)
	s_barrier
	s_and_saveexec_b64 s[0:1], s[26:27]
	s_cbranch_execz .LBB41_214
; %bb.213:
	v_mov_b32_e32 v22, 0
	ds_read_b64 v[22:23], v22 offset:25472
	ds_read_b64 v[24:25], v14
	s_waitcnt lgkmcnt(0)
	v_fma_f64 v[11:12], -v[22:23], v[24:25], v[11:12]
.LBB41_214:
	s_or_b64 exec, exec, s[0:1]
	s_barrier
	s_and_saveexec_b64 s[0:1], s[26:27]
	s_cbranch_execz .LBB41_216
; %bb.215:
	v_mov_b32_e32 v22, 0
	ds_read_b64 v[22:23], v22 offset:24960
	s_waitcnt lgkmcnt(0)
	v_mul_f64 v[11:12], v[11:12], v[22:23]
	v_xor_b32_e32 v23, 0x80000000, v12
	v_mov_b32_e32 v22, v11
	ds_write_b64 v14, v[22:23]
.LBB41_216:
	s_or_b64 exec, exec, s[0:1]
	s_waitcnt lgkmcnt(0)
	s_barrier
	s_barrier
	s_and_saveexec_b64 s[0:1], s[2:3]
; %bb.217:
	v_lshlrev_b32_e32 v22, 3, v1
	v_lshl_or_b32 v22, v13, 9, v22
	ds_write_b64 v22, v[11:12] offset:25984
; %bb.218:
	s_or_b64 exec, exec, s[0:1]
	s_waitcnt lgkmcnt(0)
	s_barrier
	s_barrier
	s_and_saveexec_b64 s[0:1], s[30:31]
	s_cbranch_execz .LBB41_220
; %bb.219:
	v_lshlrev_b32_e32 v22, 3, v0
	s_movk_i32 s10, 0x1f8
	v_mad_u32_u24 v23, v0, s10, v22
	ds_read_b64 v[11:12], v23 offset:25984
	s_waitcnt lgkmcnt(0)
	ds_write_b64 v22, v[11:12] offset:24976
	ds_read_b64 v[11:12], v23 offset:25992
	s_waitcnt lgkmcnt(0)
	ds_write_b64 v22, v[11:12] offset:25488
.LBB41_220:
	s_or_b64 exec, exec, s[0:1]
	s_waitcnt lgkmcnt(0)
	s_barrier
	s_and_saveexec_b64 s[0:1], vcc
	s_cbranch_execz .LBB41_222
; %bb.221:
	v_mov_b32_e32 v11, 0
	ds_read_b128 v[22:25], v11 offset:25472
	ds_read_b64 v[11:12], v11 offset:24960
	s_movk_i32 s10, 0x6000
	s_waitcnt lgkmcnt(0)
	v_mul_f64 v[11:12], v[11:12], v[24:25]
	v_mul_f64 v[11:12], v[22:23], v[11:12]
	v_add_u32_e64 v22, s10, 0
	ds_write2_b64 v22, v[11:12], v[11:12] offset0:49 offset1:112
.LBB41_222:
	s_or_b64 exec, exec, s[0:1]
	s_movk_i32 s0, 0xff
	v_lshrrev_b32_e32 v24, 4, v15
	v_cmp_lt_u32_e64 s[14:15], s0, v15
	s_movk_i32 s0, 0x100
	v_mov_b32_e32 v11, 0
	v_and_b32_e32 v22, 15, v0
	v_sub_u32_e32 v23, 15, v24
	v_mov_b32_e32 v12, 0
	v_cmp_gt_u32_e64 s[10:11], s0, v15
	s_waitcnt lgkmcnt(0)
	s_barrier
	buffer_wbinvl1_vol
	s_and_saveexec_b64 s[0:1], s[10:11]
	s_cbranch_execz .LBB41_250
; %bb.223:
	v_lshlrev_b32_e32 v26, 3, v22
	v_lshlrev_b32_e32 v25, 9, v23
	ds_read_b64 v[11:12], v26 offset:24832
	ds_read_b64 v[27:28], v25 offset:24960
	s_movk_i32 s16, 0xf0
	v_cmp_gt_u32_e64 s[16:17], s16, v15
	s_waitcnt lgkmcnt(0)
	v_fma_f64 v[11:12], v[11:12], v[27:28], 0
	s_and_saveexec_b64 s[20:21], s[16:17]
	s_cbranch_execz .LBB41_225
; %bb.224:
	ds_read_b64 v[27:28], v26 offset:25344
	ds_read_b64 v[29:30], v25 offset:24968
	s_waitcnt lgkmcnt(0)
	v_fma_f64 v[11:12], v[27:28], v[29:30], v[11:12]
.LBB41_225:
	s_or_b64 exec, exec, s[20:21]
	s_movk_i32 s16, 0xe0
	v_cmp_gt_u32_e64 s[16:17], s16, v15
	s_and_saveexec_b64 s[20:21], s[16:17]
	s_cbranch_execz .LBB41_227
; %bb.226:
	ds_read_b64 v[27:28], v26 offset:25856
	ds_read_b64 v[29:30], v25 offset:24976
	s_waitcnt lgkmcnt(0)
	v_fma_f64 v[11:12], v[27:28], v[29:30], v[11:12]
.LBB41_227:
	s_or_b64 exec, exec, s[20:21]
	s_movk_i32 s16, 0xd0
	v_cmp_gt_u32_e64 s[16:17], s16, v15
	;; [unrolled: 11-line block ×10, first 2 shown]
	s_and_saveexec_b64 s[20:21], s[16:17]
	s_cbranch_execnz .LBB41_1108
; %bb.244:
	s_or_b64 exec, exec, s[20:21]
	s_and_saveexec_b64 s[16:17], s[8:9]
	s_cbranch_execnz .LBB41_1109
.LBB41_245:
	s_or_b64 exec, exec, s[16:17]
	v_cmp_gt_u32_e64 s[16:17], 48, v15
	s_and_saveexec_b64 s[20:21], s[16:17]
	s_cbranch_execnz .LBB41_1110
.LBB41_246:
	s_or_b64 exec, exec, s[20:21]
	v_cmp_gt_u32_e64 s[16:17], 32, v15
	s_and_saveexec_b64 s[20:21], s[16:17]
	s_cbranch_execnz .LBB41_1111
.LBB41_247:
	s_or_b64 exec, exec, s[20:21]
	v_cmp_gt_u32_e64 s[16:17], 16, v15
	s_and_saveexec_b64 s[20:21], s[16:17]
	s_cbranch_execz .LBB41_249
.LBB41_248:
	v_lshlrev_b32_e32 v25, 3, v0
	v_mov_b32_e32 v27, 0
	ds_read_b64 v[25:26], v25 offset:32512
	ds_read_b64 v[27:28], v27 offset:32760
	s_waitcnt lgkmcnt(0)
	v_fma_f64 v[11:12], v[25:26], v[27:28], v[11:12]
.LBB41_249:
	s_or_b64 exec, exec, s[20:21]
.LBB41_250:
	s_or_b64 exec, exec, s[0:1]
	v_mov_b32_e32 v25, 0x8000
	v_lshl_add_u32 v24, v24, 3, v25
	v_cmp_eq_u32_e64 s[16:17], 15, v22
	s_xor_b64 s[20:21], s[14:15], -1
	s_and_b64 s[14:15], s[16:17], s[20:21]
	s_mov_b64 s[0:1], exec
	v_writelane_b32 v36, s14, 3
	v_writelane_b32 v36, s15, 4
	s_and_b64 s[14:15], s[0:1], s[14:15]
	s_mov_b64 exec, s[14:15]
	s_cbranch_execz .LBB41_252
; %bb.251:
	v_mov_b32_e32 v25, 0
	ds_read_b64 v[25:26], v25 offset:24440
	s_waitcnt lgkmcnt(0)
	v_mul_f64 v[11:12], v[11:12], v[25:26]
	v_xor_b32_e32 v26, 0x80000000, v12
	v_mov_b32_e32 v25, v11
	ds_write_b64 v24, v[25:26]
.LBB41_252:
	s_or_b64 exec, exec, s[0:1]
	v_cmp_ne_u32_e64 s[14:15], 15, v22
	s_waitcnt lgkmcnt(0)
	s_barrier
	s_and_b64 s[14:15], s[14:15], s[20:21]
	s_mov_b64 s[0:1], exec
	v_writelane_b32 v36, s14, 5
	v_writelane_b32 v36, s15, 6
	s_and_b64 s[14:15], s[0:1], s[14:15]
	s_mov_b64 exec, s[14:15]
	s_cbranch_execz .LBB41_254
; %bb.253:
	v_lshlrev_b32_e32 v25, 3, v22
	ds_read_b64 v[25:26], v25 offset:24320
	ds_read_b64 v[27:28], v24
	s_waitcnt lgkmcnt(0)
	v_fma_f64 v[11:12], -v[25:26], v[27:28], v[11:12]
.LBB41_254:
	s_or_b64 exec, exec, s[0:1]
	v_cmp_eq_u32_e64 s[14:15], 14, v22
	s_barrier
	s_and_b64 s[14:15], s[14:15], s[20:21]
	s_mov_b64 s[0:1], exec
	v_writelane_b32 v36, s14, 7
	v_writelane_b32 v36, s15, 8
	s_and_b64 s[14:15], s[0:1], s[14:15]
	s_mov_b64 exec, s[14:15]
	s_cbranch_execz .LBB41_256
; %bb.255:
	v_mov_b32_e32 v25, 0
	ds_read_b64 v[25:26], v25 offset:23920
	s_waitcnt lgkmcnt(0)
	v_mul_f64 v[11:12], v[11:12], v[25:26]
	v_xor_b32_e32 v26, 0x80000000, v12
	v_mov_b32_e32 v25, v11
	ds_write_b64 v24, v[25:26]
.LBB41_256:
	s_or_b64 exec, exec, s[0:1]
	v_cmp_gt_u32_e64 s[14:15], 14, v22
	s_waitcnt lgkmcnt(0)
	s_barrier
	s_and_b64 s[14:15], s[14:15], s[20:21]
	s_mov_b64 s[0:1], exec
	v_writelane_b32 v36, s14, 9
	v_writelane_b32 v36, s15, 10
	s_and_b64 s[14:15], s[0:1], s[14:15]
	s_mov_b64 exec, s[14:15]
	s_cbranch_execz .LBB41_258
; %bb.257:
	v_lshlrev_b32_e32 v25, 3, v22
	ds_read_b64 v[25:26], v25 offset:23808
	ds_read_b64 v[27:28], v24
	s_waitcnt lgkmcnt(0)
	v_fma_f64 v[11:12], -v[25:26], v[27:28], v[11:12]
.LBB41_258:
	s_or_b64 exec, exec, s[0:1]
	v_cmp_eq_u32_e64 s[14:15], 13, v22
	s_barrier
	s_and_b64 s[14:15], s[14:15], s[20:21]
	s_mov_b64 s[0:1], exec
	v_writelane_b32 v36, s14, 11
	v_writelane_b32 v36, s15, 12
	s_and_b64 s[14:15], s[0:1], s[14:15]
	s_mov_b64 exec, s[14:15]
	s_cbranch_execz .LBB41_260
; %bb.259:
	v_mov_b32_e32 v25, 0
	ds_read_b64 v[25:26], v25 offset:23400
	s_waitcnt lgkmcnt(0)
	v_mul_f64 v[11:12], v[11:12], v[25:26]
	v_xor_b32_e32 v26, 0x80000000, v12
	v_mov_b32_e32 v25, v11
	ds_write_b64 v24, v[25:26]
.LBB41_260:
	s_or_b64 exec, exec, s[0:1]
	v_cmp_gt_u32_e64 s[14:15], 13, v22
	;; [unrolled: 37-line block ×13, first 2 shown]
	s_waitcnt lgkmcnt(0)
	s_barrier
	s_and_b64 s[14:15], s[14:15], s[20:21]
	s_mov_b64 s[0:1], exec
	v_writelane_b32 v36, s14, 57
	v_writelane_b32 v36, s15, 58
	s_and_b64 s[14:15], s[0:1], s[14:15]
	s_mov_b64 exec, s[14:15]
	s_cbranch_execz .LBB41_306
; %bb.305:
	v_lshlrev_b32_e32 v25, 3, v22
	ds_read_b64 v[25:26], v25 offset:17664
	ds_read_b64 v[27:28], v24
	s_waitcnt lgkmcnt(0)
	v_fma_f64 v[11:12], -v[25:26], v[27:28], v[11:12]
.LBB41_306:
	s_or_b64 exec, exec, s[0:1]
	v_cmp_eq_u32_e64 s[14:15], 1, v22
	s_barrier
	s_and_b64 s[0:1], s[14:15], s[20:21]
	s_mov_b64 s[14:15], exec
	v_writelane_b32 v36, s0, 59
	v_writelane_b32 v36, s1, 60
	s_and_b64 s[0:1], s[14:15], s[0:1]
	s_mov_b64 exec, s[0:1]
	s_cbranch_execz .LBB41_308
; %bb.307:
	v_mov_b32_e32 v25, 0
	ds_read_b64 v[25:26], v25 offset:17160
	s_waitcnt lgkmcnt(0)
	v_mul_f64 v[11:12], v[11:12], v[25:26]
	v_xor_b32_e32 v26, 0x80000000, v12
	v_mov_b32_e32 v25, v11
	ds_write_b64 v24, v[25:26]
.LBB41_308:
	s_or_b64 exec, exec, s[14:15]
	v_cmp_eq_u32_e64 s[14:15], 0, v22
	s_and_b64 s[90:91], s[14:15], s[20:21]
	s_waitcnt lgkmcnt(0)
	s_barrier
	s_and_saveexec_b64 s[0:1], s[90:91]
	s_cbranch_execz .LBB41_310
; %bb.309:
	v_mov_b32_e32 v25, 0
	ds_read_b64 v[25:26], v25 offset:17152
	ds_read_b64 v[27:28], v24
	s_waitcnt lgkmcnt(0)
	v_fma_f64 v[11:12], -v[25:26], v[27:28], v[11:12]
.LBB41_310:
	s_or_b64 exec, exec, s[0:1]
	s_barrier
	s_and_saveexec_b64 s[14:15], s[90:91]
	s_cbranch_execz .LBB41_312
; %bb.311:
	v_mov_b32_e32 v25, 0
	ds_read_b64 v[25:26], v25 offset:16640
	s_waitcnt lgkmcnt(0)
	v_mul_f64 v[11:12], v[11:12], v[25:26]
	v_xor_b32_e32 v26, 0x80000000, v12
	v_mov_b32_e32 v25, v11
	ds_write_b64 v24, v[25:26]
.LBB41_312:
	s_or_b64 exec, exec, s[14:15]
	s_waitcnt lgkmcnt(0)
	s_barrier
	s_barrier
	s_and_saveexec_b64 s[0:1], s[10:11]
; %bb.313:
	v_lshlrev_b32_e32 v25, 3, v22
	v_lshl_or_b32 v25, v23, 9, v25
	ds_write_b64 v25, v[11:12] offset:24832
; %bb.314:
	s_or_b64 exec, exec, s[0:1]
	v_cmp_gt_u32_e64 s[14:15], 16, v0
	s_waitcnt lgkmcnt(0)
	s_barrier
	s_barrier
	s_and_b64 s[0:1], s[12:13], s[14:15]
	s_mov_b64 s[14:15], exec
	v_writelane_b32 v36, s0, 61
	v_writelane_b32 v36, s1, 62
	s_and_b64 s[0:1], s[14:15], s[0:1]
	s_mov_b64 exec, s[0:1]
	s_cbranch_execz .LBB41_316
; %bb.315:
	v_lshlrev_b32_e32 v25, 9, v0
	ds_read_b64 v[11:12], v25 offset:24832
	s_movk_i32 s0, 0xfe08
	v_mad_i32_i24 v26, v0, s0, v25
	s_waitcnt lgkmcnt(0)
	ds_write_b64 v26, v[11:12] offset:16768
	ds_read_b64 v[11:12], v25 offset:24840
	s_waitcnt lgkmcnt(0)
	ds_write_b64 v26, v[11:12] offset:17280
	ds_read_b64 v[11:12], v25 offset:24848
	;; [unrolled: 3-line block ×15, first 2 shown]
	s_waitcnt lgkmcnt(0)
	ds_write_b64 v26, v[11:12] offset:24448
.LBB41_316:
	s_or_b64 exec, exec, s[14:15]
	s_waitcnt lgkmcnt(0)
	s_barrier
	s_and_saveexec_b64 s[14:15], vcc
	s_cbranch_execz .LBB41_318
; %bb.317:
	v_mov_b32_e32 v11, 0
	ds_read_b128 v[25:28], v11 offset:24432
	ds_read_b64 v[11:12], v11 offset:23920
	s_movk_i32 s0, 0x5800
	s_waitcnt lgkmcnt(0)
	v_mul_f64 v[11:12], v[11:12], v[27:28]
	v_mul_f64 v[11:12], v[25:26], v[11:12]
	v_add_u32_e64 v25, s0, 0
	ds_write2_b64 v25, v[11:12], v[11:12] offset0:175 offset1:238
.LBB41_318:
	s_or_b64 exec, exec, s[14:15]
	v_mov_b32_e32 v11, 0
	v_mov_b32_e32 v12, 0
	s_waitcnt lgkmcnt(0)
	s_barrier
	buffer_wbinvl1_vol
	s_and_saveexec_b64 s[16:17], s[2:3]
	s_cbranch_execz .LBB41_322
; %bb.319:
	v_lshlrev_b32_e32 v25, 9, v13
	v_lshlrev_b32_e32 v11, 3, v1
	ds_read_b64 v[11:12], v11 offset:23904
	ds_read_b64 v[25:26], v25 offset:23920
	v_cmp_gt_u32_e64 s[14:15], 2, v15
	s_waitcnt lgkmcnt(0)
	v_fma_f64 v[11:12], v[11:12], v[25:26], 0
	s_and_saveexec_b64 s[20:21], s[14:15]
	s_cbranch_execz .LBB41_321
; %bb.320:
	v_lshlrev_b32_e32 v25, 3, v0
	v_mov_b32_e32 v27, 0
	ds_read_b64 v[25:26], v25 offset:24416
	ds_read_b64 v[27:28], v27 offset:24440
	s_waitcnt lgkmcnt(0)
	v_fma_f64 v[11:12], v[25:26], v[27:28], v[11:12]
.LBB41_321:
	s_or_b64 exec, exec, s[20:21]
.LBB41_322:
	s_or_b64 exec, exec, s[16:17]
	s_and_saveexec_b64 s[14:15], s[28:29]
	s_cbranch_execz .LBB41_324
; %bb.323:
	v_mov_b32_e32 v25, 0
	ds_read_b64 v[25:26], v25 offset:23400
	s_waitcnt lgkmcnt(0)
	v_mul_f64 v[11:12], v[11:12], v[25:26]
	v_xor_b32_e32 v26, 0x80000000, v12
	v_mov_b32_e32 v25, v11
	ds_write_b64 v14, v[25:26]
.LBB41_324:
	s_or_b64 exec, exec, s[14:15]
	s_waitcnt lgkmcnt(0)
	s_barrier
	s_and_saveexec_b64 s[0:1], s[26:27]
	s_cbranch_execz .LBB41_326
; %bb.325:
	v_mov_b32_e32 v25, 0
	ds_read_b64 v[25:26], v25 offset:23392
	ds_read_b64 v[27:28], v14
	s_waitcnt lgkmcnt(0)
	v_fma_f64 v[11:12], -v[25:26], v[27:28], v[11:12]
.LBB41_326:
	s_or_b64 exec, exec, s[0:1]
	s_barrier
	s_and_saveexec_b64 s[14:15], s[26:27]
	s_cbranch_execz .LBB41_328
; %bb.327:
	v_mov_b32_e32 v25, 0
	ds_read_b64 v[25:26], v25 offset:22880
	s_waitcnt lgkmcnt(0)
	v_mul_f64 v[11:12], v[11:12], v[25:26]
	v_xor_b32_e32 v26, 0x80000000, v12
	v_mov_b32_e32 v25, v11
	ds_write_b64 v14, v[25:26]
.LBB41_328:
	s_or_b64 exec, exec, s[14:15]
	s_waitcnt lgkmcnt(0)
	s_barrier
	s_barrier
	s_and_saveexec_b64 s[0:1], s[2:3]
; %bb.329:
	v_lshlrev_b32_e32 v25, 3, v1
	v_lshl_or_b32 v25, v13, 9, v25
	ds_write_b64 v25, v[11:12] offset:23904
; %bb.330:
	s_or_b64 exec, exec, s[0:1]
	s_waitcnt lgkmcnt(0)
	s_barrier
	s_barrier
	s_and_saveexec_b64 s[14:15], s[30:31]
	s_cbranch_execz .LBB41_332
; %bb.331:
	v_lshlrev_b32_e32 v25, 3, v0
	s_movk_i32 s0, 0x1f8
	v_mad_u32_u24 v26, v0, s0, v25
	ds_read_b64 v[11:12], v26 offset:23904
	s_waitcnt lgkmcnt(0)
	ds_write_b64 v25, v[11:12] offset:22896
	ds_read_b64 v[11:12], v26 offset:23912
	s_waitcnt lgkmcnt(0)
	ds_write_b64 v25, v[11:12] offset:23408
.LBB41_332:
	s_or_b64 exec, exec, s[14:15]
	s_waitcnt lgkmcnt(0)
	s_barrier
	s_and_saveexec_b64 s[14:15], vcc
	s_cbranch_execz .LBB41_334
; %bb.333:
	v_mov_b32_e32 v11, 0
	ds_read_b128 v[25:28], v11 offset:23392
	ds_read_b64 v[11:12], v11 offset:22880
	s_movk_i32 s0, 0x5800
	s_waitcnt lgkmcnt(0)
	v_mul_f64 v[11:12], v[11:12], v[27:28]
	v_mul_f64 v[11:12], v[25:26], v[11:12]
	v_add_u32_e64 v25, s0, 0
	ds_write2_b64 v25, v[11:12], v[11:12] offset0:45 offset1:108
.LBB41_334:
	s_or_b64 exec, exec, s[14:15]
	v_mov_b32_e32 v11, 0
	v_mov_b32_e32 v12, 0
	s_waitcnt lgkmcnt(0)
	s_barrier
	buffer_wbinvl1_vol
	s_and_saveexec_b64 s[16:17], s[18:19]
	s_cbranch_execz .LBB41_340
; %bb.335:
	v_lshlrev_b32_e32 v26, 3, v16
	v_lshlrev_b32_e32 v25, 9, v17
	ds_read_b64 v[11:12], v26 offset:22848
	ds_read_b64 v[27:28], v25 offset:22880
	v_cmp_gt_u32_e64 s[14:15], 12, v15
	s_waitcnt lgkmcnt(0)
	v_fma_f64 v[11:12], v[11:12], v[27:28], 0
	s_and_saveexec_b64 s[0:1], s[14:15]
	s_cbranch_execnz .LBB41_1112
; %bb.336:
	s_or_b64 exec, exec, s[0:1]
	v_cmp_gt_u32_e64 s[14:15], 8, v15
	s_and_saveexec_b64 s[0:1], s[14:15]
	s_cbranch_execnz .LBB41_1113
.LBB41_337:
	s_or_b64 exec, exec, s[0:1]
	v_cmp_gt_u32_e64 s[14:15], 4, v15
	s_and_saveexec_b64 s[20:21], s[14:15]
	s_cbranch_execz .LBB41_339
.LBB41_338:
	v_lshlrev_b32_e32 v25, 3, v0
	v_mov_b32_e32 v27, 0
	ds_read_b64 v[25:26], v25 offset:24384
	ds_read_b64 v[27:28], v27 offset:24440
	s_waitcnt lgkmcnt(0)
	v_fma_f64 v[11:12], v[25:26], v[27:28], v[11:12]
.LBB41_339:
	s_or_b64 exec, exec, s[20:21]
.LBB41_340:
	s_or_b64 exec, exec, s[16:17]
	s_and_saveexec_b64 s[14:15], s[36:37]
	s_cbranch_execz .LBB41_342
; %bb.341:
	v_mov_b32_e32 v25, 0
	ds_read_b64 v[25:26], v25 offset:22360
	s_waitcnt lgkmcnt(0)
	v_mul_f64 v[11:12], v[11:12], v[25:26]
	v_xor_b32_e32 v26, 0x80000000, v12
	v_mov_b32_e32 v25, v11
	ds_write_b64 v18, v[25:26]
.LBB41_342:
	s_or_b64 exec, exec, s[14:15]
	s_waitcnt lgkmcnt(0)
	s_barrier
	s_and_saveexec_b64 s[0:1], s[38:39]
	s_cbranch_execz .LBB41_344
; %bb.343:
	v_lshlrev_b32_e32 v25, 3, v16
	ds_read_b64 v[25:26], v25 offset:22336
	ds_read_b64 v[27:28], v18
	s_waitcnt lgkmcnt(0)
	v_fma_f64 v[11:12], -v[25:26], v[27:28], v[11:12]
.LBB41_344:
	s_or_b64 exec, exec, s[0:1]
	s_barrier
	s_and_saveexec_b64 s[14:15], s[42:43]
	s_cbranch_execz .LBB41_346
; %bb.345:
	v_mov_b32_e32 v25, 0
	ds_read_b64 v[25:26], v25 offset:21840
	s_waitcnt lgkmcnt(0)
	v_mul_f64 v[11:12], v[11:12], v[25:26]
	v_xor_b32_e32 v26, 0x80000000, v12
	v_mov_b32_e32 v25, v11
	ds_write_b64 v18, v[25:26]
.LBB41_346:
	s_or_b64 exec, exec, s[14:15]
	s_waitcnt lgkmcnt(0)
	s_barrier
	s_and_saveexec_b64 s[0:1], s[52:53]
	s_cbranch_execz .LBB41_348
; %bb.347:
	v_lshlrev_b32_e32 v25, 3, v16
	ds_read_b64 v[25:26], v25 offset:21824
	ds_read_b64 v[27:28], v18
	s_waitcnt lgkmcnt(0)
	v_fma_f64 v[11:12], -v[25:26], v[27:28], v[11:12]
.LBB41_348:
	s_or_b64 exec, exec, s[0:1]
	s_barrier
	s_and_saveexec_b64 s[14:15], s[54:55]
	s_cbranch_execz .LBB41_350
; %bb.349:
	v_mov_b32_e32 v25, 0
	ds_read_b64 v[25:26], v25 offset:21320
	s_waitcnt lgkmcnt(0)
	v_mul_f64 v[11:12], v[11:12], v[25:26]
	v_xor_b32_e32 v26, 0x80000000, v12
	v_mov_b32_e32 v25, v11
	ds_write_b64 v18, v[25:26]
.LBB41_350:
	s_or_b64 exec, exec, s[14:15]
	s_waitcnt lgkmcnt(0)
	s_barrier
	s_and_saveexec_b64 s[0:1], s[34:35]
	s_cbranch_execz .LBB41_352
; %bb.351:
	v_mov_b32_e32 v25, 0
	ds_read_b64 v[25:26], v25 offset:21312
	ds_read_b64 v[27:28], v18
	s_waitcnt lgkmcnt(0)
	v_fma_f64 v[11:12], -v[25:26], v[27:28], v[11:12]
.LBB41_352:
	s_or_b64 exec, exec, s[0:1]
	s_barrier
	s_and_saveexec_b64 s[14:15], s[34:35]
	s_cbranch_execz .LBB41_354
; %bb.353:
	v_mov_b32_e32 v25, 0
	ds_read_b64 v[25:26], v25 offset:20800
	s_waitcnt lgkmcnt(0)
	v_mul_f64 v[11:12], v[11:12], v[25:26]
	v_xor_b32_e32 v26, 0x80000000, v12
	v_mov_b32_e32 v25, v11
	ds_write_b64 v18, v[25:26]
.LBB41_354:
	s_or_b64 exec, exec, s[14:15]
	s_waitcnt lgkmcnt(0)
	s_barrier
	s_barrier
	s_and_saveexec_b64 s[0:1], s[18:19]
; %bb.355:
	v_lshlrev_b32_e32 v25, 3, v16
	v_lshl_or_b32 v25, v17, 9, v25
	ds_write_b64 v25, v[11:12] offset:22848
; %bb.356:
	s_or_b64 exec, exec, s[0:1]
	s_waitcnt lgkmcnt(0)
	s_barrier
	s_barrier
	s_and_saveexec_b64 s[14:15], s[56:57]
	s_cbranch_execz .LBB41_358
; %bb.357:
	v_lshlrev_b32_e32 v25, 9, v0
	ds_read_b64 v[11:12], v25 offset:22848
	s_movk_i32 s0, 0xfe08
	v_mad_i32_i24 v26, v0, s0, v25
	s_waitcnt lgkmcnt(0)
	ds_write_b64 v26, v[11:12] offset:20832
	ds_read_b64 v[11:12], v25 offset:22856
	s_waitcnt lgkmcnt(0)
	ds_write_b64 v26, v[11:12] offset:21344
	ds_read_b64 v[11:12], v25 offset:22864
	;; [unrolled: 3-line block ×3, first 2 shown]
	s_waitcnt lgkmcnt(0)
	ds_write_b64 v26, v[11:12] offset:22368
.LBB41_358:
	s_or_b64 exec, exec, s[14:15]
	s_waitcnt lgkmcnt(0)
	s_barrier
	s_and_saveexec_b64 s[14:15], vcc
	s_cbranch_execz .LBB41_360
; %bb.359:
	v_mov_b32_e32 v11, 0
	ds_read_b128 v[25:28], v11 offset:22352
	ds_read_b64 v[11:12], v11 offset:21840
	s_movk_i32 s0, 0x5000
	s_waitcnt lgkmcnt(0)
	v_mul_f64 v[11:12], v[11:12], v[27:28]
	v_mul_f64 v[11:12], v[25:26], v[11:12]
	v_add_u32_e64 v25, s0, 0
	ds_write2_b64 v25, v[11:12], v[11:12] offset0:171 offset1:234
.LBB41_360:
	s_or_b64 exec, exec, s[14:15]
	v_mov_b32_e32 v11, 0
	v_mov_b32_e32 v12, 0
	s_waitcnt lgkmcnt(0)
	s_barrier
	buffer_wbinvl1_vol
	s_and_saveexec_b64 s[16:17], s[2:3]
	s_cbranch_execz .LBB41_364
; %bb.361:
	v_lshlrev_b32_e32 v25, 9, v13
	v_lshlrev_b32_e32 v11, 3, v1
	ds_read_b64 v[11:12], v11 offset:21824
	ds_read_b64 v[25:26], v25 offset:21840
	v_cmp_gt_u32_e64 s[14:15], 2, v15
	s_waitcnt lgkmcnt(0)
	v_fma_f64 v[11:12], v[11:12], v[25:26], 0
	s_and_saveexec_b64 s[20:21], s[14:15]
	s_cbranch_execz .LBB41_363
; %bb.362:
	v_lshlrev_b32_e32 v25, 3, v0
	v_mov_b32_e32 v27, 0
	ds_read_b64 v[25:26], v25 offset:22336
	ds_read_b64 v[27:28], v27 offset:22360
	s_waitcnt lgkmcnt(0)
	v_fma_f64 v[11:12], v[25:26], v[27:28], v[11:12]
.LBB41_363:
	s_or_b64 exec, exec, s[20:21]
.LBB41_364:
	s_or_b64 exec, exec, s[16:17]
	s_and_saveexec_b64 s[14:15], s[28:29]
	s_cbranch_execz .LBB41_366
; %bb.365:
	v_mov_b32_e32 v25, 0
	ds_read_b64 v[25:26], v25 offset:21320
	s_waitcnt lgkmcnt(0)
	v_mul_f64 v[11:12], v[11:12], v[25:26]
	v_xor_b32_e32 v26, 0x80000000, v12
	v_mov_b32_e32 v25, v11
	ds_write_b64 v14, v[25:26]
.LBB41_366:
	s_or_b64 exec, exec, s[14:15]
	s_waitcnt lgkmcnt(0)
	s_barrier
	s_and_saveexec_b64 s[0:1], s[26:27]
	s_cbranch_execz .LBB41_368
; %bb.367:
	v_mov_b32_e32 v25, 0
	ds_read_b64 v[25:26], v25 offset:21312
	ds_read_b64 v[27:28], v14
	s_waitcnt lgkmcnt(0)
	v_fma_f64 v[11:12], -v[25:26], v[27:28], v[11:12]
.LBB41_368:
	s_or_b64 exec, exec, s[0:1]
	s_barrier
	s_and_saveexec_b64 s[14:15], s[26:27]
	s_cbranch_execz .LBB41_370
; %bb.369:
	v_mov_b32_e32 v25, 0
	ds_read_b64 v[25:26], v25 offset:20800
	s_waitcnt lgkmcnt(0)
	v_mul_f64 v[11:12], v[11:12], v[25:26]
	v_xor_b32_e32 v26, 0x80000000, v12
	v_mov_b32_e32 v25, v11
	ds_write_b64 v14, v[25:26]
.LBB41_370:
	s_or_b64 exec, exec, s[14:15]
	s_waitcnt lgkmcnt(0)
	s_barrier
	s_barrier
	s_and_saveexec_b64 s[0:1], s[2:3]
; %bb.371:
	v_lshlrev_b32_e32 v25, 3, v1
	v_lshl_or_b32 v25, v13, 9, v25
	ds_write_b64 v25, v[11:12] offset:21824
; %bb.372:
	s_or_b64 exec, exec, s[0:1]
	s_waitcnt lgkmcnt(0)
	s_barrier
	s_barrier
	s_and_saveexec_b64 s[14:15], s[30:31]
	s_cbranch_execz .LBB41_374
; %bb.373:
	v_lshlrev_b32_e32 v25, 3, v0
	s_movk_i32 s0, 0x1f8
	v_mad_u32_u24 v26, v0, s0, v25
	ds_read_b64 v[11:12], v26 offset:21824
	s_waitcnt lgkmcnt(0)
	ds_write_b64 v25, v[11:12] offset:20816
	ds_read_b64 v[11:12], v26 offset:21832
	s_waitcnt lgkmcnt(0)
	ds_write_b64 v25, v[11:12] offset:21328
.LBB41_374:
	s_or_b64 exec, exec, s[14:15]
	s_waitcnt lgkmcnt(0)
	s_barrier
	s_and_saveexec_b64 s[14:15], vcc
	s_cbranch_execz .LBB41_376
; %bb.375:
	v_mov_b32_e32 v11, 0
	ds_read_b128 v[25:28], v11 offset:21312
	ds_read_b64 v[11:12], v11 offset:20800
	s_movk_i32 s0, 0x5000
	s_waitcnt lgkmcnt(0)
	v_mul_f64 v[11:12], v[11:12], v[27:28]
	v_mul_f64 v[11:12], v[25:26], v[11:12]
	v_add_u32_e64 v25, s0, 0
	ds_write2_b64 v25, v[11:12], v[11:12] offset0:41 offset1:104
.LBB41_376:
	s_or_b64 exec, exec, s[14:15]
	v_mov_b32_e32 v11, 0
	v_mov_b32_e32 v12, 0
	s_waitcnt lgkmcnt(0)
	s_barrier
	buffer_wbinvl1_vol
	s_and_saveexec_b64 s[16:17], s[8:9]
	s_cbranch_execz .LBB41_386
; %bb.377:
	v_lshlrev_b32_e32 v26, 3, v19
	v_lshlrev_b32_e32 v25, 9, v20
	ds_read_b64 v[11:12], v26 offset:20736
	ds_read_b64 v[27:28], v25 offset:20800
	v_cmp_gt_u32_e64 s[14:15], 56, v15
	s_waitcnt lgkmcnt(0)
	v_fma_f64 v[11:12], v[11:12], v[27:28], 0
	s_and_saveexec_b64 s[0:1], s[14:15]
	s_cbranch_execnz .LBB41_1114
; %bb.378:
	s_or_b64 exec, exec, s[0:1]
	v_cmp_gt_u32_e64 s[14:15], 48, v15
	s_and_saveexec_b64 s[0:1], s[14:15]
	s_cbranch_execnz .LBB41_1115
.LBB41_379:
	s_or_b64 exec, exec, s[0:1]
	v_cmp_gt_u32_e64 s[14:15], 40, v15
	s_and_saveexec_b64 s[0:1], s[14:15]
	s_cbranch_execnz .LBB41_1116
.LBB41_380:
	s_or_b64 exec, exec, s[0:1]
	v_cmp_gt_u32_e64 s[14:15], 32, v15
	s_and_saveexec_b64 s[0:1], s[14:15]
	s_cbranch_execnz .LBB41_1117
.LBB41_381:
	s_or_b64 exec, exec, s[0:1]
	v_cmp_gt_u32_e64 s[14:15], 24, v15
	s_and_saveexec_b64 s[0:1], s[14:15]
	s_cbranch_execnz .LBB41_1118
.LBB41_382:
	s_or_b64 exec, exec, s[0:1]
	s_and_saveexec_b64 s[0:1], s[18:19]
	s_cbranch_execnz .LBB41_1119
.LBB41_383:
	s_or_b64 exec, exec, s[0:1]
	v_cmp_gt_u32_e64 s[14:15], 8, v15
	s_and_saveexec_b64 s[20:21], s[14:15]
	s_cbranch_execz .LBB41_385
.LBB41_384:
	v_lshlrev_b32_e32 v25, 3, v0
	v_mov_b32_e32 v27, 0
	ds_read_b64 v[25:26], v25 offset:24320
	ds_read_b64 v[27:28], v27 offset:24440
	s_waitcnt lgkmcnt(0)
	v_fma_f64 v[11:12], v[25:26], v[27:28], v[11:12]
.LBB41_385:
	s_or_b64 exec, exec, s[20:21]
.LBB41_386:
	s_or_b64 exec, exec, s[16:17]
	s_and_saveexec_b64 s[14:15], s[58:59]
	s_cbranch_execz .LBB41_388
; %bb.387:
	v_mov_b32_e32 v25, 0
	ds_read_b64 v[25:26], v25 offset:20280
	s_waitcnt lgkmcnt(0)
	v_mul_f64 v[11:12], v[11:12], v[25:26]
	v_xor_b32_e32 v26, 0x80000000, v12
	v_mov_b32_e32 v25, v11
	ds_write_b64 v21, v[25:26]
.LBB41_388:
	s_or_b64 exec, exec, s[14:15]
	s_waitcnt lgkmcnt(0)
	s_barrier
	s_and_saveexec_b64 s[0:1], s[60:61]
	s_cbranch_execz .LBB41_390
; %bb.389:
	v_lshlrev_b32_e32 v25, 3, v19
	ds_read_b64 v[25:26], v25 offset:20224
	ds_read_b64 v[27:28], v21
	s_waitcnt lgkmcnt(0)
	v_fma_f64 v[11:12], -v[25:26], v[27:28], v[11:12]
.LBB41_390:
	s_or_b64 exec, exec, s[0:1]
	s_barrier
	s_and_saveexec_b64 s[14:15], s[62:63]
	s_cbranch_execz .LBB41_392
; %bb.391:
	v_mov_b32_e32 v25, 0
	ds_read_b64 v[25:26], v25 offset:19760
	s_waitcnt lgkmcnt(0)
	v_mul_f64 v[11:12], v[11:12], v[25:26]
	v_xor_b32_e32 v26, 0x80000000, v12
	v_mov_b32_e32 v25, v11
	ds_write_b64 v21, v[25:26]
.LBB41_392:
	s_or_b64 exec, exec, s[14:15]
	s_waitcnt lgkmcnt(0)
	s_barrier
	s_and_saveexec_b64 s[0:1], s[64:65]
	s_cbranch_execz .LBB41_394
; %bb.393:
	v_lshlrev_b32_e32 v25, 3, v19
	ds_read_b64 v[25:26], v25 offset:19712
	ds_read_b64 v[27:28], v21
	s_waitcnt lgkmcnt(0)
	v_fma_f64 v[11:12], -v[25:26], v[27:28], v[11:12]
.LBB41_394:
	s_or_b64 exec, exec, s[0:1]
	s_barrier
	s_and_saveexec_b64 s[14:15], s[66:67]
	s_cbranch_execz .LBB41_396
; %bb.395:
	v_mov_b32_e32 v25, 0
	ds_read_b64 v[25:26], v25 offset:19240
	s_waitcnt lgkmcnt(0)
	v_mul_f64 v[11:12], v[11:12], v[25:26]
	v_xor_b32_e32 v26, 0x80000000, v12
	v_mov_b32_e32 v25, v11
	ds_write_b64 v21, v[25:26]
.LBB41_396:
	s_or_b64 exec, exec, s[14:15]
	s_waitcnt lgkmcnt(0)
	s_barrier
	s_and_saveexec_b64 s[0:1], s[70:71]
	s_cbranch_execz .LBB41_398
; %bb.397:
	v_lshlrev_b32_e32 v25, 3, v19
	ds_read_b64 v[25:26], v25 offset:19200
	ds_read_b64 v[27:28], v21
	s_waitcnt lgkmcnt(0)
	v_fma_f64 v[11:12], -v[25:26], v[27:28], v[11:12]
.LBB41_398:
	s_or_b64 exec, exec, s[0:1]
	s_barrier
	s_and_saveexec_b64 s[14:15], s[72:73]
	s_cbranch_execz .LBB41_400
; %bb.399:
	v_mov_b32_e32 v25, 0
	ds_read_b64 v[25:26], v25 offset:18720
	s_waitcnt lgkmcnt(0)
	v_mul_f64 v[11:12], v[11:12], v[25:26]
	v_xor_b32_e32 v26, 0x80000000, v12
	v_mov_b32_e32 v25, v11
	ds_write_b64 v21, v[25:26]
.LBB41_400:
	s_or_b64 exec, exec, s[14:15]
	s_waitcnt lgkmcnt(0)
	s_barrier
	s_and_saveexec_b64 s[0:1], s[74:75]
	s_cbranch_execz .LBB41_402
; %bb.401:
	v_lshlrev_b32_e32 v25, 3, v19
	ds_read_b64 v[25:26], v25 offset:18688
	ds_read_b64 v[27:28], v21
	s_waitcnt lgkmcnt(0)
	v_fma_f64 v[11:12], -v[25:26], v[27:28], v[11:12]
.LBB41_402:
	s_or_b64 exec, exec, s[0:1]
	s_barrier
	s_and_saveexec_b64 s[14:15], s[76:77]
	s_cbranch_execz .LBB41_404
; %bb.403:
	v_mov_b32_e32 v25, 0
	ds_read_b64 v[25:26], v25 offset:18200
	s_waitcnt lgkmcnt(0)
	v_mul_f64 v[11:12], v[11:12], v[25:26]
	v_xor_b32_e32 v26, 0x80000000, v12
	v_mov_b32_e32 v25, v11
	ds_write_b64 v21, v[25:26]
.LBB41_404:
	s_or_b64 exec, exec, s[14:15]
	s_waitcnt lgkmcnt(0)
	s_barrier
	s_and_saveexec_b64 s[0:1], s[78:79]
	s_cbranch_execz .LBB41_406
; %bb.405:
	v_lshlrev_b32_e32 v25, 3, v19
	ds_read_b64 v[25:26], v25 offset:18176
	ds_read_b64 v[27:28], v21
	s_waitcnt lgkmcnt(0)
	v_fma_f64 v[11:12], -v[25:26], v[27:28], v[11:12]
.LBB41_406:
	s_or_b64 exec, exec, s[0:1]
	s_barrier
	s_and_saveexec_b64 s[14:15], s[80:81]
	s_cbranch_execz .LBB41_408
; %bb.407:
	v_mov_b32_e32 v25, 0
	ds_read_b64 v[25:26], v25 offset:17680
	s_waitcnt lgkmcnt(0)
	v_mul_f64 v[11:12], v[11:12], v[25:26]
	v_xor_b32_e32 v26, 0x80000000, v12
	v_mov_b32_e32 v25, v11
	ds_write_b64 v21, v[25:26]
.LBB41_408:
	s_or_b64 exec, exec, s[14:15]
	s_waitcnt lgkmcnt(0)
	s_barrier
	s_and_saveexec_b64 s[0:1], s[82:83]
	s_cbranch_execz .LBB41_410
; %bb.409:
	v_lshlrev_b32_e32 v25, 3, v19
	ds_read_b64 v[25:26], v25 offset:17664
	ds_read_b64 v[27:28], v21
	s_waitcnt lgkmcnt(0)
	v_fma_f64 v[11:12], -v[25:26], v[27:28], v[11:12]
.LBB41_410:
	s_or_b64 exec, exec, s[0:1]
	s_barrier
	s_and_saveexec_b64 s[14:15], s[84:85]
	s_cbranch_execz .LBB41_412
; %bb.411:
	v_mov_b32_e32 v25, 0
	ds_read_b64 v[25:26], v25 offset:17160
	s_waitcnt lgkmcnt(0)
	v_mul_f64 v[11:12], v[11:12], v[25:26]
	v_xor_b32_e32 v26, 0x80000000, v12
	v_mov_b32_e32 v25, v11
	ds_write_b64 v21, v[25:26]
.LBB41_412:
	s_or_b64 exec, exec, s[14:15]
	s_waitcnt lgkmcnt(0)
	s_barrier
	s_and_saveexec_b64 s[0:1], s[68:69]
	s_cbranch_execz .LBB41_414
; %bb.413:
	v_mov_b32_e32 v25, 0
	ds_read_b64 v[25:26], v25 offset:17152
	ds_read_b64 v[27:28], v21
	s_waitcnt lgkmcnt(0)
	v_fma_f64 v[11:12], -v[25:26], v[27:28], v[11:12]
.LBB41_414:
	s_or_b64 exec, exec, s[0:1]
	s_barrier
	s_and_saveexec_b64 s[14:15], s[68:69]
	s_cbranch_execz .LBB41_416
; %bb.415:
	v_mov_b32_e32 v25, 0
	ds_read_b64 v[25:26], v25 offset:16640
	s_waitcnt lgkmcnt(0)
	v_mul_f64 v[11:12], v[11:12], v[25:26]
	v_xor_b32_e32 v26, 0x80000000, v12
	v_mov_b32_e32 v25, v11
	ds_write_b64 v21, v[25:26]
.LBB41_416:
	s_or_b64 exec, exec, s[14:15]
	s_waitcnt lgkmcnt(0)
	s_barrier
	s_barrier
	s_and_saveexec_b64 s[0:1], s[8:9]
; %bb.417:
	v_lshlrev_b32_e32 v25, 3, v19
	v_lshl_or_b32 v25, v20, 9, v25
	ds_write_b64 v25, v[11:12] offset:20736
; %bb.418:
	s_or_b64 exec, exec, s[0:1]
	s_waitcnt lgkmcnt(0)
	s_barrier
	s_barrier
	s_and_saveexec_b64 s[14:15], s[86:87]
	s_cbranch_execz .LBB41_420
; %bb.419:
	v_lshlrev_b32_e32 v25, 9, v0
	ds_read_b64 v[11:12], v25 offset:20736
	s_movk_i32 s0, 0xfe08
	v_mad_i32_i24 v26, v0, s0, v25
	s_waitcnt lgkmcnt(0)
	ds_write_b64 v26, v[11:12] offset:16704
	ds_read_b64 v[11:12], v25 offset:20744
	s_waitcnt lgkmcnt(0)
	ds_write_b64 v26, v[11:12] offset:17216
	ds_read_b64 v[11:12], v25 offset:20752
	;; [unrolled: 3-line block ×7, first 2 shown]
	s_waitcnt lgkmcnt(0)
	ds_write_b64 v26, v[11:12] offset:20288
.LBB41_420:
	s_or_b64 exec, exec, s[14:15]
	s_waitcnt lgkmcnt(0)
	s_barrier
	s_and_saveexec_b64 s[14:15], vcc
	s_cbranch_execz .LBB41_422
; %bb.421:
	v_mov_b32_e32 v11, 0
	ds_read_b128 v[25:28], v11 offset:20272
	ds_read_b64 v[11:12], v11 offset:19760
	s_movk_i32 s0, 0x4800
	s_waitcnt lgkmcnt(0)
	v_mul_f64 v[11:12], v[11:12], v[27:28]
	v_mul_f64 v[11:12], v[25:26], v[11:12]
	v_add_u32_e64 v25, s0, 0
	ds_write2_b64 v25, v[11:12], v[11:12] offset0:167 offset1:230
.LBB41_422:
	s_or_b64 exec, exec, s[14:15]
	v_mov_b32_e32 v11, 0
	v_mov_b32_e32 v12, 0
	s_waitcnt lgkmcnt(0)
	s_barrier
	buffer_wbinvl1_vol
	s_and_saveexec_b64 s[16:17], s[2:3]
	s_cbranch_execz .LBB41_426
; %bb.423:
	v_lshlrev_b32_e32 v25, 9, v13
	v_lshlrev_b32_e32 v11, 3, v1
	ds_read_b64 v[11:12], v11 offset:19744
	ds_read_b64 v[25:26], v25 offset:19760
	v_cmp_gt_u32_e64 s[14:15], 2, v15
	s_waitcnt lgkmcnt(0)
	v_fma_f64 v[11:12], v[11:12], v[25:26], 0
	s_and_saveexec_b64 s[20:21], s[14:15]
	s_cbranch_execz .LBB41_425
; %bb.424:
	v_lshlrev_b32_e32 v25, 3, v0
	v_mov_b32_e32 v27, 0
	ds_read_b64 v[25:26], v25 offset:20256
	ds_read_b64 v[27:28], v27 offset:20280
	s_waitcnt lgkmcnt(0)
	v_fma_f64 v[11:12], v[25:26], v[27:28], v[11:12]
.LBB41_425:
	s_or_b64 exec, exec, s[20:21]
.LBB41_426:
	s_or_b64 exec, exec, s[16:17]
	s_and_saveexec_b64 s[14:15], s[28:29]
	s_cbranch_execz .LBB41_428
; %bb.427:
	v_mov_b32_e32 v25, 0
	ds_read_b64 v[25:26], v25 offset:19240
	s_waitcnt lgkmcnt(0)
	v_mul_f64 v[11:12], v[11:12], v[25:26]
	v_xor_b32_e32 v26, 0x80000000, v12
	v_mov_b32_e32 v25, v11
	ds_write_b64 v14, v[25:26]
.LBB41_428:
	s_or_b64 exec, exec, s[14:15]
	s_waitcnt lgkmcnt(0)
	s_barrier
	s_and_saveexec_b64 s[0:1], s[26:27]
	s_cbranch_execz .LBB41_430
; %bb.429:
	v_mov_b32_e32 v25, 0
	ds_read_b64 v[25:26], v25 offset:19232
	ds_read_b64 v[27:28], v14
	s_waitcnt lgkmcnt(0)
	v_fma_f64 v[11:12], -v[25:26], v[27:28], v[11:12]
.LBB41_430:
	s_or_b64 exec, exec, s[0:1]
	s_barrier
	s_and_saveexec_b64 s[14:15], s[26:27]
	s_cbranch_execz .LBB41_432
; %bb.431:
	v_mov_b32_e32 v25, 0
	ds_read_b64 v[25:26], v25 offset:18720
	s_waitcnt lgkmcnt(0)
	v_mul_f64 v[11:12], v[11:12], v[25:26]
	v_xor_b32_e32 v26, 0x80000000, v12
	v_mov_b32_e32 v25, v11
	ds_write_b64 v14, v[25:26]
.LBB41_432:
	s_or_b64 exec, exec, s[14:15]
	s_waitcnt lgkmcnt(0)
	s_barrier
	s_barrier
	s_and_saveexec_b64 s[0:1], s[2:3]
; %bb.433:
	v_lshlrev_b32_e32 v25, 3, v1
	v_lshl_or_b32 v25, v13, 9, v25
	ds_write_b64 v25, v[11:12] offset:19744
; %bb.434:
	s_or_b64 exec, exec, s[0:1]
	s_waitcnt lgkmcnt(0)
	s_barrier
	s_barrier
	s_and_saveexec_b64 s[14:15], s[30:31]
	s_cbranch_execz .LBB41_436
; %bb.435:
	v_lshlrev_b32_e32 v25, 3, v0
	s_movk_i32 s0, 0x1f8
	v_mad_u32_u24 v26, v0, s0, v25
	ds_read_b64 v[11:12], v26 offset:19744
	s_waitcnt lgkmcnt(0)
	ds_write_b64 v25, v[11:12] offset:18736
	ds_read_b64 v[11:12], v26 offset:19752
	s_waitcnt lgkmcnt(0)
	ds_write_b64 v25, v[11:12] offset:19248
.LBB41_436:
	s_or_b64 exec, exec, s[14:15]
	s_waitcnt lgkmcnt(0)
	s_barrier
	s_and_saveexec_b64 s[14:15], vcc
	s_cbranch_execz .LBB41_438
; %bb.437:
	v_mov_b32_e32 v11, 0
	ds_read_b128 v[25:28], v11 offset:19232
	ds_read_b64 v[11:12], v11 offset:18720
	s_movk_i32 s0, 0x4800
	s_waitcnt lgkmcnt(0)
	v_mul_f64 v[11:12], v[11:12], v[27:28]
	v_mul_f64 v[11:12], v[25:26], v[11:12]
	v_add_u32_e64 v25, s0, 0
	ds_write2_b64 v25, v[11:12], v[11:12] offset0:37 offset1:100
.LBB41_438:
	s_or_b64 exec, exec, s[14:15]
	v_mov_b32_e32 v11, 0
	v_mov_b32_e32 v12, 0
	s_waitcnt lgkmcnt(0)
	s_barrier
	buffer_wbinvl1_vol
	s_and_saveexec_b64 s[16:17], s[18:19]
	s_cbranch_execz .LBB41_444
; %bb.439:
	v_lshlrev_b32_e32 v26, 3, v16
	v_lshlrev_b32_e32 v25, 9, v17
	ds_read_b64 v[11:12], v26 offset:18688
	ds_read_b64 v[27:28], v25 offset:18720
	v_cmp_gt_u32_e64 s[14:15], 12, v15
	s_waitcnt lgkmcnt(0)
	v_fma_f64 v[11:12], v[11:12], v[27:28], 0
	s_and_saveexec_b64 s[0:1], s[14:15]
	s_cbranch_execnz .LBB41_1120
; %bb.440:
	s_or_b64 exec, exec, s[0:1]
	v_cmp_gt_u32_e64 s[14:15], 8, v15
	s_and_saveexec_b64 s[0:1], s[14:15]
	s_cbranch_execnz .LBB41_1121
.LBB41_441:
	s_or_b64 exec, exec, s[0:1]
	v_cmp_gt_u32_e64 s[14:15], 4, v15
	s_and_saveexec_b64 s[20:21], s[14:15]
	s_cbranch_execz .LBB41_443
.LBB41_442:
	v_lshlrev_b32_e32 v25, 3, v0
	v_mov_b32_e32 v27, 0
	ds_read_b64 v[25:26], v25 offset:20224
	ds_read_b64 v[27:28], v27 offset:20280
	s_waitcnt lgkmcnt(0)
	v_fma_f64 v[11:12], v[25:26], v[27:28], v[11:12]
.LBB41_443:
	s_or_b64 exec, exec, s[20:21]
.LBB41_444:
	s_or_b64 exec, exec, s[16:17]
	s_and_saveexec_b64 s[14:15], s[36:37]
	s_cbranch_execz .LBB41_446
; %bb.445:
	v_mov_b32_e32 v25, 0
	ds_read_b64 v[25:26], v25 offset:18200
	s_waitcnt lgkmcnt(0)
	v_mul_f64 v[11:12], v[11:12], v[25:26]
	v_xor_b32_e32 v26, 0x80000000, v12
	v_mov_b32_e32 v25, v11
	ds_write_b64 v18, v[25:26]
.LBB41_446:
	s_or_b64 exec, exec, s[14:15]
	s_waitcnt lgkmcnt(0)
	s_barrier
	s_and_saveexec_b64 s[0:1], s[38:39]
	s_cbranch_execz .LBB41_448
; %bb.447:
	v_lshlrev_b32_e32 v25, 3, v16
	ds_read_b64 v[25:26], v25 offset:18176
	ds_read_b64 v[27:28], v18
	s_waitcnt lgkmcnt(0)
	v_fma_f64 v[11:12], -v[25:26], v[27:28], v[11:12]
.LBB41_448:
	s_or_b64 exec, exec, s[0:1]
	s_barrier
	s_and_saveexec_b64 s[14:15], s[42:43]
	s_cbranch_execz .LBB41_450
; %bb.449:
	v_mov_b32_e32 v25, 0
	ds_read_b64 v[25:26], v25 offset:17680
	s_waitcnt lgkmcnt(0)
	v_mul_f64 v[11:12], v[11:12], v[25:26]
	v_xor_b32_e32 v26, 0x80000000, v12
	v_mov_b32_e32 v25, v11
	ds_write_b64 v18, v[25:26]
.LBB41_450:
	s_or_b64 exec, exec, s[14:15]
	s_waitcnt lgkmcnt(0)
	s_barrier
	s_and_saveexec_b64 s[0:1], s[52:53]
	s_cbranch_execz .LBB41_452
; %bb.451:
	v_lshlrev_b32_e32 v25, 3, v16
	ds_read_b64 v[25:26], v25 offset:17664
	ds_read_b64 v[27:28], v18
	s_waitcnt lgkmcnt(0)
	v_fma_f64 v[11:12], -v[25:26], v[27:28], v[11:12]
.LBB41_452:
	s_or_b64 exec, exec, s[0:1]
	s_barrier
	s_and_saveexec_b64 s[14:15], s[54:55]
	s_cbranch_execz .LBB41_454
; %bb.453:
	v_mov_b32_e32 v25, 0
	ds_read_b64 v[25:26], v25 offset:17160
	s_waitcnt lgkmcnt(0)
	v_mul_f64 v[11:12], v[11:12], v[25:26]
	v_xor_b32_e32 v26, 0x80000000, v12
	v_mov_b32_e32 v25, v11
	ds_write_b64 v18, v[25:26]
.LBB41_454:
	s_or_b64 exec, exec, s[14:15]
	s_waitcnt lgkmcnt(0)
	s_barrier
	s_and_saveexec_b64 s[0:1], s[34:35]
	s_cbranch_execz .LBB41_456
; %bb.455:
	v_mov_b32_e32 v25, 0
	ds_read_b64 v[25:26], v25 offset:17152
	ds_read_b64 v[27:28], v18
	s_waitcnt lgkmcnt(0)
	v_fma_f64 v[11:12], -v[25:26], v[27:28], v[11:12]
.LBB41_456:
	s_or_b64 exec, exec, s[0:1]
	s_barrier
	s_and_saveexec_b64 s[14:15], s[34:35]
	s_cbranch_execz .LBB41_458
; %bb.457:
	v_mov_b32_e32 v25, 0
	ds_read_b64 v[25:26], v25 offset:16640
	s_waitcnt lgkmcnt(0)
	v_mul_f64 v[11:12], v[11:12], v[25:26]
	v_xor_b32_e32 v26, 0x80000000, v12
	v_mov_b32_e32 v25, v11
	ds_write_b64 v18, v[25:26]
.LBB41_458:
	s_or_b64 exec, exec, s[14:15]
	s_waitcnt lgkmcnt(0)
	s_barrier
	s_barrier
	s_and_saveexec_b64 s[0:1], s[18:19]
; %bb.459:
	v_lshlrev_b32_e32 v25, 3, v16
	v_lshl_or_b32 v25, v17, 9, v25
	ds_write_b64 v25, v[11:12] offset:18688
; %bb.460:
	s_or_b64 exec, exec, s[0:1]
	s_waitcnt lgkmcnt(0)
	s_barrier
	s_barrier
	s_and_saveexec_b64 s[14:15], s[56:57]
	s_cbranch_execz .LBB41_462
; %bb.461:
	v_lshlrev_b32_e32 v25, 9, v0
	ds_read_b64 v[11:12], v25 offset:18688
	s_movk_i32 s0, 0xfe08
	v_mad_i32_i24 v26, v0, s0, v25
	s_waitcnt lgkmcnt(0)
	ds_write_b64 v26, v[11:12] offset:16672
	ds_read_b64 v[11:12], v25 offset:18696
	s_waitcnt lgkmcnt(0)
	ds_write_b64 v26, v[11:12] offset:17184
	ds_read_b64 v[11:12], v25 offset:18704
	;; [unrolled: 3-line block ×3, first 2 shown]
	s_waitcnt lgkmcnt(0)
	ds_write_b64 v26, v[11:12] offset:18208
.LBB41_462:
	s_or_b64 exec, exec, s[14:15]
	s_waitcnt lgkmcnt(0)
	s_barrier
	s_and_saveexec_b64 s[14:15], vcc
	s_cbranch_execz .LBB41_464
; %bb.463:
	v_mov_b32_e32 v11, 0
	ds_read_b128 v[25:28], v11 offset:18192
	ds_read_b64 v[11:12], v11 offset:17680
	s_movk_i32 s0, 0x4000
	s_waitcnt lgkmcnt(0)
	v_mul_f64 v[11:12], v[11:12], v[27:28]
	v_mul_f64 v[11:12], v[25:26], v[11:12]
	v_add_u32_e64 v25, s0, 0
	ds_write2_b64 v25, v[11:12], v[11:12] offset0:163 offset1:226
.LBB41_464:
	s_or_b64 exec, exec, s[14:15]
	v_mov_b32_e32 v11, 0
	v_mov_b32_e32 v12, 0
	s_waitcnt lgkmcnt(0)
	s_barrier
	buffer_wbinvl1_vol
	s_and_saveexec_b64 s[16:17], s[2:3]
	s_cbranch_execz .LBB41_468
; %bb.465:
	v_lshlrev_b32_e32 v25, 9, v13
	v_lshlrev_b32_e32 v11, 3, v1
	ds_read_b64 v[11:12], v11 offset:17664
	ds_read_b64 v[25:26], v25 offset:17680
	v_cmp_gt_u32_e64 s[14:15], 2, v15
	s_waitcnt lgkmcnt(0)
	v_fma_f64 v[11:12], v[11:12], v[25:26], 0
	s_and_saveexec_b64 s[20:21], s[14:15]
	s_cbranch_execz .LBB41_467
; %bb.466:
	v_lshlrev_b32_e32 v25, 3, v0
	v_mov_b32_e32 v27, 0
	ds_read_b64 v[25:26], v25 offset:18176
	ds_read_b64 v[27:28], v27 offset:18200
	s_waitcnt lgkmcnt(0)
	v_fma_f64 v[11:12], v[25:26], v[27:28], v[11:12]
.LBB41_467:
	s_or_b64 exec, exec, s[20:21]
.LBB41_468:
	s_or_b64 exec, exec, s[16:17]
	s_and_saveexec_b64 s[14:15], s[28:29]
	s_cbranch_execz .LBB41_470
; %bb.469:
	v_mov_b32_e32 v25, 0
	ds_read_b64 v[25:26], v25 offset:17160
	s_waitcnt lgkmcnt(0)
	v_mul_f64 v[11:12], v[11:12], v[25:26]
	v_xor_b32_e32 v26, 0x80000000, v12
	v_mov_b32_e32 v25, v11
	ds_write_b64 v14, v[25:26]
.LBB41_470:
	s_or_b64 exec, exec, s[14:15]
	s_waitcnt lgkmcnt(0)
	s_barrier
	s_and_saveexec_b64 s[0:1], s[26:27]
	s_cbranch_execz .LBB41_472
; %bb.471:
	v_mov_b32_e32 v25, 0
	ds_read_b64 v[25:26], v25 offset:17152
	ds_read_b64 v[27:28], v14
	s_waitcnt lgkmcnt(0)
	v_fma_f64 v[11:12], -v[25:26], v[27:28], v[11:12]
.LBB41_472:
	s_or_b64 exec, exec, s[0:1]
	s_barrier
	s_and_saveexec_b64 s[14:15], s[26:27]
	s_cbranch_execz .LBB41_474
; %bb.473:
	v_mov_b32_e32 v25, 0
	ds_read_b64 v[25:26], v25 offset:16640
	s_waitcnt lgkmcnt(0)
	v_mul_f64 v[11:12], v[11:12], v[25:26]
	v_xor_b32_e32 v26, 0x80000000, v12
	v_mov_b32_e32 v25, v11
	ds_write_b64 v14, v[25:26]
.LBB41_474:
	s_or_b64 exec, exec, s[14:15]
	s_waitcnt lgkmcnt(0)
	s_barrier
	s_barrier
	s_and_saveexec_b64 s[0:1], s[2:3]
; %bb.475:
	v_lshlrev_b32_e32 v25, 3, v1
	v_lshl_or_b32 v25, v13, 9, v25
	ds_write_b64 v25, v[11:12] offset:17664
; %bb.476:
	s_or_b64 exec, exec, s[0:1]
	s_waitcnt lgkmcnt(0)
	s_barrier
	s_barrier
	s_and_saveexec_b64 s[14:15], s[30:31]
	s_cbranch_execz .LBB41_478
; %bb.477:
	v_lshlrev_b32_e32 v25, 3, v0
	s_movk_i32 s0, 0x1f8
	v_mad_u32_u24 v26, v0, s0, v25
	ds_read_b64 v[11:12], v26 offset:17664
	s_waitcnt lgkmcnt(0)
	ds_write_b64 v25, v[11:12] offset:16656
	ds_read_b64 v[11:12], v26 offset:17672
	s_waitcnt lgkmcnt(0)
	ds_write_b64 v25, v[11:12] offset:17168
.LBB41_478:
	s_or_b64 exec, exec, s[14:15]
	s_waitcnt lgkmcnt(0)
	s_barrier
	s_and_saveexec_b64 s[14:15], vcc
	s_cbranch_execz .LBB41_480
; %bb.479:
	v_mov_b32_e32 v11, 0
	ds_read_b128 v[25:28], v11 offset:17152
	ds_read_b64 v[11:12], v11 offset:16640
	s_movk_i32 s0, 0x4000
	s_waitcnt lgkmcnt(0)
	v_mul_f64 v[11:12], v[11:12], v[27:28]
	v_mul_f64 v[11:12], v[25:26], v[11:12]
	v_add_u32_e64 v25, s0, 0
	ds_write2_b64 v25, v[11:12], v[11:12] offset0:33 offset1:96
.LBB41_480:
	s_or_b64 exec, exec, s[14:15]
	s_movk_i32 s0, 0x3ff
	v_lshrrev_b32_e32 v27, 5, v15
	v_cmp_lt_u32_e64 s[16:17], s0, v15
	s_movk_i32 s0, 0x400
	v_mov_b32_e32 v11, 0
	v_and_b32_e32 v25, 31, v0
	v_sub_u32_e32 v26, 31, v27
	v_mov_b32_e32 v12, 0
	v_cmp_gt_u32_e64 s[14:15], s0, v15
	s_waitcnt lgkmcnt(0)
	s_barrier
	buffer_wbinvl1_vol
	s_and_saveexec_b64 s[94:95], s[14:15]
	s_cbranch_execz .LBB41_542
; %bb.481:
	v_lshlrev_b32_e32 v29, 3, v25
	v_lshlrev_b32_e32 v28, 9, v26
	ds_read_b64 v[11:12], v29 offset:16384
	ds_read_b64 v[30:31], v28 offset:16640
	s_movk_i32 s0, 0x3e0
	v_cmp_gt_u32_e64 s[20:21], s0, v15
	s_waitcnt lgkmcnt(0)
	v_fma_f64 v[11:12], v[11:12], v[30:31], 0
	s_and_saveexec_b64 s[0:1], s[20:21]
	s_cbranch_execz .LBB41_483
; %bb.482:
	ds_read_b64 v[30:31], v29 offset:16896
	ds_read_b64 v[32:33], v28 offset:16648
	s_waitcnt lgkmcnt(0)
	v_fma_f64 v[11:12], v[30:31], v[32:33], v[11:12]
.LBB41_483:
	s_or_b64 exec, exec, s[0:1]
	s_movk_i32 s0, 0x3c0
	v_cmp_gt_u32_e64 s[20:21], s0, v15
	s_and_saveexec_b64 s[0:1], s[20:21]
	s_cbranch_execz .LBB41_485
; %bb.484:
	ds_read_b64 v[30:31], v29 offset:17408
	ds_read_b64 v[32:33], v28 offset:16656
	s_waitcnt lgkmcnt(0)
	v_fma_f64 v[11:12], v[30:31], v[32:33], v[11:12]
.LBB41_485:
	s_or_b64 exec, exec, s[0:1]
	s_movk_i32 s0, 0x3a0
	v_cmp_gt_u32_e64 s[20:21], s0, v15
	;; [unrolled: 11-line block ×22, first 2 shown]
	s_and_saveexec_b64 s[0:1], s[20:21]
	s_cbranch_execz .LBB41_527
; %bb.526:
	ds_read_b64 v[30:31], v29 offset:28160
	ds_read_b64 v[32:33], v28 offset:16824
	s_waitcnt lgkmcnt(0)
	v_fma_f64 v[11:12], v[30:31], v[32:33], v[11:12]
.LBB41_527:
	s_or_b64 exec, exec, s[0:1]
	s_and_saveexec_b64 s[0:1], s[10:11]
	s_cbranch_execz .LBB41_529
; %bb.528:
	ds_read_b64 v[30:31], v29 offset:28672
	ds_read_b64 v[32:33], v28 offset:16832
	s_waitcnt lgkmcnt(0)
	v_fma_f64 v[11:12], v[30:31], v[32:33], v[11:12]
.LBB41_529:
	s_or_b64 exec, exec, s[0:1]
	s_movk_i32 s0, 0xe0
	v_cmp_gt_u32_e64 s[20:21], s0, v15
	s_and_saveexec_b64 s[0:1], s[20:21]
	s_cbranch_execz .LBB41_531
; %bb.530:
	ds_read_b64 v[30:31], v29 offset:29184
	ds_read_b64 v[32:33], v28 offset:16840
	s_waitcnt lgkmcnt(0)
	v_fma_f64 v[11:12], v[30:31], v[32:33], v[11:12]
.LBB41_531:
	s_or_b64 exec, exec, s[0:1]
	s_movk_i32 s0, 0xc0
	v_cmp_gt_u32_e64 s[20:21], s0, v15
	;; [unrolled: 11-line block ×5, first 2 shown]
	s_and_saveexec_b64 s[0:1], s[20:21]
	s_cbranch_execnz .LBB41_1122
; %bb.538:
	s_or_b64 exec, exec, s[0:1]
	s_and_saveexec_b64 s[0:1], s[8:9]
	s_cbranch_execnz .LBB41_1123
.LBB41_539:
	s_or_b64 exec, exec, s[0:1]
	v_cmp_gt_u32_e64 s[20:21], 32, v15
	s_and_saveexec_b64 s[0:1], s[20:21]
	s_cbranch_execz .LBB41_541
.LBB41_540:
	v_lshlrev_b32_e32 v28, 3, v0
	v_mov_b32_e32 v30, 0
	ds_read_b64 v[28:29], v28 offset:32256
	ds_read_b64 v[30:31], v30 offset:32760
	s_waitcnt lgkmcnt(0)
	v_fma_f64 v[11:12], v[28:29], v[30:31], v[11:12]
.LBB41_541:
	s_or_b64 exec, exec, s[0:1]
.LBB41_542:
	s_or_b64 exec, exec, s[94:95]
	v_mov_b32_e32 v28, 0x8000
	s_movk_i32 s0, 0x208
	v_lshlrev_b32_e32 v29, 9, v25
	v_mov_b32_e32 v30, 0x3800
	v_lshl_add_u32 v27, v27, 3, v28
	v_mul_u32_u24_e32 v28, 0x208, v25
	v_sub_u32_e32 v29, 0, v29
	v_mad_u32_u24 v30, v25, s0, v30
	s_mov_b32 s94, 31
	s_xor_b64 s[20:21], s[16:17], -1
	s_branch .LBB41_544
.LBB41_543:                             ;   in Loop: Header=BB41_544 Depth=1
	s_or_b64 exec, exec, s[0:1]
	s_add_i32 s94, s94, -4
	s_cmp_eq_u32 s95, 0
	v_add_u32_e32 v29, 0xfffff800, v29
	s_barrier
	s_cbranch_scc1 .LBB41_560
.LBB41_544:                             ; =>This Inner Loop Header: Depth=1
	s_movk_i32 s0, 0xc200
	v_cmp_eq_u32_e64 s[16:17], s0, v29
	s_and_b64 s[16:17], s[20:21], s[16:17]
	s_and_saveexec_b64 s[0:1], s[16:17]
	s_cbranch_execz .LBB41_546
; %bb.545:                              ;   in Loop: Header=BB41_544 Depth=1
	ds_read_b64 v[31:32], v28
	s_waitcnt lgkmcnt(0)
	v_mul_f64 v[11:12], v[11:12], v[31:32]
	v_xor_b32_e32 v32, 0x80000000, v12
	v_mov_b32_e32 v31, v11
	ds_write_b64 v27, v[31:32]
.LBB41_546:                             ;   in Loop: Header=BB41_544 Depth=1
	s_or_b64 exec, exec, s[0:1]
	v_cmp_gt_u32_e64 s[16:17], s94, v25
	s_and_b64 s[16:17], s[20:21], s[16:17]
	v_add_u32_e32 v31, v30, v29
	s_waitcnt lgkmcnt(0)
	s_barrier
	s_and_saveexec_b64 s[0:1], s[16:17]
	s_cbranch_execz .LBB41_548
; %bb.547:                              ;   in Loop: Header=BB41_544 Depth=1
	ds_read_b64 v[32:33], v31 offset:1536
	ds_read_b64 v[34:35], v27
	s_waitcnt lgkmcnt(0)
	v_fma_f64 v[11:12], -v[32:33], v[34:35], v[11:12]
.LBB41_548:                             ;   in Loop: Header=BB41_544 Depth=1
	s_or_b64 exec, exec, s[0:1]
	s_add_i32 s95, s94, -1
	v_cmp_eq_u32_e64 s[16:17], s95, v25
	s_and_b64 s[16:17], s[20:21], s[16:17]
	s_barrier
	s_and_saveexec_b64 s[0:1], s[16:17]
	s_cbranch_execz .LBB41_550
; %bb.549:                              ;   in Loop: Header=BB41_544 Depth=1
	ds_read_b64 v[32:33], v28
	s_waitcnt lgkmcnt(0)
	v_mul_f64 v[11:12], v[11:12], v[32:33]
	v_xor_b32_e32 v33, 0x80000000, v12
	v_mov_b32_e32 v32, v11
	ds_write_b64 v27, v[32:33]
.LBB41_550:                             ;   in Loop: Header=BB41_544 Depth=1
	s_or_b64 exec, exec, s[0:1]
	v_cmp_gt_u32_e64 s[16:17], s95, v25
	s_and_b64 s[16:17], s[20:21], s[16:17]
	s_waitcnt lgkmcnt(0)
	s_barrier
	s_and_saveexec_b64 s[0:1], s[16:17]
	s_cbranch_execz .LBB41_552
; %bb.551:                              ;   in Loop: Header=BB41_544 Depth=1
	ds_read_b64 v[32:33], v31 offset:1024
	ds_read_b64 v[34:35], v27
	s_waitcnt lgkmcnt(0)
	v_fma_f64 v[11:12], -v[32:33], v[34:35], v[11:12]
.LBB41_552:                             ;   in Loop: Header=BB41_544 Depth=1
	s_or_b64 exec, exec, s[0:1]
	s_add_i32 s95, s94, -2
	v_cmp_eq_u32_e64 s[16:17], s95, v25
	s_and_b64 s[16:17], s[20:21], s[16:17]
	s_barrier
	s_and_saveexec_b64 s[0:1], s[16:17]
	s_cbranch_execz .LBB41_554
; %bb.553:                              ;   in Loop: Header=BB41_544 Depth=1
	ds_read_b64 v[32:33], v28
	s_waitcnt lgkmcnt(0)
	v_mul_f64 v[11:12], v[11:12], v[32:33]
	v_xor_b32_e32 v33, 0x80000000, v12
	v_mov_b32_e32 v32, v11
	ds_write_b64 v27, v[32:33]
.LBB41_554:                             ;   in Loop: Header=BB41_544 Depth=1
	s_or_b64 exec, exec, s[0:1]
	v_cmp_gt_u32_e64 s[16:17], s95, v25
	s_and_b64 s[16:17], s[20:21], s[16:17]
	s_waitcnt lgkmcnt(0)
	s_barrier
	s_and_saveexec_b64 s[0:1], s[16:17]
	s_cbranch_execz .LBB41_556
; %bb.555:                              ;   in Loop: Header=BB41_544 Depth=1
	ds_read_b64 v[32:33], v31 offset:512
	ds_read_b64 v[34:35], v27
	s_waitcnt lgkmcnt(0)
	v_fma_f64 v[11:12], -v[32:33], v[34:35], v[11:12]
.LBB41_556:                             ;   in Loop: Header=BB41_544 Depth=1
	s_or_b64 exec, exec, s[0:1]
	s_add_i32 s95, s94, -3
	v_cmp_eq_u32_e64 s[16:17], s95, v25
	s_and_b64 s[16:17], s[20:21], s[16:17]
	s_barrier
	s_and_saveexec_b64 s[0:1], s[16:17]
	s_cbranch_execz .LBB41_558
; %bb.557:                              ;   in Loop: Header=BB41_544 Depth=1
	ds_read_b64 v[32:33], v28
	s_waitcnt lgkmcnt(0)
	v_mul_f64 v[11:12], v[11:12], v[32:33]
	v_xor_b32_e32 v33, 0x80000000, v12
	v_mov_b32_e32 v32, v11
	ds_write_b64 v27, v[32:33]
.LBB41_558:                             ;   in Loop: Header=BB41_544 Depth=1
	s_or_b64 exec, exec, s[0:1]
	v_cmp_gt_u32_e64 s[16:17], s95, v25
	s_and_b64 s[16:17], s[20:21], s[16:17]
	s_waitcnt lgkmcnt(0)
	s_barrier
	s_and_saveexec_b64 s[0:1], s[16:17]
	s_cbranch_execz .LBB41_543
; %bb.559:                              ;   in Loop: Header=BB41_544 Depth=1
	ds_read_b64 v[31:32], v31
	ds_read_b64 v[33:34], v27
	s_waitcnt lgkmcnt(0)
	v_fma_f64 v[11:12], -v[31:32], v[33:34], v[11:12]
	s_branch .LBB41_543
.LBB41_560:
	s_and_saveexec_b64 s[0:1], s[14:15]
; %bb.561:
	v_lshlrev_b32_e32 v25, 3, v25
	v_lshl_or_b32 v25, v26, 9, v25
	ds_write_b64 v25, v[11:12] offset:16384
; %bb.562:
	s_or_b64 exec, exec, s[0:1]
	v_cmp_gt_u32_e64 s[14:15], 32, v0
	s_and_b64 s[0:1], s[12:13], s[14:15]
	s_waitcnt lgkmcnt(0)
	s_barrier
	s_barrier
	s_and_saveexec_b64 s[12:13], s[0:1]
	s_cbranch_execz .LBB41_564
; %bb.563:
	v_lshlrev_b32_e32 v25, 9, v0
	ds_read_b64 v[11:12], v25 offset:16384
	s_movk_i32 s0, 0xfe08
	v_mad_i32_i24 v26, v0, s0, v25
	s_waitcnt lgkmcnt(0)
	ds_write_b64 v26, v[11:12] offset:256
	ds_read_b64 v[11:12], v25 offset:16392
	s_waitcnt lgkmcnt(0)
	ds_write_b64 v26, v[11:12] offset:768
	ds_read_b64 v[11:12], v25 offset:16400
	;; [unrolled: 3-line block ×31, first 2 shown]
	s_waitcnt lgkmcnt(0)
	ds_write_b64 v26, v[11:12] offset:16128
.LBB41_564:
	s_or_b64 exec, exec, s[12:13]
	s_waitcnt lgkmcnt(0)
	s_barrier
	s_and_saveexec_b64 s[12:13], vcc
	s_cbranch_execz .LBB41_566
; %bb.565:
	v_mov_b32_e32 v11, 0
	ds_read_b128 v[25:28], v11 offset:16112
	ds_read_b64 v[11:12], v11 offset:15600
	s_movk_i32 s0, 0x3800
	s_waitcnt lgkmcnt(0)
	v_mul_f64 v[11:12], v[11:12], v[27:28]
	v_mul_f64 v[11:12], v[25:26], v[11:12]
	v_add_u32_e64 v25, s0, 0
	ds_write2_b64 v25, v[11:12], v[11:12] offset0:159 offset1:222
.LBB41_566:
	s_or_b64 exec, exec, s[12:13]
	v_mov_b32_e32 v11, 0
	v_mov_b32_e32 v12, 0
	s_waitcnt lgkmcnt(0)
	s_barrier
	buffer_wbinvl1_vol
	s_and_saveexec_b64 s[14:15], s[2:3]
	s_cbranch_execz .LBB41_570
; %bb.567:
	v_lshlrev_b32_e32 v25, 9, v13
	v_lshlrev_b32_e32 v11, 3, v1
	ds_read_b64 v[11:12], v11 offset:15584
	ds_read_b64 v[25:26], v25 offset:15600
	v_cmp_gt_u32_e64 s[12:13], 2, v15
	s_waitcnt lgkmcnt(0)
	v_fma_f64 v[11:12], v[11:12], v[25:26], 0
	s_and_saveexec_b64 s[0:1], s[12:13]
	s_cbranch_execz .LBB41_569
; %bb.568:
	v_lshlrev_b32_e32 v25, 3, v0
	v_mov_b32_e32 v27, 0
	ds_read_b64 v[25:26], v25 offset:16096
	ds_read_b64 v[27:28], v27 offset:16120
	s_waitcnt lgkmcnt(0)
	v_fma_f64 v[11:12], v[25:26], v[27:28], v[11:12]
.LBB41_569:
	s_or_b64 exec, exec, s[0:1]
.LBB41_570:
	s_or_b64 exec, exec, s[14:15]
	s_and_saveexec_b64 s[12:13], s[28:29]
	s_cbranch_execz .LBB41_572
; %bb.571:
	v_mov_b32_e32 v25, 0
	ds_read_b64 v[25:26], v25 offset:15080
	s_waitcnt lgkmcnt(0)
	v_mul_f64 v[11:12], v[11:12], v[25:26]
	v_xor_b32_e32 v26, 0x80000000, v12
	v_mov_b32_e32 v25, v11
	ds_write_b64 v14, v[25:26]
.LBB41_572:
	s_or_b64 exec, exec, s[12:13]
	s_waitcnt lgkmcnt(0)
	s_barrier
	s_and_saveexec_b64 s[0:1], s[26:27]
	s_cbranch_execz .LBB41_574
; %bb.573:
	v_mov_b32_e32 v25, 0
	ds_read_b64 v[25:26], v25 offset:15072
	ds_read_b64 v[27:28], v14
	s_waitcnt lgkmcnt(0)
	v_fma_f64 v[11:12], -v[25:26], v[27:28], v[11:12]
.LBB41_574:
	s_or_b64 exec, exec, s[0:1]
	s_barrier
	s_and_saveexec_b64 s[12:13], s[26:27]
	s_cbranch_execz .LBB41_576
; %bb.575:
	v_mov_b32_e32 v25, 0
	ds_read_b64 v[25:26], v25 offset:14560
	s_waitcnt lgkmcnt(0)
	v_mul_f64 v[11:12], v[11:12], v[25:26]
	v_xor_b32_e32 v26, 0x80000000, v12
	v_mov_b32_e32 v25, v11
	ds_write_b64 v14, v[25:26]
.LBB41_576:
	s_or_b64 exec, exec, s[12:13]
	s_waitcnt lgkmcnt(0)
	s_barrier
	s_barrier
	s_and_saveexec_b64 s[0:1], s[2:3]
; %bb.577:
	v_lshlrev_b32_e32 v25, 3, v1
	v_lshl_or_b32 v25, v13, 9, v25
	ds_write_b64 v25, v[11:12] offset:15584
; %bb.578:
	s_or_b64 exec, exec, s[0:1]
	s_waitcnt lgkmcnt(0)
	s_barrier
	s_barrier
	s_and_saveexec_b64 s[0:1], s[30:31]
	s_cbranch_execz .LBB41_580
; %bb.579:
	v_lshlrev_b32_e32 v25, 3, v0
	s_movk_i32 s12, 0x1f8
	v_mad_u32_u24 v26, v0, s12, v25
	ds_read_b64 v[11:12], v26 offset:15584
	s_waitcnt lgkmcnt(0)
	ds_write_b64 v25, v[11:12] offset:14576
	ds_read_b64 v[11:12], v26 offset:15592
	s_waitcnt lgkmcnt(0)
	ds_write_b64 v25, v[11:12] offset:15088
.LBB41_580:
	s_or_b64 exec, exec, s[0:1]
	s_waitcnt lgkmcnt(0)
	s_barrier
	s_and_saveexec_b64 s[12:13], vcc
	s_cbranch_execz .LBB41_582
; %bb.581:
	v_mov_b32_e32 v11, 0
	ds_read_b128 v[25:28], v11 offset:15072
	ds_read_b64 v[11:12], v11 offset:14560
	s_movk_i32 s0, 0x3800
	s_waitcnt lgkmcnt(0)
	v_mul_f64 v[11:12], v[11:12], v[27:28]
	v_mul_f64 v[11:12], v[25:26], v[11:12]
	v_add_u32_e64 v25, s0, 0
	ds_write2_b64 v25, v[11:12], v[11:12] offset0:29 offset1:92
.LBB41_582:
	s_or_b64 exec, exec, s[12:13]
	v_mov_b32_e32 v11, 0
	v_mov_b32_e32 v12, 0
	s_waitcnt lgkmcnt(0)
	s_barrier
	buffer_wbinvl1_vol
	s_and_saveexec_b64 s[14:15], s[18:19]
	s_cbranch_execz .LBB41_588
; %bb.583:
	v_lshlrev_b32_e32 v26, 3, v16
	v_lshlrev_b32_e32 v25, 9, v17
	ds_read_b64 v[11:12], v26 offset:14528
	ds_read_b64 v[27:28], v25 offset:14560
	v_cmp_gt_u32_e64 s[12:13], 12, v15
	s_waitcnt lgkmcnt(0)
	v_fma_f64 v[11:12], v[11:12], v[27:28], 0
	s_and_saveexec_b64 s[0:1], s[12:13]
	s_cbranch_execnz .LBB41_1124
; %bb.584:
	s_or_b64 exec, exec, s[0:1]
	v_cmp_gt_u32_e64 s[12:13], 8, v15
	s_and_saveexec_b64 s[0:1], s[12:13]
	s_cbranch_execnz .LBB41_1125
.LBB41_585:
	s_or_b64 exec, exec, s[0:1]
	v_cmp_gt_u32_e64 s[12:13], 4, v15
	s_and_saveexec_b64 s[0:1], s[12:13]
	s_cbranch_execz .LBB41_587
.LBB41_586:
	v_lshlrev_b32_e32 v25, 3, v0
	v_mov_b32_e32 v27, 0
	ds_read_b64 v[25:26], v25 offset:16064
	ds_read_b64 v[27:28], v27 offset:16120
	s_waitcnt lgkmcnt(0)
	v_fma_f64 v[11:12], v[25:26], v[27:28], v[11:12]
.LBB41_587:
	s_or_b64 exec, exec, s[0:1]
.LBB41_588:
	s_or_b64 exec, exec, s[14:15]
	s_and_saveexec_b64 s[12:13], s[36:37]
	s_cbranch_execz .LBB41_590
; %bb.589:
	v_mov_b32_e32 v25, 0
	ds_read_b64 v[25:26], v25 offset:14040
	s_waitcnt lgkmcnt(0)
	v_mul_f64 v[11:12], v[11:12], v[25:26]
	v_xor_b32_e32 v26, 0x80000000, v12
	v_mov_b32_e32 v25, v11
	ds_write_b64 v18, v[25:26]
.LBB41_590:
	s_or_b64 exec, exec, s[12:13]
	s_waitcnt lgkmcnt(0)
	s_barrier
	s_and_saveexec_b64 s[0:1], s[38:39]
	s_cbranch_execz .LBB41_592
; %bb.591:
	v_lshlrev_b32_e32 v25, 3, v16
	ds_read_b64 v[25:26], v25 offset:14016
	ds_read_b64 v[27:28], v18
	s_waitcnt lgkmcnt(0)
	v_fma_f64 v[11:12], -v[25:26], v[27:28], v[11:12]
.LBB41_592:
	s_or_b64 exec, exec, s[0:1]
	s_barrier
	s_and_saveexec_b64 s[12:13], s[42:43]
	s_cbranch_execz .LBB41_594
; %bb.593:
	v_mov_b32_e32 v25, 0
	ds_read_b64 v[25:26], v25 offset:13520
	s_waitcnt lgkmcnt(0)
	v_mul_f64 v[11:12], v[11:12], v[25:26]
	v_xor_b32_e32 v26, 0x80000000, v12
	v_mov_b32_e32 v25, v11
	ds_write_b64 v18, v[25:26]
.LBB41_594:
	s_or_b64 exec, exec, s[12:13]
	s_waitcnt lgkmcnt(0)
	s_barrier
	s_and_saveexec_b64 s[0:1], s[52:53]
	s_cbranch_execz .LBB41_596
; %bb.595:
	v_lshlrev_b32_e32 v25, 3, v16
	ds_read_b64 v[25:26], v25 offset:13504
	ds_read_b64 v[27:28], v18
	s_waitcnt lgkmcnt(0)
	v_fma_f64 v[11:12], -v[25:26], v[27:28], v[11:12]
.LBB41_596:
	s_or_b64 exec, exec, s[0:1]
	s_barrier
	s_and_saveexec_b64 s[12:13], s[54:55]
	s_cbranch_execz .LBB41_598
; %bb.597:
	v_mov_b32_e32 v25, 0
	ds_read_b64 v[25:26], v25 offset:13000
	s_waitcnt lgkmcnt(0)
	v_mul_f64 v[11:12], v[11:12], v[25:26]
	v_xor_b32_e32 v26, 0x80000000, v12
	v_mov_b32_e32 v25, v11
	ds_write_b64 v18, v[25:26]
.LBB41_598:
	s_or_b64 exec, exec, s[12:13]
	s_waitcnt lgkmcnt(0)
	s_barrier
	s_and_saveexec_b64 s[0:1], s[34:35]
	s_cbranch_execz .LBB41_600
; %bb.599:
	v_mov_b32_e32 v25, 0
	ds_read_b64 v[25:26], v25 offset:12992
	ds_read_b64 v[27:28], v18
	s_waitcnt lgkmcnt(0)
	v_fma_f64 v[11:12], -v[25:26], v[27:28], v[11:12]
.LBB41_600:
	s_or_b64 exec, exec, s[0:1]
	s_barrier
	s_and_saveexec_b64 s[12:13], s[34:35]
	s_cbranch_execz .LBB41_602
; %bb.601:
	v_mov_b32_e32 v25, 0
	ds_read_b64 v[25:26], v25 offset:12480
	s_waitcnt lgkmcnt(0)
	v_mul_f64 v[11:12], v[11:12], v[25:26]
	v_xor_b32_e32 v26, 0x80000000, v12
	v_mov_b32_e32 v25, v11
	ds_write_b64 v18, v[25:26]
.LBB41_602:
	s_or_b64 exec, exec, s[12:13]
	s_waitcnt lgkmcnt(0)
	s_barrier
	s_barrier
	s_and_saveexec_b64 s[0:1], s[18:19]
; %bb.603:
	v_lshlrev_b32_e32 v25, 3, v16
	v_lshl_or_b32 v25, v17, 9, v25
	ds_write_b64 v25, v[11:12] offset:14528
; %bb.604:
	s_or_b64 exec, exec, s[0:1]
	s_waitcnt lgkmcnt(0)
	s_barrier
	s_barrier
	s_and_saveexec_b64 s[12:13], s[56:57]
	s_cbranch_execz .LBB41_606
; %bb.605:
	v_lshlrev_b32_e32 v25, 9, v0
	ds_read_b64 v[11:12], v25 offset:14528
	s_movk_i32 s0, 0xfe08
	v_mad_i32_i24 v26, v0, s0, v25
	s_waitcnt lgkmcnt(0)
	ds_write_b64 v26, v[11:12] offset:12512
	ds_read_b64 v[11:12], v25 offset:14536
	s_waitcnt lgkmcnt(0)
	ds_write_b64 v26, v[11:12] offset:13024
	ds_read_b64 v[11:12], v25 offset:14544
	;; [unrolled: 3-line block ×3, first 2 shown]
	s_waitcnt lgkmcnt(0)
	ds_write_b64 v26, v[11:12] offset:14048
.LBB41_606:
	s_or_b64 exec, exec, s[12:13]
	s_waitcnt lgkmcnt(0)
	s_barrier
	s_and_saveexec_b64 s[12:13], vcc
	s_cbranch_execz .LBB41_608
; %bb.607:
	v_mov_b32_e32 v11, 0
	ds_read_b128 v[25:28], v11 offset:14032
	ds_read_b64 v[11:12], v11 offset:13520
	s_movk_i32 s0, 0x3000
	s_waitcnt lgkmcnt(0)
	v_mul_f64 v[11:12], v[11:12], v[27:28]
	v_mul_f64 v[11:12], v[25:26], v[11:12]
	v_add_u32_e64 v25, s0, 0
	ds_write2_b64 v25, v[11:12], v[11:12] offset0:155 offset1:218
.LBB41_608:
	s_or_b64 exec, exec, s[12:13]
	v_mov_b32_e32 v11, 0
	v_mov_b32_e32 v12, 0
	s_waitcnt lgkmcnt(0)
	s_barrier
	buffer_wbinvl1_vol
	s_and_saveexec_b64 s[14:15], s[2:3]
	s_cbranch_execz .LBB41_612
; %bb.609:
	v_lshlrev_b32_e32 v25, 9, v13
	v_lshlrev_b32_e32 v11, 3, v1
	ds_read_b64 v[11:12], v11 offset:13504
	ds_read_b64 v[25:26], v25 offset:13520
	v_cmp_gt_u32_e64 s[12:13], 2, v15
	s_waitcnt lgkmcnt(0)
	v_fma_f64 v[11:12], v[11:12], v[25:26], 0
	s_and_saveexec_b64 s[0:1], s[12:13]
	s_cbranch_execz .LBB41_611
; %bb.610:
	v_lshlrev_b32_e32 v25, 3, v0
	v_mov_b32_e32 v27, 0
	ds_read_b64 v[25:26], v25 offset:14016
	ds_read_b64 v[27:28], v27 offset:14040
	s_waitcnt lgkmcnt(0)
	v_fma_f64 v[11:12], v[25:26], v[27:28], v[11:12]
.LBB41_611:
	s_or_b64 exec, exec, s[0:1]
.LBB41_612:
	s_or_b64 exec, exec, s[14:15]
	s_and_saveexec_b64 s[12:13], s[28:29]
	s_cbranch_execz .LBB41_614
; %bb.613:
	v_mov_b32_e32 v25, 0
	ds_read_b64 v[25:26], v25 offset:13000
	s_waitcnt lgkmcnt(0)
	v_mul_f64 v[11:12], v[11:12], v[25:26]
	v_xor_b32_e32 v26, 0x80000000, v12
	v_mov_b32_e32 v25, v11
	ds_write_b64 v14, v[25:26]
.LBB41_614:
	s_or_b64 exec, exec, s[12:13]
	s_waitcnt lgkmcnt(0)
	s_barrier
	s_and_saveexec_b64 s[0:1], s[26:27]
	s_cbranch_execz .LBB41_616
; %bb.615:
	v_mov_b32_e32 v25, 0
	ds_read_b64 v[25:26], v25 offset:12992
	ds_read_b64 v[27:28], v14
	s_waitcnt lgkmcnt(0)
	v_fma_f64 v[11:12], -v[25:26], v[27:28], v[11:12]
.LBB41_616:
	s_or_b64 exec, exec, s[0:1]
	s_barrier
	s_and_saveexec_b64 s[12:13], s[26:27]
	s_cbranch_execz .LBB41_618
; %bb.617:
	v_mov_b32_e32 v25, 0
	ds_read_b64 v[25:26], v25 offset:12480
	s_waitcnt lgkmcnt(0)
	v_mul_f64 v[11:12], v[11:12], v[25:26]
	v_xor_b32_e32 v26, 0x80000000, v12
	v_mov_b32_e32 v25, v11
	ds_write_b64 v14, v[25:26]
.LBB41_618:
	s_or_b64 exec, exec, s[12:13]
	s_waitcnt lgkmcnt(0)
	s_barrier
	s_barrier
	s_and_saveexec_b64 s[0:1], s[2:3]
; %bb.619:
	v_lshlrev_b32_e32 v25, 3, v1
	v_lshl_or_b32 v25, v13, 9, v25
	ds_write_b64 v25, v[11:12] offset:13504
; %bb.620:
	s_or_b64 exec, exec, s[0:1]
	s_waitcnt lgkmcnt(0)
	s_barrier
	s_barrier
	s_and_saveexec_b64 s[0:1], s[30:31]
	s_cbranch_execz .LBB41_622
; %bb.621:
	v_lshlrev_b32_e32 v25, 3, v0
	s_movk_i32 s12, 0x1f8
	v_mad_u32_u24 v26, v0, s12, v25
	ds_read_b64 v[11:12], v26 offset:13504
	s_waitcnt lgkmcnt(0)
	ds_write_b64 v25, v[11:12] offset:12496
	ds_read_b64 v[11:12], v26 offset:13512
	s_waitcnt lgkmcnt(0)
	ds_write_b64 v25, v[11:12] offset:13008
.LBB41_622:
	s_or_b64 exec, exec, s[0:1]
	s_waitcnt lgkmcnt(0)
	s_barrier
	s_and_saveexec_b64 s[12:13], vcc
	s_cbranch_execz .LBB41_624
; %bb.623:
	v_mov_b32_e32 v11, 0
	ds_read_b128 v[25:28], v11 offset:12992
	ds_read_b64 v[11:12], v11 offset:12480
	s_movk_i32 s0, 0x3000
	s_waitcnt lgkmcnt(0)
	v_mul_f64 v[11:12], v[11:12], v[27:28]
	v_mul_f64 v[11:12], v[25:26], v[11:12]
	v_add_u32_e64 v25, s0, 0
	ds_write2_b64 v25, v[11:12], v[11:12] offset0:25 offset1:88
.LBB41_624:
	s_or_b64 exec, exec, s[12:13]
	v_mov_b32_e32 v11, 0
	v_mov_b32_e32 v12, 0
	s_waitcnt lgkmcnt(0)
	s_barrier
	buffer_wbinvl1_vol
	s_and_saveexec_b64 s[14:15], s[8:9]
	s_cbranch_execz .LBB41_634
; %bb.625:
	v_lshlrev_b32_e32 v26, 3, v19
	v_lshlrev_b32_e32 v25, 9, v20
	ds_read_b64 v[11:12], v26 offset:12416
	ds_read_b64 v[27:28], v25 offset:12480
	v_cmp_gt_u32_e64 s[12:13], 56, v15
	s_waitcnt lgkmcnt(0)
	v_fma_f64 v[11:12], v[11:12], v[27:28], 0
	s_and_saveexec_b64 s[0:1], s[12:13]
	s_cbranch_execnz .LBB41_1126
; %bb.626:
	s_or_b64 exec, exec, s[0:1]
	v_cmp_gt_u32_e64 s[12:13], 48, v15
	s_and_saveexec_b64 s[0:1], s[12:13]
	s_cbranch_execnz .LBB41_1127
.LBB41_627:
	s_or_b64 exec, exec, s[0:1]
	v_cmp_gt_u32_e64 s[12:13], 40, v15
	s_and_saveexec_b64 s[0:1], s[12:13]
	s_cbranch_execnz .LBB41_1128
.LBB41_628:
	s_or_b64 exec, exec, s[0:1]
	v_cmp_gt_u32_e64 s[12:13], 32, v15
	s_and_saveexec_b64 s[0:1], s[12:13]
	s_cbranch_execnz .LBB41_1129
.LBB41_629:
	s_or_b64 exec, exec, s[0:1]
	v_cmp_gt_u32_e64 s[12:13], 24, v15
	s_and_saveexec_b64 s[0:1], s[12:13]
	s_cbranch_execnz .LBB41_1130
.LBB41_630:
	s_or_b64 exec, exec, s[0:1]
	s_and_saveexec_b64 s[0:1], s[18:19]
	s_cbranch_execnz .LBB41_1131
.LBB41_631:
	s_or_b64 exec, exec, s[0:1]
	v_cmp_gt_u32_e64 s[12:13], 8, v15
	s_and_saveexec_b64 s[0:1], s[12:13]
	s_cbranch_execz .LBB41_633
.LBB41_632:
	v_lshlrev_b32_e32 v25, 3, v0
	v_mov_b32_e32 v27, 0
	ds_read_b64 v[25:26], v25 offset:16000
	ds_read_b64 v[27:28], v27 offset:16120
	s_waitcnt lgkmcnt(0)
	v_fma_f64 v[11:12], v[25:26], v[27:28], v[11:12]
.LBB41_633:
	s_or_b64 exec, exec, s[0:1]
.LBB41_634:
	s_or_b64 exec, exec, s[14:15]
	s_and_saveexec_b64 s[12:13], s[58:59]
	s_cbranch_execz .LBB41_636
; %bb.635:
	v_mov_b32_e32 v25, 0
	ds_read_b64 v[25:26], v25 offset:11960
	s_waitcnt lgkmcnt(0)
	v_mul_f64 v[11:12], v[11:12], v[25:26]
	v_xor_b32_e32 v26, 0x80000000, v12
	v_mov_b32_e32 v25, v11
	ds_write_b64 v21, v[25:26]
.LBB41_636:
	s_or_b64 exec, exec, s[12:13]
	s_waitcnt lgkmcnt(0)
	s_barrier
	s_and_saveexec_b64 s[0:1], s[60:61]
	s_cbranch_execz .LBB41_638
; %bb.637:
	v_lshlrev_b32_e32 v25, 3, v19
	ds_read_b64 v[25:26], v25 offset:11904
	ds_read_b64 v[27:28], v21
	s_waitcnt lgkmcnt(0)
	v_fma_f64 v[11:12], -v[25:26], v[27:28], v[11:12]
.LBB41_638:
	s_or_b64 exec, exec, s[0:1]
	s_barrier
	s_and_saveexec_b64 s[12:13], s[62:63]
	s_cbranch_execz .LBB41_640
; %bb.639:
	v_mov_b32_e32 v25, 0
	ds_read_b64 v[25:26], v25 offset:11440
	s_waitcnt lgkmcnt(0)
	v_mul_f64 v[11:12], v[11:12], v[25:26]
	v_xor_b32_e32 v26, 0x80000000, v12
	v_mov_b32_e32 v25, v11
	ds_write_b64 v21, v[25:26]
.LBB41_640:
	s_or_b64 exec, exec, s[12:13]
	s_waitcnt lgkmcnt(0)
	s_barrier
	s_and_saveexec_b64 s[0:1], s[64:65]
	s_cbranch_execz .LBB41_642
; %bb.641:
	v_lshlrev_b32_e32 v25, 3, v19
	ds_read_b64 v[25:26], v25 offset:11392
	ds_read_b64 v[27:28], v21
	s_waitcnt lgkmcnt(0)
	v_fma_f64 v[11:12], -v[25:26], v[27:28], v[11:12]
.LBB41_642:
	s_or_b64 exec, exec, s[0:1]
	s_barrier
	;; [unrolled: 25-line block ×6, first 2 shown]
	s_and_saveexec_b64 s[12:13], s[84:85]
	s_cbranch_execz .LBB41_660
; %bb.659:
	v_mov_b32_e32 v25, 0
	ds_read_b64 v[25:26], v25 offset:8840
	s_waitcnt lgkmcnt(0)
	v_mul_f64 v[11:12], v[11:12], v[25:26]
	v_xor_b32_e32 v26, 0x80000000, v12
	v_mov_b32_e32 v25, v11
	ds_write_b64 v21, v[25:26]
.LBB41_660:
	s_or_b64 exec, exec, s[12:13]
	s_waitcnt lgkmcnt(0)
	s_barrier
	s_and_saveexec_b64 s[0:1], s[68:69]
	s_cbranch_execz .LBB41_662
; %bb.661:
	v_mov_b32_e32 v25, 0
	ds_read_b64 v[25:26], v25 offset:8832
	ds_read_b64 v[27:28], v21
	s_waitcnt lgkmcnt(0)
	v_fma_f64 v[11:12], -v[25:26], v[27:28], v[11:12]
.LBB41_662:
	s_or_b64 exec, exec, s[0:1]
	s_barrier
	s_and_saveexec_b64 s[12:13], s[68:69]
	s_cbranch_execz .LBB41_664
; %bb.663:
	v_mov_b32_e32 v25, 0
	ds_read_b64 v[25:26], v25 offset:8320
	s_waitcnt lgkmcnt(0)
	v_mul_f64 v[11:12], v[11:12], v[25:26]
	v_xor_b32_e32 v26, 0x80000000, v12
	v_mov_b32_e32 v25, v11
	ds_write_b64 v21, v[25:26]
.LBB41_664:
	s_or_b64 exec, exec, s[12:13]
	s_waitcnt lgkmcnt(0)
	s_barrier
	s_barrier
	s_and_saveexec_b64 s[0:1], s[8:9]
; %bb.665:
	v_lshlrev_b32_e32 v25, 3, v19
	v_lshl_or_b32 v25, v20, 9, v25
	ds_write_b64 v25, v[11:12] offset:12416
; %bb.666:
	s_or_b64 exec, exec, s[0:1]
	s_waitcnt lgkmcnt(0)
	s_barrier
	s_barrier
	s_and_saveexec_b64 s[12:13], s[86:87]
	s_cbranch_execz .LBB41_668
; %bb.667:
	v_lshlrev_b32_e32 v25, 9, v0
	ds_read_b64 v[11:12], v25 offset:12416
	s_movk_i32 s0, 0xfe08
	v_mad_i32_i24 v26, v0, s0, v25
	s_waitcnt lgkmcnt(0)
	ds_write_b64 v26, v[11:12] offset:8384
	ds_read_b64 v[11:12], v25 offset:12424
	s_waitcnt lgkmcnt(0)
	ds_write_b64 v26, v[11:12] offset:8896
	ds_read_b64 v[11:12], v25 offset:12432
	;; [unrolled: 3-line block ×7, first 2 shown]
	s_waitcnt lgkmcnt(0)
	ds_write_b64 v26, v[11:12] offset:11968
.LBB41_668:
	s_or_b64 exec, exec, s[12:13]
	s_waitcnt lgkmcnt(0)
	s_barrier
	s_and_saveexec_b64 s[12:13], vcc
	s_cbranch_execz .LBB41_670
; %bb.669:
	v_mov_b32_e32 v11, 0
	ds_read_b128 v[25:28], v11 offset:11952
	ds_read_b64 v[11:12], v11 offset:11440
	s_movk_i32 s0, 0x2800
	s_waitcnt lgkmcnt(0)
	v_mul_f64 v[11:12], v[11:12], v[27:28]
	v_mul_f64 v[11:12], v[25:26], v[11:12]
	v_add_u32_e64 v25, s0, 0
	ds_write2_b64 v25, v[11:12], v[11:12] offset0:151 offset1:214
.LBB41_670:
	s_or_b64 exec, exec, s[12:13]
	v_mov_b32_e32 v11, 0
	v_mov_b32_e32 v12, 0
	s_waitcnt lgkmcnt(0)
	s_barrier
	buffer_wbinvl1_vol
	s_and_saveexec_b64 s[14:15], s[2:3]
	s_cbranch_execz .LBB41_674
; %bb.671:
	v_lshlrev_b32_e32 v25, 9, v13
	v_lshlrev_b32_e32 v11, 3, v1
	ds_read_b64 v[11:12], v11 offset:11424
	ds_read_b64 v[25:26], v25 offset:11440
	v_cmp_gt_u32_e64 s[12:13], 2, v15
	s_waitcnt lgkmcnt(0)
	v_fma_f64 v[11:12], v[11:12], v[25:26], 0
	s_and_saveexec_b64 s[0:1], s[12:13]
	s_cbranch_execz .LBB41_673
; %bb.672:
	v_lshlrev_b32_e32 v25, 3, v0
	v_mov_b32_e32 v27, 0
	ds_read_b64 v[25:26], v25 offset:11936
	ds_read_b64 v[27:28], v27 offset:11960
	s_waitcnt lgkmcnt(0)
	v_fma_f64 v[11:12], v[25:26], v[27:28], v[11:12]
.LBB41_673:
	s_or_b64 exec, exec, s[0:1]
.LBB41_674:
	s_or_b64 exec, exec, s[14:15]
	s_and_saveexec_b64 s[12:13], s[28:29]
	s_cbranch_execz .LBB41_676
; %bb.675:
	v_mov_b32_e32 v25, 0
	ds_read_b64 v[25:26], v25 offset:10920
	s_waitcnt lgkmcnt(0)
	v_mul_f64 v[11:12], v[11:12], v[25:26]
	v_xor_b32_e32 v26, 0x80000000, v12
	v_mov_b32_e32 v25, v11
	ds_write_b64 v14, v[25:26]
.LBB41_676:
	s_or_b64 exec, exec, s[12:13]
	s_waitcnt lgkmcnt(0)
	s_barrier
	s_and_saveexec_b64 s[0:1], s[26:27]
	s_cbranch_execz .LBB41_678
; %bb.677:
	v_mov_b32_e32 v25, 0
	ds_read_b64 v[25:26], v25 offset:10912
	ds_read_b64 v[27:28], v14
	s_waitcnt lgkmcnt(0)
	v_fma_f64 v[11:12], -v[25:26], v[27:28], v[11:12]
.LBB41_678:
	s_or_b64 exec, exec, s[0:1]
	s_barrier
	s_and_saveexec_b64 s[12:13], s[26:27]
	s_cbranch_execz .LBB41_680
; %bb.679:
	v_mov_b32_e32 v25, 0
	ds_read_b64 v[25:26], v25 offset:10400
	s_waitcnt lgkmcnt(0)
	v_mul_f64 v[11:12], v[11:12], v[25:26]
	v_xor_b32_e32 v26, 0x80000000, v12
	v_mov_b32_e32 v25, v11
	ds_write_b64 v14, v[25:26]
.LBB41_680:
	s_or_b64 exec, exec, s[12:13]
	s_waitcnt lgkmcnt(0)
	s_barrier
	s_barrier
	s_and_saveexec_b64 s[0:1], s[2:3]
; %bb.681:
	v_lshlrev_b32_e32 v25, 3, v1
	v_lshl_or_b32 v25, v13, 9, v25
	ds_write_b64 v25, v[11:12] offset:11424
; %bb.682:
	s_or_b64 exec, exec, s[0:1]
	s_waitcnt lgkmcnt(0)
	s_barrier
	s_barrier
	s_and_saveexec_b64 s[0:1], s[30:31]
	s_cbranch_execz .LBB41_684
; %bb.683:
	v_lshlrev_b32_e32 v25, 3, v0
	s_movk_i32 s12, 0x1f8
	v_mad_u32_u24 v26, v0, s12, v25
	ds_read_b64 v[11:12], v26 offset:11424
	s_waitcnt lgkmcnt(0)
	ds_write_b64 v25, v[11:12] offset:10416
	ds_read_b64 v[11:12], v26 offset:11432
	s_waitcnt lgkmcnt(0)
	ds_write_b64 v25, v[11:12] offset:10928
.LBB41_684:
	s_or_b64 exec, exec, s[0:1]
	s_waitcnt lgkmcnt(0)
	s_barrier
	s_and_saveexec_b64 s[12:13], vcc
	s_cbranch_execz .LBB41_686
; %bb.685:
	v_mov_b32_e32 v11, 0
	ds_read_b128 v[25:28], v11 offset:10912
	ds_read_b64 v[11:12], v11 offset:10400
	s_movk_i32 s0, 0x2800
	s_waitcnt lgkmcnt(0)
	v_mul_f64 v[11:12], v[11:12], v[27:28]
	v_mul_f64 v[11:12], v[25:26], v[11:12]
	v_add_u32_e64 v25, s0, 0
	ds_write2_b64 v25, v[11:12], v[11:12] offset0:21 offset1:84
.LBB41_686:
	s_or_b64 exec, exec, s[12:13]
	v_mov_b32_e32 v11, 0
	v_mov_b32_e32 v12, 0
	s_waitcnt lgkmcnt(0)
	s_barrier
	buffer_wbinvl1_vol
	s_and_saveexec_b64 s[14:15], s[18:19]
	s_cbranch_execz .LBB41_692
; %bb.687:
	v_lshlrev_b32_e32 v26, 3, v16
	v_lshlrev_b32_e32 v25, 9, v17
	ds_read_b64 v[11:12], v26 offset:10368
	ds_read_b64 v[27:28], v25 offset:10400
	v_cmp_gt_u32_e64 s[12:13], 12, v15
	s_waitcnt lgkmcnt(0)
	v_fma_f64 v[11:12], v[11:12], v[27:28], 0
	s_and_saveexec_b64 s[0:1], s[12:13]
	s_cbranch_execnz .LBB41_1132
; %bb.688:
	s_or_b64 exec, exec, s[0:1]
	v_cmp_gt_u32_e64 s[12:13], 8, v15
	s_and_saveexec_b64 s[0:1], s[12:13]
	s_cbranch_execnz .LBB41_1133
.LBB41_689:
	s_or_b64 exec, exec, s[0:1]
	v_cmp_gt_u32_e64 s[12:13], 4, v15
	s_and_saveexec_b64 s[0:1], s[12:13]
	s_cbranch_execz .LBB41_691
.LBB41_690:
	v_lshlrev_b32_e32 v25, 3, v0
	v_mov_b32_e32 v27, 0
	ds_read_b64 v[25:26], v25 offset:11904
	ds_read_b64 v[27:28], v27 offset:11960
	s_waitcnt lgkmcnt(0)
	v_fma_f64 v[11:12], v[25:26], v[27:28], v[11:12]
.LBB41_691:
	s_or_b64 exec, exec, s[0:1]
.LBB41_692:
	s_or_b64 exec, exec, s[14:15]
	s_and_saveexec_b64 s[12:13], s[36:37]
	s_cbranch_execz .LBB41_694
; %bb.693:
	v_mov_b32_e32 v25, 0
	ds_read_b64 v[25:26], v25 offset:9880
	s_waitcnt lgkmcnt(0)
	v_mul_f64 v[11:12], v[11:12], v[25:26]
	v_xor_b32_e32 v26, 0x80000000, v12
	v_mov_b32_e32 v25, v11
	ds_write_b64 v18, v[25:26]
.LBB41_694:
	s_or_b64 exec, exec, s[12:13]
	s_waitcnt lgkmcnt(0)
	s_barrier
	s_and_saveexec_b64 s[0:1], s[38:39]
	s_cbranch_execz .LBB41_696
; %bb.695:
	v_lshlrev_b32_e32 v25, 3, v16
	ds_read_b64 v[25:26], v25 offset:9856
	ds_read_b64 v[27:28], v18
	s_waitcnt lgkmcnt(0)
	v_fma_f64 v[11:12], -v[25:26], v[27:28], v[11:12]
.LBB41_696:
	s_or_b64 exec, exec, s[0:1]
	s_barrier
	s_and_saveexec_b64 s[12:13], s[42:43]
	s_cbranch_execz .LBB41_698
; %bb.697:
	v_mov_b32_e32 v25, 0
	ds_read_b64 v[25:26], v25 offset:9360
	s_waitcnt lgkmcnt(0)
	v_mul_f64 v[11:12], v[11:12], v[25:26]
	v_xor_b32_e32 v26, 0x80000000, v12
	v_mov_b32_e32 v25, v11
	ds_write_b64 v18, v[25:26]
.LBB41_698:
	s_or_b64 exec, exec, s[12:13]
	s_waitcnt lgkmcnt(0)
	s_barrier
	s_and_saveexec_b64 s[0:1], s[52:53]
	s_cbranch_execz .LBB41_700
; %bb.699:
	v_lshlrev_b32_e32 v25, 3, v16
	ds_read_b64 v[25:26], v25 offset:9344
	ds_read_b64 v[27:28], v18
	s_waitcnt lgkmcnt(0)
	v_fma_f64 v[11:12], -v[25:26], v[27:28], v[11:12]
.LBB41_700:
	s_or_b64 exec, exec, s[0:1]
	s_barrier
	s_and_saveexec_b64 s[12:13], s[54:55]
	s_cbranch_execz .LBB41_702
; %bb.701:
	v_mov_b32_e32 v25, 0
	ds_read_b64 v[25:26], v25 offset:8840
	s_waitcnt lgkmcnt(0)
	v_mul_f64 v[11:12], v[11:12], v[25:26]
	v_xor_b32_e32 v26, 0x80000000, v12
	v_mov_b32_e32 v25, v11
	ds_write_b64 v18, v[25:26]
.LBB41_702:
	s_or_b64 exec, exec, s[12:13]
	s_waitcnt lgkmcnt(0)
	s_barrier
	s_and_saveexec_b64 s[0:1], s[34:35]
	s_cbranch_execz .LBB41_704
; %bb.703:
	v_mov_b32_e32 v25, 0
	ds_read_b64 v[25:26], v25 offset:8832
	ds_read_b64 v[27:28], v18
	s_waitcnt lgkmcnt(0)
	v_fma_f64 v[11:12], -v[25:26], v[27:28], v[11:12]
.LBB41_704:
	s_or_b64 exec, exec, s[0:1]
	s_barrier
	s_and_saveexec_b64 s[12:13], s[34:35]
	s_cbranch_execz .LBB41_706
; %bb.705:
	v_mov_b32_e32 v25, 0
	ds_read_b64 v[25:26], v25 offset:8320
	s_waitcnt lgkmcnt(0)
	v_mul_f64 v[11:12], v[11:12], v[25:26]
	v_xor_b32_e32 v26, 0x80000000, v12
	v_mov_b32_e32 v25, v11
	ds_write_b64 v18, v[25:26]
.LBB41_706:
	s_or_b64 exec, exec, s[12:13]
	s_waitcnt lgkmcnt(0)
	s_barrier
	s_barrier
	s_and_saveexec_b64 s[0:1], s[18:19]
; %bb.707:
	v_lshlrev_b32_e32 v25, 3, v16
	v_lshl_or_b32 v25, v17, 9, v25
	ds_write_b64 v25, v[11:12] offset:10368
; %bb.708:
	s_or_b64 exec, exec, s[0:1]
	s_waitcnt lgkmcnt(0)
	s_barrier
	s_barrier
	s_and_saveexec_b64 s[12:13], s[56:57]
	s_cbranch_execz .LBB41_710
; %bb.709:
	v_lshlrev_b32_e32 v25, 9, v0
	ds_read_b64 v[11:12], v25 offset:10368
	s_movk_i32 s0, 0xfe08
	v_mad_i32_i24 v26, v0, s0, v25
	s_waitcnt lgkmcnt(0)
	ds_write_b64 v26, v[11:12] offset:8352
	ds_read_b64 v[11:12], v25 offset:10376
	s_waitcnt lgkmcnt(0)
	ds_write_b64 v26, v[11:12] offset:8864
	ds_read_b64 v[11:12], v25 offset:10384
	;; [unrolled: 3-line block ×3, first 2 shown]
	s_waitcnt lgkmcnt(0)
	ds_write_b64 v26, v[11:12] offset:9888
.LBB41_710:
	s_or_b64 exec, exec, s[12:13]
	s_waitcnt lgkmcnt(0)
	s_barrier
	s_and_saveexec_b64 s[12:13], vcc
	s_cbranch_execz .LBB41_712
; %bb.711:
	v_mov_b32_e32 v11, 0
	ds_read_b128 v[25:28], v11 offset:9872
	ds_read_b64 v[11:12], v11 offset:9360
	s_movk_i32 s0, 0x2000
	s_waitcnt lgkmcnt(0)
	v_mul_f64 v[11:12], v[11:12], v[27:28]
	v_mul_f64 v[11:12], v[25:26], v[11:12]
	v_add_u32_e64 v25, s0, 0
	ds_write2_b64 v25, v[11:12], v[11:12] offset0:147 offset1:210
.LBB41_712:
	s_or_b64 exec, exec, s[12:13]
	v_mov_b32_e32 v11, 0
	v_mov_b32_e32 v12, 0
	s_waitcnt lgkmcnt(0)
	s_barrier
	buffer_wbinvl1_vol
	s_and_saveexec_b64 s[14:15], s[2:3]
	s_cbranch_execz .LBB41_716
; %bb.713:
	v_lshlrev_b32_e32 v25, 9, v13
	v_lshlrev_b32_e32 v11, 3, v1
	ds_read_b64 v[11:12], v11 offset:9344
	ds_read_b64 v[25:26], v25 offset:9360
	v_cmp_gt_u32_e64 s[12:13], 2, v15
	s_waitcnt lgkmcnt(0)
	v_fma_f64 v[11:12], v[11:12], v[25:26], 0
	s_and_saveexec_b64 s[0:1], s[12:13]
	s_cbranch_execz .LBB41_715
; %bb.714:
	v_lshlrev_b32_e32 v25, 3, v0
	v_mov_b32_e32 v27, 0
	ds_read_b64 v[25:26], v25 offset:9856
	ds_read_b64 v[27:28], v27 offset:9880
	s_waitcnt lgkmcnt(0)
	v_fma_f64 v[11:12], v[25:26], v[27:28], v[11:12]
.LBB41_715:
	s_or_b64 exec, exec, s[0:1]
.LBB41_716:
	s_or_b64 exec, exec, s[14:15]
	s_and_saveexec_b64 s[12:13], s[28:29]
	s_cbranch_execz .LBB41_718
; %bb.717:
	v_mov_b32_e32 v25, 0
	ds_read_b64 v[25:26], v25 offset:8840
	s_waitcnt lgkmcnt(0)
	v_mul_f64 v[11:12], v[11:12], v[25:26]
	v_xor_b32_e32 v26, 0x80000000, v12
	v_mov_b32_e32 v25, v11
	ds_write_b64 v14, v[25:26]
.LBB41_718:
	s_or_b64 exec, exec, s[12:13]
	s_waitcnt lgkmcnt(0)
	s_barrier
	s_and_saveexec_b64 s[0:1], s[26:27]
	s_cbranch_execz .LBB41_720
; %bb.719:
	v_mov_b32_e32 v25, 0
	ds_read_b64 v[25:26], v25 offset:8832
	ds_read_b64 v[27:28], v14
	s_waitcnt lgkmcnt(0)
	v_fma_f64 v[11:12], -v[25:26], v[27:28], v[11:12]
.LBB41_720:
	s_or_b64 exec, exec, s[0:1]
	s_barrier
	s_and_saveexec_b64 s[12:13], s[26:27]
	s_cbranch_execz .LBB41_722
; %bb.721:
	v_mov_b32_e32 v25, 0
	ds_read_b64 v[25:26], v25 offset:8320
	s_waitcnt lgkmcnt(0)
	v_mul_f64 v[11:12], v[11:12], v[25:26]
	v_xor_b32_e32 v26, 0x80000000, v12
	v_mov_b32_e32 v25, v11
	ds_write_b64 v14, v[25:26]
.LBB41_722:
	s_or_b64 exec, exec, s[12:13]
	s_waitcnt lgkmcnt(0)
	s_barrier
	s_barrier
	s_and_saveexec_b64 s[0:1], s[2:3]
; %bb.723:
	v_lshlrev_b32_e32 v25, 3, v1
	v_lshl_or_b32 v25, v13, 9, v25
	ds_write_b64 v25, v[11:12] offset:9344
; %bb.724:
	s_or_b64 exec, exec, s[0:1]
	s_waitcnt lgkmcnt(0)
	s_barrier
	s_barrier
	s_and_saveexec_b64 s[0:1], s[30:31]
	s_cbranch_execz .LBB41_726
; %bb.725:
	v_lshlrev_b32_e32 v25, 3, v0
	s_movk_i32 s12, 0x1f8
	v_mad_u32_u24 v26, v0, s12, v25
	ds_read_b64 v[11:12], v26 offset:9344
	s_waitcnt lgkmcnt(0)
	ds_write_b64 v25, v[11:12] offset:8336
	ds_read_b64 v[11:12], v26 offset:9352
	s_waitcnt lgkmcnt(0)
	ds_write_b64 v25, v[11:12] offset:8848
.LBB41_726:
	s_or_b64 exec, exec, s[0:1]
	s_waitcnt lgkmcnt(0)
	s_barrier
	s_and_saveexec_b64 s[12:13], vcc
	s_cbranch_execz .LBB41_728
; %bb.727:
	v_mov_b32_e32 v11, 0
	ds_read_b128 v[25:28], v11 offset:8832
	ds_read_b64 v[11:12], v11 offset:8320
	s_movk_i32 s0, 0x2000
	s_waitcnt lgkmcnt(0)
	v_mul_f64 v[11:12], v[11:12], v[27:28]
	v_mul_f64 v[11:12], v[25:26], v[11:12]
	v_add_u32_e64 v25, s0, 0
	ds_write2_b64 v25, v[11:12], v[11:12] offset0:17 offset1:80
.LBB41_728:
	s_or_b64 exec, exec, s[12:13]
	v_mov_b32_e32 v11, 0
	v_mov_b32_e32 v12, 0
	s_waitcnt lgkmcnt(0)
	s_barrier
	buffer_wbinvl1_vol
	s_and_saveexec_b64 s[14:15], s[10:11]
	s_cbranch_execz .LBB41_756
; %bb.729:
	v_lshlrev_b32_e32 v26, 3, v22
	v_lshlrev_b32_e32 v25, 9, v23
	ds_read_b64 v[11:12], v26 offset:8192
	ds_read_b64 v[27:28], v25 offset:8320
	s_movk_i32 s0, 0xf0
	v_cmp_gt_u32_e64 s[12:13], s0, v15
	s_waitcnt lgkmcnt(0)
	v_fma_f64 v[11:12], v[11:12], v[27:28], 0
	s_and_saveexec_b64 s[0:1], s[12:13]
	s_cbranch_execz .LBB41_731
; %bb.730:
	ds_read_b64 v[27:28], v26 offset:8704
	ds_read_b64 v[29:30], v25 offset:8328
	s_waitcnt lgkmcnt(0)
	v_fma_f64 v[11:12], v[27:28], v[29:30], v[11:12]
.LBB41_731:
	s_or_b64 exec, exec, s[0:1]
	s_movk_i32 s0, 0xe0
	v_cmp_gt_u32_e64 s[12:13], s0, v15
	s_and_saveexec_b64 s[0:1], s[12:13]
	s_cbranch_execz .LBB41_733
; %bb.732:
	ds_read_b64 v[27:28], v26 offset:9216
	ds_read_b64 v[29:30], v25 offset:8336
	s_waitcnt lgkmcnt(0)
	v_fma_f64 v[11:12], v[27:28], v[29:30], v[11:12]
.LBB41_733:
	s_or_b64 exec, exec, s[0:1]
	s_movk_i32 s0, 0xd0
	v_cmp_gt_u32_e64 s[12:13], s0, v15
	s_and_saveexec_b64 s[0:1], s[12:13]
	s_cbranch_execz .LBB41_735
; %bb.734:
	ds_read_b64 v[27:28], v26 offset:9728
	ds_read_b64 v[29:30], v25 offset:8344
	s_waitcnt lgkmcnt(0)
	v_fma_f64 v[11:12], v[27:28], v[29:30], v[11:12]
.LBB41_735:
	s_or_b64 exec, exec, s[0:1]
	s_movk_i32 s0, 0xc0
	v_cmp_gt_u32_e64 s[12:13], s0, v15
	s_and_saveexec_b64 s[0:1], s[12:13]
	s_cbranch_execz .LBB41_737
; %bb.736:
	ds_read_b64 v[27:28], v26 offset:10240
	ds_read_b64 v[29:30], v25 offset:8352
	s_waitcnt lgkmcnt(0)
	v_fma_f64 v[11:12], v[27:28], v[29:30], v[11:12]
.LBB41_737:
	s_or_b64 exec, exec, s[0:1]
	s_movk_i32 s0, 0xb0
	v_cmp_gt_u32_e64 s[12:13], s0, v15
	s_and_saveexec_b64 s[0:1], s[12:13]
	s_cbranch_execz .LBB41_739
; %bb.738:
	ds_read_b64 v[27:28], v26 offset:10752
	ds_read_b64 v[29:30], v25 offset:8360
	s_waitcnt lgkmcnt(0)
	v_fma_f64 v[11:12], v[27:28], v[29:30], v[11:12]
.LBB41_739:
	s_or_b64 exec, exec, s[0:1]
	s_movk_i32 s0, 0xa0
	v_cmp_gt_u32_e64 s[12:13], s0, v15
	s_and_saveexec_b64 s[0:1], s[12:13]
	s_cbranch_execz .LBB41_741
; %bb.740:
	ds_read_b64 v[27:28], v26 offset:11264
	ds_read_b64 v[29:30], v25 offset:8368
	s_waitcnt lgkmcnt(0)
	v_fma_f64 v[11:12], v[27:28], v[29:30], v[11:12]
.LBB41_741:
	s_or_b64 exec, exec, s[0:1]
	s_movk_i32 s0, 0x90
	v_cmp_gt_u32_e64 s[12:13], s0, v15
	s_and_saveexec_b64 s[0:1], s[12:13]
	s_cbranch_execz .LBB41_743
; %bb.742:
	ds_read_b64 v[27:28], v26 offset:11776
	ds_read_b64 v[29:30], v25 offset:8376
	s_waitcnt lgkmcnt(0)
	v_fma_f64 v[11:12], v[27:28], v[29:30], v[11:12]
.LBB41_743:
	s_or_b64 exec, exec, s[0:1]
	s_movk_i32 s0, 0x80
	v_cmp_gt_u32_e64 s[12:13], s0, v15
	s_and_saveexec_b64 s[0:1], s[12:13]
	s_cbranch_execz .LBB41_745
; %bb.744:
	ds_read_b64 v[27:28], v26 offset:12288
	ds_read_b64 v[29:30], v25 offset:8384
	s_waitcnt lgkmcnt(0)
	v_fma_f64 v[11:12], v[27:28], v[29:30], v[11:12]
.LBB41_745:
	s_or_b64 exec, exec, s[0:1]
	s_movk_i32 s0, 0x70
	v_cmp_gt_u32_e64 s[12:13], s0, v15
	s_and_saveexec_b64 s[0:1], s[12:13]
	s_cbranch_execz .LBB41_747
; %bb.746:
	ds_read_b64 v[27:28], v26 offset:12800
	ds_read_b64 v[29:30], v25 offset:8392
	s_waitcnt lgkmcnt(0)
	v_fma_f64 v[11:12], v[27:28], v[29:30], v[11:12]
.LBB41_747:
	s_or_b64 exec, exec, s[0:1]
	s_movk_i32 s0, 0x60
	v_cmp_gt_u32_e64 s[12:13], s0, v15
	s_and_saveexec_b64 s[0:1], s[12:13]
	s_cbranch_execz .LBB41_749
; %bb.748:
	ds_read_b64 v[27:28], v26 offset:13312
	ds_read_b64 v[29:30], v25 offset:8400
	s_waitcnt lgkmcnt(0)
	v_fma_f64 v[11:12], v[27:28], v[29:30], v[11:12]
.LBB41_749:
	s_or_b64 exec, exec, s[0:1]
	s_movk_i32 s0, 0x50
	v_cmp_gt_u32_e64 s[12:13], s0, v15
	s_and_saveexec_b64 s[0:1], s[12:13]
	s_cbranch_execnz .LBB41_1134
; %bb.750:
	s_or_b64 exec, exec, s[0:1]
	s_and_saveexec_b64 s[0:1], s[8:9]
	s_cbranch_execnz .LBB41_1135
.LBB41_751:
	s_or_b64 exec, exec, s[0:1]
	v_cmp_gt_u32_e64 s[12:13], 48, v15
	s_and_saveexec_b64 s[0:1], s[12:13]
	s_cbranch_execnz .LBB41_1136
.LBB41_752:
	s_or_b64 exec, exec, s[0:1]
	v_cmp_gt_u32_e64 s[12:13], 32, v15
	s_and_saveexec_b64 s[0:1], s[12:13]
	s_cbranch_execnz .LBB41_1137
.LBB41_753:
	s_or_b64 exec, exec, s[0:1]
	v_cmp_gt_u32_e64 s[12:13], 16, v15
	s_and_saveexec_b64 s[0:1], s[12:13]
	s_cbranch_execz .LBB41_755
.LBB41_754:
	v_lshlrev_b32_e32 v25, 3, v0
	v_mov_b32_e32 v27, 0
	ds_read_b64 v[25:26], v25 offset:15872
	ds_read_b64 v[27:28], v27 offset:16120
	s_waitcnt lgkmcnt(0)
	v_fma_f64 v[11:12], v[25:26], v[27:28], v[11:12]
.LBB41_755:
	s_or_b64 exec, exec, s[0:1]
.LBB41_756:
	s_or_b64 exec, exec, s[14:15]
	s_mov_b64 s[12:13], exec
	v_readlane_b32 s0, v36, 3
	v_readlane_b32 s1, v36, 4
	s_and_b64 s[0:1], s[12:13], s[0:1]
	s_mov_b64 exec, s[0:1]
	s_cbranch_execz .LBB41_758
; %bb.757:
	v_mov_b32_e32 v25, 0
	ds_read_b64 v[25:26], v25 offset:7800
	s_waitcnt lgkmcnt(0)
	v_mul_f64 v[11:12], v[11:12], v[25:26]
	v_xor_b32_e32 v26, 0x80000000, v12
	v_mov_b32_e32 v25, v11
	ds_write_b64 v24, v[25:26]
.LBB41_758:
	s_or_b64 exec, exec, s[12:13]
	s_waitcnt lgkmcnt(0)
	s_barrier
	s_mov_b64 s[0:1], exec
	v_readlane_b32 s12, v36, 5
	v_readlane_b32 s13, v36, 6
	s_and_b64 s[12:13], s[0:1], s[12:13]
	s_mov_b64 exec, s[12:13]
	s_cbranch_execz .LBB41_760
; %bb.759:
	v_lshlrev_b32_e32 v25, 3, v22
	ds_read_b64 v[25:26], v25 offset:7680
	ds_read_b64 v[27:28], v24
	s_waitcnt lgkmcnt(0)
	v_fma_f64 v[11:12], -v[25:26], v[27:28], v[11:12]
.LBB41_760:
	s_or_b64 exec, exec, s[0:1]
	s_barrier
	s_mov_b64 s[12:13], exec
	v_readlane_b32 s0, v36, 7
	v_readlane_b32 s1, v36, 8
	s_and_b64 s[0:1], s[12:13], s[0:1]
	s_mov_b64 exec, s[0:1]
	s_cbranch_execz .LBB41_762
; %bb.761:
	v_mov_b32_e32 v25, 0
	ds_read_b64 v[25:26], v25 offset:7280
	s_waitcnt lgkmcnt(0)
	v_mul_f64 v[11:12], v[11:12], v[25:26]
	v_xor_b32_e32 v26, 0x80000000, v12
	v_mov_b32_e32 v25, v11
	ds_write_b64 v24, v[25:26]
.LBB41_762:
	s_or_b64 exec, exec, s[12:13]
	s_waitcnt lgkmcnt(0)
	s_barrier
	s_mov_b64 s[0:1], exec
	v_readlane_b32 s12, v36, 9
	v_readlane_b32 s13, v36, 10
	s_and_b64 s[12:13], s[0:1], s[12:13]
	s_mov_b64 exec, s[12:13]
	s_cbranch_execz .LBB41_764
; %bb.763:
	v_lshlrev_b32_e32 v25, 3, v22
	ds_read_b64 v[25:26], v25 offset:7168
	ds_read_b64 v[27:28], v24
	s_waitcnt lgkmcnt(0)
	v_fma_f64 v[11:12], -v[25:26], v[27:28], v[11:12]
.LBB41_764:
	s_or_b64 exec, exec, s[0:1]
	s_barrier
	;; [unrolled: 33-line block ×14, first 2 shown]
	s_mov_b64 s[0:1], exec
	v_readlane_b32 s12, v36, 59
	v_readlane_b32 s13, v36, 60
	s_and_b64 s[12:13], s[0:1], s[12:13]
	s_mov_b64 exec, s[12:13]
	s_cbranch_execz .LBB41_814
; %bb.813:
	v_mov_b32_e32 v25, 0
	ds_read_b64 v[25:26], v25 offset:520
	s_waitcnt lgkmcnt(0)
	v_mul_f64 v[11:12], v[11:12], v[25:26]
	v_xor_b32_e32 v26, 0x80000000, v12
	v_mov_b32_e32 v25, v11
	ds_write_b64 v24, v[25:26]
.LBB41_814:
	s_or_b64 exec, exec, s[0:1]
	s_waitcnt lgkmcnt(0)
	s_barrier
	s_and_saveexec_b64 s[0:1], s[90:91]
	s_cbranch_execz .LBB41_816
; %bb.815:
	v_mov_b32_e32 v25, 0
	ds_read_b64 v[25:26], v25 offset:512
	ds_read_b64 v[27:28], v24
	s_waitcnt lgkmcnt(0)
	v_fma_f64 v[11:12], -v[25:26], v[27:28], v[11:12]
.LBB41_816:
	s_or_b64 exec, exec, s[0:1]
	s_barrier
	s_and_saveexec_b64 s[0:1], s[90:91]
	s_cbranch_execz .LBB41_818
; %bb.817:
	v_mov_b32_e32 v25, 0
	ds_read_b64 v[25:26], v25
	s_waitcnt lgkmcnt(0)
	v_mul_f64 v[11:12], v[11:12], v[25:26]
	v_xor_b32_e32 v26, 0x80000000, v12
	v_mov_b32_e32 v25, v11
	ds_write_b64 v24, v[25:26]
.LBB41_818:
	s_or_b64 exec, exec, s[0:1]
	s_waitcnt lgkmcnt(0)
	s_barrier
	s_barrier
	s_and_saveexec_b64 s[0:1], s[10:11]
; %bb.819:
	v_lshlrev_b32_e32 v22, 3, v22
	v_lshl_or_b32 v22, v23, 9, v22
	ds_write_b64 v22, v[11:12] offset:8192
; %bb.820:
	s_or_b64 exec, exec, s[0:1]
	s_waitcnt lgkmcnt(0)
	s_barrier
	s_barrier
	s_mov_b64 s[0:1], exec
	v_readlane_b32 s10, v36, 61
	v_readlane_b32 s11, v36, 62
	s_and_b64 s[10:11], s[0:1], s[10:11]
	s_mov_b64 exec, s[10:11]
	s_cbranch_execz .LBB41_822
; %bb.821:
	v_lshlrev_b32_e32 v22, 9, v0
	ds_read_b64 v[11:12], v22 offset:8192
	s_movk_i32 s10, 0xfe08
	v_mad_i32_i24 v23, v0, s10, v22
	s_waitcnt lgkmcnt(0)
	ds_write_b64 v23, v[11:12] offset:128
	ds_read_b64 v[11:12], v22 offset:8200
	s_waitcnt lgkmcnt(0)
	ds_write_b64 v23, v[11:12] offset:640
	ds_read_b64 v[11:12], v22 offset:8208
	;; [unrolled: 3-line block ×15, first 2 shown]
	s_waitcnt lgkmcnt(0)
	ds_write_b64 v23, v[11:12] offset:7808
.LBB41_822:
	s_or_b64 exec, exec, s[0:1]
	s_waitcnt lgkmcnt(0)
	s_barrier
	s_and_saveexec_b64 s[0:1], vcc
	s_cbranch_execz .LBB41_824
; %bb.823:
	v_mov_b32_e32 v11, 0
	ds_read_b128 v[22:25], v11 offset:7792
	ds_read_b64 v[11:12], v11 offset:7280
	s_movk_i32 s10, 0x1800
	s_waitcnt lgkmcnt(0)
	v_mul_f64 v[11:12], v[11:12], v[24:25]
	v_mul_f64 v[11:12], v[22:23], v[11:12]
	v_add_u32_e64 v22, s10, 0
	ds_write2_b64 v22, v[11:12], v[11:12] offset0:143 offset1:206
.LBB41_824:
	s_or_b64 exec, exec, s[0:1]
	v_mov_b32_e32 v11, 0
	v_mov_b32_e32 v12, 0
	s_waitcnt lgkmcnt(0)
	s_barrier
	buffer_wbinvl1_vol
	s_and_saveexec_b64 s[0:1], s[2:3]
	s_cbranch_execz .LBB41_828
; %bb.825:
	v_lshlrev_b32_e32 v22, 9, v13
	v_lshlrev_b32_e32 v11, 3, v1
	ds_read_b64 v[11:12], v11 offset:7264
	ds_read_b64 v[22:23], v22 offset:7280
	v_cmp_gt_u32_e64 s[10:11], 2, v15
	s_waitcnt lgkmcnt(0)
	v_fma_f64 v[11:12], v[11:12], v[22:23], 0
	s_and_saveexec_b64 s[12:13], s[10:11]
	s_cbranch_execz .LBB41_827
; %bb.826:
	v_lshlrev_b32_e32 v22, 3, v0
	v_mov_b32_e32 v24, 0
	ds_read_b64 v[22:23], v22 offset:7776
	ds_read_b64 v[24:25], v24 offset:7800
	s_waitcnt lgkmcnt(0)
	v_fma_f64 v[11:12], v[22:23], v[24:25], v[11:12]
.LBB41_827:
	s_or_b64 exec, exec, s[12:13]
.LBB41_828:
	s_or_b64 exec, exec, s[0:1]
	s_and_saveexec_b64 s[0:1], s[28:29]
	s_cbranch_execz .LBB41_830
; %bb.829:
	v_mov_b32_e32 v22, 0
	ds_read_b64 v[22:23], v22 offset:6760
	s_waitcnt lgkmcnt(0)
	v_mul_f64 v[11:12], v[11:12], v[22:23]
	v_xor_b32_e32 v23, 0x80000000, v12
	v_mov_b32_e32 v22, v11
	ds_write_b64 v14, v[22:23]
.LBB41_830:
	s_or_b64 exec, exec, s[0:1]
	s_waitcnt lgkmcnt(0)
	s_barrier
	s_and_saveexec_b64 s[0:1], s[26:27]
	s_cbranch_execz .LBB41_832
; %bb.831:
	v_mov_b32_e32 v22, 0
	ds_read_b64 v[22:23], v22 offset:6752
	ds_read_b64 v[24:25], v14
	s_waitcnt lgkmcnt(0)
	v_fma_f64 v[11:12], -v[22:23], v[24:25], v[11:12]
.LBB41_832:
	s_or_b64 exec, exec, s[0:1]
	s_barrier
	s_and_saveexec_b64 s[0:1], s[26:27]
	s_cbranch_execz .LBB41_834
; %bb.833:
	v_mov_b32_e32 v22, 0
	ds_read_b64 v[22:23], v22 offset:6240
	s_waitcnt lgkmcnt(0)
	v_mul_f64 v[11:12], v[11:12], v[22:23]
	v_xor_b32_e32 v23, 0x80000000, v12
	v_mov_b32_e32 v22, v11
	ds_write_b64 v14, v[22:23]
.LBB41_834:
	s_or_b64 exec, exec, s[0:1]
	s_waitcnt lgkmcnt(0)
	s_barrier
	s_barrier
	s_and_saveexec_b64 s[0:1], s[2:3]
; %bb.835:
	v_lshlrev_b32_e32 v22, 3, v1
	v_lshl_or_b32 v22, v13, 9, v22
	ds_write_b64 v22, v[11:12] offset:7264
; %bb.836:
	s_or_b64 exec, exec, s[0:1]
	s_waitcnt lgkmcnt(0)
	s_barrier
	s_barrier
	s_and_saveexec_b64 s[0:1], s[30:31]
	s_cbranch_execz .LBB41_838
; %bb.837:
	v_lshlrev_b32_e32 v22, 3, v0
	s_movk_i32 s10, 0x1f8
	v_mad_u32_u24 v23, v0, s10, v22
	ds_read_b64 v[11:12], v23 offset:7264
	s_waitcnt lgkmcnt(0)
	ds_write_b64 v22, v[11:12] offset:6256
	ds_read_b64 v[11:12], v23 offset:7272
	s_waitcnt lgkmcnt(0)
	ds_write_b64 v22, v[11:12] offset:6768
.LBB41_838:
	s_or_b64 exec, exec, s[0:1]
	s_waitcnt lgkmcnt(0)
	s_barrier
	s_and_saveexec_b64 s[0:1], vcc
	s_cbranch_execz .LBB41_840
; %bb.839:
	v_mov_b32_e32 v11, 0
	ds_read_b128 v[22:25], v11 offset:6752
	ds_read_b64 v[11:12], v11 offset:6240
	s_movk_i32 s10, 0x1800
	s_waitcnt lgkmcnt(0)
	v_mul_f64 v[11:12], v[11:12], v[24:25]
	v_mul_f64 v[11:12], v[22:23], v[11:12]
	v_add_u32_e64 v22, s10, 0
	ds_write2_b64 v22, v[11:12], v[11:12] offset0:13 offset1:76
.LBB41_840:
	s_or_b64 exec, exec, s[0:1]
	v_mov_b32_e32 v11, 0
	v_mov_b32_e32 v12, 0
	s_waitcnt lgkmcnt(0)
	s_barrier
	buffer_wbinvl1_vol
	s_and_saveexec_b64 s[0:1], s[18:19]
	s_cbranch_execz .LBB41_846
; %bb.841:
	v_lshlrev_b32_e32 v23, 3, v16
	v_lshlrev_b32_e32 v22, 9, v17
	ds_read_b64 v[11:12], v23 offset:6208
	ds_read_b64 v[24:25], v22 offset:6240
	v_cmp_gt_u32_e64 s[10:11], 12, v15
	s_waitcnt lgkmcnt(0)
	v_fma_f64 v[11:12], v[11:12], v[24:25], 0
	s_and_saveexec_b64 s[12:13], s[10:11]
	s_cbranch_execnz .LBB41_1138
; %bb.842:
	s_or_b64 exec, exec, s[12:13]
	v_cmp_gt_u32_e64 s[10:11], 8, v15
	s_and_saveexec_b64 s[12:13], s[10:11]
	s_cbranch_execnz .LBB41_1139
.LBB41_843:
	s_or_b64 exec, exec, s[12:13]
	v_cmp_gt_u32_e64 s[10:11], 4, v15
	s_and_saveexec_b64 s[12:13], s[10:11]
	s_cbranch_execz .LBB41_845
.LBB41_844:
	v_lshlrev_b32_e32 v22, 3, v0
	v_mov_b32_e32 v24, 0
	ds_read_b64 v[22:23], v22 offset:7744
	ds_read_b64 v[24:25], v24 offset:7800
	s_waitcnt lgkmcnt(0)
	v_fma_f64 v[11:12], v[22:23], v[24:25], v[11:12]
.LBB41_845:
	s_or_b64 exec, exec, s[12:13]
.LBB41_846:
	s_or_b64 exec, exec, s[0:1]
	s_and_saveexec_b64 s[0:1], s[36:37]
	s_cbranch_execz .LBB41_848
; %bb.847:
	v_mov_b32_e32 v22, 0
	ds_read_b64 v[22:23], v22 offset:5720
	s_waitcnt lgkmcnt(0)
	v_mul_f64 v[11:12], v[11:12], v[22:23]
	v_xor_b32_e32 v23, 0x80000000, v12
	v_mov_b32_e32 v22, v11
	ds_write_b64 v18, v[22:23]
.LBB41_848:
	s_or_b64 exec, exec, s[0:1]
	s_waitcnt lgkmcnt(0)
	s_barrier
	s_and_saveexec_b64 s[0:1], s[38:39]
	s_cbranch_execz .LBB41_850
; %bb.849:
	v_lshlrev_b32_e32 v22, 3, v16
	ds_read_b64 v[22:23], v22 offset:5696
	ds_read_b64 v[24:25], v18
	s_waitcnt lgkmcnt(0)
	v_fma_f64 v[11:12], -v[22:23], v[24:25], v[11:12]
.LBB41_850:
	s_or_b64 exec, exec, s[0:1]
	s_barrier
	s_and_saveexec_b64 s[0:1], s[42:43]
	s_cbranch_execz .LBB41_852
; %bb.851:
	v_mov_b32_e32 v22, 0
	ds_read_b64 v[22:23], v22 offset:5200
	s_waitcnt lgkmcnt(0)
	v_mul_f64 v[11:12], v[11:12], v[22:23]
	v_xor_b32_e32 v23, 0x80000000, v12
	v_mov_b32_e32 v22, v11
	ds_write_b64 v18, v[22:23]
.LBB41_852:
	s_or_b64 exec, exec, s[0:1]
	s_waitcnt lgkmcnt(0)
	s_barrier
	s_and_saveexec_b64 s[0:1], s[52:53]
	s_cbranch_execz .LBB41_854
; %bb.853:
	v_lshlrev_b32_e32 v22, 3, v16
	ds_read_b64 v[22:23], v22 offset:5184
	ds_read_b64 v[24:25], v18
	s_waitcnt lgkmcnt(0)
	v_fma_f64 v[11:12], -v[22:23], v[24:25], v[11:12]
.LBB41_854:
	s_or_b64 exec, exec, s[0:1]
	s_barrier
	s_and_saveexec_b64 s[0:1], s[54:55]
	s_cbranch_execz .LBB41_856
; %bb.855:
	v_mov_b32_e32 v22, 0
	ds_read_b64 v[22:23], v22 offset:4680
	s_waitcnt lgkmcnt(0)
	v_mul_f64 v[11:12], v[11:12], v[22:23]
	v_xor_b32_e32 v23, 0x80000000, v12
	v_mov_b32_e32 v22, v11
	ds_write_b64 v18, v[22:23]
.LBB41_856:
	s_or_b64 exec, exec, s[0:1]
	s_waitcnt lgkmcnt(0)
	s_barrier
	s_and_saveexec_b64 s[0:1], s[34:35]
	s_cbranch_execz .LBB41_858
; %bb.857:
	v_mov_b32_e32 v22, 0
	ds_read_b64 v[22:23], v22 offset:4672
	ds_read_b64 v[24:25], v18
	s_waitcnt lgkmcnt(0)
	v_fma_f64 v[11:12], -v[22:23], v[24:25], v[11:12]
.LBB41_858:
	s_or_b64 exec, exec, s[0:1]
	s_barrier
	s_and_saveexec_b64 s[0:1], s[34:35]
	s_cbranch_execz .LBB41_860
; %bb.859:
	v_mov_b32_e32 v22, 0
	ds_read_b64 v[22:23], v22 offset:4160
	s_waitcnt lgkmcnt(0)
	v_mul_f64 v[11:12], v[11:12], v[22:23]
	v_xor_b32_e32 v23, 0x80000000, v12
	v_mov_b32_e32 v22, v11
	ds_write_b64 v18, v[22:23]
.LBB41_860:
	s_or_b64 exec, exec, s[0:1]
	s_waitcnt lgkmcnt(0)
	s_barrier
	s_barrier
	s_and_saveexec_b64 s[0:1], s[18:19]
; %bb.861:
	v_lshlrev_b32_e32 v22, 3, v16
	v_lshl_or_b32 v22, v17, 9, v22
	ds_write_b64 v22, v[11:12] offset:6208
; %bb.862:
	s_or_b64 exec, exec, s[0:1]
	s_waitcnt lgkmcnt(0)
	s_barrier
	s_barrier
	s_and_saveexec_b64 s[0:1], s[56:57]
	s_cbranch_execz .LBB41_864
; %bb.863:
	v_lshlrev_b32_e32 v22, 9, v0
	ds_read_b64 v[11:12], v22 offset:6208
	s_movk_i32 s10, 0xfe08
	v_mad_i32_i24 v23, v0, s10, v22
	s_waitcnt lgkmcnt(0)
	ds_write_b64 v23, v[11:12] offset:4192
	ds_read_b64 v[11:12], v22 offset:6216
	s_waitcnt lgkmcnt(0)
	ds_write_b64 v23, v[11:12] offset:4704
	ds_read_b64 v[11:12], v22 offset:6224
	;; [unrolled: 3-line block ×3, first 2 shown]
	s_waitcnt lgkmcnt(0)
	ds_write_b64 v23, v[11:12] offset:5728
.LBB41_864:
	s_or_b64 exec, exec, s[0:1]
	s_waitcnt lgkmcnt(0)
	s_barrier
	s_and_saveexec_b64 s[0:1], vcc
	s_cbranch_execz .LBB41_866
; %bb.865:
	v_mov_b32_e32 v11, 0
	ds_read_b128 v[22:25], v11 offset:5712
	ds_read_b64 v[11:12], v11 offset:5200
	s_movk_i32 s10, 0x1000
	s_waitcnt lgkmcnt(0)
	v_mul_f64 v[11:12], v[11:12], v[24:25]
	v_mul_f64 v[11:12], v[22:23], v[11:12]
	v_add_u32_e64 v22, s10, 0
	ds_write2_b64 v22, v[11:12], v[11:12] offset0:139 offset1:202
.LBB41_866:
	s_or_b64 exec, exec, s[0:1]
	v_mov_b32_e32 v11, 0
	v_mov_b32_e32 v12, 0
	s_waitcnt lgkmcnt(0)
	s_barrier
	buffer_wbinvl1_vol
	s_and_saveexec_b64 s[0:1], s[2:3]
	s_cbranch_execz .LBB41_870
; %bb.867:
	v_lshlrev_b32_e32 v22, 9, v13
	v_lshlrev_b32_e32 v11, 3, v1
	ds_read_b64 v[11:12], v11 offset:5184
	ds_read_b64 v[22:23], v22 offset:5200
	v_cmp_gt_u32_e64 s[10:11], 2, v15
	s_waitcnt lgkmcnt(0)
	v_fma_f64 v[11:12], v[11:12], v[22:23], 0
	s_and_saveexec_b64 s[12:13], s[10:11]
	s_cbranch_execz .LBB41_869
; %bb.868:
	v_lshlrev_b32_e32 v22, 3, v0
	v_mov_b32_e32 v24, 0
	ds_read_b64 v[22:23], v22 offset:5696
	ds_read_b64 v[24:25], v24 offset:5720
	s_waitcnt lgkmcnt(0)
	v_fma_f64 v[11:12], v[22:23], v[24:25], v[11:12]
.LBB41_869:
	s_or_b64 exec, exec, s[12:13]
.LBB41_870:
	s_or_b64 exec, exec, s[0:1]
	s_and_saveexec_b64 s[0:1], s[28:29]
	s_cbranch_execz .LBB41_872
; %bb.871:
	v_mov_b32_e32 v22, 0
	ds_read_b64 v[22:23], v22 offset:4680
	s_waitcnt lgkmcnt(0)
	v_mul_f64 v[11:12], v[11:12], v[22:23]
	v_xor_b32_e32 v23, 0x80000000, v12
	v_mov_b32_e32 v22, v11
	ds_write_b64 v14, v[22:23]
.LBB41_872:
	s_or_b64 exec, exec, s[0:1]
	s_waitcnt lgkmcnt(0)
	s_barrier
	s_and_saveexec_b64 s[0:1], s[26:27]
	s_cbranch_execz .LBB41_874
; %bb.873:
	v_mov_b32_e32 v22, 0
	ds_read_b64 v[22:23], v22 offset:4672
	ds_read_b64 v[24:25], v14
	s_waitcnt lgkmcnt(0)
	v_fma_f64 v[11:12], -v[22:23], v[24:25], v[11:12]
.LBB41_874:
	s_or_b64 exec, exec, s[0:1]
	s_barrier
	s_and_saveexec_b64 s[0:1], s[26:27]
	s_cbranch_execz .LBB41_876
; %bb.875:
	v_mov_b32_e32 v22, 0
	ds_read_b64 v[22:23], v22 offset:4160
	s_waitcnt lgkmcnt(0)
	v_mul_f64 v[11:12], v[11:12], v[22:23]
	v_xor_b32_e32 v23, 0x80000000, v12
	v_mov_b32_e32 v22, v11
	ds_write_b64 v14, v[22:23]
.LBB41_876:
	s_or_b64 exec, exec, s[0:1]
	s_waitcnt lgkmcnt(0)
	s_barrier
	s_barrier
	s_and_saveexec_b64 s[0:1], s[2:3]
; %bb.877:
	v_lshlrev_b32_e32 v22, 3, v1
	v_lshl_or_b32 v22, v13, 9, v22
	ds_write_b64 v22, v[11:12] offset:5184
; %bb.878:
	s_or_b64 exec, exec, s[0:1]
	s_waitcnt lgkmcnt(0)
	s_barrier
	s_barrier
	s_and_saveexec_b64 s[0:1], s[30:31]
	s_cbranch_execz .LBB41_880
; %bb.879:
	v_lshlrev_b32_e32 v22, 3, v0
	s_movk_i32 s10, 0x1f8
	v_mad_u32_u24 v23, v0, s10, v22
	ds_read_b64 v[11:12], v23 offset:5184
	s_waitcnt lgkmcnt(0)
	ds_write_b64 v22, v[11:12] offset:4176
	ds_read_b64 v[11:12], v23 offset:5192
	s_waitcnt lgkmcnt(0)
	ds_write_b64 v22, v[11:12] offset:4688
.LBB41_880:
	s_or_b64 exec, exec, s[0:1]
	s_waitcnt lgkmcnt(0)
	s_barrier
	s_and_saveexec_b64 s[0:1], vcc
	s_cbranch_execz .LBB41_882
; %bb.881:
	v_mov_b32_e32 v11, 0
	ds_read_b128 v[22:25], v11 offset:4672
	ds_read_b64 v[11:12], v11 offset:4160
	s_movk_i32 s10, 0x1000
	s_waitcnt lgkmcnt(0)
	v_mul_f64 v[11:12], v[11:12], v[24:25]
	v_mul_f64 v[11:12], v[22:23], v[11:12]
	v_add_u32_e64 v22, s10, 0
	ds_write2_b64 v22, v[11:12], v[11:12] offset0:9 offset1:72
.LBB41_882:
	s_or_b64 exec, exec, s[0:1]
	v_mov_b32_e32 v11, 0
	v_mov_b32_e32 v12, 0
	s_waitcnt lgkmcnt(0)
	s_barrier
	buffer_wbinvl1_vol
	s_and_saveexec_b64 s[0:1], s[8:9]
	s_cbranch_execz .LBB41_892
; %bb.883:
	v_lshlrev_b32_e32 v23, 3, v19
	v_lshlrev_b32_e32 v22, 9, v20
	ds_read_b64 v[11:12], v23 offset:4096
	ds_read_b64 v[24:25], v22 offset:4160
	v_cmp_gt_u32_e64 s[10:11], 56, v15
	s_waitcnt lgkmcnt(0)
	v_fma_f64 v[11:12], v[11:12], v[24:25], 0
	s_and_saveexec_b64 s[12:13], s[10:11]
	s_cbranch_execnz .LBB41_1140
; %bb.884:
	s_or_b64 exec, exec, s[12:13]
	v_cmp_gt_u32_e64 s[10:11], 48, v15
	s_and_saveexec_b64 s[12:13], s[10:11]
	s_cbranch_execnz .LBB41_1141
.LBB41_885:
	s_or_b64 exec, exec, s[12:13]
	v_cmp_gt_u32_e64 s[10:11], 40, v15
	s_and_saveexec_b64 s[12:13], s[10:11]
	s_cbranch_execnz .LBB41_1142
.LBB41_886:
	s_or_b64 exec, exec, s[12:13]
	v_cmp_gt_u32_e64 s[10:11], 32, v15
	s_and_saveexec_b64 s[12:13], s[10:11]
	s_cbranch_execnz .LBB41_1143
.LBB41_887:
	s_or_b64 exec, exec, s[12:13]
	v_cmp_gt_u32_e64 s[10:11], 24, v15
	s_and_saveexec_b64 s[12:13], s[10:11]
	s_cbranch_execnz .LBB41_1144
.LBB41_888:
	s_or_b64 exec, exec, s[12:13]
	s_and_saveexec_b64 s[10:11], s[18:19]
	s_cbranch_execnz .LBB41_1145
.LBB41_889:
	s_or_b64 exec, exec, s[10:11]
	v_cmp_gt_u32_e64 s[10:11], 8, v15
	s_and_saveexec_b64 s[12:13], s[10:11]
	s_cbranch_execz .LBB41_891
.LBB41_890:
	v_lshlrev_b32_e32 v22, 3, v0
	v_mov_b32_e32 v24, 0
	ds_read_b64 v[22:23], v22 offset:7680
	ds_read_b64 v[24:25], v24 offset:7800
	s_waitcnt lgkmcnt(0)
	v_fma_f64 v[11:12], v[22:23], v[24:25], v[11:12]
.LBB41_891:
	s_or_b64 exec, exec, s[12:13]
.LBB41_892:
	s_or_b64 exec, exec, s[0:1]
	s_and_saveexec_b64 s[0:1], s[58:59]
	s_cbranch_execz .LBB41_894
; %bb.893:
	v_mov_b32_e32 v22, 0
	ds_read_b64 v[22:23], v22 offset:3640
	s_waitcnt lgkmcnt(0)
	v_mul_f64 v[11:12], v[11:12], v[22:23]
	v_xor_b32_e32 v23, 0x80000000, v12
	v_mov_b32_e32 v22, v11
	ds_write_b64 v21, v[22:23]
.LBB41_894:
	s_or_b64 exec, exec, s[0:1]
	s_waitcnt lgkmcnt(0)
	s_barrier
	s_and_saveexec_b64 s[0:1], s[60:61]
	v_readlane_b32 s58, v36, 1
	v_readlane_b32 s59, v36, 2
	s_cbranch_execz .LBB41_896
; %bb.895:
	v_lshlrev_b32_e32 v22, 3, v19
	ds_read_b64 v[22:23], v22 offset:3584
	ds_read_b64 v[24:25], v21
	s_waitcnt lgkmcnt(0)
	v_fma_f64 v[11:12], -v[22:23], v[24:25], v[11:12]
.LBB41_896:
	s_or_b64 exec, exec, s[0:1]
	s_barrier
	s_and_saveexec_b64 s[0:1], s[62:63]
	s_cbranch_execz .LBB41_898
; %bb.897:
	v_mov_b32_e32 v22, 0
	ds_read_b64 v[22:23], v22 offset:3120
	s_waitcnt lgkmcnt(0)
	v_mul_f64 v[11:12], v[11:12], v[22:23]
	v_xor_b32_e32 v23, 0x80000000, v12
	v_mov_b32_e32 v22, v11
	ds_write_b64 v21, v[22:23]
.LBB41_898:
	s_or_b64 exec, exec, s[0:1]
	s_waitcnt lgkmcnt(0)
	s_barrier
	s_and_saveexec_b64 s[0:1], s[64:65]
	s_cbranch_execz .LBB41_900
; %bb.899:
	v_lshlrev_b32_e32 v22, 3, v19
	ds_read_b64 v[22:23], v22 offset:3072
	ds_read_b64 v[24:25], v21
	s_waitcnt lgkmcnt(0)
	v_fma_f64 v[11:12], -v[22:23], v[24:25], v[11:12]
.LBB41_900:
	s_or_b64 exec, exec, s[0:1]
	s_barrier
	s_and_saveexec_b64 s[0:1], s[66:67]
	s_cbranch_execz .LBB41_902
; %bb.901:
	v_mov_b32_e32 v22, 0
	ds_read_b64 v[22:23], v22 offset:2600
	s_waitcnt lgkmcnt(0)
	v_mul_f64 v[11:12], v[11:12], v[22:23]
	v_xor_b32_e32 v23, 0x80000000, v12
	v_mov_b32_e32 v22, v11
	ds_write_b64 v21, v[22:23]
.LBB41_902:
	s_or_b64 exec, exec, s[0:1]
	s_waitcnt lgkmcnt(0)
	s_barrier
	s_and_saveexec_b64 s[0:1], s[70:71]
	;; [unrolled: 25-line block ×6, first 2 shown]
	s_cbranch_execz .LBB41_920
; %bb.919:
	v_mov_b32_e32 v22, 0
	ds_read_b64 v[22:23], v22 offset:512
	ds_read_b64 v[24:25], v21
	s_waitcnt lgkmcnt(0)
	v_fma_f64 v[11:12], -v[22:23], v[24:25], v[11:12]
.LBB41_920:
	s_or_b64 exec, exec, s[0:1]
	s_barrier
	s_and_saveexec_b64 s[0:1], s[68:69]
	s_cbranch_execz .LBB41_922
; %bb.921:
	v_mov_b32_e32 v22, 0
	ds_read_b64 v[22:23], v22
	s_waitcnt lgkmcnt(0)
	v_mul_f64 v[11:12], v[11:12], v[22:23]
	v_xor_b32_e32 v23, 0x80000000, v12
	v_mov_b32_e32 v22, v11
	ds_write_b64 v21, v[22:23]
.LBB41_922:
	s_or_b64 exec, exec, s[0:1]
	s_waitcnt lgkmcnt(0)
	s_barrier
	s_barrier
	s_and_saveexec_b64 s[0:1], s[8:9]
; %bb.923:
	v_lshlrev_b32_e32 v19, 3, v19
	v_lshl_or_b32 v19, v20, 9, v19
	ds_write_b64 v19, v[11:12] offset:4096
; %bb.924:
	s_or_b64 exec, exec, s[0:1]
	s_waitcnt lgkmcnt(0)
	s_barrier
	s_barrier
	s_and_saveexec_b64 s[0:1], s[86:87]
	s_cbranch_execz .LBB41_926
; %bb.925:
	v_lshlrev_b32_e32 v19, 9, v0
	ds_read_b64 v[11:12], v19 offset:4096
	s_movk_i32 s8, 0xfe08
	v_mad_i32_i24 v20, v0, s8, v19
	s_waitcnt lgkmcnt(0)
	ds_write_b64 v20, v[11:12] offset:64
	ds_read_b64 v[11:12], v19 offset:4104
	s_waitcnt lgkmcnt(0)
	ds_write_b64 v20, v[11:12] offset:576
	ds_read_b64 v[11:12], v19 offset:4112
	;; [unrolled: 3-line block ×7, first 2 shown]
	s_waitcnt lgkmcnt(0)
	ds_write_b64 v20, v[11:12] offset:3648
.LBB41_926:
	s_or_b64 exec, exec, s[0:1]
	s_waitcnt lgkmcnt(0)
	s_barrier
	s_and_saveexec_b64 s[0:1], vcc
	s_cbranch_execz .LBB41_928
; %bb.927:
	v_mov_b32_e32 v11, 0
	ds_read_b128 v[19:22], v11 offset:3632
	ds_read_b64 v[11:12], v11 offset:3120
	s_movk_i32 s8, 0x800
	s_waitcnt lgkmcnt(0)
	v_mul_f64 v[11:12], v[11:12], v[21:22]
	v_mul_f64 v[11:12], v[19:20], v[11:12]
	v_add_u32_e64 v19, s8, 0
	ds_write2_b64 v19, v[11:12], v[11:12] offset0:135 offset1:198
.LBB41_928:
	s_or_b64 exec, exec, s[0:1]
	v_mov_b32_e32 v11, 0
	v_mov_b32_e32 v12, 0
	s_waitcnt lgkmcnt(0)
	s_barrier
	buffer_wbinvl1_vol
	s_and_saveexec_b64 s[0:1], s[2:3]
	s_cbranch_execz .LBB41_932
; %bb.929:
	v_lshlrev_b32_e32 v19, 9, v13
	v_lshlrev_b32_e32 v11, 3, v1
	ds_read_b64 v[11:12], v11 offset:3104
	ds_read_b64 v[19:20], v19 offset:3120
	v_cmp_gt_u32_e64 s[8:9], 2, v15
	s_waitcnt lgkmcnt(0)
	v_fma_f64 v[11:12], v[11:12], v[19:20], 0
	s_and_saveexec_b64 s[10:11], s[8:9]
	s_cbranch_execz .LBB41_931
; %bb.930:
	v_lshlrev_b32_e32 v19, 3, v0
	v_mov_b32_e32 v21, 0
	ds_read_b64 v[19:20], v19 offset:3616
	ds_read_b64 v[21:22], v21 offset:3640
	s_waitcnt lgkmcnt(0)
	v_fma_f64 v[11:12], v[19:20], v[21:22], v[11:12]
.LBB41_931:
	s_or_b64 exec, exec, s[10:11]
.LBB41_932:
	s_or_b64 exec, exec, s[0:1]
	s_and_saveexec_b64 s[0:1], s[28:29]
	s_cbranch_execz .LBB41_934
; %bb.933:
	v_mov_b32_e32 v19, 0
	ds_read_b64 v[19:20], v19 offset:2600
	s_waitcnt lgkmcnt(0)
	v_mul_f64 v[11:12], v[11:12], v[19:20]
	v_xor_b32_e32 v20, 0x80000000, v12
	v_mov_b32_e32 v19, v11
	ds_write_b64 v14, v[19:20]
.LBB41_934:
	s_or_b64 exec, exec, s[0:1]
	s_waitcnt lgkmcnt(0)
	s_barrier
	s_and_saveexec_b64 s[0:1], s[26:27]
	s_cbranch_execz .LBB41_936
; %bb.935:
	v_mov_b32_e32 v19, 0
	ds_read_b64 v[19:20], v19 offset:2592
	ds_read_b64 v[21:22], v14
	s_waitcnt lgkmcnt(0)
	v_fma_f64 v[11:12], -v[19:20], v[21:22], v[11:12]
.LBB41_936:
	s_or_b64 exec, exec, s[0:1]
	s_barrier
	s_and_saveexec_b64 s[0:1], s[26:27]
	s_cbranch_execz .LBB41_938
; %bb.937:
	v_mov_b32_e32 v19, 0
	ds_read_b64 v[19:20], v19 offset:2080
	s_waitcnt lgkmcnt(0)
	v_mul_f64 v[11:12], v[11:12], v[19:20]
	v_xor_b32_e32 v20, 0x80000000, v12
	v_mov_b32_e32 v19, v11
	ds_write_b64 v14, v[19:20]
.LBB41_938:
	s_or_b64 exec, exec, s[0:1]
	s_waitcnt lgkmcnt(0)
	s_barrier
	s_barrier
	s_and_saveexec_b64 s[0:1], s[2:3]
; %bb.939:
	v_lshlrev_b32_e32 v19, 3, v1
	v_lshl_or_b32 v19, v13, 9, v19
	ds_write_b64 v19, v[11:12] offset:3104
; %bb.940:
	s_or_b64 exec, exec, s[0:1]
	s_waitcnt lgkmcnt(0)
	s_barrier
	s_barrier
	s_and_saveexec_b64 s[0:1], s[30:31]
	s_cbranch_execz .LBB41_942
; %bb.941:
	v_lshlrev_b32_e32 v19, 3, v0
	s_movk_i32 s8, 0x1f8
	v_mad_u32_u24 v20, v0, s8, v19
	ds_read_b64 v[11:12], v20 offset:3104
	s_waitcnt lgkmcnt(0)
	ds_write_b64 v19, v[11:12] offset:2096
	ds_read_b64 v[11:12], v20 offset:3112
	s_waitcnt lgkmcnt(0)
	ds_write_b64 v19, v[11:12] offset:2608
.LBB41_942:
	s_or_b64 exec, exec, s[0:1]
	s_waitcnt lgkmcnt(0)
	s_barrier
	s_and_saveexec_b64 s[0:1], vcc
	s_cbranch_execz .LBB41_944
; %bb.943:
	v_mov_b32_e32 v11, 0
	ds_read_b128 v[19:22], v11 offset:2592
	ds_read_b64 v[11:12], v11 offset:2080
	s_movk_i32 s8, 0x800
	s_waitcnt lgkmcnt(0)
	v_mul_f64 v[11:12], v[11:12], v[21:22]
	v_mul_f64 v[11:12], v[19:20], v[11:12]
	v_add_u32_e64 v19, s8, 0
	ds_write2_b64 v19, v[11:12], v[11:12] offset0:5 offset1:68
.LBB41_944:
	s_or_b64 exec, exec, s[0:1]
	v_mov_b32_e32 v11, 0
	v_mov_b32_e32 v12, 0
	s_waitcnt lgkmcnt(0)
	s_barrier
	buffer_wbinvl1_vol
	s_and_saveexec_b64 s[0:1], s[18:19]
	s_cbranch_execz .LBB41_950
; %bb.945:
	v_lshlrev_b32_e32 v20, 3, v16
	v_lshlrev_b32_e32 v19, 9, v17
	ds_read_b64 v[11:12], v20 offset:2048
	ds_read_b64 v[21:22], v19 offset:2080
	v_cmp_gt_u32_e64 s[8:9], 12, v15
	s_waitcnt lgkmcnt(0)
	v_fma_f64 v[11:12], v[11:12], v[21:22], 0
	s_and_saveexec_b64 s[10:11], s[8:9]
	s_cbranch_execnz .LBB41_1146
; %bb.946:
	s_or_b64 exec, exec, s[10:11]
	v_cmp_gt_u32_e64 s[8:9], 8, v15
	s_and_saveexec_b64 s[10:11], s[8:9]
	s_cbranch_execnz .LBB41_1147
.LBB41_947:
	s_or_b64 exec, exec, s[10:11]
	v_cmp_gt_u32_e64 s[8:9], 4, v15
	s_and_saveexec_b64 s[10:11], s[8:9]
	s_cbranch_execz .LBB41_949
.LBB41_948:
	v_lshlrev_b32_e32 v19, 3, v0
	v_mov_b32_e32 v21, 0
	ds_read_b64 v[19:20], v19 offset:3584
	ds_read_b64 v[21:22], v21 offset:3640
	s_waitcnt lgkmcnt(0)
	v_fma_f64 v[11:12], v[19:20], v[21:22], v[11:12]
.LBB41_949:
	s_or_b64 exec, exec, s[10:11]
.LBB41_950:
	s_or_b64 exec, exec, s[0:1]
	s_and_saveexec_b64 s[0:1], s[36:37]
	s_cbranch_execz .LBB41_952
; %bb.951:
	v_mov_b32_e32 v19, 0
	ds_read_b64 v[19:20], v19 offset:1560
	s_waitcnt lgkmcnt(0)
	v_mul_f64 v[11:12], v[11:12], v[19:20]
	v_xor_b32_e32 v20, 0x80000000, v12
	v_mov_b32_e32 v19, v11
	ds_write_b64 v18, v[19:20]
.LBB41_952:
	s_or_b64 exec, exec, s[0:1]
	s_waitcnt lgkmcnt(0)
	s_barrier
	s_and_saveexec_b64 s[0:1], s[38:39]
	v_readlane_b32 s36, v36, 0
	s_cbranch_execz .LBB41_954
; %bb.953:
	v_lshlrev_b32_e32 v19, 3, v16
	ds_read_b64 v[19:20], v19 offset:1536
	ds_read_b64 v[21:22], v18
	s_waitcnt lgkmcnt(0)
	v_fma_f64 v[11:12], -v[19:20], v[21:22], v[11:12]
.LBB41_954:
	s_or_b64 exec, exec, s[0:1]
	s_barrier
	s_and_saveexec_b64 s[0:1], s[42:43]
	s_cbranch_execz .LBB41_956
; %bb.955:
	v_mov_b32_e32 v19, 0
	ds_read_b64 v[19:20], v19 offset:1040
	s_waitcnt lgkmcnt(0)
	v_mul_f64 v[11:12], v[11:12], v[19:20]
	v_xor_b32_e32 v20, 0x80000000, v12
	v_mov_b32_e32 v19, v11
	ds_write_b64 v18, v[19:20]
.LBB41_956:
	s_or_b64 exec, exec, s[0:1]
	s_waitcnt lgkmcnt(0)
	s_barrier
	s_and_saveexec_b64 s[0:1], s[52:53]
	s_cbranch_execz .LBB41_958
; %bb.957:
	v_lshlrev_b32_e32 v19, 3, v16
	ds_read_b64 v[19:20], v19 offset:1024
	ds_read_b64 v[21:22], v18
	s_waitcnt lgkmcnt(0)
	v_fma_f64 v[11:12], -v[19:20], v[21:22], v[11:12]
.LBB41_958:
	s_or_b64 exec, exec, s[0:1]
	s_barrier
	s_and_saveexec_b64 s[0:1], s[54:55]
	s_cbranch_execz .LBB41_960
; %bb.959:
	v_mov_b32_e32 v19, 0
	ds_read_b64 v[19:20], v19 offset:520
	s_waitcnt lgkmcnt(0)
	v_mul_f64 v[11:12], v[11:12], v[19:20]
	v_xor_b32_e32 v20, 0x80000000, v12
	v_mov_b32_e32 v19, v11
	ds_write_b64 v18, v[19:20]
.LBB41_960:
	s_or_b64 exec, exec, s[0:1]
	s_waitcnt lgkmcnt(0)
	s_barrier
	s_and_saveexec_b64 s[0:1], s[34:35]
	s_cbranch_execz .LBB41_962
; %bb.961:
	v_mov_b32_e32 v19, 0
	ds_read_b64 v[19:20], v19 offset:512
	ds_read_b64 v[21:22], v18
	s_waitcnt lgkmcnt(0)
	v_fma_f64 v[11:12], -v[19:20], v[21:22], v[11:12]
.LBB41_962:
	s_or_b64 exec, exec, s[0:1]
	s_barrier
	s_and_saveexec_b64 s[0:1], s[34:35]
	s_cbranch_execz .LBB41_964
; %bb.963:
	v_mov_b32_e32 v19, 0
	ds_read_b64 v[19:20], v19
	s_waitcnt lgkmcnt(0)
	v_mul_f64 v[11:12], v[11:12], v[19:20]
	v_xor_b32_e32 v20, 0x80000000, v12
	v_mov_b32_e32 v19, v11
	ds_write_b64 v18, v[19:20]
.LBB41_964:
	s_or_b64 exec, exec, s[0:1]
	s_waitcnt lgkmcnt(0)
	s_barrier
	s_barrier
	s_and_saveexec_b64 s[0:1], s[18:19]
; %bb.965:
	v_lshlrev_b32_e32 v16, 3, v16
	v_lshl_or_b32 v16, v17, 9, v16
	ds_write_b64 v16, v[11:12] offset:2048
; %bb.966:
	s_or_b64 exec, exec, s[0:1]
	s_waitcnt lgkmcnt(0)
	s_barrier
	s_barrier
	s_and_saveexec_b64 s[0:1], s[56:57]
	s_cbranch_execz .LBB41_968
; %bb.967:
	v_lshlrev_b32_e32 v16, 9, v0
	ds_read_b64 v[11:12], v16 offset:2048
	s_movk_i32 s8, 0xfe08
	v_mad_i32_i24 v17, v0, s8, v16
	s_waitcnt lgkmcnt(0)
	ds_write_b64 v17, v[11:12] offset:32
	ds_read_b64 v[11:12], v16 offset:2056
	s_waitcnt lgkmcnt(0)
	ds_write_b64 v17, v[11:12] offset:544
	ds_read_b64 v[11:12], v16 offset:2064
	;; [unrolled: 3-line block ×3, first 2 shown]
	s_waitcnt lgkmcnt(0)
	ds_write_b64 v17, v[11:12] offset:1568
.LBB41_968:
	s_or_b64 exec, exec, s[0:1]
	s_waitcnt lgkmcnt(0)
	s_barrier
	s_and_saveexec_b64 s[0:1], vcc
	s_cbranch_execz .LBB41_970
; %bb.969:
	v_mov_b32_e32 v20, 0
	ds_read_b128 v[16:19], v20 offset:1552
	ds_read_b64 v[11:12], v20 offset:1040
	s_waitcnt lgkmcnt(0)
	v_mul_f64 v[11:12], v[11:12], v[18:19]
	v_mul_f64 v[11:12], v[16:17], v[11:12]
	ds_write2_b64 v20, v[11:12], v[11:12] offset0:131 offset1:194
.LBB41_970:
	s_or_b64 exec, exec, s[0:1]
	v_mov_b32_e32 v11, 0
	v_mov_b32_e32 v12, 0
	s_waitcnt lgkmcnt(0)
	s_barrier
	buffer_wbinvl1_vol
	s_and_saveexec_b64 s[0:1], s[2:3]
	s_cbranch_execz .LBB41_974
; %bb.971:
	v_lshlrev_b32_e32 v16, 9, v13
	v_lshlrev_b32_e32 v11, 3, v1
	ds_read_b64 v[11:12], v11 offset:1024
	ds_read_b64 v[16:17], v16 offset:1040
	v_cmp_gt_u32_e64 s[8:9], 2, v15
	s_waitcnt lgkmcnt(0)
	v_fma_f64 v[11:12], v[11:12], v[16:17], 0
	s_and_saveexec_b64 s[10:11], s[8:9]
	s_cbranch_execz .LBB41_973
; %bb.972:
	v_lshlrev_b32_e32 v15, 3, v0
	v_mov_b32_e32 v17, 0
	ds_read_b64 v[15:16], v15 offset:1536
	ds_read_b64 v[17:18], v17 offset:1560
	s_waitcnt lgkmcnt(0)
	v_fma_f64 v[11:12], v[15:16], v[17:18], v[11:12]
.LBB41_973:
	s_or_b64 exec, exec, s[10:11]
.LBB41_974:
	s_or_b64 exec, exec, s[0:1]
	s_and_saveexec_b64 s[0:1], s[28:29]
	s_cbranch_execz .LBB41_976
; %bb.975:
	v_mov_b32_e32 v15, 0
	ds_read_b64 v[15:16], v15 offset:520
	s_waitcnt lgkmcnt(0)
	v_mul_f64 v[11:12], v[11:12], v[15:16]
	v_xor_b32_e32 v16, 0x80000000, v12
	v_mov_b32_e32 v15, v11
	ds_write_b64 v14, v[15:16]
.LBB41_976:
	s_or_b64 exec, exec, s[0:1]
	s_waitcnt lgkmcnt(0)
	s_barrier
	s_and_saveexec_b64 s[0:1], s[26:27]
	s_cbranch_execz .LBB41_978
; %bb.977:
	v_mov_b32_e32 v15, 0
	ds_read_b64 v[15:16], v15 offset:512
	ds_read_b64 v[17:18], v14
	s_waitcnt lgkmcnt(0)
	v_fma_f64 v[11:12], -v[15:16], v[17:18], v[11:12]
.LBB41_978:
	s_or_b64 exec, exec, s[0:1]
	s_barrier
	s_and_saveexec_b64 s[0:1], s[26:27]
	s_cbranch_execz .LBB41_980
; %bb.979:
	v_mov_b32_e32 v15, 0
	ds_read_b64 v[15:16], v15
	s_waitcnt lgkmcnt(0)
	v_mul_f64 v[11:12], v[11:12], v[15:16]
	v_xor_b32_e32 v16, 0x80000000, v12
	v_mov_b32_e32 v15, v11
	ds_write_b64 v14, v[15:16]
.LBB41_980:
	s_or_b64 exec, exec, s[0:1]
	s_waitcnt lgkmcnt(0)
	s_barrier
	s_barrier
	s_and_saveexec_b64 s[0:1], s[2:3]
; %bb.981:
	v_lshlrev_b32_e32 v1, 3, v1
	v_lshl_or_b32 v1, v13, 9, v1
	ds_write_b64 v1, v[11:12] offset:1024
; %bb.982:
	s_or_b64 exec, exec, s[0:1]
	s_waitcnt lgkmcnt(0)
	s_barrier
	s_barrier
	s_and_saveexec_b64 s[0:1], s[30:31]
	s_cbranch_execz .LBB41_984
; %bb.983:
	v_lshlrev_b32_e32 v1, 3, v0
	s_movk_i32 s2, 0x1f8
	v_mad_u32_u24 v13, v0, s2, v1
	ds_read_b64 v[11:12], v13 offset:1024
	s_waitcnt lgkmcnt(0)
	ds_write_b64 v1, v[11:12] offset:16
	ds_read_b64 v[11:12], v13 offset:1032
	s_waitcnt lgkmcnt(0)
	ds_write_b64 v1, v[11:12] offset:528
.LBB41_984:
	s_or_b64 exec, exec, s[0:1]
	s_waitcnt lgkmcnt(0)
	s_barrier
	s_and_saveexec_b64 s[0:1], vcc
	s_cbranch_execz .LBB41_986
; %bb.985:
	v_mov_b32_e32 v1, 0
	ds_read_b128 v[11:14], v1 offset:512
	ds_read_b64 v[15:16], v1
	s_waitcnt lgkmcnt(0)
	v_mul_f64 v[13:14], v[15:16], v[13:14]
	v_mul_f64 v[11:12], v[11:12], v[13:14]
	ds_write2_b64 v1, v[11:12], v[11:12] offset0:1 offset1:64
.LBB41_986:
	s_or_b64 exec, exec, s[0:1]
.LBB41_987:
	s_load_dwordx4 s[12:15], s[4:5], 0x48
	v_cmp_le_i32_e32 vcc, s88, v0
	v_mov_b32_e32 v11, 0
	v_mov_b32_e32 v12, 0
	v_add_u32_e32 v13, s33, v0
	s_waitcnt lgkmcnt(0)
	s_mul_i32 s1, s13, s22
	s_mul_hi_u32 s2, s12, s22
	s_mul_i32 s0, s12, s22
	s_add_i32 s1, s2, s1
	s_lshl_b64 s[0:1], s[0:1], 3
	s_add_u32 s2, s46, s0
	s_addc_u32 s3, s47, s1
	s_lshl_b64 s[0:1], s[48:49], 3
	s_add_u32 s20, s2, s0
	s_addc_u32 s21, s3, s1
	s_and_b64 s[16:17], vcc, s[24:25]
	v_cmp_eq_u32_e64 s[2:3], 0, v2
	s_xor_b64 s[0:1], s[16:17], -1
	s_and_b64 s[4:5], s[2:3], s[0:1]
	s_barrier
	s_and_saveexec_b64 s[0:1], s[4:5]
	s_cbranch_execz .LBB41_989
; %bb.988:
	v_ashrrev_i32_e32 v1, 31, v13
	v_mul_lo_u32 v14, s51, v13
	v_mad_u64_u32 v[11:12], s[4:5], s50, v13, 0
	v_mul_lo_u32 v1, s50, v1
	v_add3_u32 v12, v12, v1, v14
	v_lshlrev_b64 v[11:12], 3, v[11:12]
	v_mov_b32_e32 v1, s21
	v_add_co_u32_e32 v11, vcc, s20, v11
	v_addc_co_u32_e32 v12, vcc, v1, v12, vcc
	global_load_dwordx2 v[11:12], v[11:12], off
	s_waitcnt vmcnt(0)
	v_mul_f64 v[11:12], v[11:12], -s[44:45]
.LBB41_989:
	s_or_b64 exec, exec, s[0:1]
	s_and_b32 s0, 0xffff, s93
	v_mad_u32_u24 v19, v2, s0, v0
	v_mov_b32_e32 v14, 0
	s_cmp_lt_i32 s6, 1
	v_cmp_eq_u32_e64 s[4:5], 0, v19
	s_cbranch_scc1 .LBB41_1015
; %bb.990:
	v_mad_u64_u32 v[15:16], s[0:1], s40, v13, 0
	v_cmp_gt_i32_e64 s[8:9], s7, v13
	s_mov_b32 s26, 0
	v_mov_b32_e32 v1, v16
	v_mad_u64_u32 v[16:17], s[0:1], s41, v13, v[1:2]
	s_lshl_b64 s[0:1], s[22:23], 2
	s_add_u32 s0, s14, s0
	v_lshlrev_b64 v[15:16], 3, v[15:16]
	v_mov_b32_e32 v17, 0xa000
	v_mov_b32_e32 v13, s92
	v_add_co_u32_e32 v21, vcc, s89, v15
	s_addc_u32 s1, s15, s1
	v_cmp_gt_u32_e64 s[12:13], 64, v19
	v_lshl_add_u32 v1, v19, 3, v17
	v_lshl_or_b32 v20, v2, 3, v17
	s_add_i32 s27, s6, -1
	v_addc_co_u32_e32 v22, vcc, v13, v16, vcc
	v_mov_b32_e32 v23, -1
	s_branch .LBB41_993
.LBB41_991:                             ;   in Loop: Header=BB41_993 Depth=1
	ds_read_b64 v[15:16], v20 offset:384
	s_waitcnt vmcnt(0) lgkmcnt(0)
	v_fma_f64 v[11:12], v[17:18], v[15:16], v[11:12]
.LBB41_992:                             ;   in Loop: Header=BB41_993 Depth=1
	s_or_b64 exec, exec, s[18:19]
	s_add_i32 s26, s26, 1
	s_cmp_eq_u32 s26, s6
	s_cbranch_scc1 .LBB41_1015
.LBB41_993:                             ; =>This Loop Header: Depth=1
                                        ;     Child Loop BB41_995 Depth 2
	v_cmp_gt_i32_e32 vcc, s26, v23
	s_and_b64 s[18:19], s[4:5], vcc
	s_and_saveexec_b64 s[10:11], s[18:19]
	s_cbranch_execz .LBB41_996
; %bb.994:                              ;   in Loop: Header=BB41_993 Depth=1
	global_load_dword v23, v14, s[0:1]
	s_waitcnt vmcnt(0)
	v_cmp_le_i32_e32 vcc, s26, v23
	s_cbranch_vccnz .LBB41_996
.LBB41_995:                             ;   Parent Loop BB41_993 Depth=1
                                        ; =>  This Inner Loop Header: Depth=2
	buffer_wbinvl1_vol
	global_load_dword v23, v14, s[0:1]
	s_waitcnt vmcnt(0)
	v_cmp_gt_i32_e32 vcc, s26, v23
	s_cbranch_vccnz .LBB41_995
.LBB41_996:                             ;   in Loop: Header=BB41_993 Depth=1
	s_or_b64 exec, exec, s[10:11]
	s_lshl_b32 s28, s26, 6
	buffer_wbinvl1_vol
	s_barrier
	s_and_saveexec_b64 s[10:11], s[12:13]
	s_cbranch_execz .LBB41_1000
; %bb.997:                              ;   in Loop: Header=BB41_993 Depth=1
	v_or_b32_e32 v13, s28, v19
	v_mov_b32_e32 v15, 0
	v_mov_b32_e32 v16, 0
	v_cmp_gt_i32_e32 vcc, s7, v13
	s_and_saveexec_b64 s[18:19], vcc
	s_cbranch_execz .LBB41_999
; %bb.998:                              ;   in Loop: Header=BB41_993 Depth=1
	v_mad_u64_u32 v[15:16], s[30:31], s50, v13, 0
	v_mad_u64_u32 v[16:17], s[30:31], s51, v13, v[16:17]
	v_mov_b32_e32 v13, s21
	v_lshlrev_b64 v[15:16], 3, v[15:16]
	v_add_co_u32_e32 v15, vcc, s20, v15
	v_addc_co_u32_e32 v16, vcc, v13, v16, vcc
	global_load_dwordx2 v[15:16], v[15:16], off
.LBB41_999:                             ;   in Loop: Header=BB41_993 Depth=1
	s_or_b64 exec, exec, s[18:19]
	s_waitcnt vmcnt(0)
	ds_write_b64 v1, v[15:16]
.LBB41_1000:                            ;   in Loop: Header=BB41_993 Depth=1
	s_or_b64 exec, exec, s[10:11]
	v_add_u32_e32 v13, s28, v2
	v_lshlrev_b64 v[15:16], 3, v[13:14]
	s_cmp_lg_u32 s26, s27
	v_add_co_u32_e32 v15, vcc, v21, v15
	s_cselect_b64 s[10:11], -1, 0
	v_addc_co_u32_e32 v16, vcc, v22, v16, vcc
	v_cmp_gt_i32_e32 vcc, s7, v13
	v_cndmask_b32_e64 v17, 0, 1, s[10:11]
	s_and_b64 s[28:29], vcc, s[8:9]
	v_cmp_ne_u32_e64 s[10:11], 1, v17
	s_waitcnt lgkmcnt(0)
	s_barrier
	s_and_saveexec_b64 s[18:19], s[28:29]
	s_cbranch_execz .LBB41_1004
; %bb.1001:                             ;   in Loop: Header=BB41_993 Depth=1
	v_mov_b32_e32 v18, v6
	s_and_b64 vcc, exec, s[10:11]
	v_mov_b32_e32 v17, v5
	s_cbranch_vccnz .LBB41_1003
; %bb.1002:                             ;   in Loop: Header=BB41_993 Depth=1
	global_load_dwordx2 v[17:18], v[15:16], off
.LBB41_1003:                            ;   in Loop: Header=BB41_993 Depth=1
	ds_read_b64 v[24:25], v20
	s_waitcnt vmcnt(0) lgkmcnt(0)
	v_fma_f64 v[11:12], v[17:18], v[24:25], v[11:12]
.LBB41_1004:                            ;   in Loop: Header=BB41_993 Depth=1
	s_or_b64 exec, exec, s[18:19]
	v_add_u32_e32 v17, 16, v13
	v_cmp_gt_i32_e32 vcc, s7, v17
	s_and_b64 s[28:29], vcc, s[8:9]
	s_and_saveexec_b64 s[18:19], s[28:29]
	s_cbranch_execz .LBB41_1008
; %bb.1005:                             ;   in Loop: Header=BB41_993 Depth=1
	v_mov_b32_e32 v18, v4
	s_and_b64 vcc, exec, s[10:11]
	v_mov_b32_e32 v17, v3
	s_cbranch_vccnz .LBB41_1007
; %bb.1006:                             ;   in Loop: Header=BB41_993 Depth=1
	global_load_dwordx2 v[17:18], v[15:16], off offset:128
.LBB41_1007:                            ;   in Loop: Header=BB41_993 Depth=1
	ds_read_b64 v[24:25], v20 offset:128
	s_waitcnt vmcnt(0) lgkmcnt(0)
	v_fma_f64 v[11:12], v[17:18], v[24:25], v[11:12]
.LBB41_1008:                            ;   in Loop: Header=BB41_993 Depth=1
	s_or_b64 exec, exec, s[18:19]
	v_add_u32_e32 v17, 32, v13
	v_cmp_gt_i32_e32 vcc, s7, v17
	s_and_b64 s[28:29], vcc, s[8:9]
	s_and_saveexec_b64 s[18:19], s[28:29]
	s_cbranch_execz .LBB41_1012
; %bb.1009:                             ;   in Loop: Header=BB41_993 Depth=1
	v_mov_b32_e32 v18, v10
	s_and_b64 vcc, exec, s[10:11]
	v_mov_b32_e32 v17, v9
	s_cbranch_vccnz .LBB41_1011
; %bb.1010:                             ;   in Loop: Header=BB41_993 Depth=1
	global_load_dwordx2 v[17:18], v[15:16], off offset:256
.LBB41_1011:                            ;   in Loop: Header=BB41_993 Depth=1
	ds_read_b64 v[24:25], v20 offset:256
	s_waitcnt vmcnt(0) lgkmcnt(0)
	v_fma_f64 v[11:12], v[17:18], v[24:25], v[11:12]
.LBB41_1012:                            ;   in Loop: Header=BB41_993 Depth=1
	s_or_b64 exec, exec, s[18:19]
	v_add_u32_e32 v13, 48, v13
	v_cmp_gt_i32_e32 vcc, s7, v13
	s_and_b64 s[28:29], vcc, s[8:9]
	s_and_saveexec_b64 s[18:19], s[28:29]
	s_cbranch_execz .LBB41_992
; %bb.1013:                             ;   in Loop: Header=BB41_993 Depth=1
	v_mov_b32_e32 v18, v8
	s_and_b64 vcc, exec, s[10:11]
	v_mov_b32_e32 v17, v7
	s_cbranch_vccnz .LBB41_991
; %bb.1014:                             ;   in Loop: Header=BB41_993 Depth=1
	global_load_dwordx2 v[17:18], v[15:16], off offset:384
	s_branch .LBB41_991
.LBB41_1015:
	v_lshl_add_u32 v1, v2, 6, v0
	s_xor_b64 s[0:1], s[24:25], -1
	v_lshlrev_b32_e32 v1, 3, v1
	ds_write_b64 v1, v[11:12] offset:32768
	s_waitcnt lgkmcnt(0)
	s_barrier
	s_and_saveexec_b64 s[4:5], s[2:3]
	s_cbranch_execz .LBB41_1017
; %bb.1016:
	v_lshlrev_b32_e32 v15, 3, v0
	ds_read2st64_b64 v[3:6], v15 offset0:65 offset1:66
	ds_read_b64 v[13:14], v15 offset:40448
	s_waitcnt lgkmcnt(1)
	v_add_f64 v[3:4], v[11:12], v[3:4]
	v_add_f64 v[11:12], v[3:4], v[5:6]
	ds_read2st64_b64 v[3:6], v15 offset0:67 offset1:68
	ds_read2st64_b64 v[7:10], v15 offset0:69 offset1:70
	s_waitcnt lgkmcnt(1)
	v_add_f64 v[3:4], v[11:12], v[3:4]
	v_add_f64 v[3:4], v[3:4], v[5:6]
	s_waitcnt lgkmcnt(0)
	v_add_f64 v[3:4], v[3:4], v[7:8]
	v_add_f64 v[11:12], v[3:4], v[9:10]
	ds_read2st64_b64 v[3:6], v15 offset0:71 offset1:72
	ds_read2st64_b64 v[7:10], v15 offset0:73 offset1:74
	s_waitcnt lgkmcnt(1)
	v_add_f64 v[3:4], v[11:12], v[3:4]
	v_add_f64 v[3:4], v[3:4], v[5:6]
	;; [unrolled: 8-line block ×3, first 2 shown]
	s_waitcnt lgkmcnt(0)
	v_add_f64 v[3:4], v[3:4], v[7:8]
	v_add_f64 v[3:4], v[3:4], v[9:10]
	;; [unrolled: 1-line block ×3, first 2 shown]
	v_xor_b32_e32 v4, 0x80000000, v4
	v_cndmask_b32_e64 v12, v4, 0, s[16:17]
	v_cndmask_b32_e64 v11, v3, 0, s[16:17]
.LBB41_1017:
	s_or_b64 exec, exec, s[4:5]
	s_and_b64 vcc, exec, s[58:59]
	s_cbranch_vccnz .LBB41_1030
; %bb.1018:
	v_mov_b32_e32 v3, 0xa000
	v_lshl_or_b32 v5, v2, 3, v3
	s_and_saveexec_b64 s[4:5], s[2:3]
; %bb.1019:
	v_lshl_add_u32 v3, v0, 3, v5
	ds_write_b64 v3, v[11:12]
; %bb.1020:
	s_or_b64 exec, exec, s[4:5]
	v_mov_b32_e32 v3, 0
	v_mov_b32_e32 v4, 0
	v_cmp_le_u32_e32 vcc, v2, v0
	s_waitcnt lgkmcnt(0)
	s_barrier
	s_and_saveexec_b64 s[4:5], vcc
	s_cbranch_execz .LBB41_1022
; %bb.1021:
	ds_read_b64 v[3:4], v1
	ds_read_b64 v[6:7], v5
	s_waitcnt lgkmcnt(0)
	v_fma_f64 v[3:4], v[3:4], v[6:7], 0
.LBB41_1022:
	s_or_b64 exec, exec, s[4:5]
	v_add_u32_e32 v6, 16, v2
	v_cmp_ge_u32_e32 vcc, v0, v6
	s_and_saveexec_b64 s[4:5], vcc
	s_cbranch_execz .LBB41_1024
; %bb.1023:
	ds_read_b64 v[6:7], v1 offset:8192
	ds_read_b64 v[8:9], v5 offset:128
	s_waitcnt lgkmcnt(0)
	v_fma_f64 v[3:4], v[6:7], v[8:9], v[3:4]
.LBB41_1024:
	s_or_b64 exec, exec, s[4:5]
	v_add_u32_e32 v6, 32, v2
	v_cmp_ge_u32_e32 vcc, v0, v6
	s_and_saveexec_b64 s[4:5], vcc
	s_cbranch_execz .LBB41_1026
; %bb.1025:
	ds_read_b64 v[6:7], v1 offset:16384
	ds_read_b64 v[8:9], v5 offset:256
	s_waitcnt lgkmcnt(0)
	v_fma_f64 v[3:4], v[6:7], v[8:9], v[3:4]
.LBB41_1026:
	s_or_b64 exec, exec, s[4:5]
	v_add_u32_e32 v2, 48, v2
	v_add_u32_e32 v6, 0x8000, v1
	v_cmp_ge_u32_e32 vcc, v0, v2
	s_and_saveexec_b64 s[4:5], vcc
	s_cbranch_execz .LBB41_1028
; %bb.1027:
	ds_read_b64 v[1:2], v1 offset:24576
	ds_read_b64 v[7:8], v5 offset:384
	s_waitcnt lgkmcnt(0)
	v_fma_f64 v[3:4], v[1:2], v[7:8], v[3:4]
.LBB41_1028:
	s_or_b64 exec, exec, s[4:5]
	s_mov_b64 s[6:7], 0
	s_mov_b64 s[4:5], 0
	ds_write_b64 v6, v[3:4]
	s_waitcnt lgkmcnt(0)
	s_barrier
                                        ; implicit-def: $vgpr5_vgpr6
                                        ; implicit-def: $vgpr1_vgpr2
	s_and_saveexec_b64 s[8:9], s[2:3]
	s_cbranch_execz .LBB41_1087
; %bb.1029:
	v_lshlrev_b32_e32 v15, 3, v0
	ds_read2st64_b64 v[5:8], v15 offset0:65 offset1:66
	ds_read_b64 v[9:10], v15 offset:40448
	s_mov_b64 s[4:5], exec
	s_waitcnt lgkmcnt(1)
	v_add_f64 v[1:2], v[3:4], v[5:6]
	v_add_f64 v[13:14], v[7:8], v[1:2]
	ds_read2st64_b64 v[1:4], v15 offset0:67 offset1:68
	ds_read2st64_b64 v[5:8], v15 offset0:69 offset1:70
	s_waitcnt lgkmcnt(1)
	v_add_f64 v[1:2], v[1:2], v[13:14]
	v_add_f64 v[1:2], v[3:4], v[1:2]
	s_waitcnt lgkmcnt(0)
	v_add_f64 v[1:2], v[5:6], v[1:2]
	v_add_f64 v[13:14], v[7:8], v[1:2]
	ds_read2st64_b64 v[1:4], v15 offset0:71 offset1:72
	ds_read2st64_b64 v[5:8], v15 offset0:73 offset1:74
	s_waitcnt lgkmcnt(1)
	v_add_f64 v[1:2], v[1:2], v[13:14]
	v_add_f64 v[1:2], v[3:4], v[1:2]
	;; [unrolled: 8-line block ×3, first 2 shown]
	s_waitcnt lgkmcnt(0)
	v_add_f64 v[1:2], v[5:6], v[1:2]
	v_add_f64 v[3:4], v[7:8], v[1:2]
	v_add_u32_e32 v7, s33, v19
	v_mad_u64_u32 v[1:2], s[10:11], s50, v7, 0
	v_add_f64 v[5:6], v[9:10], v[3:4]
	v_mad_u64_u32 v[2:3], s[10:11], s51, v7, v[2:3]
	s_or_b64 exec, exec, s[8:9]
	s_and_b64 vcc, exec, s[6:7]
	s_cbranch_vccnz .LBB41_1031
	s_branch .LBB41_1088
.LBB41_1030:
	s_mov_b64 s[4:5], 0
                                        ; implicit-def: $vgpr5_vgpr6
                                        ; implicit-def: $vgpr1_vgpr2
	s_cbranch_execz .LBB41_1088
.LBB41_1031:
	v_mul_u32_u24_e32 v1, 0x208, v0
	v_lshlrev_b32_e32 v2, 9, v0
	v_sub_u32_e32 v2, v1, v2
	s_mov_b32 s8, 0
	v_mov_b32_e32 v3, 0
	v_mov_b32_e32 v4, v0
	s_branch .LBB41_1033
.LBB41_1032:                            ;   in Loop: Header=BB41_1033 Depth=1
	s_or_b64 exec, exec, s[6:7]
	s_add_i32 s8, s8, 4
	v_add_u32_e32 v2, 0x800, v2
	s_cmp_lg_u32 s8, 64
	v_add_u32_e32 v4, -4, v4
	s_barrier
	s_cbranch_scc0 .LBB41_1049
.LBB41_1033:                            ; =>This Inner Loop Header: Depth=1
	v_cmp_eq_u32_e32 vcc, 0, v4
	s_and_b64 s[10:11], s[2:3], vcc
	s_and_saveexec_b64 s[6:7], s[10:11]
	s_cbranch_execz .LBB41_1035
; %bb.1034:                             ;   in Loop: Header=BB41_1033 Depth=1
	ds_read_b64 v[5:6], v1
	s_waitcnt lgkmcnt(0)
	v_mul_f64 v[11:12], v[11:12], v[5:6]
	ds_write_b64 v3, v[11:12] offset:41472
.LBB41_1035:                            ;   in Loop: Header=BB41_1033 Depth=1
	s_or_b64 exec, exec, s[6:7]
	v_cmp_lt_u32_e32 vcc, s8, v0
	s_and_b64 s[10:11], s[2:3], vcc
	s_waitcnt lgkmcnt(0)
	s_barrier
	s_and_saveexec_b64 s[6:7], s[10:11]
	s_cbranch_execz .LBB41_1037
; %bb.1036:                             ;   in Loop: Header=BB41_1033 Depth=1
	ds_read_b64 v[5:6], v2
	ds_read_b64 v[7:8], v3 offset:41472
	s_waitcnt lgkmcnt(0)
	v_fma_f64 v[11:12], v[5:6], v[7:8], v[11:12]
.LBB41_1037:                            ;   in Loop: Header=BB41_1033 Depth=1
	s_or_b64 exec, exec, s[6:7]
	s_or_b32 s9, s8, 1
	v_cmp_eq_u32_e32 vcc, s9, v0
	s_and_b64 s[10:11], s[2:3], vcc
	s_barrier
	s_and_saveexec_b64 s[6:7], s[10:11]
	s_cbranch_execz .LBB41_1039
; %bb.1038:                             ;   in Loop: Header=BB41_1033 Depth=1
	ds_read_b64 v[5:6], v1
	s_waitcnt lgkmcnt(0)
	v_mul_f64 v[11:12], v[11:12], v[5:6]
	ds_write_b64 v3, v[11:12] offset:41472
.LBB41_1039:                            ;   in Loop: Header=BB41_1033 Depth=1
	s_or_b64 exec, exec, s[6:7]
	v_cmp_lt_u32_e32 vcc, s9, v0
	s_and_b64 s[10:11], s[2:3], vcc
	s_waitcnt lgkmcnt(0)
	s_barrier
	s_and_saveexec_b64 s[6:7], s[10:11]
	s_cbranch_execz .LBB41_1041
; %bb.1040:                             ;   in Loop: Header=BB41_1033 Depth=1
	ds_read_b64 v[5:6], v2 offset:512
	ds_read_b64 v[7:8], v3 offset:41472
	s_waitcnt lgkmcnt(0)
	v_fma_f64 v[11:12], v[5:6], v[7:8], v[11:12]
.LBB41_1041:                            ;   in Loop: Header=BB41_1033 Depth=1
	s_or_b64 exec, exec, s[6:7]
	s_or_b32 s9, s8, 2
	v_cmp_eq_u32_e32 vcc, s9, v0
	s_and_b64 s[10:11], s[2:3], vcc
	s_barrier
	s_and_saveexec_b64 s[6:7], s[10:11]
	s_cbranch_execz .LBB41_1043
; %bb.1042:                             ;   in Loop: Header=BB41_1033 Depth=1
	ds_read_b64 v[5:6], v1
	s_waitcnt lgkmcnt(0)
	v_mul_f64 v[11:12], v[11:12], v[5:6]
	ds_write_b64 v3, v[11:12] offset:41472
.LBB41_1043:                            ;   in Loop: Header=BB41_1033 Depth=1
	s_or_b64 exec, exec, s[6:7]
	v_cmp_lt_u32_e32 vcc, s9, v0
	s_and_b64 s[10:11], s[2:3], vcc
	s_waitcnt lgkmcnt(0)
	s_barrier
	s_and_saveexec_b64 s[6:7], s[10:11]
	s_cbranch_execz .LBB41_1045
; %bb.1044:                             ;   in Loop: Header=BB41_1033 Depth=1
	ds_read_b64 v[5:6], v2 offset:1024
	ds_read_b64 v[7:8], v3 offset:41472
	s_waitcnt lgkmcnt(0)
	v_fma_f64 v[11:12], v[5:6], v[7:8], v[11:12]
.LBB41_1045:                            ;   in Loop: Header=BB41_1033 Depth=1
	s_or_b64 exec, exec, s[6:7]
	s_or_b32 s9, s8, 3
	v_cmp_eq_u32_e32 vcc, s9, v0
	s_and_b64 s[10:11], s[2:3], vcc
	s_barrier
	s_and_saveexec_b64 s[6:7], s[10:11]
	s_cbranch_execz .LBB41_1047
; %bb.1046:                             ;   in Loop: Header=BB41_1033 Depth=1
	ds_read_b64 v[5:6], v1
	s_waitcnt lgkmcnt(0)
	v_mul_f64 v[11:12], v[11:12], v[5:6]
	ds_write_b64 v3, v[11:12] offset:41472
.LBB41_1047:                            ;   in Loop: Header=BB41_1033 Depth=1
	s_or_b64 exec, exec, s[6:7]
	v_cmp_lt_u32_e32 vcc, s9, v0
	s_and_b64 s[10:11], s[2:3], vcc
	s_waitcnt lgkmcnt(0)
	s_barrier
	s_and_saveexec_b64 s[6:7], s[10:11]
	s_cbranch_execz .LBB41_1032
; %bb.1048:                             ;   in Loop: Header=BB41_1033 Depth=1
	ds_read_b64 v[5:6], v2 offset:1536
	ds_read_b64 v[7:8], v3 offset:41472
	s_waitcnt lgkmcnt(0)
	v_fma_f64 v[11:12], v[5:6], v[7:8], v[11:12]
	s_branch .LBB41_1032
.LBB41_1049:
	s_and_b64 vcc, exec, s[0:1]
	s_cbranch_vccz .LBB41_1089
; %bb.1050:
	s_and_b64 s[0:1], s[2:3], exec
	s_cbranch_execz .LBB41_1090
	s_branch .LBB41_1091
.LBB41_1051:
	v_cmp_ne_u32_e32 vcc, v0, v2
	s_and_saveexec_b64 s[12:13], vcc
	s_xor_b64 s[12:13], exec, s[12:13]
; %bb.1052:
	v_or_b32_e32 v1, v2, v0
	v_cmp_gt_u32_e32 vcc, 64, v1
	s_and_b64 s[10:11], vcc, exec
                                        ; implicit-def: $vgpr15_vgpr16
; %bb.1053:
	s_or_saveexec_b64 s[12:13], s[12:13]
	v_mov_b32_e32 v13, 0
	v_mov_b32_e32 v14, 0
	s_xor_b64 exec, exec, s[12:13]
	s_cbranch_execz .LBB41_1055
; %bb.1054:
	v_lshlrev_b64 v[13:14], 3, v[15:16]
	v_mov_b32_e32 v1, s92
	v_add_co_u32_e32 v13, vcc, s89, v13
	v_addc_co_u32_e32 v14, vcc, v1, v14, vcc
	global_load_dwordx2 v[13:14], v[13:14], off
	s_or_b64 s[10:11], s[10:11], exec
	s_waitcnt vmcnt(0)
	v_div_scale_f64 v[15:16], s[14:15], v[13:14], v[13:14], 1.0
	v_div_scale_f64 v[22:23], vcc, 1.0, v[13:14], 1.0
	v_rcp_f64_e32 v[18:19], v[15:16]
	v_fma_f64 v[20:21], -v[15:16], v[18:19], 1.0
	v_fma_f64 v[18:19], v[18:19], v[20:21], v[18:19]
	v_fma_f64 v[20:21], -v[15:16], v[18:19], 1.0
	v_fma_f64 v[18:19], v[18:19], v[20:21], v[18:19]
	v_mul_f64 v[20:21], v[22:23], v[18:19]
	v_fma_f64 v[15:16], -v[15:16], v[20:21], v[22:23]
	v_div_fmas_f64 v[15:16], v[15:16], v[18:19], v[20:21]
	v_div_fixup_f64 v[13:14], v[15:16], v[13:14], 1.0
.LBB41_1055:
	s_or_b64 exec, exec, s[12:13]
	s_and_b64 s[10:11], s[10:11], exec
                                        ; implicit-def: $vgpr15_vgpr16
	s_andn2_saveexec_b64 s[8:9], s[8:9]
	s_cbranch_execz .LBB41_14
.LBB41_1056:
	v_lshlrev_b64 v[13:14], 3, v[15:16]
	v_mov_b32_e32 v1, s92
	v_add_co_u32_e32 v13, vcc, s89, v13
	v_addc_co_u32_e32 v14, vcc, v1, v14, vcc
	global_load_dwordx2 v[13:14], v[13:14], off
	s_or_b64 s[10:11], s[10:11], exec
	s_waitcnt vmcnt(0)
	v_xor_b32_e32 v14, 0x80000000, v14
	s_or_b64 exec, exec, s[8:9]
	s_and_saveexec_b64 s[8:9], s[10:11]
	s_cbranch_execnz .LBB41_15
	s_branch .LBB41_16
.LBB41_1057:
	v_cmp_ne_u32_e32 vcc, v0, v1
	s_and_saveexec_b64 s[10:11], vcc
	s_xor_b64 s[10:11], exec, s[10:11]
; %bb.1058:
	v_or_b32_e32 v13, v1, v0
	v_cmp_gt_u32_e32 vcc, 64, v13
	s_and_b64 s[8:9], vcc, exec
                                        ; implicit-def: $vgpr15_vgpr16
; %bb.1059:
	s_or_saveexec_b64 s[10:11], s[10:11]
	v_mov_b32_e32 v13, 0
	v_mov_b32_e32 v14, 0
	s_xor_b64 exec, exec, s[10:11]
	s_cbranch_execz .LBB41_1061
; %bb.1060:
	v_lshlrev_b64 v[13:14], 3, v[15:16]
	v_mov_b32_e32 v15, s92
	v_add_co_u32_e32 v13, vcc, s89, v13
	v_addc_co_u32_e32 v14, vcc, v15, v14, vcc
	global_load_dwordx2 v[13:14], v[13:14], off
	s_or_b64 s[8:9], s[8:9], exec
	s_waitcnt vmcnt(0)
	v_div_scale_f64 v[15:16], s[12:13], v[13:14], v[13:14], 1.0
	v_div_scale_f64 v[22:23], vcc, 1.0, v[13:14], 1.0
	v_rcp_f64_e32 v[18:19], v[15:16]
	v_fma_f64 v[20:21], -v[15:16], v[18:19], 1.0
	v_fma_f64 v[18:19], v[18:19], v[20:21], v[18:19]
	v_fma_f64 v[20:21], -v[15:16], v[18:19], 1.0
	v_fma_f64 v[18:19], v[18:19], v[20:21], v[18:19]
	v_mul_f64 v[20:21], v[22:23], v[18:19]
	v_fma_f64 v[15:16], -v[15:16], v[20:21], v[22:23]
	v_div_fmas_f64 v[15:16], v[15:16], v[18:19], v[20:21]
	v_div_fixup_f64 v[13:14], v[15:16], v[13:14], 1.0
.LBB41_1061:
	s_or_b64 exec, exec, s[10:11]
	s_and_b64 s[8:9], s[8:9], exec
                                        ; implicit-def: $vgpr15_vgpr16
	s_andn2_saveexec_b64 s[2:3], s[2:3]
	s_cbranch_execz .LBB41_18
.LBB41_1062:
	v_lshlrev_b64 v[13:14], 3, v[15:16]
	v_mov_b32_e32 v15, s92
	v_add_co_u32_e32 v13, vcc, s89, v13
	v_addc_co_u32_e32 v14, vcc, v15, v14, vcc
	global_load_dwordx2 v[13:14], v[13:14], off
	s_or_b64 s[8:9], s[8:9], exec
	s_waitcnt vmcnt(0)
	v_xor_b32_e32 v14, 0x80000000, v14
	s_or_b64 exec, exec, s[2:3]
	s_and_saveexec_b64 s[2:3], s[8:9]
	s_cbranch_execnz .LBB41_19
	s_branch .LBB41_20
.LBB41_1063:
	v_cmp_ne_u32_e32 vcc, v0, v1
	s_and_saveexec_b64 s[10:11], vcc
	s_xor_b64 s[10:11], exec, s[10:11]
; %bb.1064:
	v_or_b32_e32 v13, v1, v0
	v_cmp_gt_u32_e32 vcc, 64, v13
	s_and_b64 s[8:9], vcc, exec
                                        ; implicit-def: $vgpr15_vgpr16
; %bb.1065:
	s_or_saveexec_b64 s[10:11], s[10:11]
	v_mov_b32_e32 v13, 0
	v_mov_b32_e32 v14, 0
	s_xor_b64 exec, exec, s[10:11]
	s_cbranch_execz .LBB41_1067
; %bb.1066:
	v_lshlrev_b64 v[13:14], 3, v[15:16]
	v_mov_b32_e32 v15, s92
	v_add_co_u32_e32 v13, vcc, s89, v13
	v_addc_co_u32_e32 v14, vcc, v15, v14, vcc
	global_load_dwordx2 v[13:14], v[13:14], off
	s_or_b64 s[8:9], s[8:9], exec
	s_waitcnt vmcnt(0)
	v_div_scale_f64 v[15:16], s[12:13], v[13:14], v[13:14], 1.0
	v_div_scale_f64 v[22:23], vcc, 1.0, v[13:14], 1.0
	v_rcp_f64_e32 v[18:19], v[15:16]
	v_fma_f64 v[20:21], -v[15:16], v[18:19], 1.0
	v_fma_f64 v[18:19], v[18:19], v[20:21], v[18:19]
	v_fma_f64 v[20:21], -v[15:16], v[18:19], 1.0
	v_fma_f64 v[18:19], v[18:19], v[20:21], v[18:19]
	v_mul_f64 v[20:21], v[22:23], v[18:19]
	v_fma_f64 v[15:16], -v[15:16], v[20:21], v[22:23]
	v_div_fmas_f64 v[15:16], v[15:16], v[18:19], v[20:21]
	v_div_fixup_f64 v[13:14], v[15:16], v[13:14], 1.0
.LBB41_1067:
	s_or_b64 exec, exec, s[10:11]
	s_and_b64 s[8:9], s[8:9], exec
                                        ; implicit-def: $vgpr15_vgpr16
	s_andn2_saveexec_b64 s[2:3], s[2:3]
	s_cbranch_execz .LBB41_22
.LBB41_1068:
	v_lshlrev_b64 v[13:14], 3, v[15:16]
	v_mov_b32_e32 v15, s92
	v_add_co_u32_e32 v13, vcc, s89, v13
	v_addc_co_u32_e32 v14, vcc, v15, v14, vcc
	global_load_dwordx2 v[13:14], v[13:14], off
	s_or_b64 s[8:9], s[8:9], exec
	s_waitcnt vmcnt(0)
	v_xor_b32_e32 v14, 0x80000000, v14
	s_or_b64 exec, exec, s[2:3]
	s_and_saveexec_b64 s[2:3], s[8:9]
	s_cbranch_execnz .LBB41_23
	s_branch .LBB41_24
.LBB41_1069:
	v_cmp_ne_u32_e32 vcc, v0, v2
	s_xor_b64 s[12:13], s[2:3], -1
	s_or_b64 s[14:15], s[12:13], vcc
	s_mov_b64 s[12:13], 0
	s_and_saveexec_b64 s[16:17], s[14:15]
	s_xor_b64 s[14:15], exec, s[16:17]
; %bb.1070:
	v_or_b32_e32 v1, v2, v0
	v_cmp_gt_u32_e32 vcc, 64, v1
	s_and_b64 s[12:13], vcc, exec
                                        ; implicit-def: $vgpr13_vgpr14
; %bb.1071:
	s_or_saveexec_b64 s[14:15], s[14:15]
	v_mov_b32_e32 v15, 0
	v_mov_b32_e32 v16, 0
	s_xor_b64 exec, exec, s[14:15]
	s_cbranch_execz .LBB41_1073
; %bb.1072:
	v_lshlrev_b64 v[13:14], 3, v[13:14]
	v_mov_b32_e32 v1, s92
	v_add_co_u32_e32 v13, vcc, s89, v13
	v_addc_co_u32_e32 v14, vcc, v1, v14, vcc
	global_load_dwordx2 v[13:14], v[13:14], off
	s_or_b64 s[12:13], s[12:13], exec
	s_waitcnt vmcnt(0)
	v_div_scale_f64 v[15:16], s[16:17], v[13:14], v[13:14], 1.0
	v_div_scale_f64 v[22:23], vcc, 1.0, v[13:14], 1.0
	v_rcp_f64_e32 v[18:19], v[15:16]
	v_fma_f64 v[20:21], -v[15:16], v[18:19], 1.0
	v_fma_f64 v[18:19], v[18:19], v[20:21], v[18:19]
	v_fma_f64 v[20:21], -v[15:16], v[18:19], 1.0
	v_fma_f64 v[18:19], v[18:19], v[20:21], v[18:19]
	v_mul_f64 v[20:21], v[22:23], v[18:19]
	v_fma_f64 v[15:16], -v[15:16], v[20:21], v[22:23]
	v_div_fmas_f64 v[15:16], v[15:16], v[18:19], v[20:21]
	v_div_fixup_f64 v[15:16], v[15:16], v[13:14], 1.0
.LBB41_1073:
	s_or_b64 exec, exec, s[14:15]
	s_and_b64 s[12:13], s[12:13], exec
                                        ; implicit-def: $vgpr13_vgpr14
	s_andn2_saveexec_b64 s[8:9], s[8:9]
	s_cbranch_execz .LBB41_36
.LBB41_1074:
	v_lshlrev_b64 v[13:14], 3, v[13:14]
	v_mov_b32_e32 v1, s92
	v_add_co_u32_e32 v13, vcc, s89, v13
	v_addc_co_u32_e32 v14, vcc, v1, v14, vcc
	global_load_dwordx2 v[15:16], v[13:14], off
	s_or_b64 s[12:13], s[12:13], exec
	s_waitcnt vmcnt(0)
	v_xor_b32_e32 v16, 0x80000000, v16
	s_or_b64 exec, exec, s[8:9]
	s_and_saveexec_b64 s[8:9], s[12:13]
	s_cbranch_execnz .LBB41_37
	s_branch .LBB41_38
.LBB41_1075:
	v_cmp_ne_u32_e32 vcc, v0, v1
	s_xor_b64 s[12:13], s[2:3], -1
	s_or_b64 s[14:15], s[12:13], vcc
	s_mov_b64 s[12:13], 0
	s_and_saveexec_b64 s[16:17], s[14:15]
	s_xor_b64 s[14:15], exec, s[16:17]
; %bb.1076:
	v_or_b32_e32 v13, v1, v0
	v_cmp_gt_u32_e32 vcc, 64, v13
	s_and_b64 s[12:13], vcc, exec
                                        ; implicit-def: $vgpr13_vgpr14
; %bb.1077:
	s_or_saveexec_b64 s[14:15], s[14:15]
	v_mov_b32_e32 v15, 0
	v_mov_b32_e32 v16, 0
	s_xor_b64 exec, exec, s[14:15]
	s_cbranch_execz .LBB41_1079
; %bb.1078:
	v_lshlrev_b64 v[13:14], 3, v[13:14]
	v_mov_b32_e32 v15, s92
	v_add_co_u32_e32 v13, vcc, s89, v13
	v_addc_co_u32_e32 v14, vcc, v15, v14, vcc
	global_load_dwordx2 v[13:14], v[13:14], off
	s_or_b64 s[12:13], s[12:13], exec
	s_waitcnt vmcnt(0)
	v_div_scale_f64 v[15:16], s[16:17], v[13:14], v[13:14], 1.0
	v_div_scale_f64 v[22:23], vcc, 1.0, v[13:14], 1.0
	v_rcp_f64_e32 v[18:19], v[15:16]
	v_fma_f64 v[20:21], -v[15:16], v[18:19], 1.0
	v_fma_f64 v[18:19], v[18:19], v[20:21], v[18:19]
	v_fma_f64 v[20:21], -v[15:16], v[18:19], 1.0
	v_fma_f64 v[18:19], v[18:19], v[20:21], v[18:19]
	v_mul_f64 v[20:21], v[22:23], v[18:19]
	v_fma_f64 v[15:16], -v[15:16], v[20:21], v[22:23]
	v_div_fmas_f64 v[15:16], v[15:16], v[18:19], v[20:21]
	v_div_fixup_f64 v[15:16], v[15:16], v[13:14], 1.0
.LBB41_1079:
	s_or_b64 exec, exec, s[14:15]
	s_and_b64 s[12:13], s[12:13], exec
                                        ; implicit-def: $vgpr13_vgpr14
	s_andn2_saveexec_b64 s[8:9], s[8:9]
	s_cbranch_execz .LBB41_40
.LBB41_1080:
	v_lshlrev_b64 v[13:14], 3, v[13:14]
	v_mov_b32_e32 v15, s92
	v_add_co_u32_e32 v13, vcc, s89, v13
	v_addc_co_u32_e32 v14, vcc, v15, v14, vcc
	global_load_dwordx2 v[15:16], v[13:14], off
	s_or_b64 s[12:13], s[12:13], exec
	s_waitcnt vmcnt(0)
	v_xor_b32_e32 v16, 0x80000000, v16
	s_or_b64 exec, exec, s[8:9]
	s_and_saveexec_b64 s[8:9], s[12:13]
	s_cbranch_execnz .LBB41_41
	s_branch .LBB41_42
.LBB41_1081:
	v_cmp_ne_u32_e32 vcc, v0, v1
	s_xor_b64 s[12:13], s[2:3], -1
	s_or_b64 s[14:15], s[12:13], vcc
	s_mov_b64 s[12:13], 0
	s_and_saveexec_b64 s[16:17], s[14:15]
	s_xor_b64 s[14:15], exec, s[16:17]
; %bb.1082:
	v_or_b32_e32 v13, v1, v0
	v_cmp_gt_u32_e32 vcc, 64, v13
	s_and_b64 s[12:13], vcc, exec
                                        ; implicit-def: $vgpr13_vgpr14
; %bb.1083:
	s_or_saveexec_b64 s[14:15], s[14:15]
	v_mov_b32_e32 v15, 0
	v_mov_b32_e32 v16, 0
	s_xor_b64 exec, exec, s[14:15]
	s_cbranch_execz .LBB41_1085
; %bb.1084:
	v_lshlrev_b64 v[13:14], 3, v[13:14]
	v_mov_b32_e32 v15, s92
	v_add_co_u32_e32 v13, vcc, s89, v13
	v_addc_co_u32_e32 v14, vcc, v15, v14, vcc
	global_load_dwordx2 v[13:14], v[13:14], off
	s_or_b64 s[12:13], s[12:13], exec
	s_waitcnt vmcnt(0)
	v_div_scale_f64 v[15:16], s[16:17], v[13:14], v[13:14], 1.0
	v_div_scale_f64 v[22:23], vcc, 1.0, v[13:14], 1.0
	v_rcp_f64_e32 v[18:19], v[15:16]
	v_fma_f64 v[20:21], -v[15:16], v[18:19], 1.0
	v_fma_f64 v[18:19], v[18:19], v[20:21], v[18:19]
	v_fma_f64 v[20:21], -v[15:16], v[18:19], 1.0
	v_fma_f64 v[18:19], v[18:19], v[20:21], v[18:19]
	v_mul_f64 v[20:21], v[22:23], v[18:19]
	v_fma_f64 v[15:16], -v[15:16], v[20:21], v[22:23]
	v_div_fmas_f64 v[15:16], v[15:16], v[18:19], v[20:21]
	v_div_fixup_f64 v[15:16], v[15:16], v[13:14], 1.0
.LBB41_1085:
	s_or_b64 exec, exec, s[14:15]
	s_and_b64 s[12:13], s[12:13], exec
                                        ; implicit-def: $vgpr13_vgpr14
	s_andn2_saveexec_b64 s[8:9], s[8:9]
	s_cbranch_execz .LBB41_44
.LBB41_1086:
	v_lshlrev_b64 v[13:14], 3, v[13:14]
	v_mov_b32_e32 v15, s92
	v_add_co_u32_e32 v13, vcc, s89, v13
	v_addc_co_u32_e32 v14, vcc, v15, v14, vcc
	global_load_dwordx2 v[15:16], v[13:14], off
	s_or_b64 s[12:13], s[12:13], exec
	s_waitcnt vmcnt(0)
	v_xor_b32_e32 v16, 0x80000000, v16
	s_or_b64 exec, exec, s[8:9]
	s_and_saveexec_b64 s[8:9], s[12:13]
	s_cbranch_execnz .LBB41_45
	s_branch .LBB41_46
.LBB41_1087:
	s_or_b64 exec, exec, s[8:9]
	s_and_b64 vcc, exec, s[6:7]
	s_cbranch_vccnz .LBB41_1031
.LBB41_1088:
	v_mov_b32_e32 v12, v6
	v_mov_b32_e32 v11, v5
	s_and_saveexec_b64 s[0:1], s[4:5]
	s_cbranch_execnz .LBB41_1094
	s_branch .LBB41_1095
.LBB41_1089:
	s_mov_b64 s[0:1], 0
.LBB41_1090:
	v_cmp_gt_i32_e32 vcc, s88, v0
	s_and_b64 s[2:3], s[2:3], vcc
	s_andn2_b64 s[0:1], s[0:1], exec
	s_and_b64 s[2:3], s[2:3], exec
	s_or_b64 s[0:1], s[0:1], s[2:3]
.LBB41_1091:
                                        ; implicit-def: $vgpr1_vgpr2
	s_and_saveexec_b64 s[2:3], s[0:1]
	s_cbranch_execz .LBB41_1093
; %bb.1092:
	v_mov_b32_e32 v0, s36
	v_add_co_u32_e32 v1, vcc, s33, v19
	v_addc_co_u32_e32 v0, vcc, 0, v0, vcc
	v_mul_lo_u32 v0, v0, s50
	v_mul_lo_u32 v3, v1, s51
	v_mad_u64_u32 v[1:2], s[0:1], v1, s50, 0
	s_or_b64 s[4:5], s[4:5], exec
	v_add3_u32 v2, v2, v3, v0
.LBB41_1093:
	s_or_b64 exec, exec, s[2:3]
	s_and_saveexec_b64 s[0:1], s[4:5]
	s_cbranch_execz .LBB41_1095
.LBB41_1094:
	v_lshlrev_b64 v[0:1], 3, v[1:2]
	v_mov_b32_e32 v2, s21
	v_add_co_u32_e32 v0, vcc, s20, v0
	v_addc_co_u32_e32 v1, vcc, v2, v1, vcc
	global_store_dwordx2 v[0:1], v[11:12], off
.LBB41_1095:
	s_or_b64 exec, exec, s[0:1]
	v_cmp_eq_u32_e32 vcc, 0, v19
	s_waitcnt vmcnt(0)
	buffer_wbinvl1_vol
	s_barrier
	s_and_saveexec_b64 s[0:1], vcc
	s_cbranch_execz .LBB41_1097
; %bb.1096:
	s_lshl_b64 s[2:3], s[22:23], 2
	s_add_u32 s2, s14, s2
	s_addc_u32 s3, s15, s3
	v_mov_b32_e32 v0, 0
	global_load_dword v1, v0, s[2:3]
	s_waitcnt vmcnt(0)
	v_add_u32_e32 v1, 1, v1
	global_store_dword v0, v1, s[2:3]
.LBB41_1097:
	s_or_b64 exec, exec, s[0:1]
	s_waitcnt vmcnt(0)
	buffer_wbinvl1_vol
	s_endpgm
.LBB41_1098:
	ds_read_b64 v[21:22], v20 offset:31680
	ds_read_b64 v[23:24], v19 offset:31208
	s_waitcnt lgkmcnt(0)
	v_fma_f64 v[11:12], v[21:22], v[23:24], v[11:12]
	s_or_b64 exec, exec, s[14:15]
	v_cmp_gt_u32_e64 s[10:11], 8, v15
	s_and_saveexec_b64 s[14:15], s[10:11]
	s_cbranch_execz .LBB41_79
.LBB41_1099:
	ds_read_b64 v[20:21], v20 offset:32192
	ds_read_b64 v[22:23], v19 offset:31216
	s_waitcnt lgkmcnt(0)
	v_fma_f64 v[11:12], v[20:21], v[22:23], v[11:12]
	s_or_b64 exec, exec, s[14:15]
	v_cmp_gt_u32_e64 s[10:11], 4, v15
	s_and_saveexec_b64 s[14:15], s[10:11]
	s_cbranch_execnz .LBB41_80
	s_branch .LBB41_81
.LBB41_1100:
	ds_read_b64 v[24:25], v23 offset:29568
	ds_read_b64 v[26:27], v22 offset:29128
	s_waitcnt lgkmcnt(0)
	v_fma_f64 v[11:12], v[24:25], v[26:27], v[11:12]
	s_or_b64 exec, exec, s[16:17]
	v_cmp_gt_u32_e64 s[14:15], 48, v15
	s_and_saveexec_b64 s[16:17], s[14:15]
	s_cbranch_execz .LBB41_121
.LBB41_1101:
	ds_read_b64 v[24:25], v23 offset:30080
	ds_read_b64 v[26:27], v22 offset:29136
	s_waitcnt lgkmcnt(0)
	v_fma_f64 v[11:12], v[24:25], v[26:27], v[11:12]
	s_or_b64 exec, exec, s[16:17]
	v_cmp_gt_u32_e64 s[14:15], 40, v15
	s_and_saveexec_b64 s[16:17], s[14:15]
	s_cbranch_execz .LBB41_122
.LBB41_1102:
	ds_read_b64 v[24:25], v23 offset:30592
	ds_read_b64 v[26:27], v22 offset:29144
	s_waitcnt lgkmcnt(0)
	v_fma_f64 v[11:12], v[24:25], v[26:27], v[11:12]
	s_or_b64 exec, exec, s[16:17]
	v_cmp_gt_u32_e64 s[14:15], 32, v15
	s_and_saveexec_b64 s[16:17], s[14:15]
	s_cbranch_execz .LBB41_123
.LBB41_1103:
	ds_read_b64 v[24:25], v23 offset:31104
	ds_read_b64 v[26:27], v22 offset:29152
	s_waitcnt lgkmcnt(0)
	v_fma_f64 v[11:12], v[24:25], v[26:27], v[11:12]
	s_or_b64 exec, exec, s[16:17]
	v_cmp_gt_u32_e64 s[14:15], 24, v15
	s_and_saveexec_b64 s[16:17], s[14:15]
	s_cbranch_execz .LBB41_124
.LBB41_1104:
	ds_read_b64 v[24:25], v23 offset:31616
	ds_read_b64 v[26:27], v22 offset:29160
	s_waitcnt lgkmcnt(0)
	v_fma_f64 v[11:12], v[24:25], v[26:27], v[11:12]
	s_or_b64 exec, exec, s[16:17]
	s_and_saveexec_b64 s[14:15], s[18:19]
	s_cbranch_execz .LBB41_125
.LBB41_1105:
	ds_read_b64 v[23:24], v23 offset:32128
	ds_read_b64 v[25:26], v22 offset:29168
	s_waitcnt lgkmcnt(0)
	v_fma_f64 v[11:12], v[23:24], v[25:26], v[11:12]
	s_or_b64 exec, exec, s[14:15]
	v_cmp_gt_u32_e64 s[14:15], 8, v15
	s_and_saveexec_b64 s[16:17], s[14:15]
	s_cbranch_execnz .LBB41_126
	s_branch .LBB41_127
.LBB41_1106:
	ds_read_b64 v[24:25], v23 offset:27520
	ds_read_b64 v[26:27], v22 offset:27048
	s_waitcnt lgkmcnt(0)
	v_fma_f64 v[11:12], v[24:25], v[26:27], v[11:12]
	s_or_b64 exec, exec, s[14:15]
	v_cmp_gt_u32_e64 s[10:11], 8, v15
	s_and_saveexec_b64 s[14:15], s[10:11]
	s_cbranch_execz .LBB41_183
.LBB41_1107:
	ds_read_b64 v[23:24], v23 offset:28032
	ds_read_b64 v[25:26], v22 offset:27056
	s_waitcnt lgkmcnt(0)
	v_fma_f64 v[11:12], v[23:24], v[25:26], v[11:12]
	s_or_b64 exec, exec, s[14:15]
	v_cmp_gt_u32_e64 s[10:11], 4, v15
	s_and_saveexec_b64 s[14:15], s[10:11]
	s_cbranch_execnz .LBB41_184
	s_branch .LBB41_185
.LBB41_1108:
	ds_read_b64 v[27:28], v26 offset:30464
	ds_read_b64 v[29:30], v25 offset:25048
	s_waitcnt lgkmcnt(0)
	v_fma_f64 v[11:12], v[27:28], v[29:30], v[11:12]
	s_or_b64 exec, exec, s[20:21]
	s_and_saveexec_b64 s[16:17], s[8:9]
	s_cbranch_execz .LBB41_245
.LBB41_1109:
	ds_read_b64 v[27:28], v26 offset:30976
	ds_read_b64 v[29:30], v25 offset:25056
	s_waitcnt lgkmcnt(0)
	v_fma_f64 v[11:12], v[27:28], v[29:30], v[11:12]
	s_or_b64 exec, exec, s[16:17]
	v_cmp_gt_u32_e64 s[16:17], 48, v15
	s_and_saveexec_b64 s[20:21], s[16:17]
	s_cbranch_execz .LBB41_246
.LBB41_1110:
	ds_read_b64 v[27:28], v26 offset:31488
	ds_read_b64 v[29:30], v25 offset:25064
	s_waitcnt lgkmcnt(0)
	v_fma_f64 v[11:12], v[27:28], v[29:30], v[11:12]
	s_or_b64 exec, exec, s[20:21]
	v_cmp_gt_u32_e64 s[16:17], 32, v15
	s_and_saveexec_b64 s[20:21], s[16:17]
	s_cbranch_execz .LBB41_247
.LBB41_1111:
	ds_read_b64 v[26:27], v26 offset:32000
	ds_read_b64 v[28:29], v25 offset:25072
	s_waitcnt lgkmcnt(0)
	v_fma_f64 v[11:12], v[26:27], v[28:29], v[11:12]
	s_or_b64 exec, exec, s[20:21]
	v_cmp_gt_u32_e64 s[16:17], 16, v15
	s_and_saveexec_b64 s[20:21], s[16:17]
	s_cbranch_execnz .LBB41_248
	s_branch .LBB41_249
.LBB41_1112:
	ds_read_b64 v[27:28], v26 offset:23360
	ds_read_b64 v[29:30], v25 offset:22888
	s_waitcnt lgkmcnt(0)
	v_fma_f64 v[11:12], v[27:28], v[29:30], v[11:12]
	s_or_b64 exec, exec, s[0:1]
	v_cmp_gt_u32_e64 s[14:15], 8, v15
	s_and_saveexec_b64 s[0:1], s[14:15]
	s_cbranch_execz .LBB41_337
.LBB41_1113:
	ds_read_b64 v[26:27], v26 offset:23872
	ds_read_b64 v[28:29], v25 offset:22896
	s_waitcnt lgkmcnt(0)
	v_fma_f64 v[11:12], v[26:27], v[28:29], v[11:12]
	s_or_b64 exec, exec, s[0:1]
	v_cmp_gt_u32_e64 s[14:15], 4, v15
	s_and_saveexec_b64 s[20:21], s[14:15]
	s_cbranch_execnz .LBB41_338
	s_branch .LBB41_339
.LBB41_1114:
	ds_read_b64 v[27:28], v26 offset:21248
	ds_read_b64 v[29:30], v25 offset:20808
	s_waitcnt lgkmcnt(0)
	v_fma_f64 v[11:12], v[27:28], v[29:30], v[11:12]
	s_or_b64 exec, exec, s[0:1]
	v_cmp_gt_u32_e64 s[14:15], 48, v15
	s_and_saveexec_b64 s[0:1], s[14:15]
	s_cbranch_execz .LBB41_379
.LBB41_1115:
	ds_read_b64 v[27:28], v26 offset:21760
	ds_read_b64 v[29:30], v25 offset:20816
	s_waitcnt lgkmcnt(0)
	v_fma_f64 v[11:12], v[27:28], v[29:30], v[11:12]
	s_or_b64 exec, exec, s[0:1]
	v_cmp_gt_u32_e64 s[14:15], 40, v15
	s_and_saveexec_b64 s[0:1], s[14:15]
	s_cbranch_execz .LBB41_380
.LBB41_1116:
	ds_read_b64 v[27:28], v26 offset:22272
	ds_read_b64 v[29:30], v25 offset:20824
	s_waitcnt lgkmcnt(0)
	v_fma_f64 v[11:12], v[27:28], v[29:30], v[11:12]
	s_or_b64 exec, exec, s[0:1]
	v_cmp_gt_u32_e64 s[14:15], 32, v15
	s_and_saveexec_b64 s[0:1], s[14:15]
	s_cbranch_execz .LBB41_381
.LBB41_1117:
	ds_read_b64 v[27:28], v26 offset:22784
	ds_read_b64 v[29:30], v25 offset:20832
	s_waitcnt lgkmcnt(0)
	v_fma_f64 v[11:12], v[27:28], v[29:30], v[11:12]
	s_or_b64 exec, exec, s[0:1]
	v_cmp_gt_u32_e64 s[14:15], 24, v15
	s_and_saveexec_b64 s[0:1], s[14:15]
	s_cbranch_execz .LBB41_382
.LBB41_1118:
	ds_read_b64 v[27:28], v26 offset:23296
	ds_read_b64 v[29:30], v25 offset:20840
	s_waitcnt lgkmcnt(0)
	v_fma_f64 v[11:12], v[27:28], v[29:30], v[11:12]
	s_or_b64 exec, exec, s[0:1]
	s_and_saveexec_b64 s[0:1], s[18:19]
	s_cbranch_execz .LBB41_383
.LBB41_1119:
	ds_read_b64 v[26:27], v26 offset:23808
	ds_read_b64 v[28:29], v25 offset:20848
	s_waitcnt lgkmcnt(0)
	v_fma_f64 v[11:12], v[26:27], v[28:29], v[11:12]
	s_or_b64 exec, exec, s[0:1]
	v_cmp_gt_u32_e64 s[14:15], 8, v15
	s_and_saveexec_b64 s[20:21], s[14:15]
	s_cbranch_execnz .LBB41_384
	s_branch .LBB41_385
.LBB41_1120:
	ds_read_b64 v[27:28], v26 offset:19200
	ds_read_b64 v[29:30], v25 offset:18728
	s_waitcnt lgkmcnt(0)
	v_fma_f64 v[11:12], v[27:28], v[29:30], v[11:12]
	s_or_b64 exec, exec, s[0:1]
	v_cmp_gt_u32_e64 s[14:15], 8, v15
	s_and_saveexec_b64 s[0:1], s[14:15]
	s_cbranch_execz .LBB41_441
.LBB41_1121:
	ds_read_b64 v[26:27], v26 offset:19712
	ds_read_b64 v[28:29], v25 offset:18736
	s_waitcnt lgkmcnt(0)
	v_fma_f64 v[11:12], v[26:27], v[28:29], v[11:12]
	s_or_b64 exec, exec, s[0:1]
	v_cmp_gt_u32_e64 s[14:15], 4, v15
	s_and_saveexec_b64 s[20:21], s[14:15]
	s_cbranch_execnz .LBB41_442
	s_branch .LBB41_443
.LBB41_1122:
	ds_read_b64 v[30:31], v29 offset:31232
	ds_read_b64 v[32:33], v28 offset:16872
	s_waitcnt lgkmcnt(0)
	v_fma_f64 v[11:12], v[30:31], v[32:33], v[11:12]
	s_or_b64 exec, exec, s[0:1]
	s_and_saveexec_b64 s[0:1], s[8:9]
	s_cbranch_execz .LBB41_539
.LBB41_1123:
	ds_read_b64 v[29:30], v29 offset:31744
	ds_read_b64 v[31:32], v28 offset:16880
	s_waitcnt lgkmcnt(0)
	v_fma_f64 v[11:12], v[29:30], v[31:32], v[11:12]
	s_or_b64 exec, exec, s[0:1]
	v_cmp_gt_u32_e64 s[20:21], 32, v15
	s_and_saveexec_b64 s[0:1], s[20:21]
	s_cbranch_execnz .LBB41_540
	s_branch .LBB41_541
.LBB41_1124:
	ds_read_b64 v[27:28], v26 offset:15040
	ds_read_b64 v[29:30], v25 offset:14568
	s_waitcnt lgkmcnt(0)
	v_fma_f64 v[11:12], v[27:28], v[29:30], v[11:12]
	s_or_b64 exec, exec, s[0:1]
	v_cmp_gt_u32_e64 s[12:13], 8, v15
	s_and_saveexec_b64 s[0:1], s[12:13]
	s_cbranch_execz .LBB41_585
.LBB41_1125:
	ds_read_b64 v[26:27], v26 offset:15552
	ds_read_b64 v[28:29], v25 offset:14576
	s_waitcnt lgkmcnt(0)
	v_fma_f64 v[11:12], v[26:27], v[28:29], v[11:12]
	s_or_b64 exec, exec, s[0:1]
	v_cmp_gt_u32_e64 s[12:13], 4, v15
	s_and_saveexec_b64 s[0:1], s[12:13]
	s_cbranch_execnz .LBB41_586
	s_branch .LBB41_587
.LBB41_1126:
	ds_read_b64 v[27:28], v26 offset:12928
	ds_read_b64 v[29:30], v25 offset:12488
	s_waitcnt lgkmcnt(0)
	v_fma_f64 v[11:12], v[27:28], v[29:30], v[11:12]
	s_or_b64 exec, exec, s[0:1]
	v_cmp_gt_u32_e64 s[12:13], 48, v15
	s_and_saveexec_b64 s[0:1], s[12:13]
	s_cbranch_execz .LBB41_627
.LBB41_1127:
	ds_read_b64 v[27:28], v26 offset:13440
	ds_read_b64 v[29:30], v25 offset:12496
	s_waitcnt lgkmcnt(0)
	v_fma_f64 v[11:12], v[27:28], v[29:30], v[11:12]
	s_or_b64 exec, exec, s[0:1]
	v_cmp_gt_u32_e64 s[12:13], 40, v15
	s_and_saveexec_b64 s[0:1], s[12:13]
	s_cbranch_execz .LBB41_628
.LBB41_1128:
	ds_read_b64 v[27:28], v26 offset:13952
	ds_read_b64 v[29:30], v25 offset:12504
	s_waitcnt lgkmcnt(0)
	v_fma_f64 v[11:12], v[27:28], v[29:30], v[11:12]
	s_or_b64 exec, exec, s[0:1]
	v_cmp_gt_u32_e64 s[12:13], 32, v15
	s_and_saveexec_b64 s[0:1], s[12:13]
	s_cbranch_execz .LBB41_629
.LBB41_1129:
	ds_read_b64 v[27:28], v26 offset:14464
	ds_read_b64 v[29:30], v25 offset:12512
	s_waitcnt lgkmcnt(0)
	v_fma_f64 v[11:12], v[27:28], v[29:30], v[11:12]
	s_or_b64 exec, exec, s[0:1]
	v_cmp_gt_u32_e64 s[12:13], 24, v15
	s_and_saveexec_b64 s[0:1], s[12:13]
	s_cbranch_execz .LBB41_630
.LBB41_1130:
	ds_read_b64 v[27:28], v26 offset:14976
	ds_read_b64 v[29:30], v25 offset:12520
	s_waitcnt lgkmcnt(0)
	v_fma_f64 v[11:12], v[27:28], v[29:30], v[11:12]
	s_or_b64 exec, exec, s[0:1]
	s_and_saveexec_b64 s[0:1], s[18:19]
	s_cbranch_execz .LBB41_631
.LBB41_1131:
	ds_read_b64 v[26:27], v26 offset:15488
	ds_read_b64 v[28:29], v25 offset:12528
	s_waitcnt lgkmcnt(0)
	v_fma_f64 v[11:12], v[26:27], v[28:29], v[11:12]
	s_or_b64 exec, exec, s[0:1]
	v_cmp_gt_u32_e64 s[12:13], 8, v15
	s_and_saveexec_b64 s[0:1], s[12:13]
	s_cbranch_execnz .LBB41_632
	s_branch .LBB41_633
.LBB41_1132:
	ds_read_b64 v[27:28], v26 offset:10880
	ds_read_b64 v[29:30], v25 offset:10408
	s_waitcnt lgkmcnt(0)
	v_fma_f64 v[11:12], v[27:28], v[29:30], v[11:12]
	s_or_b64 exec, exec, s[0:1]
	v_cmp_gt_u32_e64 s[12:13], 8, v15
	s_and_saveexec_b64 s[0:1], s[12:13]
	s_cbranch_execz .LBB41_689
.LBB41_1133:
	ds_read_b64 v[26:27], v26 offset:11392
	ds_read_b64 v[28:29], v25 offset:10416
	s_waitcnt lgkmcnt(0)
	v_fma_f64 v[11:12], v[26:27], v[28:29], v[11:12]
	s_or_b64 exec, exec, s[0:1]
	v_cmp_gt_u32_e64 s[12:13], 4, v15
	s_and_saveexec_b64 s[0:1], s[12:13]
	s_cbranch_execnz .LBB41_690
	s_branch .LBB41_691
.LBB41_1134:
	ds_read_b64 v[27:28], v26 offset:13824
	ds_read_b64 v[29:30], v25 offset:8408
	s_waitcnt lgkmcnt(0)
	v_fma_f64 v[11:12], v[27:28], v[29:30], v[11:12]
	s_or_b64 exec, exec, s[0:1]
	s_and_saveexec_b64 s[0:1], s[8:9]
	s_cbranch_execz .LBB41_751
.LBB41_1135:
	ds_read_b64 v[27:28], v26 offset:14336
	ds_read_b64 v[29:30], v25 offset:8416
	s_waitcnt lgkmcnt(0)
	v_fma_f64 v[11:12], v[27:28], v[29:30], v[11:12]
	s_or_b64 exec, exec, s[0:1]
	v_cmp_gt_u32_e64 s[12:13], 48, v15
	s_and_saveexec_b64 s[0:1], s[12:13]
	s_cbranch_execz .LBB41_752
.LBB41_1136:
	ds_read_b64 v[27:28], v26 offset:14848
	ds_read_b64 v[29:30], v25 offset:8424
	s_waitcnt lgkmcnt(0)
	v_fma_f64 v[11:12], v[27:28], v[29:30], v[11:12]
	s_or_b64 exec, exec, s[0:1]
	v_cmp_gt_u32_e64 s[12:13], 32, v15
	s_and_saveexec_b64 s[0:1], s[12:13]
	s_cbranch_execz .LBB41_753
.LBB41_1137:
	ds_read_b64 v[26:27], v26 offset:15360
	ds_read_b64 v[28:29], v25 offset:8432
	s_waitcnt lgkmcnt(0)
	v_fma_f64 v[11:12], v[26:27], v[28:29], v[11:12]
	s_or_b64 exec, exec, s[0:1]
	v_cmp_gt_u32_e64 s[12:13], 16, v15
	s_and_saveexec_b64 s[0:1], s[12:13]
	s_cbranch_execnz .LBB41_754
	s_branch .LBB41_755
.LBB41_1138:
	ds_read_b64 v[24:25], v23 offset:6720
	ds_read_b64 v[26:27], v22 offset:6248
	s_waitcnt lgkmcnt(0)
	v_fma_f64 v[11:12], v[24:25], v[26:27], v[11:12]
	s_or_b64 exec, exec, s[12:13]
	v_cmp_gt_u32_e64 s[10:11], 8, v15
	s_and_saveexec_b64 s[12:13], s[10:11]
	s_cbranch_execz .LBB41_843
.LBB41_1139:
	ds_read_b64 v[23:24], v23 offset:7232
	ds_read_b64 v[25:26], v22 offset:6256
	s_waitcnt lgkmcnt(0)
	v_fma_f64 v[11:12], v[23:24], v[25:26], v[11:12]
	s_or_b64 exec, exec, s[12:13]
	v_cmp_gt_u32_e64 s[10:11], 4, v15
	s_and_saveexec_b64 s[12:13], s[10:11]
	s_cbranch_execnz .LBB41_844
	s_branch .LBB41_845
.LBB41_1140:
	ds_read_b64 v[24:25], v23 offset:4608
	ds_read_b64 v[26:27], v22 offset:4168
	s_waitcnt lgkmcnt(0)
	v_fma_f64 v[11:12], v[24:25], v[26:27], v[11:12]
	s_or_b64 exec, exec, s[12:13]
	v_cmp_gt_u32_e64 s[10:11], 48, v15
	s_and_saveexec_b64 s[12:13], s[10:11]
	s_cbranch_execz .LBB41_885
.LBB41_1141:
	ds_read_b64 v[24:25], v23 offset:5120
	ds_read_b64 v[26:27], v22 offset:4176
	s_waitcnt lgkmcnt(0)
	v_fma_f64 v[11:12], v[24:25], v[26:27], v[11:12]
	s_or_b64 exec, exec, s[12:13]
	v_cmp_gt_u32_e64 s[10:11], 40, v15
	s_and_saveexec_b64 s[12:13], s[10:11]
	s_cbranch_execz .LBB41_886
.LBB41_1142:
	ds_read_b64 v[24:25], v23 offset:5632
	ds_read_b64 v[26:27], v22 offset:4184
	s_waitcnt lgkmcnt(0)
	v_fma_f64 v[11:12], v[24:25], v[26:27], v[11:12]
	s_or_b64 exec, exec, s[12:13]
	v_cmp_gt_u32_e64 s[10:11], 32, v15
	s_and_saveexec_b64 s[12:13], s[10:11]
	s_cbranch_execz .LBB41_887
.LBB41_1143:
	ds_read_b64 v[24:25], v23 offset:6144
	ds_read_b64 v[26:27], v22 offset:4192
	s_waitcnt lgkmcnt(0)
	v_fma_f64 v[11:12], v[24:25], v[26:27], v[11:12]
	s_or_b64 exec, exec, s[12:13]
	v_cmp_gt_u32_e64 s[10:11], 24, v15
	s_and_saveexec_b64 s[12:13], s[10:11]
	s_cbranch_execz .LBB41_888
.LBB41_1144:
	ds_read_b64 v[24:25], v23 offset:6656
	ds_read_b64 v[26:27], v22 offset:4200
	s_waitcnt lgkmcnt(0)
	v_fma_f64 v[11:12], v[24:25], v[26:27], v[11:12]
	s_or_b64 exec, exec, s[12:13]
	s_and_saveexec_b64 s[10:11], s[18:19]
	s_cbranch_execz .LBB41_889
.LBB41_1145:
	ds_read_b64 v[23:24], v23 offset:7168
	ds_read_b64 v[25:26], v22 offset:4208
	s_waitcnt lgkmcnt(0)
	v_fma_f64 v[11:12], v[23:24], v[25:26], v[11:12]
	s_or_b64 exec, exec, s[10:11]
	v_cmp_gt_u32_e64 s[10:11], 8, v15
	s_and_saveexec_b64 s[12:13], s[10:11]
	s_cbranch_execnz .LBB41_890
	s_branch .LBB41_891
.LBB41_1146:
	ds_read_b64 v[21:22], v20 offset:2560
	ds_read_b64 v[23:24], v19 offset:2088
	s_waitcnt lgkmcnt(0)
	v_fma_f64 v[11:12], v[21:22], v[23:24], v[11:12]
	s_or_b64 exec, exec, s[10:11]
	v_cmp_gt_u32_e64 s[8:9], 8, v15
	s_and_saveexec_b64 s[10:11], s[8:9]
	s_cbranch_execz .LBB41_947
.LBB41_1147:
	ds_read_b64 v[20:21], v20 offset:3072
	ds_read_b64 v[22:23], v19 offset:2096
	s_waitcnt lgkmcnt(0)
	v_fma_f64 v[11:12], v[20:21], v[22:23], v[11:12]
	s_or_b64 exec, exec, s[10:11]
	v_cmp_gt_u32_e64 s[8:9], 4, v15
	s_and_saveexec_b64 s[10:11], s[8:9]
	s_cbranch_execnz .LBB41_948
	s_branch .LBB41_949
	.section	.rodata,"a",@progbits
	.p2align	6, 0x0
	.amdhsa_kernel _ZL19rocblas_trsv_deviceILi64ELi16ELb0ELb1ELb0ELb0EddPKdPdEviT7_lllT6_T8_lllPii
		.amdhsa_group_segment_fixed_size 41480
		.amdhsa_private_segment_fixed_size 0
		.amdhsa_kernarg_size 352
		.amdhsa_user_sgpr_count 6
		.amdhsa_user_sgpr_private_segment_buffer 1
		.amdhsa_user_sgpr_dispatch_ptr 0
		.amdhsa_user_sgpr_queue_ptr 0
		.amdhsa_user_sgpr_kernarg_segment_ptr 1
		.amdhsa_user_sgpr_dispatch_id 0
		.amdhsa_user_sgpr_flat_scratch_init 0
		.amdhsa_user_sgpr_private_segment_size 0
		.amdhsa_uses_dynamic_stack 0
		.amdhsa_system_sgpr_private_segment_wavefront_offset 0
		.amdhsa_system_sgpr_workgroup_id_x 1
		.amdhsa_system_sgpr_workgroup_id_y 0
		.amdhsa_system_sgpr_workgroup_id_z 1
		.amdhsa_system_sgpr_workgroup_info 0
		.amdhsa_system_vgpr_workitem_id 1
		.amdhsa_next_free_vgpr 49
		.amdhsa_next_free_sgpr 98
		.amdhsa_reserve_vcc 1
		.amdhsa_reserve_flat_scratch 0
		.amdhsa_float_round_mode_32 0
		.amdhsa_float_round_mode_16_64 0
		.amdhsa_float_denorm_mode_32 3
		.amdhsa_float_denorm_mode_16_64 3
		.amdhsa_dx10_clamp 1
		.amdhsa_ieee_mode 1
		.amdhsa_fp16_overflow 0
		.amdhsa_exception_fp_ieee_invalid_op 0
		.amdhsa_exception_fp_denorm_src 0
		.amdhsa_exception_fp_ieee_div_zero 0
		.amdhsa_exception_fp_ieee_overflow 0
		.amdhsa_exception_fp_ieee_underflow 0
		.amdhsa_exception_fp_ieee_inexact 0
		.amdhsa_exception_int_div_zero 0
	.end_amdhsa_kernel
	.section	.text._ZL19rocblas_trsv_deviceILi64ELi16ELb0ELb1ELb0ELb0EddPKdPdEviT7_lllT6_T8_lllPii,"axG",@progbits,_ZL19rocblas_trsv_deviceILi64ELi16ELb0ELb1ELb0ELb0EddPKdPdEviT7_lllT6_T8_lllPii,comdat
.Lfunc_end41:
	.size	_ZL19rocblas_trsv_deviceILi64ELi16ELb0ELb1ELb0ELb0EddPKdPdEviT7_lllT6_T8_lllPii, .Lfunc_end41-_ZL19rocblas_trsv_deviceILi64ELi16ELb0ELb1ELb0ELb0EddPKdPdEviT7_lllT6_T8_lllPii
                                        ; -- End function
	.set _ZL19rocblas_trsv_deviceILi64ELi16ELb0ELb1ELb0ELb0EddPKdPdEviT7_lllT6_T8_lllPii.num_vgpr, 37
	.set _ZL19rocblas_trsv_deviceILi64ELi16ELb0ELb1ELb0ELb0EddPKdPdEviT7_lllT6_T8_lllPii.num_agpr, 0
	.set _ZL19rocblas_trsv_deviceILi64ELi16ELb0ELb1ELb0ELb0EddPKdPdEviT7_lllT6_T8_lllPii.numbered_sgpr, 96
	.set _ZL19rocblas_trsv_deviceILi64ELi16ELb0ELb1ELb0ELb0EddPKdPdEviT7_lllT6_T8_lllPii.num_named_barrier, 0
	.set _ZL19rocblas_trsv_deviceILi64ELi16ELb0ELb1ELb0ELb0EddPKdPdEviT7_lllT6_T8_lllPii.private_seg_size, 0
	.set _ZL19rocblas_trsv_deviceILi64ELi16ELb0ELb1ELb0ELb0EddPKdPdEviT7_lllT6_T8_lllPii.uses_vcc, 1
	.set _ZL19rocblas_trsv_deviceILi64ELi16ELb0ELb1ELb0ELb0EddPKdPdEviT7_lllT6_T8_lllPii.uses_flat_scratch, 0
	.set _ZL19rocblas_trsv_deviceILi64ELi16ELb0ELb1ELb0ELb0EddPKdPdEviT7_lllT6_T8_lllPii.has_dyn_sized_stack, 0
	.set _ZL19rocblas_trsv_deviceILi64ELi16ELb0ELb1ELb0ELb0EddPKdPdEviT7_lllT6_T8_lllPii.has_recursion, 0
	.set _ZL19rocblas_trsv_deviceILi64ELi16ELb0ELb1ELb0ELb0EddPKdPdEviT7_lllT6_T8_lllPii.has_indirect_call, 0
	.section	.AMDGPU.csdata,"",@progbits
; Kernel info:
; codeLenInByte = 39532
; TotalNumSgprs: 100
; NumVgprs: 37
; ScratchSize: 0
; MemoryBound: 0
; FloatMode: 240
; IeeeMode: 1
; LDSByteSize: 41480 bytes/workgroup (compile time only)
; SGPRBlocks: 12
; VGPRBlocks: 12
; NumSGPRsForWavesPerEU: 102
; NumVGPRsForWavesPerEU: 49
; Occupancy: 4
; WaveLimiterHint : 0
; COMPUTE_PGM_RSRC2:SCRATCH_EN: 0
; COMPUTE_PGM_RSRC2:USER_SGPR: 6
; COMPUTE_PGM_RSRC2:TRAP_HANDLER: 0
; COMPUTE_PGM_RSRC2:TGID_X_EN: 1
; COMPUTE_PGM_RSRC2:TGID_Y_EN: 0
; COMPUTE_PGM_RSRC2:TGID_Z_EN: 1
; COMPUTE_PGM_RSRC2:TIDIG_COMP_CNT: 1
	.section	.text._ZL19rocblas_trsv_deviceILi64ELi16ELb0ELb1ELb1ELb0EddPKdPdEviT7_lllT6_T8_lllPii,"axG",@progbits,_ZL19rocblas_trsv_deviceILi64ELi16ELb0ELb1ELb1ELb0EddPKdPdEviT7_lllT6_T8_lllPii,comdat
	.globl	_ZL19rocblas_trsv_deviceILi64ELi16ELb0ELb1ELb1ELb0EddPKdPdEviT7_lllT6_T8_lllPii ; -- Begin function _ZL19rocblas_trsv_deviceILi64ELi16ELb0ELb1ELb1ELb0EddPKdPdEviT7_lllT6_T8_lllPii
	.p2align	8
	.type	_ZL19rocblas_trsv_deviceILi64ELi16ELb0ELb1ELb1ELb0EddPKdPdEviT7_lllT6_T8_lllPii,@function
_ZL19rocblas_trsv_deviceILi64ELi16ELb0ELb1ELb1ELb0EddPKdPdEviT7_lllT6_T8_lllPii: ; @_ZL19rocblas_trsv_deviceILi64ELi16ELb0ELb1ELb1ELb0EddPKdPdEviT7_lllT6_T8_lllPii
; %bb.0:
	s_mov_b32 s22, s7
	s_load_dwordx16 s[36:51], s[4:5], 0x8
	s_load_dword s7, s[4:5], 0x0
	s_load_dword s93, s[4:5], 0x6c
	v_mov_b32_e32 v2, v1
	s_mov_b32 s23, 0
	s_waitcnt lgkmcnt(0)
	s_mul_i32 s0, s43, s22
	s_mul_hi_u32 s1, s42, s22
	s_add_i32 s1, s1, s0
	s_mul_i32 s0, s42, s22
	s_lshl_b64 s[0:1], s[0:1], 3
	s_add_u32 s2, s36, s0
	s_addc_u32 s3, s37, s1
	s_lshl_b64 s[0:1], s[38:39], 3
	s_add_u32 s89, s2, s0
	s_addc_u32 s92, s3, s1
	s_cmp_eq_u32 s6, 0
	s_cbranch_scc1 .LBB42_10
; %bb.1:
	s_lshl_b32 s33, s6, 6
	v_add_u32_e32 v1, s33, v0
	v_ashrrev_i32_e32 v3, 31, v1
	v_mul_lo_u32 v5, s40, v3
	v_mul_lo_u32 v6, s41, v1
	v_mad_u64_u32 v[3:4], s[0:1], s40, v1, 0
	v_add_u32_e32 v7, s33, v2
	v_subrev_u32_e32 v11, 64, v7
	v_add3_u32 v4, v4, v5, v6
	v_lshlrev_b64 v[3:4], 3, v[3:4]
	v_ashrrev_i32_e32 v12, 31, v11
	v_cmp_gt_i32_e32 vcc, s7, v1
	v_mov_b32_e32 v1, s92
	v_add_co_u32_e64 v5, s[0:1], s89, v3
	v_addc_co_u32_e64 v1, s[0:1], v1, v4, s[0:1]
	v_lshlrev_b64 v[3:4], 3, v[11:12]
	v_add_co_u32_e64 v12, s[0:1], v5, v3
	v_addc_co_u32_e64 v13, s[0:1], v1, v4, s[0:1]
	v_cmp_gt_i32_e64 s[0:1], s7, v11
	v_mov_b32_e32 v3, 0
	v_mov_b32_e32 v5, 0
	;; [unrolled: 1-line block ×4, first 2 shown]
	s_and_b64 s[2:3], s[0:1], vcc
	s_barrier
	s_and_saveexec_b64 s[0:1], s[2:3]
	s_cbranch_execz .LBB42_3
; %bb.2:
	global_load_dwordx2 v[5:6], v[12:13], off
.LBB42_3:
	s_or_b64 exec, exec, s[0:1]
	v_add_u32_e32 v1, 16, v11
	v_cmp_gt_i32_e64 s[0:1], s7, v1
	s_and_b64 s[2:3], s[0:1], vcc
	s_waitcnt vmcnt(0)
	s_barrier
	s_and_saveexec_b64 s[0:1], s[2:3]
	s_cbranch_execz .LBB42_5
; %bb.4:
	global_load_dwordx2 v[3:4], v[12:13], off offset:128
.LBB42_5:
	s_or_b64 exec, exec, s[0:1]
	v_add_u32_e32 v1, 32, v11
	v_cmp_gt_i32_e64 s[0:1], s7, v1
	v_mov_b32_e32 v7, 0
	v_mov_b32_e32 v9, 0
	;; [unrolled: 1-line block ×4, first 2 shown]
	s_and_b64 s[2:3], s[0:1], vcc
	s_waitcnt vmcnt(0)
	s_barrier
	s_and_saveexec_b64 s[0:1], s[2:3]
	s_cbranch_execz .LBB42_7
; %bb.6:
	global_load_dwordx2 v[9:10], v[12:13], off offset:256
.LBB42_7:
	s_or_b64 exec, exec, s[0:1]
	v_add_u32_e32 v1, 48, v11
	v_cmp_gt_i32_e64 s[0:1], s7, v1
	s_and_b64 s[2:3], s[0:1], vcc
	s_waitcnt vmcnt(0)
	s_barrier
	s_and_saveexec_b64 s[0:1], s[2:3]
	s_cbranch_execz .LBB42_9
; %bb.8:
	global_load_dwordx2 v[7:8], v[12:13], off offset:384
.LBB42_9:
	s_or_b64 exec, exec, s[0:1]
	s_branch .LBB42_11
.LBB42_10:
                                        ; implicit-def: $vgpr7_vgpr8
                                        ; implicit-def: $vgpr9_vgpr10
                                        ; implicit-def: $vgpr3_vgpr4
                                        ; implicit-def: $vgpr5_vgpr6
	s_mov_b32 s33, s23
.LBB42_11:
	s_ashr_i32 s0, s7, 31
	s_lshr_b32 s0, s0, 26
	s_add_i32 s0, s7, s0
	s_andn2_b32 s0, s0, 63
	s_sub_i32 s88, s7, s0
	s_add_i32 s0, s7, -1
	s_ashr_i32 s1, s0, 31
	s_lshr_b32 s1, s1, 26
	s_add_i32 s0, s0, s1
	s_ashr_i32 s0, s0, 6
	s_cmp_eq_u32 s0, s6
	s_cselect_b64 s[0:1], -1, 0
	s_cmp_lg_u32 s88, 0
	s_cselect_b64 s[2:3], -1, 0
	s_and_b64 s[24:25], s[2:3], s[0:1]
	s_cmp_lt_i32 s6, 5
	s_cselect_b64 s[2:3], -1, 0
	s_or_b64 s[0:1], s[2:3], s[24:25]
	s_ashr_i32 s36, s33, 31
	s_add_u32 s10, s40, 1
	v_mov_b32_e32 v1, 0
	v_mov_b32_e32 v11, s33
	v_mad_u64_u32 v[11:12], s[8:9], s10, v11, v[0:1]
	s_addc_u32 s11, s41, 0
	s_mul_i32 s8, s10, s36
	s_mul_i32 s11, s11, s33
	s_add_i32 s8, s8, s11
	s_mov_b64 s[12:13], -1
	v_lshlrev_b32_e32 v17, 6, v0
	v_add_u32_e32 v12, s8, v12
	s_and_b64 vcc, exec, s[24:25]
	v_cmp_le_u32_e64 s[8:9], v2, v0
	s_cbranch_vccnz .LBB42_33
; %bb.12:
	v_mad_u64_u32 v[15:16], s[10:11], s40, v2, v[11:12]
	v_mov_b32_e32 v1, v16
	v_mad_u64_u32 v[13:14], s[10:11], s41, v2, v[1:2]
	s_mov_b64 s[10:11], 0
	v_mov_b32_e32 v16, v13
                                        ; implicit-def: $vgpr13_vgpr14
	s_and_saveexec_b64 s[12:13], s[8:9]
	s_xor_b64 s[8:9], exec, s[12:13]
	s_cbranch_execnz .LBB42_1051
; %bb.13:
	s_andn2_saveexec_b64 s[8:9], s[8:9]
	s_cbranch_execnz .LBB42_1056
.LBB42_14:
	s_or_b64 exec, exec, s[8:9]
	s_and_saveexec_b64 s[8:9], s[10:11]
.LBB42_15:
	v_add_u32_e32 v1, v2, v17
	v_lshl_add_u32 v15, v2, 6, v0
	v_cndmask_b32_e64 v1, v15, v1, s[2:3]
	v_lshlrev_b32_e32 v1, 3, v1
	ds_write_b64 v1, v[13:14]
.LBB42_16:
	s_or_b64 exec, exec, s[8:9]
	v_add_u32_e32 v1, 16, v2
	v_mad_u64_u32 v[15:16], s[2:3], s40, v1, v[11:12]
	v_cmp_le_u32_e32 vcc, v1, v0
	s_mov_b64 s[8:9], 0
	v_mov_b32_e32 v13, v16
	v_mad_u64_u32 v[13:14], s[2:3], s41, v1, v[13:14]
	v_mov_b32_e32 v16, v13
                                        ; implicit-def: $vgpr13_vgpr14
	s_and_saveexec_b64 s[2:3], vcc
	s_xor_b64 s[2:3], exec, s[2:3]
	s_cbranch_execnz .LBB42_1057
; %bb.17:
	s_andn2_saveexec_b64 s[2:3], s[2:3]
	s_cbranch_execnz .LBB42_1062
.LBB42_18:
	s_or_b64 exec, exec, s[2:3]
	s_and_saveexec_b64 s[2:3], s[8:9]
.LBB42_19:
	v_add_u32_e32 v15, v1, v17
	v_lshl_add_u32 v1, v1, 6, v0
	v_cndmask_b32_e64 v1, v1, v15, s[0:1]
	v_lshlrev_b32_e32 v1, 3, v1
	ds_write_b64 v1, v[13:14]
.LBB42_20:
	s_or_b64 exec, exec, s[2:3]
	v_add_u32_e32 v1, 32, v2
	v_mad_u64_u32 v[15:16], s[2:3], s40, v1, v[11:12]
	v_cmp_le_u32_e32 vcc, v1, v0
	s_mov_b64 s[8:9], 0
	v_mov_b32_e32 v13, v16
	v_mad_u64_u32 v[13:14], s[2:3], s41, v1, v[13:14]
	v_mov_b32_e32 v16, v13
                                        ; implicit-def: $vgpr13_vgpr14
	s_and_saveexec_b64 s[2:3], vcc
	s_xor_b64 s[2:3], exec, s[2:3]
	s_cbranch_execnz .LBB42_1063
; %bb.21:
	s_andn2_saveexec_b64 s[2:3], s[2:3]
	s_cbranch_execnz .LBB42_1068
.LBB42_22:
	s_or_b64 exec, exec, s[2:3]
	s_and_saveexec_b64 s[2:3], s[8:9]
.LBB42_23:
	v_add_u32_e32 v15, v1, v17
	v_lshl_add_u32 v1, v1, 6, v0
	v_cndmask_b32_e64 v1, v1, v15, s[0:1]
	v_lshlrev_b32_e32 v1, 3, v1
	ds_write_b64 v1, v[13:14]
.LBB42_24:
	s_or_b64 exec, exec, s[2:3]
	v_add_u32_e32 v1, 48, v2
	v_mad_u64_u32 v[15:16], s[2:3], s40, v1, v[11:12]
	v_cmp_le_u32_e32 vcc, v1, v0
	s_mov_b64 s[10:11], 0
	v_mov_b32_e32 v13, v16
	v_mad_u64_u32 v[13:14], s[2:3], s41, v1, v[13:14]
	v_mov_b32_e32 v16, v13
                                        ; implicit-def: $vgpr13_vgpr14
	s_and_saveexec_b64 s[2:3], vcc
	s_xor_b64 s[2:3], exec, s[2:3]
	s_cbranch_execz .LBB42_30
; %bb.25:
	v_cmp_ne_u32_e32 vcc, v0, v1
	s_mov_b64 s[8:9], 0
	s_and_saveexec_b64 s[10:11], vcc
	s_xor_b64 s[10:11], exec, s[10:11]
; %bb.26:
	v_or_b32_e32 v13, v1, v0
	v_cmp_gt_u32_e32 vcc, 64, v13
	s_and_b64 s[8:9], vcc, exec
                                        ; implicit-def: $vgpr15_vgpr16
; %bb.27:
	s_or_saveexec_b64 s[10:11], s[10:11]
	v_mov_b32_e32 v13, 0
	v_mov_b32_e32 v14, 0
	s_xor_b64 exec, exec, s[10:11]
	s_cbranch_execz .LBB42_29
; %bb.28:
	v_lshlrev_b64 v[13:14], 3, v[15:16]
	v_mov_b32_e32 v15, s92
	v_add_co_u32_e32 v13, vcc, s89, v13
	v_addc_co_u32_e32 v14, vcc, v15, v14, vcc
	global_load_dwordx2 v[13:14], v[13:14], off
	s_or_b64 s[8:9], s[8:9], exec
	s_waitcnt vmcnt(0)
	v_div_scale_f64 v[15:16], s[12:13], v[13:14], v[13:14], 1.0
	v_div_scale_f64 v[22:23], vcc, 1.0, v[13:14], 1.0
	v_rcp_f64_e32 v[18:19], v[15:16]
	v_fma_f64 v[20:21], -v[15:16], v[18:19], 1.0
	v_fma_f64 v[18:19], v[18:19], v[20:21], v[18:19]
	v_fma_f64 v[20:21], -v[15:16], v[18:19], 1.0
	v_fma_f64 v[18:19], v[18:19], v[20:21], v[18:19]
	v_mul_f64 v[20:21], v[22:23], v[18:19]
	v_fma_f64 v[15:16], -v[15:16], v[20:21], v[22:23]
	v_div_fmas_f64 v[15:16], v[15:16], v[18:19], v[20:21]
	v_div_fixup_f64 v[13:14], v[15:16], v[13:14], 1.0
.LBB42_29:
	s_or_b64 exec, exec, s[10:11]
	s_and_b64 s[10:11], s[8:9], exec
                                        ; implicit-def: $vgpr15_vgpr16
.LBB42_30:
	s_or_saveexec_b64 s[2:3], s[2:3]
	v_add_u32_e32 v18, v1, v17
	v_lshl_add_u32 v1, v1, 6, v0
	s_xor_b64 exec, exec, s[2:3]
	s_cbranch_execz .LBB42_32
; %bb.31:
	v_lshlrev_b64 v[13:14], 3, v[15:16]
	v_mov_b32_e32 v15, s92
	v_add_co_u32_e32 v13, vcc, s89, v13
	v_addc_co_u32_e32 v14, vcc, v15, v14, vcc
	global_load_dwordx2 v[13:14], v[13:14], off
	s_or_b64 s[10:11], s[10:11], exec
	s_waitcnt vmcnt(0)
	v_xor_b32_e32 v14, 0x80000000, v14
.LBB42_32:
	s_or_b64 exec, exec, s[2:3]
	v_cndmask_b32_e64 v1, v1, v18, s[0:1]
	s_branch .LBB42_55
.LBB42_33:
	s_mov_b64 s[10:11], 0
                                        ; implicit-def: $vgpr13_vgpr14
                                        ; implicit-def: $vgpr1
	s_and_b64 vcc, exec, s[12:13]
	s_cbranch_vccz .LBB42_55
; %bb.34:
	v_mad_u64_u32 v[13:14], s[2:3], s40, v2, v[11:12]
	v_cmp_le_u32_e32 vcc, v2, v0
	v_cmp_gt_i32_e64 s[2:3], s88, v0
	v_mov_b32_e32 v1, v14
	v_mad_u64_u32 v[14:15], s[8:9], s41, v2, v[1:2]
	v_max_i32_e32 v1, v2, v0
	v_cmp_le_i32_e64 s[8:9], s88, v1
	s_or_b64 s[8:9], s[8:9], vcc
	s_mov_b64 s[12:13], 0
                                        ; implicit-def: $vgpr15_vgpr16
	s_and_saveexec_b64 s[14:15], s[8:9]
	s_xor_b64 s[8:9], exec, s[14:15]
	s_cbranch_execnz .LBB42_1069
; %bb.35:
	s_andn2_saveexec_b64 s[8:9], s[8:9]
	s_cbranch_execnz .LBB42_1074
.LBB42_36:
	s_or_b64 exec, exec, s[8:9]
	s_and_saveexec_b64 s[8:9], s[12:13]
.LBB42_37:
	v_lshlrev_b32_e32 v1, 3, v17
	v_lshl_add_u32 v1, v2, 3, v1
	ds_write_b64 v1, v[15:16]
.LBB42_38:
	s_or_b64 exec, exec, s[8:9]
	v_add_u32_e32 v1, 16, v2
	v_mad_u64_u32 v[13:14], s[8:9], s40, v1, v[11:12]
	v_cmp_gt_u32_e32 vcc, v1, v0
	s_mov_b64 s[12:13], 0
	v_mad_u64_u32 v[14:15], s[8:9], s41, v1, v[14:15]
	v_cmp_gt_i32_e64 s[8:9], s88, v1
	s_and_b64 s[8:9], vcc, s[8:9]
	s_and_b64 s[8:9], s[2:3], s[8:9]
	s_xor_b64 s[8:9], s[8:9], -1
                                        ; implicit-def: $vgpr15_vgpr16
	s_and_saveexec_b64 s[14:15], s[8:9]
	s_xor_b64 s[8:9], exec, s[14:15]
	s_cbranch_execnz .LBB42_1075
; %bb.39:
	s_andn2_saveexec_b64 s[8:9], s[8:9]
	s_cbranch_execnz .LBB42_1080
.LBB42_40:
	s_or_b64 exec, exec, s[8:9]
	s_and_saveexec_b64 s[8:9], s[12:13]
.LBB42_41:
	v_add_u32_e32 v13, v1, v17
	v_lshl_add_u32 v1, v1, 6, v0
	v_cndmask_b32_e64 v1, v1, v13, s[0:1]
	v_lshlrev_b32_e32 v1, 3, v1
	ds_write_b64 v1, v[15:16]
.LBB42_42:
	s_or_b64 exec, exec, s[8:9]
	v_add_u32_e32 v1, 32, v2
	v_mad_u64_u32 v[13:14], s[8:9], s40, v1, v[11:12]
	v_cmp_gt_u32_e32 vcc, v1, v0
	s_mov_b64 s[12:13], 0
	v_mad_u64_u32 v[14:15], s[8:9], s41, v1, v[14:15]
	v_cmp_gt_i32_e64 s[8:9], s88, v1
	s_and_b64 s[8:9], vcc, s[8:9]
	s_and_b64 s[8:9], s[2:3], s[8:9]
	s_xor_b64 s[8:9], s[8:9], -1
                                        ; implicit-def: $vgpr15_vgpr16
	s_and_saveexec_b64 s[14:15], s[8:9]
	s_xor_b64 s[8:9], exec, s[14:15]
	s_cbranch_execnz .LBB42_1081
; %bb.43:
	s_andn2_saveexec_b64 s[8:9], s[8:9]
	s_cbranch_execnz .LBB42_1086
.LBB42_44:
	s_or_b64 exec, exec, s[8:9]
	s_and_saveexec_b64 s[8:9], s[12:13]
.LBB42_45:
	v_add_u32_e32 v13, v1, v17
	v_lshl_add_u32 v1, v1, 6, v0
	v_cndmask_b32_e64 v1, v1, v13, s[0:1]
	v_lshlrev_b32_e32 v1, 3, v1
	ds_write_b64 v1, v[15:16]
.LBB42_46:
	s_or_b64 exec, exec, s[8:9]
	v_add_u32_e32 v1, 48, v2
	v_mad_u64_u32 v[11:12], s[8:9], s40, v1, v[11:12]
	v_cmp_gt_u32_e32 vcc, v1, v0
	v_mad_u64_u32 v[12:13], s[8:9], s41, v1, v[12:13]
	v_cmp_gt_i32_e64 s[8:9], s88, v1
	s_and_b64 s[8:9], vcc, s[8:9]
	s_and_b64 s[8:9], s[2:3], s[8:9]
	s_xor_b64 s[8:9], s[8:9], -1
                                        ; implicit-def: $vgpr13_vgpr14
	s_and_saveexec_b64 s[12:13], s[8:9]
	s_xor_b64 s[8:9], exec, s[12:13]
	s_cbranch_execz .LBB42_52
; %bb.47:
	v_cmp_ne_u32_e32 vcc, v0, v1
	s_xor_b64 s[2:3], s[2:3], -1
	s_or_b64 s[12:13], s[2:3], vcc
	s_mov_b64 s[2:3], s[10:11]
	s_and_saveexec_b64 s[14:15], s[12:13]
	s_xor_b64 s[12:13], exec, s[14:15]
; %bb.48:
	v_or_b32_e32 v11, v1, v0
	v_cmp_gt_u32_e32 vcc, 64, v11
	s_andn2_b64 s[2:3], s[10:11], exec
	s_and_b64 s[14:15], vcc, exec
	s_or_b64 s[2:3], s[2:3], s[14:15]
                                        ; implicit-def: $vgpr11_vgpr12
; %bb.49:
	s_or_saveexec_b64 s[12:13], s[12:13]
	v_mov_b32_e32 v13, 0
	v_mov_b32_e32 v14, 0
	s_xor_b64 exec, exec, s[12:13]
	s_cbranch_execz .LBB42_51
; %bb.50:
	v_lshlrev_b64 v[11:12], 3, v[11:12]
	v_mov_b32_e32 v13, s92
	v_add_co_u32_e32 v11, vcc, s89, v11
	v_addc_co_u32_e32 v12, vcc, v13, v12, vcc
	global_load_dwordx2 v[11:12], v[11:12], off
	s_or_b64 s[2:3], s[2:3], exec
	s_waitcnt vmcnt(0)
	v_div_scale_f64 v[13:14], s[14:15], v[11:12], v[11:12], 1.0
	v_div_scale_f64 v[20:21], vcc, 1.0, v[11:12], 1.0
	v_rcp_f64_e32 v[15:16], v[13:14]
	v_fma_f64 v[18:19], -v[13:14], v[15:16], 1.0
	v_fma_f64 v[15:16], v[15:16], v[18:19], v[15:16]
	v_fma_f64 v[18:19], -v[13:14], v[15:16], 1.0
	v_fma_f64 v[15:16], v[15:16], v[18:19], v[15:16]
	v_mul_f64 v[18:19], v[20:21], v[15:16]
	v_fma_f64 v[13:14], -v[13:14], v[18:19], v[20:21]
	v_div_fmas_f64 v[13:14], v[13:14], v[15:16], v[18:19]
	v_div_fixup_f64 v[13:14], v[13:14], v[11:12], 1.0
.LBB42_51:
	s_or_b64 exec, exec, s[12:13]
	s_andn2_b64 s[10:11], s[10:11], exec
	s_and_b64 s[2:3], s[2:3], exec
	s_or_b64 s[10:11], s[10:11], s[2:3]
                                        ; implicit-def: $vgpr11_vgpr12
.LBB42_52:
	s_or_saveexec_b64 s[2:3], s[8:9]
	v_add_u32_e32 v15, v1, v17
	v_lshl_add_u32 v1, v1, 6, v0
	s_xor_b64 exec, exec, s[2:3]
	s_cbranch_execz .LBB42_54
; %bb.53:
	v_lshlrev_b64 v[11:12], 3, v[11:12]
	v_mov_b32_e32 v13, s92
	v_add_co_u32_e32 v11, vcc, s89, v11
	v_addc_co_u32_e32 v12, vcc, v13, v12, vcc
	global_load_dwordx2 v[13:14], v[11:12], off
	s_or_b64 s[10:11], s[10:11], exec
	s_waitcnt vmcnt(0)
	v_xor_b32_e32 v14, 0x80000000, v14
.LBB42_54:
	s_or_b64 exec, exec, s[2:3]
	v_cndmask_b32_e64 v1, v1, v15, s[0:1]
.LBB42_55:
	s_xor_b64 s[0:1], s[0:1], -1
	s_and_saveexec_b64 s[2:3], s[10:11]
; %bb.56:
	v_lshlrev_b32_e32 v1, 3, v1
	ds_write_b64 v1, v[13:14]
; %bb.57:
	s_or_b64 exec, exec, s[2:3]
	v_cndmask_b32_e64 v1, 0, 1, s[0:1]
	v_cmp_ne_u32_e64 s[58:59], 1, v1
	s_andn2_b64 vcc, exec, s[0:1]
	s_waitcnt vmcnt(0) lgkmcnt(0)
	s_barrier
	s_cbranch_vccnz .LBB42_987
; %bb.58:
	v_or_b32_e32 v1, v0, v2
	v_cmp_eq_u32_e32 vcc, 0, v1
	s_and_saveexec_b64 s[0:1], vcc
	s_cbranch_execz .LBB42_60
; %bb.59:
	v_mov_b32_e32 v1, 0
	ds_read_b128 v[11:14], v1 offset:32752
	ds_read_b64 v[15:16], v1 offset:32240
	s_movk_i32 s2, 0x7800
	v_add_u32_e64 v1, s2, 0
	s_waitcnt lgkmcnt(0)
	v_mul_f64 v[13:14], v[15:16], v[13:14]
	v_mul_f64 v[11:12], v[11:12], v[13:14]
	ds_write2_b64 v1, v[11:12], v[11:12] offset0:191 offset1:254
.LBB42_60:
	s_or_b64 exec, exec, s[0:1]
	v_lshlrev_b32_e32 v11, 6, v2
	v_add_u32_e32 v15, v11, v0
	v_and_b32_e32 v12, v11, v0
	v_xor_b32_e32 v11, v11, v0
	v_lshrrev_b16_e32 v11, 1, v11
	v_add_u16_e32 v14, v12, v11
	v_mov_b32_e32 v11, 0
	v_and_b32_e32 v1, 1, v0
	v_sub_u32_e32 v13, 1, v14
	v_cmp_lt_u32_e64 s[8:9], 3, v15
	v_mov_b32_e32 v12, 0
	v_cmp_gt_u32_e64 s[2:3], 4, v15
	s_waitcnt lgkmcnt(0)
	s_barrier
	buffer_wbinvl1_vol
	s_and_saveexec_b64 s[0:1], s[2:3]
	s_cbranch_execz .LBB42_64
; %bb.61:
	v_lshlrev_b32_e32 v16, 9, v13
	v_lshlrev_b32_e32 v11, 3, v1
	ds_read_b64 v[11:12], v11 offset:32224
	ds_read_b64 v[16:17], v16 offset:32240
	v_cmp_gt_u32_e64 s[10:11], 2, v15
	s_waitcnt lgkmcnt(0)
	v_fma_f64 v[11:12], v[11:12], v[16:17], 0
	s_and_saveexec_b64 s[12:13], s[10:11]
	s_cbranch_execz .LBB42_63
; %bb.62:
	v_lshlrev_b32_e32 v16, 3, v0
	v_mov_b32_e32 v18, 0
	ds_read_b64 v[16:17], v16 offset:32736
	ds_read_b64 v[18:19], v18 offset:32760
	s_waitcnt lgkmcnt(0)
	v_fma_f64 v[11:12], v[16:17], v[18:19], v[11:12]
.LBB42_63:
	s_or_b64 exec, exec, s[12:13]
.LBB42_64:
	s_or_b64 exec, exec, s[0:1]
	v_mov_b32_e32 v16, 0x8000
	v_cmp_ne_u32_e64 s[10:11], 0, v1
	s_xor_b64 s[0:1], s[8:9], -1
	v_lshl_add_u32 v14, v14, 3, v16
	s_and_b64 s[28:29], s[10:11], s[0:1]
	s_and_saveexec_b64 s[8:9], s[28:29]
	s_cbranch_execz .LBB42_66
; %bb.65:
	v_mov_b32_e32 v16, 0
	ds_read_b64 v[16:17], v16 offset:31720
	s_waitcnt lgkmcnt(0)
	v_mul_f64 v[11:12], v[11:12], v[16:17]
	v_xor_b32_e32 v17, 0x80000000, v12
	v_mov_b32_e32 v16, v11
	ds_write_b64 v14, v[16:17]
.LBB42_66:
	s_or_b64 exec, exec, s[8:9]
	v_cmp_eq_u32_e64 s[8:9], 0, v1
	s_and_b64 s[26:27], s[8:9], s[0:1]
	s_waitcnt lgkmcnt(0)
	s_barrier
	s_and_saveexec_b64 s[0:1], s[26:27]
	s_cbranch_execz .LBB42_68
; %bb.67:
	v_mov_b32_e32 v16, 0
	ds_read_b64 v[16:17], v16 offset:31712
	ds_read_b64 v[18:19], v14
	s_waitcnt lgkmcnt(0)
	v_fma_f64 v[11:12], -v[16:17], v[18:19], v[11:12]
.LBB42_68:
	s_or_b64 exec, exec, s[0:1]
	s_barrier
	s_and_saveexec_b64 s[0:1], s[26:27]
	s_cbranch_execz .LBB42_70
; %bb.69:
	v_mov_b32_e32 v16, 0
	ds_read_b64 v[16:17], v16 offset:31200
	s_waitcnt lgkmcnt(0)
	v_mul_f64 v[11:12], v[11:12], v[16:17]
	v_xor_b32_e32 v17, 0x80000000, v12
	v_mov_b32_e32 v16, v11
	ds_write_b64 v14, v[16:17]
.LBB42_70:
	s_or_b64 exec, exec, s[0:1]
	s_waitcnt lgkmcnt(0)
	s_barrier
	s_barrier
	s_and_saveexec_b64 s[0:1], s[2:3]
; %bb.71:
	v_lshlrev_b32_e32 v16, 3, v1
	v_lshl_or_b32 v16, v13, 9, v16
	ds_write_b64 v16, v[11:12] offset:32224
; %bb.72:
	s_or_b64 exec, exec, s[0:1]
	v_cmp_eq_u32_e64 s[12:13], 0, v2
	v_cmp_gt_u32_e64 s[8:9], 2, v0
	s_and_b64 s[30:31], s[12:13], s[8:9]
	s_waitcnt lgkmcnt(0)
	s_barrier
	s_barrier
	s_and_saveexec_b64 s[0:1], s[30:31]
	s_cbranch_execz .LBB42_74
; %bb.73:
	v_lshlrev_b32_e32 v16, 3, v0
	s_movk_i32 s8, 0x1f8
	v_mad_u32_u24 v17, v0, s8, v16
	ds_read_b64 v[11:12], v17 offset:32224
	s_waitcnt lgkmcnt(0)
	ds_write_b64 v16, v[11:12] offset:31216
	ds_read_b64 v[11:12], v17 offset:32232
	s_waitcnt lgkmcnt(0)
	ds_write_b64 v16, v[11:12] offset:31728
.LBB42_74:
	s_or_b64 exec, exec, s[0:1]
	s_waitcnt lgkmcnt(0)
	s_barrier
	s_and_saveexec_b64 s[0:1], vcc
	s_cbranch_execz .LBB42_76
; %bb.75:
	v_mov_b32_e32 v11, 0
	ds_read_b128 v[16:19], v11 offset:31712
	ds_read_b64 v[11:12], v11 offset:31200
	s_movk_i32 s8, 0x7800
	s_waitcnt lgkmcnt(0)
	v_mul_f64 v[11:12], v[11:12], v[18:19]
	v_mul_f64 v[11:12], v[16:17], v[11:12]
	v_add_u32_e64 v16, s8, 0
	ds_write2_b64 v16, v[11:12], v[11:12] offset0:61 offset1:124
.LBB42_76:
	s_or_b64 exec, exec, s[0:1]
	v_lshrrev_b32_e32 v18, 2, v15
	v_mov_b32_e32 v11, 0
	v_and_b32_e32 v16, 3, v0
	v_sub_u32_e32 v17, 3, v18
	v_cmp_lt_u32_e64 s[8:9], 15, v15
	v_mov_b32_e32 v12, 0
	v_cmp_gt_u32_e64 s[18:19], 16, v15
	s_waitcnt lgkmcnt(0)
	s_barrier
	buffer_wbinvl1_vol
	s_and_saveexec_b64 s[0:1], s[18:19]
	s_cbranch_execz .LBB42_82
; %bb.77:
	v_lshlrev_b32_e32 v20, 3, v16
	v_lshlrev_b32_e32 v19, 9, v17
	ds_read_b64 v[11:12], v20 offset:31168
	ds_read_b64 v[21:22], v19 offset:31200
	v_cmp_gt_u32_e64 s[10:11], 12, v15
	s_waitcnt lgkmcnt(0)
	v_fma_f64 v[11:12], v[11:12], v[21:22], 0
	s_and_saveexec_b64 s[14:15], s[10:11]
	s_cbranch_execnz .LBB42_1098
; %bb.78:
	s_or_b64 exec, exec, s[14:15]
	v_cmp_gt_u32_e64 s[10:11], 8, v15
	s_and_saveexec_b64 s[14:15], s[10:11]
	s_cbranch_execnz .LBB42_1099
.LBB42_79:
	s_or_b64 exec, exec, s[14:15]
	v_cmp_gt_u32_e64 s[10:11], 4, v15
	s_and_saveexec_b64 s[14:15], s[10:11]
	s_cbranch_execz .LBB42_81
.LBB42_80:
	v_lshlrev_b32_e32 v19, 3, v0
	v_mov_b32_e32 v21, 0
	ds_read_b64 v[19:20], v19 offset:32704
	ds_read_b64 v[21:22], v21 offset:32760
	s_waitcnt lgkmcnt(0)
	v_fma_f64 v[11:12], v[19:20], v[21:22], v[11:12]
.LBB42_81:
	s_or_b64 exec, exec, s[14:15]
.LBB42_82:
                                        ; implicit-def: $vgpr36 : SGPR spill to VGPR lane
	v_writelane_b32 v36, s36, 0
	s_or_b64 exec, exec, s[0:1]
	v_mov_b32_e32 v19, 0x8000
	v_cmp_eq_u32_e64 s[10:11], 3, v16
	s_xor_b64 s[0:1], s[8:9], -1
	v_lshl_add_u32 v18, v18, 3, v19
	s_and_b64 s[36:37], s[10:11], s[0:1]
	s_and_saveexec_b64 s[8:9], s[36:37]
	s_cbranch_execz .LBB42_84
; %bb.83:
	v_mov_b32_e32 v19, 0
	ds_read_b64 v[19:20], v19 offset:30680
	s_waitcnt lgkmcnt(0)
	v_mul_f64 v[11:12], v[11:12], v[19:20]
	v_xor_b32_e32 v20, 0x80000000, v12
	v_mov_b32_e32 v19, v11
	ds_write_b64 v18, v[19:20]
.LBB42_84:
	s_or_b64 exec, exec, s[8:9]
	v_cmp_ne_u32_e64 s[8:9], 3, v16
	s_and_b64 s[38:39], s[8:9], s[0:1]
	s_waitcnt lgkmcnt(0)
	s_barrier
	s_and_saveexec_b64 s[8:9], s[38:39]
	s_cbranch_execz .LBB42_86
; %bb.85:
	v_lshlrev_b32_e32 v19, 3, v16
	ds_read_b64 v[19:20], v19 offset:30656
	ds_read_b64 v[21:22], v18
	s_waitcnt lgkmcnt(0)
	v_fma_f64 v[11:12], -v[19:20], v[21:22], v[11:12]
.LBB42_86:
	s_or_b64 exec, exec, s[8:9]
	v_cmp_eq_u32_e64 s[8:9], 2, v16
	s_and_b64 s[42:43], s[8:9], s[0:1]
	s_barrier
	s_and_saveexec_b64 s[8:9], s[42:43]
	s_cbranch_execz .LBB42_88
; %bb.87:
	v_mov_b32_e32 v19, 0
	ds_read_b64 v[19:20], v19 offset:30160
	s_waitcnt lgkmcnt(0)
	v_mul_f64 v[11:12], v[11:12], v[19:20]
	v_xor_b32_e32 v20, 0x80000000, v12
	v_mov_b32_e32 v19, v11
	ds_write_b64 v18, v[19:20]
.LBB42_88:
	s_or_b64 exec, exec, s[8:9]
	v_cmp_gt_u32_e64 s[8:9], 2, v16
	s_and_b64 s[52:53], s[8:9], s[0:1]
	s_waitcnt lgkmcnt(0)
	s_barrier
	s_and_saveexec_b64 s[8:9], s[52:53]
	s_cbranch_execz .LBB42_90
; %bb.89:
	v_lshlrev_b32_e32 v19, 3, v16
	ds_read_b64 v[19:20], v19 offset:30144
	ds_read_b64 v[21:22], v18
	s_waitcnt lgkmcnt(0)
	v_fma_f64 v[11:12], -v[19:20], v[21:22], v[11:12]
.LBB42_90:
	s_or_b64 exec, exec, s[8:9]
	v_cmp_eq_u32_e64 s[8:9], 1, v16
	s_and_b64 s[54:55], s[8:9], s[0:1]
	s_barrier
	s_and_saveexec_b64 s[8:9], s[54:55]
	s_cbranch_execz .LBB42_92
; %bb.91:
	v_mov_b32_e32 v19, 0
	ds_read_b64 v[19:20], v19 offset:29640
	s_waitcnt lgkmcnt(0)
	v_mul_f64 v[11:12], v[11:12], v[19:20]
	v_xor_b32_e32 v20, 0x80000000, v12
	v_mov_b32_e32 v19, v11
	ds_write_b64 v18, v[19:20]
.LBB42_92:
	s_or_b64 exec, exec, s[8:9]
	v_cmp_eq_u32_e64 s[8:9], 0, v16
	s_and_b64 s[34:35], s[8:9], s[0:1]
	s_waitcnt lgkmcnt(0)
	s_barrier
	s_and_saveexec_b64 s[0:1], s[34:35]
	s_cbranch_execz .LBB42_94
; %bb.93:
	v_mov_b32_e32 v19, 0
	ds_read_b64 v[19:20], v19 offset:29632
	ds_read_b64 v[21:22], v18
	s_waitcnt lgkmcnt(0)
	v_fma_f64 v[11:12], -v[19:20], v[21:22], v[11:12]
.LBB42_94:
	s_or_b64 exec, exec, s[0:1]
	s_barrier
	s_and_saveexec_b64 s[0:1], s[34:35]
	s_cbranch_execz .LBB42_96
; %bb.95:
	v_mov_b32_e32 v19, 0
	ds_read_b64 v[19:20], v19 offset:29120
	s_waitcnt lgkmcnt(0)
	v_mul_f64 v[11:12], v[11:12], v[19:20]
	v_xor_b32_e32 v20, 0x80000000, v12
	v_mov_b32_e32 v19, v11
	ds_write_b64 v18, v[19:20]
.LBB42_96:
	s_or_b64 exec, exec, s[0:1]
	s_waitcnt lgkmcnt(0)
	s_barrier
	s_barrier
	s_and_saveexec_b64 s[0:1], s[18:19]
; %bb.97:
	v_lshlrev_b32_e32 v19, 3, v16
	v_lshl_or_b32 v19, v17, 9, v19
	ds_write_b64 v19, v[11:12] offset:31168
; %bb.98:
	s_or_b64 exec, exec, s[0:1]
	v_cmp_gt_u32_e64 s[8:9], 4, v0
	s_and_b64 s[56:57], s[12:13], s[8:9]
	s_waitcnt lgkmcnt(0)
	s_barrier
	s_barrier
	s_and_saveexec_b64 s[0:1], s[56:57]
	s_cbranch_execz .LBB42_100
; %bb.99:
	v_lshlrev_b32_e32 v19, 9, v0
	ds_read_b64 v[11:12], v19 offset:31168
	s_movk_i32 s8, 0xfe08
	v_mad_i32_i24 v20, v0, s8, v19
	s_waitcnt lgkmcnt(0)
	ds_write_b64 v20, v[11:12] offset:29152
	ds_read_b64 v[11:12], v19 offset:31176
	s_waitcnt lgkmcnt(0)
	ds_write_b64 v20, v[11:12] offset:29664
	ds_read_b64 v[11:12], v19 offset:31184
	;; [unrolled: 3-line block ×3, first 2 shown]
	s_waitcnt lgkmcnt(0)
	ds_write_b64 v20, v[11:12] offset:30688
.LBB42_100:
	s_or_b64 exec, exec, s[0:1]
	s_waitcnt lgkmcnt(0)
	s_barrier
	s_and_saveexec_b64 s[0:1], vcc
	s_cbranch_execz .LBB42_102
; %bb.101:
	v_mov_b32_e32 v11, 0
	ds_read_b128 v[19:22], v11 offset:30672
	ds_read_b64 v[11:12], v11 offset:30160
	s_movk_i32 s8, 0x7000
	s_waitcnt lgkmcnt(0)
	v_mul_f64 v[11:12], v[11:12], v[21:22]
	v_mul_f64 v[11:12], v[19:20], v[11:12]
	v_add_u32_e64 v19, s8, 0
	ds_write2_b64 v19, v[11:12], v[11:12] offset0:187 offset1:250
.LBB42_102:
	s_or_b64 exec, exec, s[0:1]
	v_mov_b32_e32 v11, 0
	v_mov_b32_e32 v12, 0
	s_waitcnt lgkmcnt(0)
	s_barrier
	buffer_wbinvl1_vol
	s_and_saveexec_b64 s[0:1], s[2:3]
	s_cbranch_execz .LBB42_106
; %bb.103:
	v_lshlrev_b32_e32 v19, 9, v13
	v_lshlrev_b32_e32 v11, 3, v1
	ds_read_b64 v[11:12], v11 offset:30144
	ds_read_b64 v[19:20], v19 offset:30160
	v_cmp_gt_u32_e64 s[8:9], 2, v15
	s_waitcnt lgkmcnt(0)
	v_fma_f64 v[11:12], v[11:12], v[19:20], 0
	s_and_saveexec_b64 s[10:11], s[8:9]
	s_cbranch_execz .LBB42_105
; %bb.104:
	v_lshlrev_b32_e32 v19, 3, v0
	v_mov_b32_e32 v21, 0
	ds_read_b64 v[19:20], v19 offset:30656
	ds_read_b64 v[21:22], v21 offset:30680
	s_waitcnt lgkmcnt(0)
	v_fma_f64 v[11:12], v[19:20], v[21:22], v[11:12]
.LBB42_105:
	s_or_b64 exec, exec, s[10:11]
.LBB42_106:
	s_or_b64 exec, exec, s[0:1]
	s_and_saveexec_b64 s[0:1], s[28:29]
	s_cbranch_execz .LBB42_108
; %bb.107:
	v_mov_b32_e32 v19, 0
	ds_read_b64 v[19:20], v19 offset:29640
	s_waitcnt lgkmcnt(0)
	v_mul_f64 v[11:12], v[11:12], v[19:20]
	v_xor_b32_e32 v20, 0x80000000, v12
	v_mov_b32_e32 v19, v11
	ds_write_b64 v14, v[19:20]
.LBB42_108:
	s_or_b64 exec, exec, s[0:1]
	s_waitcnt lgkmcnt(0)
	s_barrier
	s_and_saveexec_b64 s[0:1], s[26:27]
	s_cbranch_execz .LBB42_110
; %bb.109:
	v_mov_b32_e32 v19, 0
	ds_read_b64 v[19:20], v19 offset:29632
	ds_read_b64 v[21:22], v14
	s_waitcnt lgkmcnt(0)
	v_fma_f64 v[11:12], -v[19:20], v[21:22], v[11:12]
.LBB42_110:
	s_or_b64 exec, exec, s[0:1]
	s_barrier
	s_and_saveexec_b64 s[0:1], s[26:27]
	s_cbranch_execz .LBB42_112
; %bb.111:
	v_mov_b32_e32 v19, 0
	ds_read_b64 v[19:20], v19 offset:29120
	s_waitcnt lgkmcnt(0)
	v_mul_f64 v[11:12], v[11:12], v[19:20]
	v_xor_b32_e32 v20, 0x80000000, v12
	v_mov_b32_e32 v19, v11
	ds_write_b64 v14, v[19:20]
.LBB42_112:
	s_or_b64 exec, exec, s[0:1]
	s_waitcnt lgkmcnt(0)
	s_barrier
	s_barrier
	s_and_saveexec_b64 s[0:1], s[2:3]
; %bb.113:
	v_lshlrev_b32_e32 v19, 3, v1
	v_lshl_or_b32 v19, v13, 9, v19
	ds_write_b64 v19, v[11:12] offset:30144
; %bb.114:
	s_or_b64 exec, exec, s[0:1]
	s_waitcnt lgkmcnt(0)
	s_barrier
	s_barrier
	s_and_saveexec_b64 s[0:1], s[30:31]
	s_cbranch_execz .LBB42_116
; %bb.115:
	v_lshlrev_b32_e32 v19, 3, v0
	s_movk_i32 s8, 0x1f8
	v_mad_u32_u24 v20, v0, s8, v19
	ds_read_b64 v[11:12], v20 offset:30144
	s_waitcnt lgkmcnt(0)
	ds_write_b64 v19, v[11:12] offset:29136
	ds_read_b64 v[11:12], v20 offset:30152
	s_waitcnt lgkmcnt(0)
	ds_write_b64 v19, v[11:12] offset:29648
.LBB42_116:
	s_or_b64 exec, exec, s[0:1]
	s_waitcnt lgkmcnt(0)
	s_barrier
	s_and_saveexec_b64 s[0:1], vcc
	s_cbranch_execz .LBB42_118
; %bb.117:
	v_mov_b32_e32 v11, 0
	ds_read_b128 v[19:22], v11 offset:29632
	ds_read_b64 v[11:12], v11 offset:29120
	s_movk_i32 s8, 0x7000
	s_waitcnt lgkmcnt(0)
	v_mul_f64 v[11:12], v[11:12], v[21:22]
	v_mul_f64 v[11:12], v[19:20], v[11:12]
	v_add_u32_e64 v19, s8, 0
	ds_write2_b64 v19, v[11:12], v[11:12] offset0:57 offset1:120
.LBB42_118:
	s_or_b64 exec, exec, s[0:1]
	v_lshrrev_b32_e32 v21, 3, v15
	v_mov_b32_e32 v11, 0
	v_and_b32_e32 v19, 7, v0
	v_sub_u32_e32 v20, 7, v21
	v_cmp_lt_u32_e64 s[10:11], 63, v15
	v_mov_b32_e32 v12, 0
	v_cmp_gt_u32_e64 s[8:9], 64, v15
	s_waitcnt lgkmcnt(0)
	s_barrier
	buffer_wbinvl1_vol
	s_and_saveexec_b64 s[0:1], s[8:9]
	s_cbranch_execz .LBB42_128
; %bb.119:
	v_lshlrev_b32_e32 v23, 3, v19
	v_lshlrev_b32_e32 v22, 9, v20
	ds_read_b64 v[11:12], v23 offset:29056
	ds_read_b64 v[24:25], v22 offset:29120
	v_cmp_gt_u32_e64 s[14:15], 56, v15
	s_waitcnt lgkmcnt(0)
	v_fma_f64 v[11:12], v[11:12], v[24:25], 0
	s_and_saveexec_b64 s[16:17], s[14:15]
	s_cbranch_execnz .LBB42_1100
; %bb.120:
	s_or_b64 exec, exec, s[16:17]
	v_cmp_gt_u32_e64 s[14:15], 48, v15
	s_and_saveexec_b64 s[16:17], s[14:15]
	s_cbranch_execnz .LBB42_1101
.LBB42_121:
	s_or_b64 exec, exec, s[16:17]
	v_cmp_gt_u32_e64 s[14:15], 40, v15
	s_and_saveexec_b64 s[16:17], s[14:15]
	s_cbranch_execnz .LBB42_1102
.LBB42_122:
	s_or_b64 exec, exec, s[16:17]
	v_cmp_gt_u32_e64 s[14:15], 32, v15
	s_and_saveexec_b64 s[16:17], s[14:15]
	s_cbranch_execnz .LBB42_1103
.LBB42_123:
	s_or_b64 exec, exec, s[16:17]
	v_cmp_gt_u32_e64 s[14:15], 24, v15
	s_and_saveexec_b64 s[16:17], s[14:15]
	s_cbranch_execnz .LBB42_1104
.LBB42_124:
	s_or_b64 exec, exec, s[16:17]
	s_and_saveexec_b64 s[14:15], s[18:19]
	s_cbranch_execnz .LBB42_1105
.LBB42_125:
	s_or_b64 exec, exec, s[14:15]
	v_cmp_gt_u32_e64 s[14:15], 8, v15
	s_and_saveexec_b64 s[16:17], s[14:15]
	s_cbranch_execz .LBB42_127
.LBB42_126:
	v_lshlrev_b32_e32 v22, 3, v0
	v_mov_b32_e32 v24, 0
	ds_read_b64 v[22:23], v22 offset:32640
	ds_read_b64 v[24:25], v24 offset:32760
	s_waitcnt lgkmcnt(0)
	v_fma_f64 v[11:12], v[22:23], v[24:25], v[11:12]
.LBB42_127:
	s_or_b64 exec, exec, s[16:17]
.LBB42_128:
	v_writelane_b32 v36, s58, 1
	v_writelane_b32 v36, s59, 2
	s_or_b64 exec, exec, s[0:1]
	v_mov_b32_e32 v22, 0x8000
	v_cmp_eq_u32_e64 s[14:15], 7, v19
	s_xor_b64 s[0:1], s[10:11], -1
	v_lshl_add_u32 v21, v21, 3, v22
	s_and_b64 s[58:59], s[14:15], s[0:1]
	s_and_saveexec_b64 s[10:11], s[58:59]
	s_cbranch_execz .LBB42_130
; %bb.129:
	v_mov_b32_e32 v22, 0
	ds_read_b64 v[22:23], v22 offset:28600
	s_waitcnt lgkmcnt(0)
	v_mul_f64 v[11:12], v[11:12], v[22:23]
	v_xor_b32_e32 v23, 0x80000000, v12
	v_mov_b32_e32 v22, v11
	ds_write_b64 v21, v[22:23]
.LBB42_130:
	s_or_b64 exec, exec, s[10:11]
	v_cmp_ne_u32_e64 s[10:11], 7, v19
	s_and_b64 s[60:61], s[10:11], s[0:1]
	s_waitcnt lgkmcnt(0)
	s_barrier
	s_and_saveexec_b64 s[10:11], s[60:61]
	s_cbranch_execz .LBB42_132
; %bb.131:
	v_lshlrev_b32_e32 v22, 3, v19
	ds_read_b64 v[22:23], v22 offset:28544
	ds_read_b64 v[24:25], v21
	s_waitcnt lgkmcnt(0)
	v_fma_f64 v[11:12], -v[22:23], v[24:25], v[11:12]
.LBB42_132:
	s_or_b64 exec, exec, s[10:11]
	v_cmp_eq_u32_e64 s[10:11], 6, v19
	s_and_b64 s[62:63], s[10:11], s[0:1]
	s_barrier
	s_and_saveexec_b64 s[10:11], s[62:63]
	s_cbranch_execz .LBB42_134
; %bb.133:
	v_mov_b32_e32 v22, 0
	ds_read_b64 v[22:23], v22 offset:28080
	s_waitcnt lgkmcnt(0)
	v_mul_f64 v[11:12], v[11:12], v[22:23]
	v_xor_b32_e32 v23, 0x80000000, v12
	v_mov_b32_e32 v22, v11
	ds_write_b64 v21, v[22:23]
.LBB42_134:
	s_or_b64 exec, exec, s[10:11]
	v_cmp_gt_u32_e64 s[10:11], 6, v19
	s_and_b64 s[64:65], s[10:11], s[0:1]
	s_waitcnt lgkmcnt(0)
	s_barrier
	s_and_saveexec_b64 s[10:11], s[64:65]
	s_cbranch_execz .LBB42_136
; %bb.135:
	v_lshlrev_b32_e32 v22, 3, v19
	ds_read_b64 v[22:23], v22 offset:28032
	ds_read_b64 v[24:25], v21
	s_waitcnt lgkmcnt(0)
	v_fma_f64 v[11:12], -v[22:23], v[24:25], v[11:12]
.LBB42_136:
	s_or_b64 exec, exec, s[10:11]
	v_cmp_eq_u32_e64 s[10:11], 5, v19
	s_and_b64 s[66:67], s[10:11], s[0:1]
	s_barrier
	s_and_saveexec_b64 s[10:11], s[66:67]
	s_cbranch_execz .LBB42_138
; %bb.137:
	v_mov_b32_e32 v22, 0
	ds_read_b64 v[22:23], v22 offset:27560
	s_waitcnt lgkmcnt(0)
	v_mul_f64 v[11:12], v[11:12], v[22:23]
	v_xor_b32_e32 v23, 0x80000000, v12
	v_mov_b32_e32 v22, v11
	ds_write_b64 v21, v[22:23]
.LBB42_138:
	s_or_b64 exec, exec, s[10:11]
	v_cmp_gt_u32_e64 s[10:11], 5, v19
	;; [unrolled: 29-line block ×5, first 2 shown]
	s_and_b64 s[82:83], s[10:11], s[0:1]
	s_waitcnt lgkmcnt(0)
	s_barrier
	s_and_saveexec_b64 s[10:11], s[82:83]
	s_cbranch_execz .LBB42_152
; %bb.151:
	v_lshlrev_b32_e32 v22, 3, v19
	ds_read_b64 v[22:23], v22 offset:25984
	ds_read_b64 v[24:25], v21
	s_waitcnt lgkmcnt(0)
	v_fma_f64 v[11:12], -v[22:23], v[24:25], v[11:12]
.LBB42_152:
	s_or_b64 exec, exec, s[10:11]
	v_cmp_eq_u32_e64 s[10:11], 1, v19
	s_and_b64 s[84:85], s[10:11], s[0:1]
	s_barrier
	s_and_saveexec_b64 s[10:11], s[84:85]
	s_cbranch_execz .LBB42_154
; %bb.153:
	v_mov_b32_e32 v22, 0
	ds_read_b64 v[22:23], v22 offset:25480
	s_waitcnt lgkmcnt(0)
	v_mul_f64 v[11:12], v[11:12], v[22:23]
	v_xor_b32_e32 v23, 0x80000000, v12
	v_mov_b32_e32 v22, v11
	ds_write_b64 v21, v[22:23]
.LBB42_154:
	s_or_b64 exec, exec, s[10:11]
	v_cmp_eq_u32_e64 s[10:11], 0, v19
	s_and_b64 s[68:69], s[10:11], s[0:1]
	s_waitcnt lgkmcnt(0)
	s_barrier
	s_and_saveexec_b64 s[0:1], s[68:69]
	s_cbranch_execz .LBB42_156
; %bb.155:
	v_mov_b32_e32 v22, 0
	ds_read_b64 v[22:23], v22 offset:25472
	ds_read_b64 v[24:25], v21
	s_waitcnt lgkmcnt(0)
	v_fma_f64 v[11:12], -v[22:23], v[24:25], v[11:12]
.LBB42_156:
	s_or_b64 exec, exec, s[0:1]
	s_barrier
	s_and_saveexec_b64 s[0:1], s[68:69]
	s_cbranch_execz .LBB42_158
; %bb.157:
	v_mov_b32_e32 v22, 0
	ds_read_b64 v[22:23], v22 offset:24960
	s_waitcnt lgkmcnt(0)
	v_mul_f64 v[11:12], v[11:12], v[22:23]
	v_xor_b32_e32 v23, 0x80000000, v12
	v_mov_b32_e32 v22, v11
	ds_write_b64 v21, v[22:23]
.LBB42_158:
	s_or_b64 exec, exec, s[0:1]
	s_waitcnt lgkmcnt(0)
	s_barrier
	s_barrier
	s_and_saveexec_b64 s[0:1], s[8:9]
; %bb.159:
	v_lshlrev_b32_e32 v22, 3, v19
	v_lshl_or_b32 v22, v20, 9, v22
	ds_write_b64 v22, v[11:12] offset:29056
; %bb.160:
	s_or_b64 exec, exec, s[0:1]
	v_cmp_gt_u32_e64 s[10:11], 8, v0
	s_and_b64 s[86:87], s[12:13], s[10:11]
	s_waitcnt lgkmcnt(0)
	s_barrier
	s_barrier
	s_and_saveexec_b64 s[0:1], s[86:87]
	s_cbranch_execz .LBB42_162
; %bb.161:
	v_lshlrev_b32_e32 v22, 9, v0
	ds_read_b64 v[11:12], v22 offset:29056
	s_movk_i32 s10, 0xfe08
	v_mad_i32_i24 v23, v0, s10, v22
	s_waitcnt lgkmcnt(0)
	ds_write_b64 v23, v[11:12] offset:25024
	ds_read_b64 v[11:12], v22 offset:29064
	s_waitcnt lgkmcnt(0)
	ds_write_b64 v23, v[11:12] offset:25536
	ds_read_b64 v[11:12], v22 offset:29072
	;; [unrolled: 3-line block ×7, first 2 shown]
	s_waitcnt lgkmcnt(0)
	ds_write_b64 v23, v[11:12] offset:28608
.LBB42_162:
	s_or_b64 exec, exec, s[0:1]
	s_waitcnt lgkmcnt(0)
	s_barrier
	s_and_saveexec_b64 s[0:1], vcc
	s_cbranch_execz .LBB42_164
; %bb.163:
	v_mov_b32_e32 v11, 0
	ds_read_b128 v[22:25], v11 offset:28592
	ds_read_b64 v[11:12], v11 offset:28080
	s_movk_i32 s10, 0x6800
	s_waitcnt lgkmcnt(0)
	v_mul_f64 v[11:12], v[11:12], v[24:25]
	v_mul_f64 v[11:12], v[22:23], v[11:12]
	v_add_u32_e64 v22, s10, 0
	ds_write2_b64 v22, v[11:12], v[11:12] offset0:183 offset1:246
.LBB42_164:
	s_or_b64 exec, exec, s[0:1]
	v_mov_b32_e32 v11, 0
	v_mov_b32_e32 v12, 0
	s_waitcnt lgkmcnt(0)
	s_barrier
	buffer_wbinvl1_vol
	s_and_saveexec_b64 s[0:1], s[2:3]
	s_cbranch_execz .LBB42_168
; %bb.165:
	v_lshlrev_b32_e32 v22, 9, v13
	v_lshlrev_b32_e32 v11, 3, v1
	ds_read_b64 v[11:12], v11 offset:28064
	ds_read_b64 v[22:23], v22 offset:28080
	v_cmp_gt_u32_e64 s[10:11], 2, v15
	s_waitcnt lgkmcnt(0)
	v_fma_f64 v[11:12], v[11:12], v[22:23], 0
	s_and_saveexec_b64 s[14:15], s[10:11]
	s_cbranch_execz .LBB42_167
; %bb.166:
	v_lshlrev_b32_e32 v22, 3, v0
	v_mov_b32_e32 v24, 0
	ds_read_b64 v[22:23], v22 offset:28576
	ds_read_b64 v[24:25], v24 offset:28600
	s_waitcnt lgkmcnt(0)
	v_fma_f64 v[11:12], v[22:23], v[24:25], v[11:12]
.LBB42_167:
	s_or_b64 exec, exec, s[14:15]
.LBB42_168:
	s_or_b64 exec, exec, s[0:1]
	s_and_saveexec_b64 s[0:1], s[28:29]
	s_cbranch_execz .LBB42_170
; %bb.169:
	v_mov_b32_e32 v22, 0
	ds_read_b64 v[22:23], v22 offset:27560
	s_waitcnt lgkmcnt(0)
	v_mul_f64 v[11:12], v[11:12], v[22:23]
	v_xor_b32_e32 v23, 0x80000000, v12
	v_mov_b32_e32 v22, v11
	ds_write_b64 v14, v[22:23]
.LBB42_170:
	s_or_b64 exec, exec, s[0:1]
	s_waitcnt lgkmcnt(0)
	s_barrier
	s_and_saveexec_b64 s[0:1], s[26:27]
	s_cbranch_execz .LBB42_172
; %bb.171:
	v_mov_b32_e32 v22, 0
	ds_read_b64 v[22:23], v22 offset:27552
	ds_read_b64 v[24:25], v14
	s_waitcnt lgkmcnt(0)
	v_fma_f64 v[11:12], -v[22:23], v[24:25], v[11:12]
.LBB42_172:
	s_or_b64 exec, exec, s[0:1]
	s_barrier
	s_and_saveexec_b64 s[0:1], s[26:27]
	s_cbranch_execz .LBB42_174
; %bb.173:
	v_mov_b32_e32 v22, 0
	ds_read_b64 v[22:23], v22 offset:27040
	s_waitcnt lgkmcnt(0)
	v_mul_f64 v[11:12], v[11:12], v[22:23]
	v_xor_b32_e32 v23, 0x80000000, v12
	v_mov_b32_e32 v22, v11
	ds_write_b64 v14, v[22:23]
.LBB42_174:
	s_or_b64 exec, exec, s[0:1]
	s_waitcnt lgkmcnt(0)
	s_barrier
	s_barrier
	s_and_saveexec_b64 s[0:1], s[2:3]
; %bb.175:
	v_lshlrev_b32_e32 v22, 3, v1
	v_lshl_or_b32 v22, v13, 9, v22
	ds_write_b64 v22, v[11:12] offset:28064
; %bb.176:
	s_or_b64 exec, exec, s[0:1]
	s_waitcnt lgkmcnt(0)
	s_barrier
	s_barrier
	s_and_saveexec_b64 s[0:1], s[30:31]
	s_cbranch_execz .LBB42_178
; %bb.177:
	v_lshlrev_b32_e32 v22, 3, v0
	s_movk_i32 s10, 0x1f8
	v_mad_u32_u24 v23, v0, s10, v22
	ds_read_b64 v[11:12], v23 offset:28064
	s_waitcnt lgkmcnt(0)
	ds_write_b64 v22, v[11:12] offset:27056
	ds_read_b64 v[11:12], v23 offset:28072
	s_waitcnt lgkmcnt(0)
	ds_write_b64 v22, v[11:12] offset:27568
.LBB42_178:
	s_or_b64 exec, exec, s[0:1]
	s_waitcnt lgkmcnt(0)
	s_barrier
	s_and_saveexec_b64 s[0:1], vcc
	s_cbranch_execz .LBB42_180
; %bb.179:
	v_mov_b32_e32 v11, 0
	ds_read_b128 v[22:25], v11 offset:27552
	ds_read_b64 v[11:12], v11 offset:27040
	s_movk_i32 s10, 0x6800
	s_waitcnt lgkmcnt(0)
	v_mul_f64 v[11:12], v[11:12], v[24:25]
	v_mul_f64 v[11:12], v[22:23], v[11:12]
	v_add_u32_e64 v22, s10, 0
	ds_write2_b64 v22, v[11:12], v[11:12] offset0:53 offset1:116
.LBB42_180:
	s_or_b64 exec, exec, s[0:1]
	v_mov_b32_e32 v11, 0
	v_mov_b32_e32 v12, 0
	s_waitcnt lgkmcnt(0)
	s_barrier
	buffer_wbinvl1_vol
	s_and_saveexec_b64 s[0:1], s[18:19]
	s_cbranch_execz .LBB42_186
; %bb.181:
	v_lshlrev_b32_e32 v23, 3, v16
	v_lshlrev_b32_e32 v22, 9, v17
	ds_read_b64 v[11:12], v23 offset:27008
	ds_read_b64 v[24:25], v22 offset:27040
	v_cmp_gt_u32_e64 s[10:11], 12, v15
	s_waitcnt lgkmcnt(0)
	v_fma_f64 v[11:12], v[11:12], v[24:25], 0
	s_and_saveexec_b64 s[14:15], s[10:11]
	s_cbranch_execnz .LBB42_1106
; %bb.182:
	s_or_b64 exec, exec, s[14:15]
	v_cmp_gt_u32_e64 s[10:11], 8, v15
	s_and_saveexec_b64 s[14:15], s[10:11]
	s_cbranch_execnz .LBB42_1107
.LBB42_183:
	s_or_b64 exec, exec, s[14:15]
	v_cmp_gt_u32_e64 s[10:11], 4, v15
	s_and_saveexec_b64 s[14:15], s[10:11]
	s_cbranch_execz .LBB42_185
.LBB42_184:
	v_lshlrev_b32_e32 v22, 3, v0
	v_mov_b32_e32 v24, 0
	ds_read_b64 v[22:23], v22 offset:28544
	ds_read_b64 v[24:25], v24 offset:28600
	s_waitcnt lgkmcnt(0)
	v_fma_f64 v[11:12], v[22:23], v[24:25], v[11:12]
.LBB42_185:
	s_or_b64 exec, exec, s[14:15]
.LBB42_186:
	s_or_b64 exec, exec, s[0:1]
	s_and_saveexec_b64 s[0:1], s[36:37]
	s_cbranch_execz .LBB42_188
; %bb.187:
	v_mov_b32_e32 v22, 0
	ds_read_b64 v[22:23], v22 offset:26520
	s_waitcnt lgkmcnt(0)
	v_mul_f64 v[11:12], v[11:12], v[22:23]
	v_xor_b32_e32 v23, 0x80000000, v12
	v_mov_b32_e32 v22, v11
	ds_write_b64 v18, v[22:23]
.LBB42_188:
	s_or_b64 exec, exec, s[0:1]
	s_waitcnt lgkmcnt(0)
	s_barrier
	s_and_saveexec_b64 s[0:1], s[38:39]
	s_cbranch_execz .LBB42_190
; %bb.189:
	v_lshlrev_b32_e32 v22, 3, v16
	ds_read_b64 v[22:23], v22 offset:26496
	ds_read_b64 v[24:25], v18
	s_waitcnt lgkmcnt(0)
	v_fma_f64 v[11:12], -v[22:23], v[24:25], v[11:12]
.LBB42_190:
	s_or_b64 exec, exec, s[0:1]
	s_barrier
	s_and_saveexec_b64 s[0:1], s[42:43]
	s_cbranch_execz .LBB42_192
; %bb.191:
	v_mov_b32_e32 v22, 0
	ds_read_b64 v[22:23], v22 offset:26000
	s_waitcnt lgkmcnt(0)
	v_mul_f64 v[11:12], v[11:12], v[22:23]
	v_xor_b32_e32 v23, 0x80000000, v12
	v_mov_b32_e32 v22, v11
	ds_write_b64 v18, v[22:23]
.LBB42_192:
	s_or_b64 exec, exec, s[0:1]
	s_waitcnt lgkmcnt(0)
	s_barrier
	s_and_saveexec_b64 s[0:1], s[52:53]
	s_cbranch_execz .LBB42_194
; %bb.193:
	v_lshlrev_b32_e32 v22, 3, v16
	ds_read_b64 v[22:23], v22 offset:25984
	ds_read_b64 v[24:25], v18
	s_waitcnt lgkmcnt(0)
	v_fma_f64 v[11:12], -v[22:23], v[24:25], v[11:12]
.LBB42_194:
	s_or_b64 exec, exec, s[0:1]
	s_barrier
	s_and_saveexec_b64 s[0:1], s[54:55]
	s_cbranch_execz .LBB42_196
; %bb.195:
	v_mov_b32_e32 v22, 0
	ds_read_b64 v[22:23], v22 offset:25480
	s_waitcnt lgkmcnt(0)
	v_mul_f64 v[11:12], v[11:12], v[22:23]
	v_xor_b32_e32 v23, 0x80000000, v12
	v_mov_b32_e32 v22, v11
	ds_write_b64 v18, v[22:23]
.LBB42_196:
	s_or_b64 exec, exec, s[0:1]
	s_waitcnt lgkmcnt(0)
	s_barrier
	s_and_saveexec_b64 s[0:1], s[34:35]
	s_cbranch_execz .LBB42_198
; %bb.197:
	v_mov_b32_e32 v22, 0
	ds_read_b64 v[22:23], v22 offset:25472
	ds_read_b64 v[24:25], v18
	s_waitcnt lgkmcnt(0)
	v_fma_f64 v[11:12], -v[22:23], v[24:25], v[11:12]
.LBB42_198:
	s_or_b64 exec, exec, s[0:1]
	s_barrier
	s_and_saveexec_b64 s[0:1], s[34:35]
	s_cbranch_execz .LBB42_200
; %bb.199:
	v_mov_b32_e32 v22, 0
	ds_read_b64 v[22:23], v22 offset:24960
	s_waitcnt lgkmcnt(0)
	v_mul_f64 v[11:12], v[11:12], v[22:23]
	v_xor_b32_e32 v23, 0x80000000, v12
	v_mov_b32_e32 v22, v11
	ds_write_b64 v18, v[22:23]
.LBB42_200:
	s_or_b64 exec, exec, s[0:1]
	s_waitcnt lgkmcnt(0)
	s_barrier
	s_barrier
	s_and_saveexec_b64 s[0:1], s[18:19]
; %bb.201:
	v_lshlrev_b32_e32 v22, 3, v16
	v_lshl_or_b32 v22, v17, 9, v22
	ds_write_b64 v22, v[11:12] offset:27008
; %bb.202:
	s_or_b64 exec, exec, s[0:1]
	s_waitcnt lgkmcnt(0)
	s_barrier
	s_barrier
	s_and_saveexec_b64 s[0:1], s[56:57]
	s_cbranch_execz .LBB42_204
; %bb.203:
	v_lshlrev_b32_e32 v22, 9, v0
	ds_read_b64 v[11:12], v22 offset:27008
	s_movk_i32 s10, 0xfe08
	v_mad_i32_i24 v23, v0, s10, v22
	s_waitcnt lgkmcnt(0)
	ds_write_b64 v23, v[11:12] offset:24992
	ds_read_b64 v[11:12], v22 offset:27016
	s_waitcnt lgkmcnt(0)
	ds_write_b64 v23, v[11:12] offset:25504
	ds_read_b64 v[11:12], v22 offset:27024
	;; [unrolled: 3-line block ×3, first 2 shown]
	s_waitcnt lgkmcnt(0)
	ds_write_b64 v23, v[11:12] offset:26528
.LBB42_204:
	s_or_b64 exec, exec, s[0:1]
	s_waitcnt lgkmcnt(0)
	s_barrier
	s_and_saveexec_b64 s[0:1], vcc
	s_cbranch_execz .LBB42_206
; %bb.205:
	v_mov_b32_e32 v11, 0
	ds_read_b128 v[22:25], v11 offset:26512
	ds_read_b64 v[11:12], v11 offset:26000
	s_movk_i32 s10, 0x6000
	s_waitcnt lgkmcnt(0)
	v_mul_f64 v[11:12], v[11:12], v[24:25]
	v_mul_f64 v[11:12], v[22:23], v[11:12]
	v_add_u32_e64 v22, s10, 0
	ds_write2_b64 v22, v[11:12], v[11:12] offset0:179 offset1:242
.LBB42_206:
	s_or_b64 exec, exec, s[0:1]
	v_mov_b32_e32 v11, 0
	v_mov_b32_e32 v12, 0
	s_waitcnt lgkmcnt(0)
	s_barrier
	buffer_wbinvl1_vol
	s_and_saveexec_b64 s[0:1], s[2:3]
	s_cbranch_execz .LBB42_210
; %bb.207:
	v_lshlrev_b32_e32 v22, 9, v13
	v_lshlrev_b32_e32 v11, 3, v1
	ds_read_b64 v[11:12], v11 offset:25984
	ds_read_b64 v[22:23], v22 offset:26000
	v_cmp_gt_u32_e64 s[10:11], 2, v15
	s_waitcnt lgkmcnt(0)
	v_fma_f64 v[11:12], v[11:12], v[22:23], 0
	s_and_saveexec_b64 s[14:15], s[10:11]
	s_cbranch_execz .LBB42_209
; %bb.208:
	v_lshlrev_b32_e32 v22, 3, v0
	v_mov_b32_e32 v24, 0
	ds_read_b64 v[22:23], v22 offset:26496
	ds_read_b64 v[24:25], v24 offset:26520
	s_waitcnt lgkmcnt(0)
	v_fma_f64 v[11:12], v[22:23], v[24:25], v[11:12]
.LBB42_209:
	s_or_b64 exec, exec, s[14:15]
.LBB42_210:
	s_or_b64 exec, exec, s[0:1]
	s_and_saveexec_b64 s[0:1], s[28:29]
	s_cbranch_execz .LBB42_212
; %bb.211:
	v_mov_b32_e32 v22, 0
	ds_read_b64 v[22:23], v22 offset:25480
	s_waitcnt lgkmcnt(0)
	v_mul_f64 v[11:12], v[11:12], v[22:23]
	v_xor_b32_e32 v23, 0x80000000, v12
	v_mov_b32_e32 v22, v11
	ds_write_b64 v14, v[22:23]
.LBB42_212:
	s_or_b64 exec, exec, s[0:1]
	s_waitcnt lgkmcnt(0)
	s_barrier
	s_and_saveexec_b64 s[0:1], s[26:27]
	s_cbranch_execz .LBB42_214
; %bb.213:
	v_mov_b32_e32 v22, 0
	ds_read_b64 v[22:23], v22 offset:25472
	ds_read_b64 v[24:25], v14
	s_waitcnt lgkmcnt(0)
	v_fma_f64 v[11:12], -v[22:23], v[24:25], v[11:12]
.LBB42_214:
	s_or_b64 exec, exec, s[0:1]
	s_barrier
	s_and_saveexec_b64 s[0:1], s[26:27]
	s_cbranch_execz .LBB42_216
; %bb.215:
	v_mov_b32_e32 v22, 0
	ds_read_b64 v[22:23], v22 offset:24960
	s_waitcnt lgkmcnt(0)
	v_mul_f64 v[11:12], v[11:12], v[22:23]
	v_xor_b32_e32 v23, 0x80000000, v12
	v_mov_b32_e32 v22, v11
	ds_write_b64 v14, v[22:23]
.LBB42_216:
	s_or_b64 exec, exec, s[0:1]
	s_waitcnt lgkmcnt(0)
	s_barrier
	s_barrier
	s_and_saveexec_b64 s[0:1], s[2:3]
; %bb.217:
	v_lshlrev_b32_e32 v22, 3, v1
	v_lshl_or_b32 v22, v13, 9, v22
	ds_write_b64 v22, v[11:12] offset:25984
; %bb.218:
	s_or_b64 exec, exec, s[0:1]
	s_waitcnt lgkmcnt(0)
	s_barrier
	s_barrier
	s_and_saveexec_b64 s[0:1], s[30:31]
	s_cbranch_execz .LBB42_220
; %bb.219:
	v_lshlrev_b32_e32 v22, 3, v0
	s_movk_i32 s10, 0x1f8
	v_mad_u32_u24 v23, v0, s10, v22
	ds_read_b64 v[11:12], v23 offset:25984
	s_waitcnt lgkmcnt(0)
	ds_write_b64 v22, v[11:12] offset:24976
	ds_read_b64 v[11:12], v23 offset:25992
	s_waitcnt lgkmcnt(0)
	ds_write_b64 v22, v[11:12] offset:25488
.LBB42_220:
	s_or_b64 exec, exec, s[0:1]
	s_waitcnt lgkmcnt(0)
	s_barrier
	s_and_saveexec_b64 s[0:1], vcc
	s_cbranch_execz .LBB42_222
; %bb.221:
	v_mov_b32_e32 v11, 0
	ds_read_b128 v[22:25], v11 offset:25472
	ds_read_b64 v[11:12], v11 offset:24960
	s_movk_i32 s10, 0x6000
	s_waitcnt lgkmcnt(0)
	v_mul_f64 v[11:12], v[11:12], v[24:25]
	v_mul_f64 v[11:12], v[22:23], v[11:12]
	v_add_u32_e64 v22, s10, 0
	ds_write2_b64 v22, v[11:12], v[11:12] offset0:49 offset1:112
.LBB42_222:
	s_or_b64 exec, exec, s[0:1]
	s_movk_i32 s0, 0xff
	v_lshrrev_b32_e32 v24, 4, v15
	v_cmp_lt_u32_e64 s[14:15], s0, v15
	s_movk_i32 s0, 0x100
	v_mov_b32_e32 v11, 0
	v_and_b32_e32 v22, 15, v0
	v_sub_u32_e32 v23, 15, v24
	v_mov_b32_e32 v12, 0
	v_cmp_gt_u32_e64 s[10:11], s0, v15
	s_waitcnt lgkmcnt(0)
	s_barrier
	buffer_wbinvl1_vol
	s_and_saveexec_b64 s[0:1], s[10:11]
	s_cbranch_execz .LBB42_250
; %bb.223:
	v_lshlrev_b32_e32 v26, 3, v22
	v_lshlrev_b32_e32 v25, 9, v23
	ds_read_b64 v[11:12], v26 offset:24832
	ds_read_b64 v[27:28], v25 offset:24960
	s_movk_i32 s16, 0xf0
	v_cmp_gt_u32_e64 s[16:17], s16, v15
	s_waitcnt lgkmcnt(0)
	v_fma_f64 v[11:12], v[11:12], v[27:28], 0
	s_and_saveexec_b64 s[20:21], s[16:17]
	s_cbranch_execz .LBB42_225
; %bb.224:
	ds_read_b64 v[27:28], v26 offset:25344
	ds_read_b64 v[29:30], v25 offset:24968
	s_waitcnt lgkmcnt(0)
	v_fma_f64 v[11:12], v[27:28], v[29:30], v[11:12]
.LBB42_225:
	s_or_b64 exec, exec, s[20:21]
	s_movk_i32 s16, 0xe0
	v_cmp_gt_u32_e64 s[16:17], s16, v15
	s_and_saveexec_b64 s[20:21], s[16:17]
	s_cbranch_execz .LBB42_227
; %bb.226:
	ds_read_b64 v[27:28], v26 offset:25856
	ds_read_b64 v[29:30], v25 offset:24976
	s_waitcnt lgkmcnt(0)
	v_fma_f64 v[11:12], v[27:28], v[29:30], v[11:12]
.LBB42_227:
	s_or_b64 exec, exec, s[20:21]
	s_movk_i32 s16, 0xd0
	v_cmp_gt_u32_e64 s[16:17], s16, v15
	;; [unrolled: 11-line block ×10, first 2 shown]
	s_and_saveexec_b64 s[20:21], s[16:17]
	s_cbranch_execnz .LBB42_1108
; %bb.244:
	s_or_b64 exec, exec, s[20:21]
	s_and_saveexec_b64 s[16:17], s[8:9]
	s_cbranch_execnz .LBB42_1109
.LBB42_245:
	s_or_b64 exec, exec, s[16:17]
	v_cmp_gt_u32_e64 s[16:17], 48, v15
	s_and_saveexec_b64 s[20:21], s[16:17]
	s_cbranch_execnz .LBB42_1110
.LBB42_246:
	s_or_b64 exec, exec, s[20:21]
	v_cmp_gt_u32_e64 s[16:17], 32, v15
	s_and_saveexec_b64 s[20:21], s[16:17]
	s_cbranch_execnz .LBB42_1111
.LBB42_247:
	s_or_b64 exec, exec, s[20:21]
	v_cmp_gt_u32_e64 s[16:17], 16, v15
	s_and_saveexec_b64 s[20:21], s[16:17]
	s_cbranch_execz .LBB42_249
.LBB42_248:
	v_lshlrev_b32_e32 v25, 3, v0
	v_mov_b32_e32 v27, 0
	ds_read_b64 v[25:26], v25 offset:32512
	ds_read_b64 v[27:28], v27 offset:32760
	s_waitcnt lgkmcnt(0)
	v_fma_f64 v[11:12], v[25:26], v[27:28], v[11:12]
.LBB42_249:
	s_or_b64 exec, exec, s[20:21]
.LBB42_250:
	s_or_b64 exec, exec, s[0:1]
	v_mov_b32_e32 v25, 0x8000
	v_lshl_add_u32 v24, v24, 3, v25
	v_cmp_eq_u32_e64 s[16:17], 15, v22
	s_xor_b64 s[20:21], s[14:15], -1
	s_and_b64 s[14:15], s[16:17], s[20:21]
	s_mov_b64 s[0:1], exec
	v_writelane_b32 v36, s14, 3
	v_writelane_b32 v36, s15, 4
	s_and_b64 s[14:15], s[0:1], s[14:15]
	s_mov_b64 exec, s[14:15]
	s_cbranch_execz .LBB42_252
; %bb.251:
	v_mov_b32_e32 v25, 0
	ds_read_b64 v[25:26], v25 offset:24440
	s_waitcnt lgkmcnt(0)
	v_mul_f64 v[11:12], v[11:12], v[25:26]
	v_xor_b32_e32 v26, 0x80000000, v12
	v_mov_b32_e32 v25, v11
	ds_write_b64 v24, v[25:26]
.LBB42_252:
	s_or_b64 exec, exec, s[0:1]
	v_cmp_ne_u32_e64 s[14:15], 15, v22
	s_waitcnt lgkmcnt(0)
	s_barrier
	s_and_b64 s[14:15], s[14:15], s[20:21]
	s_mov_b64 s[0:1], exec
	v_writelane_b32 v36, s14, 5
	v_writelane_b32 v36, s15, 6
	s_and_b64 s[14:15], s[0:1], s[14:15]
	s_mov_b64 exec, s[14:15]
	s_cbranch_execz .LBB42_254
; %bb.253:
	v_lshlrev_b32_e32 v25, 3, v22
	ds_read_b64 v[25:26], v25 offset:24320
	ds_read_b64 v[27:28], v24
	s_waitcnt lgkmcnt(0)
	v_fma_f64 v[11:12], -v[25:26], v[27:28], v[11:12]
.LBB42_254:
	s_or_b64 exec, exec, s[0:1]
	v_cmp_eq_u32_e64 s[14:15], 14, v22
	s_barrier
	s_and_b64 s[14:15], s[14:15], s[20:21]
	s_mov_b64 s[0:1], exec
	v_writelane_b32 v36, s14, 7
	v_writelane_b32 v36, s15, 8
	s_and_b64 s[14:15], s[0:1], s[14:15]
	s_mov_b64 exec, s[14:15]
	s_cbranch_execz .LBB42_256
; %bb.255:
	v_mov_b32_e32 v25, 0
	ds_read_b64 v[25:26], v25 offset:23920
	s_waitcnt lgkmcnt(0)
	v_mul_f64 v[11:12], v[11:12], v[25:26]
	v_xor_b32_e32 v26, 0x80000000, v12
	v_mov_b32_e32 v25, v11
	ds_write_b64 v24, v[25:26]
.LBB42_256:
	s_or_b64 exec, exec, s[0:1]
	v_cmp_gt_u32_e64 s[14:15], 14, v22
	s_waitcnt lgkmcnt(0)
	s_barrier
	s_and_b64 s[14:15], s[14:15], s[20:21]
	s_mov_b64 s[0:1], exec
	v_writelane_b32 v36, s14, 9
	v_writelane_b32 v36, s15, 10
	s_and_b64 s[14:15], s[0:1], s[14:15]
	s_mov_b64 exec, s[14:15]
	s_cbranch_execz .LBB42_258
; %bb.257:
	v_lshlrev_b32_e32 v25, 3, v22
	ds_read_b64 v[25:26], v25 offset:23808
	ds_read_b64 v[27:28], v24
	s_waitcnt lgkmcnt(0)
	v_fma_f64 v[11:12], -v[25:26], v[27:28], v[11:12]
.LBB42_258:
	s_or_b64 exec, exec, s[0:1]
	v_cmp_eq_u32_e64 s[14:15], 13, v22
	s_barrier
	s_and_b64 s[14:15], s[14:15], s[20:21]
	s_mov_b64 s[0:1], exec
	v_writelane_b32 v36, s14, 11
	v_writelane_b32 v36, s15, 12
	s_and_b64 s[14:15], s[0:1], s[14:15]
	s_mov_b64 exec, s[14:15]
	s_cbranch_execz .LBB42_260
; %bb.259:
	v_mov_b32_e32 v25, 0
	ds_read_b64 v[25:26], v25 offset:23400
	s_waitcnt lgkmcnt(0)
	v_mul_f64 v[11:12], v[11:12], v[25:26]
	v_xor_b32_e32 v26, 0x80000000, v12
	v_mov_b32_e32 v25, v11
	ds_write_b64 v24, v[25:26]
.LBB42_260:
	s_or_b64 exec, exec, s[0:1]
	v_cmp_gt_u32_e64 s[14:15], 13, v22
	;; [unrolled: 37-line block ×13, first 2 shown]
	s_waitcnt lgkmcnt(0)
	s_barrier
	s_and_b64 s[14:15], s[14:15], s[20:21]
	s_mov_b64 s[0:1], exec
	v_writelane_b32 v36, s14, 57
	v_writelane_b32 v36, s15, 58
	s_and_b64 s[14:15], s[0:1], s[14:15]
	s_mov_b64 exec, s[14:15]
	s_cbranch_execz .LBB42_306
; %bb.305:
	v_lshlrev_b32_e32 v25, 3, v22
	ds_read_b64 v[25:26], v25 offset:17664
	ds_read_b64 v[27:28], v24
	s_waitcnt lgkmcnt(0)
	v_fma_f64 v[11:12], -v[25:26], v[27:28], v[11:12]
.LBB42_306:
	s_or_b64 exec, exec, s[0:1]
	v_cmp_eq_u32_e64 s[14:15], 1, v22
	s_barrier
	s_and_b64 s[0:1], s[14:15], s[20:21]
	s_mov_b64 s[14:15], exec
	v_writelane_b32 v36, s0, 59
	v_writelane_b32 v36, s1, 60
	s_and_b64 s[0:1], s[14:15], s[0:1]
	s_mov_b64 exec, s[0:1]
	s_cbranch_execz .LBB42_308
; %bb.307:
	v_mov_b32_e32 v25, 0
	ds_read_b64 v[25:26], v25 offset:17160
	s_waitcnt lgkmcnt(0)
	v_mul_f64 v[11:12], v[11:12], v[25:26]
	v_xor_b32_e32 v26, 0x80000000, v12
	v_mov_b32_e32 v25, v11
	ds_write_b64 v24, v[25:26]
.LBB42_308:
	s_or_b64 exec, exec, s[14:15]
	v_cmp_eq_u32_e64 s[14:15], 0, v22
	s_and_b64 s[90:91], s[14:15], s[20:21]
	s_waitcnt lgkmcnt(0)
	s_barrier
	s_and_saveexec_b64 s[0:1], s[90:91]
	s_cbranch_execz .LBB42_310
; %bb.309:
	v_mov_b32_e32 v25, 0
	ds_read_b64 v[25:26], v25 offset:17152
	ds_read_b64 v[27:28], v24
	s_waitcnt lgkmcnt(0)
	v_fma_f64 v[11:12], -v[25:26], v[27:28], v[11:12]
.LBB42_310:
	s_or_b64 exec, exec, s[0:1]
	s_barrier
	s_and_saveexec_b64 s[14:15], s[90:91]
	s_cbranch_execz .LBB42_312
; %bb.311:
	v_mov_b32_e32 v25, 0
	ds_read_b64 v[25:26], v25 offset:16640
	s_waitcnt lgkmcnt(0)
	v_mul_f64 v[11:12], v[11:12], v[25:26]
	v_xor_b32_e32 v26, 0x80000000, v12
	v_mov_b32_e32 v25, v11
	ds_write_b64 v24, v[25:26]
.LBB42_312:
	s_or_b64 exec, exec, s[14:15]
	s_waitcnt lgkmcnt(0)
	s_barrier
	s_barrier
	s_and_saveexec_b64 s[0:1], s[10:11]
; %bb.313:
	v_lshlrev_b32_e32 v25, 3, v22
	v_lshl_or_b32 v25, v23, 9, v25
	ds_write_b64 v25, v[11:12] offset:24832
; %bb.314:
	s_or_b64 exec, exec, s[0:1]
	v_cmp_gt_u32_e64 s[14:15], 16, v0
	s_waitcnt lgkmcnt(0)
	s_barrier
	s_barrier
	s_and_b64 s[0:1], s[12:13], s[14:15]
	s_mov_b64 s[14:15], exec
	v_writelane_b32 v36, s0, 61
	v_writelane_b32 v36, s1, 62
	s_and_b64 s[0:1], s[14:15], s[0:1]
	s_mov_b64 exec, s[0:1]
	s_cbranch_execz .LBB42_316
; %bb.315:
	v_lshlrev_b32_e32 v25, 9, v0
	ds_read_b64 v[11:12], v25 offset:24832
	s_movk_i32 s0, 0xfe08
	v_mad_i32_i24 v26, v0, s0, v25
	s_waitcnt lgkmcnt(0)
	ds_write_b64 v26, v[11:12] offset:16768
	ds_read_b64 v[11:12], v25 offset:24840
	s_waitcnt lgkmcnt(0)
	ds_write_b64 v26, v[11:12] offset:17280
	ds_read_b64 v[11:12], v25 offset:24848
	;; [unrolled: 3-line block ×15, first 2 shown]
	s_waitcnt lgkmcnt(0)
	ds_write_b64 v26, v[11:12] offset:24448
.LBB42_316:
	s_or_b64 exec, exec, s[14:15]
	s_waitcnt lgkmcnt(0)
	s_barrier
	s_and_saveexec_b64 s[14:15], vcc
	s_cbranch_execz .LBB42_318
; %bb.317:
	v_mov_b32_e32 v11, 0
	ds_read_b128 v[25:28], v11 offset:24432
	ds_read_b64 v[11:12], v11 offset:23920
	s_movk_i32 s0, 0x5800
	s_waitcnt lgkmcnt(0)
	v_mul_f64 v[11:12], v[11:12], v[27:28]
	v_mul_f64 v[11:12], v[25:26], v[11:12]
	v_add_u32_e64 v25, s0, 0
	ds_write2_b64 v25, v[11:12], v[11:12] offset0:175 offset1:238
.LBB42_318:
	s_or_b64 exec, exec, s[14:15]
	v_mov_b32_e32 v11, 0
	v_mov_b32_e32 v12, 0
	s_waitcnt lgkmcnt(0)
	s_barrier
	buffer_wbinvl1_vol
	s_and_saveexec_b64 s[16:17], s[2:3]
	s_cbranch_execz .LBB42_322
; %bb.319:
	v_lshlrev_b32_e32 v25, 9, v13
	v_lshlrev_b32_e32 v11, 3, v1
	ds_read_b64 v[11:12], v11 offset:23904
	ds_read_b64 v[25:26], v25 offset:23920
	v_cmp_gt_u32_e64 s[14:15], 2, v15
	s_waitcnt lgkmcnt(0)
	v_fma_f64 v[11:12], v[11:12], v[25:26], 0
	s_and_saveexec_b64 s[20:21], s[14:15]
	s_cbranch_execz .LBB42_321
; %bb.320:
	v_lshlrev_b32_e32 v25, 3, v0
	v_mov_b32_e32 v27, 0
	ds_read_b64 v[25:26], v25 offset:24416
	ds_read_b64 v[27:28], v27 offset:24440
	s_waitcnt lgkmcnt(0)
	v_fma_f64 v[11:12], v[25:26], v[27:28], v[11:12]
.LBB42_321:
	s_or_b64 exec, exec, s[20:21]
.LBB42_322:
	s_or_b64 exec, exec, s[16:17]
	s_and_saveexec_b64 s[14:15], s[28:29]
	s_cbranch_execz .LBB42_324
; %bb.323:
	v_mov_b32_e32 v25, 0
	ds_read_b64 v[25:26], v25 offset:23400
	s_waitcnt lgkmcnt(0)
	v_mul_f64 v[11:12], v[11:12], v[25:26]
	v_xor_b32_e32 v26, 0x80000000, v12
	v_mov_b32_e32 v25, v11
	ds_write_b64 v14, v[25:26]
.LBB42_324:
	s_or_b64 exec, exec, s[14:15]
	s_waitcnt lgkmcnt(0)
	s_barrier
	s_and_saveexec_b64 s[0:1], s[26:27]
	s_cbranch_execz .LBB42_326
; %bb.325:
	v_mov_b32_e32 v25, 0
	ds_read_b64 v[25:26], v25 offset:23392
	ds_read_b64 v[27:28], v14
	s_waitcnt lgkmcnt(0)
	v_fma_f64 v[11:12], -v[25:26], v[27:28], v[11:12]
.LBB42_326:
	s_or_b64 exec, exec, s[0:1]
	s_barrier
	s_and_saveexec_b64 s[14:15], s[26:27]
	s_cbranch_execz .LBB42_328
; %bb.327:
	v_mov_b32_e32 v25, 0
	ds_read_b64 v[25:26], v25 offset:22880
	s_waitcnt lgkmcnt(0)
	v_mul_f64 v[11:12], v[11:12], v[25:26]
	v_xor_b32_e32 v26, 0x80000000, v12
	v_mov_b32_e32 v25, v11
	ds_write_b64 v14, v[25:26]
.LBB42_328:
	s_or_b64 exec, exec, s[14:15]
	s_waitcnt lgkmcnt(0)
	s_barrier
	s_barrier
	s_and_saveexec_b64 s[0:1], s[2:3]
; %bb.329:
	v_lshlrev_b32_e32 v25, 3, v1
	v_lshl_or_b32 v25, v13, 9, v25
	ds_write_b64 v25, v[11:12] offset:23904
; %bb.330:
	s_or_b64 exec, exec, s[0:1]
	s_waitcnt lgkmcnt(0)
	s_barrier
	s_barrier
	s_and_saveexec_b64 s[14:15], s[30:31]
	s_cbranch_execz .LBB42_332
; %bb.331:
	v_lshlrev_b32_e32 v25, 3, v0
	s_movk_i32 s0, 0x1f8
	v_mad_u32_u24 v26, v0, s0, v25
	ds_read_b64 v[11:12], v26 offset:23904
	s_waitcnt lgkmcnt(0)
	ds_write_b64 v25, v[11:12] offset:22896
	ds_read_b64 v[11:12], v26 offset:23912
	s_waitcnt lgkmcnt(0)
	ds_write_b64 v25, v[11:12] offset:23408
.LBB42_332:
	s_or_b64 exec, exec, s[14:15]
	s_waitcnt lgkmcnt(0)
	s_barrier
	s_and_saveexec_b64 s[14:15], vcc
	s_cbranch_execz .LBB42_334
; %bb.333:
	v_mov_b32_e32 v11, 0
	ds_read_b128 v[25:28], v11 offset:23392
	ds_read_b64 v[11:12], v11 offset:22880
	s_movk_i32 s0, 0x5800
	s_waitcnt lgkmcnt(0)
	v_mul_f64 v[11:12], v[11:12], v[27:28]
	v_mul_f64 v[11:12], v[25:26], v[11:12]
	v_add_u32_e64 v25, s0, 0
	ds_write2_b64 v25, v[11:12], v[11:12] offset0:45 offset1:108
.LBB42_334:
	s_or_b64 exec, exec, s[14:15]
	v_mov_b32_e32 v11, 0
	v_mov_b32_e32 v12, 0
	s_waitcnt lgkmcnt(0)
	s_barrier
	buffer_wbinvl1_vol
	s_and_saveexec_b64 s[16:17], s[18:19]
	s_cbranch_execz .LBB42_340
; %bb.335:
	v_lshlrev_b32_e32 v26, 3, v16
	v_lshlrev_b32_e32 v25, 9, v17
	ds_read_b64 v[11:12], v26 offset:22848
	ds_read_b64 v[27:28], v25 offset:22880
	v_cmp_gt_u32_e64 s[14:15], 12, v15
	s_waitcnt lgkmcnt(0)
	v_fma_f64 v[11:12], v[11:12], v[27:28], 0
	s_and_saveexec_b64 s[0:1], s[14:15]
	s_cbranch_execnz .LBB42_1112
; %bb.336:
	s_or_b64 exec, exec, s[0:1]
	v_cmp_gt_u32_e64 s[14:15], 8, v15
	s_and_saveexec_b64 s[0:1], s[14:15]
	s_cbranch_execnz .LBB42_1113
.LBB42_337:
	s_or_b64 exec, exec, s[0:1]
	v_cmp_gt_u32_e64 s[14:15], 4, v15
	s_and_saveexec_b64 s[20:21], s[14:15]
	s_cbranch_execz .LBB42_339
.LBB42_338:
	v_lshlrev_b32_e32 v25, 3, v0
	v_mov_b32_e32 v27, 0
	ds_read_b64 v[25:26], v25 offset:24384
	ds_read_b64 v[27:28], v27 offset:24440
	s_waitcnt lgkmcnt(0)
	v_fma_f64 v[11:12], v[25:26], v[27:28], v[11:12]
.LBB42_339:
	s_or_b64 exec, exec, s[20:21]
.LBB42_340:
	s_or_b64 exec, exec, s[16:17]
	s_and_saveexec_b64 s[14:15], s[36:37]
	s_cbranch_execz .LBB42_342
; %bb.341:
	v_mov_b32_e32 v25, 0
	ds_read_b64 v[25:26], v25 offset:22360
	s_waitcnt lgkmcnt(0)
	v_mul_f64 v[11:12], v[11:12], v[25:26]
	v_xor_b32_e32 v26, 0x80000000, v12
	v_mov_b32_e32 v25, v11
	ds_write_b64 v18, v[25:26]
.LBB42_342:
	s_or_b64 exec, exec, s[14:15]
	s_waitcnt lgkmcnt(0)
	s_barrier
	s_and_saveexec_b64 s[0:1], s[38:39]
	s_cbranch_execz .LBB42_344
; %bb.343:
	v_lshlrev_b32_e32 v25, 3, v16
	ds_read_b64 v[25:26], v25 offset:22336
	ds_read_b64 v[27:28], v18
	s_waitcnt lgkmcnt(0)
	v_fma_f64 v[11:12], -v[25:26], v[27:28], v[11:12]
.LBB42_344:
	s_or_b64 exec, exec, s[0:1]
	s_barrier
	s_and_saveexec_b64 s[14:15], s[42:43]
	s_cbranch_execz .LBB42_346
; %bb.345:
	v_mov_b32_e32 v25, 0
	ds_read_b64 v[25:26], v25 offset:21840
	s_waitcnt lgkmcnt(0)
	v_mul_f64 v[11:12], v[11:12], v[25:26]
	v_xor_b32_e32 v26, 0x80000000, v12
	v_mov_b32_e32 v25, v11
	ds_write_b64 v18, v[25:26]
.LBB42_346:
	s_or_b64 exec, exec, s[14:15]
	s_waitcnt lgkmcnt(0)
	s_barrier
	s_and_saveexec_b64 s[0:1], s[52:53]
	s_cbranch_execz .LBB42_348
; %bb.347:
	v_lshlrev_b32_e32 v25, 3, v16
	ds_read_b64 v[25:26], v25 offset:21824
	ds_read_b64 v[27:28], v18
	s_waitcnt lgkmcnt(0)
	v_fma_f64 v[11:12], -v[25:26], v[27:28], v[11:12]
.LBB42_348:
	s_or_b64 exec, exec, s[0:1]
	s_barrier
	s_and_saveexec_b64 s[14:15], s[54:55]
	s_cbranch_execz .LBB42_350
; %bb.349:
	v_mov_b32_e32 v25, 0
	ds_read_b64 v[25:26], v25 offset:21320
	s_waitcnt lgkmcnt(0)
	v_mul_f64 v[11:12], v[11:12], v[25:26]
	v_xor_b32_e32 v26, 0x80000000, v12
	v_mov_b32_e32 v25, v11
	ds_write_b64 v18, v[25:26]
.LBB42_350:
	s_or_b64 exec, exec, s[14:15]
	s_waitcnt lgkmcnt(0)
	s_barrier
	s_and_saveexec_b64 s[0:1], s[34:35]
	s_cbranch_execz .LBB42_352
; %bb.351:
	v_mov_b32_e32 v25, 0
	ds_read_b64 v[25:26], v25 offset:21312
	ds_read_b64 v[27:28], v18
	s_waitcnt lgkmcnt(0)
	v_fma_f64 v[11:12], -v[25:26], v[27:28], v[11:12]
.LBB42_352:
	s_or_b64 exec, exec, s[0:1]
	s_barrier
	s_and_saveexec_b64 s[14:15], s[34:35]
	s_cbranch_execz .LBB42_354
; %bb.353:
	v_mov_b32_e32 v25, 0
	ds_read_b64 v[25:26], v25 offset:20800
	s_waitcnt lgkmcnt(0)
	v_mul_f64 v[11:12], v[11:12], v[25:26]
	v_xor_b32_e32 v26, 0x80000000, v12
	v_mov_b32_e32 v25, v11
	ds_write_b64 v18, v[25:26]
.LBB42_354:
	s_or_b64 exec, exec, s[14:15]
	s_waitcnt lgkmcnt(0)
	s_barrier
	s_barrier
	s_and_saveexec_b64 s[0:1], s[18:19]
; %bb.355:
	v_lshlrev_b32_e32 v25, 3, v16
	v_lshl_or_b32 v25, v17, 9, v25
	ds_write_b64 v25, v[11:12] offset:22848
; %bb.356:
	s_or_b64 exec, exec, s[0:1]
	s_waitcnt lgkmcnt(0)
	s_barrier
	s_barrier
	s_and_saveexec_b64 s[14:15], s[56:57]
	s_cbranch_execz .LBB42_358
; %bb.357:
	v_lshlrev_b32_e32 v25, 9, v0
	ds_read_b64 v[11:12], v25 offset:22848
	s_movk_i32 s0, 0xfe08
	v_mad_i32_i24 v26, v0, s0, v25
	s_waitcnt lgkmcnt(0)
	ds_write_b64 v26, v[11:12] offset:20832
	ds_read_b64 v[11:12], v25 offset:22856
	s_waitcnt lgkmcnt(0)
	ds_write_b64 v26, v[11:12] offset:21344
	ds_read_b64 v[11:12], v25 offset:22864
	;; [unrolled: 3-line block ×3, first 2 shown]
	s_waitcnt lgkmcnt(0)
	ds_write_b64 v26, v[11:12] offset:22368
.LBB42_358:
	s_or_b64 exec, exec, s[14:15]
	s_waitcnt lgkmcnt(0)
	s_barrier
	s_and_saveexec_b64 s[14:15], vcc
	s_cbranch_execz .LBB42_360
; %bb.359:
	v_mov_b32_e32 v11, 0
	ds_read_b128 v[25:28], v11 offset:22352
	ds_read_b64 v[11:12], v11 offset:21840
	s_movk_i32 s0, 0x5000
	s_waitcnt lgkmcnt(0)
	v_mul_f64 v[11:12], v[11:12], v[27:28]
	v_mul_f64 v[11:12], v[25:26], v[11:12]
	v_add_u32_e64 v25, s0, 0
	ds_write2_b64 v25, v[11:12], v[11:12] offset0:171 offset1:234
.LBB42_360:
	s_or_b64 exec, exec, s[14:15]
	v_mov_b32_e32 v11, 0
	v_mov_b32_e32 v12, 0
	s_waitcnt lgkmcnt(0)
	s_barrier
	buffer_wbinvl1_vol
	s_and_saveexec_b64 s[16:17], s[2:3]
	s_cbranch_execz .LBB42_364
; %bb.361:
	v_lshlrev_b32_e32 v25, 9, v13
	v_lshlrev_b32_e32 v11, 3, v1
	ds_read_b64 v[11:12], v11 offset:21824
	ds_read_b64 v[25:26], v25 offset:21840
	v_cmp_gt_u32_e64 s[14:15], 2, v15
	s_waitcnt lgkmcnt(0)
	v_fma_f64 v[11:12], v[11:12], v[25:26], 0
	s_and_saveexec_b64 s[20:21], s[14:15]
	s_cbranch_execz .LBB42_363
; %bb.362:
	v_lshlrev_b32_e32 v25, 3, v0
	v_mov_b32_e32 v27, 0
	ds_read_b64 v[25:26], v25 offset:22336
	ds_read_b64 v[27:28], v27 offset:22360
	s_waitcnt lgkmcnt(0)
	v_fma_f64 v[11:12], v[25:26], v[27:28], v[11:12]
.LBB42_363:
	s_or_b64 exec, exec, s[20:21]
.LBB42_364:
	s_or_b64 exec, exec, s[16:17]
	s_and_saveexec_b64 s[14:15], s[28:29]
	s_cbranch_execz .LBB42_366
; %bb.365:
	v_mov_b32_e32 v25, 0
	ds_read_b64 v[25:26], v25 offset:21320
	s_waitcnt lgkmcnt(0)
	v_mul_f64 v[11:12], v[11:12], v[25:26]
	v_xor_b32_e32 v26, 0x80000000, v12
	v_mov_b32_e32 v25, v11
	ds_write_b64 v14, v[25:26]
.LBB42_366:
	s_or_b64 exec, exec, s[14:15]
	s_waitcnt lgkmcnt(0)
	s_barrier
	s_and_saveexec_b64 s[0:1], s[26:27]
	s_cbranch_execz .LBB42_368
; %bb.367:
	v_mov_b32_e32 v25, 0
	ds_read_b64 v[25:26], v25 offset:21312
	ds_read_b64 v[27:28], v14
	s_waitcnt lgkmcnt(0)
	v_fma_f64 v[11:12], -v[25:26], v[27:28], v[11:12]
.LBB42_368:
	s_or_b64 exec, exec, s[0:1]
	s_barrier
	s_and_saveexec_b64 s[14:15], s[26:27]
	s_cbranch_execz .LBB42_370
; %bb.369:
	v_mov_b32_e32 v25, 0
	ds_read_b64 v[25:26], v25 offset:20800
	s_waitcnt lgkmcnt(0)
	v_mul_f64 v[11:12], v[11:12], v[25:26]
	v_xor_b32_e32 v26, 0x80000000, v12
	v_mov_b32_e32 v25, v11
	ds_write_b64 v14, v[25:26]
.LBB42_370:
	s_or_b64 exec, exec, s[14:15]
	s_waitcnt lgkmcnt(0)
	s_barrier
	s_barrier
	s_and_saveexec_b64 s[0:1], s[2:3]
; %bb.371:
	v_lshlrev_b32_e32 v25, 3, v1
	v_lshl_or_b32 v25, v13, 9, v25
	ds_write_b64 v25, v[11:12] offset:21824
; %bb.372:
	s_or_b64 exec, exec, s[0:1]
	s_waitcnt lgkmcnt(0)
	s_barrier
	s_barrier
	s_and_saveexec_b64 s[14:15], s[30:31]
	s_cbranch_execz .LBB42_374
; %bb.373:
	v_lshlrev_b32_e32 v25, 3, v0
	s_movk_i32 s0, 0x1f8
	v_mad_u32_u24 v26, v0, s0, v25
	ds_read_b64 v[11:12], v26 offset:21824
	s_waitcnt lgkmcnt(0)
	ds_write_b64 v25, v[11:12] offset:20816
	ds_read_b64 v[11:12], v26 offset:21832
	s_waitcnt lgkmcnt(0)
	ds_write_b64 v25, v[11:12] offset:21328
.LBB42_374:
	s_or_b64 exec, exec, s[14:15]
	s_waitcnt lgkmcnt(0)
	s_barrier
	s_and_saveexec_b64 s[14:15], vcc
	s_cbranch_execz .LBB42_376
; %bb.375:
	v_mov_b32_e32 v11, 0
	ds_read_b128 v[25:28], v11 offset:21312
	ds_read_b64 v[11:12], v11 offset:20800
	s_movk_i32 s0, 0x5000
	s_waitcnt lgkmcnt(0)
	v_mul_f64 v[11:12], v[11:12], v[27:28]
	v_mul_f64 v[11:12], v[25:26], v[11:12]
	v_add_u32_e64 v25, s0, 0
	ds_write2_b64 v25, v[11:12], v[11:12] offset0:41 offset1:104
.LBB42_376:
	s_or_b64 exec, exec, s[14:15]
	v_mov_b32_e32 v11, 0
	v_mov_b32_e32 v12, 0
	s_waitcnt lgkmcnt(0)
	s_barrier
	buffer_wbinvl1_vol
	s_and_saveexec_b64 s[16:17], s[8:9]
	s_cbranch_execz .LBB42_386
; %bb.377:
	v_lshlrev_b32_e32 v26, 3, v19
	v_lshlrev_b32_e32 v25, 9, v20
	ds_read_b64 v[11:12], v26 offset:20736
	ds_read_b64 v[27:28], v25 offset:20800
	v_cmp_gt_u32_e64 s[14:15], 56, v15
	s_waitcnt lgkmcnt(0)
	v_fma_f64 v[11:12], v[11:12], v[27:28], 0
	s_and_saveexec_b64 s[0:1], s[14:15]
	s_cbranch_execnz .LBB42_1114
; %bb.378:
	s_or_b64 exec, exec, s[0:1]
	v_cmp_gt_u32_e64 s[14:15], 48, v15
	s_and_saveexec_b64 s[0:1], s[14:15]
	s_cbranch_execnz .LBB42_1115
.LBB42_379:
	s_or_b64 exec, exec, s[0:1]
	v_cmp_gt_u32_e64 s[14:15], 40, v15
	s_and_saveexec_b64 s[0:1], s[14:15]
	s_cbranch_execnz .LBB42_1116
.LBB42_380:
	s_or_b64 exec, exec, s[0:1]
	v_cmp_gt_u32_e64 s[14:15], 32, v15
	s_and_saveexec_b64 s[0:1], s[14:15]
	s_cbranch_execnz .LBB42_1117
.LBB42_381:
	s_or_b64 exec, exec, s[0:1]
	v_cmp_gt_u32_e64 s[14:15], 24, v15
	s_and_saveexec_b64 s[0:1], s[14:15]
	s_cbranch_execnz .LBB42_1118
.LBB42_382:
	s_or_b64 exec, exec, s[0:1]
	s_and_saveexec_b64 s[0:1], s[18:19]
	s_cbranch_execnz .LBB42_1119
.LBB42_383:
	s_or_b64 exec, exec, s[0:1]
	v_cmp_gt_u32_e64 s[14:15], 8, v15
	s_and_saveexec_b64 s[20:21], s[14:15]
	s_cbranch_execz .LBB42_385
.LBB42_384:
	v_lshlrev_b32_e32 v25, 3, v0
	v_mov_b32_e32 v27, 0
	ds_read_b64 v[25:26], v25 offset:24320
	ds_read_b64 v[27:28], v27 offset:24440
	s_waitcnt lgkmcnt(0)
	v_fma_f64 v[11:12], v[25:26], v[27:28], v[11:12]
.LBB42_385:
	s_or_b64 exec, exec, s[20:21]
.LBB42_386:
	s_or_b64 exec, exec, s[16:17]
	s_and_saveexec_b64 s[14:15], s[58:59]
	s_cbranch_execz .LBB42_388
; %bb.387:
	v_mov_b32_e32 v25, 0
	ds_read_b64 v[25:26], v25 offset:20280
	s_waitcnt lgkmcnt(0)
	v_mul_f64 v[11:12], v[11:12], v[25:26]
	v_xor_b32_e32 v26, 0x80000000, v12
	v_mov_b32_e32 v25, v11
	ds_write_b64 v21, v[25:26]
.LBB42_388:
	s_or_b64 exec, exec, s[14:15]
	s_waitcnt lgkmcnt(0)
	s_barrier
	s_and_saveexec_b64 s[0:1], s[60:61]
	s_cbranch_execz .LBB42_390
; %bb.389:
	v_lshlrev_b32_e32 v25, 3, v19
	ds_read_b64 v[25:26], v25 offset:20224
	ds_read_b64 v[27:28], v21
	s_waitcnt lgkmcnt(0)
	v_fma_f64 v[11:12], -v[25:26], v[27:28], v[11:12]
.LBB42_390:
	s_or_b64 exec, exec, s[0:1]
	s_barrier
	s_and_saveexec_b64 s[14:15], s[62:63]
	s_cbranch_execz .LBB42_392
; %bb.391:
	v_mov_b32_e32 v25, 0
	ds_read_b64 v[25:26], v25 offset:19760
	s_waitcnt lgkmcnt(0)
	v_mul_f64 v[11:12], v[11:12], v[25:26]
	v_xor_b32_e32 v26, 0x80000000, v12
	v_mov_b32_e32 v25, v11
	ds_write_b64 v21, v[25:26]
.LBB42_392:
	s_or_b64 exec, exec, s[14:15]
	s_waitcnt lgkmcnt(0)
	s_barrier
	s_and_saveexec_b64 s[0:1], s[64:65]
	s_cbranch_execz .LBB42_394
; %bb.393:
	v_lshlrev_b32_e32 v25, 3, v19
	ds_read_b64 v[25:26], v25 offset:19712
	ds_read_b64 v[27:28], v21
	s_waitcnt lgkmcnt(0)
	v_fma_f64 v[11:12], -v[25:26], v[27:28], v[11:12]
.LBB42_394:
	s_or_b64 exec, exec, s[0:1]
	s_barrier
	;; [unrolled: 25-line block ×6, first 2 shown]
	s_and_saveexec_b64 s[14:15], s[84:85]
	s_cbranch_execz .LBB42_412
; %bb.411:
	v_mov_b32_e32 v25, 0
	ds_read_b64 v[25:26], v25 offset:17160
	s_waitcnt lgkmcnt(0)
	v_mul_f64 v[11:12], v[11:12], v[25:26]
	v_xor_b32_e32 v26, 0x80000000, v12
	v_mov_b32_e32 v25, v11
	ds_write_b64 v21, v[25:26]
.LBB42_412:
	s_or_b64 exec, exec, s[14:15]
	s_waitcnt lgkmcnt(0)
	s_barrier
	s_and_saveexec_b64 s[0:1], s[68:69]
	s_cbranch_execz .LBB42_414
; %bb.413:
	v_mov_b32_e32 v25, 0
	ds_read_b64 v[25:26], v25 offset:17152
	ds_read_b64 v[27:28], v21
	s_waitcnt lgkmcnt(0)
	v_fma_f64 v[11:12], -v[25:26], v[27:28], v[11:12]
.LBB42_414:
	s_or_b64 exec, exec, s[0:1]
	s_barrier
	s_and_saveexec_b64 s[14:15], s[68:69]
	s_cbranch_execz .LBB42_416
; %bb.415:
	v_mov_b32_e32 v25, 0
	ds_read_b64 v[25:26], v25 offset:16640
	s_waitcnt lgkmcnt(0)
	v_mul_f64 v[11:12], v[11:12], v[25:26]
	v_xor_b32_e32 v26, 0x80000000, v12
	v_mov_b32_e32 v25, v11
	ds_write_b64 v21, v[25:26]
.LBB42_416:
	s_or_b64 exec, exec, s[14:15]
	s_waitcnt lgkmcnt(0)
	s_barrier
	s_barrier
	s_and_saveexec_b64 s[0:1], s[8:9]
; %bb.417:
	v_lshlrev_b32_e32 v25, 3, v19
	v_lshl_or_b32 v25, v20, 9, v25
	ds_write_b64 v25, v[11:12] offset:20736
; %bb.418:
	s_or_b64 exec, exec, s[0:1]
	s_waitcnt lgkmcnt(0)
	s_barrier
	s_barrier
	s_and_saveexec_b64 s[14:15], s[86:87]
	s_cbranch_execz .LBB42_420
; %bb.419:
	v_lshlrev_b32_e32 v25, 9, v0
	ds_read_b64 v[11:12], v25 offset:20736
	s_movk_i32 s0, 0xfe08
	v_mad_i32_i24 v26, v0, s0, v25
	s_waitcnt lgkmcnt(0)
	ds_write_b64 v26, v[11:12] offset:16704
	ds_read_b64 v[11:12], v25 offset:20744
	s_waitcnt lgkmcnt(0)
	ds_write_b64 v26, v[11:12] offset:17216
	ds_read_b64 v[11:12], v25 offset:20752
	;; [unrolled: 3-line block ×7, first 2 shown]
	s_waitcnt lgkmcnt(0)
	ds_write_b64 v26, v[11:12] offset:20288
.LBB42_420:
	s_or_b64 exec, exec, s[14:15]
	s_waitcnt lgkmcnt(0)
	s_barrier
	s_and_saveexec_b64 s[14:15], vcc
	s_cbranch_execz .LBB42_422
; %bb.421:
	v_mov_b32_e32 v11, 0
	ds_read_b128 v[25:28], v11 offset:20272
	ds_read_b64 v[11:12], v11 offset:19760
	s_movk_i32 s0, 0x4800
	s_waitcnt lgkmcnt(0)
	v_mul_f64 v[11:12], v[11:12], v[27:28]
	v_mul_f64 v[11:12], v[25:26], v[11:12]
	v_add_u32_e64 v25, s0, 0
	ds_write2_b64 v25, v[11:12], v[11:12] offset0:167 offset1:230
.LBB42_422:
	s_or_b64 exec, exec, s[14:15]
	v_mov_b32_e32 v11, 0
	v_mov_b32_e32 v12, 0
	s_waitcnt lgkmcnt(0)
	s_barrier
	buffer_wbinvl1_vol
	s_and_saveexec_b64 s[16:17], s[2:3]
	s_cbranch_execz .LBB42_426
; %bb.423:
	v_lshlrev_b32_e32 v25, 9, v13
	v_lshlrev_b32_e32 v11, 3, v1
	ds_read_b64 v[11:12], v11 offset:19744
	ds_read_b64 v[25:26], v25 offset:19760
	v_cmp_gt_u32_e64 s[14:15], 2, v15
	s_waitcnt lgkmcnt(0)
	v_fma_f64 v[11:12], v[11:12], v[25:26], 0
	s_and_saveexec_b64 s[20:21], s[14:15]
	s_cbranch_execz .LBB42_425
; %bb.424:
	v_lshlrev_b32_e32 v25, 3, v0
	v_mov_b32_e32 v27, 0
	ds_read_b64 v[25:26], v25 offset:20256
	ds_read_b64 v[27:28], v27 offset:20280
	s_waitcnt lgkmcnt(0)
	v_fma_f64 v[11:12], v[25:26], v[27:28], v[11:12]
.LBB42_425:
	s_or_b64 exec, exec, s[20:21]
.LBB42_426:
	s_or_b64 exec, exec, s[16:17]
	s_and_saveexec_b64 s[14:15], s[28:29]
	s_cbranch_execz .LBB42_428
; %bb.427:
	v_mov_b32_e32 v25, 0
	ds_read_b64 v[25:26], v25 offset:19240
	s_waitcnt lgkmcnt(0)
	v_mul_f64 v[11:12], v[11:12], v[25:26]
	v_xor_b32_e32 v26, 0x80000000, v12
	v_mov_b32_e32 v25, v11
	ds_write_b64 v14, v[25:26]
.LBB42_428:
	s_or_b64 exec, exec, s[14:15]
	s_waitcnt lgkmcnt(0)
	s_barrier
	s_and_saveexec_b64 s[0:1], s[26:27]
	s_cbranch_execz .LBB42_430
; %bb.429:
	v_mov_b32_e32 v25, 0
	ds_read_b64 v[25:26], v25 offset:19232
	ds_read_b64 v[27:28], v14
	s_waitcnt lgkmcnt(0)
	v_fma_f64 v[11:12], -v[25:26], v[27:28], v[11:12]
.LBB42_430:
	s_or_b64 exec, exec, s[0:1]
	s_barrier
	s_and_saveexec_b64 s[14:15], s[26:27]
	s_cbranch_execz .LBB42_432
; %bb.431:
	v_mov_b32_e32 v25, 0
	ds_read_b64 v[25:26], v25 offset:18720
	s_waitcnt lgkmcnt(0)
	v_mul_f64 v[11:12], v[11:12], v[25:26]
	v_xor_b32_e32 v26, 0x80000000, v12
	v_mov_b32_e32 v25, v11
	ds_write_b64 v14, v[25:26]
.LBB42_432:
	s_or_b64 exec, exec, s[14:15]
	s_waitcnt lgkmcnt(0)
	s_barrier
	s_barrier
	s_and_saveexec_b64 s[0:1], s[2:3]
; %bb.433:
	v_lshlrev_b32_e32 v25, 3, v1
	v_lshl_or_b32 v25, v13, 9, v25
	ds_write_b64 v25, v[11:12] offset:19744
; %bb.434:
	s_or_b64 exec, exec, s[0:1]
	s_waitcnt lgkmcnt(0)
	s_barrier
	s_barrier
	s_and_saveexec_b64 s[14:15], s[30:31]
	s_cbranch_execz .LBB42_436
; %bb.435:
	v_lshlrev_b32_e32 v25, 3, v0
	s_movk_i32 s0, 0x1f8
	v_mad_u32_u24 v26, v0, s0, v25
	ds_read_b64 v[11:12], v26 offset:19744
	s_waitcnt lgkmcnt(0)
	ds_write_b64 v25, v[11:12] offset:18736
	ds_read_b64 v[11:12], v26 offset:19752
	s_waitcnt lgkmcnt(0)
	ds_write_b64 v25, v[11:12] offset:19248
.LBB42_436:
	s_or_b64 exec, exec, s[14:15]
	s_waitcnt lgkmcnt(0)
	s_barrier
	s_and_saveexec_b64 s[14:15], vcc
	s_cbranch_execz .LBB42_438
; %bb.437:
	v_mov_b32_e32 v11, 0
	ds_read_b128 v[25:28], v11 offset:19232
	ds_read_b64 v[11:12], v11 offset:18720
	s_movk_i32 s0, 0x4800
	s_waitcnt lgkmcnt(0)
	v_mul_f64 v[11:12], v[11:12], v[27:28]
	v_mul_f64 v[11:12], v[25:26], v[11:12]
	v_add_u32_e64 v25, s0, 0
	ds_write2_b64 v25, v[11:12], v[11:12] offset0:37 offset1:100
.LBB42_438:
	s_or_b64 exec, exec, s[14:15]
	v_mov_b32_e32 v11, 0
	v_mov_b32_e32 v12, 0
	s_waitcnt lgkmcnt(0)
	s_barrier
	buffer_wbinvl1_vol
	s_and_saveexec_b64 s[16:17], s[18:19]
	s_cbranch_execz .LBB42_444
; %bb.439:
	v_lshlrev_b32_e32 v26, 3, v16
	v_lshlrev_b32_e32 v25, 9, v17
	ds_read_b64 v[11:12], v26 offset:18688
	ds_read_b64 v[27:28], v25 offset:18720
	v_cmp_gt_u32_e64 s[14:15], 12, v15
	s_waitcnt lgkmcnt(0)
	v_fma_f64 v[11:12], v[11:12], v[27:28], 0
	s_and_saveexec_b64 s[0:1], s[14:15]
	s_cbranch_execnz .LBB42_1120
; %bb.440:
	s_or_b64 exec, exec, s[0:1]
	v_cmp_gt_u32_e64 s[14:15], 8, v15
	s_and_saveexec_b64 s[0:1], s[14:15]
	s_cbranch_execnz .LBB42_1121
.LBB42_441:
	s_or_b64 exec, exec, s[0:1]
	v_cmp_gt_u32_e64 s[14:15], 4, v15
	s_and_saveexec_b64 s[20:21], s[14:15]
	s_cbranch_execz .LBB42_443
.LBB42_442:
	v_lshlrev_b32_e32 v25, 3, v0
	v_mov_b32_e32 v27, 0
	ds_read_b64 v[25:26], v25 offset:20224
	ds_read_b64 v[27:28], v27 offset:20280
	s_waitcnt lgkmcnt(0)
	v_fma_f64 v[11:12], v[25:26], v[27:28], v[11:12]
.LBB42_443:
	s_or_b64 exec, exec, s[20:21]
.LBB42_444:
	s_or_b64 exec, exec, s[16:17]
	s_and_saveexec_b64 s[14:15], s[36:37]
	s_cbranch_execz .LBB42_446
; %bb.445:
	v_mov_b32_e32 v25, 0
	ds_read_b64 v[25:26], v25 offset:18200
	s_waitcnt lgkmcnt(0)
	v_mul_f64 v[11:12], v[11:12], v[25:26]
	v_xor_b32_e32 v26, 0x80000000, v12
	v_mov_b32_e32 v25, v11
	ds_write_b64 v18, v[25:26]
.LBB42_446:
	s_or_b64 exec, exec, s[14:15]
	s_waitcnt lgkmcnt(0)
	s_barrier
	s_and_saveexec_b64 s[0:1], s[38:39]
	s_cbranch_execz .LBB42_448
; %bb.447:
	v_lshlrev_b32_e32 v25, 3, v16
	ds_read_b64 v[25:26], v25 offset:18176
	ds_read_b64 v[27:28], v18
	s_waitcnt lgkmcnt(0)
	v_fma_f64 v[11:12], -v[25:26], v[27:28], v[11:12]
.LBB42_448:
	s_or_b64 exec, exec, s[0:1]
	s_barrier
	s_and_saveexec_b64 s[14:15], s[42:43]
	s_cbranch_execz .LBB42_450
; %bb.449:
	v_mov_b32_e32 v25, 0
	ds_read_b64 v[25:26], v25 offset:17680
	s_waitcnt lgkmcnt(0)
	v_mul_f64 v[11:12], v[11:12], v[25:26]
	v_xor_b32_e32 v26, 0x80000000, v12
	v_mov_b32_e32 v25, v11
	ds_write_b64 v18, v[25:26]
.LBB42_450:
	s_or_b64 exec, exec, s[14:15]
	s_waitcnt lgkmcnt(0)
	s_barrier
	s_and_saveexec_b64 s[0:1], s[52:53]
	s_cbranch_execz .LBB42_452
; %bb.451:
	v_lshlrev_b32_e32 v25, 3, v16
	ds_read_b64 v[25:26], v25 offset:17664
	ds_read_b64 v[27:28], v18
	s_waitcnt lgkmcnt(0)
	v_fma_f64 v[11:12], -v[25:26], v[27:28], v[11:12]
.LBB42_452:
	s_or_b64 exec, exec, s[0:1]
	s_barrier
	s_and_saveexec_b64 s[14:15], s[54:55]
	s_cbranch_execz .LBB42_454
; %bb.453:
	v_mov_b32_e32 v25, 0
	ds_read_b64 v[25:26], v25 offset:17160
	s_waitcnt lgkmcnt(0)
	v_mul_f64 v[11:12], v[11:12], v[25:26]
	v_xor_b32_e32 v26, 0x80000000, v12
	v_mov_b32_e32 v25, v11
	ds_write_b64 v18, v[25:26]
.LBB42_454:
	s_or_b64 exec, exec, s[14:15]
	s_waitcnt lgkmcnt(0)
	s_barrier
	s_and_saveexec_b64 s[0:1], s[34:35]
	s_cbranch_execz .LBB42_456
; %bb.455:
	v_mov_b32_e32 v25, 0
	ds_read_b64 v[25:26], v25 offset:17152
	ds_read_b64 v[27:28], v18
	s_waitcnt lgkmcnt(0)
	v_fma_f64 v[11:12], -v[25:26], v[27:28], v[11:12]
.LBB42_456:
	s_or_b64 exec, exec, s[0:1]
	s_barrier
	s_and_saveexec_b64 s[14:15], s[34:35]
	s_cbranch_execz .LBB42_458
; %bb.457:
	v_mov_b32_e32 v25, 0
	ds_read_b64 v[25:26], v25 offset:16640
	s_waitcnt lgkmcnt(0)
	v_mul_f64 v[11:12], v[11:12], v[25:26]
	v_xor_b32_e32 v26, 0x80000000, v12
	v_mov_b32_e32 v25, v11
	ds_write_b64 v18, v[25:26]
.LBB42_458:
	s_or_b64 exec, exec, s[14:15]
	s_waitcnt lgkmcnt(0)
	s_barrier
	s_barrier
	s_and_saveexec_b64 s[0:1], s[18:19]
; %bb.459:
	v_lshlrev_b32_e32 v25, 3, v16
	v_lshl_or_b32 v25, v17, 9, v25
	ds_write_b64 v25, v[11:12] offset:18688
; %bb.460:
	s_or_b64 exec, exec, s[0:1]
	s_waitcnt lgkmcnt(0)
	s_barrier
	s_barrier
	s_and_saveexec_b64 s[14:15], s[56:57]
	s_cbranch_execz .LBB42_462
; %bb.461:
	v_lshlrev_b32_e32 v25, 9, v0
	ds_read_b64 v[11:12], v25 offset:18688
	s_movk_i32 s0, 0xfe08
	v_mad_i32_i24 v26, v0, s0, v25
	s_waitcnt lgkmcnt(0)
	ds_write_b64 v26, v[11:12] offset:16672
	ds_read_b64 v[11:12], v25 offset:18696
	s_waitcnt lgkmcnt(0)
	ds_write_b64 v26, v[11:12] offset:17184
	ds_read_b64 v[11:12], v25 offset:18704
	;; [unrolled: 3-line block ×3, first 2 shown]
	s_waitcnt lgkmcnt(0)
	ds_write_b64 v26, v[11:12] offset:18208
.LBB42_462:
	s_or_b64 exec, exec, s[14:15]
	s_waitcnt lgkmcnt(0)
	s_barrier
	s_and_saveexec_b64 s[14:15], vcc
	s_cbranch_execz .LBB42_464
; %bb.463:
	v_mov_b32_e32 v11, 0
	ds_read_b128 v[25:28], v11 offset:18192
	ds_read_b64 v[11:12], v11 offset:17680
	s_movk_i32 s0, 0x4000
	s_waitcnt lgkmcnt(0)
	v_mul_f64 v[11:12], v[11:12], v[27:28]
	v_mul_f64 v[11:12], v[25:26], v[11:12]
	v_add_u32_e64 v25, s0, 0
	ds_write2_b64 v25, v[11:12], v[11:12] offset0:163 offset1:226
.LBB42_464:
	s_or_b64 exec, exec, s[14:15]
	v_mov_b32_e32 v11, 0
	v_mov_b32_e32 v12, 0
	s_waitcnt lgkmcnt(0)
	s_barrier
	buffer_wbinvl1_vol
	s_and_saveexec_b64 s[16:17], s[2:3]
	s_cbranch_execz .LBB42_468
; %bb.465:
	v_lshlrev_b32_e32 v25, 9, v13
	v_lshlrev_b32_e32 v11, 3, v1
	ds_read_b64 v[11:12], v11 offset:17664
	ds_read_b64 v[25:26], v25 offset:17680
	v_cmp_gt_u32_e64 s[14:15], 2, v15
	s_waitcnt lgkmcnt(0)
	v_fma_f64 v[11:12], v[11:12], v[25:26], 0
	s_and_saveexec_b64 s[20:21], s[14:15]
	s_cbranch_execz .LBB42_467
; %bb.466:
	v_lshlrev_b32_e32 v25, 3, v0
	v_mov_b32_e32 v27, 0
	ds_read_b64 v[25:26], v25 offset:18176
	ds_read_b64 v[27:28], v27 offset:18200
	s_waitcnt lgkmcnt(0)
	v_fma_f64 v[11:12], v[25:26], v[27:28], v[11:12]
.LBB42_467:
	s_or_b64 exec, exec, s[20:21]
.LBB42_468:
	s_or_b64 exec, exec, s[16:17]
	s_and_saveexec_b64 s[14:15], s[28:29]
	s_cbranch_execz .LBB42_470
; %bb.469:
	v_mov_b32_e32 v25, 0
	ds_read_b64 v[25:26], v25 offset:17160
	s_waitcnt lgkmcnt(0)
	v_mul_f64 v[11:12], v[11:12], v[25:26]
	v_xor_b32_e32 v26, 0x80000000, v12
	v_mov_b32_e32 v25, v11
	ds_write_b64 v14, v[25:26]
.LBB42_470:
	s_or_b64 exec, exec, s[14:15]
	s_waitcnt lgkmcnt(0)
	s_barrier
	s_and_saveexec_b64 s[0:1], s[26:27]
	s_cbranch_execz .LBB42_472
; %bb.471:
	v_mov_b32_e32 v25, 0
	ds_read_b64 v[25:26], v25 offset:17152
	ds_read_b64 v[27:28], v14
	s_waitcnt lgkmcnt(0)
	v_fma_f64 v[11:12], -v[25:26], v[27:28], v[11:12]
.LBB42_472:
	s_or_b64 exec, exec, s[0:1]
	s_barrier
	s_and_saveexec_b64 s[14:15], s[26:27]
	s_cbranch_execz .LBB42_474
; %bb.473:
	v_mov_b32_e32 v25, 0
	ds_read_b64 v[25:26], v25 offset:16640
	s_waitcnt lgkmcnt(0)
	v_mul_f64 v[11:12], v[11:12], v[25:26]
	v_xor_b32_e32 v26, 0x80000000, v12
	v_mov_b32_e32 v25, v11
	ds_write_b64 v14, v[25:26]
.LBB42_474:
	s_or_b64 exec, exec, s[14:15]
	s_waitcnt lgkmcnt(0)
	s_barrier
	s_barrier
	s_and_saveexec_b64 s[0:1], s[2:3]
; %bb.475:
	v_lshlrev_b32_e32 v25, 3, v1
	v_lshl_or_b32 v25, v13, 9, v25
	ds_write_b64 v25, v[11:12] offset:17664
; %bb.476:
	s_or_b64 exec, exec, s[0:1]
	s_waitcnt lgkmcnt(0)
	s_barrier
	s_barrier
	s_and_saveexec_b64 s[14:15], s[30:31]
	s_cbranch_execz .LBB42_478
; %bb.477:
	v_lshlrev_b32_e32 v25, 3, v0
	s_movk_i32 s0, 0x1f8
	v_mad_u32_u24 v26, v0, s0, v25
	ds_read_b64 v[11:12], v26 offset:17664
	s_waitcnt lgkmcnt(0)
	ds_write_b64 v25, v[11:12] offset:16656
	ds_read_b64 v[11:12], v26 offset:17672
	s_waitcnt lgkmcnt(0)
	ds_write_b64 v25, v[11:12] offset:17168
.LBB42_478:
	s_or_b64 exec, exec, s[14:15]
	s_waitcnt lgkmcnt(0)
	s_barrier
	s_and_saveexec_b64 s[14:15], vcc
	s_cbranch_execz .LBB42_480
; %bb.479:
	v_mov_b32_e32 v11, 0
	ds_read_b128 v[25:28], v11 offset:17152
	ds_read_b64 v[11:12], v11 offset:16640
	s_movk_i32 s0, 0x4000
	s_waitcnt lgkmcnt(0)
	v_mul_f64 v[11:12], v[11:12], v[27:28]
	v_mul_f64 v[11:12], v[25:26], v[11:12]
	v_add_u32_e64 v25, s0, 0
	ds_write2_b64 v25, v[11:12], v[11:12] offset0:33 offset1:96
.LBB42_480:
	s_or_b64 exec, exec, s[14:15]
	s_movk_i32 s0, 0x3ff
	v_lshrrev_b32_e32 v27, 5, v15
	v_cmp_lt_u32_e64 s[16:17], s0, v15
	s_movk_i32 s0, 0x400
	v_mov_b32_e32 v11, 0
	v_and_b32_e32 v25, 31, v0
	v_sub_u32_e32 v26, 31, v27
	v_mov_b32_e32 v12, 0
	v_cmp_gt_u32_e64 s[14:15], s0, v15
	s_waitcnt lgkmcnt(0)
	s_barrier
	buffer_wbinvl1_vol
	s_and_saveexec_b64 s[94:95], s[14:15]
	s_cbranch_execz .LBB42_542
; %bb.481:
	v_lshlrev_b32_e32 v29, 3, v25
	v_lshlrev_b32_e32 v28, 9, v26
	ds_read_b64 v[11:12], v29 offset:16384
	ds_read_b64 v[30:31], v28 offset:16640
	s_movk_i32 s0, 0x3e0
	v_cmp_gt_u32_e64 s[20:21], s0, v15
	s_waitcnt lgkmcnt(0)
	v_fma_f64 v[11:12], v[11:12], v[30:31], 0
	s_and_saveexec_b64 s[0:1], s[20:21]
	s_cbranch_execz .LBB42_483
; %bb.482:
	ds_read_b64 v[30:31], v29 offset:16896
	ds_read_b64 v[32:33], v28 offset:16648
	s_waitcnt lgkmcnt(0)
	v_fma_f64 v[11:12], v[30:31], v[32:33], v[11:12]
.LBB42_483:
	s_or_b64 exec, exec, s[0:1]
	s_movk_i32 s0, 0x3c0
	v_cmp_gt_u32_e64 s[20:21], s0, v15
	s_and_saveexec_b64 s[0:1], s[20:21]
	s_cbranch_execz .LBB42_485
; %bb.484:
	ds_read_b64 v[30:31], v29 offset:17408
	ds_read_b64 v[32:33], v28 offset:16656
	s_waitcnt lgkmcnt(0)
	v_fma_f64 v[11:12], v[30:31], v[32:33], v[11:12]
.LBB42_485:
	s_or_b64 exec, exec, s[0:1]
	s_movk_i32 s0, 0x3a0
	v_cmp_gt_u32_e64 s[20:21], s0, v15
	;; [unrolled: 11-line block ×22, first 2 shown]
	s_and_saveexec_b64 s[0:1], s[20:21]
	s_cbranch_execz .LBB42_527
; %bb.526:
	ds_read_b64 v[30:31], v29 offset:28160
	ds_read_b64 v[32:33], v28 offset:16824
	s_waitcnt lgkmcnt(0)
	v_fma_f64 v[11:12], v[30:31], v[32:33], v[11:12]
.LBB42_527:
	s_or_b64 exec, exec, s[0:1]
	s_and_saveexec_b64 s[0:1], s[10:11]
	s_cbranch_execz .LBB42_529
; %bb.528:
	ds_read_b64 v[30:31], v29 offset:28672
	ds_read_b64 v[32:33], v28 offset:16832
	s_waitcnt lgkmcnt(0)
	v_fma_f64 v[11:12], v[30:31], v[32:33], v[11:12]
.LBB42_529:
	s_or_b64 exec, exec, s[0:1]
	s_movk_i32 s0, 0xe0
	v_cmp_gt_u32_e64 s[20:21], s0, v15
	s_and_saveexec_b64 s[0:1], s[20:21]
	s_cbranch_execz .LBB42_531
; %bb.530:
	ds_read_b64 v[30:31], v29 offset:29184
	ds_read_b64 v[32:33], v28 offset:16840
	s_waitcnt lgkmcnt(0)
	v_fma_f64 v[11:12], v[30:31], v[32:33], v[11:12]
.LBB42_531:
	s_or_b64 exec, exec, s[0:1]
	s_movk_i32 s0, 0xc0
	v_cmp_gt_u32_e64 s[20:21], s0, v15
	s_and_saveexec_b64 s[0:1], s[20:21]
	s_cbranch_execz .LBB42_533
; %bb.532:
	ds_read_b64 v[30:31], v29 offset:29696
	ds_read_b64 v[32:33], v28 offset:16848
	s_waitcnt lgkmcnt(0)
	v_fma_f64 v[11:12], v[30:31], v[32:33], v[11:12]
.LBB42_533:
	s_or_b64 exec, exec, s[0:1]
	s_movk_i32 s0, 0xa0
	v_cmp_gt_u32_e64 s[20:21], s0, v15
	s_and_saveexec_b64 s[0:1], s[20:21]
	s_cbranch_execz .LBB42_535
; %bb.534:
	ds_read_b64 v[30:31], v29 offset:30208
	ds_read_b64 v[32:33], v28 offset:16856
	s_waitcnt lgkmcnt(0)
	v_fma_f64 v[11:12], v[30:31], v[32:33], v[11:12]
.LBB42_535:
	s_or_b64 exec, exec, s[0:1]
	s_movk_i32 s0, 0x80
	v_cmp_gt_u32_e64 s[20:21], s0, v15
	s_and_saveexec_b64 s[0:1], s[20:21]
	s_cbranch_execz .LBB42_537
; %bb.536:
	ds_read_b64 v[30:31], v29 offset:30720
	ds_read_b64 v[32:33], v28 offset:16864
	s_waitcnt lgkmcnt(0)
	v_fma_f64 v[11:12], v[30:31], v[32:33], v[11:12]
.LBB42_537:
	s_or_b64 exec, exec, s[0:1]
	s_movk_i32 s0, 0x60
	v_cmp_gt_u32_e64 s[20:21], s0, v15
	s_and_saveexec_b64 s[0:1], s[20:21]
	s_cbranch_execnz .LBB42_1122
; %bb.538:
	s_or_b64 exec, exec, s[0:1]
	s_and_saveexec_b64 s[0:1], s[8:9]
	s_cbranch_execnz .LBB42_1123
.LBB42_539:
	s_or_b64 exec, exec, s[0:1]
	v_cmp_gt_u32_e64 s[20:21], 32, v15
	s_and_saveexec_b64 s[0:1], s[20:21]
	s_cbranch_execz .LBB42_541
.LBB42_540:
	v_lshlrev_b32_e32 v28, 3, v0
	v_mov_b32_e32 v30, 0
	ds_read_b64 v[28:29], v28 offset:32256
	ds_read_b64 v[30:31], v30 offset:32760
	s_waitcnt lgkmcnt(0)
	v_fma_f64 v[11:12], v[28:29], v[30:31], v[11:12]
.LBB42_541:
	s_or_b64 exec, exec, s[0:1]
.LBB42_542:
	s_or_b64 exec, exec, s[94:95]
	v_mov_b32_e32 v28, 0x8000
	s_movk_i32 s0, 0x208
	v_lshlrev_b32_e32 v29, 9, v25
	v_mov_b32_e32 v30, 0x3800
	v_lshl_add_u32 v27, v27, 3, v28
	v_mul_u32_u24_e32 v28, 0x208, v25
	v_sub_u32_e32 v29, 0, v29
	v_mad_u32_u24 v30, v25, s0, v30
	s_mov_b32 s94, 31
	s_xor_b64 s[20:21], s[16:17], -1
	s_branch .LBB42_544
.LBB42_543:                             ;   in Loop: Header=BB42_544 Depth=1
	s_or_b64 exec, exec, s[0:1]
	s_add_i32 s94, s94, -4
	s_cmp_eq_u32 s95, 0
	v_add_u32_e32 v29, 0xfffff800, v29
	s_barrier
	s_cbranch_scc1 .LBB42_560
.LBB42_544:                             ; =>This Inner Loop Header: Depth=1
	s_movk_i32 s0, 0xc200
	v_cmp_eq_u32_e64 s[16:17], s0, v29
	s_and_b64 s[16:17], s[20:21], s[16:17]
	s_and_saveexec_b64 s[0:1], s[16:17]
	s_cbranch_execz .LBB42_546
; %bb.545:                              ;   in Loop: Header=BB42_544 Depth=1
	ds_read_b64 v[31:32], v28
	s_waitcnt lgkmcnt(0)
	v_mul_f64 v[11:12], v[11:12], v[31:32]
	v_xor_b32_e32 v32, 0x80000000, v12
	v_mov_b32_e32 v31, v11
	ds_write_b64 v27, v[31:32]
.LBB42_546:                             ;   in Loop: Header=BB42_544 Depth=1
	s_or_b64 exec, exec, s[0:1]
	v_cmp_gt_u32_e64 s[16:17], s94, v25
	s_and_b64 s[16:17], s[20:21], s[16:17]
	v_add_u32_e32 v31, v30, v29
	s_waitcnt lgkmcnt(0)
	s_barrier
	s_and_saveexec_b64 s[0:1], s[16:17]
	s_cbranch_execz .LBB42_548
; %bb.547:                              ;   in Loop: Header=BB42_544 Depth=1
	ds_read_b64 v[32:33], v31 offset:1536
	ds_read_b64 v[34:35], v27
	s_waitcnt lgkmcnt(0)
	v_fma_f64 v[11:12], -v[32:33], v[34:35], v[11:12]
.LBB42_548:                             ;   in Loop: Header=BB42_544 Depth=1
	s_or_b64 exec, exec, s[0:1]
	s_add_i32 s95, s94, -1
	v_cmp_eq_u32_e64 s[16:17], s95, v25
	s_and_b64 s[16:17], s[20:21], s[16:17]
	s_barrier
	s_and_saveexec_b64 s[0:1], s[16:17]
	s_cbranch_execz .LBB42_550
; %bb.549:                              ;   in Loop: Header=BB42_544 Depth=1
	ds_read_b64 v[32:33], v28
	s_waitcnt lgkmcnt(0)
	v_mul_f64 v[11:12], v[11:12], v[32:33]
	v_xor_b32_e32 v33, 0x80000000, v12
	v_mov_b32_e32 v32, v11
	ds_write_b64 v27, v[32:33]
.LBB42_550:                             ;   in Loop: Header=BB42_544 Depth=1
	s_or_b64 exec, exec, s[0:1]
	v_cmp_gt_u32_e64 s[16:17], s95, v25
	s_and_b64 s[16:17], s[20:21], s[16:17]
	s_waitcnt lgkmcnt(0)
	s_barrier
	s_and_saveexec_b64 s[0:1], s[16:17]
	s_cbranch_execz .LBB42_552
; %bb.551:                              ;   in Loop: Header=BB42_544 Depth=1
	ds_read_b64 v[32:33], v31 offset:1024
	ds_read_b64 v[34:35], v27
	s_waitcnt lgkmcnt(0)
	v_fma_f64 v[11:12], -v[32:33], v[34:35], v[11:12]
.LBB42_552:                             ;   in Loop: Header=BB42_544 Depth=1
	s_or_b64 exec, exec, s[0:1]
	s_add_i32 s95, s94, -2
	v_cmp_eq_u32_e64 s[16:17], s95, v25
	s_and_b64 s[16:17], s[20:21], s[16:17]
	s_barrier
	s_and_saveexec_b64 s[0:1], s[16:17]
	s_cbranch_execz .LBB42_554
; %bb.553:                              ;   in Loop: Header=BB42_544 Depth=1
	ds_read_b64 v[32:33], v28
	s_waitcnt lgkmcnt(0)
	v_mul_f64 v[11:12], v[11:12], v[32:33]
	v_xor_b32_e32 v33, 0x80000000, v12
	v_mov_b32_e32 v32, v11
	ds_write_b64 v27, v[32:33]
.LBB42_554:                             ;   in Loop: Header=BB42_544 Depth=1
	s_or_b64 exec, exec, s[0:1]
	v_cmp_gt_u32_e64 s[16:17], s95, v25
	s_and_b64 s[16:17], s[20:21], s[16:17]
	;; [unrolled: 28-line block ×3, first 2 shown]
	s_waitcnt lgkmcnt(0)
	s_barrier
	s_and_saveexec_b64 s[0:1], s[16:17]
	s_cbranch_execz .LBB42_543
; %bb.559:                              ;   in Loop: Header=BB42_544 Depth=1
	ds_read_b64 v[31:32], v31
	ds_read_b64 v[33:34], v27
	s_waitcnt lgkmcnt(0)
	v_fma_f64 v[11:12], -v[31:32], v[33:34], v[11:12]
	s_branch .LBB42_543
.LBB42_560:
	s_and_saveexec_b64 s[0:1], s[14:15]
; %bb.561:
	v_lshlrev_b32_e32 v25, 3, v25
	v_lshl_or_b32 v25, v26, 9, v25
	ds_write_b64 v25, v[11:12] offset:16384
; %bb.562:
	s_or_b64 exec, exec, s[0:1]
	v_cmp_gt_u32_e64 s[14:15], 32, v0
	s_and_b64 s[0:1], s[12:13], s[14:15]
	s_waitcnt lgkmcnt(0)
	s_barrier
	s_barrier
	s_and_saveexec_b64 s[12:13], s[0:1]
	s_cbranch_execz .LBB42_564
; %bb.563:
	v_lshlrev_b32_e32 v25, 9, v0
	ds_read_b64 v[11:12], v25 offset:16384
	s_movk_i32 s0, 0xfe08
	v_mad_i32_i24 v26, v0, s0, v25
	s_waitcnt lgkmcnt(0)
	ds_write_b64 v26, v[11:12] offset:256
	ds_read_b64 v[11:12], v25 offset:16392
	s_waitcnt lgkmcnt(0)
	ds_write_b64 v26, v[11:12] offset:768
	ds_read_b64 v[11:12], v25 offset:16400
	;; [unrolled: 3-line block ×31, first 2 shown]
	s_waitcnt lgkmcnt(0)
	ds_write_b64 v26, v[11:12] offset:16128
.LBB42_564:
	s_or_b64 exec, exec, s[12:13]
	s_waitcnt lgkmcnt(0)
	s_barrier
	s_and_saveexec_b64 s[12:13], vcc
	s_cbranch_execz .LBB42_566
; %bb.565:
	v_mov_b32_e32 v11, 0
	ds_read_b128 v[25:28], v11 offset:16112
	ds_read_b64 v[11:12], v11 offset:15600
	s_movk_i32 s0, 0x3800
	s_waitcnt lgkmcnt(0)
	v_mul_f64 v[11:12], v[11:12], v[27:28]
	v_mul_f64 v[11:12], v[25:26], v[11:12]
	v_add_u32_e64 v25, s0, 0
	ds_write2_b64 v25, v[11:12], v[11:12] offset0:159 offset1:222
.LBB42_566:
	s_or_b64 exec, exec, s[12:13]
	v_mov_b32_e32 v11, 0
	v_mov_b32_e32 v12, 0
	s_waitcnt lgkmcnt(0)
	s_barrier
	buffer_wbinvl1_vol
	s_and_saveexec_b64 s[14:15], s[2:3]
	s_cbranch_execz .LBB42_570
; %bb.567:
	v_lshlrev_b32_e32 v25, 9, v13
	v_lshlrev_b32_e32 v11, 3, v1
	ds_read_b64 v[11:12], v11 offset:15584
	ds_read_b64 v[25:26], v25 offset:15600
	v_cmp_gt_u32_e64 s[12:13], 2, v15
	s_waitcnt lgkmcnt(0)
	v_fma_f64 v[11:12], v[11:12], v[25:26], 0
	s_and_saveexec_b64 s[0:1], s[12:13]
	s_cbranch_execz .LBB42_569
; %bb.568:
	v_lshlrev_b32_e32 v25, 3, v0
	v_mov_b32_e32 v27, 0
	ds_read_b64 v[25:26], v25 offset:16096
	ds_read_b64 v[27:28], v27 offset:16120
	s_waitcnt lgkmcnt(0)
	v_fma_f64 v[11:12], v[25:26], v[27:28], v[11:12]
.LBB42_569:
	s_or_b64 exec, exec, s[0:1]
.LBB42_570:
	s_or_b64 exec, exec, s[14:15]
	s_and_saveexec_b64 s[12:13], s[28:29]
	s_cbranch_execz .LBB42_572
; %bb.571:
	v_mov_b32_e32 v25, 0
	ds_read_b64 v[25:26], v25 offset:15080
	s_waitcnt lgkmcnt(0)
	v_mul_f64 v[11:12], v[11:12], v[25:26]
	v_xor_b32_e32 v26, 0x80000000, v12
	v_mov_b32_e32 v25, v11
	ds_write_b64 v14, v[25:26]
.LBB42_572:
	s_or_b64 exec, exec, s[12:13]
	s_waitcnt lgkmcnt(0)
	s_barrier
	s_and_saveexec_b64 s[0:1], s[26:27]
	s_cbranch_execz .LBB42_574
; %bb.573:
	v_mov_b32_e32 v25, 0
	ds_read_b64 v[25:26], v25 offset:15072
	ds_read_b64 v[27:28], v14
	s_waitcnt lgkmcnt(0)
	v_fma_f64 v[11:12], -v[25:26], v[27:28], v[11:12]
.LBB42_574:
	s_or_b64 exec, exec, s[0:1]
	s_barrier
	s_and_saveexec_b64 s[12:13], s[26:27]
	s_cbranch_execz .LBB42_576
; %bb.575:
	v_mov_b32_e32 v25, 0
	ds_read_b64 v[25:26], v25 offset:14560
	s_waitcnt lgkmcnt(0)
	v_mul_f64 v[11:12], v[11:12], v[25:26]
	v_xor_b32_e32 v26, 0x80000000, v12
	v_mov_b32_e32 v25, v11
	ds_write_b64 v14, v[25:26]
.LBB42_576:
	s_or_b64 exec, exec, s[12:13]
	s_waitcnt lgkmcnt(0)
	s_barrier
	s_barrier
	s_and_saveexec_b64 s[0:1], s[2:3]
; %bb.577:
	v_lshlrev_b32_e32 v25, 3, v1
	v_lshl_or_b32 v25, v13, 9, v25
	ds_write_b64 v25, v[11:12] offset:15584
; %bb.578:
	s_or_b64 exec, exec, s[0:1]
	s_waitcnt lgkmcnt(0)
	s_barrier
	s_barrier
	s_and_saveexec_b64 s[0:1], s[30:31]
	s_cbranch_execz .LBB42_580
; %bb.579:
	v_lshlrev_b32_e32 v25, 3, v0
	s_movk_i32 s12, 0x1f8
	v_mad_u32_u24 v26, v0, s12, v25
	ds_read_b64 v[11:12], v26 offset:15584
	s_waitcnt lgkmcnt(0)
	ds_write_b64 v25, v[11:12] offset:14576
	ds_read_b64 v[11:12], v26 offset:15592
	s_waitcnt lgkmcnt(0)
	ds_write_b64 v25, v[11:12] offset:15088
.LBB42_580:
	s_or_b64 exec, exec, s[0:1]
	s_waitcnt lgkmcnt(0)
	s_barrier
	s_and_saveexec_b64 s[12:13], vcc
	s_cbranch_execz .LBB42_582
; %bb.581:
	v_mov_b32_e32 v11, 0
	ds_read_b128 v[25:28], v11 offset:15072
	ds_read_b64 v[11:12], v11 offset:14560
	s_movk_i32 s0, 0x3800
	s_waitcnt lgkmcnt(0)
	v_mul_f64 v[11:12], v[11:12], v[27:28]
	v_mul_f64 v[11:12], v[25:26], v[11:12]
	v_add_u32_e64 v25, s0, 0
	ds_write2_b64 v25, v[11:12], v[11:12] offset0:29 offset1:92
.LBB42_582:
	s_or_b64 exec, exec, s[12:13]
	v_mov_b32_e32 v11, 0
	v_mov_b32_e32 v12, 0
	s_waitcnt lgkmcnt(0)
	s_barrier
	buffer_wbinvl1_vol
	s_and_saveexec_b64 s[14:15], s[18:19]
	s_cbranch_execz .LBB42_588
; %bb.583:
	v_lshlrev_b32_e32 v26, 3, v16
	v_lshlrev_b32_e32 v25, 9, v17
	ds_read_b64 v[11:12], v26 offset:14528
	ds_read_b64 v[27:28], v25 offset:14560
	v_cmp_gt_u32_e64 s[12:13], 12, v15
	s_waitcnt lgkmcnt(0)
	v_fma_f64 v[11:12], v[11:12], v[27:28], 0
	s_and_saveexec_b64 s[0:1], s[12:13]
	s_cbranch_execnz .LBB42_1124
; %bb.584:
	s_or_b64 exec, exec, s[0:1]
	v_cmp_gt_u32_e64 s[12:13], 8, v15
	s_and_saveexec_b64 s[0:1], s[12:13]
	s_cbranch_execnz .LBB42_1125
.LBB42_585:
	s_or_b64 exec, exec, s[0:1]
	v_cmp_gt_u32_e64 s[12:13], 4, v15
	s_and_saveexec_b64 s[0:1], s[12:13]
	s_cbranch_execz .LBB42_587
.LBB42_586:
	v_lshlrev_b32_e32 v25, 3, v0
	v_mov_b32_e32 v27, 0
	ds_read_b64 v[25:26], v25 offset:16064
	ds_read_b64 v[27:28], v27 offset:16120
	s_waitcnt lgkmcnt(0)
	v_fma_f64 v[11:12], v[25:26], v[27:28], v[11:12]
.LBB42_587:
	s_or_b64 exec, exec, s[0:1]
.LBB42_588:
	s_or_b64 exec, exec, s[14:15]
	s_and_saveexec_b64 s[12:13], s[36:37]
	s_cbranch_execz .LBB42_590
; %bb.589:
	v_mov_b32_e32 v25, 0
	ds_read_b64 v[25:26], v25 offset:14040
	s_waitcnt lgkmcnt(0)
	v_mul_f64 v[11:12], v[11:12], v[25:26]
	v_xor_b32_e32 v26, 0x80000000, v12
	v_mov_b32_e32 v25, v11
	ds_write_b64 v18, v[25:26]
.LBB42_590:
	s_or_b64 exec, exec, s[12:13]
	s_waitcnt lgkmcnt(0)
	s_barrier
	s_and_saveexec_b64 s[0:1], s[38:39]
	s_cbranch_execz .LBB42_592
; %bb.591:
	v_lshlrev_b32_e32 v25, 3, v16
	ds_read_b64 v[25:26], v25 offset:14016
	ds_read_b64 v[27:28], v18
	s_waitcnt lgkmcnt(0)
	v_fma_f64 v[11:12], -v[25:26], v[27:28], v[11:12]
.LBB42_592:
	s_or_b64 exec, exec, s[0:1]
	s_barrier
	s_and_saveexec_b64 s[12:13], s[42:43]
	s_cbranch_execz .LBB42_594
; %bb.593:
	v_mov_b32_e32 v25, 0
	ds_read_b64 v[25:26], v25 offset:13520
	s_waitcnt lgkmcnt(0)
	v_mul_f64 v[11:12], v[11:12], v[25:26]
	v_xor_b32_e32 v26, 0x80000000, v12
	v_mov_b32_e32 v25, v11
	ds_write_b64 v18, v[25:26]
.LBB42_594:
	s_or_b64 exec, exec, s[12:13]
	s_waitcnt lgkmcnt(0)
	s_barrier
	s_and_saveexec_b64 s[0:1], s[52:53]
	s_cbranch_execz .LBB42_596
; %bb.595:
	v_lshlrev_b32_e32 v25, 3, v16
	ds_read_b64 v[25:26], v25 offset:13504
	ds_read_b64 v[27:28], v18
	s_waitcnt lgkmcnt(0)
	v_fma_f64 v[11:12], -v[25:26], v[27:28], v[11:12]
.LBB42_596:
	s_or_b64 exec, exec, s[0:1]
	s_barrier
	s_and_saveexec_b64 s[12:13], s[54:55]
	s_cbranch_execz .LBB42_598
; %bb.597:
	v_mov_b32_e32 v25, 0
	ds_read_b64 v[25:26], v25 offset:13000
	s_waitcnt lgkmcnt(0)
	v_mul_f64 v[11:12], v[11:12], v[25:26]
	v_xor_b32_e32 v26, 0x80000000, v12
	v_mov_b32_e32 v25, v11
	ds_write_b64 v18, v[25:26]
.LBB42_598:
	s_or_b64 exec, exec, s[12:13]
	s_waitcnt lgkmcnt(0)
	s_barrier
	s_and_saveexec_b64 s[0:1], s[34:35]
	s_cbranch_execz .LBB42_600
; %bb.599:
	v_mov_b32_e32 v25, 0
	ds_read_b64 v[25:26], v25 offset:12992
	ds_read_b64 v[27:28], v18
	s_waitcnt lgkmcnt(0)
	v_fma_f64 v[11:12], -v[25:26], v[27:28], v[11:12]
.LBB42_600:
	s_or_b64 exec, exec, s[0:1]
	s_barrier
	s_and_saveexec_b64 s[12:13], s[34:35]
	s_cbranch_execz .LBB42_602
; %bb.601:
	v_mov_b32_e32 v25, 0
	ds_read_b64 v[25:26], v25 offset:12480
	s_waitcnt lgkmcnt(0)
	v_mul_f64 v[11:12], v[11:12], v[25:26]
	v_xor_b32_e32 v26, 0x80000000, v12
	v_mov_b32_e32 v25, v11
	ds_write_b64 v18, v[25:26]
.LBB42_602:
	s_or_b64 exec, exec, s[12:13]
	s_waitcnt lgkmcnt(0)
	s_barrier
	s_barrier
	s_and_saveexec_b64 s[0:1], s[18:19]
; %bb.603:
	v_lshlrev_b32_e32 v25, 3, v16
	v_lshl_or_b32 v25, v17, 9, v25
	ds_write_b64 v25, v[11:12] offset:14528
; %bb.604:
	s_or_b64 exec, exec, s[0:1]
	s_waitcnt lgkmcnt(0)
	s_barrier
	s_barrier
	s_and_saveexec_b64 s[12:13], s[56:57]
	s_cbranch_execz .LBB42_606
; %bb.605:
	v_lshlrev_b32_e32 v25, 9, v0
	ds_read_b64 v[11:12], v25 offset:14528
	s_movk_i32 s0, 0xfe08
	v_mad_i32_i24 v26, v0, s0, v25
	s_waitcnt lgkmcnt(0)
	ds_write_b64 v26, v[11:12] offset:12512
	ds_read_b64 v[11:12], v25 offset:14536
	s_waitcnt lgkmcnt(0)
	ds_write_b64 v26, v[11:12] offset:13024
	ds_read_b64 v[11:12], v25 offset:14544
	;; [unrolled: 3-line block ×3, first 2 shown]
	s_waitcnt lgkmcnt(0)
	ds_write_b64 v26, v[11:12] offset:14048
.LBB42_606:
	s_or_b64 exec, exec, s[12:13]
	s_waitcnt lgkmcnt(0)
	s_barrier
	s_and_saveexec_b64 s[12:13], vcc
	s_cbranch_execz .LBB42_608
; %bb.607:
	v_mov_b32_e32 v11, 0
	ds_read_b128 v[25:28], v11 offset:14032
	ds_read_b64 v[11:12], v11 offset:13520
	s_movk_i32 s0, 0x3000
	s_waitcnt lgkmcnt(0)
	v_mul_f64 v[11:12], v[11:12], v[27:28]
	v_mul_f64 v[11:12], v[25:26], v[11:12]
	v_add_u32_e64 v25, s0, 0
	ds_write2_b64 v25, v[11:12], v[11:12] offset0:155 offset1:218
.LBB42_608:
	s_or_b64 exec, exec, s[12:13]
	v_mov_b32_e32 v11, 0
	v_mov_b32_e32 v12, 0
	s_waitcnt lgkmcnt(0)
	s_barrier
	buffer_wbinvl1_vol
	s_and_saveexec_b64 s[14:15], s[2:3]
	s_cbranch_execz .LBB42_612
; %bb.609:
	v_lshlrev_b32_e32 v25, 9, v13
	v_lshlrev_b32_e32 v11, 3, v1
	ds_read_b64 v[11:12], v11 offset:13504
	ds_read_b64 v[25:26], v25 offset:13520
	v_cmp_gt_u32_e64 s[12:13], 2, v15
	s_waitcnt lgkmcnt(0)
	v_fma_f64 v[11:12], v[11:12], v[25:26], 0
	s_and_saveexec_b64 s[0:1], s[12:13]
	s_cbranch_execz .LBB42_611
; %bb.610:
	v_lshlrev_b32_e32 v25, 3, v0
	v_mov_b32_e32 v27, 0
	ds_read_b64 v[25:26], v25 offset:14016
	ds_read_b64 v[27:28], v27 offset:14040
	s_waitcnt lgkmcnt(0)
	v_fma_f64 v[11:12], v[25:26], v[27:28], v[11:12]
.LBB42_611:
	s_or_b64 exec, exec, s[0:1]
.LBB42_612:
	s_or_b64 exec, exec, s[14:15]
	s_and_saveexec_b64 s[12:13], s[28:29]
	s_cbranch_execz .LBB42_614
; %bb.613:
	v_mov_b32_e32 v25, 0
	ds_read_b64 v[25:26], v25 offset:13000
	s_waitcnt lgkmcnt(0)
	v_mul_f64 v[11:12], v[11:12], v[25:26]
	v_xor_b32_e32 v26, 0x80000000, v12
	v_mov_b32_e32 v25, v11
	ds_write_b64 v14, v[25:26]
.LBB42_614:
	s_or_b64 exec, exec, s[12:13]
	s_waitcnt lgkmcnt(0)
	s_barrier
	s_and_saveexec_b64 s[0:1], s[26:27]
	s_cbranch_execz .LBB42_616
; %bb.615:
	v_mov_b32_e32 v25, 0
	ds_read_b64 v[25:26], v25 offset:12992
	ds_read_b64 v[27:28], v14
	s_waitcnt lgkmcnt(0)
	v_fma_f64 v[11:12], -v[25:26], v[27:28], v[11:12]
.LBB42_616:
	s_or_b64 exec, exec, s[0:1]
	s_barrier
	s_and_saveexec_b64 s[12:13], s[26:27]
	s_cbranch_execz .LBB42_618
; %bb.617:
	v_mov_b32_e32 v25, 0
	ds_read_b64 v[25:26], v25 offset:12480
	s_waitcnt lgkmcnt(0)
	v_mul_f64 v[11:12], v[11:12], v[25:26]
	v_xor_b32_e32 v26, 0x80000000, v12
	v_mov_b32_e32 v25, v11
	ds_write_b64 v14, v[25:26]
.LBB42_618:
	s_or_b64 exec, exec, s[12:13]
	s_waitcnt lgkmcnt(0)
	s_barrier
	s_barrier
	s_and_saveexec_b64 s[0:1], s[2:3]
; %bb.619:
	v_lshlrev_b32_e32 v25, 3, v1
	v_lshl_or_b32 v25, v13, 9, v25
	ds_write_b64 v25, v[11:12] offset:13504
; %bb.620:
	s_or_b64 exec, exec, s[0:1]
	s_waitcnt lgkmcnt(0)
	s_barrier
	s_barrier
	s_and_saveexec_b64 s[0:1], s[30:31]
	s_cbranch_execz .LBB42_622
; %bb.621:
	v_lshlrev_b32_e32 v25, 3, v0
	s_movk_i32 s12, 0x1f8
	v_mad_u32_u24 v26, v0, s12, v25
	ds_read_b64 v[11:12], v26 offset:13504
	s_waitcnt lgkmcnt(0)
	ds_write_b64 v25, v[11:12] offset:12496
	ds_read_b64 v[11:12], v26 offset:13512
	s_waitcnt lgkmcnt(0)
	ds_write_b64 v25, v[11:12] offset:13008
.LBB42_622:
	s_or_b64 exec, exec, s[0:1]
	s_waitcnt lgkmcnt(0)
	s_barrier
	s_and_saveexec_b64 s[12:13], vcc
	s_cbranch_execz .LBB42_624
; %bb.623:
	v_mov_b32_e32 v11, 0
	ds_read_b128 v[25:28], v11 offset:12992
	ds_read_b64 v[11:12], v11 offset:12480
	s_movk_i32 s0, 0x3000
	s_waitcnt lgkmcnt(0)
	v_mul_f64 v[11:12], v[11:12], v[27:28]
	v_mul_f64 v[11:12], v[25:26], v[11:12]
	v_add_u32_e64 v25, s0, 0
	ds_write2_b64 v25, v[11:12], v[11:12] offset0:25 offset1:88
.LBB42_624:
	s_or_b64 exec, exec, s[12:13]
	v_mov_b32_e32 v11, 0
	v_mov_b32_e32 v12, 0
	s_waitcnt lgkmcnt(0)
	s_barrier
	buffer_wbinvl1_vol
	s_and_saveexec_b64 s[14:15], s[8:9]
	s_cbranch_execz .LBB42_634
; %bb.625:
	v_lshlrev_b32_e32 v26, 3, v19
	v_lshlrev_b32_e32 v25, 9, v20
	ds_read_b64 v[11:12], v26 offset:12416
	ds_read_b64 v[27:28], v25 offset:12480
	v_cmp_gt_u32_e64 s[12:13], 56, v15
	s_waitcnt lgkmcnt(0)
	v_fma_f64 v[11:12], v[11:12], v[27:28], 0
	s_and_saveexec_b64 s[0:1], s[12:13]
	s_cbranch_execnz .LBB42_1126
; %bb.626:
	s_or_b64 exec, exec, s[0:1]
	v_cmp_gt_u32_e64 s[12:13], 48, v15
	s_and_saveexec_b64 s[0:1], s[12:13]
	s_cbranch_execnz .LBB42_1127
.LBB42_627:
	s_or_b64 exec, exec, s[0:1]
	v_cmp_gt_u32_e64 s[12:13], 40, v15
	s_and_saveexec_b64 s[0:1], s[12:13]
	s_cbranch_execnz .LBB42_1128
.LBB42_628:
	s_or_b64 exec, exec, s[0:1]
	v_cmp_gt_u32_e64 s[12:13], 32, v15
	s_and_saveexec_b64 s[0:1], s[12:13]
	s_cbranch_execnz .LBB42_1129
.LBB42_629:
	s_or_b64 exec, exec, s[0:1]
	v_cmp_gt_u32_e64 s[12:13], 24, v15
	s_and_saveexec_b64 s[0:1], s[12:13]
	s_cbranch_execnz .LBB42_1130
.LBB42_630:
	s_or_b64 exec, exec, s[0:1]
	s_and_saveexec_b64 s[0:1], s[18:19]
	s_cbranch_execnz .LBB42_1131
.LBB42_631:
	s_or_b64 exec, exec, s[0:1]
	v_cmp_gt_u32_e64 s[12:13], 8, v15
	s_and_saveexec_b64 s[0:1], s[12:13]
	s_cbranch_execz .LBB42_633
.LBB42_632:
	v_lshlrev_b32_e32 v25, 3, v0
	v_mov_b32_e32 v27, 0
	ds_read_b64 v[25:26], v25 offset:16000
	ds_read_b64 v[27:28], v27 offset:16120
	s_waitcnt lgkmcnt(0)
	v_fma_f64 v[11:12], v[25:26], v[27:28], v[11:12]
.LBB42_633:
	s_or_b64 exec, exec, s[0:1]
.LBB42_634:
	s_or_b64 exec, exec, s[14:15]
	s_and_saveexec_b64 s[12:13], s[58:59]
	s_cbranch_execz .LBB42_636
; %bb.635:
	v_mov_b32_e32 v25, 0
	ds_read_b64 v[25:26], v25 offset:11960
	s_waitcnt lgkmcnt(0)
	v_mul_f64 v[11:12], v[11:12], v[25:26]
	v_xor_b32_e32 v26, 0x80000000, v12
	v_mov_b32_e32 v25, v11
	ds_write_b64 v21, v[25:26]
.LBB42_636:
	s_or_b64 exec, exec, s[12:13]
	s_waitcnt lgkmcnt(0)
	s_barrier
	s_and_saveexec_b64 s[0:1], s[60:61]
	s_cbranch_execz .LBB42_638
; %bb.637:
	v_lshlrev_b32_e32 v25, 3, v19
	ds_read_b64 v[25:26], v25 offset:11904
	ds_read_b64 v[27:28], v21
	s_waitcnt lgkmcnt(0)
	v_fma_f64 v[11:12], -v[25:26], v[27:28], v[11:12]
.LBB42_638:
	s_or_b64 exec, exec, s[0:1]
	s_barrier
	s_and_saveexec_b64 s[12:13], s[62:63]
	s_cbranch_execz .LBB42_640
; %bb.639:
	v_mov_b32_e32 v25, 0
	ds_read_b64 v[25:26], v25 offset:11440
	s_waitcnt lgkmcnt(0)
	v_mul_f64 v[11:12], v[11:12], v[25:26]
	v_xor_b32_e32 v26, 0x80000000, v12
	v_mov_b32_e32 v25, v11
	ds_write_b64 v21, v[25:26]
.LBB42_640:
	s_or_b64 exec, exec, s[12:13]
	s_waitcnt lgkmcnt(0)
	s_barrier
	s_and_saveexec_b64 s[0:1], s[64:65]
	s_cbranch_execz .LBB42_642
; %bb.641:
	v_lshlrev_b32_e32 v25, 3, v19
	ds_read_b64 v[25:26], v25 offset:11392
	ds_read_b64 v[27:28], v21
	s_waitcnt lgkmcnt(0)
	v_fma_f64 v[11:12], -v[25:26], v[27:28], v[11:12]
.LBB42_642:
	s_or_b64 exec, exec, s[0:1]
	s_barrier
	;; [unrolled: 25-line block ×6, first 2 shown]
	s_and_saveexec_b64 s[12:13], s[84:85]
	s_cbranch_execz .LBB42_660
; %bb.659:
	v_mov_b32_e32 v25, 0
	ds_read_b64 v[25:26], v25 offset:8840
	s_waitcnt lgkmcnt(0)
	v_mul_f64 v[11:12], v[11:12], v[25:26]
	v_xor_b32_e32 v26, 0x80000000, v12
	v_mov_b32_e32 v25, v11
	ds_write_b64 v21, v[25:26]
.LBB42_660:
	s_or_b64 exec, exec, s[12:13]
	s_waitcnt lgkmcnt(0)
	s_barrier
	s_and_saveexec_b64 s[0:1], s[68:69]
	s_cbranch_execz .LBB42_662
; %bb.661:
	v_mov_b32_e32 v25, 0
	ds_read_b64 v[25:26], v25 offset:8832
	ds_read_b64 v[27:28], v21
	s_waitcnt lgkmcnt(0)
	v_fma_f64 v[11:12], -v[25:26], v[27:28], v[11:12]
.LBB42_662:
	s_or_b64 exec, exec, s[0:1]
	s_barrier
	s_and_saveexec_b64 s[12:13], s[68:69]
	s_cbranch_execz .LBB42_664
; %bb.663:
	v_mov_b32_e32 v25, 0
	ds_read_b64 v[25:26], v25 offset:8320
	s_waitcnt lgkmcnt(0)
	v_mul_f64 v[11:12], v[11:12], v[25:26]
	v_xor_b32_e32 v26, 0x80000000, v12
	v_mov_b32_e32 v25, v11
	ds_write_b64 v21, v[25:26]
.LBB42_664:
	s_or_b64 exec, exec, s[12:13]
	s_waitcnt lgkmcnt(0)
	s_barrier
	s_barrier
	s_and_saveexec_b64 s[0:1], s[8:9]
; %bb.665:
	v_lshlrev_b32_e32 v25, 3, v19
	v_lshl_or_b32 v25, v20, 9, v25
	ds_write_b64 v25, v[11:12] offset:12416
; %bb.666:
	s_or_b64 exec, exec, s[0:1]
	s_waitcnt lgkmcnt(0)
	s_barrier
	s_barrier
	s_and_saveexec_b64 s[12:13], s[86:87]
	s_cbranch_execz .LBB42_668
; %bb.667:
	v_lshlrev_b32_e32 v25, 9, v0
	ds_read_b64 v[11:12], v25 offset:12416
	s_movk_i32 s0, 0xfe08
	v_mad_i32_i24 v26, v0, s0, v25
	s_waitcnt lgkmcnt(0)
	ds_write_b64 v26, v[11:12] offset:8384
	ds_read_b64 v[11:12], v25 offset:12424
	s_waitcnt lgkmcnt(0)
	ds_write_b64 v26, v[11:12] offset:8896
	ds_read_b64 v[11:12], v25 offset:12432
	;; [unrolled: 3-line block ×7, first 2 shown]
	s_waitcnt lgkmcnt(0)
	ds_write_b64 v26, v[11:12] offset:11968
.LBB42_668:
	s_or_b64 exec, exec, s[12:13]
	s_waitcnt lgkmcnt(0)
	s_barrier
	s_and_saveexec_b64 s[12:13], vcc
	s_cbranch_execz .LBB42_670
; %bb.669:
	v_mov_b32_e32 v11, 0
	ds_read_b128 v[25:28], v11 offset:11952
	ds_read_b64 v[11:12], v11 offset:11440
	s_movk_i32 s0, 0x2800
	s_waitcnt lgkmcnt(0)
	v_mul_f64 v[11:12], v[11:12], v[27:28]
	v_mul_f64 v[11:12], v[25:26], v[11:12]
	v_add_u32_e64 v25, s0, 0
	ds_write2_b64 v25, v[11:12], v[11:12] offset0:151 offset1:214
.LBB42_670:
	s_or_b64 exec, exec, s[12:13]
	v_mov_b32_e32 v11, 0
	v_mov_b32_e32 v12, 0
	s_waitcnt lgkmcnt(0)
	s_barrier
	buffer_wbinvl1_vol
	s_and_saveexec_b64 s[14:15], s[2:3]
	s_cbranch_execz .LBB42_674
; %bb.671:
	v_lshlrev_b32_e32 v25, 9, v13
	v_lshlrev_b32_e32 v11, 3, v1
	ds_read_b64 v[11:12], v11 offset:11424
	ds_read_b64 v[25:26], v25 offset:11440
	v_cmp_gt_u32_e64 s[12:13], 2, v15
	s_waitcnt lgkmcnt(0)
	v_fma_f64 v[11:12], v[11:12], v[25:26], 0
	s_and_saveexec_b64 s[0:1], s[12:13]
	s_cbranch_execz .LBB42_673
; %bb.672:
	v_lshlrev_b32_e32 v25, 3, v0
	v_mov_b32_e32 v27, 0
	ds_read_b64 v[25:26], v25 offset:11936
	ds_read_b64 v[27:28], v27 offset:11960
	s_waitcnt lgkmcnt(0)
	v_fma_f64 v[11:12], v[25:26], v[27:28], v[11:12]
.LBB42_673:
	s_or_b64 exec, exec, s[0:1]
.LBB42_674:
	s_or_b64 exec, exec, s[14:15]
	s_and_saveexec_b64 s[12:13], s[28:29]
	s_cbranch_execz .LBB42_676
; %bb.675:
	v_mov_b32_e32 v25, 0
	ds_read_b64 v[25:26], v25 offset:10920
	s_waitcnt lgkmcnt(0)
	v_mul_f64 v[11:12], v[11:12], v[25:26]
	v_xor_b32_e32 v26, 0x80000000, v12
	v_mov_b32_e32 v25, v11
	ds_write_b64 v14, v[25:26]
.LBB42_676:
	s_or_b64 exec, exec, s[12:13]
	s_waitcnt lgkmcnt(0)
	s_barrier
	s_and_saveexec_b64 s[0:1], s[26:27]
	s_cbranch_execz .LBB42_678
; %bb.677:
	v_mov_b32_e32 v25, 0
	ds_read_b64 v[25:26], v25 offset:10912
	ds_read_b64 v[27:28], v14
	s_waitcnt lgkmcnt(0)
	v_fma_f64 v[11:12], -v[25:26], v[27:28], v[11:12]
.LBB42_678:
	s_or_b64 exec, exec, s[0:1]
	s_barrier
	s_and_saveexec_b64 s[12:13], s[26:27]
	s_cbranch_execz .LBB42_680
; %bb.679:
	v_mov_b32_e32 v25, 0
	ds_read_b64 v[25:26], v25 offset:10400
	s_waitcnt lgkmcnt(0)
	v_mul_f64 v[11:12], v[11:12], v[25:26]
	v_xor_b32_e32 v26, 0x80000000, v12
	v_mov_b32_e32 v25, v11
	ds_write_b64 v14, v[25:26]
.LBB42_680:
	s_or_b64 exec, exec, s[12:13]
	s_waitcnt lgkmcnt(0)
	s_barrier
	s_barrier
	s_and_saveexec_b64 s[0:1], s[2:3]
; %bb.681:
	v_lshlrev_b32_e32 v25, 3, v1
	v_lshl_or_b32 v25, v13, 9, v25
	ds_write_b64 v25, v[11:12] offset:11424
; %bb.682:
	s_or_b64 exec, exec, s[0:1]
	s_waitcnt lgkmcnt(0)
	s_barrier
	s_barrier
	s_and_saveexec_b64 s[0:1], s[30:31]
	s_cbranch_execz .LBB42_684
; %bb.683:
	v_lshlrev_b32_e32 v25, 3, v0
	s_movk_i32 s12, 0x1f8
	v_mad_u32_u24 v26, v0, s12, v25
	ds_read_b64 v[11:12], v26 offset:11424
	s_waitcnt lgkmcnt(0)
	ds_write_b64 v25, v[11:12] offset:10416
	ds_read_b64 v[11:12], v26 offset:11432
	s_waitcnt lgkmcnt(0)
	ds_write_b64 v25, v[11:12] offset:10928
.LBB42_684:
	s_or_b64 exec, exec, s[0:1]
	s_waitcnt lgkmcnt(0)
	s_barrier
	s_and_saveexec_b64 s[12:13], vcc
	s_cbranch_execz .LBB42_686
; %bb.685:
	v_mov_b32_e32 v11, 0
	ds_read_b128 v[25:28], v11 offset:10912
	ds_read_b64 v[11:12], v11 offset:10400
	s_movk_i32 s0, 0x2800
	s_waitcnt lgkmcnt(0)
	v_mul_f64 v[11:12], v[11:12], v[27:28]
	v_mul_f64 v[11:12], v[25:26], v[11:12]
	v_add_u32_e64 v25, s0, 0
	ds_write2_b64 v25, v[11:12], v[11:12] offset0:21 offset1:84
.LBB42_686:
	s_or_b64 exec, exec, s[12:13]
	v_mov_b32_e32 v11, 0
	v_mov_b32_e32 v12, 0
	s_waitcnt lgkmcnt(0)
	s_barrier
	buffer_wbinvl1_vol
	s_and_saveexec_b64 s[14:15], s[18:19]
	s_cbranch_execz .LBB42_692
; %bb.687:
	v_lshlrev_b32_e32 v26, 3, v16
	v_lshlrev_b32_e32 v25, 9, v17
	ds_read_b64 v[11:12], v26 offset:10368
	ds_read_b64 v[27:28], v25 offset:10400
	v_cmp_gt_u32_e64 s[12:13], 12, v15
	s_waitcnt lgkmcnt(0)
	v_fma_f64 v[11:12], v[11:12], v[27:28], 0
	s_and_saveexec_b64 s[0:1], s[12:13]
	s_cbranch_execnz .LBB42_1132
; %bb.688:
	s_or_b64 exec, exec, s[0:1]
	v_cmp_gt_u32_e64 s[12:13], 8, v15
	s_and_saveexec_b64 s[0:1], s[12:13]
	s_cbranch_execnz .LBB42_1133
.LBB42_689:
	s_or_b64 exec, exec, s[0:1]
	v_cmp_gt_u32_e64 s[12:13], 4, v15
	s_and_saveexec_b64 s[0:1], s[12:13]
	s_cbranch_execz .LBB42_691
.LBB42_690:
	v_lshlrev_b32_e32 v25, 3, v0
	v_mov_b32_e32 v27, 0
	ds_read_b64 v[25:26], v25 offset:11904
	ds_read_b64 v[27:28], v27 offset:11960
	s_waitcnt lgkmcnt(0)
	v_fma_f64 v[11:12], v[25:26], v[27:28], v[11:12]
.LBB42_691:
	s_or_b64 exec, exec, s[0:1]
.LBB42_692:
	s_or_b64 exec, exec, s[14:15]
	s_and_saveexec_b64 s[12:13], s[36:37]
	s_cbranch_execz .LBB42_694
; %bb.693:
	v_mov_b32_e32 v25, 0
	ds_read_b64 v[25:26], v25 offset:9880
	s_waitcnt lgkmcnt(0)
	v_mul_f64 v[11:12], v[11:12], v[25:26]
	v_xor_b32_e32 v26, 0x80000000, v12
	v_mov_b32_e32 v25, v11
	ds_write_b64 v18, v[25:26]
.LBB42_694:
	s_or_b64 exec, exec, s[12:13]
	s_waitcnt lgkmcnt(0)
	s_barrier
	s_and_saveexec_b64 s[0:1], s[38:39]
	s_cbranch_execz .LBB42_696
; %bb.695:
	v_lshlrev_b32_e32 v25, 3, v16
	ds_read_b64 v[25:26], v25 offset:9856
	ds_read_b64 v[27:28], v18
	s_waitcnt lgkmcnt(0)
	v_fma_f64 v[11:12], -v[25:26], v[27:28], v[11:12]
.LBB42_696:
	s_or_b64 exec, exec, s[0:1]
	s_barrier
	s_and_saveexec_b64 s[12:13], s[42:43]
	s_cbranch_execz .LBB42_698
; %bb.697:
	v_mov_b32_e32 v25, 0
	ds_read_b64 v[25:26], v25 offset:9360
	s_waitcnt lgkmcnt(0)
	v_mul_f64 v[11:12], v[11:12], v[25:26]
	v_xor_b32_e32 v26, 0x80000000, v12
	v_mov_b32_e32 v25, v11
	ds_write_b64 v18, v[25:26]
.LBB42_698:
	s_or_b64 exec, exec, s[12:13]
	s_waitcnt lgkmcnt(0)
	s_barrier
	s_and_saveexec_b64 s[0:1], s[52:53]
	s_cbranch_execz .LBB42_700
; %bb.699:
	v_lshlrev_b32_e32 v25, 3, v16
	ds_read_b64 v[25:26], v25 offset:9344
	ds_read_b64 v[27:28], v18
	s_waitcnt lgkmcnt(0)
	v_fma_f64 v[11:12], -v[25:26], v[27:28], v[11:12]
.LBB42_700:
	s_or_b64 exec, exec, s[0:1]
	s_barrier
	s_and_saveexec_b64 s[12:13], s[54:55]
	s_cbranch_execz .LBB42_702
; %bb.701:
	v_mov_b32_e32 v25, 0
	ds_read_b64 v[25:26], v25 offset:8840
	s_waitcnt lgkmcnt(0)
	v_mul_f64 v[11:12], v[11:12], v[25:26]
	v_xor_b32_e32 v26, 0x80000000, v12
	v_mov_b32_e32 v25, v11
	ds_write_b64 v18, v[25:26]
.LBB42_702:
	s_or_b64 exec, exec, s[12:13]
	s_waitcnt lgkmcnt(0)
	s_barrier
	s_and_saveexec_b64 s[0:1], s[34:35]
	s_cbranch_execz .LBB42_704
; %bb.703:
	v_mov_b32_e32 v25, 0
	ds_read_b64 v[25:26], v25 offset:8832
	ds_read_b64 v[27:28], v18
	s_waitcnt lgkmcnt(0)
	v_fma_f64 v[11:12], -v[25:26], v[27:28], v[11:12]
.LBB42_704:
	s_or_b64 exec, exec, s[0:1]
	s_barrier
	s_and_saveexec_b64 s[12:13], s[34:35]
	s_cbranch_execz .LBB42_706
; %bb.705:
	v_mov_b32_e32 v25, 0
	ds_read_b64 v[25:26], v25 offset:8320
	s_waitcnt lgkmcnt(0)
	v_mul_f64 v[11:12], v[11:12], v[25:26]
	v_xor_b32_e32 v26, 0x80000000, v12
	v_mov_b32_e32 v25, v11
	ds_write_b64 v18, v[25:26]
.LBB42_706:
	s_or_b64 exec, exec, s[12:13]
	s_waitcnt lgkmcnt(0)
	s_barrier
	s_barrier
	s_and_saveexec_b64 s[0:1], s[18:19]
; %bb.707:
	v_lshlrev_b32_e32 v25, 3, v16
	v_lshl_or_b32 v25, v17, 9, v25
	ds_write_b64 v25, v[11:12] offset:10368
; %bb.708:
	s_or_b64 exec, exec, s[0:1]
	s_waitcnt lgkmcnt(0)
	s_barrier
	s_barrier
	s_and_saveexec_b64 s[12:13], s[56:57]
	s_cbranch_execz .LBB42_710
; %bb.709:
	v_lshlrev_b32_e32 v25, 9, v0
	ds_read_b64 v[11:12], v25 offset:10368
	s_movk_i32 s0, 0xfe08
	v_mad_i32_i24 v26, v0, s0, v25
	s_waitcnt lgkmcnt(0)
	ds_write_b64 v26, v[11:12] offset:8352
	ds_read_b64 v[11:12], v25 offset:10376
	s_waitcnt lgkmcnt(0)
	ds_write_b64 v26, v[11:12] offset:8864
	ds_read_b64 v[11:12], v25 offset:10384
	;; [unrolled: 3-line block ×3, first 2 shown]
	s_waitcnt lgkmcnt(0)
	ds_write_b64 v26, v[11:12] offset:9888
.LBB42_710:
	s_or_b64 exec, exec, s[12:13]
	s_waitcnt lgkmcnt(0)
	s_barrier
	s_and_saveexec_b64 s[12:13], vcc
	s_cbranch_execz .LBB42_712
; %bb.711:
	v_mov_b32_e32 v11, 0
	ds_read_b128 v[25:28], v11 offset:9872
	ds_read_b64 v[11:12], v11 offset:9360
	s_movk_i32 s0, 0x2000
	s_waitcnt lgkmcnt(0)
	v_mul_f64 v[11:12], v[11:12], v[27:28]
	v_mul_f64 v[11:12], v[25:26], v[11:12]
	v_add_u32_e64 v25, s0, 0
	ds_write2_b64 v25, v[11:12], v[11:12] offset0:147 offset1:210
.LBB42_712:
	s_or_b64 exec, exec, s[12:13]
	v_mov_b32_e32 v11, 0
	v_mov_b32_e32 v12, 0
	s_waitcnt lgkmcnt(0)
	s_barrier
	buffer_wbinvl1_vol
	s_and_saveexec_b64 s[14:15], s[2:3]
	s_cbranch_execz .LBB42_716
; %bb.713:
	v_lshlrev_b32_e32 v25, 9, v13
	v_lshlrev_b32_e32 v11, 3, v1
	ds_read_b64 v[11:12], v11 offset:9344
	ds_read_b64 v[25:26], v25 offset:9360
	v_cmp_gt_u32_e64 s[12:13], 2, v15
	s_waitcnt lgkmcnt(0)
	v_fma_f64 v[11:12], v[11:12], v[25:26], 0
	s_and_saveexec_b64 s[0:1], s[12:13]
	s_cbranch_execz .LBB42_715
; %bb.714:
	v_lshlrev_b32_e32 v25, 3, v0
	v_mov_b32_e32 v27, 0
	ds_read_b64 v[25:26], v25 offset:9856
	ds_read_b64 v[27:28], v27 offset:9880
	s_waitcnt lgkmcnt(0)
	v_fma_f64 v[11:12], v[25:26], v[27:28], v[11:12]
.LBB42_715:
	s_or_b64 exec, exec, s[0:1]
.LBB42_716:
	s_or_b64 exec, exec, s[14:15]
	s_and_saveexec_b64 s[12:13], s[28:29]
	s_cbranch_execz .LBB42_718
; %bb.717:
	v_mov_b32_e32 v25, 0
	ds_read_b64 v[25:26], v25 offset:8840
	s_waitcnt lgkmcnt(0)
	v_mul_f64 v[11:12], v[11:12], v[25:26]
	v_xor_b32_e32 v26, 0x80000000, v12
	v_mov_b32_e32 v25, v11
	ds_write_b64 v14, v[25:26]
.LBB42_718:
	s_or_b64 exec, exec, s[12:13]
	s_waitcnt lgkmcnt(0)
	s_barrier
	s_and_saveexec_b64 s[0:1], s[26:27]
	s_cbranch_execz .LBB42_720
; %bb.719:
	v_mov_b32_e32 v25, 0
	ds_read_b64 v[25:26], v25 offset:8832
	ds_read_b64 v[27:28], v14
	s_waitcnt lgkmcnt(0)
	v_fma_f64 v[11:12], -v[25:26], v[27:28], v[11:12]
.LBB42_720:
	s_or_b64 exec, exec, s[0:1]
	s_barrier
	s_and_saveexec_b64 s[12:13], s[26:27]
	s_cbranch_execz .LBB42_722
; %bb.721:
	v_mov_b32_e32 v25, 0
	ds_read_b64 v[25:26], v25 offset:8320
	s_waitcnt lgkmcnt(0)
	v_mul_f64 v[11:12], v[11:12], v[25:26]
	v_xor_b32_e32 v26, 0x80000000, v12
	v_mov_b32_e32 v25, v11
	ds_write_b64 v14, v[25:26]
.LBB42_722:
	s_or_b64 exec, exec, s[12:13]
	s_waitcnt lgkmcnt(0)
	s_barrier
	s_barrier
	s_and_saveexec_b64 s[0:1], s[2:3]
; %bb.723:
	v_lshlrev_b32_e32 v25, 3, v1
	v_lshl_or_b32 v25, v13, 9, v25
	ds_write_b64 v25, v[11:12] offset:9344
; %bb.724:
	s_or_b64 exec, exec, s[0:1]
	s_waitcnt lgkmcnt(0)
	s_barrier
	s_barrier
	s_and_saveexec_b64 s[0:1], s[30:31]
	s_cbranch_execz .LBB42_726
; %bb.725:
	v_lshlrev_b32_e32 v25, 3, v0
	s_movk_i32 s12, 0x1f8
	v_mad_u32_u24 v26, v0, s12, v25
	ds_read_b64 v[11:12], v26 offset:9344
	s_waitcnt lgkmcnt(0)
	ds_write_b64 v25, v[11:12] offset:8336
	ds_read_b64 v[11:12], v26 offset:9352
	s_waitcnt lgkmcnt(0)
	ds_write_b64 v25, v[11:12] offset:8848
.LBB42_726:
	s_or_b64 exec, exec, s[0:1]
	s_waitcnt lgkmcnt(0)
	s_barrier
	s_and_saveexec_b64 s[12:13], vcc
	s_cbranch_execz .LBB42_728
; %bb.727:
	v_mov_b32_e32 v11, 0
	ds_read_b128 v[25:28], v11 offset:8832
	ds_read_b64 v[11:12], v11 offset:8320
	s_movk_i32 s0, 0x2000
	s_waitcnt lgkmcnt(0)
	v_mul_f64 v[11:12], v[11:12], v[27:28]
	v_mul_f64 v[11:12], v[25:26], v[11:12]
	v_add_u32_e64 v25, s0, 0
	ds_write2_b64 v25, v[11:12], v[11:12] offset0:17 offset1:80
.LBB42_728:
	s_or_b64 exec, exec, s[12:13]
	v_mov_b32_e32 v11, 0
	v_mov_b32_e32 v12, 0
	s_waitcnt lgkmcnt(0)
	s_barrier
	buffer_wbinvl1_vol
	s_and_saveexec_b64 s[14:15], s[10:11]
	s_cbranch_execz .LBB42_756
; %bb.729:
	v_lshlrev_b32_e32 v26, 3, v22
	v_lshlrev_b32_e32 v25, 9, v23
	ds_read_b64 v[11:12], v26 offset:8192
	ds_read_b64 v[27:28], v25 offset:8320
	s_movk_i32 s0, 0xf0
	v_cmp_gt_u32_e64 s[12:13], s0, v15
	s_waitcnt lgkmcnt(0)
	v_fma_f64 v[11:12], v[11:12], v[27:28], 0
	s_and_saveexec_b64 s[0:1], s[12:13]
	s_cbranch_execz .LBB42_731
; %bb.730:
	ds_read_b64 v[27:28], v26 offset:8704
	ds_read_b64 v[29:30], v25 offset:8328
	s_waitcnt lgkmcnt(0)
	v_fma_f64 v[11:12], v[27:28], v[29:30], v[11:12]
.LBB42_731:
	s_or_b64 exec, exec, s[0:1]
	s_movk_i32 s0, 0xe0
	v_cmp_gt_u32_e64 s[12:13], s0, v15
	s_and_saveexec_b64 s[0:1], s[12:13]
	s_cbranch_execz .LBB42_733
; %bb.732:
	ds_read_b64 v[27:28], v26 offset:9216
	ds_read_b64 v[29:30], v25 offset:8336
	s_waitcnt lgkmcnt(0)
	v_fma_f64 v[11:12], v[27:28], v[29:30], v[11:12]
.LBB42_733:
	s_or_b64 exec, exec, s[0:1]
	s_movk_i32 s0, 0xd0
	v_cmp_gt_u32_e64 s[12:13], s0, v15
	;; [unrolled: 11-line block ×10, first 2 shown]
	s_and_saveexec_b64 s[0:1], s[12:13]
	s_cbranch_execnz .LBB42_1134
; %bb.750:
	s_or_b64 exec, exec, s[0:1]
	s_and_saveexec_b64 s[0:1], s[8:9]
	s_cbranch_execnz .LBB42_1135
.LBB42_751:
	s_or_b64 exec, exec, s[0:1]
	v_cmp_gt_u32_e64 s[12:13], 48, v15
	s_and_saveexec_b64 s[0:1], s[12:13]
	s_cbranch_execnz .LBB42_1136
.LBB42_752:
	s_or_b64 exec, exec, s[0:1]
	v_cmp_gt_u32_e64 s[12:13], 32, v15
	s_and_saveexec_b64 s[0:1], s[12:13]
	s_cbranch_execnz .LBB42_1137
.LBB42_753:
	s_or_b64 exec, exec, s[0:1]
	v_cmp_gt_u32_e64 s[12:13], 16, v15
	s_and_saveexec_b64 s[0:1], s[12:13]
	s_cbranch_execz .LBB42_755
.LBB42_754:
	v_lshlrev_b32_e32 v25, 3, v0
	v_mov_b32_e32 v27, 0
	ds_read_b64 v[25:26], v25 offset:15872
	ds_read_b64 v[27:28], v27 offset:16120
	s_waitcnt lgkmcnt(0)
	v_fma_f64 v[11:12], v[25:26], v[27:28], v[11:12]
.LBB42_755:
	s_or_b64 exec, exec, s[0:1]
.LBB42_756:
	s_or_b64 exec, exec, s[14:15]
	s_mov_b64 s[12:13], exec
	v_readlane_b32 s0, v36, 3
	v_readlane_b32 s1, v36, 4
	s_and_b64 s[0:1], s[12:13], s[0:1]
	s_mov_b64 exec, s[0:1]
	s_cbranch_execz .LBB42_758
; %bb.757:
	v_mov_b32_e32 v25, 0
	ds_read_b64 v[25:26], v25 offset:7800
	s_waitcnt lgkmcnt(0)
	v_mul_f64 v[11:12], v[11:12], v[25:26]
	v_xor_b32_e32 v26, 0x80000000, v12
	v_mov_b32_e32 v25, v11
	ds_write_b64 v24, v[25:26]
.LBB42_758:
	s_or_b64 exec, exec, s[12:13]
	s_waitcnt lgkmcnt(0)
	s_barrier
	s_mov_b64 s[0:1], exec
	v_readlane_b32 s12, v36, 5
	v_readlane_b32 s13, v36, 6
	s_and_b64 s[12:13], s[0:1], s[12:13]
	s_mov_b64 exec, s[12:13]
	s_cbranch_execz .LBB42_760
; %bb.759:
	v_lshlrev_b32_e32 v25, 3, v22
	ds_read_b64 v[25:26], v25 offset:7680
	ds_read_b64 v[27:28], v24
	s_waitcnt lgkmcnt(0)
	v_fma_f64 v[11:12], -v[25:26], v[27:28], v[11:12]
.LBB42_760:
	s_or_b64 exec, exec, s[0:1]
	s_barrier
	s_mov_b64 s[12:13], exec
	v_readlane_b32 s0, v36, 7
	v_readlane_b32 s1, v36, 8
	s_and_b64 s[0:1], s[12:13], s[0:1]
	s_mov_b64 exec, s[0:1]
	s_cbranch_execz .LBB42_762
; %bb.761:
	v_mov_b32_e32 v25, 0
	ds_read_b64 v[25:26], v25 offset:7280
	s_waitcnt lgkmcnt(0)
	v_mul_f64 v[11:12], v[11:12], v[25:26]
	v_xor_b32_e32 v26, 0x80000000, v12
	v_mov_b32_e32 v25, v11
	ds_write_b64 v24, v[25:26]
.LBB42_762:
	s_or_b64 exec, exec, s[12:13]
	s_waitcnt lgkmcnt(0)
	s_barrier
	s_mov_b64 s[0:1], exec
	v_readlane_b32 s12, v36, 9
	v_readlane_b32 s13, v36, 10
	s_and_b64 s[12:13], s[0:1], s[12:13]
	s_mov_b64 exec, s[12:13]
	s_cbranch_execz .LBB42_764
; %bb.763:
	v_lshlrev_b32_e32 v25, 3, v22
	ds_read_b64 v[25:26], v25 offset:7168
	ds_read_b64 v[27:28], v24
	s_waitcnt lgkmcnt(0)
	v_fma_f64 v[11:12], -v[25:26], v[27:28], v[11:12]
.LBB42_764:
	s_or_b64 exec, exec, s[0:1]
	s_barrier
	;; [unrolled: 33-line block ×14, first 2 shown]
	s_mov_b64 s[0:1], exec
	v_readlane_b32 s12, v36, 59
	v_readlane_b32 s13, v36, 60
	s_and_b64 s[12:13], s[0:1], s[12:13]
	s_mov_b64 exec, s[12:13]
	s_cbranch_execz .LBB42_814
; %bb.813:
	v_mov_b32_e32 v25, 0
	ds_read_b64 v[25:26], v25 offset:520
	s_waitcnt lgkmcnt(0)
	v_mul_f64 v[11:12], v[11:12], v[25:26]
	v_xor_b32_e32 v26, 0x80000000, v12
	v_mov_b32_e32 v25, v11
	ds_write_b64 v24, v[25:26]
.LBB42_814:
	s_or_b64 exec, exec, s[0:1]
	s_waitcnt lgkmcnt(0)
	s_barrier
	s_and_saveexec_b64 s[0:1], s[90:91]
	s_cbranch_execz .LBB42_816
; %bb.815:
	v_mov_b32_e32 v25, 0
	ds_read_b64 v[25:26], v25 offset:512
	ds_read_b64 v[27:28], v24
	s_waitcnt lgkmcnt(0)
	v_fma_f64 v[11:12], -v[25:26], v[27:28], v[11:12]
.LBB42_816:
	s_or_b64 exec, exec, s[0:1]
	s_barrier
	s_and_saveexec_b64 s[0:1], s[90:91]
	s_cbranch_execz .LBB42_818
; %bb.817:
	v_mov_b32_e32 v25, 0
	ds_read_b64 v[25:26], v25
	s_waitcnt lgkmcnt(0)
	v_mul_f64 v[11:12], v[11:12], v[25:26]
	v_xor_b32_e32 v26, 0x80000000, v12
	v_mov_b32_e32 v25, v11
	ds_write_b64 v24, v[25:26]
.LBB42_818:
	s_or_b64 exec, exec, s[0:1]
	s_waitcnt lgkmcnt(0)
	s_barrier
	s_barrier
	s_and_saveexec_b64 s[0:1], s[10:11]
; %bb.819:
	v_lshlrev_b32_e32 v22, 3, v22
	v_lshl_or_b32 v22, v23, 9, v22
	ds_write_b64 v22, v[11:12] offset:8192
; %bb.820:
	s_or_b64 exec, exec, s[0:1]
	s_waitcnt lgkmcnt(0)
	s_barrier
	s_barrier
	s_mov_b64 s[0:1], exec
	v_readlane_b32 s10, v36, 61
	v_readlane_b32 s11, v36, 62
	s_and_b64 s[10:11], s[0:1], s[10:11]
	s_mov_b64 exec, s[10:11]
	s_cbranch_execz .LBB42_822
; %bb.821:
	v_lshlrev_b32_e32 v22, 9, v0
	ds_read_b64 v[11:12], v22 offset:8192
	s_movk_i32 s10, 0xfe08
	v_mad_i32_i24 v23, v0, s10, v22
	s_waitcnt lgkmcnt(0)
	ds_write_b64 v23, v[11:12] offset:128
	ds_read_b64 v[11:12], v22 offset:8200
	s_waitcnt lgkmcnt(0)
	ds_write_b64 v23, v[11:12] offset:640
	ds_read_b64 v[11:12], v22 offset:8208
	;; [unrolled: 3-line block ×15, first 2 shown]
	s_waitcnt lgkmcnt(0)
	ds_write_b64 v23, v[11:12] offset:7808
.LBB42_822:
	s_or_b64 exec, exec, s[0:1]
	s_waitcnt lgkmcnt(0)
	s_barrier
	s_and_saveexec_b64 s[0:1], vcc
	s_cbranch_execz .LBB42_824
; %bb.823:
	v_mov_b32_e32 v11, 0
	ds_read_b128 v[22:25], v11 offset:7792
	ds_read_b64 v[11:12], v11 offset:7280
	s_movk_i32 s10, 0x1800
	s_waitcnt lgkmcnt(0)
	v_mul_f64 v[11:12], v[11:12], v[24:25]
	v_mul_f64 v[11:12], v[22:23], v[11:12]
	v_add_u32_e64 v22, s10, 0
	ds_write2_b64 v22, v[11:12], v[11:12] offset0:143 offset1:206
.LBB42_824:
	s_or_b64 exec, exec, s[0:1]
	v_mov_b32_e32 v11, 0
	v_mov_b32_e32 v12, 0
	s_waitcnt lgkmcnt(0)
	s_barrier
	buffer_wbinvl1_vol
	s_and_saveexec_b64 s[0:1], s[2:3]
	s_cbranch_execz .LBB42_828
; %bb.825:
	v_lshlrev_b32_e32 v22, 9, v13
	v_lshlrev_b32_e32 v11, 3, v1
	ds_read_b64 v[11:12], v11 offset:7264
	ds_read_b64 v[22:23], v22 offset:7280
	v_cmp_gt_u32_e64 s[10:11], 2, v15
	s_waitcnt lgkmcnt(0)
	v_fma_f64 v[11:12], v[11:12], v[22:23], 0
	s_and_saveexec_b64 s[12:13], s[10:11]
	s_cbranch_execz .LBB42_827
; %bb.826:
	v_lshlrev_b32_e32 v22, 3, v0
	v_mov_b32_e32 v24, 0
	ds_read_b64 v[22:23], v22 offset:7776
	ds_read_b64 v[24:25], v24 offset:7800
	s_waitcnt lgkmcnt(0)
	v_fma_f64 v[11:12], v[22:23], v[24:25], v[11:12]
.LBB42_827:
	s_or_b64 exec, exec, s[12:13]
.LBB42_828:
	s_or_b64 exec, exec, s[0:1]
	s_and_saveexec_b64 s[0:1], s[28:29]
	s_cbranch_execz .LBB42_830
; %bb.829:
	v_mov_b32_e32 v22, 0
	ds_read_b64 v[22:23], v22 offset:6760
	s_waitcnt lgkmcnt(0)
	v_mul_f64 v[11:12], v[11:12], v[22:23]
	v_xor_b32_e32 v23, 0x80000000, v12
	v_mov_b32_e32 v22, v11
	ds_write_b64 v14, v[22:23]
.LBB42_830:
	s_or_b64 exec, exec, s[0:1]
	s_waitcnt lgkmcnt(0)
	s_barrier
	s_and_saveexec_b64 s[0:1], s[26:27]
	s_cbranch_execz .LBB42_832
; %bb.831:
	v_mov_b32_e32 v22, 0
	ds_read_b64 v[22:23], v22 offset:6752
	ds_read_b64 v[24:25], v14
	s_waitcnt lgkmcnt(0)
	v_fma_f64 v[11:12], -v[22:23], v[24:25], v[11:12]
.LBB42_832:
	s_or_b64 exec, exec, s[0:1]
	s_barrier
	s_and_saveexec_b64 s[0:1], s[26:27]
	s_cbranch_execz .LBB42_834
; %bb.833:
	v_mov_b32_e32 v22, 0
	ds_read_b64 v[22:23], v22 offset:6240
	s_waitcnt lgkmcnt(0)
	v_mul_f64 v[11:12], v[11:12], v[22:23]
	v_xor_b32_e32 v23, 0x80000000, v12
	v_mov_b32_e32 v22, v11
	ds_write_b64 v14, v[22:23]
.LBB42_834:
	s_or_b64 exec, exec, s[0:1]
	s_waitcnt lgkmcnt(0)
	s_barrier
	s_barrier
	s_and_saveexec_b64 s[0:1], s[2:3]
; %bb.835:
	v_lshlrev_b32_e32 v22, 3, v1
	v_lshl_or_b32 v22, v13, 9, v22
	ds_write_b64 v22, v[11:12] offset:7264
; %bb.836:
	s_or_b64 exec, exec, s[0:1]
	s_waitcnt lgkmcnt(0)
	s_barrier
	s_barrier
	s_and_saveexec_b64 s[0:1], s[30:31]
	s_cbranch_execz .LBB42_838
; %bb.837:
	v_lshlrev_b32_e32 v22, 3, v0
	s_movk_i32 s10, 0x1f8
	v_mad_u32_u24 v23, v0, s10, v22
	ds_read_b64 v[11:12], v23 offset:7264
	s_waitcnt lgkmcnt(0)
	ds_write_b64 v22, v[11:12] offset:6256
	ds_read_b64 v[11:12], v23 offset:7272
	s_waitcnt lgkmcnt(0)
	ds_write_b64 v22, v[11:12] offset:6768
.LBB42_838:
	s_or_b64 exec, exec, s[0:1]
	s_waitcnt lgkmcnt(0)
	s_barrier
	s_and_saveexec_b64 s[0:1], vcc
	s_cbranch_execz .LBB42_840
; %bb.839:
	v_mov_b32_e32 v11, 0
	ds_read_b128 v[22:25], v11 offset:6752
	ds_read_b64 v[11:12], v11 offset:6240
	s_movk_i32 s10, 0x1800
	s_waitcnt lgkmcnt(0)
	v_mul_f64 v[11:12], v[11:12], v[24:25]
	v_mul_f64 v[11:12], v[22:23], v[11:12]
	v_add_u32_e64 v22, s10, 0
	ds_write2_b64 v22, v[11:12], v[11:12] offset0:13 offset1:76
.LBB42_840:
	s_or_b64 exec, exec, s[0:1]
	v_mov_b32_e32 v11, 0
	v_mov_b32_e32 v12, 0
	s_waitcnt lgkmcnt(0)
	s_barrier
	buffer_wbinvl1_vol
	s_and_saveexec_b64 s[0:1], s[18:19]
	s_cbranch_execz .LBB42_846
; %bb.841:
	v_lshlrev_b32_e32 v23, 3, v16
	v_lshlrev_b32_e32 v22, 9, v17
	ds_read_b64 v[11:12], v23 offset:6208
	ds_read_b64 v[24:25], v22 offset:6240
	v_cmp_gt_u32_e64 s[10:11], 12, v15
	s_waitcnt lgkmcnt(0)
	v_fma_f64 v[11:12], v[11:12], v[24:25], 0
	s_and_saveexec_b64 s[12:13], s[10:11]
	s_cbranch_execnz .LBB42_1138
; %bb.842:
	s_or_b64 exec, exec, s[12:13]
	v_cmp_gt_u32_e64 s[10:11], 8, v15
	s_and_saveexec_b64 s[12:13], s[10:11]
	s_cbranch_execnz .LBB42_1139
.LBB42_843:
	s_or_b64 exec, exec, s[12:13]
	v_cmp_gt_u32_e64 s[10:11], 4, v15
	s_and_saveexec_b64 s[12:13], s[10:11]
	s_cbranch_execz .LBB42_845
.LBB42_844:
	v_lshlrev_b32_e32 v22, 3, v0
	v_mov_b32_e32 v24, 0
	ds_read_b64 v[22:23], v22 offset:7744
	ds_read_b64 v[24:25], v24 offset:7800
	s_waitcnt lgkmcnt(0)
	v_fma_f64 v[11:12], v[22:23], v[24:25], v[11:12]
.LBB42_845:
	s_or_b64 exec, exec, s[12:13]
.LBB42_846:
	s_or_b64 exec, exec, s[0:1]
	s_and_saveexec_b64 s[0:1], s[36:37]
	s_cbranch_execz .LBB42_848
; %bb.847:
	v_mov_b32_e32 v22, 0
	ds_read_b64 v[22:23], v22 offset:5720
	s_waitcnt lgkmcnt(0)
	v_mul_f64 v[11:12], v[11:12], v[22:23]
	v_xor_b32_e32 v23, 0x80000000, v12
	v_mov_b32_e32 v22, v11
	ds_write_b64 v18, v[22:23]
.LBB42_848:
	s_or_b64 exec, exec, s[0:1]
	s_waitcnt lgkmcnt(0)
	s_barrier
	s_and_saveexec_b64 s[0:1], s[38:39]
	s_cbranch_execz .LBB42_850
; %bb.849:
	v_lshlrev_b32_e32 v22, 3, v16
	ds_read_b64 v[22:23], v22 offset:5696
	ds_read_b64 v[24:25], v18
	s_waitcnt lgkmcnt(0)
	v_fma_f64 v[11:12], -v[22:23], v[24:25], v[11:12]
.LBB42_850:
	s_or_b64 exec, exec, s[0:1]
	s_barrier
	s_and_saveexec_b64 s[0:1], s[42:43]
	s_cbranch_execz .LBB42_852
; %bb.851:
	v_mov_b32_e32 v22, 0
	ds_read_b64 v[22:23], v22 offset:5200
	s_waitcnt lgkmcnt(0)
	v_mul_f64 v[11:12], v[11:12], v[22:23]
	v_xor_b32_e32 v23, 0x80000000, v12
	v_mov_b32_e32 v22, v11
	ds_write_b64 v18, v[22:23]
.LBB42_852:
	s_or_b64 exec, exec, s[0:1]
	s_waitcnt lgkmcnt(0)
	s_barrier
	s_and_saveexec_b64 s[0:1], s[52:53]
	s_cbranch_execz .LBB42_854
; %bb.853:
	v_lshlrev_b32_e32 v22, 3, v16
	ds_read_b64 v[22:23], v22 offset:5184
	ds_read_b64 v[24:25], v18
	s_waitcnt lgkmcnt(0)
	v_fma_f64 v[11:12], -v[22:23], v[24:25], v[11:12]
.LBB42_854:
	s_or_b64 exec, exec, s[0:1]
	s_barrier
	s_and_saveexec_b64 s[0:1], s[54:55]
	s_cbranch_execz .LBB42_856
; %bb.855:
	v_mov_b32_e32 v22, 0
	ds_read_b64 v[22:23], v22 offset:4680
	s_waitcnt lgkmcnt(0)
	v_mul_f64 v[11:12], v[11:12], v[22:23]
	v_xor_b32_e32 v23, 0x80000000, v12
	v_mov_b32_e32 v22, v11
	ds_write_b64 v18, v[22:23]
.LBB42_856:
	s_or_b64 exec, exec, s[0:1]
	s_waitcnt lgkmcnt(0)
	s_barrier
	s_and_saveexec_b64 s[0:1], s[34:35]
	s_cbranch_execz .LBB42_858
; %bb.857:
	v_mov_b32_e32 v22, 0
	ds_read_b64 v[22:23], v22 offset:4672
	ds_read_b64 v[24:25], v18
	s_waitcnt lgkmcnt(0)
	v_fma_f64 v[11:12], -v[22:23], v[24:25], v[11:12]
.LBB42_858:
	s_or_b64 exec, exec, s[0:1]
	s_barrier
	s_and_saveexec_b64 s[0:1], s[34:35]
	s_cbranch_execz .LBB42_860
; %bb.859:
	v_mov_b32_e32 v22, 0
	ds_read_b64 v[22:23], v22 offset:4160
	s_waitcnt lgkmcnt(0)
	v_mul_f64 v[11:12], v[11:12], v[22:23]
	v_xor_b32_e32 v23, 0x80000000, v12
	v_mov_b32_e32 v22, v11
	ds_write_b64 v18, v[22:23]
.LBB42_860:
	s_or_b64 exec, exec, s[0:1]
	s_waitcnt lgkmcnt(0)
	s_barrier
	s_barrier
	s_and_saveexec_b64 s[0:1], s[18:19]
; %bb.861:
	v_lshlrev_b32_e32 v22, 3, v16
	v_lshl_or_b32 v22, v17, 9, v22
	ds_write_b64 v22, v[11:12] offset:6208
; %bb.862:
	s_or_b64 exec, exec, s[0:1]
	s_waitcnt lgkmcnt(0)
	s_barrier
	s_barrier
	s_and_saveexec_b64 s[0:1], s[56:57]
	s_cbranch_execz .LBB42_864
; %bb.863:
	v_lshlrev_b32_e32 v22, 9, v0
	ds_read_b64 v[11:12], v22 offset:6208
	s_movk_i32 s10, 0xfe08
	v_mad_i32_i24 v23, v0, s10, v22
	s_waitcnt lgkmcnt(0)
	ds_write_b64 v23, v[11:12] offset:4192
	ds_read_b64 v[11:12], v22 offset:6216
	s_waitcnt lgkmcnt(0)
	ds_write_b64 v23, v[11:12] offset:4704
	ds_read_b64 v[11:12], v22 offset:6224
	;; [unrolled: 3-line block ×3, first 2 shown]
	s_waitcnt lgkmcnt(0)
	ds_write_b64 v23, v[11:12] offset:5728
.LBB42_864:
	s_or_b64 exec, exec, s[0:1]
	s_waitcnt lgkmcnt(0)
	s_barrier
	s_and_saveexec_b64 s[0:1], vcc
	s_cbranch_execz .LBB42_866
; %bb.865:
	v_mov_b32_e32 v11, 0
	ds_read_b128 v[22:25], v11 offset:5712
	ds_read_b64 v[11:12], v11 offset:5200
	s_movk_i32 s10, 0x1000
	s_waitcnt lgkmcnt(0)
	v_mul_f64 v[11:12], v[11:12], v[24:25]
	v_mul_f64 v[11:12], v[22:23], v[11:12]
	v_add_u32_e64 v22, s10, 0
	ds_write2_b64 v22, v[11:12], v[11:12] offset0:139 offset1:202
.LBB42_866:
	s_or_b64 exec, exec, s[0:1]
	v_mov_b32_e32 v11, 0
	v_mov_b32_e32 v12, 0
	s_waitcnt lgkmcnt(0)
	s_barrier
	buffer_wbinvl1_vol
	s_and_saveexec_b64 s[0:1], s[2:3]
	s_cbranch_execz .LBB42_870
; %bb.867:
	v_lshlrev_b32_e32 v22, 9, v13
	v_lshlrev_b32_e32 v11, 3, v1
	ds_read_b64 v[11:12], v11 offset:5184
	ds_read_b64 v[22:23], v22 offset:5200
	v_cmp_gt_u32_e64 s[10:11], 2, v15
	s_waitcnt lgkmcnt(0)
	v_fma_f64 v[11:12], v[11:12], v[22:23], 0
	s_and_saveexec_b64 s[12:13], s[10:11]
	s_cbranch_execz .LBB42_869
; %bb.868:
	v_lshlrev_b32_e32 v22, 3, v0
	v_mov_b32_e32 v24, 0
	ds_read_b64 v[22:23], v22 offset:5696
	ds_read_b64 v[24:25], v24 offset:5720
	s_waitcnt lgkmcnt(0)
	v_fma_f64 v[11:12], v[22:23], v[24:25], v[11:12]
.LBB42_869:
	s_or_b64 exec, exec, s[12:13]
.LBB42_870:
	s_or_b64 exec, exec, s[0:1]
	s_and_saveexec_b64 s[0:1], s[28:29]
	s_cbranch_execz .LBB42_872
; %bb.871:
	v_mov_b32_e32 v22, 0
	ds_read_b64 v[22:23], v22 offset:4680
	s_waitcnt lgkmcnt(0)
	v_mul_f64 v[11:12], v[11:12], v[22:23]
	v_xor_b32_e32 v23, 0x80000000, v12
	v_mov_b32_e32 v22, v11
	ds_write_b64 v14, v[22:23]
.LBB42_872:
	s_or_b64 exec, exec, s[0:1]
	s_waitcnt lgkmcnt(0)
	s_barrier
	s_and_saveexec_b64 s[0:1], s[26:27]
	s_cbranch_execz .LBB42_874
; %bb.873:
	v_mov_b32_e32 v22, 0
	ds_read_b64 v[22:23], v22 offset:4672
	ds_read_b64 v[24:25], v14
	s_waitcnt lgkmcnt(0)
	v_fma_f64 v[11:12], -v[22:23], v[24:25], v[11:12]
.LBB42_874:
	s_or_b64 exec, exec, s[0:1]
	s_barrier
	s_and_saveexec_b64 s[0:1], s[26:27]
	s_cbranch_execz .LBB42_876
; %bb.875:
	v_mov_b32_e32 v22, 0
	ds_read_b64 v[22:23], v22 offset:4160
	s_waitcnt lgkmcnt(0)
	v_mul_f64 v[11:12], v[11:12], v[22:23]
	v_xor_b32_e32 v23, 0x80000000, v12
	v_mov_b32_e32 v22, v11
	ds_write_b64 v14, v[22:23]
.LBB42_876:
	s_or_b64 exec, exec, s[0:1]
	s_waitcnt lgkmcnt(0)
	s_barrier
	s_barrier
	s_and_saveexec_b64 s[0:1], s[2:3]
; %bb.877:
	v_lshlrev_b32_e32 v22, 3, v1
	v_lshl_or_b32 v22, v13, 9, v22
	ds_write_b64 v22, v[11:12] offset:5184
; %bb.878:
	s_or_b64 exec, exec, s[0:1]
	s_waitcnt lgkmcnt(0)
	s_barrier
	s_barrier
	s_and_saveexec_b64 s[0:1], s[30:31]
	s_cbranch_execz .LBB42_880
; %bb.879:
	v_lshlrev_b32_e32 v22, 3, v0
	s_movk_i32 s10, 0x1f8
	v_mad_u32_u24 v23, v0, s10, v22
	ds_read_b64 v[11:12], v23 offset:5184
	s_waitcnt lgkmcnt(0)
	ds_write_b64 v22, v[11:12] offset:4176
	ds_read_b64 v[11:12], v23 offset:5192
	s_waitcnt lgkmcnt(0)
	ds_write_b64 v22, v[11:12] offset:4688
.LBB42_880:
	s_or_b64 exec, exec, s[0:1]
	s_waitcnt lgkmcnt(0)
	s_barrier
	s_and_saveexec_b64 s[0:1], vcc
	s_cbranch_execz .LBB42_882
; %bb.881:
	v_mov_b32_e32 v11, 0
	ds_read_b128 v[22:25], v11 offset:4672
	ds_read_b64 v[11:12], v11 offset:4160
	s_movk_i32 s10, 0x1000
	s_waitcnt lgkmcnt(0)
	v_mul_f64 v[11:12], v[11:12], v[24:25]
	v_mul_f64 v[11:12], v[22:23], v[11:12]
	v_add_u32_e64 v22, s10, 0
	ds_write2_b64 v22, v[11:12], v[11:12] offset0:9 offset1:72
.LBB42_882:
	s_or_b64 exec, exec, s[0:1]
	v_mov_b32_e32 v11, 0
	v_mov_b32_e32 v12, 0
	s_waitcnt lgkmcnt(0)
	s_barrier
	buffer_wbinvl1_vol
	s_and_saveexec_b64 s[0:1], s[8:9]
	s_cbranch_execz .LBB42_892
; %bb.883:
	v_lshlrev_b32_e32 v23, 3, v19
	v_lshlrev_b32_e32 v22, 9, v20
	ds_read_b64 v[11:12], v23 offset:4096
	ds_read_b64 v[24:25], v22 offset:4160
	v_cmp_gt_u32_e64 s[10:11], 56, v15
	s_waitcnt lgkmcnt(0)
	v_fma_f64 v[11:12], v[11:12], v[24:25], 0
	s_and_saveexec_b64 s[12:13], s[10:11]
	s_cbranch_execnz .LBB42_1140
; %bb.884:
	s_or_b64 exec, exec, s[12:13]
	v_cmp_gt_u32_e64 s[10:11], 48, v15
	s_and_saveexec_b64 s[12:13], s[10:11]
	s_cbranch_execnz .LBB42_1141
.LBB42_885:
	s_or_b64 exec, exec, s[12:13]
	v_cmp_gt_u32_e64 s[10:11], 40, v15
	s_and_saveexec_b64 s[12:13], s[10:11]
	s_cbranch_execnz .LBB42_1142
.LBB42_886:
	s_or_b64 exec, exec, s[12:13]
	v_cmp_gt_u32_e64 s[10:11], 32, v15
	s_and_saveexec_b64 s[12:13], s[10:11]
	s_cbranch_execnz .LBB42_1143
.LBB42_887:
	s_or_b64 exec, exec, s[12:13]
	v_cmp_gt_u32_e64 s[10:11], 24, v15
	s_and_saveexec_b64 s[12:13], s[10:11]
	s_cbranch_execnz .LBB42_1144
.LBB42_888:
	s_or_b64 exec, exec, s[12:13]
	s_and_saveexec_b64 s[10:11], s[18:19]
	s_cbranch_execnz .LBB42_1145
.LBB42_889:
	s_or_b64 exec, exec, s[10:11]
	v_cmp_gt_u32_e64 s[10:11], 8, v15
	s_and_saveexec_b64 s[12:13], s[10:11]
	s_cbranch_execz .LBB42_891
.LBB42_890:
	v_lshlrev_b32_e32 v22, 3, v0
	v_mov_b32_e32 v24, 0
	ds_read_b64 v[22:23], v22 offset:7680
	ds_read_b64 v[24:25], v24 offset:7800
	s_waitcnt lgkmcnt(0)
	v_fma_f64 v[11:12], v[22:23], v[24:25], v[11:12]
.LBB42_891:
	s_or_b64 exec, exec, s[12:13]
.LBB42_892:
	s_or_b64 exec, exec, s[0:1]
	s_and_saveexec_b64 s[0:1], s[58:59]
	s_cbranch_execz .LBB42_894
; %bb.893:
	v_mov_b32_e32 v22, 0
	ds_read_b64 v[22:23], v22 offset:3640
	s_waitcnt lgkmcnt(0)
	v_mul_f64 v[11:12], v[11:12], v[22:23]
	v_xor_b32_e32 v23, 0x80000000, v12
	v_mov_b32_e32 v22, v11
	ds_write_b64 v21, v[22:23]
.LBB42_894:
	s_or_b64 exec, exec, s[0:1]
	s_waitcnt lgkmcnt(0)
	s_barrier
	s_and_saveexec_b64 s[0:1], s[60:61]
	v_readlane_b32 s58, v36, 1
	v_readlane_b32 s59, v36, 2
	s_cbranch_execz .LBB42_896
; %bb.895:
	v_lshlrev_b32_e32 v22, 3, v19
	ds_read_b64 v[22:23], v22 offset:3584
	ds_read_b64 v[24:25], v21
	s_waitcnt lgkmcnt(0)
	v_fma_f64 v[11:12], -v[22:23], v[24:25], v[11:12]
.LBB42_896:
	s_or_b64 exec, exec, s[0:1]
	s_barrier
	s_and_saveexec_b64 s[0:1], s[62:63]
	s_cbranch_execz .LBB42_898
; %bb.897:
	v_mov_b32_e32 v22, 0
	ds_read_b64 v[22:23], v22 offset:3120
	s_waitcnt lgkmcnt(0)
	v_mul_f64 v[11:12], v[11:12], v[22:23]
	v_xor_b32_e32 v23, 0x80000000, v12
	v_mov_b32_e32 v22, v11
	ds_write_b64 v21, v[22:23]
.LBB42_898:
	s_or_b64 exec, exec, s[0:1]
	s_waitcnt lgkmcnt(0)
	s_barrier
	s_and_saveexec_b64 s[0:1], s[64:65]
	s_cbranch_execz .LBB42_900
; %bb.899:
	v_lshlrev_b32_e32 v22, 3, v19
	ds_read_b64 v[22:23], v22 offset:3072
	ds_read_b64 v[24:25], v21
	s_waitcnt lgkmcnt(0)
	v_fma_f64 v[11:12], -v[22:23], v[24:25], v[11:12]
.LBB42_900:
	s_or_b64 exec, exec, s[0:1]
	s_barrier
	s_and_saveexec_b64 s[0:1], s[66:67]
	s_cbranch_execz .LBB42_902
; %bb.901:
	v_mov_b32_e32 v22, 0
	ds_read_b64 v[22:23], v22 offset:2600
	s_waitcnt lgkmcnt(0)
	v_mul_f64 v[11:12], v[11:12], v[22:23]
	v_xor_b32_e32 v23, 0x80000000, v12
	v_mov_b32_e32 v22, v11
	ds_write_b64 v21, v[22:23]
.LBB42_902:
	s_or_b64 exec, exec, s[0:1]
	s_waitcnt lgkmcnt(0)
	s_barrier
	s_and_saveexec_b64 s[0:1], s[70:71]
	;; [unrolled: 25-line block ×6, first 2 shown]
	s_cbranch_execz .LBB42_920
; %bb.919:
	v_mov_b32_e32 v22, 0
	ds_read_b64 v[22:23], v22 offset:512
	ds_read_b64 v[24:25], v21
	s_waitcnt lgkmcnt(0)
	v_fma_f64 v[11:12], -v[22:23], v[24:25], v[11:12]
.LBB42_920:
	s_or_b64 exec, exec, s[0:1]
	s_barrier
	s_and_saveexec_b64 s[0:1], s[68:69]
	s_cbranch_execz .LBB42_922
; %bb.921:
	v_mov_b32_e32 v22, 0
	ds_read_b64 v[22:23], v22
	s_waitcnt lgkmcnt(0)
	v_mul_f64 v[11:12], v[11:12], v[22:23]
	v_xor_b32_e32 v23, 0x80000000, v12
	v_mov_b32_e32 v22, v11
	ds_write_b64 v21, v[22:23]
.LBB42_922:
	s_or_b64 exec, exec, s[0:1]
	s_waitcnt lgkmcnt(0)
	s_barrier
	s_barrier
	s_and_saveexec_b64 s[0:1], s[8:9]
; %bb.923:
	v_lshlrev_b32_e32 v19, 3, v19
	v_lshl_or_b32 v19, v20, 9, v19
	ds_write_b64 v19, v[11:12] offset:4096
; %bb.924:
	s_or_b64 exec, exec, s[0:1]
	s_waitcnt lgkmcnt(0)
	s_barrier
	s_barrier
	s_and_saveexec_b64 s[0:1], s[86:87]
	s_cbranch_execz .LBB42_926
; %bb.925:
	v_lshlrev_b32_e32 v19, 9, v0
	ds_read_b64 v[11:12], v19 offset:4096
	s_movk_i32 s8, 0xfe08
	v_mad_i32_i24 v20, v0, s8, v19
	s_waitcnt lgkmcnt(0)
	ds_write_b64 v20, v[11:12] offset:64
	ds_read_b64 v[11:12], v19 offset:4104
	s_waitcnt lgkmcnt(0)
	ds_write_b64 v20, v[11:12] offset:576
	ds_read_b64 v[11:12], v19 offset:4112
	;; [unrolled: 3-line block ×7, first 2 shown]
	s_waitcnt lgkmcnt(0)
	ds_write_b64 v20, v[11:12] offset:3648
.LBB42_926:
	s_or_b64 exec, exec, s[0:1]
	s_waitcnt lgkmcnt(0)
	s_barrier
	s_and_saveexec_b64 s[0:1], vcc
	s_cbranch_execz .LBB42_928
; %bb.927:
	v_mov_b32_e32 v11, 0
	ds_read_b128 v[19:22], v11 offset:3632
	ds_read_b64 v[11:12], v11 offset:3120
	s_movk_i32 s8, 0x800
	s_waitcnt lgkmcnt(0)
	v_mul_f64 v[11:12], v[11:12], v[21:22]
	v_mul_f64 v[11:12], v[19:20], v[11:12]
	v_add_u32_e64 v19, s8, 0
	ds_write2_b64 v19, v[11:12], v[11:12] offset0:135 offset1:198
.LBB42_928:
	s_or_b64 exec, exec, s[0:1]
	v_mov_b32_e32 v11, 0
	v_mov_b32_e32 v12, 0
	s_waitcnt lgkmcnt(0)
	s_barrier
	buffer_wbinvl1_vol
	s_and_saveexec_b64 s[0:1], s[2:3]
	s_cbranch_execz .LBB42_932
; %bb.929:
	v_lshlrev_b32_e32 v19, 9, v13
	v_lshlrev_b32_e32 v11, 3, v1
	ds_read_b64 v[11:12], v11 offset:3104
	ds_read_b64 v[19:20], v19 offset:3120
	v_cmp_gt_u32_e64 s[8:9], 2, v15
	s_waitcnt lgkmcnt(0)
	v_fma_f64 v[11:12], v[11:12], v[19:20], 0
	s_and_saveexec_b64 s[10:11], s[8:9]
	s_cbranch_execz .LBB42_931
; %bb.930:
	v_lshlrev_b32_e32 v19, 3, v0
	v_mov_b32_e32 v21, 0
	ds_read_b64 v[19:20], v19 offset:3616
	ds_read_b64 v[21:22], v21 offset:3640
	s_waitcnt lgkmcnt(0)
	v_fma_f64 v[11:12], v[19:20], v[21:22], v[11:12]
.LBB42_931:
	s_or_b64 exec, exec, s[10:11]
.LBB42_932:
	s_or_b64 exec, exec, s[0:1]
	s_and_saveexec_b64 s[0:1], s[28:29]
	s_cbranch_execz .LBB42_934
; %bb.933:
	v_mov_b32_e32 v19, 0
	ds_read_b64 v[19:20], v19 offset:2600
	s_waitcnt lgkmcnt(0)
	v_mul_f64 v[11:12], v[11:12], v[19:20]
	v_xor_b32_e32 v20, 0x80000000, v12
	v_mov_b32_e32 v19, v11
	ds_write_b64 v14, v[19:20]
.LBB42_934:
	s_or_b64 exec, exec, s[0:1]
	s_waitcnt lgkmcnt(0)
	s_barrier
	s_and_saveexec_b64 s[0:1], s[26:27]
	s_cbranch_execz .LBB42_936
; %bb.935:
	v_mov_b32_e32 v19, 0
	ds_read_b64 v[19:20], v19 offset:2592
	ds_read_b64 v[21:22], v14
	s_waitcnt lgkmcnt(0)
	v_fma_f64 v[11:12], -v[19:20], v[21:22], v[11:12]
.LBB42_936:
	s_or_b64 exec, exec, s[0:1]
	s_barrier
	s_and_saveexec_b64 s[0:1], s[26:27]
	s_cbranch_execz .LBB42_938
; %bb.937:
	v_mov_b32_e32 v19, 0
	ds_read_b64 v[19:20], v19 offset:2080
	s_waitcnt lgkmcnt(0)
	v_mul_f64 v[11:12], v[11:12], v[19:20]
	v_xor_b32_e32 v20, 0x80000000, v12
	v_mov_b32_e32 v19, v11
	ds_write_b64 v14, v[19:20]
.LBB42_938:
	s_or_b64 exec, exec, s[0:1]
	s_waitcnt lgkmcnt(0)
	s_barrier
	s_barrier
	s_and_saveexec_b64 s[0:1], s[2:3]
; %bb.939:
	v_lshlrev_b32_e32 v19, 3, v1
	v_lshl_or_b32 v19, v13, 9, v19
	ds_write_b64 v19, v[11:12] offset:3104
; %bb.940:
	s_or_b64 exec, exec, s[0:1]
	s_waitcnt lgkmcnt(0)
	s_barrier
	s_barrier
	s_and_saveexec_b64 s[0:1], s[30:31]
	s_cbranch_execz .LBB42_942
; %bb.941:
	v_lshlrev_b32_e32 v19, 3, v0
	s_movk_i32 s8, 0x1f8
	v_mad_u32_u24 v20, v0, s8, v19
	ds_read_b64 v[11:12], v20 offset:3104
	s_waitcnt lgkmcnt(0)
	ds_write_b64 v19, v[11:12] offset:2096
	ds_read_b64 v[11:12], v20 offset:3112
	s_waitcnt lgkmcnt(0)
	ds_write_b64 v19, v[11:12] offset:2608
.LBB42_942:
	s_or_b64 exec, exec, s[0:1]
	s_waitcnt lgkmcnt(0)
	s_barrier
	s_and_saveexec_b64 s[0:1], vcc
	s_cbranch_execz .LBB42_944
; %bb.943:
	v_mov_b32_e32 v11, 0
	ds_read_b128 v[19:22], v11 offset:2592
	ds_read_b64 v[11:12], v11 offset:2080
	s_movk_i32 s8, 0x800
	s_waitcnt lgkmcnt(0)
	v_mul_f64 v[11:12], v[11:12], v[21:22]
	v_mul_f64 v[11:12], v[19:20], v[11:12]
	v_add_u32_e64 v19, s8, 0
	ds_write2_b64 v19, v[11:12], v[11:12] offset0:5 offset1:68
.LBB42_944:
	s_or_b64 exec, exec, s[0:1]
	v_mov_b32_e32 v11, 0
	v_mov_b32_e32 v12, 0
	s_waitcnt lgkmcnt(0)
	s_barrier
	buffer_wbinvl1_vol
	s_and_saveexec_b64 s[0:1], s[18:19]
	s_cbranch_execz .LBB42_950
; %bb.945:
	v_lshlrev_b32_e32 v20, 3, v16
	v_lshlrev_b32_e32 v19, 9, v17
	ds_read_b64 v[11:12], v20 offset:2048
	ds_read_b64 v[21:22], v19 offset:2080
	v_cmp_gt_u32_e64 s[8:9], 12, v15
	s_waitcnt lgkmcnt(0)
	v_fma_f64 v[11:12], v[11:12], v[21:22], 0
	s_and_saveexec_b64 s[10:11], s[8:9]
	s_cbranch_execnz .LBB42_1146
; %bb.946:
	s_or_b64 exec, exec, s[10:11]
	v_cmp_gt_u32_e64 s[8:9], 8, v15
	s_and_saveexec_b64 s[10:11], s[8:9]
	s_cbranch_execnz .LBB42_1147
.LBB42_947:
	s_or_b64 exec, exec, s[10:11]
	v_cmp_gt_u32_e64 s[8:9], 4, v15
	s_and_saveexec_b64 s[10:11], s[8:9]
	s_cbranch_execz .LBB42_949
.LBB42_948:
	v_lshlrev_b32_e32 v19, 3, v0
	v_mov_b32_e32 v21, 0
	ds_read_b64 v[19:20], v19 offset:3584
	ds_read_b64 v[21:22], v21 offset:3640
	s_waitcnt lgkmcnt(0)
	v_fma_f64 v[11:12], v[19:20], v[21:22], v[11:12]
.LBB42_949:
	s_or_b64 exec, exec, s[10:11]
.LBB42_950:
	s_or_b64 exec, exec, s[0:1]
	s_and_saveexec_b64 s[0:1], s[36:37]
	s_cbranch_execz .LBB42_952
; %bb.951:
	v_mov_b32_e32 v19, 0
	ds_read_b64 v[19:20], v19 offset:1560
	s_waitcnt lgkmcnt(0)
	v_mul_f64 v[11:12], v[11:12], v[19:20]
	v_xor_b32_e32 v20, 0x80000000, v12
	v_mov_b32_e32 v19, v11
	ds_write_b64 v18, v[19:20]
.LBB42_952:
	s_or_b64 exec, exec, s[0:1]
	s_waitcnt lgkmcnt(0)
	s_barrier
	s_and_saveexec_b64 s[0:1], s[38:39]
	v_readlane_b32 s36, v36, 0
	s_cbranch_execz .LBB42_954
; %bb.953:
	v_lshlrev_b32_e32 v19, 3, v16
	ds_read_b64 v[19:20], v19 offset:1536
	ds_read_b64 v[21:22], v18
	s_waitcnt lgkmcnt(0)
	v_fma_f64 v[11:12], -v[19:20], v[21:22], v[11:12]
.LBB42_954:
	s_or_b64 exec, exec, s[0:1]
	s_barrier
	s_and_saveexec_b64 s[0:1], s[42:43]
	s_cbranch_execz .LBB42_956
; %bb.955:
	v_mov_b32_e32 v19, 0
	ds_read_b64 v[19:20], v19 offset:1040
	s_waitcnt lgkmcnt(0)
	v_mul_f64 v[11:12], v[11:12], v[19:20]
	v_xor_b32_e32 v20, 0x80000000, v12
	v_mov_b32_e32 v19, v11
	ds_write_b64 v18, v[19:20]
.LBB42_956:
	s_or_b64 exec, exec, s[0:1]
	s_waitcnt lgkmcnt(0)
	s_barrier
	s_and_saveexec_b64 s[0:1], s[52:53]
	s_cbranch_execz .LBB42_958
; %bb.957:
	v_lshlrev_b32_e32 v19, 3, v16
	ds_read_b64 v[19:20], v19 offset:1024
	ds_read_b64 v[21:22], v18
	s_waitcnt lgkmcnt(0)
	v_fma_f64 v[11:12], -v[19:20], v[21:22], v[11:12]
.LBB42_958:
	s_or_b64 exec, exec, s[0:1]
	s_barrier
	s_and_saveexec_b64 s[0:1], s[54:55]
	s_cbranch_execz .LBB42_960
; %bb.959:
	v_mov_b32_e32 v19, 0
	ds_read_b64 v[19:20], v19 offset:520
	s_waitcnt lgkmcnt(0)
	v_mul_f64 v[11:12], v[11:12], v[19:20]
	v_xor_b32_e32 v20, 0x80000000, v12
	v_mov_b32_e32 v19, v11
	ds_write_b64 v18, v[19:20]
.LBB42_960:
	s_or_b64 exec, exec, s[0:1]
	s_waitcnt lgkmcnt(0)
	s_barrier
	s_and_saveexec_b64 s[0:1], s[34:35]
	s_cbranch_execz .LBB42_962
; %bb.961:
	v_mov_b32_e32 v19, 0
	ds_read_b64 v[19:20], v19 offset:512
	ds_read_b64 v[21:22], v18
	s_waitcnt lgkmcnt(0)
	v_fma_f64 v[11:12], -v[19:20], v[21:22], v[11:12]
.LBB42_962:
	s_or_b64 exec, exec, s[0:1]
	s_barrier
	s_and_saveexec_b64 s[0:1], s[34:35]
	s_cbranch_execz .LBB42_964
; %bb.963:
	v_mov_b32_e32 v19, 0
	ds_read_b64 v[19:20], v19
	s_waitcnt lgkmcnt(0)
	v_mul_f64 v[11:12], v[11:12], v[19:20]
	v_xor_b32_e32 v20, 0x80000000, v12
	v_mov_b32_e32 v19, v11
	ds_write_b64 v18, v[19:20]
.LBB42_964:
	s_or_b64 exec, exec, s[0:1]
	s_waitcnt lgkmcnt(0)
	s_barrier
	s_barrier
	s_and_saveexec_b64 s[0:1], s[18:19]
; %bb.965:
	v_lshlrev_b32_e32 v16, 3, v16
	v_lshl_or_b32 v16, v17, 9, v16
	ds_write_b64 v16, v[11:12] offset:2048
; %bb.966:
	s_or_b64 exec, exec, s[0:1]
	s_waitcnt lgkmcnt(0)
	s_barrier
	s_barrier
	s_and_saveexec_b64 s[0:1], s[56:57]
	s_cbranch_execz .LBB42_968
; %bb.967:
	v_lshlrev_b32_e32 v16, 9, v0
	ds_read_b64 v[11:12], v16 offset:2048
	s_movk_i32 s8, 0xfe08
	v_mad_i32_i24 v17, v0, s8, v16
	s_waitcnt lgkmcnt(0)
	ds_write_b64 v17, v[11:12] offset:32
	ds_read_b64 v[11:12], v16 offset:2056
	s_waitcnt lgkmcnt(0)
	ds_write_b64 v17, v[11:12] offset:544
	ds_read_b64 v[11:12], v16 offset:2064
	;; [unrolled: 3-line block ×3, first 2 shown]
	s_waitcnt lgkmcnt(0)
	ds_write_b64 v17, v[11:12] offset:1568
.LBB42_968:
	s_or_b64 exec, exec, s[0:1]
	s_waitcnt lgkmcnt(0)
	s_barrier
	s_and_saveexec_b64 s[0:1], vcc
	s_cbranch_execz .LBB42_970
; %bb.969:
	v_mov_b32_e32 v20, 0
	ds_read_b128 v[16:19], v20 offset:1552
	ds_read_b64 v[11:12], v20 offset:1040
	s_waitcnt lgkmcnt(0)
	v_mul_f64 v[11:12], v[11:12], v[18:19]
	v_mul_f64 v[11:12], v[16:17], v[11:12]
	ds_write2_b64 v20, v[11:12], v[11:12] offset0:131 offset1:194
.LBB42_970:
	s_or_b64 exec, exec, s[0:1]
	v_mov_b32_e32 v11, 0
	v_mov_b32_e32 v12, 0
	s_waitcnt lgkmcnt(0)
	s_barrier
	buffer_wbinvl1_vol
	s_and_saveexec_b64 s[0:1], s[2:3]
	s_cbranch_execz .LBB42_974
; %bb.971:
	v_lshlrev_b32_e32 v16, 9, v13
	v_lshlrev_b32_e32 v11, 3, v1
	ds_read_b64 v[11:12], v11 offset:1024
	ds_read_b64 v[16:17], v16 offset:1040
	v_cmp_gt_u32_e64 s[8:9], 2, v15
	s_waitcnt lgkmcnt(0)
	v_fma_f64 v[11:12], v[11:12], v[16:17], 0
	s_and_saveexec_b64 s[10:11], s[8:9]
	s_cbranch_execz .LBB42_973
; %bb.972:
	v_lshlrev_b32_e32 v15, 3, v0
	v_mov_b32_e32 v17, 0
	ds_read_b64 v[15:16], v15 offset:1536
	ds_read_b64 v[17:18], v17 offset:1560
	s_waitcnt lgkmcnt(0)
	v_fma_f64 v[11:12], v[15:16], v[17:18], v[11:12]
.LBB42_973:
	s_or_b64 exec, exec, s[10:11]
.LBB42_974:
	s_or_b64 exec, exec, s[0:1]
	s_and_saveexec_b64 s[0:1], s[28:29]
	s_cbranch_execz .LBB42_976
; %bb.975:
	v_mov_b32_e32 v15, 0
	ds_read_b64 v[15:16], v15 offset:520
	s_waitcnt lgkmcnt(0)
	v_mul_f64 v[11:12], v[11:12], v[15:16]
	v_xor_b32_e32 v16, 0x80000000, v12
	v_mov_b32_e32 v15, v11
	ds_write_b64 v14, v[15:16]
.LBB42_976:
	s_or_b64 exec, exec, s[0:1]
	s_waitcnt lgkmcnt(0)
	s_barrier
	s_and_saveexec_b64 s[0:1], s[26:27]
	s_cbranch_execz .LBB42_978
; %bb.977:
	v_mov_b32_e32 v15, 0
	ds_read_b64 v[15:16], v15 offset:512
	ds_read_b64 v[17:18], v14
	s_waitcnt lgkmcnt(0)
	v_fma_f64 v[11:12], -v[15:16], v[17:18], v[11:12]
.LBB42_978:
	s_or_b64 exec, exec, s[0:1]
	s_barrier
	s_and_saveexec_b64 s[0:1], s[26:27]
	s_cbranch_execz .LBB42_980
; %bb.979:
	v_mov_b32_e32 v15, 0
	ds_read_b64 v[15:16], v15
	s_waitcnt lgkmcnt(0)
	v_mul_f64 v[11:12], v[11:12], v[15:16]
	v_xor_b32_e32 v16, 0x80000000, v12
	v_mov_b32_e32 v15, v11
	ds_write_b64 v14, v[15:16]
.LBB42_980:
	s_or_b64 exec, exec, s[0:1]
	s_waitcnt lgkmcnt(0)
	s_barrier
	s_barrier
	s_and_saveexec_b64 s[0:1], s[2:3]
; %bb.981:
	v_lshlrev_b32_e32 v1, 3, v1
	v_lshl_or_b32 v1, v13, 9, v1
	ds_write_b64 v1, v[11:12] offset:1024
; %bb.982:
	s_or_b64 exec, exec, s[0:1]
	s_waitcnt lgkmcnt(0)
	s_barrier
	s_barrier
	s_and_saveexec_b64 s[0:1], s[30:31]
	s_cbranch_execz .LBB42_984
; %bb.983:
	v_lshlrev_b32_e32 v1, 3, v0
	s_movk_i32 s2, 0x1f8
	v_mad_u32_u24 v13, v0, s2, v1
	ds_read_b64 v[11:12], v13 offset:1024
	s_waitcnt lgkmcnt(0)
	ds_write_b64 v1, v[11:12] offset:16
	ds_read_b64 v[11:12], v13 offset:1032
	s_waitcnt lgkmcnt(0)
	ds_write_b64 v1, v[11:12] offset:528
.LBB42_984:
	s_or_b64 exec, exec, s[0:1]
	s_waitcnt lgkmcnt(0)
	s_barrier
	s_and_saveexec_b64 s[0:1], vcc
	s_cbranch_execz .LBB42_986
; %bb.985:
	v_mov_b32_e32 v1, 0
	ds_read_b128 v[11:14], v1 offset:512
	ds_read_b64 v[15:16], v1
	s_waitcnt lgkmcnt(0)
	v_mul_f64 v[13:14], v[15:16], v[13:14]
	v_mul_f64 v[11:12], v[11:12], v[13:14]
	ds_write2_b64 v1, v[11:12], v[11:12] offset0:1 offset1:64
.LBB42_986:
	s_or_b64 exec, exec, s[0:1]
.LBB42_987:
	s_load_dwordx4 s[12:15], s[4:5], 0x48
	v_cmp_le_i32_e32 vcc, s88, v0
	v_mov_b32_e32 v11, 0
	v_mov_b32_e32 v12, 0
	v_add_u32_e32 v13, s33, v0
	s_waitcnt lgkmcnt(0)
	s_mul_i32 s1, s13, s22
	s_mul_hi_u32 s2, s12, s22
	s_mul_i32 s0, s12, s22
	s_add_i32 s1, s2, s1
	s_lshl_b64 s[0:1], s[0:1], 3
	s_add_u32 s2, s46, s0
	s_addc_u32 s3, s47, s1
	s_lshl_b64 s[0:1], s[48:49], 3
	s_add_u32 s20, s2, s0
	s_addc_u32 s21, s3, s1
	s_and_b64 s[16:17], vcc, s[24:25]
	v_cmp_eq_u32_e64 s[2:3], 0, v2
	s_xor_b64 s[0:1], s[16:17], -1
	s_and_b64 s[4:5], s[2:3], s[0:1]
	s_barrier
	s_and_saveexec_b64 s[0:1], s[4:5]
	s_cbranch_execz .LBB42_989
; %bb.988:
	v_ashrrev_i32_e32 v1, 31, v13
	v_mul_lo_u32 v14, s51, v13
	v_mad_u64_u32 v[11:12], s[4:5], s50, v13, 0
	v_mul_lo_u32 v1, s50, v1
	v_add3_u32 v12, v12, v1, v14
	v_lshlrev_b64 v[11:12], 3, v[11:12]
	v_mov_b32_e32 v1, s21
	v_add_co_u32_e32 v11, vcc, s20, v11
	v_addc_co_u32_e32 v12, vcc, v1, v12, vcc
	global_load_dwordx2 v[11:12], v[11:12], off
	s_waitcnt vmcnt(0)
	v_mul_f64 v[11:12], v[11:12], -s[44:45]
.LBB42_989:
	s_or_b64 exec, exec, s[0:1]
	s_and_b32 s0, 0xffff, s93
	v_mad_u32_u24 v19, v2, s0, v0
	v_mov_b32_e32 v14, 0
	s_cmp_lt_i32 s6, 1
	v_cmp_eq_u32_e64 s[4:5], 0, v19
	s_cbranch_scc1 .LBB42_1015
; %bb.990:
	v_mad_u64_u32 v[15:16], s[0:1], s40, v13, 0
	v_cmp_gt_i32_e64 s[8:9], s7, v13
	s_mov_b32 s26, 0
	v_mov_b32_e32 v1, v16
	v_mad_u64_u32 v[16:17], s[0:1], s41, v13, v[1:2]
	s_lshl_b64 s[0:1], s[22:23], 2
	s_add_u32 s0, s14, s0
	v_lshlrev_b64 v[15:16], 3, v[15:16]
	v_mov_b32_e32 v17, 0xa000
	v_mov_b32_e32 v13, s92
	v_add_co_u32_e32 v21, vcc, s89, v15
	s_addc_u32 s1, s15, s1
	v_cmp_gt_u32_e64 s[12:13], 64, v19
	v_lshl_add_u32 v1, v19, 3, v17
	v_lshl_or_b32 v20, v2, 3, v17
	s_add_i32 s27, s6, -1
	v_addc_co_u32_e32 v22, vcc, v13, v16, vcc
	v_mov_b32_e32 v23, -1
	s_branch .LBB42_993
.LBB42_991:                             ;   in Loop: Header=BB42_993 Depth=1
	ds_read_b64 v[15:16], v20 offset:384
	s_waitcnt vmcnt(0) lgkmcnt(0)
	v_fma_f64 v[11:12], v[17:18], v[15:16], v[11:12]
.LBB42_992:                             ;   in Loop: Header=BB42_993 Depth=1
	s_or_b64 exec, exec, s[18:19]
	s_add_i32 s26, s26, 1
	s_cmp_eq_u32 s26, s6
	s_cbranch_scc1 .LBB42_1015
.LBB42_993:                             ; =>This Loop Header: Depth=1
                                        ;     Child Loop BB42_995 Depth 2
	v_cmp_gt_i32_e32 vcc, s26, v23
	s_and_b64 s[18:19], s[4:5], vcc
	s_and_saveexec_b64 s[10:11], s[18:19]
	s_cbranch_execz .LBB42_996
; %bb.994:                              ;   in Loop: Header=BB42_993 Depth=1
	global_load_dword v23, v14, s[0:1]
	s_waitcnt vmcnt(0)
	v_cmp_le_i32_e32 vcc, s26, v23
	s_cbranch_vccnz .LBB42_996
.LBB42_995:                             ;   Parent Loop BB42_993 Depth=1
                                        ; =>  This Inner Loop Header: Depth=2
	buffer_wbinvl1_vol
	global_load_dword v23, v14, s[0:1]
	s_waitcnt vmcnt(0)
	v_cmp_gt_i32_e32 vcc, s26, v23
	s_cbranch_vccnz .LBB42_995
.LBB42_996:                             ;   in Loop: Header=BB42_993 Depth=1
	s_or_b64 exec, exec, s[10:11]
	s_lshl_b32 s28, s26, 6
	buffer_wbinvl1_vol
	s_barrier
	s_and_saveexec_b64 s[10:11], s[12:13]
	s_cbranch_execz .LBB42_1000
; %bb.997:                              ;   in Loop: Header=BB42_993 Depth=1
	v_or_b32_e32 v13, s28, v19
	v_mov_b32_e32 v15, 0
	v_mov_b32_e32 v16, 0
	v_cmp_gt_i32_e32 vcc, s7, v13
	s_and_saveexec_b64 s[18:19], vcc
	s_cbranch_execz .LBB42_999
; %bb.998:                              ;   in Loop: Header=BB42_993 Depth=1
	v_mad_u64_u32 v[15:16], s[30:31], s50, v13, 0
	v_mad_u64_u32 v[16:17], s[30:31], s51, v13, v[16:17]
	v_mov_b32_e32 v13, s21
	v_lshlrev_b64 v[15:16], 3, v[15:16]
	v_add_co_u32_e32 v15, vcc, s20, v15
	v_addc_co_u32_e32 v16, vcc, v13, v16, vcc
	global_load_dwordx2 v[15:16], v[15:16], off
.LBB42_999:                             ;   in Loop: Header=BB42_993 Depth=1
	s_or_b64 exec, exec, s[18:19]
	s_waitcnt vmcnt(0)
	ds_write_b64 v1, v[15:16]
.LBB42_1000:                            ;   in Loop: Header=BB42_993 Depth=1
	s_or_b64 exec, exec, s[10:11]
	v_add_u32_e32 v13, s28, v2
	v_lshlrev_b64 v[15:16], 3, v[13:14]
	s_cmp_lg_u32 s26, s27
	v_add_co_u32_e32 v15, vcc, v21, v15
	s_cselect_b64 s[10:11], -1, 0
	v_addc_co_u32_e32 v16, vcc, v22, v16, vcc
	v_cmp_gt_i32_e32 vcc, s7, v13
	v_cndmask_b32_e64 v17, 0, 1, s[10:11]
	s_and_b64 s[28:29], vcc, s[8:9]
	v_cmp_ne_u32_e64 s[10:11], 1, v17
	s_waitcnt lgkmcnt(0)
	s_barrier
	s_and_saveexec_b64 s[18:19], s[28:29]
	s_cbranch_execz .LBB42_1004
; %bb.1001:                             ;   in Loop: Header=BB42_993 Depth=1
	v_mov_b32_e32 v18, v6
	s_and_b64 vcc, exec, s[10:11]
	v_mov_b32_e32 v17, v5
	s_cbranch_vccnz .LBB42_1003
; %bb.1002:                             ;   in Loop: Header=BB42_993 Depth=1
	global_load_dwordx2 v[17:18], v[15:16], off
.LBB42_1003:                            ;   in Loop: Header=BB42_993 Depth=1
	ds_read_b64 v[24:25], v20
	s_waitcnt vmcnt(0) lgkmcnt(0)
	v_fma_f64 v[11:12], v[17:18], v[24:25], v[11:12]
.LBB42_1004:                            ;   in Loop: Header=BB42_993 Depth=1
	s_or_b64 exec, exec, s[18:19]
	v_add_u32_e32 v17, 16, v13
	v_cmp_gt_i32_e32 vcc, s7, v17
	s_and_b64 s[28:29], vcc, s[8:9]
	s_and_saveexec_b64 s[18:19], s[28:29]
	s_cbranch_execz .LBB42_1008
; %bb.1005:                             ;   in Loop: Header=BB42_993 Depth=1
	v_mov_b32_e32 v18, v4
	s_and_b64 vcc, exec, s[10:11]
	v_mov_b32_e32 v17, v3
	s_cbranch_vccnz .LBB42_1007
; %bb.1006:                             ;   in Loop: Header=BB42_993 Depth=1
	global_load_dwordx2 v[17:18], v[15:16], off offset:128
.LBB42_1007:                            ;   in Loop: Header=BB42_993 Depth=1
	ds_read_b64 v[24:25], v20 offset:128
	s_waitcnt vmcnt(0) lgkmcnt(0)
	v_fma_f64 v[11:12], v[17:18], v[24:25], v[11:12]
.LBB42_1008:                            ;   in Loop: Header=BB42_993 Depth=1
	s_or_b64 exec, exec, s[18:19]
	v_add_u32_e32 v17, 32, v13
	v_cmp_gt_i32_e32 vcc, s7, v17
	s_and_b64 s[28:29], vcc, s[8:9]
	s_and_saveexec_b64 s[18:19], s[28:29]
	s_cbranch_execz .LBB42_1012
; %bb.1009:                             ;   in Loop: Header=BB42_993 Depth=1
	v_mov_b32_e32 v18, v10
	s_and_b64 vcc, exec, s[10:11]
	v_mov_b32_e32 v17, v9
	s_cbranch_vccnz .LBB42_1011
; %bb.1010:                             ;   in Loop: Header=BB42_993 Depth=1
	global_load_dwordx2 v[17:18], v[15:16], off offset:256
.LBB42_1011:                            ;   in Loop: Header=BB42_993 Depth=1
	ds_read_b64 v[24:25], v20 offset:256
	s_waitcnt vmcnt(0) lgkmcnt(0)
	v_fma_f64 v[11:12], v[17:18], v[24:25], v[11:12]
.LBB42_1012:                            ;   in Loop: Header=BB42_993 Depth=1
	s_or_b64 exec, exec, s[18:19]
	v_add_u32_e32 v13, 48, v13
	v_cmp_gt_i32_e32 vcc, s7, v13
	s_and_b64 s[28:29], vcc, s[8:9]
	s_and_saveexec_b64 s[18:19], s[28:29]
	s_cbranch_execz .LBB42_992
; %bb.1013:                             ;   in Loop: Header=BB42_993 Depth=1
	v_mov_b32_e32 v18, v8
	s_and_b64 vcc, exec, s[10:11]
	v_mov_b32_e32 v17, v7
	s_cbranch_vccnz .LBB42_991
; %bb.1014:                             ;   in Loop: Header=BB42_993 Depth=1
	global_load_dwordx2 v[17:18], v[15:16], off offset:384
	s_branch .LBB42_991
.LBB42_1015:
	v_lshl_add_u32 v1, v2, 6, v0
	s_xor_b64 s[0:1], s[24:25], -1
	v_lshlrev_b32_e32 v1, 3, v1
	ds_write_b64 v1, v[11:12] offset:32768
	s_waitcnt lgkmcnt(0)
	s_barrier
	s_and_saveexec_b64 s[4:5], s[2:3]
	s_cbranch_execz .LBB42_1017
; %bb.1016:
	v_lshlrev_b32_e32 v15, 3, v0
	ds_read2st64_b64 v[3:6], v15 offset0:65 offset1:66
	ds_read_b64 v[13:14], v15 offset:40448
	s_waitcnt lgkmcnt(1)
	v_add_f64 v[3:4], v[11:12], v[3:4]
	v_add_f64 v[11:12], v[3:4], v[5:6]
	ds_read2st64_b64 v[3:6], v15 offset0:67 offset1:68
	ds_read2st64_b64 v[7:10], v15 offset0:69 offset1:70
	s_waitcnt lgkmcnt(1)
	v_add_f64 v[3:4], v[11:12], v[3:4]
	v_add_f64 v[3:4], v[3:4], v[5:6]
	s_waitcnt lgkmcnt(0)
	v_add_f64 v[3:4], v[3:4], v[7:8]
	v_add_f64 v[11:12], v[3:4], v[9:10]
	ds_read2st64_b64 v[3:6], v15 offset0:71 offset1:72
	ds_read2st64_b64 v[7:10], v15 offset0:73 offset1:74
	s_waitcnt lgkmcnt(1)
	v_add_f64 v[3:4], v[11:12], v[3:4]
	v_add_f64 v[3:4], v[3:4], v[5:6]
	;; [unrolled: 8-line block ×3, first 2 shown]
	s_waitcnt lgkmcnt(0)
	v_add_f64 v[3:4], v[3:4], v[7:8]
	v_add_f64 v[3:4], v[3:4], v[9:10]
	;; [unrolled: 1-line block ×3, first 2 shown]
	v_xor_b32_e32 v4, 0x80000000, v4
	v_cndmask_b32_e64 v12, v4, 0, s[16:17]
	v_cndmask_b32_e64 v11, v3, 0, s[16:17]
.LBB42_1017:
	s_or_b64 exec, exec, s[4:5]
	s_and_b64 vcc, exec, s[58:59]
	s_cbranch_vccnz .LBB42_1030
; %bb.1018:
	v_mov_b32_e32 v3, 0xa000
	v_lshl_or_b32 v5, v2, 3, v3
	s_and_saveexec_b64 s[4:5], s[2:3]
; %bb.1019:
	v_lshl_add_u32 v3, v0, 3, v5
	ds_write_b64 v3, v[11:12]
; %bb.1020:
	s_or_b64 exec, exec, s[4:5]
	v_mov_b32_e32 v3, 0
	v_mov_b32_e32 v4, 0
	v_cmp_le_u32_e32 vcc, v2, v0
	s_waitcnt lgkmcnt(0)
	s_barrier
	s_and_saveexec_b64 s[4:5], vcc
	s_cbranch_execz .LBB42_1022
; %bb.1021:
	ds_read_b64 v[3:4], v1
	ds_read_b64 v[6:7], v5
	s_waitcnt lgkmcnt(0)
	v_fma_f64 v[3:4], v[3:4], v[6:7], 0
.LBB42_1022:
	s_or_b64 exec, exec, s[4:5]
	v_add_u32_e32 v6, 16, v2
	v_cmp_ge_u32_e32 vcc, v0, v6
	s_and_saveexec_b64 s[4:5], vcc
	s_cbranch_execz .LBB42_1024
; %bb.1023:
	ds_read_b64 v[6:7], v1 offset:8192
	ds_read_b64 v[8:9], v5 offset:128
	s_waitcnt lgkmcnt(0)
	v_fma_f64 v[3:4], v[6:7], v[8:9], v[3:4]
.LBB42_1024:
	s_or_b64 exec, exec, s[4:5]
	v_add_u32_e32 v6, 32, v2
	v_cmp_ge_u32_e32 vcc, v0, v6
	s_and_saveexec_b64 s[4:5], vcc
	s_cbranch_execz .LBB42_1026
; %bb.1025:
	ds_read_b64 v[6:7], v1 offset:16384
	ds_read_b64 v[8:9], v5 offset:256
	s_waitcnt lgkmcnt(0)
	v_fma_f64 v[3:4], v[6:7], v[8:9], v[3:4]
.LBB42_1026:
	s_or_b64 exec, exec, s[4:5]
	v_add_u32_e32 v2, 48, v2
	v_add_u32_e32 v6, 0x8000, v1
	v_cmp_ge_u32_e32 vcc, v0, v2
	s_and_saveexec_b64 s[4:5], vcc
	s_cbranch_execz .LBB42_1028
; %bb.1027:
	ds_read_b64 v[1:2], v1 offset:24576
	ds_read_b64 v[7:8], v5 offset:384
	s_waitcnt lgkmcnt(0)
	v_fma_f64 v[3:4], v[1:2], v[7:8], v[3:4]
.LBB42_1028:
	s_or_b64 exec, exec, s[4:5]
	s_mov_b64 s[6:7], 0
	s_mov_b64 s[4:5], 0
	ds_write_b64 v6, v[3:4]
	s_waitcnt lgkmcnt(0)
	s_barrier
                                        ; implicit-def: $vgpr5_vgpr6
                                        ; implicit-def: $vgpr1_vgpr2
	s_and_saveexec_b64 s[8:9], s[2:3]
	s_cbranch_execz .LBB42_1087
; %bb.1029:
	v_lshlrev_b32_e32 v15, 3, v0
	ds_read2st64_b64 v[5:8], v15 offset0:65 offset1:66
	ds_read_b64 v[9:10], v15 offset:40448
	s_mov_b64 s[4:5], exec
	s_waitcnt lgkmcnt(1)
	v_add_f64 v[1:2], v[3:4], v[5:6]
	v_add_f64 v[13:14], v[7:8], v[1:2]
	ds_read2st64_b64 v[1:4], v15 offset0:67 offset1:68
	ds_read2st64_b64 v[5:8], v15 offset0:69 offset1:70
	s_waitcnt lgkmcnt(1)
	v_add_f64 v[1:2], v[1:2], v[13:14]
	v_add_f64 v[1:2], v[3:4], v[1:2]
	s_waitcnt lgkmcnt(0)
	v_add_f64 v[1:2], v[5:6], v[1:2]
	v_add_f64 v[13:14], v[7:8], v[1:2]
	ds_read2st64_b64 v[1:4], v15 offset0:71 offset1:72
	ds_read2st64_b64 v[5:8], v15 offset0:73 offset1:74
	s_waitcnt lgkmcnt(1)
	v_add_f64 v[1:2], v[1:2], v[13:14]
	v_add_f64 v[1:2], v[3:4], v[1:2]
	;; [unrolled: 8-line block ×3, first 2 shown]
	s_waitcnt lgkmcnt(0)
	v_add_f64 v[1:2], v[5:6], v[1:2]
	v_add_f64 v[3:4], v[7:8], v[1:2]
	v_add_u32_e32 v7, s33, v19
	v_mad_u64_u32 v[1:2], s[10:11], s50, v7, 0
	v_add_f64 v[5:6], v[9:10], v[3:4]
	v_mad_u64_u32 v[2:3], s[10:11], s51, v7, v[2:3]
	s_or_b64 exec, exec, s[8:9]
	s_and_b64 vcc, exec, s[6:7]
	s_cbranch_vccnz .LBB42_1031
	s_branch .LBB42_1088
.LBB42_1030:
	s_mov_b64 s[4:5], 0
                                        ; implicit-def: $vgpr5_vgpr6
                                        ; implicit-def: $vgpr1_vgpr2
	s_cbranch_execz .LBB42_1088
.LBB42_1031:
	v_mul_u32_u24_e32 v1, 0x208, v0
	v_lshlrev_b32_e32 v2, 9, v0
	v_sub_u32_e32 v2, v1, v2
	s_mov_b32 s8, 0
	v_mov_b32_e32 v3, 0
	v_mov_b32_e32 v4, v0
	s_branch .LBB42_1033
.LBB42_1032:                            ;   in Loop: Header=BB42_1033 Depth=1
	s_or_b64 exec, exec, s[6:7]
	s_add_i32 s8, s8, 4
	v_add_u32_e32 v2, 0x800, v2
	s_cmp_lg_u32 s8, 64
	v_add_u32_e32 v4, -4, v4
	s_barrier
	s_cbranch_scc0 .LBB42_1049
.LBB42_1033:                            ; =>This Inner Loop Header: Depth=1
	v_cmp_eq_u32_e32 vcc, 0, v4
	s_and_b64 s[10:11], s[2:3], vcc
	s_and_saveexec_b64 s[6:7], s[10:11]
	s_cbranch_execz .LBB42_1035
; %bb.1034:                             ;   in Loop: Header=BB42_1033 Depth=1
	ds_read_b64 v[5:6], v1
	s_waitcnt lgkmcnt(0)
	v_mul_f64 v[11:12], v[11:12], v[5:6]
	ds_write_b64 v3, v[11:12] offset:41472
.LBB42_1035:                            ;   in Loop: Header=BB42_1033 Depth=1
	s_or_b64 exec, exec, s[6:7]
	v_cmp_lt_u32_e32 vcc, s8, v0
	s_and_b64 s[10:11], s[2:3], vcc
	s_waitcnt lgkmcnt(0)
	s_barrier
	s_and_saveexec_b64 s[6:7], s[10:11]
	s_cbranch_execz .LBB42_1037
; %bb.1036:                             ;   in Loop: Header=BB42_1033 Depth=1
	ds_read_b64 v[5:6], v2
	ds_read_b64 v[7:8], v3 offset:41472
	s_waitcnt lgkmcnt(0)
	v_fma_f64 v[11:12], v[5:6], v[7:8], v[11:12]
.LBB42_1037:                            ;   in Loop: Header=BB42_1033 Depth=1
	s_or_b64 exec, exec, s[6:7]
	s_or_b32 s9, s8, 1
	v_cmp_eq_u32_e32 vcc, s9, v0
	s_and_b64 s[10:11], s[2:3], vcc
	s_barrier
	s_and_saveexec_b64 s[6:7], s[10:11]
	s_cbranch_execz .LBB42_1039
; %bb.1038:                             ;   in Loop: Header=BB42_1033 Depth=1
	ds_read_b64 v[5:6], v1
	s_waitcnt lgkmcnt(0)
	v_mul_f64 v[11:12], v[11:12], v[5:6]
	ds_write_b64 v3, v[11:12] offset:41472
.LBB42_1039:                            ;   in Loop: Header=BB42_1033 Depth=1
	s_or_b64 exec, exec, s[6:7]
	v_cmp_lt_u32_e32 vcc, s9, v0
	s_and_b64 s[10:11], s[2:3], vcc
	s_waitcnt lgkmcnt(0)
	s_barrier
	s_and_saveexec_b64 s[6:7], s[10:11]
	s_cbranch_execz .LBB42_1041
; %bb.1040:                             ;   in Loop: Header=BB42_1033 Depth=1
	ds_read_b64 v[5:6], v2 offset:512
	ds_read_b64 v[7:8], v3 offset:41472
	s_waitcnt lgkmcnt(0)
	v_fma_f64 v[11:12], v[5:6], v[7:8], v[11:12]
.LBB42_1041:                            ;   in Loop: Header=BB42_1033 Depth=1
	s_or_b64 exec, exec, s[6:7]
	s_or_b32 s9, s8, 2
	v_cmp_eq_u32_e32 vcc, s9, v0
	s_and_b64 s[10:11], s[2:3], vcc
	s_barrier
	s_and_saveexec_b64 s[6:7], s[10:11]
	s_cbranch_execz .LBB42_1043
; %bb.1042:                             ;   in Loop: Header=BB42_1033 Depth=1
	ds_read_b64 v[5:6], v1
	s_waitcnt lgkmcnt(0)
	v_mul_f64 v[11:12], v[11:12], v[5:6]
	ds_write_b64 v3, v[11:12] offset:41472
.LBB42_1043:                            ;   in Loop: Header=BB42_1033 Depth=1
	s_or_b64 exec, exec, s[6:7]
	v_cmp_lt_u32_e32 vcc, s9, v0
	s_and_b64 s[10:11], s[2:3], vcc
	s_waitcnt lgkmcnt(0)
	s_barrier
	s_and_saveexec_b64 s[6:7], s[10:11]
	s_cbranch_execz .LBB42_1045
; %bb.1044:                             ;   in Loop: Header=BB42_1033 Depth=1
	ds_read_b64 v[5:6], v2 offset:1024
	ds_read_b64 v[7:8], v3 offset:41472
	s_waitcnt lgkmcnt(0)
	v_fma_f64 v[11:12], v[5:6], v[7:8], v[11:12]
.LBB42_1045:                            ;   in Loop: Header=BB42_1033 Depth=1
	s_or_b64 exec, exec, s[6:7]
	s_or_b32 s9, s8, 3
	v_cmp_eq_u32_e32 vcc, s9, v0
	s_and_b64 s[10:11], s[2:3], vcc
	s_barrier
	s_and_saveexec_b64 s[6:7], s[10:11]
	s_cbranch_execz .LBB42_1047
; %bb.1046:                             ;   in Loop: Header=BB42_1033 Depth=1
	ds_read_b64 v[5:6], v1
	s_waitcnt lgkmcnt(0)
	v_mul_f64 v[11:12], v[11:12], v[5:6]
	ds_write_b64 v3, v[11:12] offset:41472
.LBB42_1047:                            ;   in Loop: Header=BB42_1033 Depth=1
	s_or_b64 exec, exec, s[6:7]
	v_cmp_lt_u32_e32 vcc, s9, v0
	s_and_b64 s[10:11], s[2:3], vcc
	s_waitcnt lgkmcnt(0)
	s_barrier
	s_and_saveexec_b64 s[6:7], s[10:11]
	s_cbranch_execz .LBB42_1032
; %bb.1048:                             ;   in Loop: Header=BB42_1033 Depth=1
	ds_read_b64 v[5:6], v2 offset:1536
	ds_read_b64 v[7:8], v3 offset:41472
	s_waitcnt lgkmcnt(0)
	v_fma_f64 v[11:12], v[5:6], v[7:8], v[11:12]
	s_branch .LBB42_1032
.LBB42_1049:
	s_and_b64 vcc, exec, s[0:1]
	s_cbranch_vccz .LBB42_1089
; %bb.1050:
	s_and_b64 s[0:1], s[2:3], exec
	s_cbranch_execz .LBB42_1090
	s_branch .LBB42_1091
.LBB42_1051:
	v_cmp_ne_u32_e32 vcc, v0, v2
	s_and_saveexec_b64 s[12:13], vcc
	s_xor_b64 s[12:13], exec, s[12:13]
; %bb.1052:
	v_or_b32_e32 v1, v2, v0
	v_cmp_gt_u32_e32 vcc, 64, v1
	s_and_b64 s[10:11], vcc, exec
                                        ; implicit-def: $vgpr15_vgpr16
; %bb.1053:
	s_or_saveexec_b64 s[12:13], s[12:13]
	v_mov_b32_e32 v13, 0
	v_mov_b32_e32 v14, 0
	s_xor_b64 exec, exec, s[12:13]
	s_cbranch_execz .LBB42_1055
; %bb.1054:
	v_lshlrev_b64 v[13:14], 3, v[15:16]
	v_mov_b32_e32 v1, s92
	v_add_co_u32_e32 v13, vcc, s89, v13
	v_addc_co_u32_e32 v14, vcc, v1, v14, vcc
	global_load_dwordx2 v[13:14], v[13:14], off
	s_or_b64 s[10:11], s[10:11], exec
	s_waitcnt vmcnt(0)
	v_div_scale_f64 v[15:16], s[14:15], v[13:14], v[13:14], 1.0
	v_div_scale_f64 v[22:23], vcc, 1.0, v[13:14], 1.0
	v_rcp_f64_e32 v[18:19], v[15:16]
	v_fma_f64 v[20:21], -v[15:16], v[18:19], 1.0
	v_fma_f64 v[18:19], v[18:19], v[20:21], v[18:19]
	v_fma_f64 v[20:21], -v[15:16], v[18:19], 1.0
	v_fma_f64 v[18:19], v[18:19], v[20:21], v[18:19]
	v_mul_f64 v[20:21], v[22:23], v[18:19]
	v_fma_f64 v[15:16], -v[15:16], v[20:21], v[22:23]
	v_div_fmas_f64 v[15:16], v[15:16], v[18:19], v[20:21]
	v_div_fixup_f64 v[13:14], v[15:16], v[13:14], 1.0
.LBB42_1055:
	s_or_b64 exec, exec, s[12:13]
	s_and_b64 s[10:11], s[10:11], exec
                                        ; implicit-def: $vgpr15_vgpr16
	s_andn2_saveexec_b64 s[8:9], s[8:9]
	s_cbranch_execz .LBB42_14
.LBB42_1056:
	v_lshlrev_b64 v[13:14], 3, v[15:16]
	v_mov_b32_e32 v1, s92
	v_add_co_u32_e32 v13, vcc, s89, v13
	v_addc_co_u32_e32 v14, vcc, v1, v14, vcc
	global_load_dwordx2 v[13:14], v[13:14], off
	s_or_b64 s[10:11], s[10:11], exec
	s_waitcnt vmcnt(0)
	v_xor_b32_e32 v14, 0x80000000, v14
	s_or_b64 exec, exec, s[8:9]
	s_and_saveexec_b64 s[8:9], s[10:11]
	s_cbranch_execnz .LBB42_15
	s_branch .LBB42_16
.LBB42_1057:
	v_cmp_ne_u32_e32 vcc, v0, v1
	s_and_saveexec_b64 s[10:11], vcc
	s_xor_b64 s[10:11], exec, s[10:11]
; %bb.1058:
	v_or_b32_e32 v13, v1, v0
	v_cmp_gt_u32_e32 vcc, 64, v13
	s_and_b64 s[8:9], vcc, exec
                                        ; implicit-def: $vgpr15_vgpr16
; %bb.1059:
	s_or_saveexec_b64 s[10:11], s[10:11]
	v_mov_b32_e32 v13, 0
	v_mov_b32_e32 v14, 0
	s_xor_b64 exec, exec, s[10:11]
	s_cbranch_execz .LBB42_1061
; %bb.1060:
	v_lshlrev_b64 v[13:14], 3, v[15:16]
	v_mov_b32_e32 v15, s92
	v_add_co_u32_e32 v13, vcc, s89, v13
	v_addc_co_u32_e32 v14, vcc, v15, v14, vcc
	global_load_dwordx2 v[13:14], v[13:14], off
	s_or_b64 s[8:9], s[8:9], exec
	s_waitcnt vmcnt(0)
	v_div_scale_f64 v[15:16], s[12:13], v[13:14], v[13:14], 1.0
	v_div_scale_f64 v[22:23], vcc, 1.0, v[13:14], 1.0
	v_rcp_f64_e32 v[18:19], v[15:16]
	v_fma_f64 v[20:21], -v[15:16], v[18:19], 1.0
	v_fma_f64 v[18:19], v[18:19], v[20:21], v[18:19]
	v_fma_f64 v[20:21], -v[15:16], v[18:19], 1.0
	v_fma_f64 v[18:19], v[18:19], v[20:21], v[18:19]
	v_mul_f64 v[20:21], v[22:23], v[18:19]
	v_fma_f64 v[15:16], -v[15:16], v[20:21], v[22:23]
	v_div_fmas_f64 v[15:16], v[15:16], v[18:19], v[20:21]
	v_div_fixup_f64 v[13:14], v[15:16], v[13:14], 1.0
.LBB42_1061:
	s_or_b64 exec, exec, s[10:11]
	s_and_b64 s[8:9], s[8:9], exec
                                        ; implicit-def: $vgpr15_vgpr16
	s_andn2_saveexec_b64 s[2:3], s[2:3]
	s_cbranch_execz .LBB42_18
.LBB42_1062:
	v_lshlrev_b64 v[13:14], 3, v[15:16]
	v_mov_b32_e32 v15, s92
	v_add_co_u32_e32 v13, vcc, s89, v13
	v_addc_co_u32_e32 v14, vcc, v15, v14, vcc
	global_load_dwordx2 v[13:14], v[13:14], off
	s_or_b64 s[8:9], s[8:9], exec
	s_waitcnt vmcnt(0)
	v_xor_b32_e32 v14, 0x80000000, v14
	s_or_b64 exec, exec, s[2:3]
	s_and_saveexec_b64 s[2:3], s[8:9]
	s_cbranch_execnz .LBB42_19
	s_branch .LBB42_20
.LBB42_1063:
	v_cmp_ne_u32_e32 vcc, v0, v1
	s_and_saveexec_b64 s[10:11], vcc
	s_xor_b64 s[10:11], exec, s[10:11]
; %bb.1064:
	v_or_b32_e32 v13, v1, v0
	v_cmp_gt_u32_e32 vcc, 64, v13
	s_and_b64 s[8:9], vcc, exec
                                        ; implicit-def: $vgpr15_vgpr16
; %bb.1065:
	s_or_saveexec_b64 s[10:11], s[10:11]
	v_mov_b32_e32 v13, 0
	v_mov_b32_e32 v14, 0
	s_xor_b64 exec, exec, s[10:11]
	s_cbranch_execz .LBB42_1067
; %bb.1066:
	v_lshlrev_b64 v[13:14], 3, v[15:16]
	v_mov_b32_e32 v15, s92
	v_add_co_u32_e32 v13, vcc, s89, v13
	v_addc_co_u32_e32 v14, vcc, v15, v14, vcc
	global_load_dwordx2 v[13:14], v[13:14], off
	s_or_b64 s[8:9], s[8:9], exec
	s_waitcnt vmcnt(0)
	v_div_scale_f64 v[15:16], s[12:13], v[13:14], v[13:14], 1.0
	v_div_scale_f64 v[22:23], vcc, 1.0, v[13:14], 1.0
	v_rcp_f64_e32 v[18:19], v[15:16]
	v_fma_f64 v[20:21], -v[15:16], v[18:19], 1.0
	v_fma_f64 v[18:19], v[18:19], v[20:21], v[18:19]
	v_fma_f64 v[20:21], -v[15:16], v[18:19], 1.0
	v_fma_f64 v[18:19], v[18:19], v[20:21], v[18:19]
	v_mul_f64 v[20:21], v[22:23], v[18:19]
	v_fma_f64 v[15:16], -v[15:16], v[20:21], v[22:23]
	v_div_fmas_f64 v[15:16], v[15:16], v[18:19], v[20:21]
	v_div_fixup_f64 v[13:14], v[15:16], v[13:14], 1.0
.LBB42_1067:
	s_or_b64 exec, exec, s[10:11]
	s_and_b64 s[8:9], s[8:9], exec
                                        ; implicit-def: $vgpr15_vgpr16
	s_andn2_saveexec_b64 s[2:3], s[2:3]
	s_cbranch_execz .LBB42_22
.LBB42_1068:
	v_lshlrev_b64 v[13:14], 3, v[15:16]
	v_mov_b32_e32 v15, s92
	v_add_co_u32_e32 v13, vcc, s89, v13
	v_addc_co_u32_e32 v14, vcc, v15, v14, vcc
	global_load_dwordx2 v[13:14], v[13:14], off
	s_or_b64 s[8:9], s[8:9], exec
	s_waitcnt vmcnt(0)
	v_xor_b32_e32 v14, 0x80000000, v14
	s_or_b64 exec, exec, s[2:3]
	s_and_saveexec_b64 s[2:3], s[8:9]
	s_cbranch_execnz .LBB42_23
	s_branch .LBB42_24
.LBB42_1069:
	v_cmp_ne_u32_e32 vcc, v0, v2
	s_xor_b64 s[12:13], s[2:3], -1
	s_or_b64 s[14:15], s[12:13], vcc
	s_mov_b64 s[12:13], 0
	s_and_saveexec_b64 s[16:17], s[14:15]
	s_xor_b64 s[14:15], exec, s[16:17]
; %bb.1070:
	v_or_b32_e32 v1, v2, v0
	v_cmp_gt_u32_e32 vcc, 64, v1
	s_and_b64 s[12:13], vcc, exec
                                        ; implicit-def: $vgpr13_vgpr14
; %bb.1071:
	s_or_saveexec_b64 s[14:15], s[14:15]
	v_mov_b32_e32 v15, 0
	v_mov_b32_e32 v16, 0
	s_xor_b64 exec, exec, s[14:15]
	s_cbranch_execz .LBB42_1073
; %bb.1072:
	v_lshlrev_b64 v[13:14], 3, v[13:14]
	v_mov_b32_e32 v1, s92
	v_add_co_u32_e32 v13, vcc, s89, v13
	v_addc_co_u32_e32 v14, vcc, v1, v14, vcc
	global_load_dwordx2 v[13:14], v[13:14], off
	s_or_b64 s[12:13], s[12:13], exec
	s_waitcnt vmcnt(0)
	v_div_scale_f64 v[15:16], s[16:17], v[13:14], v[13:14], 1.0
	v_div_scale_f64 v[22:23], vcc, 1.0, v[13:14], 1.0
	v_rcp_f64_e32 v[18:19], v[15:16]
	v_fma_f64 v[20:21], -v[15:16], v[18:19], 1.0
	v_fma_f64 v[18:19], v[18:19], v[20:21], v[18:19]
	v_fma_f64 v[20:21], -v[15:16], v[18:19], 1.0
	v_fma_f64 v[18:19], v[18:19], v[20:21], v[18:19]
	v_mul_f64 v[20:21], v[22:23], v[18:19]
	v_fma_f64 v[15:16], -v[15:16], v[20:21], v[22:23]
	v_div_fmas_f64 v[15:16], v[15:16], v[18:19], v[20:21]
	v_div_fixup_f64 v[15:16], v[15:16], v[13:14], 1.0
.LBB42_1073:
	s_or_b64 exec, exec, s[14:15]
	s_and_b64 s[12:13], s[12:13], exec
                                        ; implicit-def: $vgpr13_vgpr14
	s_andn2_saveexec_b64 s[8:9], s[8:9]
	s_cbranch_execz .LBB42_36
.LBB42_1074:
	v_lshlrev_b64 v[13:14], 3, v[13:14]
	v_mov_b32_e32 v1, s92
	v_add_co_u32_e32 v13, vcc, s89, v13
	v_addc_co_u32_e32 v14, vcc, v1, v14, vcc
	global_load_dwordx2 v[15:16], v[13:14], off
	s_or_b64 s[12:13], s[12:13], exec
	s_waitcnt vmcnt(0)
	v_xor_b32_e32 v16, 0x80000000, v16
	s_or_b64 exec, exec, s[8:9]
	s_and_saveexec_b64 s[8:9], s[12:13]
	s_cbranch_execnz .LBB42_37
	s_branch .LBB42_38
.LBB42_1075:
	v_cmp_ne_u32_e32 vcc, v0, v1
	s_xor_b64 s[12:13], s[2:3], -1
	s_or_b64 s[14:15], s[12:13], vcc
	s_mov_b64 s[12:13], 0
	s_and_saveexec_b64 s[16:17], s[14:15]
	s_xor_b64 s[14:15], exec, s[16:17]
; %bb.1076:
	v_or_b32_e32 v13, v1, v0
	v_cmp_gt_u32_e32 vcc, 64, v13
	s_and_b64 s[12:13], vcc, exec
                                        ; implicit-def: $vgpr13_vgpr14
; %bb.1077:
	s_or_saveexec_b64 s[14:15], s[14:15]
	v_mov_b32_e32 v15, 0
	v_mov_b32_e32 v16, 0
	s_xor_b64 exec, exec, s[14:15]
	s_cbranch_execz .LBB42_1079
; %bb.1078:
	v_lshlrev_b64 v[13:14], 3, v[13:14]
	v_mov_b32_e32 v15, s92
	v_add_co_u32_e32 v13, vcc, s89, v13
	v_addc_co_u32_e32 v14, vcc, v15, v14, vcc
	global_load_dwordx2 v[13:14], v[13:14], off
	s_or_b64 s[12:13], s[12:13], exec
	s_waitcnt vmcnt(0)
	v_div_scale_f64 v[15:16], s[16:17], v[13:14], v[13:14], 1.0
	v_div_scale_f64 v[22:23], vcc, 1.0, v[13:14], 1.0
	v_rcp_f64_e32 v[18:19], v[15:16]
	v_fma_f64 v[20:21], -v[15:16], v[18:19], 1.0
	v_fma_f64 v[18:19], v[18:19], v[20:21], v[18:19]
	v_fma_f64 v[20:21], -v[15:16], v[18:19], 1.0
	v_fma_f64 v[18:19], v[18:19], v[20:21], v[18:19]
	v_mul_f64 v[20:21], v[22:23], v[18:19]
	v_fma_f64 v[15:16], -v[15:16], v[20:21], v[22:23]
	v_div_fmas_f64 v[15:16], v[15:16], v[18:19], v[20:21]
	v_div_fixup_f64 v[15:16], v[15:16], v[13:14], 1.0
.LBB42_1079:
	s_or_b64 exec, exec, s[14:15]
	s_and_b64 s[12:13], s[12:13], exec
                                        ; implicit-def: $vgpr13_vgpr14
	s_andn2_saveexec_b64 s[8:9], s[8:9]
	s_cbranch_execz .LBB42_40
.LBB42_1080:
	v_lshlrev_b64 v[13:14], 3, v[13:14]
	v_mov_b32_e32 v15, s92
	v_add_co_u32_e32 v13, vcc, s89, v13
	v_addc_co_u32_e32 v14, vcc, v15, v14, vcc
	global_load_dwordx2 v[15:16], v[13:14], off
	s_or_b64 s[12:13], s[12:13], exec
	s_waitcnt vmcnt(0)
	v_xor_b32_e32 v16, 0x80000000, v16
	s_or_b64 exec, exec, s[8:9]
	s_and_saveexec_b64 s[8:9], s[12:13]
	s_cbranch_execnz .LBB42_41
	s_branch .LBB42_42
.LBB42_1081:
	v_cmp_ne_u32_e32 vcc, v0, v1
	s_xor_b64 s[12:13], s[2:3], -1
	s_or_b64 s[14:15], s[12:13], vcc
	s_mov_b64 s[12:13], 0
	s_and_saveexec_b64 s[16:17], s[14:15]
	s_xor_b64 s[14:15], exec, s[16:17]
; %bb.1082:
	v_or_b32_e32 v13, v1, v0
	v_cmp_gt_u32_e32 vcc, 64, v13
	s_and_b64 s[12:13], vcc, exec
                                        ; implicit-def: $vgpr13_vgpr14
; %bb.1083:
	s_or_saveexec_b64 s[14:15], s[14:15]
	v_mov_b32_e32 v15, 0
	v_mov_b32_e32 v16, 0
	s_xor_b64 exec, exec, s[14:15]
	s_cbranch_execz .LBB42_1085
; %bb.1084:
	v_lshlrev_b64 v[13:14], 3, v[13:14]
	v_mov_b32_e32 v15, s92
	v_add_co_u32_e32 v13, vcc, s89, v13
	v_addc_co_u32_e32 v14, vcc, v15, v14, vcc
	global_load_dwordx2 v[13:14], v[13:14], off
	s_or_b64 s[12:13], s[12:13], exec
	s_waitcnt vmcnt(0)
	v_div_scale_f64 v[15:16], s[16:17], v[13:14], v[13:14], 1.0
	v_div_scale_f64 v[22:23], vcc, 1.0, v[13:14], 1.0
	v_rcp_f64_e32 v[18:19], v[15:16]
	v_fma_f64 v[20:21], -v[15:16], v[18:19], 1.0
	v_fma_f64 v[18:19], v[18:19], v[20:21], v[18:19]
	v_fma_f64 v[20:21], -v[15:16], v[18:19], 1.0
	v_fma_f64 v[18:19], v[18:19], v[20:21], v[18:19]
	v_mul_f64 v[20:21], v[22:23], v[18:19]
	v_fma_f64 v[15:16], -v[15:16], v[20:21], v[22:23]
	v_div_fmas_f64 v[15:16], v[15:16], v[18:19], v[20:21]
	v_div_fixup_f64 v[15:16], v[15:16], v[13:14], 1.0
.LBB42_1085:
	s_or_b64 exec, exec, s[14:15]
	s_and_b64 s[12:13], s[12:13], exec
                                        ; implicit-def: $vgpr13_vgpr14
	s_andn2_saveexec_b64 s[8:9], s[8:9]
	s_cbranch_execz .LBB42_44
.LBB42_1086:
	v_lshlrev_b64 v[13:14], 3, v[13:14]
	v_mov_b32_e32 v15, s92
	v_add_co_u32_e32 v13, vcc, s89, v13
	v_addc_co_u32_e32 v14, vcc, v15, v14, vcc
	global_load_dwordx2 v[15:16], v[13:14], off
	s_or_b64 s[12:13], s[12:13], exec
	s_waitcnt vmcnt(0)
	v_xor_b32_e32 v16, 0x80000000, v16
	s_or_b64 exec, exec, s[8:9]
	s_and_saveexec_b64 s[8:9], s[12:13]
	s_cbranch_execnz .LBB42_45
	s_branch .LBB42_46
.LBB42_1087:
	s_or_b64 exec, exec, s[8:9]
	s_and_b64 vcc, exec, s[6:7]
	s_cbranch_vccnz .LBB42_1031
.LBB42_1088:
	v_mov_b32_e32 v12, v6
	v_mov_b32_e32 v11, v5
	s_and_saveexec_b64 s[0:1], s[4:5]
	s_cbranch_execnz .LBB42_1094
	s_branch .LBB42_1095
.LBB42_1089:
	s_mov_b64 s[0:1], 0
.LBB42_1090:
	v_cmp_gt_i32_e32 vcc, s88, v0
	s_and_b64 s[2:3], s[2:3], vcc
	s_andn2_b64 s[0:1], s[0:1], exec
	s_and_b64 s[2:3], s[2:3], exec
	s_or_b64 s[0:1], s[0:1], s[2:3]
.LBB42_1091:
                                        ; implicit-def: $vgpr1_vgpr2
	s_and_saveexec_b64 s[2:3], s[0:1]
	s_cbranch_execz .LBB42_1093
; %bb.1092:
	v_mov_b32_e32 v0, s36
	v_add_co_u32_e32 v1, vcc, s33, v19
	v_addc_co_u32_e32 v0, vcc, 0, v0, vcc
	v_mul_lo_u32 v0, v0, s50
	v_mul_lo_u32 v3, v1, s51
	v_mad_u64_u32 v[1:2], s[0:1], v1, s50, 0
	s_or_b64 s[4:5], s[4:5], exec
	v_add3_u32 v2, v2, v3, v0
.LBB42_1093:
	s_or_b64 exec, exec, s[2:3]
	s_and_saveexec_b64 s[0:1], s[4:5]
	s_cbranch_execz .LBB42_1095
.LBB42_1094:
	v_lshlrev_b64 v[0:1], 3, v[1:2]
	v_mov_b32_e32 v2, s21
	v_add_co_u32_e32 v0, vcc, s20, v0
	v_addc_co_u32_e32 v1, vcc, v2, v1, vcc
	global_store_dwordx2 v[0:1], v[11:12], off
.LBB42_1095:
	s_or_b64 exec, exec, s[0:1]
	v_cmp_eq_u32_e32 vcc, 0, v19
	s_waitcnt vmcnt(0)
	buffer_wbinvl1_vol
	s_barrier
	s_and_saveexec_b64 s[0:1], vcc
	s_cbranch_execz .LBB42_1097
; %bb.1096:
	s_lshl_b64 s[2:3], s[22:23], 2
	s_add_u32 s2, s14, s2
	s_addc_u32 s3, s15, s3
	v_mov_b32_e32 v0, 0
	global_load_dword v1, v0, s[2:3]
	s_waitcnt vmcnt(0)
	v_add_u32_e32 v1, 1, v1
	global_store_dword v0, v1, s[2:3]
.LBB42_1097:
	s_or_b64 exec, exec, s[0:1]
	s_waitcnt vmcnt(0)
	buffer_wbinvl1_vol
	s_endpgm
.LBB42_1098:
	ds_read_b64 v[21:22], v20 offset:31680
	ds_read_b64 v[23:24], v19 offset:31208
	s_waitcnt lgkmcnt(0)
	v_fma_f64 v[11:12], v[21:22], v[23:24], v[11:12]
	s_or_b64 exec, exec, s[14:15]
	v_cmp_gt_u32_e64 s[10:11], 8, v15
	s_and_saveexec_b64 s[14:15], s[10:11]
	s_cbranch_execz .LBB42_79
.LBB42_1099:
	ds_read_b64 v[20:21], v20 offset:32192
	ds_read_b64 v[22:23], v19 offset:31216
	s_waitcnt lgkmcnt(0)
	v_fma_f64 v[11:12], v[20:21], v[22:23], v[11:12]
	s_or_b64 exec, exec, s[14:15]
	v_cmp_gt_u32_e64 s[10:11], 4, v15
	s_and_saveexec_b64 s[14:15], s[10:11]
	s_cbranch_execnz .LBB42_80
	s_branch .LBB42_81
.LBB42_1100:
	ds_read_b64 v[24:25], v23 offset:29568
	ds_read_b64 v[26:27], v22 offset:29128
	s_waitcnt lgkmcnt(0)
	v_fma_f64 v[11:12], v[24:25], v[26:27], v[11:12]
	s_or_b64 exec, exec, s[16:17]
	v_cmp_gt_u32_e64 s[14:15], 48, v15
	s_and_saveexec_b64 s[16:17], s[14:15]
	s_cbranch_execz .LBB42_121
.LBB42_1101:
	ds_read_b64 v[24:25], v23 offset:30080
	ds_read_b64 v[26:27], v22 offset:29136
	s_waitcnt lgkmcnt(0)
	v_fma_f64 v[11:12], v[24:25], v[26:27], v[11:12]
	s_or_b64 exec, exec, s[16:17]
	v_cmp_gt_u32_e64 s[14:15], 40, v15
	s_and_saveexec_b64 s[16:17], s[14:15]
	s_cbranch_execz .LBB42_122
.LBB42_1102:
	ds_read_b64 v[24:25], v23 offset:30592
	ds_read_b64 v[26:27], v22 offset:29144
	s_waitcnt lgkmcnt(0)
	v_fma_f64 v[11:12], v[24:25], v[26:27], v[11:12]
	s_or_b64 exec, exec, s[16:17]
	v_cmp_gt_u32_e64 s[14:15], 32, v15
	s_and_saveexec_b64 s[16:17], s[14:15]
	s_cbranch_execz .LBB42_123
.LBB42_1103:
	ds_read_b64 v[24:25], v23 offset:31104
	ds_read_b64 v[26:27], v22 offset:29152
	s_waitcnt lgkmcnt(0)
	v_fma_f64 v[11:12], v[24:25], v[26:27], v[11:12]
	s_or_b64 exec, exec, s[16:17]
	v_cmp_gt_u32_e64 s[14:15], 24, v15
	s_and_saveexec_b64 s[16:17], s[14:15]
	s_cbranch_execz .LBB42_124
.LBB42_1104:
	ds_read_b64 v[24:25], v23 offset:31616
	ds_read_b64 v[26:27], v22 offset:29160
	s_waitcnt lgkmcnt(0)
	v_fma_f64 v[11:12], v[24:25], v[26:27], v[11:12]
	s_or_b64 exec, exec, s[16:17]
	s_and_saveexec_b64 s[14:15], s[18:19]
	s_cbranch_execz .LBB42_125
.LBB42_1105:
	ds_read_b64 v[23:24], v23 offset:32128
	ds_read_b64 v[25:26], v22 offset:29168
	s_waitcnt lgkmcnt(0)
	v_fma_f64 v[11:12], v[23:24], v[25:26], v[11:12]
	s_or_b64 exec, exec, s[14:15]
	v_cmp_gt_u32_e64 s[14:15], 8, v15
	s_and_saveexec_b64 s[16:17], s[14:15]
	s_cbranch_execnz .LBB42_126
	s_branch .LBB42_127
.LBB42_1106:
	ds_read_b64 v[24:25], v23 offset:27520
	ds_read_b64 v[26:27], v22 offset:27048
	s_waitcnt lgkmcnt(0)
	v_fma_f64 v[11:12], v[24:25], v[26:27], v[11:12]
	s_or_b64 exec, exec, s[14:15]
	v_cmp_gt_u32_e64 s[10:11], 8, v15
	s_and_saveexec_b64 s[14:15], s[10:11]
	s_cbranch_execz .LBB42_183
.LBB42_1107:
	ds_read_b64 v[23:24], v23 offset:28032
	ds_read_b64 v[25:26], v22 offset:27056
	s_waitcnt lgkmcnt(0)
	v_fma_f64 v[11:12], v[23:24], v[25:26], v[11:12]
	s_or_b64 exec, exec, s[14:15]
	v_cmp_gt_u32_e64 s[10:11], 4, v15
	s_and_saveexec_b64 s[14:15], s[10:11]
	s_cbranch_execnz .LBB42_184
	s_branch .LBB42_185
.LBB42_1108:
	ds_read_b64 v[27:28], v26 offset:30464
	ds_read_b64 v[29:30], v25 offset:25048
	s_waitcnt lgkmcnt(0)
	v_fma_f64 v[11:12], v[27:28], v[29:30], v[11:12]
	s_or_b64 exec, exec, s[20:21]
	s_and_saveexec_b64 s[16:17], s[8:9]
	s_cbranch_execz .LBB42_245
.LBB42_1109:
	ds_read_b64 v[27:28], v26 offset:30976
	ds_read_b64 v[29:30], v25 offset:25056
	s_waitcnt lgkmcnt(0)
	v_fma_f64 v[11:12], v[27:28], v[29:30], v[11:12]
	s_or_b64 exec, exec, s[16:17]
	v_cmp_gt_u32_e64 s[16:17], 48, v15
	s_and_saveexec_b64 s[20:21], s[16:17]
	s_cbranch_execz .LBB42_246
.LBB42_1110:
	ds_read_b64 v[27:28], v26 offset:31488
	ds_read_b64 v[29:30], v25 offset:25064
	s_waitcnt lgkmcnt(0)
	v_fma_f64 v[11:12], v[27:28], v[29:30], v[11:12]
	s_or_b64 exec, exec, s[20:21]
	v_cmp_gt_u32_e64 s[16:17], 32, v15
	s_and_saveexec_b64 s[20:21], s[16:17]
	s_cbranch_execz .LBB42_247
.LBB42_1111:
	ds_read_b64 v[26:27], v26 offset:32000
	ds_read_b64 v[28:29], v25 offset:25072
	s_waitcnt lgkmcnt(0)
	v_fma_f64 v[11:12], v[26:27], v[28:29], v[11:12]
	s_or_b64 exec, exec, s[20:21]
	v_cmp_gt_u32_e64 s[16:17], 16, v15
	s_and_saveexec_b64 s[20:21], s[16:17]
	s_cbranch_execnz .LBB42_248
	s_branch .LBB42_249
.LBB42_1112:
	ds_read_b64 v[27:28], v26 offset:23360
	ds_read_b64 v[29:30], v25 offset:22888
	s_waitcnt lgkmcnt(0)
	v_fma_f64 v[11:12], v[27:28], v[29:30], v[11:12]
	s_or_b64 exec, exec, s[0:1]
	v_cmp_gt_u32_e64 s[14:15], 8, v15
	s_and_saveexec_b64 s[0:1], s[14:15]
	s_cbranch_execz .LBB42_337
.LBB42_1113:
	ds_read_b64 v[26:27], v26 offset:23872
	ds_read_b64 v[28:29], v25 offset:22896
	s_waitcnt lgkmcnt(0)
	v_fma_f64 v[11:12], v[26:27], v[28:29], v[11:12]
	s_or_b64 exec, exec, s[0:1]
	v_cmp_gt_u32_e64 s[14:15], 4, v15
	s_and_saveexec_b64 s[20:21], s[14:15]
	s_cbranch_execnz .LBB42_338
	s_branch .LBB42_339
.LBB42_1114:
	ds_read_b64 v[27:28], v26 offset:21248
	ds_read_b64 v[29:30], v25 offset:20808
	s_waitcnt lgkmcnt(0)
	v_fma_f64 v[11:12], v[27:28], v[29:30], v[11:12]
	s_or_b64 exec, exec, s[0:1]
	v_cmp_gt_u32_e64 s[14:15], 48, v15
	s_and_saveexec_b64 s[0:1], s[14:15]
	s_cbranch_execz .LBB42_379
.LBB42_1115:
	ds_read_b64 v[27:28], v26 offset:21760
	ds_read_b64 v[29:30], v25 offset:20816
	s_waitcnt lgkmcnt(0)
	v_fma_f64 v[11:12], v[27:28], v[29:30], v[11:12]
	s_or_b64 exec, exec, s[0:1]
	v_cmp_gt_u32_e64 s[14:15], 40, v15
	s_and_saveexec_b64 s[0:1], s[14:15]
	s_cbranch_execz .LBB42_380
.LBB42_1116:
	ds_read_b64 v[27:28], v26 offset:22272
	ds_read_b64 v[29:30], v25 offset:20824
	s_waitcnt lgkmcnt(0)
	v_fma_f64 v[11:12], v[27:28], v[29:30], v[11:12]
	s_or_b64 exec, exec, s[0:1]
	v_cmp_gt_u32_e64 s[14:15], 32, v15
	s_and_saveexec_b64 s[0:1], s[14:15]
	s_cbranch_execz .LBB42_381
.LBB42_1117:
	ds_read_b64 v[27:28], v26 offset:22784
	ds_read_b64 v[29:30], v25 offset:20832
	s_waitcnt lgkmcnt(0)
	v_fma_f64 v[11:12], v[27:28], v[29:30], v[11:12]
	s_or_b64 exec, exec, s[0:1]
	v_cmp_gt_u32_e64 s[14:15], 24, v15
	s_and_saveexec_b64 s[0:1], s[14:15]
	s_cbranch_execz .LBB42_382
.LBB42_1118:
	ds_read_b64 v[27:28], v26 offset:23296
	ds_read_b64 v[29:30], v25 offset:20840
	s_waitcnt lgkmcnt(0)
	v_fma_f64 v[11:12], v[27:28], v[29:30], v[11:12]
	s_or_b64 exec, exec, s[0:1]
	s_and_saveexec_b64 s[0:1], s[18:19]
	s_cbranch_execz .LBB42_383
.LBB42_1119:
	ds_read_b64 v[26:27], v26 offset:23808
	ds_read_b64 v[28:29], v25 offset:20848
	s_waitcnt lgkmcnt(0)
	v_fma_f64 v[11:12], v[26:27], v[28:29], v[11:12]
	s_or_b64 exec, exec, s[0:1]
	v_cmp_gt_u32_e64 s[14:15], 8, v15
	s_and_saveexec_b64 s[20:21], s[14:15]
	s_cbranch_execnz .LBB42_384
	s_branch .LBB42_385
.LBB42_1120:
	ds_read_b64 v[27:28], v26 offset:19200
	ds_read_b64 v[29:30], v25 offset:18728
	s_waitcnt lgkmcnt(0)
	v_fma_f64 v[11:12], v[27:28], v[29:30], v[11:12]
	s_or_b64 exec, exec, s[0:1]
	v_cmp_gt_u32_e64 s[14:15], 8, v15
	s_and_saveexec_b64 s[0:1], s[14:15]
	s_cbranch_execz .LBB42_441
.LBB42_1121:
	ds_read_b64 v[26:27], v26 offset:19712
	ds_read_b64 v[28:29], v25 offset:18736
	s_waitcnt lgkmcnt(0)
	v_fma_f64 v[11:12], v[26:27], v[28:29], v[11:12]
	s_or_b64 exec, exec, s[0:1]
	v_cmp_gt_u32_e64 s[14:15], 4, v15
	s_and_saveexec_b64 s[20:21], s[14:15]
	s_cbranch_execnz .LBB42_442
	s_branch .LBB42_443
.LBB42_1122:
	ds_read_b64 v[30:31], v29 offset:31232
	ds_read_b64 v[32:33], v28 offset:16872
	s_waitcnt lgkmcnt(0)
	v_fma_f64 v[11:12], v[30:31], v[32:33], v[11:12]
	s_or_b64 exec, exec, s[0:1]
	s_and_saveexec_b64 s[0:1], s[8:9]
	s_cbranch_execz .LBB42_539
.LBB42_1123:
	ds_read_b64 v[29:30], v29 offset:31744
	ds_read_b64 v[31:32], v28 offset:16880
	s_waitcnt lgkmcnt(0)
	v_fma_f64 v[11:12], v[29:30], v[31:32], v[11:12]
	s_or_b64 exec, exec, s[0:1]
	v_cmp_gt_u32_e64 s[20:21], 32, v15
	s_and_saveexec_b64 s[0:1], s[20:21]
	s_cbranch_execnz .LBB42_540
	s_branch .LBB42_541
.LBB42_1124:
	ds_read_b64 v[27:28], v26 offset:15040
	ds_read_b64 v[29:30], v25 offset:14568
	s_waitcnt lgkmcnt(0)
	v_fma_f64 v[11:12], v[27:28], v[29:30], v[11:12]
	s_or_b64 exec, exec, s[0:1]
	v_cmp_gt_u32_e64 s[12:13], 8, v15
	s_and_saveexec_b64 s[0:1], s[12:13]
	s_cbranch_execz .LBB42_585
.LBB42_1125:
	ds_read_b64 v[26:27], v26 offset:15552
	ds_read_b64 v[28:29], v25 offset:14576
	s_waitcnt lgkmcnt(0)
	v_fma_f64 v[11:12], v[26:27], v[28:29], v[11:12]
	s_or_b64 exec, exec, s[0:1]
	v_cmp_gt_u32_e64 s[12:13], 4, v15
	s_and_saveexec_b64 s[0:1], s[12:13]
	s_cbranch_execnz .LBB42_586
	s_branch .LBB42_587
.LBB42_1126:
	ds_read_b64 v[27:28], v26 offset:12928
	ds_read_b64 v[29:30], v25 offset:12488
	s_waitcnt lgkmcnt(0)
	v_fma_f64 v[11:12], v[27:28], v[29:30], v[11:12]
	s_or_b64 exec, exec, s[0:1]
	v_cmp_gt_u32_e64 s[12:13], 48, v15
	s_and_saveexec_b64 s[0:1], s[12:13]
	s_cbranch_execz .LBB42_627
.LBB42_1127:
	ds_read_b64 v[27:28], v26 offset:13440
	ds_read_b64 v[29:30], v25 offset:12496
	s_waitcnt lgkmcnt(0)
	v_fma_f64 v[11:12], v[27:28], v[29:30], v[11:12]
	s_or_b64 exec, exec, s[0:1]
	v_cmp_gt_u32_e64 s[12:13], 40, v15
	s_and_saveexec_b64 s[0:1], s[12:13]
	s_cbranch_execz .LBB42_628
.LBB42_1128:
	ds_read_b64 v[27:28], v26 offset:13952
	ds_read_b64 v[29:30], v25 offset:12504
	s_waitcnt lgkmcnt(0)
	v_fma_f64 v[11:12], v[27:28], v[29:30], v[11:12]
	s_or_b64 exec, exec, s[0:1]
	v_cmp_gt_u32_e64 s[12:13], 32, v15
	s_and_saveexec_b64 s[0:1], s[12:13]
	s_cbranch_execz .LBB42_629
.LBB42_1129:
	ds_read_b64 v[27:28], v26 offset:14464
	ds_read_b64 v[29:30], v25 offset:12512
	s_waitcnt lgkmcnt(0)
	v_fma_f64 v[11:12], v[27:28], v[29:30], v[11:12]
	s_or_b64 exec, exec, s[0:1]
	v_cmp_gt_u32_e64 s[12:13], 24, v15
	s_and_saveexec_b64 s[0:1], s[12:13]
	s_cbranch_execz .LBB42_630
.LBB42_1130:
	ds_read_b64 v[27:28], v26 offset:14976
	ds_read_b64 v[29:30], v25 offset:12520
	s_waitcnt lgkmcnt(0)
	v_fma_f64 v[11:12], v[27:28], v[29:30], v[11:12]
	s_or_b64 exec, exec, s[0:1]
	s_and_saveexec_b64 s[0:1], s[18:19]
	s_cbranch_execz .LBB42_631
.LBB42_1131:
	ds_read_b64 v[26:27], v26 offset:15488
	ds_read_b64 v[28:29], v25 offset:12528
	s_waitcnt lgkmcnt(0)
	v_fma_f64 v[11:12], v[26:27], v[28:29], v[11:12]
	s_or_b64 exec, exec, s[0:1]
	v_cmp_gt_u32_e64 s[12:13], 8, v15
	s_and_saveexec_b64 s[0:1], s[12:13]
	s_cbranch_execnz .LBB42_632
	s_branch .LBB42_633
.LBB42_1132:
	ds_read_b64 v[27:28], v26 offset:10880
	ds_read_b64 v[29:30], v25 offset:10408
	s_waitcnt lgkmcnt(0)
	v_fma_f64 v[11:12], v[27:28], v[29:30], v[11:12]
	s_or_b64 exec, exec, s[0:1]
	v_cmp_gt_u32_e64 s[12:13], 8, v15
	s_and_saveexec_b64 s[0:1], s[12:13]
	s_cbranch_execz .LBB42_689
.LBB42_1133:
	ds_read_b64 v[26:27], v26 offset:11392
	ds_read_b64 v[28:29], v25 offset:10416
	s_waitcnt lgkmcnt(0)
	v_fma_f64 v[11:12], v[26:27], v[28:29], v[11:12]
	s_or_b64 exec, exec, s[0:1]
	v_cmp_gt_u32_e64 s[12:13], 4, v15
	s_and_saveexec_b64 s[0:1], s[12:13]
	s_cbranch_execnz .LBB42_690
	s_branch .LBB42_691
.LBB42_1134:
	ds_read_b64 v[27:28], v26 offset:13824
	ds_read_b64 v[29:30], v25 offset:8408
	s_waitcnt lgkmcnt(0)
	v_fma_f64 v[11:12], v[27:28], v[29:30], v[11:12]
	s_or_b64 exec, exec, s[0:1]
	s_and_saveexec_b64 s[0:1], s[8:9]
	s_cbranch_execz .LBB42_751
.LBB42_1135:
	ds_read_b64 v[27:28], v26 offset:14336
	ds_read_b64 v[29:30], v25 offset:8416
	s_waitcnt lgkmcnt(0)
	v_fma_f64 v[11:12], v[27:28], v[29:30], v[11:12]
	s_or_b64 exec, exec, s[0:1]
	v_cmp_gt_u32_e64 s[12:13], 48, v15
	s_and_saveexec_b64 s[0:1], s[12:13]
	s_cbranch_execz .LBB42_752
.LBB42_1136:
	ds_read_b64 v[27:28], v26 offset:14848
	ds_read_b64 v[29:30], v25 offset:8424
	s_waitcnt lgkmcnt(0)
	v_fma_f64 v[11:12], v[27:28], v[29:30], v[11:12]
	s_or_b64 exec, exec, s[0:1]
	v_cmp_gt_u32_e64 s[12:13], 32, v15
	s_and_saveexec_b64 s[0:1], s[12:13]
	s_cbranch_execz .LBB42_753
.LBB42_1137:
	ds_read_b64 v[26:27], v26 offset:15360
	ds_read_b64 v[28:29], v25 offset:8432
	s_waitcnt lgkmcnt(0)
	v_fma_f64 v[11:12], v[26:27], v[28:29], v[11:12]
	s_or_b64 exec, exec, s[0:1]
	v_cmp_gt_u32_e64 s[12:13], 16, v15
	s_and_saveexec_b64 s[0:1], s[12:13]
	s_cbranch_execnz .LBB42_754
	s_branch .LBB42_755
.LBB42_1138:
	ds_read_b64 v[24:25], v23 offset:6720
	ds_read_b64 v[26:27], v22 offset:6248
	s_waitcnt lgkmcnt(0)
	v_fma_f64 v[11:12], v[24:25], v[26:27], v[11:12]
	s_or_b64 exec, exec, s[12:13]
	v_cmp_gt_u32_e64 s[10:11], 8, v15
	s_and_saveexec_b64 s[12:13], s[10:11]
	s_cbranch_execz .LBB42_843
.LBB42_1139:
	ds_read_b64 v[23:24], v23 offset:7232
	ds_read_b64 v[25:26], v22 offset:6256
	s_waitcnt lgkmcnt(0)
	v_fma_f64 v[11:12], v[23:24], v[25:26], v[11:12]
	s_or_b64 exec, exec, s[12:13]
	v_cmp_gt_u32_e64 s[10:11], 4, v15
	s_and_saveexec_b64 s[12:13], s[10:11]
	s_cbranch_execnz .LBB42_844
	s_branch .LBB42_845
.LBB42_1140:
	ds_read_b64 v[24:25], v23 offset:4608
	ds_read_b64 v[26:27], v22 offset:4168
	s_waitcnt lgkmcnt(0)
	v_fma_f64 v[11:12], v[24:25], v[26:27], v[11:12]
	s_or_b64 exec, exec, s[12:13]
	v_cmp_gt_u32_e64 s[10:11], 48, v15
	s_and_saveexec_b64 s[12:13], s[10:11]
	s_cbranch_execz .LBB42_885
.LBB42_1141:
	ds_read_b64 v[24:25], v23 offset:5120
	ds_read_b64 v[26:27], v22 offset:4176
	s_waitcnt lgkmcnt(0)
	v_fma_f64 v[11:12], v[24:25], v[26:27], v[11:12]
	s_or_b64 exec, exec, s[12:13]
	v_cmp_gt_u32_e64 s[10:11], 40, v15
	s_and_saveexec_b64 s[12:13], s[10:11]
	s_cbranch_execz .LBB42_886
.LBB42_1142:
	ds_read_b64 v[24:25], v23 offset:5632
	ds_read_b64 v[26:27], v22 offset:4184
	s_waitcnt lgkmcnt(0)
	v_fma_f64 v[11:12], v[24:25], v[26:27], v[11:12]
	s_or_b64 exec, exec, s[12:13]
	v_cmp_gt_u32_e64 s[10:11], 32, v15
	s_and_saveexec_b64 s[12:13], s[10:11]
	s_cbranch_execz .LBB42_887
.LBB42_1143:
	ds_read_b64 v[24:25], v23 offset:6144
	ds_read_b64 v[26:27], v22 offset:4192
	s_waitcnt lgkmcnt(0)
	v_fma_f64 v[11:12], v[24:25], v[26:27], v[11:12]
	s_or_b64 exec, exec, s[12:13]
	v_cmp_gt_u32_e64 s[10:11], 24, v15
	s_and_saveexec_b64 s[12:13], s[10:11]
	s_cbranch_execz .LBB42_888
.LBB42_1144:
	ds_read_b64 v[24:25], v23 offset:6656
	ds_read_b64 v[26:27], v22 offset:4200
	s_waitcnt lgkmcnt(0)
	v_fma_f64 v[11:12], v[24:25], v[26:27], v[11:12]
	s_or_b64 exec, exec, s[12:13]
	s_and_saveexec_b64 s[10:11], s[18:19]
	s_cbranch_execz .LBB42_889
.LBB42_1145:
	ds_read_b64 v[23:24], v23 offset:7168
	ds_read_b64 v[25:26], v22 offset:4208
	s_waitcnt lgkmcnt(0)
	v_fma_f64 v[11:12], v[23:24], v[25:26], v[11:12]
	s_or_b64 exec, exec, s[10:11]
	v_cmp_gt_u32_e64 s[10:11], 8, v15
	s_and_saveexec_b64 s[12:13], s[10:11]
	s_cbranch_execnz .LBB42_890
	s_branch .LBB42_891
.LBB42_1146:
	ds_read_b64 v[21:22], v20 offset:2560
	ds_read_b64 v[23:24], v19 offset:2088
	s_waitcnt lgkmcnt(0)
	v_fma_f64 v[11:12], v[21:22], v[23:24], v[11:12]
	s_or_b64 exec, exec, s[10:11]
	v_cmp_gt_u32_e64 s[8:9], 8, v15
	s_and_saveexec_b64 s[10:11], s[8:9]
	s_cbranch_execz .LBB42_947
.LBB42_1147:
	ds_read_b64 v[20:21], v20 offset:3072
	ds_read_b64 v[22:23], v19 offset:2096
	s_waitcnt lgkmcnt(0)
	v_fma_f64 v[11:12], v[20:21], v[22:23], v[11:12]
	s_or_b64 exec, exec, s[10:11]
	v_cmp_gt_u32_e64 s[8:9], 4, v15
	s_and_saveexec_b64 s[10:11], s[8:9]
	s_cbranch_execnz .LBB42_948
	s_branch .LBB42_949
	.section	.rodata,"a",@progbits
	.p2align	6, 0x0
	.amdhsa_kernel _ZL19rocblas_trsv_deviceILi64ELi16ELb0ELb1ELb1ELb0EddPKdPdEviT7_lllT6_T8_lllPii
		.amdhsa_group_segment_fixed_size 41480
		.amdhsa_private_segment_fixed_size 0
		.amdhsa_kernarg_size 352
		.amdhsa_user_sgpr_count 6
		.amdhsa_user_sgpr_private_segment_buffer 1
		.amdhsa_user_sgpr_dispatch_ptr 0
		.amdhsa_user_sgpr_queue_ptr 0
		.amdhsa_user_sgpr_kernarg_segment_ptr 1
		.amdhsa_user_sgpr_dispatch_id 0
		.amdhsa_user_sgpr_flat_scratch_init 0
		.amdhsa_user_sgpr_private_segment_size 0
		.amdhsa_uses_dynamic_stack 0
		.amdhsa_system_sgpr_private_segment_wavefront_offset 0
		.amdhsa_system_sgpr_workgroup_id_x 1
		.amdhsa_system_sgpr_workgroup_id_y 0
		.amdhsa_system_sgpr_workgroup_id_z 1
		.amdhsa_system_sgpr_workgroup_info 0
		.amdhsa_system_vgpr_workitem_id 1
		.amdhsa_next_free_vgpr 49
		.amdhsa_next_free_sgpr 98
		.amdhsa_reserve_vcc 1
		.amdhsa_reserve_flat_scratch 0
		.amdhsa_float_round_mode_32 0
		.amdhsa_float_round_mode_16_64 0
		.amdhsa_float_denorm_mode_32 3
		.amdhsa_float_denorm_mode_16_64 3
		.amdhsa_dx10_clamp 1
		.amdhsa_ieee_mode 1
		.amdhsa_fp16_overflow 0
		.amdhsa_exception_fp_ieee_invalid_op 0
		.amdhsa_exception_fp_denorm_src 0
		.amdhsa_exception_fp_ieee_div_zero 0
		.amdhsa_exception_fp_ieee_overflow 0
		.amdhsa_exception_fp_ieee_underflow 0
		.amdhsa_exception_fp_ieee_inexact 0
		.amdhsa_exception_int_div_zero 0
	.end_amdhsa_kernel
	.section	.text._ZL19rocblas_trsv_deviceILi64ELi16ELb0ELb1ELb1ELb0EddPKdPdEviT7_lllT6_T8_lllPii,"axG",@progbits,_ZL19rocblas_trsv_deviceILi64ELi16ELb0ELb1ELb1ELb0EddPKdPdEviT7_lllT6_T8_lllPii,comdat
.Lfunc_end42:
	.size	_ZL19rocblas_trsv_deviceILi64ELi16ELb0ELb1ELb1ELb0EddPKdPdEviT7_lllT6_T8_lllPii, .Lfunc_end42-_ZL19rocblas_trsv_deviceILi64ELi16ELb0ELb1ELb1ELb0EddPKdPdEviT7_lllT6_T8_lllPii
                                        ; -- End function
	.set _ZL19rocblas_trsv_deviceILi64ELi16ELb0ELb1ELb1ELb0EddPKdPdEviT7_lllT6_T8_lllPii.num_vgpr, 37
	.set _ZL19rocblas_trsv_deviceILi64ELi16ELb0ELb1ELb1ELb0EddPKdPdEviT7_lllT6_T8_lllPii.num_agpr, 0
	.set _ZL19rocblas_trsv_deviceILi64ELi16ELb0ELb1ELb1ELb0EddPKdPdEviT7_lllT6_T8_lllPii.numbered_sgpr, 96
	.set _ZL19rocblas_trsv_deviceILi64ELi16ELb0ELb1ELb1ELb0EddPKdPdEviT7_lllT6_T8_lllPii.num_named_barrier, 0
	.set _ZL19rocblas_trsv_deviceILi64ELi16ELb0ELb1ELb1ELb0EddPKdPdEviT7_lllT6_T8_lllPii.private_seg_size, 0
	.set _ZL19rocblas_trsv_deviceILi64ELi16ELb0ELb1ELb1ELb0EddPKdPdEviT7_lllT6_T8_lllPii.uses_vcc, 1
	.set _ZL19rocblas_trsv_deviceILi64ELi16ELb0ELb1ELb1ELb0EddPKdPdEviT7_lllT6_T8_lllPii.uses_flat_scratch, 0
	.set _ZL19rocblas_trsv_deviceILi64ELi16ELb0ELb1ELb1ELb0EddPKdPdEviT7_lllT6_T8_lllPii.has_dyn_sized_stack, 0
	.set _ZL19rocblas_trsv_deviceILi64ELi16ELb0ELb1ELb1ELb0EddPKdPdEviT7_lllT6_T8_lllPii.has_recursion, 0
	.set _ZL19rocblas_trsv_deviceILi64ELi16ELb0ELb1ELb1ELb0EddPKdPdEviT7_lllT6_T8_lllPii.has_indirect_call, 0
	.section	.AMDGPU.csdata,"",@progbits
; Kernel info:
; codeLenInByte = 39532
; TotalNumSgprs: 100
; NumVgprs: 37
; ScratchSize: 0
; MemoryBound: 0
; FloatMode: 240
; IeeeMode: 1
; LDSByteSize: 41480 bytes/workgroup (compile time only)
; SGPRBlocks: 12
; VGPRBlocks: 12
; NumSGPRsForWavesPerEU: 102
; NumVGPRsForWavesPerEU: 49
; Occupancy: 4
; WaveLimiterHint : 0
; COMPUTE_PGM_RSRC2:SCRATCH_EN: 0
; COMPUTE_PGM_RSRC2:USER_SGPR: 6
; COMPUTE_PGM_RSRC2:TRAP_HANDLER: 0
; COMPUTE_PGM_RSRC2:TGID_X_EN: 1
; COMPUTE_PGM_RSRC2:TGID_Y_EN: 0
; COMPUTE_PGM_RSRC2:TGID_Z_EN: 1
; COMPUTE_PGM_RSRC2:TIDIG_COMP_CNT: 1
	.section	.text._ZL19rocblas_trsv_deviceILi64ELi16ELb1ELb0ELb0ELb1EddPKdPdEviT7_lllT6_T8_lllPii,"axG",@progbits,_ZL19rocblas_trsv_deviceILi64ELi16ELb1ELb0ELb0ELb1EddPKdPdEviT7_lllT6_T8_lllPii,comdat
	.globl	_ZL19rocblas_trsv_deviceILi64ELi16ELb1ELb0ELb0ELb1EddPKdPdEviT7_lllT6_T8_lllPii ; -- Begin function _ZL19rocblas_trsv_deviceILi64ELi16ELb1ELb0ELb0ELb1EddPKdPdEviT7_lllT6_T8_lllPii
	.p2align	8
	.type	_ZL19rocblas_trsv_deviceILi64ELi16ELb1ELb0ELb0ELb1EddPKdPdEviT7_lllT6_T8_lllPii,@function
_ZL19rocblas_trsv_deviceILi64ELi16ELb1ELb0ELb0ELb1EddPKdPdEviT7_lllT6_T8_lllPii: ; @_ZL19rocblas_trsv_deviceILi64ELi16ELb1ELb0ELb0ELb1EddPKdPdEviT7_lllT6_T8_lllPii
; %bb.0:
	s_load_dwordx16 s[16:31], s[4:5], 0x8
	s_load_dword s33, s[4:5], 0x0
	s_mov_b32 s34, s7
	s_mov_b32 s35, 0
	s_waitcnt lgkmcnt(0)
	s_mul_i32 s0, s23, s7
	s_mul_hi_u32 s1, s22, s7
	s_add_i32 s1, s1, s0
	s_mul_i32 s0, s22, s7
	s_lshl_b64 s[0:1], s[0:1], 3
	s_add_u32 s2, s16, s0
	s_load_dword s16, s[4:5], 0x6c
	s_addc_u32 s3, s17, s1
	s_lshl_b64 s[0:1], s[18:19], 3
	s_add_u32 s82, s2, s0
	s_addc_u32 s83, s3, s1
	s_cmp_eq_u32 s6, 0
	s_cbranch_scc1 .LBB43_10
; %bb.1:
	s_lshl_b32 s2, s6, 6
	v_add_u32_e32 v2, s2, v1
	v_subrev_u32_e32 v12, 64, v2
	v_ashrrev_i32_e32 v2, 31, v12
	v_mul_lo_u32 v6, s20, v2
	v_mul_lo_u32 v7, s21, v12
	v_mad_u64_u32 v[2:3], s[0:1], s20, v12, 0
	v_add_u32_e32 v4, s2, v0
	v_ashrrev_i32_e32 v5, 31, v4
	v_add3_u32 v3, v3, v6, v7
	v_lshlrev_b64 v[2:3], 3, v[2:3]
	v_mov_b32_e32 v6, s83
	v_add_co_u32_e64 v7, s[0:1], s82, v2
	v_addc_co_u32_e64 v6, s[0:1], v6, v3, s[0:1]
	v_lshlrev_b64 v[2:3], 3, v[4:5]
	v_cmp_gt_i32_e32 vcc, s33, v4
	v_add_co_u32_e64 v10, s[0:1], v7, v2
	v_addc_co_u32_e64 v11, s[0:1], v6, v3, s[0:1]
	v_cmp_gt_i32_e64 s[0:1], s33, v12
	v_mov_b32_e32 v4, 0
	v_mov_b32_e32 v2, 0
	;; [unrolled: 1-line block ×4, first 2 shown]
	s_and_b64 s[2:3], vcc, s[0:1]
	s_waitcnt lgkmcnt(0)
	s_barrier
	s_and_saveexec_b64 s[0:1], s[2:3]
	s_cbranch_execz .LBB43_3
; %bb.2:
	global_load_dwordx2 v[2:3], v[10:11], off
.LBB43_3:
	s_or_b64 exec, exec, s[0:1]
	v_add_u32_e32 v6, 16, v12
	v_cmp_gt_i32_e64 s[0:1], s33, v6
	s_and_b64 s[0:1], vcc, s[0:1]
	s_waitcnt vmcnt(0)
	s_barrier
	s_and_saveexec_b64 s[2:3], s[0:1]
	s_cbranch_execz .LBB43_5
; %bb.4:
	s_lshl_b64 s[0:1], s[20:21], 7
	v_mov_b32_e32 v5, s1
	v_add_co_u32_e64 v4, s[0:1], s0, v10
	v_addc_co_u32_e64 v5, s[0:1], v11, v5, s[0:1]
	global_load_dwordx2 v[4:5], v[4:5], off
.LBB43_5:
	s_or_b64 exec, exec, s[2:3]
	v_add_u32_e32 v6, 32, v12
	v_cmp_gt_i32_e64 s[0:1], s33, v6
	v_mov_b32_e32 v6, 0
	v_mov_b32_e32 v8, 0
	;; [unrolled: 1-line block ×4, first 2 shown]
	s_and_b64 s[0:1], vcc, s[0:1]
	s_waitcnt vmcnt(0)
	s_barrier
	s_and_saveexec_b64 s[2:3], s[0:1]
	s_cbranch_execz .LBB43_7
; %bb.6:
	s_lshl_b64 s[0:1], s[20:21], 8
	v_mov_b32_e32 v9, s1
	v_add_co_u32_e64 v8, s[0:1], s0, v10
	v_addc_co_u32_e64 v9, s[0:1], v11, v9, s[0:1]
	global_load_dwordx2 v[8:9], v[8:9], off
.LBB43_7:
	s_or_b64 exec, exec, s[2:3]
	v_add_u32_e32 v12, 48, v12
	v_cmp_gt_i32_e64 s[0:1], s33, v12
	s_and_b64 s[2:3], vcc, s[0:1]
	s_waitcnt vmcnt(0)
	s_barrier
	s_and_saveexec_b64 s[0:1], s[2:3]
	s_cbranch_execz .LBB43_9
; %bb.8:
	v_mov_b32_e32 v6, 0x180
	v_mad_u64_u32 v[6:7], s[2:3], s20, v6, v[10:11]
	s_mul_i32 s2, s21, 0x180
	v_add_u32_e32 v7, s2, v7
	global_load_dwordx2 v[6:7], v[6:7], off
.LBB43_9:
	s_or_b64 exec, exec, s[0:1]
	s_branch .LBB43_11
.LBB43_10:
                                        ; implicit-def: $vgpr6_vgpr7
                                        ; implicit-def: $vgpr8_vgpr9
                                        ; implicit-def: $vgpr4_vgpr5
                                        ; implicit-def: $vgpr2_vgpr3
.LBB43_11:
	s_ashr_i32 s0, s33, 31
	s_lshr_b32 s0, s0, 26
	s_add_i32 s0, s33, s0
	s_andn2_b32 s0, s0, 63
	s_sub_i32 s7, s33, s0
	s_add_i32 s0, s33, -1
	s_ashr_i32 s1, s0, 31
	s_lshr_b32 s1, s1, 26
	s_add_i32 s0, s0, s1
	s_ashr_i32 s0, s0, 6
	s_cmp_eq_u32 s0, s6
	s_cselect_b64 s[0:1], -1, 0
	s_cmp_lg_u32 s7, 0
	s_cselect_b64 s[2:3], -1, 0
	s_and_b64 s[18:19], s[2:3], s[0:1]
	s_mov_b64 s[2:3], -1
	s_and_b64 vcc, exec, s[18:19]
	v_cmp_le_u32_e64 s[0:1], v0, v1
	v_lshlrev_b32_e32 v18, 3, v0
	s_cbranch_vccnz .LBB43_33
; %bb.12:
	s_add_u32 s2, s20, 1
	s_addc_u32 s3, s21, 0
	s_lshl_b32 s8, s6, 6
	s_ashr_i32 s9, s8, 31
	s_mul_hi_u32 s10, s2, s8
	s_mul_i32 s9, s2, s9
	s_add_i32 s9, s10, s9
	s_mul_i32 s3, s3, s8
	s_add_i32 s3, s9, s3
	s_mul_i32 s2, s2, s8
	s_lshl_b64 s[2:3], s[2:3], 3
	s_add_u32 s2, s82, s2
	s_addc_u32 s3, s83, s3
	v_lshlrev_b32_e32 v14, 3, v0
	v_mov_b32_e32 v11, s3
	v_add_co_u32_e32 v10, vcc, s2, v14
	v_addc_co_u32_e32 v11, vcc, 0, v11, vcc
	s_mov_b64 s[2:3], 0
	s_and_saveexec_b64 s[8:9], s[0:1]
	s_xor_b64 s[0:1], exec, s[8:9]
; %bb.13:
	v_or_b32_e32 v12, v1, v0
	v_cmp_gt_u32_e32 vcc, 64, v12
	s_and_b64 s[2:3], vcc, exec
; %bb.14:
	s_or_saveexec_b64 s[0:1], s[0:1]
	v_mov_b32_e32 v12, 0
	v_mov_b32_e32 v13, 0
	s_xor_b64 exec, exec, s[0:1]
	s_cbranch_execz .LBB43_16
; %bb.15:
	v_mad_u64_u32 v[12:13], s[8:9], s20, v1, 0
	s_or_b64 s[2:3], s[2:3], exec
	v_mad_u64_u32 v[15:16], s[8:9], s21, v1, v[13:14]
	v_mov_b32_e32 v13, v15
	v_lshlrev_b64 v[12:13], 3, v[12:13]
	v_add_co_u32_e32 v12, vcc, v10, v12
	v_addc_co_u32_e32 v13, vcc, v11, v13, vcc
	global_load_dwordx2 v[12:13], v[12:13], off
	s_waitcnt vmcnt(0)
	v_xor_b32_e32 v13, 0x80000000, v13
.LBB43_16:
	s_or_b64 exec, exec, s[0:1]
	s_and_saveexec_b64 s[0:1], s[2:3]
; %bb.17:
	v_lshl_add_u32 v15, v1, 9, v14
	ds_write_b64 v15, v[12:13]
; %bb.18:
	s_or_b64 exec, exec, s[0:1]
	v_add_u32_e32 v15, 16, v1
	v_cmp_le_u32_e32 vcc, v0, v15
	s_mov_b64 s[0:1], 0
	s_and_saveexec_b64 s[2:3], vcc
	s_xor_b64 s[2:3], exec, s[2:3]
; %bb.19:
	v_or_b32_e32 v12, v15, v0
	v_cmp_gt_u32_e32 vcc, 64, v12
	s_and_b64 s[0:1], vcc, exec
; %bb.20:
	s_or_saveexec_b64 s[2:3], s[2:3]
	v_mov_b32_e32 v12, 0
	v_mov_b32_e32 v13, 0
	s_xor_b64 exec, exec, s[2:3]
	s_cbranch_execz .LBB43_22
; %bb.21:
	v_mad_u64_u32 v[12:13], s[8:9], s20, v15, 0
	s_or_b64 s[0:1], s[0:1], exec
	v_mad_u64_u32 v[16:17], s[8:9], s21, v15, v[13:14]
	v_mov_b32_e32 v13, v16
	v_lshlrev_b64 v[12:13], 3, v[12:13]
	v_add_co_u32_e32 v12, vcc, v10, v12
	v_addc_co_u32_e32 v13, vcc, v11, v13, vcc
	global_load_dwordx2 v[12:13], v[12:13], off
	s_waitcnt vmcnt(0)
	v_xor_b32_e32 v13, 0x80000000, v13
.LBB43_22:
	s_or_b64 exec, exec, s[2:3]
	s_and_saveexec_b64 s[2:3], s[0:1]
; %bb.23:
	v_lshl_add_u32 v15, v15, 9, v14
	ds_write_b64 v15, v[12:13]
; %bb.24:
	s_or_b64 exec, exec, s[2:3]
	v_add_u32_e32 v15, 32, v1
	v_cmp_le_u32_e32 vcc, v0, v15
	s_mov_b64 s[0:1], 0
	s_and_saveexec_b64 s[2:3], vcc
	s_xor_b64 s[2:3], exec, s[2:3]
; %bb.25:
	v_or_b32_e32 v12, v15, v0
	v_cmp_gt_u32_e32 vcc, 64, v12
	s_and_b64 s[0:1], vcc, exec
; %bb.26:
	s_or_saveexec_b64 s[2:3], s[2:3]
	v_mov_b32_e32 v12, 0
	v_mov_b32_e32 v13, 0
	s_xor_b64 exec, exec, s[2:3]
	s_cbranch_execz .LBB43_28
; %bb.27:
	v_mad_u64_u32 v[12:13], s[8:9], s20, v15, 0
	s_or_b64 s[0:1], s[0:1], exec
	v_mad_u64_u32 v[16:17], s[8:9], s21, v15, v[13:14]
	v_mov_b32_e32 v13, v16
	v_lshlrev_b64 v[12:13], 3, v[12:13]
	v_add_co_u32_e32 v12, vcc, v10, v12
	v_addc_co_u32_e32 v13, vcc, v11, v13, vcc
	global_load_dwordx2 v[12:13], v[12:13], off
	s_waitcnt vmcnt(0)
	v_xor_b32_e32 v13, 0x80000000, v13
.LBB43_28:
	s_or_b64 exec, exec, s[2:3]
	s_and_saveexec_b64 s[2:3], s[0:1]
; %bb.29:
	v_lshl_add_u32 v14, v15, 9, v14
	ds_write_b64 v14, v[12:13]
; %bb.30:
	s_or_b64 exec, exec, s[2:3]
	v_add_u32_e32 v14, 48, v1
	v_cmp_le_u32_e32 vcc, v0, v14
	s_mov_b64 s[0:1], -1
	s_mov_b64 s[2:3], 0
	s_mov_b64 s[8:9], 0
	s_and_saveexec_b64 s[10:11], vcc
	s_xor_b64 s[10:11], exec, s[10:11]
; %bb.31:
	v_or_b32_e32 v12, v14, v0
	v_cmp_gt_u32_e32 vcc, 64, v12
	s_and_b64 s[8:9], vcc, exec
	s_xor_b64 s[0:1], exec, -1
; %bb.32:
	s_or_b64 exec, exec, s[10:11]
	v_lshl_add_u32 v15, v14, 6, v0
	s_and_b64 vcc, exec, s[2:3]
	s_cbranch_vccnz .LBB43_34
	s_branch .LBB43_55
.LBB43_33:
	s_mov_b64 s[0:1], 0
	s_mov_b64 s[8:9], 0
                                        ; implicit-def: $vgpr15
                                        ; implicit-def: $vgpr10_vgpr11
                                        ; implicit-def: $vgpr14
	s_and_b64 vcc, exec, s[2:3]
	s_cbranch_vccz .LBB43_55
.LBB43_34:
	s_add_u32 s0, s20, 1
	s_addc_u32 s1, s21, 0
	s_lshl_b32 s2, s6, 6
	s_ashr_i32 s3, s2, 31
	s_mul_hi_u32 s10, s0, s2
	s_mul_i32 s3, s0, s3
	s_add_i32 s3, s10, s3
	s_mul_i32 s1, s1, s2
	s_add_i32 s1, s3, s1
	s_mul_i32 s0, s0, s2
	s_lshl_b64 s[0:1], s[0:1], 3
	s_add_u32 s0, s82, s0
	s_addc_u32 s1, s83, s1
	v_lshlrev_b32_e32 v14, 3, v0
	v_mov_b32_e32 v11, s1
	v_add_co_u32_e64 v10, s[0:1], s0, v14
	v_addc_co_u32_e64 v11, s[0:1], 0, v11, s[0:1]
	v_max_i32_e32 v12, v1, v0
	v_cmp_le_u32_e64 s[0:1], v0, v1
	v_cmp_le_i32_e64 s[2:3], s7, v12
	v_cmp_gt_i32_e32 vcc, s7, v0
	s_or_b64 s[0:1], s[2:3], s[0:1]
	s_mov_b64 s[2:3], 0
	s_and_saveexec_b64 s[10:11], s[0:1]
	s_xor_b64 s[10:11], exec, s[10:11]
; %bb.35:
	v_or_b32_e32 v12, v1, v0
	v_cmp_gt_u32_e64 s[0:1], 64, v12
	s_and_b64 s[2:3], s[0:1], exec
; %bb.36:
	s_or_saveexec_b64 s[10:11], s[10:11]
	v_mov_b32_e32 v12, 0
	v_mov_b32_e32 v13, 0
	s_xor_b64 exec, exec, s[10:11]
	s_cbranch_execz .LBB43_38
; %bb.37:
	v_mad_u64_u32 v[12:13], s[0:1], s20, v1, 0
	s_or_b64 s[2:3], s[2:3], exec
	v_mad_u64_u32 v[15:16], s[0:1], s21, v1, v[13:14]
	v_mov_b32_e32 v13, v15
	v_lshlrev_b64 v[12:13], 3, v[12:13]
	v_add_co_u32_e64 v12, s[0:1], v10, v12
	v_addc_co_u32_e64 v13, s[0:1], v11, v13, s[0:1]
	global_load_dwordx2 v[12:13], v[12:13], off
	s_waitcnt vmcnt(0)
	v_xor_b32_e32 v13, 0x80000000, v13
.LBB43_38:
	s_or_b64 exec, exec, s[10:11]
	s_and_saveexec_b64 s[0:1], s[2:3]
; %bb.39:
	v_lshl_add_u32 v15, v1, 9, v14
	ds_write_b64 v15, v[12:13]
; %bb.40:
	s_or_b64 exec, exec, s[0:1]
	v_add_u32_e32 v15, 16, v1
	v_cmp_gt_u32_e64 s[0:1], v0, v15
	v_cmp_gt_i32_e64 s[2:3], s7, v15
	s_and_b64 s[0:1], s[0:1], s[2:3]
	s_and_b64 s[0:1], s[0:1], vcc
	s_xor_b64 s[0:1], s[0:1], -1
	s_mov_b64 s[2:3], 0
	s_and_saveexec_b64 s[10:11], s[0:1]
	s_xor_b64 s[10:11], exec, s[10:11]
; %bb.41:
	v_or_b32_e32 v12, v15, v0
	v_cmp_gt_u32_e64 s[0:1], 64, v12
	s_and_b64 s[2:3], s[0:1], exec
; %bb.42:
	s_or_saveexec_b64 s[10:11], s[10:11]
	v_mov_b32_e32 v12, 0
	v_mov_b32_e32 v13, 0
	s_xor_b64 exec, exec, s[10:11]
	s_cbranch_execz .LBB43_44
; %bb.43:
	v_mad_u64_u32 v[12:13], s[0:1], s20, v15, 0
	s_or_b64 s[2:3], s[2:3], exec
	v_mad_u64_u32 v[16:17], s[0:1], s21, v15, v[13:14]
	v_mov_b32_e32 v13, v16
	v_lshlrev_b64 v[12:13], 3, v[12:13]
	v_add_co_u32_e64 v12, s[0:1], v10, v12
	v_addc_co_u32_e64 v13, s[0:1], v11, v13, s[0:1]
	global_load_dwordx2 v[12:13], v[12:13], off
	s_waitcnt vmcnt(0)
	v_xor_b32_e32 v13, 0x80000000, v13
.LBB43_44:
	s_or_b64 exec, exec, s[10:11]
	s_and_saveexec_b64 s[0:1], s[2:3]
; %bb.45:
	v_lshl_add_u32 v15, v15, 9, v14
	ds_write_b64 v15, v[12:13]
; %bb.46:
	s_or_b64 exec, exec, s[0:1]
	v_add_u32_e32 v15, 32, v1
	v_cmp_gt_u32_e64 s[0:1], v0, v15
	v_cmp_gt_i32_e64 s[2:3], s7, v15
	s_and_b64 s[0:1], s[0:1], s[2:3]
	s_and_b64 s[0:1], s[0:1], vcc
	s_xor_b64 s[0:1], s[0:1], -1
	s_mov_b64 s[2:3], 0
	s_and_saveexec_b64 s[10:11], s[0:1]
	s_xor_b64 s[10:11], exec, s[10:11]
; %bb.47:
	v_or_b32_e32 v12, v15, v0
	v_cmp_gt_u32_e64 s[0:1], 64, v12
	s_and_b64 s[2:3], s[0:1], exec
; %bb.48:
	s_or_saveexec_b64 s[10:11], s[10:11]
	v_mov_b32_e32 v12, 0
	v_mov_b32_e32 v13, 0
	s_xor_b64 exec, exec, s[10:11]
	s_cbranch_execz .LBB43_50
; %bb.49:
	v_mad_u64_u32 v[12:13], s[0:1], s20, v15, 0
	s_or_b64 s[2:3], s[2:3], exec
	v_mad_u64_u32 v[16:17], s[0:1], s21, v15, v[13:14]
	v_mov_b32_e32 v13, v16
	v_lshlrev_b64 v[12:13], 3, v[12:13]
	v_add_co_u32_e64 v12, s[0:1], v10, v12
	v_addc_co_u32_e64 v13, s[0:1], v11, v13, s[0:1]
	global_load_dwordx2 v[12:13], v[12:13], off
	s_waitcnt vmcnt(0)
	v_xor_b32_e32 v13, 0x80000000, v13
.LBB43_50:
	s_or_b64 exec, exec, s[10:11]
	s_and_saveexec_b64 s[0:1], s[2:3]
; %bb.51:
	v_lshl_add_u32 v14, v15, 9, v14
	ds_write_b64 v14, v[12:13]
; %bb.52:
	s_or_b64 exec, exec, s[0:1]
	v_add_u32_e32 v14, 48, v1
	v_cmp_gt_u32_e64 s[0:1], v0, v14
	v_cmp_gt_i32_e64 s[2:3], s7, v14
	s_and_b64 s[0:1], s[0:1], s[2:3]
	s_and_b64 s[2:3], s[0:1], vcc
	s_mov_b64 s[0:1], -1
	s_xor_b64 s[10:11], s[2:3], -1
	s_and_saveexec_b64 s[2:3], s[10:11]
; %bb.53:
	v_or_b32_e32 v12, v14, v0
	v_cmp_gt_u32_e32 vcc, 64, v12
	s_andn2_b64 s[0:1], s[8:9], exec
	s_and_b64 s[8:9], vcc, exec
	s_or_b64 s[8:9], s[0:1], s[8:9]
	s_xor_b64 s[0:1], exec, -1
; %bb.54:
	s_or_b64 exec, exec, s[2:3]
	v_lshl_add_u32 v15, v14, 6, v0
.LBB43_55:
	v_mov_b32_e32 v12, 0
	v_mov_b32_e32 v13, 0
	s_and_saveexec_b64 s[2:3], s[0:1]
	s_cbranch_execnz .LBB43_1077
; %bb.56:
	s_or_b64 exec, exec, s[2:3]
	s_and_saveexec_b64 s[0:1], s[8:9]
.LBB43_57:
	v_lshlrev_b32_e32 v10, 3, v15
	ds_write_b64 v10, v[12:13]
.LBB43_58:
	s_or_b64 exec, exec, s[0:1]
	s_cmp_lt_i32 s6, 5
	s_cselect_b64 s[0:1], -1, 0
	s_or_b64 s[22:23], s[0:1], s[18:19]
	s_and_b64 vcc, exec, s[22:23]
	s_waitcnt vmcnt(0) lgkmcnt(0)
	s_barrier
	s_cbranch_vccnz .LBB43_1034
; %bb.59:
	v_or_b32_e32 v10, v0, v1
	s_mov_b32 s2, 0
	v_cmp_eq_u32_e32 vcc, 0, v10
	s_and_saveexec_b64 s[0:1], vcc
; %bb.60:
	s_mov_b32 s3, 0x3ff00000
	v_mov_b32_e32 v11, s3
	v_mov_b32_e32 v12, 0
	;; [unrolled: 1-line block ×3, first 2 shown]
	ds_write2_b64 v12, v[10:11], v[10:11] offset1:65
; %bb.61:
	s_or_b64 exec, exec, s[0:1]
	v_lshl_add_u32 v14, v1, 6, v0
	v_and_b32_e32 v16, 1, v0
	v_lshrrev_b32_e32 v15, 1, v14
	v_lshlrev_b32_e32 v12, 3, v16
	v_mov_b32_e32 v10, 0
	v_cmp_lt_u32_e64 s[2:3], 3, v14
	v_cmp_gt_u32_e64 s[0:1], 4, v14
	v_mov_b32_e32 v11, 0
	v_lshl_or_b32 v12, v15, 9, v12
	s_waitcnt lgkmcnt(0)
	s_barrier
	s_and_saveexec_b64 s[10:11], s[0:1]
	s_cbranch_execz .LBB43_65
; %bb.62:
	v_mul_u32_u24_e32 v13, 0x208, v15
	ds_read_b64 v[10:11], v12 offset:16
	ds_read_b64 v[19:20], v13
	v_cmp_gt_u32_e64 s[8:9], 2, v14
	s_waitcnt lgkmcnt(0)
	v_fma_f64 v[10:11], v[10:11], v[19:20], 0
	s_and_saveexec_b64 s[12:13], s[8:9]
	s_cbranch_execz .LBB43_64
; %bb.63:
	v_lshlrev_b32_e32 v13, 3, v0
	v_mov_b32_e32 v17, 0
	ds_read_b64 v[19:20], v13 offset:528
	ds_read_b64 v[21:22], v17 offset:8
	s_waitcnt lgkmcnt(0)
	v_fma_f64 v[10:11], v[19:20], v[21:22], v[10:11]
.LBB43_64:
	s_or_b64 exec, exec, s[12:13]
	v_xor_b32_e32 v11, 0x80000000, v11
.LBB43_65:
	s_or_b64 exec, exec, s[10:11]
	v_mov_b32_e32 v13, 0x8000
	v_cmp_eq_u32_e64 s[8:9], 0, v16
	s_xor_b64 s[10:11], s[2:3], -1
	v_lshl_add_u32 v13, v15, 3, v13
	s_and_b64 s[38:39], s[8:9], s[10:11]
	s_and_saveexec_b64 s[2:3], s[38:39]
; %bb.66:
	ds_write_b64 v13, v[10:11]
; %bb.67:
	s_or_b64 exec, exec, s[2:3]
	v_cmp_ne_u32_e64 s[2:3], 0, v16
	s_and_b64 s[36:37], s[2:3], s[10:11]
	s_waitcnt lgkmcnt(0)
	s_barrier
	s_and_saveexec_b64 s[2:3], s[36:37]
	s_cbranch_execz .LBB43_69
; %bb.68:
	v_mov_b32_e32 v16, 0
	ds_read_b64 v[16:17], v16 offset:1048
	ds_read_b64 v[19:20], v13
	s_waitcnt lgkmcnt(0)
	v_fma_f64 v[10:11], v[16:17], v[19:20], v[10:11]
.LBB43_69:
	s_or_b64 exec, exec, s[2:3]
	s_barrier
	s_and_saveexec_b64 s[2:3], s[36:37]
; %bb.70:
	ds_write_b64 v13, v[10:11]
; %bb.71:
	s_or_b64 exec, exec, s[2:3]
	s_waitcnt lgkmcnt(0)
	s_barrier
	s_barrier
	s_and_saveexec_b64 s[2:3], s[0:1]
; %bb.72:
	v_xor_b32_e32 v11, 0x80000000, v11
	ds_write_b64 v12, v[10:11] offset:16
; %bb.73:
	s_or_b64 exec, exec, s[2:3]
	s_waitcnt lgkmcnt(0)
	s_barrier
	s_barrier
	s_and_saveexec_b64 s[2:3], vcc
; %bb.74:
	s_mov_b64 s[8:9], 1.0
	v_mov_b32_e32 v11, s9
	v_mov_b32_e32 v16, 0
	;; [unrolled: 1-line block ×3, first 2 shown]
	ds_write2_b64 v16, v[10:11], v[10:11] offset0:130 offset1:195
; %bb.75:
	s_or_b64 exec, exec, s[2:3]
	v_and_b32_e32 v20, 3, v0
	v_lshrrev_b32_e32 v21, 2, v14
	v_lshlrev_b32_e32 v17, 3, v20
	v_mov_b32_e32 v10, 0
	v_cmp_lt_u32_e64 s[8:9], 15, v14
	v_cmp_gt_u32_e64 s[2:3], 16, v14
	v_mov_b32_e32 v11, 0
	v_lshl_or_b32 v16, v21, 9, v17
	s_waitcnt lgkmcnt(0)
	s_barrier
	s_and_saveexec_b64 s[12:13], s[2:3]
	s_cbranch_execz .LBB43_81
; %bb.76:
	v_mul_u32_u24_e32 v19, 0x208, v21
	ds_read_b64 v[10:11], v16 offset:32
	ds_read_b64 v[22:23], v19
	v_cmp_gt_u32_e64 s[10:11], 12, v14
	s_waitcnt lgkmcnt(0)
	v_fma_f64 v[10:11], v[10:11], v[22:23], 0
	s_and_saveexec_b64 s[14:15], s[10:11]
	s_cbranch_execnz .LBB43_1110
; %bb.77:
	s_or_b64 exec, exec, s[14:15]
	v_cmp_gt_u32_e64 s[10:11], 8, v14
	s_and_saveexec_b64 s[14:15], s[10:11]
	s_cbranch_execnz .LBB43_1111
.LBB43_78:
	s_or_b64 exec, exec, s[14:15]
	v_cmp_gt_u32_e64 s[10:11], 4, v14
	s_and_saveexec_b64 s[14:15], s[10:11]
	s_cbranch_execz .LBB43_80
.LBB43_79:
	v_lshlrev_b32_e32 v19, 3, v0
	v_mov_b32_e32 v24, 0
	ds_read_b64 v[22:23], v19 offset:1568
	ds_read_b64 v[24:25], v24 offset:24
	s_waitcnt lgkmcnt(0)
	v_fma_f64 v[10:11], v[22:23], v[24:25], v[10:11]
.LBB43_80:
	s_or_b64 exec, exec, s[14:15]
	v_xor_b32_e32 v11, 0x80000000, v11
.LBB43_81:
	s_or_b64 exec, exec, s[12:13]
	v_mov_b32_e32 v19, 0x8000
	v_cmp_eq_u32_e64 s[10:11], 0, v20
	s_xor_b64 s[12:13], s[8:9], -1
	v_lshl_add_u32 v19, v21, 3, v19
	s_and_b64 s[42:43], s[10:11], s[12:13]
	s_and_saveexec_b64 s[8:9], s[42:43]
; %bb.82:
	ds_write_b64 v19, v[10:11]
; %bb.83:
	s_or_b64 exec, exec, s[8:9]
	v_cmp_ne_u32_e64 s[8:9], 0, v20
	s_and_b64 s[44:45], s[8:9], s[12:13]
	s_waitcnt lgkmcnt(0)
	s_barrier
	s_and_saveexec_b64 s[8:9], s[44:45]
	s_cbranch_execz .LBB43_85
; %bb.84:
	ds_read_b64 v[22:23], v17 offset:2080
	ds_read_b64 v[24:25], v19
	s_waitcnt lgkmcnt(0)
	v_fma_f64 v[10:11], v[22:23], v[24:25], v[10:11]
.LBB43_85:
	s_or_b64 exec, exec, s[8:9]
	v_cmp_eq_u32_e64 s[8:9], 1, v20
	s_and_b64 s[46:47], s[8:9], s[12:13]
	s_barrier
	s_and_saveexec_b64 s[8:9], s[46:47]
; %bb.86:
	ds_write_b64 v19, v[10:11]
; %bb.87:
	s_or_b64 exec, exec, s[8:9]
	v_cmp_lt_u32_e64 s[8:9], 1, v20
	s_and_b64 s[48:49], s[8:9], s[12:13]
	s_waitcnt lgkmcnt(0)
	s_barrier
	s_and_saveexec_b64 s[8:9], s[48:49]
	s_cbranch_execz .LBB43_89
; %bb.88:
	ds_read_b64 v[22:23], v17 offset:2592
	ds_read_b64 v[24:25], v19
	s_waitcnt lgkmcnt(0)
	v_fma_f64 v[10:11], v[22:23], v[24:25], v[10:11]
.LBB43_89:
	s_or_b64 exec, exec, s[8:9]
	v_cmp_eq_u32_e64 s[8:9], 2, v20
	s_and_b64 s[50:51], s[8:9], s[12:13]
	s_barrier
	s_and_saveexec_b64 s[8:9], s[50:51]
; %bb.90:
	ds_write_b64 v19, v[10:11]
; %bb.91:
	s_or_b64 exec, exec, s[8:9]
	v_cmp_eq_u32_e64 s[8:9], 3, v20
	s_and_b64 s[40:41], s[8:9], s[12:13]
	s_waitcnt lgkmcnt(0)
	s_barrier
	s_and_saveexec_b64 s[8:9], s[40:41]
	s_cbranch_execz .LBB43_93
; %bb.92:
	v_mov_b32_e32 v22, 0
	ds_read_b64 v[22:23], v22 offset:3128
	ds_read_b64 v[24:25], v19
	s_waitcnt lgkmcnt(0)
	v_fma_f64 v[10:11], v[22:23], v[24:25], v[10:11]
.LBB43_93:
	s_or_b64 exec, exec, s[8:9]
	s_barrier
	s_and_saveexec_b64 s[8:9], s[40:41]
; %bb.94:
	ds_write_b64 v19, v[10:11]
; %bb.95:
	s_or_b64 exec, exec, s[8:9]
	s_waitcnt lgkmcnt(0)
	s_barrier
	s_barrier
	s_and_saveexec_b64 s[8:9], s[2:3]
; %bb.96:
	v_xor_b32_e32 v11, 0x80000000, v11
	ds_write_b64 v16, v[10:11] offset:32
; %bb.97:
	s_or_b64 exec, exec, s[8:9]
	s_waitcnt lgkmcnt(0)
	s_barrier
	s_barrier
	s_and_saveexec_b64 s[8:9], vcc
	s_cbranch_execz .LBB43_99
; %bb.98:
	s_mov_b64 s[10:11], 1.0
	v_mov_b32_e32 v10, s10
	v_mov_b32_e32 v11, s11
	s_movk_i32 s10, 0x800
	v_add_u32_e64 v22, s10, 0
	ds_write2_b64 v22, v[10:11], v[10:11] offset0:4 offset1:69
.LBB43_99:
	s_or_b64 exec, exec, s[8:9]
	v_mov_b32_e32 v10, 0
	v_mov_b32_e32 v11, 0
	s_waitcnt lgkmcnt(0)
	s_barrier
	s_and_saveexec_b64 s[10:11], s[0:1]
	s_cbranch_execz .LBB43_103
; %bb.100:
	v_mul_u32_u24_e32 v22, 0x208, v15
	ds_read_b64 v[10:11], v12 offset:2096
	ds_read_b64 v[22:23], v22 offset:2080
	v_cmp_gt_u32_e64 s[8:9], 2, v14
	s_waitcnt lgkmcnt(0)
	v_fma_f64 v[10:11], v[10:11], v[22:23], 0
	s_and_saveexec_b64 s[12:13], s[8:9]
	s_cbranch_execz .LBB43_102
; %bb.101:
	v_lshlrev_b32_e32 v22, 3, v0
	v_mov_b32_e32 v24, 0
	ds_read_b64 v[22:23], v22 offset:2608
	ds_read_b64 v[24:25], v24 offset:2088
	s_waitcnt lgkmcnt(0)
	v_fma_f64 v[10:11], v[22:23], v[24:25], v[10:11]
.LBB43_102:
	s_or_b64 exec, exec, s[12:13]
	v_xor_b32_e32 v11, 0x80000000, v11
.LBB43_103:
	s_or_b64 exec, exec, s[10:11]
	s_and_saveexec_b64 s[8:9], s[38:39]
; %bb.104:
	ds_write_b64 v13, v[10:11]
; %bb.105:
	s_or_b64 exec, exec, s[8:9]
	s_waitcnt lgkmcnt(0)
	s_barrier
	s_and_saveexec_b64 s[8:9], s[36:37]
	s_cbranch_execz .LBB43_107
; %bb.106:
	v_mov_b32_e32 v22, 0
	ds_read_b64 v[22:23], v22 offset:3128
	ds_read_b64 v[24:25], v13
	s_waitcnt lgkmcnt(0)
	v_fma_f64 v[10:11], v[22:23], v[24:25], v[10:11]
.LBB43_107:
	s_or_b64 exec, exec, s[8:9]
	s_barrier
	s_and_saveexec_b64 s[8:9], s[36:37]
; %bb.108:
	ds_write_b64 v13, v[10:11]
; %bb.109:
	s_or_b64 exec, exec, s[8:9]
	s_waitcnt lgkmcnt(0)
	s_barrier
	s_barrier
	s_and_saveexec_b64 s[8:9], s[0:1]
; %bb.110:
	v_xor_b32_e32 v11, 0x80000000, v11
	ds_write_b64 v12, v[10:11] offset:2096
; %bb.111:
	s_or_b64 exec, exec, s[8:9]
	s_waitcnt lgkmcnt(0)
	s_barrier
	s_barrier
	s_and_saveexec_b64 s[8:9], vcc
	s_cbranch_execz .LBB43_113
; %bb.112:
	s_mov_b64 s[10:11], 1.0
	v_mov_b32_e32 v10, s10
	v_mov_b32_e32 v11, s11
	s_movk_i32 s10, 0x800
	v_add_u32_e64 v22, s10, 0
	ds_write2_b64 v22, v[10:11], v[10:11] offset0:134 offset1:199
.LBB43_113:
	s_or_b64 exec, exec, s[8:9]
	v_and_b32_e32 v25, 7, v0
	v_lshrrev_b32_e32 v26, 3, v14
	v_lshlrev_b32_e32 v23, 3, v25
	v_mov_b32_e32 v10, 0
	v_cmp_lt_u32_e64 s[8:9], 63, v14
	v_cmp_gt_u32_e64 s[14:15], 64, v14
	v_mov_b32_e32 v11, 0
	v_lshl_or_b32 v22, v26, 9, v23
	s_waitcnt lgkmcnt(0)
	s_barrier
	s_and_saveexec_b64 s[12:13], s[14:15]
	s_cbranch_execz .LBB43_123
; %bb.114:
	v_mul_u32_u24_e32 v24, 0x208, v26
	ds_read_b64 v[10:11], v22 offset:64
	ds_read_b64 v[27:28], v24
	v_cmp_gt_u32_e64 s[10:11], 56, v14
	s_waitcnt lgkmcnt(0)
	v_fma_f64 v[10:11], v[10:11], v[27:28], 0
	s_and_saveexec_b64 s[16:17], s[10:11]
	s_cbranch_execnz .LBB43_1112
; %bb.115:
	s_or_b64 exec, exec, s[16:17]
	v_cmp_gt_u32_e64 s[10:11], 48, v14
	s_and_saveexec_b64 s[16:17], s[10:11]
	s_cbranch_execnz .LBB43_1113
.LBB43_116:
	s_or_b64 exec, exec, s[16:17]
	v_cmp_gt_u32_e64 s[10:11], 40, v14
	s_and_saveexec_b64 s[16:17], s[10:11]
	s_cbranch_execnz .LBB43_1114
.LBB43_117:
	s_or_b64 exec, exec, s[16:17]
	v_cmp_gt_u32_e64 s[10:11], 32, v14
	s_and_saveexec_b64 s[16:17], s[10:11]
	s_cbranch_execnz .LBB43_1115
.LBB43_118:
	s_or_b64 exec, exec, s[16:17]
	v_cmp_gt_u32_e64 s[10:11], 24, v14
	s_and_saveexec_b64 s[16:17], s[10:11]
	s_cbranch_execnz .LBB43_1116
.LBB43_119:
	s_or_b64 exec, exec, s[16:17]
	v_cmp_gt_u32_e64 s[10:11], 16, v14
	s_and_saveexec_b64 s[16:17], s[10:11]
	s_cbranch_execnz .LBB43_1117
.LBB43_120:
	s_or_b64 exec, exec, s[16:17]
	v_cmp_gt_u32_e64 s[10:11], 8, v14
	s_and_saveexec_b64 s[16:17], s[10:11]
	s_cbranch_execz .LBB43_122
.LBB43_121:
	v_lshlrev_b32_e32 v24, 3, v0
	v_mov_b32_e32 v29, 0
	ds_read_b64 v[27:28], v24 offset:3648
	ds_read_b64 v[29:30], v29 offset:56
	s_waitcnt lgkmcnt(0)
	v_fma_f64 v[10:11], v[27:28], v[29:30], v[10:11]
.LBB43_122:
	s_or_b64 exec, exec, s[16:17]
	v_xor_b32_e32 v11, 0x80000000, v11
.LBB43_123:
	s_or_b64 exec, exec, s[12:13]
	v_mov_b32_e32 v24, 0x8000
	v_cmp_eq_u32_e64 s[10:11], 0, v25
	s_xor_b64 s[12:13], s[8:9], -1
	v_lshl_add_u32 v24, v26, 3, v24
	s_and_b64 s[52:53], s[10:11], s[12:13]
	s_and_saveexec_b64 s[8:9], s[52:53]
; %bb.124:
	ds_write_b64 v24, v[10:11]
; %bb.125:
	s_or_b64 exec, exec, s[8:9]
	v_cmp_ne_u32_e64 s[8:9], 0, v25
	s_and_b64 s[54:55], s[8:9], s[12:13]
	s_waitcnt lgkmcnt(0)
	s_barrier
	s_and_saveexec_b64 s[8:9], s[54:55]
	s_cbranch_execz .LBB43_127
; %bb.126:
	ds_read_b64 v[27:28], v23 offset:4160
	ds_read_b64 v[29:30], v24
	s_waitcnt lgkmcnt(0)
	v_fma_f64 v[10:11], v[27:28], v[29:30], v[10:11]
.LBB43_127:
	s_or_b64 exec, exec, s[8:9]
	v_cmp_eq_u32_e64 s[8:9], 1, v25
	s_and_b64 s[56:57], s[8:9], s[12:13]
	s_barrier
	s_and_saveexec_b64 s[8:9], s[56:57]
; %bb.128:
	ds_write_b64 v24, v[10:11]
; %bb.129:
	s_or_b64 exec, exec, s[8:9]
	v_cmp_lt_u32_e64 s[8:9], 1, v25
	s_and_b64 s[58:59], s[8:9], s[12:13]
	s_waitcnt lgkmcnt(0)
	s_barrier
	s_and_saveexec_b64 s[8:9], s[58:59]
	s_cbranch_execz .LBB43_131
; %bb.130:
	ds_read_b64 v[27:28], v23 offset:4672
	ds_read_b64 v[29:30], v24
	s_waitcnt lgkmcnt(0)
	v_fma_f64 v[10:11], v[27:28], v[29:30], v[10:11]
.LBB43_131:
	s_or_b64 exec, exec, s[8:9]
	v_cmp_eq_u32_e64 s[8:9], 2, v25
	s_and_b64 s[60:61], s[8:9], s[12:13]
	s_barrier
	s_and_saveexec_b64 s[8:9], s[60:61]
; %bb.132:
	ds_write_b64 v24, v[10:11]
; %bb.133:
	s_or_b64 exec, exec, s[8:9]
	v_cmp_lt_u32_e64 s[8:9], 2, v25
	;; [unrolled: 21-line block ×5, first 2 shown]
	s_and_b64 s[76:77], s[8:9], s[12:13]
	s_waitcnt lgkmcnt(0)
	s_barrier
	s_and_saveexec_b64 s[8:9], s[76:77]
	s_cbranch_execz .LBB43_147
; %bb.146:
	ds_read_b64 v[27:28], v23 offset:6720
	ds_read_b64 v[29:30], v24
	s_waitcnt lgkmcnt(0)
	v_fma_f64 v[10:11], v[27:28], v[29:30], v[10:11]
.LBB43_147:
	s_or_b64 exec, exec, s[8:9]
	v_cmp_eq_u32_e64 s[8:9], 6, v25
	s_and_b64 s[78:79], s[8:9], s[12:13]
	s_barrier
	s_and_saveexec_b64 s[8:9], s[78:79]
; %bb.148:
	ds_write_b64 v24, v[10:11]
; %bb.149:
	s_or_b64 exec, exec, s[8:9]
	v_cmp_eq_u32_e64 s[8:9], 7, v25
	s_and_b64 s[62:63], s[8:9], s[12:13]
	s_waitcnt lgkmcnt(0)
	s_barrier
	s_and_saveexec_b64 s[8:9], s[62:63]
	s_cbranch_execz .LBB43_151
; %bb.150:
	v_mov_b32_e32 v27, 0
	ds_read_b64 v[27:28], v27 offset:7288
	ds_read_b64 v[29:30], v24
	s_waitcnt lgkmcnt(0)
	v_fma_f64 v[10:11], v[27:28], v[29:30], v[10:11]
.LBB43_151:
	s_or_b64 exec, exec, s[8:9]
	s_barrier
	s_and_saveexec_b64 s[8:9], s[62:63]
; %bb.152:
	ds_write_b64 v24, v[10:11]
; %bb.153:
	s_or_b64 exec, exec, s[8:9]
	s_waitcnt lgkmcnt(0)
	s_barrier
	s_barrier
	s_and_saveexec_b64 s[8:9], s[14:15]
; %bb.154:
	v_xor_b32_e32 v11, 0x80000000, v11
	ds_write_b64 v22, v[10:11] offset:64
; %bb.155:
	s_or_b64 exec, exec, s[8:9]
	s_waitcnt lgkmcnt(0)
	s_barrier
	s_barrier
	s_and_saveexec_b64 s[8:9], vcc
	s_cbranch_execz .LBB43_157
; %bb.156:
	s_mov_b64 s[10:11], 1.0
	v_mov_b32_e32 v10, s10
	v_mov_b32_e32 v11, s11
	s_movk_i32 s10, 0x1000
	v_add_u32_e64 v27, s10, 0
	ds_write2_b64 v27, v[10:11], v[10:11] offset0:8 offset1:73
.LBB43_157:
	s_or_b64 exec, exec, s[8:9]
	v_mov_b32_e32 v10, 0
	v_mov_b32_e32 v11, 0
	s_waitcnt lgkmcnt(0)
	s_barrier
	s_and_saveexec_b64 s[10:11], s[0:1]
	s_cbranch_execz .LBB43_161
; %bb.158:
	v_mul_u32_u24_e32 v27, 0x208, v15
	ds_read_b64 v[10:11], v12 offset:4176
	ds_read_b64 v[27:28], v27 offset:4160
	v_cmp_gt_u32_e64 s[8:9], 2, v14
	s_waitcnt lgkmcnt(0)
	v_fma_f64 v[10:11], v[10:11], v[27:28], 0
	s_and_saveexec_b64 s[12:13], s[8:9]
	s_cbranch_execz .LBB43_160
; %bb.159:
	v_lshlrev_b32_e32 v27, 3, v0
	v_mov_b32_e32 v29, 0
	ds_read_b64 v[27:28], v27 offset:4688
	ds_read_b64 v[29:30], v29 offset:4168
	s_waitcnt lgkmcnt(0)
	v_fma_f64 v[10:11], v[27:28], v[29:30], v[10:11]
.LBB43_160:
	s_or_b64 exec, exec, s[12:13]
	v_xor_b32_e32 v11, 0x80000000, v11
.LBB43_161:
	s_or_b64 exec, exec, s[10:11]
	s_and_saveexec_b64 s[8:9], s[38:39]
; %bb.162:
	ds_write_b64 v13, v[10:11]
; %bb.163:
	s_or_b64 exec, exec, s[8:9]
	s_waitcnt lgkmcnt(0)
	s_barrier
	s_and_saveexec_b64 s[8:9], s[36:37]
	s_cbranch_execz .LBB43_165
; %bb.164:
	v_mov_b32_e32 v27, 0
	ds_read_b64 v[27:28], v27 offset:5208
	ds_read_b64 v[29:30], v13
	s_waitcnt lgkmcnt(0)
	v_fma_f64 v[10:11], v[27:28], v[29:30], v[10:11]
.LBB43_165:
	s_or_b64 exec, exec, s[8:9]
	s_barrier
	s_and_saveexec_b64 s[8:9], s[36:37]
; %bb.166:
	ds_write_b64 v13, v[10:11]
; %bb.167:
	s_or_b64 exec, exec, s[8:9]
	s_waitcnt lgkmcnt(0)
	s_barrier
	s_barrier
	s_and_saveexec_b64 s[8:9], s[0:1]
; %bb.168:
	v_xor_b32_e32 v11, 0x80000000, v11
	ds_write_b64 v12, v[10:11] offset:4176
; %bb.169:
	s_or_b64 exec, exec, s[8:9]
	s_waitcnt lgkmcnt(0)
	s_barrier
	s_barrier
	s_and_saveexec_b64 s[8:9], vcc
	s_cbranch_execz .LBB43_171
; %bb.170:
	s_mov_b64 s[10:11], 1.0
	v_mov_b32_e32 v10, s10
	v_mov_b32_e32 v11, s11
	s_movk_i32 s10, 0x1000
	v_add_u32_e64 v27, s10, 0
	ds_write2_b64 v27, v[10:11], v[10:11] offset0:138 offset1:203
.LBB43_171:
	s_or_b64 exec, exec, s[8:9]
	v_mov_b32_e32 v10, 0
	v_mov_b32_e32 v11, 0
	s_waitcnt lgkmcnt(0)
	s_barrier
	s_and_saveexec_b64 s[10:11], s[2:3]
	s_cbranch_execz .LBB43_177
; %bb.172:
	v_mul_u32_u24_e32 v27, 0x208, v21
	ds_read_b64 v[10:11], v16 offset:4192
	ds_read_b64 v[28:29], v27 offset:4160
	v_cmp_gt_u32_e64 s[8:9], 12, v14
	s_waitcnt lgkmcnt(0)
	v_fma_f64 v[10:11], v[10:11], v[28:29], 0
	s_and_saveexec_b64 s[12:13], s[8:9]
	s_cbranch_execnz .LBB43_1118
; %bb.173:
	s_or_b64 exec, exec, s[12:13]
	v_cmp_gt_u32_e64 s[8:9], 8, v14
	s_and_saveexec_b64 s[12:13], s[8:9]
	s_cbranch_execnz .LBB43_1119
.LBB43_174:
	s_or_b64 exec, exec, s[12:13]
	v_cmp_gt_u32_e64 s[8:9], 4, v14
	s_and_saveexec_b64 s[12:13], s[8:9]
	s_cbranch_execz .LBB43_176
.LBB43_175:
	v_lshlrev_b32_e32 v27, 3, v0
	v_mov_b32_e32 v29, 0
	ds_read_b64 v[27:28], v27 offset:5728
	ds_read_b64 v[29:30], v29 offset:4184
	s_waitcnt lgkmcnt(0)
	v_fma_f64 v[10:11], v[27:28], v[29:30], v[10:11]
.LBB43_176:
	s_or_b64 exec, exec, s[12:13]
	v_xor_b32_e32 v11, 0x80000000, v11
.LBB43_177:
	s_or_b64 exec, exec, s[10:11]
	s_and_saveexec_b64 s[8:9], s[42:43]
; %bb.178:
	ds_write_b64 v19, v[10:11]
; %bb.179:
	s_or_b64 exec, exec, s[8:9]
	s_waitcnt lgkmcnt(0)
	s_barrier
	s_and_saveexec_b64 s[8:9], s[44:45]
	s_cbranch_execz .LBB43_181
; %bb.180:
	ds_read_b64 v[27:28], v17 offset:6240
	ds_read_b64 v[29:30], v19
	s_waitcnt lgkmcnt(0)
	v_fma_f64 v[10:11], v[27:28], v[29:30], v[10:11]
.LBB43_181:
	s_or_b64 exec, exec, s[8:9]
	s_barrier
	s_and_saveexec_b64 s[8:9], s[46:47]
; %bb.182:
	ds_write_b64 v19, v[10:11]
; %bb.183:
	s_or_b64 exec, exec, s[8:9]
	s_waitcnt lgkmcnt(0)
	s_barrier
	s_and_saveexec_b64 s[8:9], s[48:49]
	s_cbranch_execz .LBB43_185
; %bb.184:
	ds_read_b64 v[27:28], v17 offset:6752
	ds_read_b64 v[29:30], v19
	s_waitcnt lgkmcnt(0)
	v_fma_f64 v[10:11], v[27:28], v[29:30], v[10:11]
.LBB43_185:
	s_or_b64 exec, exec, s[8:9]
	s_barrier
	s_and_saveexec_b64 s[8:9], s[50:51]
; %bb.186:
	ds_write_b64 v19, v[10:11]
; %bb.187:
	s_or_b64 exec, exec, s[8:9]
	s_waitcnt lgkmcnt(0)
	s_barrier
	s_and_saveexec_b64 s[8:9], s[40:41]
	s_cbranch_execz .LBB43_189
; %bb.188:
	v_mov_b32_e32 v27, 0
	ds_read_b64 v[27:28], v27 offset:7288
	ds_read_b64 v[29:30], v19
	s_waitcnt lgkmcnt(0)
	v_fma_f64 v[10:11], v[27:28], v[29:30], v[10:11]
.LBB43_189:
	s_or_b64 exec, exec, s[8:9]
	s_barrier
	s_and_saveexec_b64 s[8:9], s[40:41]
; %bb.190:
	ds_write_b64 v19, v[10:11]
; %bb.191:
	s_or_b64 exec, exec, s[8:9]
	s_waitcnt lgkmcnt(0)
	s_barrier
	s_barrier
	s_and_saveexec_b64 s[8:9], s[2:3]
; %bb.192:
	v_xor_b32_e32 v11, 0x80000000, v11
	ds_write_b64 v16, v[10:11] offset:4192
; %bb.193:
	s_or_b64 exec, exec, s[8:9]
	s_waitcnt lgkmcnt(0)
	s_barrier
	s_barrier
	s_and_saveexec_b64 s[8:9], vcc
	s_cbranch_execz .LBB43_195
; %bb.194:
	s_mov_b64 s[10:11], 1.0
	v_mov_b32_e32 v10, s10
	v_mov_b32_e32 v11, s11
	s_movk_i32 s10, 0x1800
	v_add_u32_e64 v27, s10, 0
	ds_write2_b64 v27, v[10:11], v[10:11] offset0:12 offset1:77
.LBB43_195:
	s_or_b64 exec, exec, s[8:9]
	v_mov_b32_e32 v10, 0
	v_mov_b32_e32 v11, 0
	s_waitcnt lgkmcnt(0)
	s_barrier
	s_and_saveexec_b64 s[10:11], s[0:1]
	s_cbranch_execz .LBB43_199
; %bb.196:
	v_mul_u32_u24_e32 v27, 0x208, v15
	ds_read_b64 v[10:11], v12 offset:6256
	ds_read_b64 v[27:28], v27 offset:6240
	v_cmp_gt_u32_e64 s[8:9], 2, v14
	s_waitcnt lgkmcnt(0)
	v_fma_f64 v[10:11], v[10:11], v[27:28], 0
	s_and_saveexec_b64 s[12:13], s[8:9]
	s_cbranch_execz .LBB43_198
; %bb.197:
	v_lshlrev_b32_e32 v27, 3, v0
	v_mov_b32_e32 v29, 0
	ds_read_b64 v[27:28], v27 offset:6768
	ds_read_b64 v[29:30], v29 offset:6248
	s_waitcnt lgkmcnt(0)
	v_fma_f64 v[10:11], v[27:28], v[29:30], v[10:11]
.LBB43_198:
	s_or_b64 exec, exec, s[12:13]
	v_xor_b32_e32 v11, 0x80000000, v11
.LBB43_199:
	s_or_b64 exec, exec, s[10:11]
	s_and_saveexec_b64 s[8:9], s[38:39]
; %bb.200:
	ds_write_b64 v13, v[10:11]
; %bb.201:
	s_or_b64 exec, exec, s[8:9]
	s_waitcnt lgkmcnt(0)
	s_barrier
	s_and_saveexec_b64 s[8:9], s[36:37]
	s_cbranch_execz .LBB43_203
; %bb.202:
	v_mov_b32_e32 v27, 0
	ds_read_b64 v[27:28], v27 offset:7288
	ds_read_b64 v[29:30], v13
	s_waitcnt lgkmcnt(0)
	v_fma_f64 v[10:11], v[27:28], v[29:30], v[10:11]
.LBB43_203:
	s_or_b64 exec, exec, s[8:9]
	s_barrier
	s_and_saveexec_b64 s[8:9], s[36:37]
; %bb.204:
	ds_write_b64 v13, v[10:11]
; %bb.205:
	s_or_b64 exec, exec, s[8:9]
	s_waitcnt lgkmcnt(0)
	s_barrier
	s_barrier
	s_and_saveexec_b64 s[8:9], s[0:1]
; %bb.206:
	v_xor_b32_e32 v11, 0x80000000, v11
	ds_write_b64 v12, v[10:11] offset:6256
; %bb.207:
	s_or_b64 exec, exec, s[8:9]
	s_waitcnt lgkmcnt(0)
	s_barrier
	s_barrier
	s_and_saveexec_b64 s[8:9], vcc
	s_cbranch_execz .LBB43_209
; %bb.208:
	s_mov_b64 s[10:11], 1.0
	v_mov_b32_e32 v10, s10
	v_mov_b32_e32 v11, s11
	s_movk_i32 s10, 0x1800
	v_add_u32_e64 v27, s10, 0
	ds_write2_b64 v27, v[10:11], v[10:11] offset0:142 offset1:207
.LBB43_209:
	s_or_b64 exec, exec, s[8:9]
	v_lshrrev_b32_e32 v31, 4, v14
	v_and_b32_e32 v28, 15, v0
	s_movk_i32 s8, 0xff
	v_lshlrev_b32_e32 v30, 6, v31
	v_cmp_lt_u32_e64 s[10:11], s8, v14
	s_movk_i32 s8, 0x100
	v_or_b32_e32 v27, v30, v28
	v_mov_b32_e32 v10, 0
	v_cmp_gt_u32_e64 s[8:9], s8, v14
	v_mov_b32_e32 v11, 0
	v_lshlrev_b32_e32 v27, 3, v27
	s_waitcnt lgkmcnt(0)
	s_barrier
	s_and_saveexec_b64 s[16:17], s[8:9]
	s_cbranch_execz .LBB43_237
; %bb.210:
	v_mul_u32_u24_e32 v29, 0x208, v31
	ds_read_b64 v[10:11], v27 offset:128
	ds_read_b64 v[32:33], v29
	s_movk_i32 s12, 0xf0
	v_cmp_gt_u32_e64 s[12:13], s12, v14
	s_waitcnt lgkmcnt(0)
	v_fma_f64 v[10:11], v[10:11], v[32:33], 0
	s_and_saveexec_b64 s[80:81], s[12:13]
	s_cbranch_execz .LBB43_212
; %bb.211:
	v_lshlrev_b32_e32 v32, 3, v31
	v_sub_u32_e32 v32, v29, v32
	v_lshl_add_u32 v32, v28, 3, v32
	ds_read_b64 v[32:33], v32 offset:640
	ds_read_b64 v[34:35], v29 offset:8
	s_waitcnt lgkmcnt(0)
	v_fma_f64 v[10:11], v[32:33], v[34:35], v[10:11]
.LBB43_212:
	s_or_b64 exec, exec, s[80:81]
	s_movk_i32 s12, 0xe0
	v_cmp_gt_u32_e64 s[12:13], s12, v14
	s_and_saveexec_b64 s[80:81], s[12:13]
	s_cbranch_execz .LBB43_214
; %bb.213:
	v_lshlrev_b32_e32 v32, 3, v31
	v_sub_u32_e32 v32, v29, v32
	v_lshl_add_u32 v32, v28, 3, v32
	ds_read_b64 v[32:33], v32 offset:1152
	ds_read_b64 v[34:35], v29 offset:16
	s_waitcnt lgkmcnt(0)
	v_fma_f64 v[10:11], v[32:33], v[34:35], v[10:11]
.LBB43_214:
	s_or_b64 exec, exec, s[80:81]
	s_movk_i32 s12, 0xd0
	v_cmp_gt_u32_e64 s[12:13], s12, v14
	;; [unrolled: 14-line block ×7, first 2 shown]
	s_and_saveexec_b64 s[80:81], s[12:13]
	s_cbranch_execz .LBB43_226
; %bb.225:
	ds_read_b64 v[32:33], v27 offset:4224
	ds_read_b64 v[34:35], v29 offset:64
	s_waitcnt lgkmcnt(0)
	v_fma_f64 v[10:11], v[32:33], v[34:35], v[10:11]
.LBB43_226:
	s_or_b64 exec, exec, s[80:81]
	s_movk_i32 s12, 0x70
	v_cmp_gt_u32_e64 s[12:13], s12, v14
	s_and_saveexec_b64 s[80:81], s[12:13]
	s_cbranch_execz .LBB43_228
; %bb.227:
	v_lshlrev_b32_e32 v32, 3, v31
	v_sub_u32_e32 v32, v29, v32
	v_lshl_add_u32 v32, v28, 3, v32
	ds_read_b64 v[32:33], v32 offset:4736
	ds_read_b64 v[34:35], v29 offset:72
	s_waitcnt lgkmcnt(0)
	v_fma_f64 v[10:11], v[32:33], v[34:35], v[10:11]
.LBB43_228:
	s_or_b64 exec, exec, s[80:81]
	s_movk_i32 s12, 0x60
	v_cmp_gt_u32_e64 s[12:13], s12, v14
	s_and_saveexec_b64 s[80:81], s[12:13]
	s_cbranch_execz .LBB43_230
; %bb.229:
	v_lshlrev_b32_e32 v32, 3, v28
	v_lshl_add_u32 v32, v30, 3, v32
	ds_read_b64 v[32:33], v32 offset:5248
	ds_read_b64 v[34:35], v29 offset:80
	s_waitcnt lgkmcnt(0)
	v_fma_f64 v[10:11], v[32:33], v[34:35], v[10:11]
.LBB43_230:
	s_or_b64 exec, exec, s[80:81]
	s_movk_i32 s12, 0x50
	v_cmp_gt_u32_e64 s[12:13], s12, v14
	s_and_saveexec_b64 s[80:81], s[12:13]
	s_cbranch_execnz .LBB43_1120
; %bb.231:
	s_or_b64 exec, exec, s[80:81]
	v_cmp_gt_u32_e64 s[12:13], 64, v14
	s_and_saveexec_b64 s[80:81], s[12:13]
	s_cbranch_execnz .LBB43_1121
.LBB43_232:
	s_or_b64 exec, exec, s[80:81]
	v_cmp_gt_u32_e64 s[12:13], 48, v14
	s_and_saveexec_b64 s[80:81], s[12:13]
	s_cbranch_execnz .LBB43_1122
.LBB43_233:
	s_or_b64 exec, exec, s[80:81]
	v_cmp_gt_u32_e64 s[12:13], 32, v14
	s_and_saveexec_b64 s[80:81], s[12:13]
	s_cbranch_execnz .LBB43_1123
.LBB43_234:
	s_or_b64 exec, exec, s[80:81]
	v_cmp_gt_u32_e64 s[12:13], 16, v14
	s_and_saveexec_b64 s[80:81], s[12:13]
	s_cbranch_execz .LBB43_236
.LBB43_235:
	v_lshlrev_b32_e32 v29, 3, v0
	v_mov_b32_e32 v34, 0
	ds_read_b64 v[32:33], v29 offset:7808
	ds_read_b64 v[34:35], v34 offset:120
	s_waitcnt lgkmcnt(0)
	v_fma_f64 v[10:11], v[32:33], v[34:35], v[10:11]
.LBB43_236:
	s_or_b64 exec, exec, s[80:81]
	v_xor_b32_e32 v11, 0x80000000, v11
.LBB43_237:
	s_or_b64 exec, exec, s[16:17]
	v_mov_b32_e32 v29, 0x8000
	v_lshl_add_u32 v29, v31, 3, v29
	v_cmp_eq_u32_e64 s[12:13], 0, v28
	s_xor_b64 s[16:17], s[10:11], -1
	s_and_b64 s[12:13], s[12:13], s[16:17]
	s_mov_b64 s[10:11], exec
                                        ; implicit-def: $vgpr41 : SGPR spill to VGPR lane
	v_writelane_b32 v41, s12, 0
	v_writelane_b32 v41, s13, 1
	s_and_b64 s[12:13], s[10:11], s[12:13]
	s_mov_b64 exec, s[12:13]
; %bb.238:
	ds_write_b64 v29, v[10:11]
; %bb.239:
	s_or_b64 exec, exec, s[10:11]
	v_cmp_ne_u32_e64 s[10:11], 0, v28
	s_waitcnt lgkmcnt(0)
	s_barrier
	s_and_b64 s[12:13], s[10:11], s[16:17]
	s_mov_b64 s[10:11], exec
	v_writelane_b32 v41, s12, 2
	v_writelane_b32 v41, s13, 3
	s_and_b64 s[12:13], s[10:11], s[12:13]
	s_mov_b64 exec, s[12:13]
	s_cbranch_execz .LBB43_241
; %bb.240:
	v_lshlrev_b32_e32 v32, 3, v28
	ds_read_b64 v[32:33], v32 offset:8320
	ds_read_b64 v[34:35], v29
	s_waitcnt lgkmcnt(0)
	v_fma_f64 v[10:11], v[32:33], v[34:35], v[10:11]
.LBB43_241:
	s_or_b64 exec, exec, s[10:11]
	v_cmp_eq_u32_e64 s[10:11], 1, v28
	s_barrier
	s_and_b64 s[12:13], s[10:11], s[16:17]
	s_mov_b64 s[10:11], exec
	v_writelane_b32 v41, s12, 4
	v_writelane_b32 v41, s13, 5
	s_and_b64 s[12:13], s[10:11], s[12:13]
	s_mov_b64 exec, s[12:13]
; %bb.242:
	ds_write_b64 v29, v[10:11]
; %bb.243:
	s_or_b64 exec, exec, s[10:11]
	v_cmp_lt_u32_e64 s[10:11], 1, v28
	s_waitcnt lgkmcnt(0)
	s_barrier
	s_and_b64 s[12:13], s[10:11], s[16:17]
	s_mov_b64 s[10:11], exec
	v_writelane_b32 v41, s12, 6
	v_writelane_b32 v41, s13, 7
	s_and_b64 s[12:13], s[10:11], s[12:13]
	s_mov_b64 exec, s[12:13]
	s_cbranch_execz .LBB43_245
; %bb.244:
	v_lshlrev_b32_e32 v32, 3, v28
	ds_read_b64 v[32:33], v32 offset:8832
	ds_read_b64 v[34:35], v29
	s_waitcnt lgkmcnt(0)
	v_fma_f64 v[10:11], v[32:33], v[34:35], v[10:11]
.LBB43_245:
	s_or_b64 exec, exec, s[10:11]
	v_cmp_eq_u32_e64 s[10:11], 2, v28
	s_barrier
	s_and_b64 s[12:13], s[10:11], s[16:17]
	s_mov_b64 s[10:11], exec
	v_writelane_b32 v41, s12, 8
	v_writelane_b32 v41, s13, 9
	s_and_b64 s[12:13], s[10:11], s[12:13]
	s_mov_b64 exec, s[12:13]
; %bb.246:
	ds_write_b64 v29, v[10:11]
; %bb.247:
	s_or_b64 exec, exec, s[10:11]
	v_cmp_lt_u32_e64 s[10:11], 2, v28
	;; [unrolled: 30-line block ×12, first 2 shown]
	s_and_b64 s[84:85], s[10:11], s[16:17]
	s_waitcnt lgkmcnt(0)
	s_barrier
	s_and_saveexec_b64 s[10:11], s[84:85]
	s_cbranch_execz .LBB43_289
; %bb.288:
	v_lshlrev_b32_e32 v32, 3, v28
	ds_read_b64 v[32:33], v32 offset:14464
	ds_read_b64 v[34:35], v29
	s_waitcnt lgkmcnt(0)
	v_fma_f64 v[10:11], v[32:33], v[34:35], v[10:11]
.LBB43_289:
	s_or_b64 exec, exec, s[10:11]
	v_cmp_eq_u32_e64 s[10:11], 13, v28
	s_and_b64 s[86:87], s[10:11], s[16:17]
	s_barrier
	s_and_saveexec_b64 s[10:11], s[86:87]
; %bb.290:
	ds_write_b64 v29, v[10:11]
; %bb.291:
	s_or_b64 exec, exec, s[10:11]
	v_cmp_lt_u32_e64 s[10:11], 13, v28
	s_and_b64 s[88:89], s[10:11], s[16:17]
	s_waitcnt lgkmcnt(0)
	s_barrier
	s_and_saveexec_b64 s[10:11], s[88:89]
	s_cbranch_execz .LBB43_293
; %bb.292:
	v_lshlrev_b32_e32 v32, 3, v28
	ds_read_b64 v[32:33], v32 offset:14976
	ds_read_b64 v[34:35], v29
	s_waitcnt lgkmcnt(0)
	v_fma_f64 v[10:11], v[32:33], v[34:35], v[10:11]
.LBB43_293:
	s_or_b64 exec, exec, s[10:11]
	v_cmp_eq_u32_e64 s[10:11], 14, v28
	s_and_b64 s[92:93], s[10:11], s[16:17]
	s_barrier
	s_and_saveexec_b64 s[10:11], s[92:93]
; %bb.294:
	ds_write_b64 v29, v[10:11]
; %bb.295:
	s_or_b64 exec, exec, s[10:11]
	v_cmp_eq_u32_e64 s[10:11], 15, v28
	s_and_b64 s[90:91], s[10:11], s[16:17]
	s_waitcnt lgkmcnt(0)
	s_barrier
	s_and_saveexec_b64 s[10:11], s[90:91]
	s_cbranch_execz .LBB43_297
; %bb.296:
	v_mov_b32_e32 v32, 0
	ds_read_b64 v[32:33], v32 offset:15608
	ds_read_b64 v[34:35], v29
	s_waitcnt lgkmcnt(0)
	v_fma_f64 v[10:11], v[32:33], v[34:35], v[10:11]
.LBB43_297:
	s_or_b64 exec, exec, s[10:11]
	s_barrier
	s_and_saveexec_b64 s[10:11], s[90:91]
; %bb.298:
	ds_write_b64 v29, v[10:11]
; %bb.299:
	s_or_b64 exec, exec, s[10:11]
	s_waitcnt lgkmcnt(0)
	s_barrier
	s_barrier
	s_and_saveexec_b64 s[10:11], s[8:9]
; %bb.300:
	v_xor_b32_e32 v11, 0x80000000, v11
	ds_write_b64 v27, v[10:11] offset:128
; %bb.301:
	s_or_b64 exec, exec, s[10:11]
	s_waitcnt lgkmcnt(0)
	s_barrier
	s_barrier
	s_and_saveexec_b64 s[10:11], vcc
	s_cbranch_execz .LBB43_303
; %bb.302:
	s_mov_b64 s[12:13], 1.0
	v_mov_b32_e32 v10, s12
	v_mov_b32_e32 v11, s13
	s_movk_i32 s12, 0x2000
	v_add_u32_e64 v32, s12, 0
	ds_write2_b64 v32, v[10:11], v[10:11] offset0:16 offset1:81
.LBB43_303:
	s_or_b64 exec, exec, s[10:11]
	v_mov_b32_e32 v10, 0
	v_mov_b32_e32 v11, 0
	s_waitcnt lgkmcnt(0)
	s_barrier
	s_and_saveexec_b64 s[12:13], s[0:1]
	s_cbranch_execz .LBB43_307
; %bb.304:
	v_mul_u32_u24_e32 v32, 0x208, v15
	ds_read_b64 v[10:11], v12 offset:8336
	ds_read_b64 v[32:33], v32 offset:8320
	v_cmp_gt_u32_e64 s[10:11], 2, v14
	s_waitcnt lgkmcnt(0)
	v_fma_f64 v[10:11], v[10:11], v[32:33], 0
	s_and_saveexec_b64 s[16:17], s[10:11]
	s_cbranch_execz .LBB43_306
; %bb.305:
	v_lshlrev_b32_e32 v32, 3, v0
	v_mov_b32_e32 v34, 0
	ds_read_b64 v[32:33], v32 offset:8848
	ds_read_b64 v[34:35], v34 offset:8328
	s_waitcnt lgkmcnt(0)
	v_fma_f64 v[10:11], v[32:33], v[34:35], v[10:11]
.LBB43_306:
	s_or_b64 exec, exec, s[16:17]
	v_xor_b32_e32 v11, 0x80000000, v11
.LBB43_307:
	s_or_b64 exec, exec, s[12:13]
	s_and_saveexec_b64 s[10:11], s[38:39]
; %bb.308:
	ds_write_b64 v13, v[10:11]
; %bb.309:
	s_or_b64 exec, exec, s[10:11]
	s_waitcnt lgkmcnt(0)
	s_barrier
	s_and_saveexec_b64 s[10:11], s[36:37]
	s_cbranch_execz .LBB43_311
; %bb.310:
	v_mov_b32_e32 v32, 0
	ds_read_b64 v[32:33], v32 offset:9368
	ds_read_b64 v[34:35], v13
	s_waitcnt lgkmcnt(0)
	v_fma_f64 v[10:11], v[32:33], v[34:35], v[10:11]
.LBB43_311:
	s_or_b64 exec, exec, s[10:11]
	s_barrier
	s_and_saveexec_b64 s[10:11], s[36:37]
; %bb.312:
	ds_write_b64 v13, v[10:11]
; %bb.313:
	s_or_b64 exec, exec, s[10:11]
	s_waitcnt lgkmcnt(0)
	s_barrier
	s_barrier
	s_and_saveexec_b64 s[10:11], s[0:1]
; %bb.314:
	v_xor_b32_e32 v11, 0x80000000, v11
	ds_write_b64 v12, v[10:11] offset:8336
; %bb.315:
	s_or_b64 exec, exec, s[10:11]
	s_waitcnt lgkmcnt(0)
	s_barrier
	s_barrier
	s_and_saveexec_b64 s[10:11], vcc
	s_cbranch_execz .LBB43_317
; %bb.316:
	s_mov_b64 s[12:13], 1.0
	v_mov_b32_e32 v10, s12
	v_mov_b32_e32 v11, s13
	s_movk_i32 s12, 0x2000
	v_add_u32_e64 v32, s12, 0
	ds_write2_b64 v32, v[10:11], v[10:11] offset0:146 offset1:211
.LBB43_317:
	s_or_b64 exec, exec, s[10:11]
	v_mov_b32_e32 v10, 0
	v_mov_b32_e32 v11, 0
	s_waitcnt lgkmcnt(0)
	s_barrier
	s_and_saveexec_b64 s[12:13], s[2:3]
	s_cbranch_execz .LBB43_323
; %bb.318:
	v_mul_u32_u24_e32 v32, 0x208, v21
	ds_read_b64 v[10:11], v16 offset:8352
	ds_read_b64 v[33:34], v32 offset:8320
	v_cmp_gt_u32_e64 s[10:11], 12, v14
	s_waitcnt lgkmcnt(0)
	v_fma_f64 v[10:11], v[10:11], v[33:34], 0
	s_and_saveexec_b64 s[16:17], s[10:11]
	s_cbranch_execnz .LBB43_1124
; %bb.319:
	s_or_b64 exec, exec, s[16:17]
	v_cmp_gt_u32_e64 s[10:11], 8, v14
	s_and_saveexec_b64 s[16:17], s[10:11]
	s_cbranch_execnz .LBB43_1125
.LBB43_320:
	s_or_b64 exec, exec, s[16:17]
	v_cmp_gt_u32_e64 s[10:11], 4, v14
	s_and_saveexec_b64 s[16:17], s[10:11]
	s_cbranch_execz .LBB43_322
.LBB43_321:
	v_lshlrev_b32_e32 v32, 3, v0
	v_mov_b32_e32 v34, 0
	ds_read_b64 v[32:33], v32 offset:9888
	ds_read_b64 v[34:35], v34 offset:8344
	s_waitcnt lgkmcnt(0)
	v_fma_f64 v[10:11], v[32:33], v[34:35], v[10:11]
.LBB43_322:
	s_or_b64 exec, exec, s[16:17]
	v_xor_b32_e32 v11, 0x80000000, v11
.LBB43_323:
	s_or_b64 exec, exec, s[12:13]
	s_and_saveexec_b64 s[10:11], s[42:43]
; %bb.324:
	ds_write_b64 v19, v[10:11]
; %bb.325:
	s_or_b64 exec, exec, s[10:11]
	s_waitcnt lgkmcnt(0)
	s_barrier
	s_and_saveexec_b64 s[10:11], s[44:45]
	s_cbranch_execz .LBB43_327
; %bb.326:
	ds_read_b64 v[32:33], v17 offset:10400
	ds_read_b64 v[34:35], v19
	s_waitcnt lgkmcnt(0)
	v_fma_f64 v[10:11], v[32:33], v[34:35], v[10:11]
.LBB43_327:
	s_or_b64 exec, exec, s[10:11]
	s_barrier
	s_and_saveexec_b64 s[10:11], s[46:47]
; %bb.328:
	ds_write_b64 v19, v[10:11]
; %bb.329:
	s_or_b64 exec, exec, s[10:11]
	s_waitcnt lgkmcnt(0)
	s_barrier
	s_and_saveexec_b64 s[10:11], s[48:49]
	s_cbranch_execz .LBB43_331
; %bb.330:
	ds_read_b64 v[32:33], v17 offset:10912
	ds_read_b64 v[34:35], v19
	s_waitcnt lgkmcnt(0)
	v_fma_f64 v[10:11], v[32:33], v[34:35], v[10:11]
.LBB43_331:
	s_or_b64 exec, exec, s[10:11]
	s_barrier
	s_and_saveexec_b64 s[10:11], s[50:51]
; %bb.332:
	ds_write_b64 v19, v[10:11]
; %bb.333:
	s_or_b64 exec, exec, s[10:11]
	s_waitcnt lgkmcnt(0)
	s_barrier
	s_and_saveexec_b64 s[10:11], s[40:41]
	s_cbranch_execz .LBB43_335
; %bb.334:
	v_mov_b32_e32 v32, 0
	ds_read_b64 v[32:33], v32 offset:11448
	ds_read_b64 v[34:35], v19
	s_waitcnt lgkmcnt(0)
	v_fma_f64 v[10:11], v[32:33], v[34:35], v[10:11]
.LBB43_335:
	s_or_b64 exec, exec, s[10:11]
	s_barrier
	s_and_saveexec_b64 s[10:11], s[40:41]
; %bb.336:
	ds_write_b64 v19, v[10:11]
; %bb.337:
	s_or_b64 exec, exec, s[10:11]
	s_waitcnt lgkmcnt(0)
	s_barrier
	s_barrier
	s_and_saveexec_b64 s[10:11], s[2:3]
; %bb.338:
	v_xor_b32_e32 v11, 0x80000000, v11
	ds_write_b64 v16, v[10:11] offset:8352
; %bb.339:
	s_or_b64 exec, exec, s[10:11]
	s_waitcnt lgkmcnt(0)
	s_barrier
	s_barrier
	s_and_saveexec_b64 s[10:11], vcc
	s_cbranch_execz .LBB43_341
; %bb.340:
	s_mov_b64 s[12:13], 1.0
	v_mov_b32_e32 v10, s12
	v_mov_b32_e32 v11, s13
	s_movk_i32 s12, 0x2800
	v_add_u32_e64 v32, s12, 0
	ds_write2_b64 v32, v[10:11], v[10:11] offset0:20 offset1:85
.LBB43_341:
	s_or_b64 exec, exec, s[10:11]
	v_mov_b32_e32 v10, 0
	v_mov_b32_e32 v11, 0
	s_waitcnt lgkmcnt(0)
	s_barrier
	s_and_saveexec_b64 s[12:13], s[0:1]
	s_cbranch_execz .LBB43_345
; %bb.342:
	v_mul_u32_u24_e32 v32, 0x208, v15
	ds_read_b64 v[10:11], v12 offset:10416
	ds_read_b64 v[32:33], v32 offset:10400
	v_cmp_gt_u32_e64 s[10:11], 2, v14
	s_waitcnt lgkmcnt(0)
	v_fma_f64 v[10:11], v[10:11], v[32:33], 0
	s_and_saveexec_b64 s[16:17], s[10:11]
	s_cbranch_execz .LBB43_344
; %bb.343:
	v_lshlrev_b32_e32 v32, 3, v0
	v_mov_b32_e32 v34, 0
	ds_read_b64 v[32:33], v32 offset:10928
	ds_read_b64 v[34:35], v34 offset:10408
	s_waitcnt lgkmcnt(0)
	v_fma_f64 v[10:11], v[32:33], v[34:35], v[10:11]
.LBB43_344:
	s_or_b64 exec, exec, s[16:17]
	v_xor_b32_e32 v11, 0x80000000, v11
.LBB43_345:
	s_or_b64 exec, exec, s[12:13]
	s_and_saveexec_b64 s[10:11], s[38:39]
; %bb.346:
	ds_write_b64 v13, v[10:11]
; %bb.347:
	s_or_b64 exec, exec, s[10:11]
	s_waitcnt lgkmcnt(0)
	s_barrier
	s_and_saveexec_b64 s[10:11], s[36:37]
	s_cbranch_execz .LBB43_349
; %bb.348:
	v_mov_b32_e32 v32, 0
	ds_read_b64 v[32:33], v32 offset:11448
	ds_read_b64 v[34:35], v13
	s_waitcnt lgkmcnt(0)
	v_fma_f64 v[10:11], v[32:33], v[34:35], v[10:11]
.LBB43_349:
	s_or_b64 exec, exec, s[10:11]
	s_barrier
	s_and_saveexec_b64 s[10:11], s[36:37]
; %bb.350:
	ds_write_b64 v13, v[10:11]
; %bb.351:
	s_or_b64 exec, exec, s[10:11]
	s_waitcnt lgkmcnt(0)
	s_barrier
	s_barrier
	s_and_saveexec_b64 s[10:11], s[0:1]
; %bb.352:
	v_xor_b32_e32 v11, 0x80000000, v11
	ds_write_b64 v12, v[10:11] offset:10416
; %bb.353:
	s_or_b64 exec, exec, s[10:11]
	s_waitcnt lgkmcnt(0)
	s_barrier
	s_barrier
	s_and_saveexec_b64 s[10:11], vcc
	s_cbranch_execz .LBB43_355
; %bb.354:
	s_mov_b64 s[12:13], 1.0
	v_mov_b32_e32 v10, s12
	v_mov_b32_e32 v11, s13
	s_movk_i32 s12, 0x2800
	v_add_u32_e64 v32, s12, 0
	ds_write2_b64 v32, v[10:11], v[10:11] offset0:150 offset1:215
.LBB43_355:
	s_or_b64 exec, exec, s[10:11]
	v_mov_b32_e32 v10, 0
	v_mov_b32_e32 v11, 0
	s_waitcnt lgkmcnt(0)
	s_barrier
	s_and_saveexec_b64 s[12:13], s[14:15]
	s_cbranch_execz .LBB43_365
; %bb.356:
	v_mul_u32_u24_e32 v32, 0x208, v26
	ds_read_b64 v[10:11], v22 offset:8384
	ds_read_b64 v[33:34], v32 offset:8320
	v_cmp_gt_u32_e64 s[10:11], 56, v14
	s_waitcnt lgkmcnt(0)
	v_fma_f64 v[10:11], v[10:11], v[33:34], 0
	s_and_saveexec_b64 s[16:17], s[10:11]
	s_cbranch_execnz .LBB43_1126
; %bb.357:
	s_or_b64 exec, exec, s[16:17]
	v_cmp_gt_u32_e64 s[10:11], 48, v14
	s_and_saveexec_b64 s[16:17], s[10:11]
	s_cbranch_execnz .LBB43_1127
.LBB43_358:
	s_or_b64 exec, exec, s[16:17]
	v_cmp_gt_u32_e64 s[10:11], 40, v14
	s_and_saveexec_b64 s[16:17], s[10:11]
	s_cbranch_execnz .LBB43_1128
.LBB43_359:
	s_or_b64 exec, exec, s[16:17]
	v_cmp_gt_u32_e64 s[10:11], 32, v14
	s_and_saveexec_b64 s[16:17], s[10:11]
	s_cbranch_execnz .LBB43_1129
.LBB43_360:
	s_or_b64 exec, exec, s[16:17]
	v_cmp_gt_u32_e64 s[10:11], 24, v14
	s_and_saveexec_b64 s[16:17], s[10:11]
	s_cbranch_execnz .LBB43_1130
.LBB43_361:
	s_or_b64 exec, exec, s[16:17]
	v_cmp_gt_u32_e64 s[10:11], 16, v14
	s_and_saveexec_b64 s[16:17], s[10:11]
	s_cbranch_execnz .LBB43_1131
.LBB43_362:
	s_or_b64 exec, exec, s[16:17]
	v_cmp_gt_u32_e64 s[10:11], 8, v14
	s_and_saveexec_b64 s[16:17], s[10:11]
	s_cbranch_execz .LBB43_364
.LBB43_363:
	v_lshlrev_b32_e32 v32, 3, v0
	v_mov_b32_e32 v34, 0
	ds_read_b64 v[32:33], v32 offset:11968
	ds_read_b64 v[34:35], v34 offset:8376
	s_waitcnt lgkmcnt(0)
	v_fma_f64 v[10:11], v[32:33], v[34:35], v[10:11]
.LBB43_364:
	s_or_b64 exec, exec, s[16:17]
	v_xor_b32_e32 v11, 0x80000000, v11
.LBB43_365:
	s_or_b64 exec, exec, s[12:13]
	s_and_saveexec_b64 s[10:11], s[52:53]
; %bb.366:
	ds_write_b64 v24, v[10:11]
; %bb.367:
	s_or_b64 exec, exec, s[10:11]
	s_waitcnt lgkmcnt(0)
	s_barrier
	s_and_saveexec_b64 s[10:11], s[54:55]
	s_cbranch_execz .LBB43_369
; %bb.368:
	ds_read_b64 v[32:33], v23 offset:12480
	ds_read_b64 v[34:35], v24
	s_waitcnt lgkmcnt(0)
	v_fma_f64 v[10:11], v[32:33], v[34:35], v[10:11]
.LBB43_369:
	s_or_b64 exec, exec, s[10:11]
	s_barrier
	s_and_saveexec_b64 s[10:11], s[56:57]
; %bb.370:
	ds_write_b64 v24, v[10:11]
; %bb.371:
	s_or_b64 exec, exec, s[10:11]
	s_waitcnt lgkmcnt(0)
	s_barrier
	s_and_saveexec_b64 s[10:11], s[58:59]
	s_cbranch_execz .LBB43_373
; %bb.372:
	ds_read_b64 v[32:33], v23 offset:12992
	ds_read_b64 v[34:35], v24
	s_waitcnt lgkmcnt(0)
	v_fma_f64 v[10:11], v[32:33], v[34:35], v[10:11]
.LBB43_373:
	s_or_b64 exec, exec, s[10:11]
	s_barrier
	;; [unrolled: 17-line block ×6, first 2 shown]
	s_and_saveexec_b64 s[10:11], s[78:79]
; %bb.390:
	ds_write_b64 v24, v[10:11]
; %bb.391:
	s_or_b64 exec, exec, s[10:11]
	s_waitcnt lgkmcnt(0)
	s_barrier
	s_and_saveexec_b64 s[10:11], s[62:63]
	s_cbranch_execz .LBB43_393
; %bb.392:
	v_mov_b32_e32 v32, 0
	ds_read_b64 v[32:33], v32 offset:15608
	ds_read_b64 v[34:35], v24
	s_waitcnt lgkmcnt(0)
	v_fma_f64 v[10:11], v[32:33], v[34:35], v[10:11]
.LBB43_393:
	s_or_b64 exec, exec, s[10:11]
	s_barrier
	s_and_saveexec_b64 s[10:11], s[62:63]
; %bb.394:
	ds_write_b64 v24, v[10:11]
; %bb.395:
	s_or_b64 exec, exec, s[10:11]
	s_waitcnt lgkmcnt(0)
	s_barrier
	s_barrier
	s_and_saveexec_b64 s[10:11], s[14:15]
; %bb.396:
	v_xor_b32_e32 v11, 0x80000000, v11
	ds_write_b64 v22, v[10:11] offset:8384
; %bb.397:
	s_or_b64 exec, exec, s[10:11]
	s_waitcnt lgkmcnt(0)
	s_barrier
	s_barrier
	s_and_saveexec_b64 s[10:11], vcc
	s_cbranch_execz .LBB43_399
; %bb.398:
	s_mov_b64 s[12:13], 1.0
	v_mov_b32_e32 v10, s12
	v_mov_b32_e32 v11, s13
	s_movk_i32 s12, 0x3000
	v_add_u32_e64 v32, s12, 0
	ds_write2_b64 v32, v[10:11], v[10:11] offset0:24 offset1:89
.LBB43_399:
	s_or_b64 exec, exec, s[10:11]
	v_mov_b32_e32 v10, 0
	v_mov_b32_e32 v11, 0
	s_waitcnt lgkmcnt(0)
	s_barrier
	s_and_saveexec_b64 s[12:13], s[0:1]
	s_cbranch_execz .LBB43_403
; %bb.400:
	v_mul_u32_u24_e32 v32, 0x208, v15
	ds_read_b64 v[10:11], v12 offset:12496
	ds_read_b64 v[32:33], v32 offset:12480
	v_cmp_gt_u32_e64 s[10:11], 2, v14
	s_waitcnt lgkmcnt(0)
	v_fma_f64 v[10:11], v[10:11], v[32:33], 0
	s_and_saveexec_b64 s[16:17], s[10:11]
	s_cbranch_execz .LBB43_402
; %bb.401:
	v_lshlrev_b32_e32 v32, 3, v0
	v_mov_b32_e32 v34, 0
	ds_read_b64 v[32:33], v32 offset:13008
	ds_read_b64 v[34:35], v34 offset:12488
	s_waitcnt lgkmcnt(0)
	v_fma_f64 v[10:11], v[32:33], v[34:35], v[10:11]
.LBB43_402:
	s_or_b64 exec, exec, s[16:17]
	v_xor_b32_e32 v11, 0x80000000, v11
.LBB43_403:
	s_or_b64 exec, exec, s[12:13]
	s_and_saveexec_b64 s[10:11], s[38:39]
; %bb.404:
	ds_write_b64 v13, v[10:11]
; %bb.405:
	s_or_b64 exec, exec, s[10:11]
	s_waitcnt lgkmcnt(0)
	s_barrier
	s_and_saveexec_b64 s[10:11], s[36:37]
	s_cbranch_execz .LBB43_407
; %bb.406:
	v_mov_b32_e32 v32, 0
	ds_read_b64 v[32:33], v32 offset:13528
	ds_read_b64 v[34:35], v13
	s_waitcnt lgkmcnt(0)
	v_fma_f64 v[10:11], v[32:33], v[34:35], v[10:11]
.LBB43_407:
	s_or_b64 exec, exec, s[10:11]
	s_barrier
	s_and_saveexec_b64 s[10:11], s[36:37]
; %bb.408:
	ds_write_b64 v13, v[10:11]
; %bb.409:
	s_or_b64 exec, exec, s[10:11]
	s_waitcnt lgkmcnt(0)
	s_barrier
	s_barrier
	s_and_saveexec_b64 s[10:11], s[0:1]
; %bb.410:
	v_xor_b32_e32 v11, 0x80000000, v11
	ds_write_b64 v12, v[10:11] offset:12496
; %bb.411:
	s_or_b64 exec, exec, s[10:11]
	s_waitcnt lgkmcnt(0)
	s_barrier
	s_barrier
	s_and_saveexec_b64 s[10:11], vcc
	s_cbranch_execz .LBB43_413
; %bb.412:
	s_mov_b64 s[12:13], 1.0
	v_mov_b32_e32 v10, s12
	v_mov_b32_e32 v11, s13
	s_movk_i32 s12, 0x3000
	v_add_u32_e64 v32, s12, 0
	ds_write2_b64 v32, v[10:11], v[10:11] offset0:154 offset1:219
.LBB43_413:
	s_or_b64 exec, exec, s[10:11]
	v_mov_b32_e32 v10, 0
	v_mov_b32_e32 v11, 0
	s_waitcnt lgkmcnt(0)
	s_barrier
	s_and_saveexec_b64 s[12:13], s[2:3]
	s_cbranch_execz .LBB43_419
; %bb.414:
	v_mul_u32_u24_e32 v32, 0x208, v21
	ds_read_b64 v[10:11], v16 offset:12512
	ds_read_b64 v[33:34], v32 offset:12480
	v_cmp_gt_u32_e64 s[10:11], 12, v14
	s_waitcnt lgkmcnt(0)
	v_fma_f64 v[10:11], v[10:11], v[33:34], 0
	s_and_saveexec_b64 s[16:17], s[10:11]
	s_cbranch_execnz .LBB43_1132
; %bb.415:
	s_or_b64 exec, exec, s[16:17]
	v_cmp_gt_u32_e64 s[10:11], 8, v14
	s_and_saveexec_b64 s[16:17], s[10:11]
	s_cbranch_execnz .LBB43_1133
.LBB43_416:
	s_or_b64 exec, exec, s[16:17]
	v_cmp_gt_u32_e64 s[10:11], 4, v14
	s_and_saveexec_b64 s[16:17], s[10:11]
	s_cbranch_execz .LBB43_418
.LBB43_417:
	v_lshlrev_b32_e32 v32, 3, v0
	v_mov_b32_e32 v34, 0
	ds_read_b64 v[32:33], v32 offset:14048
	ds_read_b64 v[34:35], v34 offset:12504
	s_waitcnt lgkmcnt(0)
	v_fma_f64 v[10:11], v[32:33], v[34:35], v[10:11]
.LBB43_418:
	s_or_b64 exec, exec, s[16:17]
	v_xor_b32_e32 v11, 0x80000000, v11
.LBB43_419:
	s_or_b64 exec, exec, s[12:13]
	s_and_saveexec_b64 s[10:11], s[42:43]
; %bb.420:
	ds_write_b64 v19, v[10:11]
; %bb.421:
	s_or_b64 exec, exec, s[10:11]
	s_waitcnt lgkmcnt(0)
	s_barrier
	s_and_saveexec_b64 s[10:11], s[44:45]
	s_cbranch_execz .LBB43_423
; %bb.422:
	ds_read_b64 v[32:33], v17 offset:14560
	ds_read_b64 v[34:35], v19
	s_waitcnt lgkmcnt(0)
	v_fma_f64 v[10:11], v[32:33], v[34:35], v[10:11]
.LBB43_423:
	s_or_b64 exec, exec, s[10:11]
	s_barrier
	s_and_saveexec_b64 s[10:11], s[46:47]
; %bb.424:
	ds_write_b64 v19, v[10:11]
; %bb.425:
	s_or_b64 exec, exec, s[10:11]
	s_waitcnt lgkmcnt(0)
	s_barrier
	s_and_saveexec_b64 s[10:11], s[48:49]
	s_cbranch_execz .LBB43_427
; %bb.426:
	ds_read_b64 v[32:33], v17 offset:15072
	ds_read_b64 v[34:35], v19
	s_waitcnt lgkmcnt(0)
	v_fma_f64 v[10:11], v[32:33], v[34:35], v[10:11]
.LBB43_427:
	s_or_b64 exec, exec, s[10:11]
	s_barrier
	s_and_saveexec_b64 s[10:11], s[50:51]
; %bb.428:
	ds_write_b64 v19, v[10:11]
; %bb.429:
	s_or_b64 exec, exec, s[10:11]
	s_waitcnt lgkmcnt(0)
	s_barrier
	s_and_saveexec_b64 s[10:11], s[40:41]
	s_cbranch_execz .LBB43_431
; %bb.430:
	v_mov_b32_e32 v32, 0
	ds_read_b64 v[32:33], v32 offset:15608
	ds_read_b64 v[34:35], v19
	s_waitcnt lgkmcnt(0)
	v_fma_f64 v[10:11], v[32:33], v[34:35], v[10:11]
.LBB43_431:
	s_or_b64 exec, exec, s[10:11]
	s_barrier
	s_and_saveexec_b64 s[10:11], s[40:41]
; %bb.432:
	ds_write_b64 v19, v[10:11]
; %bb.433:
	s_or_b64 exec, exec, s[10:11]
	s_waitcnt lgkmcnt(0)
	s_barrier
	s_barrier
	s_and_saveexec_b64 s[10:11], s[2:3]
; %bb.434:
	v_xor_b32_e32 v11, 0x80000000, v11
	ds_write_b64 v16, v[10:11] offset:12512
; %bb.435:
	s_or_b64 exec, exec, s[10:11]
	s_waitcnt lgkmcnt(0)
	s_barrier
	s_barrier
	s_and_saveexec_b64 s[10:11], vcc
	s_cbranch_execz .LBB43_437
; %bb.436:
	s_mov_b64 s[12:13], 1.0
	v_mov_b32_e32 v10, s12
	v_mov_b32_e32 v11, s13
	s_movk_i32 s12, 0x3800
	v_add_u32_e64 v32, s12, 0
	ds_write2_b64 v32, v[10:11], v[10:11] offset0:28 offset1:93
.LBB43_437:
	s_or_b64 exec, exec, s[10:11]
	v_mov_b32_e32 v10, 0
	v_mov_b32_e32 v11, 0
	s_waitcnt lgkmcnt(0)
	s_barrier
	s_and_saveexec_b64 s[12:13], s[0:1]
	s_cbranch_execz .LBB43_441
; %bb.438:
	v_mul_u32_u24_e32 v32, 0x208, v15
	ds_read_b64 v[10:11], v12 offset:14576
	ds_read_b64 v[32:33], v32 offset:14560
	v_cmp_gt_u32_e64 s[10:11], 2, v14
	s_waitcnt lgkmcnt(0)
	v_fma_f64 v[10:11], v[10:11], v[32:33], 0
	s_and_saveexec_b64 s[16:17], s[10:11]
	s_cbranch_execz .LBB43_440
; %bb.439:
	v_lshlrev_b32_e32 v32, 3, v0
	v_mov_b32_e32 v34, 0
	ds_read_b64 v[32:33], v32 offset:15088
	ds_read_b64 v[34:35], v34 offset:14568
	s_waitcnt lgkmcnt(0)
	v_fma_f64 v[10:11], v[32:33], v[34:35], v[10:11]
.LBB43_440:
	s_or_b64 exec, exec, s[16:17]
	v_xor_b32_e32 v11, 0x80000000, v11
.LBB43_441:
	s_or_b64 exec, exec, s[12:13]
	s_and_saveexec_b64 s[10:11], s[38:39]
; %bb.442:
	ds_write_b64 v13, v[10:11]
; %bb.443:
	s_or_b64 exec, exec, s[10:11]
	s_waitcnt lgkmcnt(0)
	s_barrier
	s_and_saveexec_b64 s[10:11], s[36:37]
	s_cbranch_execz .LBB43_445
; %bb.444:
	v_mov_b32_e32 v32, 0
	ds_read_b64 v[32:33], v32 offset:15608
	ds_read_b64 v[34:35], v13
	s_waitcnt lgkmcnt(0)
	v_fma_f64 v[10:11], v[32:33], v[34:35], v[10:11]
.LBB43_445:
	s_or_b64 exec, exec, s[10:11]
	s_barrier
	s_and_saveexec_b64 s[10:11], s[36:37]
; %bb.446:
	ds_write_b64 v13, v[10:11]
; %bb.447:
	s_or_b64 exec, exec, s[10:11]
	s_waitcnt lgkmcnt(0)
	s_barrier
	s_barrier
	s_and_saveexec_b64 s[10:11], s[0:1]
; %bb.448:
	v_xor_b32_e32 v11, 0x80000000, v11
	ds_write_b64 v12, v[10:11] offset:14576
; %bb.449:
	s_or_b64 exec, exec, s[10:11]
	s_waitcnt lgkmcnt(0)
	s_barrier
	s_barrier
	s_and_saveexec_b64 s[10:11], vcc
	s_cbranch_execz .LBB43_451
; %bb.450:
	s_mov_b64 s[12:13], 1.0
	v_mov_b32_e32 v10, s12
	v_mov_b32_e32 v11, s13
	s_movk_i32 s12, 0x3800
	v_add_u32_e64 v32, s12, 0
	ds_write2_b64 v32, v[10:11], v[10:11] offset0:158 offset1:223
.LBB43_451:
	s_or_b64 exec, exec, s[10:11]
	v_and_b32_e32 v34, 31, v0
	s_movk_i32 s10, 0x3ff
	v_lshrrev_b32_e32 v35, 5, v14
	v_cmp_lt_u32_e64 s[12:13], s10, v14
	s_movk_i32 s10, 0x400
	v_lshlrev_b32_e32 v33, 3, v34
	v_mov_b32_e32 v10, 0
	v_cmp_gt_u32_e64 s[10:11], s10, v14
	v_mov_b32_e32 v11, 0
	v_lshl_or_b32 v32, v35, 9, v33
	s_waitcnt lgkmcnt(0)
	s_barrier
	s_and_saveexec_b64 s[94:95], s[10:11]
	s_cbranch_execz .LBB43_513
; %bb.452:
	v_mul_u32_u24_e32 v36, 0x208, v35
	ds_read_b64 v[10:11], v32 offset:256
	ds_read_b64 v[37:38], v36
	s_movk_i32 s16, 0x3e0
	v_cmp_gt_u32_e64 s[16:17], s16, v14
	s_waitcnt lgkmcnt(0)
	v_fma_f64 v[10:11], v[10:11], v[37:38], 0
	s_and_saveexec_b64 s[80:81], s[16:17]
	s_cbranch_execz .LBB43_454
; %bb.453:
	ds_read_b64 v[37:38], v32 offset:768
	ds_read_b64 v[39:40], v36 offset:8
	s_waitcnt lgkmcnt(0)
	v_fma_f64 v[10:11], v[37:38], v[39:40], v[10:11]
.LBB43_454:
	s_or_b64 exec, exec, s[80:81]
	s_movk_i32 s16, 0x3c0
	v_cmp_gt_u32_e64 s[16:17], s16, v14
	s_and_saveexec_b64 s[80:81], s[16:17]
	s_cbranch_execz .LBB43_456
; %bb.455:
	ds_read_b64 v[37:38], v32 offset:1280
	ds_read_b64 v[39:40], v36 offset:16
	s_waitcnt lgkmcnt(0)
	v_fma_f64 v[10:11], v[37:38], v[39:40], v[10:11]
.LBB43_456:
	s_or_b64 exec, exec, s[80:81]
	s_movk_i32 s16, 0x3a0
	v_cmp_gt_u32_e64 s[16:17], s16, v14
	;; [unrolled: 11-line block ×28, first 2 shown]
	s_and_saveexec_b64 s[80:81], s[16:17]
	s_cbranch_execnz .LBB43_1134
; %bb.509:
	s_or_b64 exec, exec, s[80:81]
	v_cmp_gt_u32_e64 s[16:17], 64, v14
	s_and_saveexec_b64 s[80:81], s[16:17]
	s_cbranch_execnz .LBB43_1135
.LBB43_510:
	s_or_b64 exec, exec, s[80:81]
	v_cmp_gt_u32_e64 s[16:17], 32, v14
	s_and_saveexec_b64 s[80:81], s[16:17]
	s_cbranch_execz .LBB43_512
.LBB43_511:
	v_lshlrev_b32_e32 v36, 3, v0
	v_mov_b32_e32 v38, 0
	ds_read_b64 v[36:37], v36 offset:16128
	ds_read_b64 v[38:39], v38 offset:248
	s_waitcnt lgkmcnt(0)
	v_fma_f64 v[10:11], v[36:37], v[38:39], v[10:11]
.LBB43_512:
	s_or_b64 exec, exec, s[80:81]
	v_xor_b32_e32 v11, 0x80000000, v11
.LBB43_513:
	s_or_b64 exec, exec, s[94:95]
	v_mov_b32_e32 v36, 0x8000
	v_cmp_eq_u32_e64 s[16:17], 0, v34
	s_xor_b64 s[94:95], s[12:13], -1
	v_lshl_or_b32 v35, v35, 3, v36
	s_and_b64 s[16:17], s[94:95], s[16:17]
	s_and_saveexec_b64 s[12:13], s[16:17]
; %bb.514:
	ds_write_b64 v35, v[10:11]
; %bb.515:
	s_or_b64 exec, exec, s[12:13]
	v_cmp_ne_u32_e64 s[12:13], 0, v34
	s_and_b64 s[16:17], s[94:95], s[12:13]
	s_waitcnt lgkmcnt(0)
	s_barrier
	s_and_saveexec_b64 s[12:13], s[16:17]
	s_cbranch_execz .LBB43_517
; %bb.516:
	ds_read_b64 v[36:37], v33 offset:16640
	ds_read_b64 v[38:39], v35
	s_waitcnt lgkmcnt(0)
	v_fma_f64 v[10:11], v[36:37], v[38:39], v[10:11]
.LBB43_517:
	s_or_b64 exec, exec, s[12:13]
	v_cmp_eq_u32_e64 s[12:13], 1, v34
	s_and_b64 s[16:17], s[94:95], s[12:13]
	s_barrier
	s_and_saveexec_b64 s[12:13], s[16:17]
; %bb.518:
	ds_write_b64 v35, v[10:11]
; %bb.519:
	s_or_b64 exec, exec, s[12:13]
	v_cmp_lt_u32_e64 s[12:13], 1, v34
	s_and_b64 s[16:17], s[94:95], s[12:13]
	s_waitcnt lgkmcnt(0)
	s_barrier
	s_and_saveexec_b64 s[12:13], s[16:17]
	s_cbranch_execz .LBB43_521
; %bb.520:
	ds_read_b64 v[36:37], v33 offset:17152
	ds_read_b64 v[38:39], v35
	s_waitcnt lgkmcnt(0)
	v_fma_f64 v[10:11], v[36:37], v[38:39], v[10:11]
.LBB43_521:
	s_or_b64 exec, exec, s[12:13]
	v_cmp_eq_u32_e64 s[12:13], 2, v34
	s_and_b64 s[16:17], s[94:95], s[12:13]
	s_barrier
	s_and_saveexec_b64 s[12:13], s[16:17]
; %bb.522:
	ds_write_b64 v35, v[10:11]
; %bb.523:
	s_or_b64 exec, exec, s[12:13]
	v_cmp_lt_u32_e64 s[12:13], 2, v34
	;; [unrolled: 21-line block ×29, first 2 shown]
	s_and_b64 s[16:17], s[94:95], s[12:13]
	s_waitcnt lgkmcnt(0)
	s_barrier
	s_and_saveexec_b64 s[12:13], s[16:17]
	s_cbranch_execz .LBB43_633
; %bb.632:
	ds_read_b64 v[36:37], v33 offset:31488
	ds_read_b64 v[38:39], v35
	s_waitcnt lgkmcnt(0)
	v_fma_f64 v[10:11], v[36:37], v[38:39], v[10:11]
.LBB43_633:
	s_or_b64 exec, exec, s[12:13]
	v_cmp_eq_u32_e64 s[12:13], 30, v34
	s_and_b64 s[16:17], s[94:95], s[12:13]
	s_barrier
	s_and_saveexec_b64 s[12:13], s[16:17]
; %bb.634:
	ds_write_b64 v35, v[10:11]
; %bb.635:
	s_or_b64 exec, exec, s[12:13]
	v_cmp_eq_u32_e64 s[12:13], 31, v34
	s_and_b64 s[12:13], s[94:95], s[12:13]
	s_waitcnt lgkmcnt(0)
	s_barrier
	s_and_saveexec_b64 s[16:17], s[12:13]
	s_cbranch_execz .LBB43_637
; %bb.636:
	ds_read_b64 v[33:34], v33 offset:32000
	ds_read_b64 v[36:37], v35
	s_waitcnt lgkmcnt(0)
	v_fma_f64 v[10:11], v[33:34], v[36:37], v[10:11]
.LBB43_637:
	s_or_b64 exec, exec, s[16:17]
	s_barrier
	s_and_saveexec_b64 s[16:17], s[12:13]
; %bb.638:
	ds_write_b64 v35, v[10:11]
; %bb.639:
	s_or_b64 exec, exec, s[16:17]
	s_waitcnt lgkmcnt(0)
	s_barrier
	s_barrier
	s_and_saveexec_b64 s[12:13], s[10:11]
; %bb.640:
	v_xor_b32_e32 v11, 0x80000000, v11
	ds_write_b64 v32, v[10:11] offset:256
; %bb.641:
	s_or_b64 exec, exec, s[12:13]
	s_waitcnt lgkmcnt(0)
	s_barrier
	s_barrier
	s_and_saveexec_b64 s[10:11], vcc
	s_cbranch_execz .LBB43_643
; %bb.642:
	s_mov_b64 s[12:13], 1.0
	v_mov_b32_e32 v10, s12
	v_mov_b32_e32 v11, s13
	s_movk_i32 s12, 0x4000
	v_add_u32_e64 v32, s12, 0
	ds_write2_b64 v32, v[10:11], v[10:11] offset0:32 offset1:97
.LBB43_643:
	s_or_b64 exec, exec, s[10:11]
	v_mov_b32_e32 v10, 0
	v_mov_b32_e32 v11, 0
	s_waitcnt lgkmcnt(0)
	s_barrier
	s_and_saveexec_b64 s[12:13], s[0:1]
	s_cbranch_execz .LBB43_647
; %bb.644:
	v_mul_u32_u24_e32 v32, 0x208, v15
	ds_read_b64 v[10:11], v12 offset:16656
	ds_read_b64 v[32:33], v32 offset:16640
	v_cmp_gt_u32_e64 s[10:11], 2, v14
	s_waitcnt lgkmcnt(0)
	v_fma_f64 v[10:11], v[10:11], v[32:33], 0
	s_and_saveexec_b64 s[16:17], s[10:11]
	s_cbranch_execz .LBB43_646
; %bb.645:
	v_lshlrev_b32_e32 v32, 3, v0
	v_mov_b32_e32 v34, 0
	ds_read_b64 v[32:33], v32 offset:17168
	ds_read_b64 v[34:35], v34 offset:16648
	s_waitcnt lgkmcnt(0)
	v_fma_f64 v[10:11], v[32:33], v[34:35], v[10:11]
.LBB43_646:
	s_or_b64 exec, exec, s[16:17]
	v_xor_b32_e32 v11, 0x80000000, v11
.LBB43_647:
	s_or_b64 exec, exec, s[12:13]
	s_and_saveexec_b64 s[10:11], s[38:39]
; %bb.648:
	ds_write_b64 v13, v[10:11]
; %bb.649:
	s_or_b64 exec, exec, s[10:11]
	s_waitcnt lgkmcnt(0)
	s_barrier
	s_and_saveexec_b64 s[10:11], s[36:37]
	s_cbranch_execz .LBB43_651
; %bb.650:
	v_mov_b32_e32 v32, 0
	ds_read_b64 v[32:33], v32 offset:17688
	ds_read_b64 v[34:35], v13
	s_waitcnt lgkmcnt(0)
	v_fma_f64 v[10:11], v[32:33], v[34:35], v[10:11]
.LBB43_651:
	s_or_b64 exec, exec, s[10:11]
	s_barrier
	s_and_saveexec_b64 s[10:11], s[36:37]
; %bb.652:
	ds_write_b64 v13, v[10:11]
; %bb.653:
	s_or_b64 exec, exec, s[10:11]
	s_waitcnt lgkmcnt(0)
	s_barrier
	s_barrier
	s_and_saveexec_b64 s[10:11], s[0:1]
; %bb.654:
	v_xor_b32_e32 v11, 0x80000000, v11
	ds_write_b64 v12, v[10:11] offset:16656
; %bb.655:
	s_or_b64 exec, exec, s[10:11]
	s_waitcnt lgkmcnt(0)
	s_barrier
	s_barrier
	s_and_saveexec_b64 s[10:11], vcc
	s_cbranch_execz .LBB43_657
; %bb.656:
	s_mov_b64 s[12:13], 1.0
	v_mov_b32_e32 v10, s12
	v_mov_b32_e32 v11, s13
	s_movk_i32 s12, 0x4000
	v_add_u32_e64 v32, s12, 0
	ds_write2_b64 v32, v[10:11], v[10:11] offset0:162 offset1:227
.LBB43_657:
	s_or_b64 exec, exec, s[10:11]
	v_mov_b32_e32 v10, 0
	v_mov_b32_e32 v11, 0
	s_waitcnt lgkmcnt(0)
	s_barrier
	s_and_saveexec_b64 s[12:13], s[2:3]
	s_cbranch_execz .LBB43_663
; %bb.658:
	v_mul_u32_u24_e32 v32, 0x208, v21
	ds_read_b64 v[10:11], v16 offset:16672
	ds_read_b64 v[33:34], v32 offset:16640
	v_cmp_gt_u32_e64 s[10:11], 12, v14
	s_waitcnt lgkmcnt(0)
	v_fma_f64 v[10:11], v[10:11], v[33:34], 0
	s_and_saveexec_b64 s[16:17], s[10:11]
	s_cbranch_execnz .LBB43_1136
; %bb.659:
	s_or_b64 exec, exec, s[16:17]
	v_cmp_gt_u32_e64 s[10:11], 8, v14
	s_and_saveexec_b64 s[16:17], s[10:11]
	s_cbranch_execnz .LBB43_1137
.LBB43_660:
	s_or_b64 exec, exec, s[16:17]
	v_cmp_gt_u32_e64 s[10:11], 4, v14
	s_and_saveexec_b64 s[16:17], s[10:11]
	s_cbranch_execz .LBB43_662
.LBB43_661:
	v_lshlrev_b32_e32 v32, 3, v0
	v_mov_b32_e32 v34, 0
	ds_read_b64 v[32:33], v32 offset:18208
	ds_read_b64 v[34:35], v34 offset:16664
	s_waitcnt lgkmcnt(0)
	v_fma_f64 v[10:11], v[32:33], v[34:35], v[10:11]
.LBB43_662:
	s_or_b64 exec, exec, s[16:17]
	v_xor_b32_e32 v11, 0x80000000, v11
.LBB43_663:
	s_or_b64 exec, exec, s[12:13]
	s_and_saveexec_b64 s[10:11], s[42:43]
; %bb.664:
	ds_write_b64 v19, v[10:11]
; %bb.665:
	s_or_b64 exec, exec, s[10:11]
	s_waitcnt lgkmcnt(0)
	s_barrier
	s_and_saveexec_b64 s[10:11], s[44:45]
	s_cbranch_execz .LBB43_667
; %bb.666:
	ds_read_b64 v[32:33], v17 offset:18720
	ds_read_b64 v[34:35], v19
	s_waitcnt lgkmcnt(0)
	v_fma_f64 v[10:11], v[32:33], v[34:35], v[10:11]
.LBB43_667:
	s_or_b64 exec, exec, s[10:11]
	s_barrier
	s_and_saveexec_b64 s[10:11], s[46:47]
; %bb.668:
	ds_write_b64 v19, v[10:11]
; %bb.669:
	s_or_b64 exec, exec, s[10:11]
	s_waitcnt lgkmcnt(0)
	s_barrier
	s_and_saveexec_b64 s[10:11], s[48:49]
	s_cbranch_execz .LBB43_671
; %bb.670:
	ds_read_b64 v[32:33], v17 offset:19232
	ds_read_b64 v[34:35], v19
	s_waitcnt lgkmcnt(0)
	v_fma_f64 v[10:11], v[32:33], v[34:35], v[10:11]
.LBB43_671:
	s_or_b64 exec, exec, s[10:11]
	s_barrier
	s_and_saveexec_b64 s[10:11], s[50:51]
; %bb.672:
	ds_write_b64 v19, v[10:11]
; %bb.673:
	s_or_b64 exec, exec, s[10:11]
	s_waitcnt lgkmcnt(0)
	s_barrier
	s_and_saveexec_b64 s[10:11], s[40:41]
	s_cbranch_execz .LBB43_675
; %bb.674:
	v_mov_b32_e32 v32, 0
	ds_read_b64 v[32:33], v32 offset:19768
	ds_read_b64 v[34:35], v19
	s_waitcnt lgkmcnt(0)
	v_fma_f64 v[10:11], v[32:33], v[34:35], v[10:11]
.LBB43_675:
	s_or_b64 exec, exec, s[10:11]
	s_barrier
	s_and_saveexec_b64 s[10:11], s[40:41]
; %bb.676:
	ds_write_b64 v19, v[10:11]
; %bb.677:
	s_or_b64 exec, exec, s[10:11]
	s_waitcnt lgkmcnt(0)
	s_barrier
	s_barrier
	s_and_saveexec_b64 s[10:11], s[2:3]
; %bb.678:
	v_xor_b32_e32 v11, 0x80000000, v11
	ds_write_b64 v16, v[10:11] offset:16672
; %bb.679:
	s_or_b64 exec, exec, s[10:11]
	s_waitcnt lgkmcnt(0)
	s_barrier
	s_barrier
	s_and_saveexec_b64 s[10:11], vcc
	s_cbranch_execz .LBB43_681
; %bb.680:
	s_mov_b64 s[12:13], 1.0
	v_mov_b32_e32 v10, s12
	v_mov_b32_e32 v11, s13
	s_movk_i32 s12, 0x4800
	v_add_u32_e64 v32, s12, 0
	ds_write2_b64 v32, v[10:11], v[10:11] offset0:36 offset1:101
.LBB43_681:
	s_or_b64 exec, exec, s[10:11]
	v_mov_b32_e32 v10, 0
	v_mov_b32_e32 v11, 0
	s_waitcnt lgkmcnt(0)
	s_barrier
	s_and_saveexec_b64 s[12:13], s[0:1]
	s_cbranch_execz .LBB43_685
; %bb.682:
	v_mul_u32_u24_e32 v32, 0x208, v15
	ds_read_b64 v[10:11], v12 offset:18736
	ds_read_b64 v[32:33], v32 offset:18720
	v_cmp_gt_u32_e64 s[10:11], 2, v14
	s_waitcnt lgkmcnt(0)
	v_fma_f64 v[10:11], v[10:11], v[32:33], 0
	s_and_saveexec_b64 s[16:17], s[10:11]
	s_cbranch_execz .LBB43_684
; %bb.683:
	v_lshlrev_b32_e32 v32, 3, v0
	v_mov_b32_e32 v34, 0
	ds_read_b64 v[32:33], v32 offset:19248
	ds_read_b64 v[34:35], v34 offset:18728
	s_waitcnt lgkmcnt(0)
	v_fma_f64 v[10:11], v[32:33], v[34:35], v[10:11]
.LBB43_684:
	s_or_b64 exec, exec, s[16:17]
	v_xor_b32_e32 v11, 0x80000000, v11
.LBB43_685:
	s_or_b64 exec, exec, s[12:13]
	s_and_saveexec_b64 s[10:11], s[38:39]
; %bb.686:
	ds_write_b64 v13, v[10:11]
; %bb.687:
	s_or_b64 exec, exec, s[10:11]
	s_waitcnt lgkmcnt(0)
	s_barrier
	s_and_saveexec_b64 s[10:11], s[36:37]
	s_cbranch_execz .LBB43_689
; %bb.688:
	v_mov_b32_e32 v32, 0
	ds_read_b64 v[32:33], v32 offset:19768
	ds_read_b64 v[34:35], v13
	s_waitcnt lgkmcnt(0)
	v_fma_f64 v[10:11], v[32:33], v[34:35], v[10:11]
.LBB43_689:
	s_or_b64 exec, exec, s[10:11]
	s_barrier
	s_and_saveexec_b64 s[10:11], s[36:37]
; %bb.690:
	ds_write_b64 v13, v[10:11]
; %bb.691:
	s_or_b64 exec, exec, s[10:11]
	s_waitcnt lgkmcnt(0)
	s_barrier
	s_barrier
	s_and_saveexec_b64 s[10:11], s[0:1]
; %bb.692:
	v_xor_b32_e32 v11, 0x80000000, v11
	ds_write_b64 v12, v[10:11] offset:18736
; %bb.693:
	s_or_b64 exec, exec, s[10:11]
	s_waitcnt lgkmcnt(0)
	s_barrier
	s_barrier
	s_and_saveexec_b64 s[10:11], vcc
	s_cbranch_execz .LBB43_695
; %bb.694:
	s_mov_b64 s[12:13], 1.0
	v_mov_b32_e32 v10, s12
	v_mov_b32_e32 v11, s13
	s_movk_i32 s12, 0x4800
	v_add_u32_e64 v32, s12, 0
	ds_write2_b64 v32, v[10:11], v[10:11] offset0:166 offset1:231
.LBB43_695:
	s_or_b64 exec, exec, s[10:11]
	v_mov_b32_e32 v10, 0
	v_mov_b32_e32 v11, 0
	s_waitcnt lgkmcnt(0)
	s_barrier
	s_and_saveexec_b64 s[12:13], s[14:15]
	s_cbranch_execz .LBB43_705
; %bb.696:
	v_mul_u32_u24_e32 v32, 0x208, v26
	ds_read_b64 v[10:11], v22 offset:16704
	ds_read_b64 v[33:34], v32 offset:16640
	v_cmp_gt_u32_e64 s[10:11], 56, v14
	s_waitcnt lgkmcnt(0)
	v_fma_f64 v[10:11], v[10:11], v[33:34], 0
	s_and_saveexec_b64 s[16:17], s[10:11]
	s_cbranch_execnz .LBB43_1138
; %bb.697:
	s_or_b64 exec, exec, s[16:17]
	v_cmp_gt_u32_e64 s[10:11], 48, v14
	s_and_saveexec_b64 s[16:17], s[10:11]
	s_cbranch_execnz .LBB43_1139
.LBB43_698:
	s_or_b64 exec, exec, s[16:17]
	v_cmp_gt_u32_e64 s[10:11], 40, v14
	s_and_saveexec_b64 s[16:17], s[10:11]
	s_cbranch_execnz .LBB43_1140
.LBB43_699:
	s_or_b64 exec, exec, s[16:17]
	v_cmp_gt_u32_e64 s[10:11], 32, v14
	s_and_saveexec_b64 s[16:17], s[10:11]
	s_cbranch_execnz .LBB43_1141
.LBB43_700:
	s_or_b64 exec, exec, s[16:17]
	v_cmp_gt_u32_e64 s[10:11], 24, v14
	s_and_saveexec_b64 s[16:17], s[10:11]
	s_cbranch_execnz .LBB43_1142
.LBB43_701:
	s_or_b64 exec, exec, s[16:17]
	v_cmp_gt_u32_e64 s[10:11], 16, v14
	s_and_saveexec_b64 s[16:17], s[10:11]
	s_cbranch_execnz .LBB43_1143
.LBB43_702:
	s_or_b64 exec, exec, s[16:17]
	v_cmp_gt_u32_e64 s[10:11], 8, v14
	s_and_saveexec_b64 s[16:17], s[10:11]
	s_cbranch_execz .LBB43_704
.LBB43_703:
	v_lshlrev_b32_e32 v32, 3, v0
	v_mov_b32_e32 v34, 0
	ds_read_b64 v[32:33], v32 offset:20288
	ds_read_b64 v[34:35], v34 offset:16696
	s_waitcnt lgkmcnt(0)
	v_fma_f64 v[10:11], v[32:33], v[34:35], v[10:11]
.LBB43_704:
	s_or_b64 exec, exec, s[16:17]
	v_xor_b32_e32 v11, 0x80000000, v11
.LBB43_705:
	s_or_b64 exec, exec, s[12:13]
	s_and_saveexec_b64 s[10:11], s[52:53]
; %bb.706:
	ds_write_b64 v24, v[10:11]
; %bb.707:
	s_or_b64 exec, exec, s[10:11]
	s_waitcnt lgkmcnt(0)
	s_barrier
	s_and_saveexec_b64 s[10:11], s[54:55]
	s_cbranch_execz .LBB43_709
; %bb.708:
	ds_read_b64 v[32:33], v23 offset:20800
	ds_read_b64 v[34:35], v24
	s_waitcnt lgkmcnt(0)
	v_fma_f64 v[10:11], v[32:33], v[34:35], v[10:11]
.LBB43_709:
	s_or_b64 exec, exec, s[10:11]
	s_barrier
	s_and_saveexec_b64 s[10:11], s[56:57]
; %bb.710:
	ds_write_b64 v24, v[10:11]
; %bb.711:
	s_or_b64 exec, exec, s[10:11]
	s_waitcnt lgkmcnt(0)
	s_barrier
	s_and_saveexec_b64 s[10:11], s[58:59]
	s_cbranch_execz .LBB43_713
; %bb.712:
	ds_read_b64 v[32:33], v23 offset:21312
	ds_read_b64 v[34:35], v24
	s_waitcnt lgkmcnt(0)
	v_fma_f64 v[10:11], v[32:33], v[34:35], v[10:11]
.LBB43_713:
	s_or_b64 exec, exec, s[10:11]
	s_barrier
	;; [unrolled: 17-line block ×6, first 2 shown]
	s_and_saveexec_b64 s[10:11], s[78:79]
; %bb.730:
	ds_write_b64 v24, v[10:11]
; %bb.731:
	s_or_b64 exec, exec, s[10:11]
	s_waitcnt lgkmcnt(0)
	s_barrier
	s_and_saveexec_b64 s[10:11], s[62:63]
	s_cbranch_execz .LBB43_733
; %bb.732:
	v_mov_b32_e32 v32, 0
	ds_read_b64 v[32:33], v32 offset:23928
	ds_read_b64 v[34:35], v24
	s_waitcnt lgkmcnt(0)
	v_fma_f64 v[10:11], v[32:33], v[34:35], v[10:11]
.LBB43_733:
	s_or_b64 exec, exec, s[10:11]
	s_barrier
	s_and_saveexec_b64 s[10:11], s[62:63]
; %bb.734:
	ds_write_b64 v24, v[10:11]
; %bb.735:
	s_or_b64 exec, exec, s[10:11]
	s_waitcnt lgkmcnt(0)
	s_barrier
	s_barrier
	s_and_saveexec_b64 s[10:11], s[14:15]
; %bb.736:
	v_xor_b32_e32 v11, 0x80000000, v11
	ds_write_b64 v22, v[10:11] offset:16704
; %bb.737:
	s_or_b64 exec, exec, s[10:11]
	s_waitcnt lgkmcnt(0)
	s_barrier
	s_barrier
	s_and_saveexec_b64 s[10:11], vcc
	s_cbranch_execz .LBB43_739
; %bb.738:
	s_mov_b64 s[12:13], 1.0
	v_mov_b32_e32 v10, s12
	v_mov_b32_e32 v11, s13
	s_movk_i32 s12, 0x5000
	v_add_u32_e64 v32, s12, 0
	ds_write2_b64 v32, v[10:11], v[10:11] offset0:40 offset1:105
.LBB43_739:
	s_or_b64 exec, exec, s[10:11]
	v_mov_b32_e32 v10, 0
	v_mov_b32_e32 v11, 0
	s_waitcnt lgkmcnt(0)
	s_barrier
	s_and_saveexec_b64 s[12:13], s[0:1]
	s_cbranch_execz .LBB43_743
; %bb.740:
	v_mul_u32_u24_e32 v32, 0x208, v15
	ds_read_b64 v[10:11], v12 offset:20816
	ds_read_b64 v[32:33], v32 offset:20800
	v_cmp_gt_u32_e64 s[10:11], 2, v14
	s_waitcnt lgkmcnt(0)
	v_fma_f64 v[10:11], v[10:11], v[32:33], 0
	s_and_saveexec_b64 s[16:17], s[10:11]
	s_cbranch_execz .LBB43_742
; %bb.741:
	v_lshlrev_b32_e32 v32, 3, v0
	v_mov_b32_e32 v34, 0
	ds_read_b64 v[32:33], v32 offset:21328
	ds_read_b64 v[34:35], v34 offset:20808
	s_waitcnt lgkmcnt(0)
	v_fma_f64 v[10:11], v[32:33], v[34:35], v[10:11]
.LBB43_742:
	s_or_b64 exec, exec, s[16:17]
	v_xor_b32_e32 v11, 0x80000000, v11
.LBB43_743:
	s_or_b64 exec, exec, s[12:13]
	s_and_saveexec_b64 s[10:11], s[38:39]
; %bb.744:
	ds_write_b64 v13, v[10:11]
; %bb.745:
	s_or_b64 exec, exec, s[10:11]
	s_waitcnt lgkmcnt(0)
	s_barrier
	s_and_saveexec_b64 s[10:11], s[36:37]
	s_cbranch_execz .LBB43_747
; %bb.746:
	v_mov_b32_e32 v32, 0
	ds_read_b64 v[32:33], v32 offset:21848
	ds_read_b64 v[34:35], v13
	s_waitcnt lgkmcnt(0)
	v_fma_f64 v[10:11], v[32:33], v[34:35], v[10:11]
.LBB43_747:
	s_or_b64 exec, exec, s[10:11]
	s_barrier
	s_and_saveexec_b64 s[10:11], s[36:37]
; %bb.748:
	ds_write_b64 v13, v[10:11]
; %bb.749:
	s_or_b64 exec, exec, s[10:11]
	s_waitcnt lgkmcnt(0)
	s_barrier
	s_barrier
	s_and_saveexec_b64 s[10:11], s[0:1]
; %bb.750:
	v_xor_b32_e32 v11, 0x80000000, v11
	ds_write_b64 v12, v[10:11] offset:20816
; %bb.751:
	s_or_b64 exec, exec, s[10:11]
	s_waitcnt lgkmcnt(0)
	s_barrier
	s_barrier
	s_and_saveexec_b64 s[10:11], vcc
	s_cbranch_execz .LBB43_753
; %bb.752:
	s_mov_b64 s[12:13], 1.0
	v_mov_b32_e32 v10, s12
	v_mov_b32_e32 v11, s13
	s_movk_i32 s12, 0x5000
	v_add_u32_e64 v32, s12, 0
	ds_write2_b64 v32, v[10:11], v[10:11] offset0:170 offset1:235
.LBB43_753:
	s_or_b64 exec, exec, s[10:11]
	v_mov_b32_e32 v10, 0
	v_mov_b32_e32 v11, 0
	s_waitcnt lgkmcnt(0)
	s_barrier
	s_and_saveexec_b64 s[12:13], s[2:3]
	s_cbranch_execz .LBB43_759
; %bb.754:
	v_mul_u32_u24_e32 v32, 0x208, v21
	ds_read_b64 v[10:11], v16 offset:20832
	ds_read_b64 v[33:34], v32 offset:20800
	v_cmp_gt_u32_e64 s[10:11], 12, v14
	s_waitcnt lgkmcnt(0)
	v_fma_f64 v[10:11], v[10:11], v[33:34], 0
	s_and_saveexec_b64 s[16:17], s[10:11]
	s_cbranch_execnz .LBB43_1144
; %bb.755:
	s_or_b64 exec, exec, s[16:17]
	v_cmp_gt_u32_e64 s[10:11], 8, v14
	s_and_saveexec_b64 s[16:17], s[10:11]
	s_cbranch_execnz .LBB43_1145
.LBB43_756:
	s_or_b64 exec, exec, s[16:17]
	v_cmp_gt_u32_e64 s[10:11], 4, v14
	s_and_saveexec_b64 s[16:17], s[10:11]
	s_cbranch_execz .LBB43_758
.LBB43_757:
	v_lshlrev_b32_e32 v32, 3, v0
	v_mov_b32_e32 v34, 0
	ds_read_b64 v[32:33], v32 offset:22368
	ds_read_b64 v[34:35], v34 offset:20824
	s_waitcnt lgkmcnt(0)
	v_fma_f64 v[10:11], v[32:33], v[34:35], v[10:11]
.LBB43_758:
	s_or_b64 exec, exec, s[16:17]
	v_xor_b32_e32 v11, 0x80000000, v11
.LBB43_759:
	s_or_b64 exec, exec, s[12:13]
	s_and_saveexec_b64 s[10:11], s[42:43]
; %bb.760:
	ds_write_b64 v19, v[10:11]
; %bb.761:
	s_or_b64 exec, exec, s[10:11]
	s_waitcnt lgkmcnt(0)
	s_barrier
	s_and_saveexec_b64 s[10:11], s[44:45]
	s_cbranch_execz .LBB43_763
; %bb.762:
	ds_read_b64 v[32:33], v17 offset:22880
	ds_read_b64 v[34:35], v19
	s_waitcnt lgkmcnt(0)
	v_fma_f64 v[10:11], v[32:33], v[34:35], v[10:11]
.LBB43_763:
	s_or_b64 exec, exec, s[10:11]
	s_barrier
	s_and_saveexec_b64 s[10:11], s[46:47]
; %bb.764:
	ds_write_b64 v19, v[10:11]
; %bb.765:
	s_or_b64 exec, exec, s[10:11]
	s_waitcnt lgkmcnt(0)
	s_barrier
	s_and_saveexec_b64 s[10:11], s[48:49]
	s_cbranch_execz .LBB43_767
; %bb.766:
	ds_read_b64 v[32:33], v17 offset:23392
	ds_read_b64 v[34:35], v19
	s_waitcnt lgkmcnt(0)
	v_fma_f64 v[10:11], v[32:33], v[34:35], v[10:11]
.LBB43_767:
	s_or_b64 exec, exec, s[10:11]
	s_barrier
	s_and_saveexec_b64 s[10:11], s[50:51]
; %bb.768:
	ds_write_b64 v19, v[10:11]
; %bb.769:
	s_or_b64 exec, exec, s[10:11]
	s_waitcnt lgkmcnt(0)
	s_barrier
	s_and_saveexec_b64 s[10:11], s[40:41]
	s_cbranch_execz .LBB43_771
; %bb.770:
	v_mov_b32_e32 v32, 0
	ds_read_b64 v[32:33], v32 offset:23928
	ds_read_b64 v[34:35], v19
	s_waitcnt lgkmcnt(0)
	v_fma_f64 v[10:11], v[32:33], v[34:35], v[10:11]
.LBB43_771:
	s_or_b64 exec, exec, s[10:11]
	s_barrier
	s_and_saveexec_b64 s[10:11], s[40:41]
; %bb.772:
	ds_write_b64 v19, v[10:11]
; %bb.773:
	s_or_b64 exec, exec, s[10:11]
	s_waitcnt lgkmcnt(0)
	s_barrier
	s_barrier
	s_and_saveexec_b64 s[10:11], s[2:3]
; %bb.774:
	v_xor_b32_e32 v11, 0x80000000, v11
	ds_write_b64 v16, v[10:11] offset:20832
; %bb.775:
	s_or_b64 exec, exec, s[10:11]
	s_waitcnt lgkmcnt(0)
	s_barrier
	s_barrier
	s_and_saveexec_b64 s[10:11], vcc
	s_cbranch_execz .LBB43_777
; %bb.776:
	s_mov_b64 s[12:13], 1.0
	v_mov_b32_e32 v10, s12
	v_mov_b32_e32 v11, s13
	s_movk_i32 s12, 0x5800
	v_add_u32_e64 v32, s12, 0
	ds_write2_b64 v32, v[10:11], v[10:11] offset0:44 offset1:109
.LBB43_777:
	s_or_b64 exec, exec, s[10:11]
	v_mov_b32_e32 v10, 0
	v_mov_b32_e32 v11, 0
	s_waitcnt lgkmcnt(0)
	s_barrier
	s_and_saveexec_b64 s[12:13], s[0:1]
	s_cbranch_execz .LBB43_781
; %bb.778:
	v_mul_u32_u24_e32 v32, 0x208, v15
	ds_read_b64 v[10:11], v12 offset:22896
	ds_read_b64 v[32:33], v32 offset:22880
	v_cmp_gt_u32_e64 s[10:11], 2, v14
	s_waitcnt lgkmcnt(0)
	v_fma_f64 v[10:11], v[10:11], v[32:33], 0
	s_and_saveexec_b64 s[16:17], s[10:11]
	s_cbranch_execz .LBB43_780
; %bb.779:
	v_lshlrev_b32_e32 v32, 3, v0
	v_mov_b32_e32 v34, 0
	ds_read_b64 v[32:33], v32 offset:23408
	ds_read_b64 v[34:35], v34 offset:22888
	s_waitcnt lgkmcnt(0)
	v_fma_f64 v[10:11], v[32:33], v[34:35], v[10:11]
.LBB43_780:
	s_or_b64 exec, exec, s[16:17]
	v_xor_b32_e32 v11, 0x80000000, v11
.LBB43_781:
	s_or_b64 exec, exec, s[12:13]
	s_and_saveexec_b64 s[10:11], s[38:39]
; %bb.782:
	ds_write_b64 v13, v[10:11]
; %bb.783:
	s_or_b64 exec, exec, s[10:11]
	s_waitcnt lgkmcnt(0)
	s_barrier
	s_and_saveexec_b64 s[10:11], s[36:37]
	s_cbranch_execz .LBB43_785
; %bb.784:
	v_mov_b32_e32 v32, 0
	ds_read_b64 v[32:33], v32 offset:23928
	ds_read_b64 v[34:35], v13
	s_waitcnt lgkmcnt(0)
	v_fma_f64 v[10:11], v[32:33], v[34:35], v[10:11]
.LBB43_785:
	s_or_b64 exec, exec, s[10:11]
	s_barrier
	s_and_saveexec_b64 s[10:11], s[36:37]
; %bb.786:
	ds_write_b64 v13, v[10:11]
; %bb.787:
	s_or_b64 exec, exec, s[10:11]
	s_waitcnt lgkmcnt(0)
	s_barrier
	s_barrier
	s_and_saveexec_b64 s[10:11], s[0:1]
; %bb.788:
	v_xor_b32_e32 v11, 0x80000000, v11
	ds_write_b64 v12, v[10:11] offset:22896
; %bb.789:
	s_or_b64 exec, exec, s[10:11]
	s_waitcnt lgkmcnt(0)
	s_barrier
	s_barrier
	s_and_saveexec_b64 s[10:11], vcc
	s_cbranch_execz .LBB43_791
; %bb.790:
	s_mov_b64 s[12:13], 1.0
	v_mov_b32_e32 v10, s12
	v_mov_b32_e32 v11, s13
	s_movk_i32 s12, 0x5800
	v_add_u32_e64 v32, s12, 0
	ds_write2_b64 v32, v[10:11], v[10:11] offset0:174 offset1:239
.LBB43_791:
	s_or_b64 exec, exec, s[10:11]
	v_mov_b32_e32 v10, 0
	v_mov_b32_e32 v11, 0
	s_waitcnt lgkmcnt(0)
	s_barrier
	s_and_saveexec_b64 s[12:13], s[8:9]
	s_cbranch_execz .LBB43_819
; %bb.792:
	v_mul_u32_u24_e32 v32, 0x208, v31
	ds_read_b64 v[10:11], v27 offset:16768
	ds_read_b64 v[33:34], v32 offset:16640
	s_movk_i32 s10, 0xf0
	v_cmp_gt_u32_e64 s[10:11], s10, v14
	s_waitcnt lgkmcnt(0)
	v_fma_f64 v[10:11], v[10:11], v[33:34], 0
	s_and_saveexec_b64 s[16:17], s[10:11]
	s_cbranch_execz .LBB43_794
; %bb.793:
	v_lshlrev_b32_e32 v33, 3, v31
	v_sub_u32_e32 v33, v32, v33
	v_lshl_add_u32 v33, v28, 3, v33
	ds_read_b64 v[33:34], v33 offset:17280
	ds_read_b64 v[35:36], v32 offset:16648
	s_waitcnt lgkmcnt(0)
	v_fma_f64 v[10:11], v[33:34], v[35:36], v[10:11]
.LBB43_794:
	s_or_b64 exec, exec, s[16:17]
	s_movk_i32 s10, 0xe0
	v_cmp_gt_u32_e64 s[10:11], s10, v14
	s_and_saveexec_b64 s[16:17], s[10:11]
	s_cbranch_execz .LBB43_796
; %bb.795:
	v_lshlrev_b32_e32 v33, 3, v31
	v_sub_u32_e32 v33, v32, v33
	v_lshl_add_u32 v33, v28, 3, v33
	ds_read_b64 v[33:34], v33 offset:17792
	ds_read_b64 v[35:36], v32 offset:16656
	s_waitcnt lgkmcnt(0)
	v_fma_f64 v[10:11], v[33:34], v[35:36], v[10:11]
.LBB43_796:
	s_or_b64 exec, exec, s[16:17]
	s_movk_i32 s10, 0xd0
	v_cmp_gt_u32_e64 s[10:11], s10, v14
	;; [unrolled: 14-line block ×7, first 2 shown]
	s_and_saveexec_b64 s[16:17], s[10:11]
	s_cbranch_execz .LBB43_808
; %bb.807:
	ds_read_b64 v[33:34], v27 offset:20864
	ds_read_b64 v[35:36], v32 offset:16704
	s_waitcnt lgkmcnt(0)
	v_fma_f64 v[10:11], v[33:34], v[35:36], v[10:11]
.LBB43_808:
	s_or_b64 exec, exec, s[16:17]
	s_movk_i32 s10, 0x70
	v_cmp_gt_u32_e64 s[10:11], s10, v14
	s_and_saveexec_b64 s[16:17], s[10:11]
	s_cbranch_execz .LBB43_810
; %bb.809:
	v_lshlrev_b32_e32 v31, 3, v28
	v_lshl_add_u32 v31, v30, 3, v31
	ds_read_b64 v[33:34], v31 offset:21376
	ds_read_b64 v[35:36], v32 offset:16712
	s_waitcnt lgkmcnt(0)
	v_fma_f64 v[10:11], v[33:34], v[35:36], v[10:11]
.LBB43_810:
	s_or_b64 exec, exec, s[16:17]
	s_movk_i32 s10, 0x60
	v_cmp_gt_u32_e64 s[10:11], s10, v14
	s_and_saveexec_b64 s[16:17], s[10:11]
	s_cbranch_execz .LBB43_812
; %bb.811:
	v_lshlrev_b32_e32 v31, 3, v28
	v_lshl_add_u32 v31, v30, 3, v31
	ds_read_b64 v[33:34], v31 offset:21888
	ds_read_b64 v[35:36], v32 offset:16720
	s_waitcnt lgkmcnt(0)
	v_fma_f64 v[10:11], v[33:34], v[35:36], v[10:11]
.LBB43_812:
	s_or_b64 exec, exec, s[16:17]
	s_movk_i32 s10, 0x50
	v_cmp_gt_u32_e64 s[10:11], s10, v14
	s_and_saveexec_b64 s[16:17], s[10:11]
	s_cbranch_execnz .LBB43_1146
; %bb.813:
	s_or_b64 exec, exec, s[16:17]
	v_cmp_gt_u32_e64 s[10:11], 64, v14
	s_and_saveexec_b64 s[16:17], s[10:11]
	s_cbranch_execnz .LBB43_1147
.LBB43_814:
	s_or_b64 exec, exec, s[16:17]
	v_cmp_gt_u32_e64 s[10:11], 48, v14
	s_and_saveexec_b64 s[16:17], s[10:11]
	s_cbranch_execnz .LBB43_1148
.LBB43_815:
	s_or_b64 exec, exec, s[16:17]
	v_cmp_gt_u32_e64 s[10:11], 32, v14
	s_and_saveexec_b64 s[16:17], s[10:11]
	s_cbranch_execnz .LBB43_1149
.LBB43_816:
	s_or_b64 exec, exec, s[16:17]
	v_cmp_gt_u32_e64 s[10:11], 16, v14
	s_and_saveexec_b64 s[16:17], s[10:11]
	s_cbranch_execz .LBB43_818
.LBB43_817:
	v_lshlrev_b32_e32 v30, 3, v0
	v_mov_b32_e32 v32, 0
	ds_read_b64 v[30:31], v30 offset:24448
	ds_read_b64 v[32:33], v32 offset:16760
	s_waitcnt lgkmcnt(0)
	v_fma_f64 v[10:11], v[30:31], v[32:33], v[10:11]
.LBB43_818:
	s_or_b64 exec, exec, s[16:17]
	v_xor_b32_e32 v11, 0x80000000, v11
.LBB43_819:
	s_or_b64 exec, exec, s[12:13]
	s_mov_b64 s[10:11], exec
	v_readlane_b32 s12, v41, 0
	v_readlane_b32 s13, v41, 1
	s_and_b64 s[12:13], s[10:11], s[12:13]
	s_mov_b64 exec, s[12:13]
; %bb.820:
	ds_write_b64 v29, v[10:11]
; %bb.821:
	s_or_b64 exec, exec, s[10:11]
	s_waitcnt lgkmcnt(0)
	s_barrier
	s_mov_b64 s[10:11], exec
	v_readlane_b32 s12, v41, 2
	v_readlane_b32 s13, v41, 3
	s_and_b64 s[12:13], s[10:11], s[12:13]
	s_mov_b64 exec, s[12:13]
	s_cbranch_execz .LBB43_823
; %bb.822:
	v_lshlrev_b32_e32 v30, 3, v28
	ds_read_b64 v[30:31], v30 offset:24960
	ds_read_b64 v[32:33], v29
	s_waitcnt lgkmcnt(0)
	v_fma_f64 v[10:11], v[30:31], v[32:33], v[10:11]
.LBB43_823:
	s_or_b64 exec, exec, s[10:11]
	s_barrier
	s_mov_b64 s[10:11], exec
	v_readlane_b32 s12, v41, 4
	v_readlane_b32 s13, v41, 5
	s_and_b64 s[12:13], s[10:11], s[12:13]
	s_mov_b64 exec, s[12:13]
; %bb.824:
	ds_write_b64 v29, v[10:11]
; %bb.825:
	s_or_b64 exec, exec, s[10:11]
	s_waitcnt lgkmcnt(0)
	s_barrier
	s_mov_b64 s[10:11], exec
	v_readlane_b32 s12, v41, 6
	v_readlane_b32 s13, v41, 7
	s_and_b64 s[12:13], s[10:11], s[12:13]
	s_mov_b64 exec, s[12:13]
	s_cbranch_execz .LBB43_827
; %bb.826:
	v_lshlrev_b32_e32 v30, 3, v28
	ds_read_b64 v[30:31], v30 offset:25472
	ds_read_b64 v[32:33], v29
	s_waitcnt lgkmcnt(0)
	v_fma_f64 v[10:11], v[30:31], v[32:33], v[10:11]
.LBB43_827:
	s_or_b64 exec, exec, s[10:11]
	s_barrier
	;; [unrolled: 26-line block ×12, first 2 shown]
	s_mov_b64 s[10:11], exec
	v_readlane_b32 s12, v41, 48
	v_readlane_b32 s13, v41, 49
	s_and_b64 s[12:13], s[10:11], s[12:13]
	s_mov_b64 exec, s[12:13]
; %bb.868:
	ds_write_b64 v29, v[10:11]
; %bb.869:
	s_or_b64 exec, exec, s[10:11]
	s_waitcnt lgkmcnt(0)
	s_barrier
	s_and_saveexec_b64 s[10:11], s[84:85]
	s_cbranch_execz .LBB43_871
; %bb.870:
	v_lshlrev_b32_e32 v30, 3, v28
	ds_read_b64 v[30:31], v30 offset:31104
	ds_read_b64 v[32:33], v29
	s_waitcnt lgkmcnt(0)
	v_fma_f64 v[10:11], v[30:31], v[32:33], v[10:11]
.LBB43_871:
	s_or_b64 exec, exec, s[10:11]
	s_barrier
	s_and_saveexec_b64 s[10:11], s[86:87]
; %bb.872:
	ds_write_b64 v29, v[10:11]
; %bb.873:
	s_or_b64 exec, exec, s[10:11]
	s_waitcnt lgkmcnt(0)
	s_barrier
	s_and_saveexec_b64 s[10:11], s[88:89]
	s_cbranch_execz .LBB43_875
; %bb.874:
	v_lshlrev_b32_e32 v28, 3, v28
	ds_read_b64 v[30:31], v28 offset:31616
	ds_read_b64 v[32:33], v29
	s_waitcnt lgkmcnt(0)
	v_fma_f64 v[10:11], v[30:31], v[32:33], v[10:11]
.LBB43_875:
	s_or_b64 exec, exec, s[10:11]
	s_barrier
	s_and_saveexec_b64 s[10:11], s[92:93]
; %bb.876:
	ds_write_b64 v29, v[10:11]
; %bb.877:
	s_or_b64 exec, exec, s[10:11]
	s_waitcnt lgkmcnt(0)
	s_barrier
	s_and_saveexec_b64 s[10:11], s[90:91]
	s_cbranch_execz .LBB43_879
; %bb.878:
	v_mov_b32_e32 v28, 0
	ds_read_b64 v[30:31], v28 offset:32248
	ds_read_b64 v[32:33], v29
	s_waitcnt lgkmcnt(0)
	v_fma_f64 v[10:11], v[30:31], v[32:33], v[10:11]
.LBB43_879:
	s_or_b64 exec, exec, s[10:11]
	s_barrier
	s_and_saveexec_b64 s[10:11], s[90:91]
; %bb.880:
	ds_write_b64 v29, v[10:11]
; %bb.881:
	s_or_b64 exec, exec, s[10:11]
	s_waitcnt lgkmcnt(0)
	s_barrier
	s_barrier
	s_and_saveexec_b64 s[10:11], s[8:9]
; %bb.882:
	v_xor_b32_e32 v11, 0x80000000, v11
	ds_write_b64 v27, v[10:11] offset:16768
; %bb.883:
	s_or_b64 exec, exec, s[10:11]
	s_waitcnt lgkmcnt(0)
	s_barrier
	s_barrier
	s_and_saveexec_b64 s[8:9], vcc
	s_cbranch_execz .LBB43_885
; %bb.884:
	s_mov_b64 s[10:11], 1.0
	v_mov_b32_e32 v10, s10
	v_mov_b32_e32 v11, s11
	s_movk_i32 s10, 0x6000
	v_add_u32_e64 v27, s10, 0
	ds_write2_b64 v27, v[10:11], v[10:11] offset0:48 offset1:113
.LBB43_885:
	s_or_b64 exec, exec, s[8:9]
	v_mov_b32_e32 v10, 0
	v_mov_b32_e32 v11, 0
	s_waitcnt lgkmcnt(0)
	s_barrier
	s_and_saveexec_b64 s[10:11], s[0:1]
	s_cbranch_execz .LBB43_889
; %bb.886:
	v_mul_u32_u24_e32 v27, 0x208, v15
	ds_read_b64 v[10:11], v12 offset:24976
	ds_read_b64 v[27:28], v27 offset:24960
	v_cmp_gt_u32_e64 s[8:9], 2, v14
	s_waitcnt lgkmcnt(0)
	v_fma_f64 v[10:11], v[10:11], v[27:28], 0
	s_and_saveexec_b64 s[12:13], s[8:9]
	s_cbranch_execz .LBB43_888
; %bb.887:
	v_lshlrev_b32_e32 v27, 3, v0
	v_mov_b32_e32 v29, 0
	ds_read_b64 v[27:28], v27 offset:25488
	ds_read_b64 v[29:30], v29 offset:24968
	s_waitcnt lgkmcnt(0)
	v_fma_f64 v[10:11], v[27:28], v[29:30], v[10:11]
.LBB43_888:
	s_or_b64 exec, exec, s[12:13]
	v_xor_b32_e32 v11, 0x80000000, v11
.LBB43_889:
	s_or_b64 exec, exec, s[10:11]
	s_and_saveexec_b64 s[8:9], s[38:39]
; %bb.890:
	ds_write_b64 v13, v[10:11]
; %bb.891:
	s_or_b64 exec, exec, s[8:9]
	s_waitcnt lgkmcnt(0)
	s_barrier
	s_and_saveexec_b64 s[8:9], s[36:37]
	s_cbranch_execz .LBB43_893
; %bb.892:
	v_mov_b32_e32 v27, 0
	ds_read_b64 v[27:28], v27 offset:26008
	ds_read_b64 v[29:30], v13
	s_waitcnt lgkmcnt(0)
	v_fma_f64 v[10:11], v[27:28], v[29:30], v[10:11]
.LBB43_893:
	s_or_b64 exec, exec, s[8:9]
	s_barrier
	s_and_saveexec_b64 s[8:9], s[36:37]
; %bb.894:
	ds_write_b64 v13, v[10:11]
; %bb.895:
	s_or_b64 exec, exec, s[8:9]
	s_waitcnt lgkmcnt(0)
	s_barrier
	s_barrier
	s_and_saveexec_b64 s[8:9], s[0:1]
; %bb.896:
	v_xor_b32_e32 v11, 0x80000000, v11
	ds_write_b64 v12, v[10:11] offset:24976
; %bb.897:
	s_or_b64 exec, exec, s[8:9]
	s_waitcnt lgkmcnt(0)
	s_barrier
	s_barrier
	s_and_saveexec_b64 s[8:9], vcc
	s_cbranch_execz .LBB43_899
; %bb.898:
	s_mov_b64 s[10:11], 1.0
	v_mov_b32_e32 v10, s10
	v_mov_b32_e32 v11, s11
	s_movk_i32 s10, 0x6000
	v_add_u32_e64 v27, s10, 0
	ds_write2_b64 v27, v[10:11], v[10:11] offset0:178 offset1:243
.LBB43_899:
	s_or_b64 exec, exec, s[8:9]
	v_mov_b32_e32 v10, 0
	v_mov_b32_e32 v11, 0
	s_waitcnt lgkmcnt(0)
	s_barrier
	s_and_saveexec_b64 s[10:11], s[2:3]
	s_cbranch_execz .LBB43_905
; %bb.900:
	v_mul_u32_u24_e32 v27, 0x208, v21
	ds_read_b64 v[10:11], v16 offset:24992
	ds_read_b64 v[28:29], v27 offset:24960
	v_cmp_gt_u32_e64 s[8:9], 12, v14
	s_waitcnt lgkmcnt(0)
	v_fma_f64 v[10:11], v[10:11], v[28:29], 0
	s_and_saveexec_b64 s[12:13], s[8:9]
	s_cbranch_execnz .LBB43_1150
; %bb.901:
	s_or_b64 exec, exec, s[12:13]
	v_cmp_gt_u32_e64 s[8:9], 8, v14
	s_and_saveexec_b64 s[12:13], s[8:9]
	s_cbranch_execnz .LBB43_1151
.LBB43_902:
	s_or_b64 exec, exec, s[12:13]
	v_cmp_gt_u32_e64 s[8:9], 4, v14
	s_and_saveexec_b64 s[12:13], s[8:9]
	s_cbranch_execz .LBB43_904
.LBB43_903:
	v_lshlrev_b32_e32 v27, 3, v0
	v_mov_b32_e32 v29, 0
	ds_read_b64 v[27:28], v27 offset:26528
	ds_read_b64 v[29:30], v29 offset:24984
	s_waitcnt lgkmcnt(0)
	v_fma_f64 v[10:11], v[27:28], v[29:30], v[10:11]
.LBB43_904:
	s_or_b64 exec, exec, s[12:13]
	v_xor_b32_e32 v11, 0x80000000, v11
.LBB43_905:
	s_or_b64 exec, exec, s[10:11]
	s_and_saveexec_b64 s[8:9], s[42:43]
; %bb.906:
	ds_write_b64 v19, v[10:11]
; %bb.907:
	s_or_b64 exec, exec, s[8:9]
	s_waitcnt lgkmcnt(0)
	s_barrier
	s_and_saveexec_b64 s[8:9], s[44:45]
	s_cbranch_execz .LBB43_909
; %bb.908:
	ds_read_b64 v[27:28], v17 offset:27040
	ds_read_b64 v[29:30], v19
	s_waitcnt lgkmcnt(0)
	v_fma_f64 v[10:11], v[27:28], v[29:30], v[10:11]
.LBB43_909:
	s_or_b64 exec, exec, s[8:9]
	s_barrier
	s_and_saveexec_b64 s[8:9], s[46:47]
; %bb.910:
	ds_write_b64 v19, v[10:11]
; %bb.911:
	s_or_b64 exec, exec, s[8:9]
	s_waitcnt lgkmcnt(0)
	s_barrier
	s_and_saveexec_b64 s[8:9], s[48:49]
	s_cbranch_execz .LBB43_913
; %bb.912:
	ds_read_b64 v[27:28], v17 offset:27552
	ds_read_b64 v[29:30], v19
	s_waitcnt lgkmcnt(0)
	v_fma_f64 v[10:11], v[27:28], v[29:30], v[10:11]
.LBB43_913:
	s_or_b64 exec, exec, s[8:9]
	s_barrier
	s_and_saveexec_b64 s[8:9], s[50:51]
; %bb.914:
	ds_write_b64 v19, v[10:11]
; %bb.915:
	s_or_b64 exec, exec, s[8:9]
	s_waitcnt lgkmcnt(0)
	s_barrier
	s_and_saveexec_b64 s[8:9], s[40:41]
	s_cbranch_execz .LBB43_917
; %bb.916:
	v_mov_b32_e32 v27, 0
	ds_read_b64 v[27:28], v27 offset:28088
	ds_read_b64 v[29:30], v19
	s_waitcnt lgkmcnt(0)
	v_fma_f64 v[10:11], v[27:28], v[29:30], v[10:11]
.LBB43_917:
	s_or_b64 exec, exec, s[8:9]
	s_barrier
	s_and_saveexec_b64 s[8:9], s[40:41]
; %bb.918:
	ds_write_b64 v19, v[10:11]
; %bb.919:
	s_or_b64 exec, exec, s[8:9]
	s_waitcnt lgkmcnt(0)
	s_barrier
	s_barrier
	s_and_saveexec_b64 s[8:9], s[2:3]
; %bb.920:
	v_xor_b32_e32 v11, 0x80000000, v11
	ds_write_b64 v16, v[10:11] offset:24992
; %bb.921:
	s_or_b64 exec, exec, s[8:9]
	s_waitcnt lgkmcnt(0)
	s_barrier
	s_barrier
	s_and_saveexec_b64 s[8:9], vcc
	s_cbranch_execz .LBB43_923
; %bb.922:
	s_mov_b64 s[10:11], 1.0
	v_mov_b32_e32 v10, s10
	v_mov_b32_e32 v11, s11
	s_movk_i32 s10, 0x6800
	v_add_u32_e64 v27, s10, 0
	ds_write2_b64 v27, v[10:11], v[10:11] offset0:52 offset1:117
.LBB43_923:
	s_or_b64 exec, exec, s[8:9]
	v_mov_b32_e32 v10, 0
	v_mov_b32_e32 v11, 0
	s_waitcnt lgkmcnt(0)
	s_barrier
	s_and_saveexec_b64 s[10:11], s[0:1]
	s_cbranch_execz .LBB43_927
; %bb.924:
	v_mul_u32_u24_e32 v27, 0x208, v15
	ds_read_b64 v[10:11], v12 offset:27056
	ds_read_b64 v[27:28], v27 offset:27040
	v_cmp_gt_u32_e64 s[8:9], 2, v14
	s_waitcnt lgkmcnt(0)
	v_fma_f64 v[10:11], v[10:11], v[27:28], 0
	s_and_saveexec_b64 s[12:13], s[8:9]
	s_cbranch_execz .LBB43_926
; %bb.925:
	v_lshlrev_b32_e32 v27, 3, v0
	v_mov_b32_e32 v29, 0
	ds_read_b64 v[27:28], v27 offset:27568
	ds_read_b64 v[29:30], v29 offset:27048
	s_waitcnt lgkmcnt(0)
	v_fma_f64 v[10:11], v[27:28], v[29:30], v[10:11]
.LBB43_926:
	s_or_b64 exec, exec, s[12:13]
	v_xor_b32_e32 v11, 0x80000000, v11
.LBB43_927:
	s_or_b64 exec, exec, s[10:11]
	s_and_saveexec_b64 s[8:9], s[38:39]
; %bb.928:
	ds_write_b64 v13, v[10:11]
; %bb.929:
	s_or_b64 exec, exec, s[8:9]
	s_waitcnt lgkmcnt(0)
	s_barrier
	s_and_saveexec_b64 s[8:9], s[36:37]
	s_cbranch_execz .LBB43_931
; %bb.930:
	v_mov_b32_e32 v27, 0
	ds_read_b64 v[27:28], v27 offset:28088
	ds_read_b64 v[29:30], v13
	s_waitcnt lgkmcnt(0)
	v_fma_f64 v[10:11], v[27:28], v[29:30], v[10:11]
.LBB43_931:
	s_or_b64 exec, exec, s[8:9]
	s_barrier
	s_and_saveexec_b64 s[8:9], s[36:37]
; %bb.932:
	ds_write_b64 v13, v[10:11]
; %bb.933:
	s_or_b64 exec, exec, s[8:9]
	s_waitcnt lgkmcnt(0)
	s_barrier
	s_barrier
	s_and_saveexec_b64 s[8:9], s[0:1]
; %bb.934:
	v_xor_b32_e32 v11, 0x80000000, v11
	ds_write_b64 v12, v[10:11] offset:27056
; %bb.935:
	s_or_b64 exec, exec, s[8:9]
	s_waitcnt lgkmcnt(0)
	s_barrier
	s_barrier
	s_and_saveexec_b64 s[8:9], vcc
	s_cbranch_execz .LBB43_937
; %bb.936:
	s_mov_b64 s[10:11], 1.0
	v_mov_b32_e32 v10, s10
	v_mov_b32_e32 v11, s11
	s_movk_i32 s10, 0x6800
	v_add_u32_e64 v27, s10, 0
	ds_write2_b64 v27, v[10:11], v[10:11] offset0:182 offset1:247
.LBB43_937:
	s_or_b64 exec, exec, s[8:9]
	v_mov_b32_e32 v10, 0
	v_mov_b32_e32 v11, 0
	s_waitcnt lgkmcnt(0)
	s_barrier
	s_and_saveexec_b64 s[10:11], s[14:15]
	s_cbranch_execz .LBB43_947
; %bb.938:
	v_mul_u32_u24_e32 v27, 0x208, v26
	ds_read_b64 v[10:11], v22 offset:25024
	ds_read_b64 v[28:29], v27 offset:24960
	v_cmp_gt_u32_e64 s[8:9], 56, v14
	s_waitcnt lgkmcnt(0)
	v_fma_f64 v[10:11], v[10:11], v[28:29], 0
	s_and_saveexec_b64 s[12:13], s[8:9]
	s_cbranch_execnz .LBB43_1152
; %bb.939:
	s_or_b64 exec, exec, s[12:13]
	v_cmp_gt_u32_e64 s[8:9], 48, v14
	s_and_saveexec_b64 s[12:13], s[8:9]
	s_cbranch_execnz .LBB43_1153
.LBB43_940:
	s_or_b64 exec, exec, s[12:13]
	v_cmp_gt_u32_e64 s[8:9], 40, v14
	s_and_saveexec_b64 s[12:13], s[8:9]
	s_cbranch_execnz .LBB43_1154
.LBB43_941:
	s_or_b64 exec, exec, s[12:13]
	v_cmp_gt_u32_e64 s[8:9], 32, v14
	s_and_saveexec_b64 s[12:13], s[8:9]
	s_cbranch_execnz .LBB43_1155
.LBB43_942:
	s_or_b64 exec, exec, s[12:13]
	v_cmp_gt_u32_e64 s[8:9], 24, v14
	s_and_saveexec_b64 s[12:13], s[8:9]
	s_cbranch_execnz .LBB43_1156
.LBB43_943:
	s_or_b64 exec, exec, s[12:13]
	v_cmp_gt_u32_e64 s[8:9], 16, v14
	s_and_saveexec_b64 s[12:13], s[8:9]
	s_cbranch_execnz .LBB43_1157
.LBB43_944:
	s_or_b64 exec, exec, s[12:13]
	v_cmp_gt_u32_e64 s[8:9], 8, v14
	s_and_saveexec_b64 s[12:13], s[8:9]
	s_cbranch_execz .LBB43_946
.LBB43_945:
	v_lshlrev_b32_e32 v25, 3, v0
	v_mov_b32_e32 v27, 0
	ds_read_b64 v[25:26], v25 offset:28608
	ds_read_b64 v[27:28], v27 offset:25016
	s_waitcnt lgkmcnt(0)
	v_fma_f64 v[10:11], v[25:26], v[27:28], v[10:11]
.LBB43_946:
	s_or_b64 exec, exec, s[12:13]
	v_xor_b32_e32 v11, 0x80000000, v11
.LBB43_947:
	s_or_b64 exec, exec, s[10:11]
	s_and_saveexec_b64 s[8:9], s[52:53]
; %bb.948:
	ds_write_b64 v24, v[10:11]
; %bb.949:
	s_or_b64 exec, exec, s[8:9]
	s_waitcnt lgkmcnt(0)
	s_barrier
	s_and_saveexec_b64 s[8:9], s[54:55]
	s_cbranch_execz .LBB43_951
; %bb.950:
	ds_read_b64 v[25:26], v23 offset:29120
	ds_read_b64 v[27:28], v24
	s_waitcnt lgkmcnt(0)
	v_fma_f64 v[10:11], v[25:26], v[27:28], v[10:11]
.LBB43_951:
	s_or_b64 exec, exec, s[8:9]
	s_barrier
	s_and_saveexec_b64 s[8:9], s[56:57]
; %bb.952:
	ds_write_b64 v24, v[10:11]
; %bb.953:
	s_or_b64 exec, exec, s[8:9]
	s_waitcnt lgkmcnt(0)
	s_barrier
	s_and_saveexec_b64 s[8:9], s[58:59]
	s_cbranch_execz .LBB43_955
; %bb.954:
	ds_read_b64 v[25:26], v23 offset:29632
	ds_read_b64 v[27:28], v24
	s_waitcnt lgkmcnt(0)
	v_fma_f64 v[10:11], v[25:26], v[27:28], v[10:11]
.LBB43_955:
	s_or_b64 exec, exec, s[8:9]
	s_barrier
	;; [unrolled: 17-line block ×6, first 2 shown]
	s_and_saveexec_b64 s[8:9], s[78:79]
; %bb.972:
	ds_write_b64 v24, v[10:11]
; %bb.973:
	s_or_b64 exec, exec, s[8:9]
	s_waitcnt lgkmcnt(0)
	s_barrier
	s_and_saveexec_b64 s[8:9], s[62:63]
	s_cbranch_execz .LBB43_975
; %bb.974:
	v_mov_b32_e32 v23, 0
	ds_read_b64 v[25:26], v23 offset:32248
	ds_read_b64 v[27:28], v24
	s_waitcnt lgkmcnt(0)
	v_fma_f64 v[10:11], v[25:26], v[27:28], v[10:11]
.LBB43_975:
	s_or_b64 exec, exec, s[8:9]
	s_barrier
	s_and_saveexec_b64 s[8:9], s[62:63]
; %bb.976:
	ds_write_b64 v24, v[10:11]
; %bb.977:
	s_or_b64 exec, exec, s[8:9]
	s_waitcnt lgkmcnt(0)
	s_barrier
	s_barrier
	s_and_saveexec_b64 s[8:9], s[14:15]
; %bb.978:
	v_xor_b32_e32 v11, 0x80000000, v11
	ds_write_b64 v22, v[10:11] offset:25024
; %bb.979:
	s_or_b64 exec, exec, s[8:9]
	s_waitcnt lgkmcnt(0)
	s_barrier
	s_barrier
	s_and_saveexec_b64 s[8:9], vcc
	s_cbranch_execz .LBB43_981
; %bb.980:
	s_mov_b64 s[10:11], 1.0
	v_mov_b32_e32 v10, s10
	v_mov_b32_e32 v11, s11
	s_movk_i32 s10, 0x7000
	v_add_u32_e64 v22, s10, 0
	ds_write2_b64 v22, v[10:11], v[10:11] offset0:56 offset1:121
.LBB43_981:
	s_or_b64 exec, exec, s[8:9]
	v_mov_b32_e32 v10, 0
	v_mov_b32_e32 v11, 0
	s_waitcnt lgkmcnt(0)
	s_barrier
	s_and_saveexec_b64 s[10:11], s[0:1]
	s_cbranch_execz .LBB43_985
; %bb.982:
	v_mul_u32_u24_e32 v22, 0x208, v15
	ds_read_b64 v[10:11], v12 offset:29136
	ds_read_b64 v[22:23], v22 offset:29120
	v_cmp_gt_u32_e64 s[8:9], 2, v14
	s_waitcnt lgkmcnt(0)
	v_fma_f64 v[10:11], v[10:11], v[22:23], 0
	s_and_saveexec_b64 s[12:13], s[8:9]
	s_cbranch_execz .LBB43_984
; %bb.983:
	v_lshlrev_b32_e32 v22, 3, v0
	v_mov_b32_e32 v24, 0
	ds_read_b64 v[22:23], v22 offset:29648
	ds_read_b64 v[24:25], v24 offset:29128
	s_waitcnt lgkmcnt(0)
	v_fma_f64 v[10:11], v[22:23], v[24:25], v[10:11]
.LBB43_984:
	s_or_b64 exec, exec, s[12:13]
	v_xor_b32_e32 v11, 0x80000000, v11
.LBB43_985:
	s_or_b64 exec, exec, s[10:11]
	s_and_saveexec_b64 s[8:9], s[38:39]
; %bb.986:
	ds_write_b64 v13, v[10:11]
; %bb.987:
	s_or_b64 exec, exec, s[8:9]
	s_waitcnt lgkmcnt(0)
	s_barrier
	s_and_saveexec_b64 s[8:9], s[36:37]
	s_cbranch_execz .LBB43_989
; %bb.988:
	v_mov_b32_e32 v22, 0
	ds_read_b64 v[22:23], v22 offset:30168
	ds_read_b64 v[24:25], v13
	s_waitcnt lgkmcnt(0)
	v_fma_f64 v[10:11], v[22:23], v[24:25], v[10:11]
.LBB43_989:
	s_or_b64 exec, exec, s[8:9]
	s_barrier
	s_and_saveexec_b64 s[8:9], s[36:37]
; %bb.990:
	ds_write_b64 v13, v[10:11]
; %bb.991:
	s_or_b64 exec, exec, s[8:9]
	s_waitcnt lgkmcnt(0)
	s_barrier
	s_barrier
	s_and_saveexec_b64 s[8:9], s[0:1]
; %bb.992:
	v_xor_b32_e32 v11, 0x80000000, v11
	ds_write_b64 v12, v[10:11] offset:29136
; %bb.993:
	s_or_b64 exec, exec, s[8:9]
	s_waitcnt lgkmcnt(0)
	s_barrier
	s_barrier
	s_and_saveexec_b64 s[8:9], vcc
	s_cbranch_execz .LBB43_995
; %bb.994:
	s_mov_b64 s[10:11], 1.0
	v_mov_b32_e32 v10, s10
	v_mov_b32_e32 v11, s11
	s_movk_i32 s10, 0x7000
	v_add_u32_e64 v22, s10, 0
	ds_write2_b64 v22, v[10:11], v[10:11] offset0:186 offset1:251
.LBB43_995:
	s_or_b64 exec, exec, s[8:9]
	v_mov_b32_e32 v10, 0
	v_mov_b32_e32 v11, 0
	s_waitcnt lgkmcnt(0)
	s_barrier
	s_and_saveexec_b64 s[10:11], s[2:3]
	s_cbranch_execz .LBB43_1001
; %bb.996:
	v_mul_u32_u24_e32 v22, 0x208, v21
	ds_read_b64 v[10:11], v16 offset:29152
	ds_read_b64 v[23:24], v22 offset:29120
	v_cmp_gt_u32_e64 s[8:9], 12, v14
	s_waitcnt lgkmcnt(0)
	v_fma_f64 v[10:11], v[10:11], v[23:24], 0
	s_and_saveexec_b64 s[12:13], s[8:9]
	s_cbranch_execnz .LBB43_1158
; %bb.997:
	s_or_b64 exec, exec, s[12:13]
	v_cmp_gt_u32_e64 s[8:9], 8, v14
	s_and_saveexec_b64 s[12:13], s[8:9]
	s_cbranch_execnz .LBB43_1159
.LBB43_998:
	s_or_b64 exec, exec, s[12:13]
	v_cmp_gt_u32_e64 s[8:9], 4, v14
	s_and_saveexec_b64 s[12:13], s[8:9]
	s_cbranch_execz .LBB43_1000
.LBB43_999:
	v_lshlrev_b32_e32 v20, 3, v0
	v_mov_b32_e32 v22, 0
	ds_read_b64 v[20:21], v20 offset:30688
	ds_read_b64 v[22:23], v22 offset:29144
	s_waitcnt lgkmcnt(0)
	v_fma_f64 v[10:11], v[20:21], v[22:23], v[10:11]
.LBB43_1000:
	s_or_b64 exec, exec, s[12:13]
	v_xor_b32_e32 v11, 0x80000000, v11
.LBB43_1001:
	s_or_b64 exec, exec, s[10:11]
	s_and_saveexec_b64 s[8:9], s[42:43]
; %bb.1002:
	ds_write_b64 v19, v[10:11]
; %bb.1003:
	s_or_b64 exec, exec, s[8:9]
	s_waitcnt lgkmcnt(0)
	s_barrier
	s_and_saveexec_b64 s[8:9], s[44:45]
	s_cbranch_execz .LBB43_1005
; %bb.1004:
	ds_read_b64 v[20:21], v17 offset:31200
	ds_read_b64 v[22:23], v19
	s_waitcnt lgkmcnt(0)
	v_fma_f64 v[10:11], v[20:21], v[22:23], v[10:11]
.LBB43_1005:
	s_or_b64 exec, exec, s[8:9]
	s_barrier
	s_and_saveexec_b64 s[8:9], s[46:47]
; %bb.1006:
	ds_write_b64 v19, v[10:11]
; %bb.1007:
	s_or_b64 exec, exec, s[8:9]
	s_waitcnt lgkmcnt(0)
	s_barrier
	s_and_saveexec_b64 s[8:9], s[48:49]
	s_cbranch_execz .LBB43_1009
; %bb.1008:
	ds_read_b64 v[20:21], v17 offset:31712
	ds_read_b64 v[22:23], v19
	s_waitcnt lgkmcnt(0)
	v_fma_f64 v[10:11], v[20:21], v[22:23], v[10:11]
.LBB43_1009:
	s_or_b64 exec, exec, s[8:9]
	s_barrier
	s_and_saveexec_b64 s[8:9], s[50:51]
; %bb.1010:
	ds_write_b64 v19, v[10:11]
; %bb.1011:
	s_or_b64 exec, exec, s[8:9]
	s_waitcnt lgkmcnt(0)
	s_barrier
	s_and_saveexec_b64 s[8:9], s[40:41]
	s_cbranch_execz .LBB43_1013
; %bb.1012:
	v_mov_b32_e32 v17, 0
	ds_read_b64 v[20:21], v17 offset:32248
	ds_read_b64 v[22:23], v19
	s_waitcnt lgkmcnt(0)
	v_fma_f64 v[10:11], v[20:21], v[22:23], v[10:11]
.LBB43_1013:
	s_or_b64 exec, exec, s[8:9]
	s_barrier
	s_and_saveexec_b64 s[8:9], s[40:41]
; %bb.1014:
	ds_write_b64 v19, v[10:11]
; %bb.1015:
	s_or_b64 exec, exec, s[8:9]
	s_waitcnt lgkmcnt(0)
	s_barrier
	s_barrier
	s_and_saveexec_b64 s[8:9], s[2:3]
; %bb.1016:
	v_xor_b32_e32 v11, 0x80000000, v11
	ds_write_b64 v16, v[10:11] offset:29152
; %bb.1017:
	s_or_b64 exec, exec, s[8:9]
	s_waitcnt lgkmcnt(0)
	s_barrier
	s_barrier
	s_and_saveexec_b64 s[2:3], vcc
	s_cbranch_execz .LBB43_1019
; %bb.1018:
	s_mov_b64 s[8:9], 1.0
	v_mov_b32_e32 v11, s9
	v_mov_b32_e32 v10, s8
	s_movk_i32 s8, 0x7800
	v_add_u32_e64 v16, s8, 0
	ds_write2_b64 v16, v[10:11], v[10:11] offset0:60 offset1:125
.LBB43_1019:
	s_or_b64 exec, exec, s[2:3]
	v_mov_b32_e32 v10, 0
	v_mov_b32_e32 v11, 0
	s_waitcnt lgkmcnt(0)
	s_barrier
	s_and_saveexec_b64 s[8:9], s[0:1]
	s_cbranch_execz .LBB43_1023
; %bb.1020:
	v_mul_u32_u24_e32 v15, 0x208, v15
	ds_read_b64 v[10:11], v12 offset:31216
	ds_read_b64 v[15:16], v15 offset:31200
	v_cmp_gt_u32_e64 s[2:3], 2, v14
	s_waitcnt lgkmcnt(0)
	v_fma_f64 v[10:11], v[10:11], v[15:16], 0
	s_and_saveexec_b64 s[10:11], s[2:3]
	s_cbranch_execz .LBB43_1022
; %bb.1021:
	v_lshlrev_b32_e32 v14, 3, v0
	v_mov_b32_e32 v16, 0
	ds_read_b64 v[14:15], v14 offset:31728
	ds_read_b64 v[16:17], v16 offset:31208
	s_waitcnt lgkmcnt(0)
	v_fma_f64 v[10:11], v[14:15], v[16:17], v[10:11]
.LBB43_1022:
	s_or_b64 exec, exec, s[10:11]
	v_xor_b32_e32 v11, 0x80000000, v11
.LBB43_1023:
	s_or_b64 exec, exec, s[8:9]
	s_and_saveexec_b64 s[2:3], s[38:39]
; %bb.1024:
	ds_write_b64 v13, v[10:11]
; %bb.1025:
	s_or_b64 exec, exec, s[2:3]
	s_waitcnt lgkmcnt(0)
	s_barrier
	s_and_saveexec_b64 s[2:3], s[36:37]
	s_load_dword s16, s[4:5], 0x6c
	s_cbranch_execz .LBB43_1027
; %bb.1026:
	v_mov_b32_e32 v14, 0
	ds_read_b64 v[14:15], v14 offset:32248
	ds_read_b64 v[16:17], v13
	s_waitcnt lgkmcnt(0)
	v_fma_f64 v[10:11], v[14:15], v[16:17], v[10:11]
.LBB43_1027:
	s_or_b64 exec, exec, s[2:3]
	s_waitcnt lgkmcnt(0)
	s_barrier
	s_and_saveexec_b64 s[2:3], s[36:37]
; %bb.1028:
	ds_write_b64 v13, v[10:11]
; %bb.1029:
	s_or_b64 exec, exec, s[2:3]
	s_waitcnt lgkmcnt(0)
	s_barrier
	s_barrier
	s_and_saveexec_b64 s[2:3], s[0:1]
; %bb.1030:
	v_xor_b32_e32 v11, 0x80000000, v11
	ds_write_b64 v12, v[10:11] offset:31216
; %bb.1031:
	s_or_b64 exec, exec, s[2:3]
	s_waitcnt lgkmcnt(0)
	s_barrier
	s_barrier
	s_and_saveexec_b64 s[0:1], vcc
	s_cbranch_execz .LBB43_1033
; %bb.1032:
	s_mov_b64 s[2:3], 1.0
	v_mov_b32_e32 v11, s3
	v_mov_b32_e32 v10, s2
	s_movk_i32 s2, 0x7800
	v_add_u32_e64 v12, s2, 0
	ds_write2_b64 v12, v[10:11], v[10:11] offset0:190 offset1:255
.LBB43_1033:
	s_or_b64 exec, exec, s[0:1]
.LBB43_1034:
	s_load_dwordx4 s[12:15], s[4:5], 0x48
	v_cmp_le_i32_e32 vcc, s7, v0
	v_mov_b32_e32 v10, 0
	v_mov_b32_e32 v11, 0
	v_lshl_add_u32 v12, s6, 6, v0
	s_waitcnt lgkmcnt(0)
	s_mul_i32 s1, s13, s34
	s_mul_hi_u32 s2, s12, s34
	s_mul_i32 s0, s12, s34
	s_add_i32 s1, s2, s1
	s_lshl_b64 s[0:1], s[0:1], 3
	s_add_u32 s2, s26, s0
	s_addc_u32 s3, s27, s1
	s_lshl_b64 s[0:1], s[28:29], 3
	s_add_u32 s36, s2, s0
	s_addc_u32 s37, s3, s1
	s_and_b64 s[12:13], vcc, s[18:19]
	v_cmp_eq_u32_e64 s[0:1], 0, v1
	s_xor_b64 s[2:3], s[12:13], -1
	s_and_b64 s[4:5], s[0:1], s[2:3]
	s_barrier
	s_and_saveexec_b64 s[2:3], s[4:5]
	s_cbranch_execz .LBB43_1036
; %bb.1035:
	v_ashrrev_i32_e32 v13, 31, v12
	v_mul_lo_u32 v14, s31, v12
	v_mad_u64_u32 v[10:11], s[4:5], s30, v12, 0
	v_mul_lo_u32 v13, s30, v13
	v_add3_u32 v11, v11, v13, v14
	v_lshlrev_b64 v[10:11], 3, v[10:11]
	v_mov_b32_e32 v13, s37
	v_add_co_u32_e32 v10, vcc, s36, v10
	v_addc_co_u32_e32 v11, vcc, v13, v11, vcc
	global_load_dwordx2 v[10:11], v[10:11], off
	s_waitcnt vmcnt(0)
	v_mul_f64 v[10:11], v[10:11], -s[24:25]
.LBB43_1036:
	s_or_b64 exec, exec, s[2:3]
	s_and_b32 s2, 0xffff, s16
	v_mad_u32_u24 v19, v1, s2, v0
	v_mov_b32_e32 v13, 0
	s_cmp_lt_i32 s6, 1
	v_cmp_eq_u32_e64 s[2:3], 0, v19
	s_cbranch_scc1 .LBB43_1062
; %bb.1037:
	v_mov_b32_e32 v14, 0xa000
	v_lshl_add_u32 v20, v19, 3, v14
	v_lshl_or_b32 v21, v1, 3, v14
	v_lshlrev_b64 v[14:15], 3, v[12:13]
	s_lshl_b64 s[4:5], s[34:35], 2
	s_add_u32 s16, s14, s4
	v_cmp_gt_i32_e64 s[10:11], s33, v12
	v_mov_b32_e32 v16, s83
	v_add_co_u32_e32 v12, vcc, s82, v14
	s_mul_i32 s8, s21, 0x180
	s_mul_hi_u32 s9, s20, 0x180
	s_mov_b32 s38, 0
	s_addc_u32 s17, s15, s5
	v_cmp_gt_u32_e64 s[4:5], 64, v19
	s_add_i32 s39, s6, -1
	v_addc_co_u32_e32 v22, vcc, v16, v15, vcc
	s_lshl_b64 s[24:25], s[20:21], 7
	s_lshl_b64 s[26:27], s[20:21], 8
	s_add_i32 s40, s9, s8
	s_mul_i32 s41, s20, 0x180
	v_mov_b32_e32 v23, -1
	s_branch .LBB43_1040
.LBB43_1038:                            ;   in Loop: Header=BB43_1040 Depth=1
	ds_read_b64 v[14:15], v21 offset:384
	s_waitcnt vmcnt(0) lgkmcnt(0)
	v_fma_f64 v[10:11], v[16:17], v[14:15], v[10:11]
.LBB43_1039:                            ;   in Loop: Header=BB43_1040 Depth=1
	s_or_b64 exec, exec, s[28:29]
	s_add_i32 s38, s38, 1
	s_cmp_eq_u32 s38, s6
	s_cbranch_scc1 .LBB43_1062
.LBB43_1040:                            ; =>This Loop Header: Depth=1
                                        ;     Child Loop BB43_1042 Depth 2
	v_cmp_gt_i32_e32 vcc, s38, v23
	s_and_b64 s[28:29], s[2:3], vcc
	s_and_saveexec_b64 s[8:9], s[28:29]
	s_cbranch_execz .LBB43_1043
; %bb.1041:                             ;   in Loop: Header=BB43_1040 Depth=1
	global_load_dword v23, v13, s[16:17]
	s_waitcnt vmcnt(0)
	v_cmp_le_i32_e32 vcc, s38, v23
	s_cbranch_vccnz .LBB43_1043
.LBB43_1042:                            ;   Parent Loop BB43_1040 Depth=1
                                        ; =>  This Inner Loop Header: Depth=2
	buffer_wbinvl1_vol
	global_load_dword v23, v13, s[16:17]
	s_waitcnt vmcnt(0)
	v_cmp_gt_i32_e32 vcc, s38, v23
	s_cbranch_vccnz .LBB43_1042
.LBB43_1043:                            ;   in Loop: Header=BB43_1040 Depth=1
	s_or_b64 exec, exec, s[8:9]
	s_lshl_b32 s42, s38, 6
	buffer_wbinvl1_vol
	s_barrier
	s_and_saveexec_b64 s[8:9], s[4:5]
	s_cbranch_execz .LBB43_1047
; %bb.1044:                             ;   in Loop: Header=BB43_1040 Depth=1
	v_or_b32_e32 v16, s42, v19
	v_mov_b32_e32 v14, 0
	v_mov_b32_e32 v15, 0
	v_cmp_gt_i32_e32 vcc, s33, v16
	s_and_saveexec_b64 s[28:29], vcc
	s_cbranch_execz .LBB43_1046
; %bb.1045:                             ;   in Loop: Header=BB43_1040 Depth=1
	v_mad_u64_u32 v[14:15], s[44:45], s30, v16, 0
	v_mad_u64_u32 v[15:16], s[44:45], s31, v16, v[15:16]
	v_mov_b32_e32 v16, s37
	v_lshlrev_b64 v[14:15], 3, v[14:15]
	v_add_co_u32_e32 v14, vcc, s36, v14
	v_addc_co_u32_e32 v15, vcc, v16, v15, vcc
	global_load_dwordx2 v[14:15], v[14:15], off
.LBB43_1046:                            ;   in Loop: Header=BB43_1040 Depth=1
	s_or_b64 exec, exec, s[28:29]
	s_waitcnt vmcnt(0)
	ds_write_b64 v20, v[14:15]
.LBB43_1047:                            ;   in Loop: Header=BB43_1040 Depth=1
	s_or_b64 exec, exec, s[8:9]
	v_add_u32_e32 v24, s42, v1
	v_mad_u64_u32 v[14:15], s[8:9], s20, v24, 0
	s_cmp_lg_u32 s38, s39
	s_waitcnt lgkmcnt(0)
	v_mad_u64_u32 v[15:16], s[8:9], s21, v24, v[15:16]
	s_cselect_b64 s[8:9], -1, 0
	v_cndmask_b32_e64 v16, 0, 1, s[8:9]
	v_lshlrev_b64 v[14:15], 3, v[14:15]
	v_cmp_ne_u32_e64 s[8:9], 1, v16
	v_add_co_u32_e32 v14, vcc, v12, v14
	v_addc_co_u32_e32 v15, vcc, v22, v15, vcc
	v_cmp_gt_i32_e32 vcc, s33, v24
	s_and_b64 s[42:43], s[10:11], vcc
	s_barrier
	s_and_saveexec_b64 s[28:29], s[42:43]
	s_cbranch_execz .LBB43_1051
; %bb.1048:                             ;   in Loop: Header=BB43_1040 Depth=1
	v_mov_b32_e32 v17, v3
	s_and_b64 vcc, exec, s[8:9]
	v_mov_b32_e32 v16, v2
	s_cbranch_vccnz .LBB43_1050
; %bb.1049:                             ;   in Loop: Header=BB43_1040 Depth=1
	global_load_dwordx2 v[16:17], v[14:15], off
.LBB43_1050:                            ;   in Loop: Header=BB43_1040 Depth=1
	ds_read_b64 v[25:26], v21
	s_waitcnt vmcnt(0) lgkmcnt(0)
	v_fma_f64 v[10:11], v[16:17], v[25:26], v[10:11]
.LBB43_1051:                            ;   in Loop: Header=BB43_1040 Depth=1
	s_or_b64 exec, exec, s[28:29]
	v_add_u32_e32 v16, 16, v24
	v_cmp_gt_i32_e32 vcc, s33, v16
	s_and_b64 s[42:43], s[10:11], vcc
	s_and_saveexec_b64 s[28:29], s[42:43]
	s_cbranch_execz .LBB43_1055
; %bb.1052:                             ;   in Loop: Header=BB43_1040 Depth=1
	v_mov_b32_e32 v17, v5
	s_and_b64 vcc, exec, s[8:9]
	v_mov_b32_e32 v16, v4
	s_cbranch_vccnz .LBB43_1054
; %bb.1053:                             ;   in Loop: Header=BB43_1040 Depth=1
	v_mov_b32_e32 v17, s25
	v_add_co_u32_e32 v16, vcc, s24, v14
	v_addc_co_u32_e32 v17, vcc, v15, v17, vcc
	global_load_dwordx2 v[16:17], v[16:17], off
.LBB43_1054:                            ;   in Loop: Header=BB43_1040 Depth=1
	ds_read_b64 v[25:26], v21 offset:128
	s_waitcnt vmcnt(0) lgkmcnt(0)
	v_fma_f64 v[10:11], v[16:17], v[25:26], v[10:11]
.LBB43_1055:                            ;   in Loop: Header=BB43_1040 Depth=1
	s_or_b64 exec, exec, s[28:29]
	v_add_u32_e32 v16, 32, v24
	v_cmp_gt_i32_e32 vcc, s33, v16
	s_and_b64 s[42:43], s[10:11], vcc
	s_and_saveexec_b64 s[28:29], s[42:43]
	s_cbranch_execz .LBB43_1059
; %bb.1056:                             ;   in Loop: Header=BB43_1040 Depth=1
	v_mov_b32_e32 v17, v9
	s_and_b64 vcc, exec, s[8:9]
	v_mov_b32_e32 v16, v8
	s_cbranch_vccnz .LBB43_1058
; %bb.1057:                             ;   in Loop: Header=BB43_1040 Depth=1
	v_mov_b32_e32 v17, s27
	v_add_co_u32_e32 v16, vcc, s26, v14
	v_addc_co_u32_e32 v17, vcc, v15, v17, vcc
	global_load_dwordx2 v[16:17], v[16:17], off
.LBB43_1058:                            ;   in Loop: Header=BB43_1040 Depth=1
	ds_read_b64 v[25:26], v21 offset:256
	s_waitcnt vmcnt(0) lgkmcnt(0)
	v_fma_f64 v[10:11], v[16:17], v[25:26], v[10:11]
.LBB43_1059:                            ;   in Loop: Header=BB43_1040 Depth=1
	s_or_b64 exec, exec, s[28:29]
	v_add_u32_e32 v16, 48, v24
	v_cmp_gt_i32_e32 vcc, s33, v16
	s_and_b64 s[42:43], s[10:11], vcc
	s_and_saveexec_b64 s[28:29], s[42:43]
	s_cbranch_execz .LBB43_1039
; %bb.1060:                             ;   in Loop: Header=BB43_1040 Depth=1
	v_mov_b32_e32 v17, v7
	s_and_b64 vcc, exec, s[8:9]
	v_mov_b32_e32 v16, v6
	s_cbranch_vccnz .LBB43_1038
; %bb.1061:                             ;   in Loop: Header=BB43_1040 Depth=1
	v_mov_b32_e32 v16, s40
	v_add_co_u32_e32 v14, vcc, s41, v14
	v_addc_co_u32_e32 v15, vcc, v15, v16, vcc
	global_load_dwordx2 v[16:17], v[14:15], off
	s_branch .LBB43_1038
.LBB43_1062:
	v_lshl_add_u32 v2, v1, 6, v0
	s_xor_b64 s[2:3], s[18:19], -1
	s_xor_b64 s[4:5], s[22:23], -1
	v_lshlrev_b32_e32 v4, 3, v2
	ds_write_b64 v4, v[10:11] offset:32768
	s_waitcnt lgkmcnt(0)
	s_barrier
	s_and_saveexec_b64 s[8:9], s[0:1]
	s_cbranch_execz .LBB43_1064
; %bb.1063:
	v_lshlrev_b32_e32 v15, 3, v0
	ds_read2st64_b64 v[5:8], v15 offset0:65 offset1:66
	ds_read_b64 v[2:3], v15 offset:40448
	s_waitcnt lgkmcnt(1)
	v_add_f64 v[5:6], v[10:11], v[5:6]
	v_add_f64 v[13:14], v[5:6], v[7:8]
	ds_read2st64_b64 v[5:8], v15 offset0:67 offset1:68
	ds_read2st64_b64 v[9:12], v15 offset0:69 offset1:70
	s_waitcnt lgkmcnt(1)
	v_add_f64 v[5:6], v[13:14], v[5:6]
	v_add_f64 v[5:6], v[5:6], v[7:8]
	s_waitcnt lgkmcnt(0)
	v_add_f64 v[5:6], v[5:6], v[9:10]
	v_add_f64 v[13:14], v[5:6], v[11:12]
	ds_read2st64_b64 v[5:8], v15 offset0:71 offset1:72
	ds_read2st64_b64 v[9:12], v15 offset0:73 offset1:74
	s_waitcnt lgkmcnt(1)
	v_add_f64 v[5:6], v[13:14], v[5:6]
	v_add_f64 v[5:6], v[5:6], v[7:8]
	;; [unrolled: 8-line block ×3, first 2 shown]
	s_waitcnt lgkmcnt(0)
	v_add_f64 v[5:6], v[5:6], v[9:10]
	v_add_f64 v[5:6], v[5:6], v[11:12]
	;; [unrolled: 1-line block ×3, first 2 shown]
	v_xor_b32_e32 v3, 0x80000000, v3
	v_cndmask_b32_e64 v11, v3, 0, s[12:13]
	v_cndmask_b32_e64 v10, v2, 0, s[12:13]
.LBB43_1064:
	s_or_b64 exec, exec, s[8:9]
	s_andn2_b64 vcc, exec, s[4:5]
	s_cbranch_vccnz .LBB43_1078
; %bb.1065:
	v_mov_b32_e32 v2, 0xa000
	v_lshl_or_b32 v5, v1, 3, v2
	s_and_saveexec_b64 s[4:5], s[0:1]
; %bb.1066:
	v_lshl_add_u32 v2, v0, 3, v5
	ds_write_b64 v2, v[10:11]
; %bb.1067:
	s_or_b64 exec, exec, s[4:5]
	v_mov_b32_e32 v2, 0
	v_mov_b32_e32 v3, 0
	v_cmp_ge_u32_e32 vcc, v0, v1
	s_waitcnt lgkmcnt(0)
	s_barrier
	s_and_saveexec_b64 s[4:5], vcc
	s_cbranch_execz .LBB43_1069
; %bb.1068:
	ds_read_b64 v[2:3], v4
	ds_read_b64 v[6:7], v5
	s_waitcnt lgkmcnt(0)
	v_fma_f64 v[2:3], v[2:3], v[6:7], 0
.LBB43_1069:
	s_or_b64 exec, exec, s[4:5]
	v_add_u32_e32 v6, 16, v1
	v_cmp_ge_u32_e32 vcc, v0, v6
	s_and_saveexec_b64 s[4:5], vcc
	s_cbranch_execz .LBB43_1071
; %bb.1070:
	ds_read_b64 v[6:7], v4 offset:8192
	ds_read_b64 v[8:9], v5 offset:128
	s_waitcnt lgkmcnt(0)
	v_fma_f64 v[2:3], v[6:7], v[8:9], v[2:3]
.LBB43_1071:
	s_or_b64 exec, exec, s[4:5]
	v_add_u32_e32 v6, 32, v1
	v_cmp_ge_u32_e32 vcc, v0, v6
	s_and_saveexec_b64 s[4:5], vcc
	s_cbranch_execz .LBB43_1073
; %bb.1072:
	ds_read_b64 v[6:7], v4 offset:16384
	ds_read_b64 v[8:9], v5 offset:256
	s_waitcnt lgkmcnt(0)
	v_fma_f64 v[2:3], v[6:7], v[8:9], v[2:3]
.LBB43_1073:
	s_or_b64 exec, exec, s[4:5]
	v_add_u32_e32 v1, 48, v1
	v_add_u32_e32 v6, 0x8000, v4
	v_cmp_ge_u32_e32 vcc, v0, v1
	s_and_saveexec_b64 s[4:5], vcc
	s_cbranch_execz .LBB43_1075
; %bb.1074:
	ds_read_b64 v[7:8], v4 offset:24576
	ds_read_b64 v[4:5], v5 offset:384
	s_waitcnt lgkmcnt(0)
	v_fma_f64 v[2:3], v[7:8], v[4:5], v[2:3]
.LBB43_1075:
	s_or_b64 exec, exec, s[4:5]
	s_mov_b64 s[8:9], 0
	s_mov_b64 s[4:5], 0
	ds_write_b64 v6, v[2:3]
	s_waitcnt lgkmcnt(0)
	s_barrier
                                        ; implicit-def: $vgpr6_vgpr7
                                        ; implicit-def: $vgpr4_vgpr5
	s_and_saveexec_b64 s[10:11], s[0:1]
	s_cbranch_execz .LBB43_1099
; %bb.1076:
	v_lshlrev_b32_e32 v9, 3, v0
	ds_read2st64_b64 v[4:7], v9 offset0:65 offset1:66
	ds_read_b64 v[12:13], v9 offset:40448
	s_mov_b64 s[4:5], exec
	s_waitcnt lgkmcnt(1)
	v_add_f64 v[1:2], v[2:3], v[4:5]
	v_add_f64 v[14:15], v[6:7], v[1:2]
	ds_read2st64_b64 v[1:4], v9 offset0:67 offset1:68
	ds_read2st64_b64 v[5:8], v9 offset0:69 offset1:70
	s_waitcnt lgkmcnt(1)
	v_add_f64 v[1:2], v[1:2], v[14:15]
	v_add_f64 v[1:2], v[3:4], v[1:2]
	s_waitcnt lgkmcnt(0)
	v_add_f64 v[1:2], v[5:6], v[1:2]
	v_add_f64 v[14:15], v[7:8], v[1:2]
	ds_read2st64_b64 v[1:4], v9 offset0:71 offset1:72
	ds_read2st64_b64 v[5:8], v9 offset0:73 offset1:74
	s_waitcnt lgkmcnt(1)
	v_add_f64 v[1:2], v[1:2], v[14:15]
	v_add_f64 v[1:2], v[3:4], v[1:2]
	;; [unrolled: 8-line block ×3, first 2 shown]
	v_lshl_add_u32 v3, s6, 6, v19
	s_waitcnt lgkmcnt(0)
	v_add_f64 v[1:2], v[5:6], v[1:2]
	v_mad_u64_u32 v[4:5], s[12:13], s30, v3, 0
	v_add_f64 v[1:2], v[7:8], v[1:2]
	v_add_f64 v[6:7], v[12:13], v[1:2]
	v_mov_b32_e32 v1, v5
	v_mad_u64_u32 v[1:2], s[12:13], s31, v3, v[1:2]
	v_mov_b32_e32 v5, v1
	s_or_b64 exec, exec, s[10:11]
	s_and_b64 vcc, exec, s[8:9]
	s_cbranch_vccnz .LBB43_1079
	s_branch .LBB43_1100
.LBB43_1077:
	v_mad_u64_u32 v[12:13], s[0:1], s20, v14, 0
	s_or_b64 s[8:9], s[8:9], exec
	v_mad_u64_u32 v[13:14], s[0:1], s21, v14, v[13:14]
	v_lshlrev_b64 v[12:13], 3, v[12:13]
	v_add_co_u32_e32 v10, vcc, v10, v12
	v_addc_co_u32_e32 v11, vcc, v11, v13, vcc
	global_load_dwordx2 v[12:13], v[10:11], off
	s_waitcnt vmcnt(0)
	v_xor_b32_e32 v13, 0x80000000, v13
	s_or_b64 exec, exec, s[2:3]
	s_and_saveexec_b64 s[0:1], s[8:9]
	s_cbranch_execnz .LBB43_57
	s_branch .LBB43_58
.LBB43_1078:
	s_mov_b64 s[4:5], 0
                                        ; implicit-def: $vgpr6_vgpr7
                                        ; implicit-def: $vgpr4_vgpr5
	s_cbranch_execz .LBB43_1100
.LBB43_1079:
	s_mov_b32 s10, 0
	v_mov_b32_e32 v1, 0
	v_mov_b32_e32 v2, v0
	s_branch .LBB43_1081
.LBB43_1080:                            ;   in Loop: Header=BB43_1081 Depth=1
	s_or_b64 exec, exec, s[8:9]
	s_add_i32 s10, s10, 4
	v_add_u32_e32 v18, 0x800, v18
	s_cmp_lg_u32 s10, 64
	v_add_u32_e32 v2, -4, v2
	s_barrier
	s_cbranch_scc0 .LBB43_1097
.LBB43_1081:                            ; =>This Inner Loop Header: Depth=1
	v_cmp_eq_u32_e32 vcc, 0, v2
	s_and_b64 s[12:13], s[0:1], vcc
	s_and_saveexec_b64 s[8:9], s[12:13]
; %bb.1082:                             ;   in Loop: Header=BB43_1081 Depth=1
	ds_write_b64 v1, v[10:11] offset:41472
; %bb.1083:                             ;   in Loop: Header=BB43_1081 Depth=1
	s_or_b64 exec, exec, s[8:9]
	v_cmp_lt_u32_e32 vcc, s10, v0
	s_and_b64 s[12:13], s[0:1], vcc
	s_waitcnt lgkmcnt(0)
	s_barrier
	s_and_saveexec_b64 s[8:9], s[12:13]
	s_cbranch_execz .LBB43_1085
; %bb.1084:                             ;   in Loop: Header=BB43_1081 Depth=1
	ds_read_b64 v[3:4], v18
	ds_read_b64 v[5:6], v1 offset:41472
	s_waitcnt lgkmcnt(0)
	v_fma_f64 v[10:11], v[3:4], v[5:6], v[10:11]
.LBB43_1085:                            ;   in Loop: Header=BB43_1081 Depth=1
	s_or_b64 exec, exec, s[8:9]
	s_or_b32 s11, s10, 1
	v_cmp_eq_u32_e32 vcc, s11, v0
	s_and_b64 s[12:13], s[0:1], vcc
	s_barrier
	s_and_saveexec_b64 s[8:9], s[12:13]
; %bb.1086:                             ;   in Loop: Header=BB43_1081 Depth=1
	ds_write_b64 v1, v[10:11] offset:41472
; %bb.1087:                             ;   in Loop: Header=BB43_1081 Depth=1
	s_or_b64 exec, exec, s[8:9]
	v_cmp_lt_u32_e32 vcc, s11, v0
	s_and_b64 s[12:13], s[0:1], vcc
	s_waitcnt lgkmcnt(0)
	s_barrier
	s_and_saveexec_b64 s[8:9], s[12:13]
	s_cbranch_execz .LBB43_1089
; %bb.1088:                             ;   in Loop: Header=BB43_1081 Depth=1
	ds_read_b64 v[3:4], v18 offset:512
	ds_read_b64 v[5:6], v1 offset:41472
	s_waitcnt lgkmcnt(0)
	v_fma_f64 v[10:11], v[3:4], v[5:6], v[10:11]
.LBB43_1089:                            ;   in Loop: Header=BB43_1081 Depth=1
	s_or_b64 exec, exec, s[8:9]
	s_or_b32 s11, s10, 2
	v_cmp_eq_u32_e32 vcc, s11, v0
	s_and_b64 s[12:13], s[0:1], vcc
	s_barrier
	s_and_saveexec_b64 s[8:9], s[12:13]
; %bb.1090:                             ;   in Loop: Header=BB43_1081 Depth=1
	ds_write_b64 v1, v[10:11] offset:41472
; %bb.1091:                             ;   in Loop: Header=BB43_1081 Depth=1
	s_or_b64 exec, exec, s[8:9]
	v_cmp_lt_u32_e32 vcc, s11, v0
	s_and_b64 s[12:13], s[0:1], vcc
	s_waitcnt lgkmcnt(0)
	s_barrier
	s_and_saveexec_b64 s[8:9], s[12:13]
	s_cbranch_execz .LBB43_1093
; %bb.1092:                             ;   in Loop: Header=BB43_1081 Depth=1
	ds_read_b64 v[3:4], v18 offset:1024
	ds_read_b64 v[5:6], v1 offset:41472
	s_waitcnt lgkmcnt(0)
	v_fma_f64 v[10:11], v[3:4], v[5:6], v[10:11]
.LBB43_1093:                            ;   in Loop: Header=BB43_1081 Depth=1
	s_or_b64 exec, exec, s[8:9]
	s_or_b32 s11, s10, 3
	v_cmp_eq_u32_e32 vcc, s11, v0
	s_and_b64 s[12:13], s[0:1], vcc
	s_barrier
	s_and_saveexec_b64 s[8:9], s[12:13]
; %bb.1094:                             ;   in Loop: Header=BB43_1081 Depth=1
	ds_write_b64 v1, v[10:11] offset:41472
; %bb.1095:                             ;   in Loop: Header=BB43_1081 Depth=1
	s_or_b64 exec, exec, s[8:9]
	v_cmp_lt_u32_e32 vcc, s11, v0
	s_and_b64 s[12:13], s[0:1], vcc
	s_waitcnt lgkmcnt(0)
	s_barrier
	s_and_saveexec_b64 s[8:9], s[12:13]
	s_cbranch_execz .LBB43_1080
; %bb.1096:                             ;   in Loop: Header=BB43_1081 Depth=1
	ds_read_b64 v[3:4], v18 offset:1536
	ds_read_b64 v[5:6], v1 offset:41472
	s_waitcnt lgkmcnt(0)
	v_fma_f64 v[10:11], v[3:4], v[5:6], v[10:11]
	s_branch .LBB43_1080
.LBB43_1097:
	s_and_b64 vcc, exec, s[2:3]
	s_cbranch_vccz .LBB43_1101
; %bb.1098:
	s_and_b64 s[2:3], s[0:1], exec
	s_cbranch_execz .LBB43_1102
	s_branch .LBB43_1103
.LBB43_1099:
	s_or_b64 exec, exec, s[10:11]
	s_and_b64 vcc, exec, s[8:9]
	s_cbranch_vccnz .LBB43_1079
.LBB43_1100:
	v_mov_b32_e32 v11, v7
	v_mov_b32_e32 v10, v6
	s_and_saveexec_b64 s[0:1], s[4:5]
	s_cbranch_execnz .LBB43_1106
	s_branch .LBB43_1107
.LBB43_1101:
	s_mov_b64 s[2:3], 0
.LBB43_1102:
	v_cmp_gt_i32_e32 vcc, s7, v0
	s_and_b64 s[0:1], s[0:1], vcc
	s_andn2_b64 s[2:3], s[2:3], exec
	s_and_b64 s[0:1], s[0:1], exec
	s_or_b64 s[2:3], s[2:3], s[0:1]
.LBB43_1103:
                                        ; implicit-def: $vgpr4_vgpr5
	s_and_saveexec_b64 s[0:1], s[2:3]
	s_cbranch_execz .LBB43_1105
; %bb.1104:
	s_lshl_b32 s2, s6, 6
	s_ashr_i32 s3, s2, 31
	v_mov_b32_e32 v0, s3
	v_add_co_u32_e32 v1, vcc, s2, v19
	v_addc_co_u32_e32 v0, vcc, 0, v0, vcc
	v_mul_lo_u32 v0, v0, s30
	v_mul_lo_u32 v2, v1, s31
	v_mad_u64_u32 v[4:5], s[2:3], v1, s30, 0
	s_or_b64 s[4:5], s[4:5], exec
	v_add3_u32 v5, v5, v2, v0
.LBB43_1105:
	s_or_b64 exec, exec, s[0:1]
	s_and_saveexec_b64 s[0:1], s[4:5]
	s_cbranch_execz .LBB43_1107
.LBB43_1106:
	v_lshlrev_b64 v[0:1], 3, v[4:5]
	v_mov_b32_e32 v2, s37
	v_add_co_u32_e32 v0, vcc, s36, v0
	v_addc_co_u32_e32 v1, vcc, v2, v1, vcc
	global_store_dwordx2 v[0:1], v[10:11], off
.LBB43_1107:
	s_or_b64 exec, exec, s[0:1]
	v_cmp_eq_u32_e32 vcc, 0, v19
	s_waitcnt vmcnt(0)
	buffer_wbinvl1_vol
	s_barrier
	s_and_saveexec_b64 s[0:1], vcc
	s_cbranch_execz .LBB43_1109
; %bb.1108:
	s_lshl_b64 s[2:3], s[34:35], 2
	s_add_u32 s2, s14, s2
	s_addc_u32 s3, s15, s3
	v_mov_b32_e32 v0, 0
	global_load_dword v1, v0, s[2:3]
	s_waitcnt vmcnt(0)
	v_add_u32_e32 v1, 1, v1
	global_store_dword v0, v1, s[2:3]
.LBB43_1109:
	s_or_b64 exec, exec, s[0:1]
	s_waitcnt vmcnt(0)
	buffer_wbinvl1_vol
	s_endpgm
.LBB43_1110:
	v_lshlrev_b32_e32 v22, 3, v21
	v_sub_u32_e32 v22, v19, v22
	v_lshl_add_u32 v22, v20, 3, v22
	ds_read_b64 v[22:23], v22 offset:544
	ds_read_b64 v[24:25], v19 offset:8
	s_waitcnt lgkmcnt(0)
	v_fma_f64 v[10:11], v[22:23], v[24:25], v[10:11]
	s_or_b64 exec, exec, s[14:15]
	v_cmp_gt_u32_e64 s[10:11], 8, v14
	s_and_saveexec_b64 s[14:15], s[10:11]
	s_cbranch_execz .LBB43_78
.LBB43_1111:
	ds_read_b64 v[22:23], v16 offset:1056
	ds_read_b64 v[24:25], v19 offset:16
	s_waitcnt lgkmcnt(0)
	v_fma_f64 v[10:11], v[22:23], v[24:25], v[10:11]
	s_or_b64 exec, exec, s[14:15]
	v_cmp_gt_u32_e64 s[10:11], 4, v14
	s_and_saveexec_b64 s[14:15], s[10:11]
	s_cbranch_execnz .LBB43_79
	s_branch .LBB43_80
.LBB43_1112:
	v_lshlrev_b32_e32 v27, 3, v26
	v_sub_u32_e32 v27, v24, v27
	v_lshl_add_u32 v27, v25, 3, v27
	ds_read_b64 v[27:28], v27 offset:576
	ds_read_b64 v[29:30], v24 offset:8
	s_waitcnt lgkmcnt(0)
	v_fma_f64 v[10:11], v[27:28], v[29:30], v[10:11]
	s_or_b64 exec, exec, s[16:17]
	v_cmp_gt_u32_e64 s[10:11], 48, v14
	s_and_saveexec_b64 s[16:17], s[10:11]
	s_cbranch_execz .LBB43_116
.LBB43_1113:
	v_lshlrev_b32_e32 v27, 3, v26
	v_sub_u32_e32 v27, v24, v27
	v_lshl_add_u32 v27, v25, 3, v27
	ds_read_b64 v[27:28], v27 offset:1088
	ds_read_b64 v[29:30], v24 offset:16
	s_waitcnt lgkmcnt(0)
	v_fma_f64 v[10:11], v[27:28], v[29:30], v[10:11]
	s_or_b64 exec, exec, s[16:17]
	v_cmp_gt_u32_e64 s[10:11], 40, v14
	s_and_saveexec_b64 s[16:17], s[10:11]
	s_cbranch_execz .LBB43_117
.LBB43_1114:
	v_lshlrev_b32_e32 v27, 3, v26
	v_sub_u32_e32 v27, v24, v27
	v_lshl_add_u32 v27, v25, 3, v27
	ds_read_b64 v[27:28], v27 offset:1600
	ds_read_b64 v[29:30], v24 offset:24
	s_waitcnt lgkmcnt(0)
	v_fma_f64 v[10:11], v[27:28], v[29:30], v[10:11]
	s_or_b64 exec, exec, s[16:17]
	v_cmp_gt_u32_e64 s[10:11], 32, v14
	s_and_saveexec_b64 s[16:17], s[10:11]
	s_cbranch_execz .LBB43_118
.LBB43_1115:
	ds_read_b64 v[27:28], v22 offset:2112
	ds_read_b64 v[29:30], v24 offset:32
	s_waitcnt lgkmcnt(0)
	v_fma_f64 v[10:11], v[27:28], v[29:30], v[10:11]
	s_or_b64 exec, exec, s[16:17]
	v_cmp_gt_u32_e64 s[10:11], 24, v14
	s_and_saveexec_b64 s[16:17], s[10:11]
	s_cbranch_execz .LBB43_119
.LBB43_1116:
	v_lshlrev_b32_e32 v27, 3, v26
	v_sub_u32_e32 v27, v24, v27
	v_lshl_add_u32 v27, v25, 3, v27
	ds_read_b64 v[27:28], v27 offset:2624
	ds_read_b64 v[29:30], v24 offset:40
	s_waitcnt lgkmcnt(0)
	v_fma_f64 v[10:11], v[27:28], v[29:30], v[10:11]
	s_or_b64 exec, exec, s[16:17]
	v_cmp_gt_u32_e64 s[10:11], 16, v14
	s_and_saveexec_b64 s[16:17], s[10:11]
	s_cbranch_execz .LBB43_120
.LBB43_1117:
	ds_read_b64 v[27:28], v22 offset:3136
	ds_read_b64 v[29:30], v24 offset:48
	s_waitcnt lgkmcnt(0)
	v_fma_f64 v[10:11], v[27:28], v[29:30], v[10:11]
	s_or_b64 exec, exec, s[16:17]
	v_cmp_gt_u32_e64 s[10:11], 8, v14
	s_and_saveexec_b64 s[16:17], s[10:11]
	s_cbranch_execnz .LBB43_121
	s_branch .LBB43_122
.LBB43_1118:
	v_lshlrev_b32_e32 v28, 3, v21
	v_sub_u32_e32 v28, v27, v28
	v_lshl_add_u32 v28, v20, 3, v28
	ds_read_b64 v[28:29], v28 offset:4704
	ds_read_b64 v[30:31], v27 offset:4168
	s_waitcnt lgkmcnt(0)
	v_fma_f64 v[10:11], v[28:29], v[30:31], v[10:11]
	s_or_b64 exec, exec, s[12:13]
	v_cmp_gt_u32_e64 s[8:9], 8, v14
	s_and_saveexec_b64 s[12:13], s[8:9]
	s_cbranch_execz .LBB43_174
.LBB43_1119:
	ds_read_b64 v[28:29], v16 offset:5216
	ds_read_b64 v[30:31], v27 offset:4176
	s_waitcnt lgkmcnt(0)
	v_fma_f64 v[10:11], v[28:29], v[30:31], v[10:11]
	s_or_b64 exec, exec, s[12:13]
	v_cmp_gt_u32_e64 s[8:9], 4, v14
	s_and_saveexec_b64 s[12:13], s[8:9]
	s_cbranch_execnz .LBB43_175
	s_branch .LBB43_176
.LBB43_1120:
	v_lshlrev_b32_e32 v32, 3, v28
	v_lshl_add_u32 v32, v30, 3, v32
	ds_read_b64 v[32:33], v32 offset:5760
	ds_read_b64 v[34:35], v29 offset:88
	s_waitcnt lgkmcnt(0)
	v_fma_f64 v[10:11], v[32:33], v[34:35], v[10:11]
	s_or_b64 exec, exec, s[80:81]
	v_cmp_gt_u32_e64 s[12:13], 64, v14
	s_and_saveexec_b64 s[80:81], s[12:13]
	s_cbranch_execz .LBB43_232
.LBB43_1121:
	ds_read_b64 v[32:33], v27 offset:6272
	ds_read_b64 v[34:35], v29 offset:96
	s_waitcnt lgkmcnt(0)
	v_fma_f64 v[10:11], v[32:33], v[34:35], v[10:11]
	s_or_b64 exec, exec, s[80:81]
	v_cmp_gt_u32_e64 s[12:13], 48, v14
	s_and_saveexec_b64 s[80:81], s[12:13]
	s_cbranch_execz .LBB43_233
.LBB43_1122:
	v_lshlrev_b32_e32 v32, 3, v28
	v_lshl_add_u32 v32, v30, 3, v32
	ds_read_b64 v[32:33], v32 offset:6784
	ds_read_b64 v[34:35], v29 offset:104
	s_waitcnt lgkmcnt(0)
	v_fma_f64 v[10:11], v[32:33], v[34:35], v[10:11]
	s_or_b64 exec, exec, s[80:81]
	v_cmp_gt_u32_e64 s[12:13], 32, v14
	s_and_saveexec_b64 s[80:81], s[12:13]
	s_cbranch_execz .LBB43_234
.LBB43_1123:
	ds_read_b64 v[32:33], v27 offset:7296
	ds_read_b64 v[34:35], v29 offset:112
	s_waitcnt lgkmcnt(0)
	v_fma_f64 v[10:11], v[32:33], v[34:35], v[10:11]
	s_or_b64 exec, exec, s[80:81]
	v_cmp_gt_u32_e64 s[12:13], 16, v14
	s_and_saveexec_b64 s[80:81], s[12:13]
	s_cbranch_execnz .LBB43_235
	s_branch .LBB43_236
.LBB43_1124:
	v_lshlrev_b32_e32 v33, 3, v21
	v_sub_u32_e32 v33, v32, v33
	v_lshl_add_u32 v33, v20, 3, v33
	ds_read_b64 v[33:34], v33 offset:8864
	ds_read_b64 v[35:36], v32 offset:8328
	s_waitcnt lgkmcnt(0)
	v_fma_f64 v[10:11], v[33:34], v[35:36], v[10:11]
	s_or_b64 exec, exec, s[16:17]
	v_cmp_gt_u32_e64 s[10:11], 8, v14
	s_and_saveexec_b64 s[16:17], s[10:11]
	s_cbranch_execz .LBB43_320
.LBB43_1125:
	ds_read_b64 v[33:34], v16 offset:9376
	ds_read_b64 v[35:36], v32 offset:8336
	s_waitcnt lgkmcnt(0)
	v_fma_f64 v[10:11], v[33:34], v[35:36], v[10:11]
	s_or_b64 exec, exec, s[16:17]
	v_cmp_gt_u32_e64 s[10:11], 4, v14
	s_and_saveexec_b64 s[16:17], s[10:11]
	s_cbranch_execnz .LBB43_321
	s_branch .LBB43_322
.LBB43_1126:
	v_lshlrev_b32_e32 v33, 3, v26
	v_sub_u32_e32 v33, v32, v33
	v_lshl_add_u32 v33, v25, 3, v33
	ds_read_b64 v[33:34], v33 offset:8896
	ds_read_b64 v[35:36], v32 offset:8328
	s_waitcnt lgkmcnt(0)
	v_fma_f64 v[10:11], v[33:34], v[35:36], v[10:11]
	s_or_b64 exec, exec, s[16:17]
	v_cmp_gt_u32_e64 s[10:11], 48, v14
	s_and_saveexec_b64 s[16:17], s[10:11]
	s_cbranch_execz .LBB43_358
.LBB43_1127:
	v_lshlrev_b32_e32 v33, 3, v26
	v_sub_u32_e32 v33, v32, v33
	v_lshl_add_u32 v33, v25, 3, v33
	ds_read_b64 v[33:34], v33 offset:9408
	ds_read_b64 v[35:36], v32 offset:8336
	s_waitcnt lgkmcnt(0)
	v_fma_f64 v[10:11], v[33:34], v[35:36], v[10:11]
	s_or_b64 exec, exec, s[16:17]
	v_cmp_gt_u32_e64 s[10:11], 40, v14
	s_and_saveexec_b64 s[16:17], s[10:11]
	s_cbranch_execz .LBB43_359
.LBB43_1128:
	v_lshlrev_b32_e32 v33, 3, v26
	v_sub_u32_e32 v33, v32, v33
	v_lshl_add_u32 v33, v25, 3, v33
	ds_read_b64 v[33:34], v33 offset:9920
	ds_read_b64 v[35:36], v32 offset:8344
	s_waitcnt lgkmcnt(0)
	v_fma_f64 v[10:11], v[33:34], v[35:36], v[10:11]
	s_or_b64 exec, exec, s[16:17]
	v_cmp_gt_u32_e64 s[10:11], 32, v14
	s_and_saveexec_b64 s[16:17], s[10:11]
	s_cbranch_execz .LBB43_360
.LBB43_1129:
	ds_read_b64 v[33:34], v22 offset:10432
	ds_read_b64 v[35:36], v32 offset:8352
	s_waitcnt lgkmcnt(0)
	v_fma_f64 v[10:11], v[33:34], v[35:36], v[10:11]
	s_or_b64 exec, exec, s[16:17]
	v_cmp_gt_u32_e64 s[10:11], 24, v14
	s_and_saveexec_b64 s[16:17], s[10:11]
	s_cbranch_execz .LBB43_361
.LBB43_1130:
	v_lshlrev_b32_e32 v33, 3, v26
	v_sub_u32_e32 v33, v32, v33
	v_lshl_add_u32 v33, v25, 3, v33
	ds_read_b64 v[33:34], v33 offset:10944
	ds_read_b64 v[35:36], v32 offset:8360
	s_waitcnt lgkmcnt(0)
	v_fma_f64 v[10:11], v[33:34], v[35:36], v[10:11]
	s_or_b64 exec, exec, s[16:17]
	v_cmp_gt_u32_e64 s[10:11], 16, v14
	s_and_saveexec_b64 s[16:17], s[10:11]
	s_cbranch_execz .LBB43_362
.LBB43_1131:
	ds_read_b64 v[33:34], v22 offset:11456
	ds_read_b64 v[35:36], v32 offset:8368
	s_waitcnt lgkmcnt(0)
	v_fma_f64 v[10:11], v[33:34], v[35:36], v[10:11]
	s_or_b64 exec, exec, s[16:17]
	v_cmp_gt_u32_e64 s[10:11], 8, v14
	s_and_saveexec_b64 s[16:17], s[10:11]
	s_cbranch_execnz .LBB43_363
	s_branch .LBB43_364
.LBB43_1132:
	v_lshlrev_b32_e32 v33, 3, v21
	v_sub_u32_e32 v33, v32, v33
	v_lshl_add_u32 v33, v20, 3, v33
	ds_read_b64 v[33:34], v33 offset:13024
	ds_read_b64 v[35:36], v32 offset:12488
	s_waitcnt lgkmcnt(0)
	v_fma_f64 v[10:11], v[33:34], v[35:36], v[10:11]
	s_or_b64 exec, exec, s[16:17]
	v_cmp_gt_u32_e64 s[10:11], 8, v14
	s_and_saveexec_b64 s[16:17], s[10:11]
	s_cbranch_execz .LBB43_416
.LBB43_1133:
	ds_read_b64 v[33:34], v16 offset:13536
	ds_read_b64 v[35:36], v32 offset:12496
	s_waitcnt lgkmcnt(0)
	v_fma_f64 v[10:11], v[33:34], v[35:36], v[10:11]
	s_or_b64 exec, exec, s[16:17]
	v_cmp_gt_u32_e64 s[10:11], 4, v14
	s_and_saveexec_b64 s[16:17], s[10:11]
	s_cbranch_execnz .LBB43_417
	s_branch .LBB43_418
.LBB43_1134:
	ds_read_b64 v[37:38], v32 offset:15104
	ds_read_b64 v[39:40], v36 offset:232
	s_waitcnt lgkmcnt(0)
	v_fma_f64 v[10:11], v[37:38], v[39:40], v[10:11]
	s_or_b64 exec, exec, s[80:81]
	v_cmp_gt_u32_e64 s[16:17], 64, v14
	s_and_saveexec_b64 s[80:81], s[16:17]
	s_cbranch_execz .LBB43_510
.LBB43_1135:
	ds_read_b64 v[37:38], v32 offset:15616
	ds_read_b64 v[39:40], v36 offset:240
	s_waitcnt lgkmcnt(0)
	v_fma_f64 v[10:11], v[37:38], v[39:40], v[10:11]
	s_or_b64 exec, exec, s[80:81]
	v_cmp_gt_u32_e64 s[16:17], 32, v14
	s_and_saveexec_b64 s[80:81], s[16:17]
	s_cbranch_execnz .LBB43_511
	s_branch .LBB43_512
.LBB43_1136:
	v_lshlrev_b32_e32 v33, 3, v21
	v_sub_u32_e32 v33, v32, v33
	v_lshl_add_u32 v33, v20, 3, v33
	ds_read_b64 v[33:34], v33 offset:17184
	ds_read_b64 v[35:36], v32 offset:16648
	s_waitcnt lgkmcnt(0)
	v_fma_f64 v[10:11], v[33:34], v[35:36], v[10:11]
	s_or_b64 exec, exec, s[16:17]
	v_cmp_gt_u32_e64 s[10:11], 8, v14
	s_and_saveexec_b64 s[16:17], s[10:11]
	s_cbranch_execz .LBB43_660
.LBB43_1137:
	ds_read_b64 v[33:34], v16 offset:17696
	ds_read_b64 v[35:36], v32 offset:16656
	s_waitcnt lgkmcnt(0)
	v_fma_f64 v[10:11], v[33:34], v[35:36], v[10:11]
	s_or_b64 exec, exec, s[16:17]
	v_cmp_gt_u32_e64 s[10:11], 4, v14
	s_and_saveexec_b64 s[16:17], s[10:11]
	s_cbranch_execnz .LBB43_661
	s_branch .LBB43_662
.LBB43_1138:
	v_lshlrev_b32_e32 v33, 3, v26
	v_sub_u32_e32 v33, v32, v33
	v_lshl_add_u32 v33, v25, 3, v33
	ds_read_b64 v[33:34], v33 offset:17216
	ds_read_b64 v[35:36], v32 offset:16648
	s_waitcnt lgkmcnt(0)
	v_fma_f64 v[10:11], v[33:34], v[35:36], v[10:11]
	s_or_b64 exec, exec, s[16:17]
	v_cmp_gt_u32_e64 s[10:11], 48, v14
	s_and_saveexec_b64 s[16:17], s[10:11]
	s_cbranch_execz .LBB43_698
.LBB43_1139:
	v_lshlrev_b32_e32 v33, 3, v26
	v_sub_u32_e32 v33, v32, v33
	v_lshl_add_u32 v33, v25, 3, v33
	ds_read_b64 v[33:34], v33 offset:17728
	ds_read_b64 v[35:36], v32 offset:16656
	s_waitcnt lgkmcnt(0)
	v_fma_f64 v[10:11], v[33:34], v[35:36], v[10:11]
	s_or_b64 exec, exec, s[16:17]
	v_cmp_gt_u32_e64 s[10:11], 40, v14
	s_and_saveexec_b64 s[16:17], s[10:11]
	s_cbranch_execz .LBB43_699
.LBB43_1140:
	v_lshlrev_b32_e32 v33, 3, v26
	v_sub_u32_e32 v33, v32, v33
	v_lshl_add_u32 v33, v25, 3, v33
	ds_read_b64 v[33:34], v33 offset:18240
	ds_read_b64 v[35:36], v32 offset:16664
	s_waitcnt lgkmcnt(0)
	v_fma_f64 v[10:11], v[33:34], v[35:36], v[10:11]
	s_or_b64 exec, exec, s[16:17]
	v_cmp_gt_u32_e64 s[10:11], 32, v14
	s_and_saveexec_b64 s[16:17], s[10:11]
	s_cbranch_execz .LBB43_700
.LBB43_1141:
	ds_read_b64 v[33:34], v22 offset:18752
	ds_read_b64 v[35:36], v32 offset:16672
	s_waitcnt lgkmcnt(0)
	v_fma_f64 v[10:11], v[33:34], v[35:36], v[10:11]
	s_or_b64 exec, exec, s[16:17]
	v_cmp_gt_u32_e64 s[10:11], 24, v14
	s_and_saveexec_b64 s[16:17], s[10:11]
	s_cbranch_execz .LBB43_701
.LBB43_1142:
	v_lshlrev_b32_e32 v33, 3, v26
	v_sub_u32_e32 v33, v32, v33
	v_lshl_add_u32 v33, v25, 3, v33
	ds_read_b64 v[33:34], v33 offset:19264
	ds_read_b64 v[35:36], v32 offset:16680
	s_waitcnt lgkmcnt(0)
	v_fma_f64 v[10:11], v[33:34], v[35:36], v[10:11]
	s_or_b64 exec, exec, s[16:17]
	v_cmp_gt_u32_e64 s[10:11], 16, v14
	s_and_saveexec_b64 s[16:17], s[10:11]
	s_cbranch_execz .LBB43_702
.LBB43_1143:
	ds_read_b64 v[33:34], v22 offset:19776
	ds_read_b64 v[35:36], v32 offset:16688
	s_waitcnt lgkmcnt(0)
	v_fma_f64 v[10:11], v[33:34], v[35:36], v[10:11]
	s_or_b64 exec, exec, s[16:17]
	v_cmp_gt_u32_e64 s[10:11], 8, v14
	s_and_saveexec_b64 s[16:17], s[10:11]
	s_cbranch_execnz .LBB43_703
	s_branch .LBB43_704
.LBB43_1144:
	v_lshlrev_b32_e32 v33, 3, v21
	v_sub_u32_e32 v33, v32, v33
	v_lshl_add_u32 v33, v20, 3, v33
	ds_read_b64 v[33:34], v33 offset:21344
	ds_read_b64 v[35:36], v32 offset:20808
	s_waitcnt lgkmcnt(0)
	v_fma_f64 v[10:11], v[33:34], v[35:36], v[10:11]
	s_or_b64 exec, exec, s[16:17]
	v_cmp_gt_u32_e64 s[10:11], 8, v14
	s_and_saveexec_b64 s[16:17], s[10:11]
	s_cbranch_execz .LBB43_756
.LBB43_1145:
	ds_read_b64 v[33:34], v16 offset:21856
	ds_read_b64 v[35:36], v32 offset:20816
	s_waitcnt lgkmcnt(0)
	v_fma_f64 v[10:11], v[33:34], v[35:36], v[10:11]
	s_or_b64 exec, exec, s[16:17]
	v_cmp_gt_u32_e64 s[10:11], 4, v14
	s_and_saveexec_b64 s[16:17], s[10:11]
	s_cbranch_execnz .LBB43_757
	s_branch .LBB43_758
.LBB43_1146:
	v_lshlrev_b32_e32 v31, 3, v28
	v_lshl_add_u32 v31, v30, 3, v31
	ds_read_b64 v[33:34], v31 offset:22400
	ds_read_b64 v[35:36], v32 offset:16728
	s_waitcnt lgkmcnt(0)
	v_fma_f64 v[10:11], v[33:34], v[35:36], v[10:11]
	s_or_b64 exec, exec, s[16:17]
	v_cmp_gt_u32_e64 s[10:11], 64, v14
	s_and_saveexec_b64 s[16:17], s[10:11]
	s_cbranch_execz .LBB43_814
.LBB43_1147:
	ds_read_b64 v[33:34], v27 offset:22912
	ds_read_b64 v[35:36], v32 offset:16736
	s_waitcnt lgkmcnt(0)
	v_fma_f64 v[10:11], v[33:34], v[35:36], v[10:11]
	s_or_b64 exec, exec, s[16:17]
	v_cmp_gt_u32_e64 s[10:11], 48, v14
	s_and_saveexec_b64 s[16:17], s[10:11]
	s_cbranch_execz .LBB43_815
.LBB43_1148:
	v_lshlrev_b32_e32 v31, 3, v28
	v_lshl_add_u32 v30, v30, 3, v31
	ds_read_b64 v[30:31], v30 offset:23424
	ds_read_b64 v[33:34], v32 offset:16744
	s_waitcnt lgkmcnt(0)
	v_fma_f64 v[10:11], v[30:31], v[33:34], v[10:11]
	s_or_b64 exec, exec, s[16:17]
	v_cmp_gt_u32_e64 s[10:11], 32, v14
	s_and_saveexec_b64 s[16:17], s[10:11]
	s_cbranch_execz .LBB43_816
.LBB43_1149:
	ds_read_b64 v[30:31], v27 offset:23936
	ds_read_b64 v[32:33], v32 offset:16752
	s_waitcnt lgkmcnt(0)
	v_fma_f64 v[10:11], v[30:31], v[32:33], v[10:11]
	s_or_b64 exec, exec, s[16:17]
	v_cmp_gt_u32_e64 s[10:11], 16, v14
	s_and_saveexec_b64 s[16:17], s[10:11]
	s_cbranch_execnz .LBB43_817
	s_branch .LBB43_818
.LBB43_1150:
	v_lshlrev_b32_e32 v28, 3, v21
	v_sub_u32_e32 v28, v27, v28
	v_lshl_add_u32 v28, v20, 3, v28
	ds_read_b64 v[28:29], v28 offset:25504
	ds_read_b64 v[30:31], v27 offset:24968
	s_waitcnt lgkmcnt(0)
	v_fma_f64 v[10:11], v[28:29], v[30:31], v[10:11]
	s_or_b64 exec, exec, s[12:13]
	v_cmp_gt_u32_e64 s[8:9], 8, v14
	s_and_saveexec_b64 s[12:13], s[8:9]
	s_cbranch_execz .LBB43_902
.LBB43_1151:
	ds_read_b64 v[28:29], v16 offset:26016
	ds_read_b64 v[30:31], v27 offset:24976
	s_waitcnt lgkmcnt(0)
	v_fma_f64 v[10:11], v[28:29], v[30:31], v[10:11]
	s_or_b64 exec, exec, s[12:13]
	v_cmp_gt_u32_e64 s[8:9], 4, v14
	s_and_saveexec_b64 s[12:13], s[8:9]
	s_cbranch_execnz .LBB43_903
	s_branch .LBB43_904
.LBB43_1152:
	v_lshlrev_b32_e32 v28, 3, v26
	v_sub_u32_e32 v28, v27, v28
	v_lshl_add_u32 v28, v25, 3, v28
	ds_read_b64 v[28:29], v28 offset:25536
	ds_read_b64 v[30:31], v27 offset:24968
	s_waitcnt lgkmcnt(0)
	v_fma_f64 v[10:11], v[28:29], v[30:31], v[10:11]
	s_or_b64 exec, exec, s[12:13]
	v_cmp_gt_u32_e64 s[8:9], 48, v14
	s_and_saveexec_b64 s[12:13], s[8:9]
	s_cbranch_execz .LBB43_940
.LBB43_1153:
	v_lshlrev_b32_e32 v28, 3, v26
	v_sub_u32_e32 v28, v27, v28
	v_lshl_add_u32 v28, v25, 3, v28
	ds_read_b64 v[28:29], v28 offset:26048
	ds_read_b64 v[30:31], v27 offset:24976
	s_waitcnt lgkmcnt(0)
	v_fma_f64 v[10:11], v[28:29], v[30:31], v[10:11]
	s_or_b64 exec, exec, s[12:13]
	v_cmp_gt_u32_e64 s[8:9], 40, v14
	s_and_saveexec_b64 s[12:13], s[8:9]
	s_cbranch_execz .LBB43_941
.LBB43_1154:
	v_lshlrev_b32_e32 v28, 3, v26
	v_sub_u32_e32 v28, v27, v28
	v_lshl_add_u32 v28, v25, 3, v28
	ds_read_b64 v[28:29], v28 offset:26560
	ds_read_b64 v[30:31], v27 offset:24984
	s_waitcnt lgkmcnt(0)
	v_fma_f64 v[10:11], v[28:29], v[30:31], v[10:11]
	s_or_b64 exec, exec, s[12:13]
	v_cmp_gt_u32_e64 s[8:9], 32, v14
	s_and_saveexec_b64 s[12:13], s[8:9]
	s_cbranch_execz .LBB43_942
.LBB43_1155:
	ds_read_b64 v[28:29], v22 offset:27072
	ds_read_b64 v[30:31], v27 offset:24992
	s_waitcnt lgkmcnt(0)
	v_fma_f64 v[10:11], v[28:29], v[30:31], v[10:11]
	s_or_b64 exec, exec, s[12:13]
	v_cmp_gt_u32_e64 s[8:9], 24, v14
	s_and_saveexec_b64 s[12:13], s[8:9]
	s_cbranch_execz .LBB43_943
.LBB43_1156:
	v_lshlrev_b32_e32 v26, 3, v26
	v_sub_u32_e32 v26, v27, v26
	v_lshl_add_u32 v25, v25, 3, v26
	ds_read_b64 v[25:26], v25 offset:27584
	ds_read_b64 v[28:29], v27 offset:25000
	s_waitcnt lgkmcnt(0)
	v_fma_f64 v[10:11], v[25:26], v[28:29], v[10:11]
	s_or_b64 exec, exec, s[12:13]
	v_cmp_gt_u32_e64 s[8:9], 16, v14
	s_and_saveexec_b64 s[12:13], s[8:9]
	s_cbranch_execz .LBB43_944
.LBB43_1157:
	ds_read_b64 v[25:26], v22 offset:28096
	ds_read_b64 v[27:28], v27 offset:25008
	s_waitcnt lgkmcnt(0)
	v_fma_f64 v[10:11], v[25:26], v[27:28], v[10:11]
	s_or_b64 exec, exec, s[12:13]
	v_cmp_gt_u32_e64 s[8:9], 8, v14
	s_and_saveexec_b64 s[12:13], s[8:9]
	s_cbranch_execnz .LBB43_945
	s_branch .LBB43_946
.LBB43_1158:
	v_lshlrev_b32_e32 v21, 3, v21
	v_sub_u32_e32 v21, v22, v21
	v_lshl_add_u32 v20, v20, 3, v21
	ds_read_b64 v[20:21], v20 offset:29664
	ds_read_b64 v[23:24], v22 offset:29128
	s_waitcnt lgkmcnt(0)
	v_fma_f64 v[10:11], v[20:21], v[23:24], v[10:11]
	s_or_b64 exec, exec, s[12:13]
	v_cmp_gt_u32_e64 s[8:9], 8, v14
	s_and_saveexec_b64 s[12:13], s[8:9]
	s_cbranch_execz .LBB43_998
.LBB43_1159:
	ds_read_b64 v[20:21], v16 offset:30176
	ds_read_b64 v[22:23], v22 offset:29136
	s_waitcnt lgkmcnt(0)
	v_fma_f64 v[10:11], v[20:21], v[22:23], v[10:11]
	s_or_b64 exec, exec, s[12:13]
	v_cmp_gt_u32_e64 s[8:9], 4, v14
	s_and_saveexec_b64 s[12:13], s[8:9]
	s_cbranch_execnz .LBB43_999
	s_branch .LBB43_1000
	.section	.rodata,"a",@progbits
	.p2align	6, 0x0
	.amdhsa_kernel _ZL19rocblas_trsv_deviceILi64ELi16ELb1ELb0ELb0ELb1EddPKdPdEviT7_lllT6_T8_lllPii
		.amdhsa_group_segment_fixed_size 41480
		.amdhsa_private_segment_fixed_size 0
		.amdhsa_kernarg_size 352
		.amdhsa_user_sgpr_count 6
		.amdhsa_user_sgpr_private_segment_buffer 1
		.amdhsa_user_sgpr_dispatch_ptr 0
		.amdhsa_user_sgpr_queue_ptr 0
		.amdhsa_user_sgpr_kernarg_segment_ptr 1
		.amdhsa_user_sgpr_dispatch_id 0
		.amdhsa_user_sgpr_flat_scratch_init 0
		.amdhsa_user_sgpr_private_segment_size 0
		.amdhsa_uses_dynamic_stack 0
		.amdhsa_system_sgpr_private_segment_wavefront_offset 0
		.amdhsa_system_sgpr_workgroup_id_x 1
		.amdhsa_system_sgpr_workgroup_id_y 0
		.amdhsa_system_sgpr_workgroup_id_z 1
		.amdhsa_system_sgpr_workgroup_info 0
		.amdhsa_system_vgpr_workitem_id 1
		.amdhsa_next_free_vgpr 49
		.amdhsa_next_free_sgpr 98
		.amdhsa_reserve_vcc 1
		.amdhsa_reserve_flat_scratch 0
		.amdhsa_float_round_mode_32 0
		.amdhsa_float_round_mode_16_64 0
		.amdhsa_float_denorm_mode_32 3
		.amdhsa_float_denorm_mode_16_64 3
		.amdhsa_dx10_clamp 1
		.amdhsa_ieee_mode 1
		.amdhsa_fp16_overflow 0
		.amdhsa_exception_fp_ieee_invalid_op 0
		.amdhsa_exception_fp_denorm_src 0
		.amdhsa_exception_fp_ieee_div_zero 0
		.amdhsa_exception_fp_ieee_overflow 0
		.amdhsa_exception_fp_ieee_underflow 0
		.amdhsa_exception_fp_ieee_inexact 0
		.amdhsa_exception_int_div_zero 0
	.end_amdhsa_kernel
	.section	.text._ZL19rocblas_trsv_deviceILi64ELi16ELb1ELb0ELb0ELb1EddPKdPdEviT7_lllT6_T8_lllPii,"axG",@progbits,_ZL19rocblas_trsv_deviceILi64ELi16ELb1ELb0ELb0ELb1EddPKdPdEviT7_lllT6_T8_lllPii,comdat
.Lfunc_end43:
	.size	_ZL19rocblas_trsv_deviceILi64ELi16ELb1ELb0ELb0ELb1EddPKdPdEviT7_lllT6_T8_lllPii, .Lfunc_end43-_ZL19rocblas_trsv_deviceILi64ELi16ELb1ELb0ELb0ELb1EddPKdPdEviT7_lllT6_T8_lllPii
                                        ; -- End function
	.set _ZL19rocblas_trsv_deviceILi64ELi16ELb1ELb0ELb0ELb1EddPKdPdEviT7_lllT6_T8_lllPii.num_vgpr, 42
	.set _ZL19rocblas_trsv_deviceILi64ELi16ELb1ELb0ELb0ELb1EddPKdPdEviT7_lllT6_T8_lllPii.num_agpr, 0
	.set _ZL19rocblas_trsv_deviceILi64ELi16ELb1ELb0ELb0ELb1EddPKdPdEviT7_lllT6_T8_lllPii.numbered_sgpr, 96
	.set _ZL19rocblas_trsv_deviceILi64ELi16ELb1ELb0ELb0ELb1EddPKdPdEviT7_lllT6_T8_lllPii.num_named_barrier, 0
	.set _ZL19rocblas_trsv_deviceILi64ELi16ELb1ELb0ELb0ELb1EddPKdPdEviT7_lllT6_T8_lllPii.private_seg_size, 0
	.set _ZL19rocblas_trsv_deviceILi64ELi16ELb1ELb0ELb0ELb1EddPKdPdEviT7_lllT6_T8_lllPii.uses_vcc, 1
	.set _ZL19rocblas_trsv_deviceILi64ELi16ELb1ELb0ELb0ELb1EddPKdPdEviT7_lllT6_T8_lllPii.uses_flat_scratch, 0
	.set _ZL19rocblas_trsv_deviceILi64ELi16ELb1ELb0ELb0ELb1EddPKdPdEviT7_lllT6_T8_lllPii.has_dyn_sized_stack, 0
	.set _ZL19rocblas_trsv_deviceILi64ELi16ELb1ELb0ELb0ELb1EddPKdPdEviT7_lllT6_T8_lllPii.has_recursion, 0
	.set _ZL19rocblas_trsv_deviceILi64ELi16ELb1ELb0ELb0ELb1EddPKdPdEviT7_lllT6_T8_lllPii.has_indirect_call, 0
	.section	.AMDGPU.csdata,"",@progbits
; Kernel info:
; codeLenInByte = 30292
; TotalNumSgprs: 100
; NumVgprs: 42
; ScratchSize: 0
; MemoryBound: 0
; FloatMode: 240
; IeeeMode: 1
; LDSByteSize: 41480 bytes/workgroup (compile time only)
; SGPRBlocks: 12
; VGPRBlocks: 12
; NumSGPRsForWavesPerEU: 102
; NumVGPRsForWavesPerEU: 49
; Occupancy: 4
; WaveLimiterHint : 0
; COMPUTE_PGM_RSRC2:SCRATCH_EN: 0
; COMPUTE_PGM_RSRC2:USER_SGPR: 6
; COMPUTE_PGM_RSRC2:TRAP_HANDLER: 0
; COMPUTE_PGM_RSRC2:TGID_X_EN: 1
; COMPUTE_PGM_RSRC2:TGID_Y_EN: 0
; COMPUTE_PGM_RSRC2:TGID_Z_EN: 1
; COMPUTE_PGM_RSRC2:TIDIG_COMP_CNT: 1
	.section	.text._ZL19rocblas_trsv_deviceILi64ELi16ELb1ELb1ELb0ELb1EddPKdPdEviT7_lllT6_T8_lllPii,"axG",@progbits,_ZL19rocblas_trsv_deviceILi64ELi16ELb1ELb1ELb0ELb1EddPKdPdEviT7_lllT6_T8_lllPii,comdat
	.globl	_ZL19rocblas_trsv_deviceILi64ELi16ELb1ELb1ELb0ELb1EddPKdPdEviT7_lllT6_T8_lllPii ; -- Begin function _ZL19rocblas_trsv_deviceILi64ELi16ELb1ELb1ELb0ELb1EddPKdPdEviT7_lllT6_T8_lllPii
	.p2align	8
	.type	_ZL19rocblas_trsv_deviceILi64ELi16ELb1ELb1ELb0ELb1EddPKdPdEviT7_lllT6_T8_lllPii,@function
_ZL19rocblas_trsv_deviceILi64ELi16ELb1ELb1ELb0ELb1EddPKdPdEviT7_lllT6_T8_lllPii: ; @_ZL19rocblas_trsv_deviceILi64ELi16ELb1ELb1ELb0ELb1EddPKdPdEviT7_lllT6_T8_lllPii
; %bb.0:
	s_load_dwordx16 s[36:51], s[4:5], 0x8
	s_load_dword s24, s[4:5], 0x0
	s_mov_b32 s22, s7
	s_mov_b32 s23, 0
	s_load_dword s19, s[4:5], 0x6c
	s_waitcnt lgkmcnt(0)
	s_mul_i32 s0, s43, s7
	s_mul_hi_u32 s1, s42, s7
	s_add_i32 s1, s1, s0
	s_mul_i32 s0, s42, s7
	s_load_dword s7, s[4:5], 0x60
	s_lshl_b64 s[0:1], s[0:1], 3
	s_add_u32 s2, s36, s0
	s_addc_u32 s3, s37, s1
	s_lshl_b64 s[0:1], s[38:39], 3
	s_add_u32 s18, s2, s0
	s_addc_u32 s91, s3, s1
	s_waitcnt lgkmcnt(0)
	s_add_i32 s7, s7, -1
	s_sub_i32 s33, s7, s6
	s_cmp_eq_u32 s6, 0
	s_cbranch_scc1 .LBB44_10
; %bb.1:
	s_lshl_b32 s2, s33, 6
	v_add_u32_e32 v4, s2, v0
	v_ashrrev_i32_e32 v2, 31, v4
	v_mul_lo_u32 v5, s40, v2
	v_mul_lo_u32 v6, s41, v4
	v_mad_u64_u32 v[2:3], s[0:1], s40, v4, 0
	v_add3_u32 v10, v1, s2, 64
	v_ashrrev_i32_e32 v11, 31, v10
	v_add3_u32 v3, v3, v5, v6
	v_lshlrev_b64 v[2:3], 3, v[2:3]
	v_cmp_gt_i32_e32 vcc, s24, v4
	v_mov_b32_e32 v4, s91
	v_add_co_u32_e64 v5, s[0:1], s18, v2
	v_addc_co_u32_e64 v4, s[0:1], v4, v3, s[0:1]
	v_lshlrev_b64 v[2:3], 3, v[10:11]
	v_add_co_u32_e64 v11, s[0:1], v5, v2
	v_addc_co_u32_e64 v12, s[0:1], v4, v3, s[0:1]
	v_cmp_gt_i32_e64 s[0:1], s24, v10
	v_mov_b32_e32 v2, 0
	v_mov_b32_e32 v4, 0
	v_mov_b32_e32 v3, 0
	v_mov_b32_e32 v5, 0
	s_and_b64 s[2:3], s[0:1], vcc
	s_barrier
	s_and_saveexec_b64 s[0:1], s[2:3]
	s_cbranch_execz .LBB44_3
; %bb.2:
	global_load_dwordx2 v[4:5], v[11:12], off
.LBB44_3:
	s_or_b64 exec, exec, s[0:1]
	v_add_u32_e32 v6, 16, v10
	v_cmp_gt_i32_e64 s[0:1], s24, v6
	s_and_b64 s[2:3], s[0:1], vcc
	s_waitcnt vmcnt(0)
	s_barrier
	s_and_saveexec_b64 s[0:1], s[2:3]
	s_cbranch_execz .LBB44_5
; %bb.4:
	global_load_dwordx2 v[2:3], v[11:12], off offset:128
.LBB44_5:
	s_or_b64 exec, exec, s[0:1]
	v_add_u32_e32 v6, 32, v10
	v_cmp_gt_i32_e64 s[0:1], s24, v6
	v_mov_b32_e32 v6, 0
	v_mov_b32_e32 v8, 0
	;; [unrolled: 1-line block ×4, first 2 shown]
	s_and_b64 s[2:3], s[0:1], vcc
	s_waitcnt vmcnt(0)
	s_barrier
	s_and_saveexec_b64 s[0:1], s[2:3]
	s_cbranch_execz .LBB44_7
; %bb.6:
	global_load_dwordx2 v[8:9], v[11:12], off offset:256
.LBB44_7:
	s_or_b64 exec, exec, s[0:1]
	v_add_u32_e32 v10, 48, v10
	v_cmp_gt_i32_e64 s[0:1], s24, v10
	s_and_b64 s[2:3], s[0:1], vcc
	s_waitcnt vmcnt(0)
	s_barrier
	s_and_saveexec_b64 s[0:1], s[2:3]
	s_cbranch_execz .LBB44_9
; %bb.8:
	global_load_dwordx2 v[6:7], v[11:12], off offset:384
.LBB44_9:
	s_or_b64 exec, exec, s[0:1]
	s_branch .LBB44_11
.LBB44_10:
                                        ; implicit-def: $vgpr6_vgpr7
                                        ; implicit-def: $vgpr8_vgpr9
                                        ; implicit-def: $vgpr2_vgpr3
                                        ; implicit-def: $vgpr4_vgpr5
.LBB44_11:
	s_ashr_i32 s25, s24, 31
	s_lshr_b32 s0, s25, 26
	s_add_i32 s0, s24, s0
	s_andn2_b32 s0, s0, 63
	s_sub_i32 s90, s24, s0
	s_add_i32 s0, s24, -1
	s_ashr_i32 s1, s0, 31
	s_lshr_b32 s1, s1, 26
	s_add_i32 s0, s0, s1
	s_ashr_i32 s0, s0, 6
	s_cmp_eq_u32 s0, s33
	s_cselect_b64 s[0:1], -1, 0
	s_cmp_lg_u32 s90, 0
	s_cselect_b64 s[2:3], -1, 0
	s_and_b64 s[26:27], s[2:3], s[0:1]
	s_cmp_lt_i32 s6, 5
	s_cselect_b64 s[2:3], -1, 0
	s_mov_b64 s[12:13], -1
	s_or_b64 s[0:1], s[2:3], s[26:27]
	v_lshlrev_b32_e32 v14, 6, v0
	s_and_b64 vcc, exec, s[26:27]
	v_cmp_le_u32_e64 s[8:9], v0, v1
	s_cbranch_vccnz .LBB44_33
; %bb.12:
	s_add_u32 s10, s40, 1
	s_addc_u32 s11, s41, 0
	s_lshl_b32 s12, s33, 6
	s_ashr_i32 s13, s12, 31
	s_mul_hi_u32 s14, s10, s12
	s_mul_i32 s13, s10, s13
	s_add_i32 s13, s14, s13
	s_mul_i32 s11, s11, s12
	s_add_i32 s11, s13, s11
	s_mul_i32 s10, s10, s12
	s_lshl_b64 s[10:11], s[10:11], 3
	s_add_u32 s10, s18, s10
	s_addc_u32 s11, s91, s11
	v_lshlrev_b32_e32 v10, 3, v0
	v_mov_b32_e32 v11, s11
	v_add_co_u32_e32 v10, vcc, s10, v10
	v_addc_co_u32_e32 v11, vcc, 0, v11, vcc
	s_mov_b64 s[10:11], 0
	s_and_saveexec_b64 s[12:13], s[8:9]
	s_xor_b64 s[8:9], exec, s[12:13]
; %bb.13:
	v_or_b32_e32 v12, v1, v0
	v_cmp_gt_u32_e32 vcc, 64, v12
	s_and_b64 s[10:11], vcc, exec
; %bb.14:
	s_or_saveexec_b64 s[8:9], s[8:9]
	v_mov_b32_e32 v12, 0
	v_mov_b32_e32 v13, 0
	s_xor_b64 exec, exec, s[8:9]
	s_cbranch_execz .LBB44_16
; %bb.15:
	v_mad_u64_u32 v[12:13], s[12:13], s40, v1, 0
	s_or_b64 s[10:11], s[10:11], exec
	v_mad_u64_u32 v[15:16], s[12:13], s41, v1, v[13:14]
	v_mov_b32_e32 v13, v15
	v_lshlrev_b64 v[12:13], 3, v[12:13]
	v_add_co_u32_e32 v12, vcc, v10, v12
	v_addc_co_u32_e32 v13, vcc, v11, v13, vcc
	global_load_dwordx2 v[12:13], v[12:13], off
	s_waitcnt vmcnt(0)
	v_xor_b32_e32 v13, 0x80000000, v13
.LBB44_16:
	s_or_b64 exec, exec, s[8:9]
	s_and_saveexec_b64 s[8:9], s[10:11]
; %bb.17:
	v_add_u32_e32 v15, v1, v14
	v_lshl_add_u32 v16, v1, 6, v0
	v_cndmask_b32_e64 v15, v16, v15, s[2:3]
	v_lshlrev_b32_e32 v15, 3, v15
	ds_write_b64 v15, v[12:13]
; %bb.18:
	s_or_b64 exec, exec, s[8:9]
	v_add_u32_e32 v15, 16, v1
	v_cmp_le_u32_e32 vcc, v0, v15
	s_mov_b64 s[2:3], 0
	s_and_saveexec_b64 s[8:9], vcc
	s_xor_b64 s[8:9], exec, s[8:9]
; %bb.19:
	v_or_b32_e32 v12, v15, v0
	v_cmp_gt_u32_e32 vcc, 64, v12
	s_and_b64 s[2:3], vcc, exec
; %bb.20:
	s_or_saveexec_b64 s[8:9], s[8:9]
	v_mov_b32_e32 v12, 0
	v_mov_b32_e32 v13, 0
	s_xor_b64 exec, exec, s[8:9]
	s_cbranch_execz .LBB44_22
; %bb.21:
	v_mad_u64_u32 v[12:13], s[10:11], s40, v15, 0
	s_or_b64 s[2:3], s[2:3], exec
	v_mad_u64_u32 v[16:17], s[10:11], s41, v15, v[13:14]
	v_mov_b32_e32 v13, v16
	v_lshlrev_b64 v[12:13], 3, v[12:13]
	v_add_co_u32_e32 v12, vcc, v10, v12
	v_addc_co_u32_e32 v13, vcc, v11, v13, vcc
	global_load_dwordx2 v[12:13], v[12:13], off
	s_waitcnt vmcnt(0)
	v_xor_b32_e32 v13, 0x80000000, v13
.LBB44_22:
	s_or_b64 exec, exec, s[8:9]
	s_and_saveexec_b64 s[8:9], s[2:3]
; %bb.23:
	v_add_u32_e32 v16, v15, v14
	v_lshl_add_u32 v15, v15, 6, v0
	v_cndmask_b32_e64 v15, v15, v16, s[0:1]
	v_lshlrev_b32_e32 v15, 3, v15
	ds_write_b64 v15, v[12:13]
; %bb.24:
	s_or_b64 exec, exec, s[8:9]
	v_add_u32_e32 v15, 32, v1
	v_cmp_le_u32_e32 vcc, v0, v15
	s_mov_b64 s[2:3], 0
	s_and_saveexec_b64 s[8:9], vcc
	s_xor_b64 s[8:9], exec, s[8:9]
; %bb.25:
	v_or_b32_e32 v12, v15, v0
	v_cmp_gt_u32_e32 vcc, 64, v12
	s_and_b64 s[2:3], vcc, exec
; %bb.26:
	s_or_saveexec_b64 s[8:9], s[8:9]
	v_mov_b32_e32 v12, 0
	v_mov_b32_e32 v13, 0
	s_xor_b64 exec, exec, s[8:9]
	s_cbranch_execz .LBB44_28
; %bb.27:
	v_mad_u64_u32 v[12:13], s[10:11], s40, v15, 0
	s_or_b64 s[2:3], s[2:3], exec
	v_mad_u64_u32 v[16:17], s[10:11], s41, v15, v[13:14]
	v_mov_b32_e32 v13, v16
	v_lshlrev_b64 v[12:13], 3, v[12:13]
	v_add_co_u32_e32 v12, vcc, v10, v12
	v_addc_co_u32_e32 v13, vcc, v11, v13, vcc
	global_load_dwordx2 v[12:13], v[12:13], off
	s_waitcnt vmcnt(0)
	v_xor_b32_e32 v13, 0x80000000, v13
.LBB44_28:
	s_or_b64 exec, exec, s[8:9]
	s_and_saveexec_b64 s[8:9], s[2:3]
; %bb.29:
	v_add_u32_e32 v16, v15, v14
	v_lshl_add_u32 v15, v15, 6, v0
	v_cndmask_b32_e64 v15, v15, v16, s[0:1]
	v_lshlrev_b32_e32 v15, 3, v15
	ds_write_b64 v15, v[12:13]
; %bb.30:
	s_or_b64 exec, exec, s[8:9]
	v_add_u32_e32 v15, 48, v1
	v_add_u32_e32 v12, v15, v14
	v_lshl_add_u32 v13, v15, 6, v0
	v_cmp_le_u32_e32 vcc, v0, v15
	s_mov_b64 s[2:3], -1
	s_mov_b64 s[12:13], 0
	s_mov_b64 s[10:11], 0
	s_and_saveexec_b64 s[8:9], vcc
	s_xor_b64 s[8:9], exec, s[8:9]
; %bb.31:
	v_or_b32_e32 v16, v15, v0
	v_cmp_gt_u32_e32 vcc, 64, v16
	s_and_b64 s[10:11], vcc, exec
	s_xor_b64 s[2:3], exec, -1
; %bb.32:
	s_or_b64 exec, exec, s[8:9]
	v_cndmask_b32_e64 v16, v13, v12, s[0:1]
	s_and_b64 vcc, exec, s[12:13]
	s_cbranch_vccnz .LBB44_34
	s_branch .LBB44_55
.LBB44_33:
	s_mov_b64 s[2:3], 0
	s_mov_b64 s[10:11], 0
                                        ; implicit-def: $vgpr16
                                        ; implicit-def: $vgpr10_vgpr11
                                        ; implicit-def: $vgpr15
	s_and_b64 vcc, exec, s[12:13]
	s_cbranch_vccz .LBB44_55
.LBB44_34:
	s_add_u32 s2, s40, 1
	s_addc_u32 s3, s41, 0
	s_lshl_b32 s8, s33, 6
	s_ashr_i32 s9, s8, 31
	s_mul_hi_u32 s12, s2, s8
	s_mul_i32 s9, s2, s9
	s_add_i32 s9, s12, s9
	s_mul_i32 s3, s3, s8
	s_add_i32 s3, s9, s3
	s_mul_i32 s2, s2, s8
	s_lshl_b64 s[2:3], s[2:3], 3
	s_add_u32 s2, s18, s2
	s_addc_u32 s3, s91, s3
	v_lshlrev_b32_e32 v10, 3, v0
	v_mov_b32_e32 v11, s3
	v_add_co_u32_e64 v10, s[2:3], s2, v10
	v_addc_co_u32_e64 v11, s[2:3], 0, v11, s[2:3]
	v_max_i32_e32 v12, v1, v0
	v_cmp_le_u32_e64 s[2:3], v0, v1
	v_cmp_le_i32_e64 s[8:9], s90, v12
	v_cmp_gt_i32_e32 vcc, s90, v0
	s_or_b64 s[2:3], s[8:9], s[2:3]
	s_mov_b64 s[8:9], 0
	s_and_saveexec_b64 s[12:13], s[2:3]
	s_xor_b64 s[12:13], exec, s[12:13]
; %bb.35:
	v_or_b32_e32 v12, v1, v0
	v_cmp_gt_u32_e64 s[2:3], 64, v12
	s_and_b64 s[8:9], s[2:3], exec
; %bb.36:
	s_or_saveexec_b64 s[12:13], s[12:13]
	v_mov_b32_e32 v12, 0
	v_mov_b32_e32 v13, 0
	s_xor_b64 exec, exec, s[12:13]
	s_cbranch_execz .LBB44_38
; %bb.37:
	v_mad_u64_u32 v[12:13], s[2:3], s40, v1, 0
	s_or_b64 s[8:9], s[8:9], exec
	v_mad_u64_u32 v[15:16], s[2:3], s41, v1, v[13:14]
	v_mov_b32_e32 v13, v15
	v_lshlrev_b64 v[12:13], 3, v[12:13]
	v_add_co_u32_e64 v12, s[2:3], v10, v12
	v_addc_co_u32_e64 v13, s[2:3], v11, v13, s[2:3]
	global_load_dwordx2 v[12:13], v[12:13], off
	s_waitcnt vmcnt(0)
	v_xor_b32_e32 v13, 0x80000000, v13
.LBB44_38:
	s_or_b64 exec, exec, s[12:13]
	s_and_saveexec_b64 s[2:3], s[8:9]
; %bb.39:
	v_lshlrev_b32_e32 v15, 3, v14
	v_lshl_add_u32 v15, v1, 3, v15
	ds_write_b64 v15, v[12:13]
; %bb.40:
	s_or_b64 exec, exec, s[2:3]
	v_add_u32_e32 v15, 16, v1
	v_cmp_gt_u32_e64 s[2:3], v0, v15
	v_cmp_gt_i32_e64 s[8:9], s90, v15
	s_and_b64 s[2:3], s[2:3], s[8:9]
	s_and_b64 s[2:3], s[2:3], vcc
	s_xor_b64 s[2:3], s[2:3], -1
	s_mov_b64 s[8:9], 0
	s_and_saveexec_b64 s[12:13], s[2:3]
	s_xor_b64 s[12:13], exec, s[12:13]
; %bb.41:
	v_or_b32_e32 v12, v15, v0
	v_cmp_gt_u32_e64 s[2:3], 64, v12
	s_and_b64 s[8:9], s[2:3], exec
; %bb.42:
	s_or_saveexec_b64 s[12:13], s[12:13]
	v_mov_b32_e32 v12, 0
	v_mov_b32_e32 v13, 0
	s_xor_b64 exec, exec, s[12:13]
	s_cbranch_execz .LBB44_44
; %bb.43:
	v_mad_u64_u32 v[12:13], s[2:3], s40, v15, 0
	s_or_b64 s[8:9], s[8:9], exec
	v_mad_u64_u32 v[16:17], s[2:3], s41, v15, v[13:14]
	v_mov_b32_e32 v13, v16
	v_lshlrev_b64 v[12:13], 3, v[12:13]
	v_add_co_u32_e64 v12, s[2:3], v10, v12
	v_addc_co_u32_e64 v13, s[2:3], v11, v13, s[2:3]
	global_load_dwordx2 v[12:13], v[12:13], off
	s_waitcnt vmcnt(0)
	v_xor_b32_e32 v13, 0x80000000, v13
.LBB44_44:
	s_or_b64 exec, exec, s[12:13]
	s_and_saveexec_b64 s[2:3], s[8:9]
; %bb.45:
	v_add_u32_e32 v16, v15, v14
	v_lshl_add_u32 v15, v15, 6, v0
	v_cndmask_b32_e64 v15, v15, v16, s[0:1]
	v_lshlrev_b32_e32 v15, 3, v15
	ds_write_b64 v15, v[12:13]
; %bb.46:
	s_or_b64 exec, exec, s[2:3]
	v_add_u32_e32 v15, 32, v1
	v_cmp_gt_u32_e64 s[2:3], v0, v15
	v_cmp_gt_i32_e64 s[8:9], s90, v15
	s_and_b64 s[2:3], s[2:3], s[8:9]
	s_and_b64 s[2:3], s[2:3], vcc
	s_xor_b64 s[2:3], s[2:3], -1
	s_mov_b64 s[8:9], 0
	s_and_saveexec_b64 s[12:13], s[2:3]
	s_xor_b64 s[12:13], exec, s[12:13]
; %bb.47:
	v_or_b32_e32 v12, v15, v0
	v_cmp_gt_u32_e64 s[2:3], 64, v12
	s_and_b64 s[8:9], s[2:3], exec
; %bb.48:
	s_or_saveexec_b64 s[12:13], s[12:13]
	v_mov_b32_e32 v12, 0
	v_mov_b32_e32 v13, 0
	s_xor_b64 exec, exec, s[12:13]
	s_cbranch_execz .LBB44_50
; %bb.49:
	v_mad_u64_u32 v[12:13], s[2:3], s40, v15, 0
	s_or_b64 s[8:9], s[8:9], exec
	v_mad_u64_u32 v[16:17], s[2:3], s41, v15, v[13:14]
	v_mov_b32_e32 v13, v16
	v_lshlrev_b64 v[12:13], 3, v[12:13]
	v_add_co_u32_e64 v12, s[2:3], v10, v12
	v_addc_co_u32_e64 v13, s[2:3], v11, v13, s[2:3]
	global_load_dwordx2 v[12:13], v[12:13], off
	s_waitcnt vmcnt(0)
	v_xor_b32_e32 v13, 0x80000000, v13
.LBB44_50:
	s_or_b64 exec, exec, s[12:13]
	s_and_saveexec_b64 s[2:3], s[8:9]
; %bb.51:
	v_add_u32_e32 v16, v15, v14
	v_lshl_add_u32 v15, v15, 6, v0
	v_cndmask_b32_e64 v15, v15, v16, s[0:1]
	v_lshlrev_b32_e32 v15, 3, v15
	ds_write_b64 v15, v[12:13]
; %bb.52:
	s_or_b64 exec, exec, s[2:3]
	v_add_u32_e32 v15, 48, v1
	v_cmp_gt_u32_e64 s[2:3], v0, v15
	v_cmp_gt_i32_e64 s[8:9], s90, v15
	s_and_b64 s[2:3], s[2:3], s[8:9]
	s_and_b64 s[8:9], s[2:3], vcc
	v_add_u32_e32 v12, v15, v14
	v_lshl_add_u32 v13, v15, 6, v0
	s_mov_b64 s[2:3], -1
	s_xor_b64 s[12:13], s[8:9], -1
	s_and_saveexec_b64 s[8:9], s[12:13]
; %bb.53:
	v_or_b32_e32 v14, v15, v0
	v_cmp_gt_u32_e32 vcc, 64, v14
	s_andn2_b64 s[2:3], s[10:11], exec
	s_and_b64 s[10:11], vcc, exec
	s_or_b64 s[10:11], s[2:3], s[10:11]
	s_xor_b64 s[2:3], exec, -1
; %bb.54:
	s_or_b64 exec, exec, s[8:9]
	v_cndmask_b32_e64 v16, v13, v12, s[0:1]
.LBB44_55:
	v_mov_b32_e32 v12, 0
	v_mov_b32_e32 v13, 0
	s_and_saveexec_b64 s[8:9], s[2:3]
	s_cbranch_execnz .LBB44_1139
; %bb.56:
	s_or_b64 exec, exec, s[8:9]
	s_xor_b64 s[0:1], s[0:1], -1
	s_and_saveexec_b64 s[2:3], s[10:11]
.LBB44_57:
	v_lshlrev_b32_e32 v10, 3, v16
	ds_write_b64 v10, v[12:13]
.LBB44_58:
	s_or_b64 exec, exec, s[2:3]
	v_cndmask_b32_e64 v10, 0, 1, s[0:1]
	v_cmp_ne_u32_e64 s[38:39], 1, v10
	s_andn2_b64 vcc, exec, s[0:1]
	s_waitcnt vmcnt(0) lgkmcnt(0)
	s_barrier
	s_cbranch_vccnz .LBB44_1096
; %bb.59:
	v_or_b32_e32 v10, v0, v1
	v_cmp_eq_u32_e32 vcc, 0, v10
	s_and_saveexec_b64 s[0:1], vcc
	s_cbranch_execz .LBB44_61
; %bb.60:
	v_mov_b32_e32 v12, 0
	ds_read_b64 v[10:11], v12 offset:8
	v_mov_b32_e32 v13, 0x3ff00000
	ds_write_b64 v12, v[12:13]
	s_waitcnt lgkmcnt(1)
	ds_write_b128 v12, v[10:13] offset:512
.LBB44_61:
	s_or_b64 exec, exec, s[0:1]
	v_lshl_add_u32 v14, v1, 6, v0
	v_and_b32_e32 v16, 1, v0
	v_lshrrev_b32_e32 v15, 1, v14
	v_lshlrev_b32_e32 v12, 3, v16
	v_mov_b32_e32 v10, 0
	v_cmp_lt_u32_e64 s[8:9], 3, v14
	v_cmp_gt_u32_e64 s[2:3], 4, v14
	v_mov_b32_e32 v11, 0
	v_lshl_or_b32 v12, v15, 9, v12
	s_waitcnt lgkmcnt(0)
	s_barrier
	s_and_saveexec_b64 s[0:1], s[2:3]
	s_cbranch_execz .LBB44_65
; %bb.62:
	v_mul_u32_u24_e32 v13, 0x208, v15
	ds_read_b64 v[10:11], v12 offset:16
	ds_read_b64 v[17:18], v13
	v_cmp_gt_u32_e64 s[10:11], 2, v14
	s_waitcnt lgkmcnt(0)
	v_fma_f64 v[10:11], v[10:11], v[17:18], 0
	s_and_saveexec_b64 s[12:13], s[10:11]
	s_cbranch_execz .LBB44_64
; %bb.63:
	v_lshlrev_b32_e32 v13, 3, v0
	v_mov_b32_e32 v19, 0
	ds_read_b64 v[17:18], v13 offset:528
	ds_read_b64 v[19:20], v19 offset:8
	s_waitcnt lgkmcnt(0)
	v_fma_f64 v[10:11], v[17:18], v[19:20], v[10:11]
.LBB44_64:
	s_or_b64 exec, exec, s[12:13]
	v_xor_b32_e32 v11, 0x80000000, v11
.LBB44_65:
                                        ; implicit-def: $vgpr40 : SGPR spill to VGPR lane
	v_writelane_b32 v40, s18, 0
	s_or_b64 exec, exec, s[0:1]
	v_mov_b32_e32 v13, 0x8000
	v_cmp_eq_u32_e64 s[10:11], 0, v16
	s_xor_b64 s[0:1], s[8:9], -1
	v_lshl_add_u32 v13, v15, 3, v13
	s_and_b64 s[30:31], s[10:11], s[0:1]
	s_and_saveexec_b64 s[8:9], s[30:31]
; %bb.66:
	ds_write_b64 v13, v[10:11]
; %bb.67:
	s_or_b64 exec, exec, s[8:9]
	v_cmp_ne_u32_e64 s[8:9], 0, v16
	s_and_b64 s[28:29], s[8:9], s[0:1]
	s_waitcnt lgkmcnt(0)
	s_barrier
	s_and_saveexec_b64 s[0:1], s[28:29]
	s_cbranch_execz .LBB44_69
; %bb.68:
	v_mov_b32_e32 v16, 0
	ds_read_b64 v[16:17], v16 offset:1048
	ds_read_b64 v[18:19], v13
	s_waitcnt lgkmcnt(0)
	v_fma_f64 v[10:11], v[16:17], v[18:19], v[10:11]
.LBB44_69:
	s_or_b64 exec, exec, s[0:1]
	s_barrier
	s_and_saveexec_b64 s[0:1], s[28:29]
; %bb.70:
	ds_write_b64 v13, v[10:11]
; %bb.71:
	s_or_b64 exec, exec, s[0:1]
	s_waitcnt lgkmcnt(0)
	s_barrier
	s_barrier
	s_and_saveexec_b64 s[0:1], s[2:3]
; %bb.72:
	v_xor_b32_e32 v11, 0x80000000, v11
	ds_write_b64 v12, v[10:11] offset:16
; %bb.73:
	s_or_b64 exec, exec, s[0:1]
	v_cmp_eq_u32_e64 s[12:13], 0, v1
	v_cmp_gt_u32_e64 s[8:9], 2, v0
	s_and_b64 s[34:35], s[12:13], s[8:9]
	s_waitcnt lgkmcnt(0)
	s_barrier
	s_barrier
	s_and_saveexec_b64 s[0:1], s[34:35]
	s_cbranch_execz .LBB44_75
; %bb.74:
	v_lshlrev_b32_e32 v16, 3, v0
	s_movk_i32 s8, 0x1f8
	v_mad_u32_u24 v17, v0, s8, v16
	ds_read_b64 v[10:11], v17 offset:16
	s_waitcnt lgkmcnt(0)
	ds_write_b64 v16, v[10:11] offset:1024
	ds_read_b64 v[10:11], v17 offset:24
	s_waitcnt lgkmcnt(0)
	ds_write_b64 v16, v[10:11] offset:1536
.LBB44_75:
	s_or_b64 exec, exec, s[0:1]
	s_waitcnt lgkmcnt(0)
	s_barrier
	s_and_saveexec_b64 s[0:1], vcc
	s_cbranch_execz .LBB44_77
; %bb.76:
	v_mov_b32_e32 v18, 0
	ds_read_b64 v[16:17], v18 offset:1048
	v_mov_b32_e32 v19, 0x3ff00000
	ds_write_b64 v18, v[18:19] offset:1040
	s_waitcnt lgkmcnt(1)
	ds_write_b128 v18, v[16:19] offset:1552
.LBB44_77:
	s_or_b64 exec, exec, s[0:1]
	v_and_b32_e32 v19, 3, v0
	v_lshrrev_b32_e32 v20, 2, v14
	v_lshlrev_b32_e32 v17, 3, v19
	v_mov_b32_e32 v10, 0
	v_cmp_lt_u32_e64 s[8:9], 15, v14
	v_cmp_gt_u32_e64 s[18:19], 16, v14
	v_mov_b32_e32 v11, 0
	v_lshl_or_b32 v16, v20, 9, v17
	s_waitcnt lgkmcnt(0)
	s_barrier
	s_and_saveexec_b64 s[0:1], s[18:19]
	s_cbranch_execz .LBB44_83
; %bb.78:
	v_mul_u32_u24_e32 v18, 0x208, v20
	ds_read_b64 v[10:11], v16 offset:32
	ds_read_b64 v[21:22], v18
	v_cmp_gt_u32_e64 s[10:11], 12, v14
	s_waitcnt lgkmcnt(0)
	v_fma_f64 v[10:11], v[10:11], v[21:22], 0
	s_and_saveexec_b64 s[14:15], s[10:11]
	s_cbranch_execnz .LBB44_1170
; %bb.79:
	s_or_b64 exec, exec, s[14:15]
	v_cmp_gt_u32_e64 s[10:11], 8, v14
	s_and_saveexec_b64 s[14:15], s[10:11]
	s_cbranch_execnz .LBB44_1171
.LBB44_80:
	s_or_b64 exec, exec, s[14:15]
	v_cmp_gt_u32_e64 s[10:11], 4, v14
	s_and_saveexec_b64 s[14:15], s[10:11]
	s_cbranch_execz .LBB44_82
.LBB44_81:
	v_lshlrev_b32_e32 v18, 3, v0
	v_mov_b32_e32 v23, 0
	ds_read_b64 v[21:22], v18 offset:1568
	ds_read_b64 v[23:24], v23 offset:24
	s_waitcnt lgkmcnt(0)
	v_fma_f64 v[10:11], v[21:22], v[23:24], v[10:11]
.LBB44_82:
	s_or_b64 exec, exec, s[14:15]
	v_xor_b32_e32 v11, 0x80000000, v11
.LBB44_83:
	v_writelane_b32 v40, s38, 1
	v_writelane_b32 v40, s39, 2
	s_or_b64 exec, exec, s[0:1]
	v_mov_b32_e32 v18, 0x8000
	v_cmp_eq_u32_e64 s[10:11], 0, v19
	s_xor_b64 s[0:1], s[8:9], -1
	v_lshl_add_u32 v18, v20, 3, v18
	s_and_b64 s[38:39], s[10:11], s[0:1]
	s_and_saveexec_b64 s[8:9], s[38:39]
; %bb.84:
	ds_write_b64 v18, v[10:11]
; %bb.85:
	s_or_b64 exec, exec, s[8:9]
	v_cmp_ne_u32_e64 s[8:9], 0, v19
	s_and_b64 s[42:43], s[8:9], s[0:1]
	s_waitcnt lgkmcnt(0)
	s_barrier
	s_and_saveexec_b64 s[8:9], s[42:43]
	s_cbranch_execz .LBB44_87
; %bb.86:
	ds_read_b64 v[21:22], v17 offset:2080
	ds_read_b64 v[23:24], v18
	s_waitcnt lgkmcnt(0)
	v_fma_f64 v[10:11], v[21:22], v[23:24], v[10:11]
.LBB44_87:
	s_or_b64 exec, exec, s[8:9]
	v_cmp_eq_u32_e64 s[8:9], 1, v19
	s_and_b64 s[52:53], s[8:9], s[0:1]
	s_barrier
	s_and_saveexec_b64 s[8:9], s[52:53]
; %bb.88:
	ds_write_b64 v18, v[10:11]
; %bb.89:
	s_or_b64 exec, exec, s[8:9]
	v_cmp_lt_u32_e64 s[8:9], 1, v19
	s_and_b64 s[54:55], s[8:9], s[0:1]
	s_waitcnt lgkmcnt(0)
	s_barrier
	s_and_saveexec_b64 s[8:9], s[54:55]
	s_cbranch_execz .LBB44_91
; %bb.90:
	ds_read_b64 v[21:22], v17 offset:2592
	ds_read_b64 v[23:24], v18
	s_waitcnt lgkmcnt(0)
	v_fma_f64 v[10:11], v[21:22], v[23:24], v[10:11]
.LBB44_91:
	s_or_b64 exec, exec, s[8:9]
	v_cmp_eq_u32_e64 s[8:9], 2, v19
	s_and_b64 s[56:57], s[8:9], s[0:1]
	s_barrier
	s_and_saveexec_b64 s[8:9], s[56:57]
; %bb.92:
	ds_write_b64 v18, v[10:11]
; %bb.93:
	s_or_b64 exec, exec, s[8:9]
	v_cmp_eq_u32_e64 s[8:9], 3, v19
	s_and_b64 s[36:37], s[8:9], s[0:1]
	s_waitcnt lgkmcnt(0)
	s_barrier
	s_and_saveexec_b64 s[0:1], s[36:37]
	s_cbranch_execz .LBB44_95
; %bb.94:
	v_mov_b32_e32 v21, 0
	ds_read_b64 v[21:22], v21 offset:3128
	ds_read_b64 v[23:24], v18
	s_waitcnt lgkmcnt(0)
	v_fma_f64 v[10:11], v[21:22], v[23:24], v[10:11]
.LBB44_95:
	s_or_b64 exec, exec, s[0:1]
	s_barrier
	s_and_saveexec_b64 s[0:1], s[36:37]
; %bb.96:
	ds_write_b64 v18, v[10:11]
; %bb.97:
	s_or_b64 exec, exec, s[0:1]
	s_waitcnt lgkmcnt(0)
	s_barrier
	s_barrier
	s_and_saveexec_b64 s[0:1], s[18:19]
; %bb.98:
	v_xor_b32_e32 v11, 0x80000000, v11
	ds_write_b64 v16, v[10:11] offset:32
; %bb.99:
	s_or_b64 exec, exec, s[0:1]
	v_cmp_gt_u32_e64 s[8:9], 4, v0
	s_and_b64 s[58:59], s[12:13], s[8:9]
	s_waitcnt lgkmcnt(0)
	s_barrier
	s_barrier
	s_and_saveexec_b64 s[0:1], s[58:59]
	s_cbranch_execz .LBB44_101
; %bb.100:
	v_lshlrev_b32_e32 v21, 9, v0
	ds_read_b64 v[10:11], v21 offset:32
	s_movk_i32 s8, 0xfe08
	v_mad_i32_i24 v22, v0, s8, v21
	s_waitcnt lgkmcnt(0)
	ds_write_b64 v22, v[10:11] offset:2048
	ds_read_b64 v[10:11], v21 offset:40
	s_waitcnt lgkmcnt(0)
	ds_write_b64 v22, v[10:11] offset:2560
	ds_read_b64 v[10:11], v21 offset:48
	;; [unrolled: 3-line block ×3, first 2 shown]
	s_waitcnt lgkmcnt(0)
	ds_write_b64 v22, v[10:11] offset:3584
.LBB44_101:
	s_or_b64 exec, exec, s[0:1]
	s_waitcnt lgkmcnt(0)
	s_barrier
	s_and_saveexec_b64 s[0:1], vcc
	s_cbranch_execz .LBB44_103
; %bb.102:
	v_mov_b32_e32 v23, 0
	ds_read_b64 v[21:22], v23 offset:2088
	v_mov_b32_e32 v24, 0x3ff00000
	ds_write_b64 v23, v[23:24] offset:2080
	s_waitcnt lgkmcnt(1)
	ds_write_b128 v23, v[21:24] offset:2592
.LBB44_103:
	s_or_b64 exec, exec, s[0:1]
	v_mov_b32_e32 v10, 0
	v_mov_b32_e32 v11, 0
	s_waitcnt lgkmcnt(0)
	s_barrier
	s_and_saveexec_b64 s[0:1], s[2:3]
	s_cbranch_execz .LBB44_107
; %bb.104:
	v_mul_u32_u24_e32 v21, 0x208, v15
	ds_read_b64 v[10:11], v12 offset:2096
	ds_read_b64 v[21:22], v21 offset:2080
	v_cmp_gt_u32_e64 s[8:9], 2, v14
	s_waitcnt lgkmcnt(0)
	v_fma_f64 v[10:11], v[10:11], v[21:22], 0
	s_and_saveexec_b64 s[10:11], s[8:9]
	s_cbranch_execz .LBB44_106
; %bb.105:
	v_lshlrev_b32_e32 v21, 3, v0
	v_mov_b32_e32 v23, 0
	ds_read_b64 v[21:22], v21 offset:2608
	ds_read_b64 v[23:24], v23 offset:2088
	s_waitcnt lgkmcnt(0)
	v_fma_f64 v[10:11], v[21:22], v[23:24], v[10:11]
.LBB44_106:
	s_or_b64 exec, exec, s[10:11]
	v_xor_b32_e32 v11, 0x80000000, v11
.LBB44_107:
	s_or_b64 exec, exec, s[0:1]
	s_and_saveexec_b64 s[0:1], s[30:31]
; %bb.108:
	ds_write_b64 v13, v[10:11]
; %bb.109:
	s_or_b64 exec, exec, s[0:1]
	s_waitcnt lgkmcnt(0)
	s_barrier
	s_and_saveexec_b64 s[0:1], s[28:29]
	s_cbranch_execz .LBB44_111
; %bb.110:
	v_mov_b32_e32 v21, 0
	ds_read_b64 v[21:22], v21 offset:3128
	ds_read_b64 v[23:24], v13
	s_waitcnt lgkmcnt(0)
	v_fma_f64 v[10:11], v[21:22], v[23:24], v[10:11]
.LBB44_111:
	s_or_b64 exec, exec, s[0:1]
	s_barrier
	s_and_saveexec_b64 s[0:1], s[28:29]
; %bb.112:
	ds_write_b64 v13, v[10:11]
; %bb.113:
	s_or_b64 exec, exec, s[0:1]
	s_waitcnt lgkmcnt(0)
	s_barrier
	s_barrier
	s_and_saveexec_b64 s[0:1], s[2:3]
; %bb.114:
	v_xor_b32_e32 v11, 0x80000000, v11
	ds_write_b64 v12, v[10:11] offset:2096
; %bb.115:
	s_or_b64 exec, exec, s[0:1]
	s_waitcnt lgkmcnt(0)
	s_barrier
	s_barrier
	s_and_saveexec_b64 s[0:1], s[34:35]
	s_cbranch_execz .LBB44_117
; %bb.116:
	v_lshlrev_b32_e32 v21, 3, v0
	s_movk_i32 s8, 0x1f8
	v_mad_u32_u24 v22, v0, s8, v21
	ds_read_b64 v[10:11], v22 offset:2096
	s_waitcnt lgkmcnt(0)
	ds_write_b64 v21, v[10:11] offset:3104
	ds_read_b64 v[10:11], v22 offset:2104
	s_waitcnt lgkmcnt(0)
	ds_write_b64 v21, v[10:11] offset:3616
.LBB44_117:
	s_or_b64 exec, exec, s[0:1]
	s_waitcnt lgkmcnt(0)
	s_barrier
	s_and_saveexec_b64 s[0:1], vcc
	s_cbranch_execz .LBB44_119
; %bb.118:
	v_mov_b32_e32 v23, 0
	ds_read_b64 v[21:22], v23 offset:3128
	v_mov_b32_e32 v24, 0x3ff00000
	ds_write_b64 v23, v[23:24] offset:3120
	s_waitcnt lgkmcnt(1)
	ds_write_b128 v23, v[21:24] offset:3632
.LBB44_119:
	s_or_b64 exec, exec, s[0:1]
	v_and_b32_e32 v24, 7, v0
	v_lshrrev_b32_e32 v25, 3, v14
	v_lshlrev_b32_e32 v22, 3, v24
	v_mov_b32_e32 v10, 0
	v_cmp_lt_u32_e64 s[10:11], 63, v14
	v_cmp_gt_u32_e64 s[8:9], 64, v14
	v_mov_b32_e32 v11, 0
	v_lshl_or_b32 v21, v25, 9, v22
	s_waitcnt lgkmcnt(0)
	s_barrier
	s_and_saveexec_b64 s[0:1], s[8:9]
	s_cbranch_execz .LBB44_129
; %bb.120:
	v_mul_u32_u24_e32 v23, 0x208, v25
	ds_read_b64 v[10:11], v21 offset:64
	ds_read_b64 v[26:27], v23
	v_cmp_gt_u32_e64 s[14:15], 56, v14
	s_waitcnt lgkmcnt(0)
	v_fma_f64 v[10:11], v[10:11], v[26:27], 0
	s_and_saveexec_b64 s[16:17], s[14:15]
	s_cbranch_execnz .LBB44_1172
; %bb.121:
	s_or_b64 exec, exec, s[16:17]
	v_cmp_gt_u32_e64 s[14:15], 48, v14
	s_and_saveexec_b64 s[16:17], s[14:15]
	s_cbranch_execnz .LBB44_1173
.LBB44_122:
	s_or_b64 exec, exec, s[16:17]
	v_cmp_gt_u32_e64 s[14:15], 40, v14
	s_and_saveexec_b64 s[16:17], s[14:15]
	s_cbranch_execnz .LBB44_1174
.LBB44_123:
	s_or_b64 exec, exec, s[16:17]
	v_cmp_gt_u32_e64 s[14:15], 32, v14
	s_and_saveexec_b64 s[16:17], s[14:15]
	s_cbranch_execnz .LBB44_1175
.LBB44_124:
	s_or_b64 exec, exec, s[16:17]
	v_cmp_gt_u32_e64 s[14:15], 24, v14
	s_and_saveexec_b64 s[16:17], s[14:15]
	s_cbranch_execnz .LBB44_1176
.LBB44_125:
	s_or_b64 exec, exec, s[16:17]
	v_cmp_gt_u32_e64 s[14:15], 16, v14
	s_and_saveexec_b64 s[16:17], s[14:15]
	s_cbranch_execnz .LBB44_1177
.LBB44_126:
	s_or_b64 exec, exec, s[16:17]
	v_cmp_gt_u32_e64 s[14:15], 8, v14
	s_and_saveexec_b64 s[16:17], s[14:15]
	s_cbranch_execz .LBB44_128
.LBB44_127:
	v_lshlrev_b32_e32 v23, 3, v0
	v_mov_b32_e32 v28, 0
	ds_read_b64 v[26:27], v23 offset:3648
	ds_read_b64 v[28:29], v28 offset:56
	s_waitcnt lgkmcnt(0)
	v_fma_f64 v[10:11], v[26:27], v[28:29], v[10:11]
.LBB44_128:
	s_or_b64 exec, exec, s[16:17]
	v_xor_b32_e32 v11, 0x80000000, v11
.LBB44_129:
	s_or_b64 exec, exec, s[0:1]
	v_mov_b32_e32 v23, 0x8000
	v_cmp_eq_u32_e64 s[14:15], 0, v24
	s_xor_b64 s[0:1], s[10:11], -1
	v_lshl_add_u32 v23, v25, 3, v23
	s_and_b64 s[60:61], s[14:15], s[0:1]
	s_and_saveexec_b64 s[10:11], s[60:61]
; %bb.130:
	ds_write_b64 v23, v[10:11]
; %bb.131:
	s_or_b64 exec, exec, s[10:11]
	v_cmp_ne_u32_e64 s[10:11], 0, v24
	s_and_b64 s[62:63], s[10:11], s[0:1]
	s_waitcnt lgkmcnt(0)
	s_barrier
	s_and_saveexec_b64 s[10:11], s[62:63]
	s_cbranch_execz .LBB44_133
; %bb.132:
	ds_read_b64 v[26:27], v22 offset:4160
	ds_read_b64 v[28:29], v23
	s_waitcnt lgkmcnt(0)
	v_fma_f64 v[10:11], v[26:27], v[28:29], v[10:11]
.LBB44_133:
	s_or_b64 exec, exec, s[10:11]
	v_cmp_eq_u32_e64 s[10:11], 1, v24
	s_and_b64 s[64:65], s[10:11], s[0:1]
	s_barrier
	s_and_saveexec_b64 s[10:11], s[64:65]
; %bb.134:
	ds_write_b64 v23, v[10:11]
; %bb.135:
	s_or_b64 exec, exec, s[10:11]
	v_cmp_lt_u32_e64 s[10:11], 1, v24
	s_and_b64 s[66:67], s[10:11], s[0:1]
	s_waitcnt lgkmcnt(0)
	s_barrier
	s_and_saveexec_b64 s[10:11], s[66:67]
	s_cbranch_execz .LBB44_137
; %bb.136:
	ds_read_b64 v[26:27], v22 offset:4672
	ds_read_b64 v[28:29], v23
	s_waitcnt lgkmcnt(0)
	v_fma_f64 v[10:11], v[26:27], v[28:29], v[10:11]
.LBB44_137:
	s_or_b64 exec, exec, s[10:11]
	v_cmp_eq_u32_e64 s[10:11], 2, v24
	s_and_b64 s[68:69], s[10:11], s[0:1]
	s_barrier
	s_and_saveexec_b64 s[10:11], s[68:69]
; %bb.138:
	ds_write_b64 v23, v[10:11]
; %bb.139:
	s_or_b64 exec, exec, s[10:11]
	v_cmp_lt_u32_e64 s[10:11], 2, v24
	;; [unrolled: 21-line block ×5, first 2 shown]
	s_and_b64 s[84:85], s[10:11], s[0:1]
	s_waitcnt lgkmcnt(0)
	s_barrier
	s_and_saveexec_b64 s[10:11], s[84:85]
	s_cbranch_execz .LBB44_153
; %bb.152:
	ds_read_b64 v[26:27], v22 offset:6720
	ds_read_b64 v[28:29], v23
	s_waitcnt lgkmcnt(0)
	v_fma_f64 v[10:11], v[26:27], v[28:29], v[10:11]
.LBB44_153:
	s_or_b64 exec, exec, s[10:11]
	v_cmp_eq_u32_e64 s[10:11], 6, v24
	s_and_b64 s[86:87], s[10:11], s[0:1]
	s_barrier
	s_and_saveexec_b64 s[10:11], s[86:87]
; %bb.154:
	ds_write_b64 v23, v[10:11]
; %bb.155:
	s_or_b64 exec, exec, s[10:11]
	v_cmp_eq_u32_e64 s[10:11], 7, v24
	s_and_b64 s[70:71], s[10:11], s[0:1]
	s_waitcnt lgkmcnt(0)
	s_barrier
	s_and_saveexec_b64 s[0:1], s[70:71]
	s_cbranch_execz .LBB44_157
; %bb.156:
	v_mov_b32_e32 v26, 0
	ds_read_b64 v[26:27], v26 offset:7288
	ds_read_b64 v[28:29], v23
	s_waitcnt lgkmcnt(0)
	v_fma_f64 v[10:11], v[26:27], v[28:29], v[10:11]
.LBB44_157:
	s_or_b64 exec, exec, s[0:1]
	s_barrier
	s_and_saveexec_b64 s[0:1], s[70:71]
; %bb.158:
	ds_write_b64 v23, v[10:11]
; %bb.159:
	s_or_b64 exec, exec, s[0:1]
	s_waitcnt lgkmcnt(0)
	s_barrier
	s_barrier
	s_and_saveexec_b64 s[0:1], s[8:9]
; %bb.160:
	v_xor_b32_e32 v11, 0x80000000, v11
	ds_write_b64 v21, v[10:11] offset:64
; %bb.161:
	s_or_b64 exec, exec, s[0:1]
	v_cmp_gt_u32_e64 s[10:11], 8, v0
	s_and_b64 s[88:89], s[12:13], s[10:11]
	s_waitcnt lgkmcnt(0)
	s_barrier
	s_barrier
	s_and_saveexec_b64 s[0:1], s[88:89]
	s_cbranch_execz .LBB44_163
; %bb.162:
	v_lshlrev_b32_e32 v26, 9, v0
	ds_read_b64 v[10:11], v26 offset:64
	s_movk_i32 s10, 0xfe08
	v_mad_i32_i24 v27, v0, s10, v26
	s_waitcnt lgkmcnt(0)
	ds_write_b64 v27, v[10:11] offset:4096
	ds_read_b64 v[10:11], v26 offset:72
	s_waitcnt lgkmcnt(0)
	ds_write_b64 v27, v[10:11] offset:4608
	ds_read_b64 v[10:11], v26 offset:80
	;; [unrolled: 3-line block ×7, first 2 shown]
	s_waitcnt lgkmcnt(0)
	ds_write_b64 v27, v[10:11] offset:7680
.LBB44_163:
	s_or_b64 exec, exec, s[0:1]
	s_waitcnt lgkmcnt(0)
	s_barrier
	s_and_saveexec_b64 s[0:1], vcc
	s_cbranch_execz .LBB44_165
; %bb.164:
	v_mov_b32_e32 v28, 0
	ds_read_b64 v[26:27], v28 offset:4168
	v_mov_b32_e32 v29, 0x3ff00000
	ds_write_b64 v28, v[28:29] offset:4160
	s_waitcnt lgkmcnt(1)
	ds_write_b128 v28, v[26:29] offset:4672
.LBB44_165:
	s_or_b64 exec, exec, s[0:1]
	v_mov_b32_e32 v10, 0
	v_mov_b32_e32 v11, 0
	s_waitcnt lgkmcnt(0)
	s_barrier
	s_and_saveexec_b64 s[0:1], s[2:3]
	s_cbranch_execz .LBB44_169
; %bb.166:
	v_mul_u32_u24_e32 v26, 0x208, v15
	ds_read_b64 v[10:11], v12 offset:4176
	ds_read_b64 v[26:27], v26 offset:4160
	v_cmp_gt_u32_e64 s[10:11], 2, v14
	s_waitcnt lgkmcnt(0)
	v_fma_f64 v[10:11], v[10:11], v[26:27], 0
	s_and_saveexec_b64 s[14:15], s[10:11]
	s_cbranch_execz .LBB44_168
; %bb.167:
	v_lshlrev_b32_e32 v26, 3, v0
	v_mov_b32_e32 v28, 0
	ds_read_b64 v[26:27], v26 offset:4688
	ds_read_b64 v[28:29], v28 offset:4168
	s_waitcnt lgkmcnt(0)
	v_fma_f64 v[10:11], v[26:27], v[28:29], v[10:11]
.LBB44_168:
	s_or_b64 exec, exec, s[14:15]
	v_xor_b32_e32 v11, 0x80000000, v11
.LBB44_169:
	s_or_b64 exec, exec, s[0:1]
	s_and_saveexec_b64 s[0:1], s[30:31]
; %bb.170:
	ds_write_b64 v13, v[10:11]
; %bb.171:
	s_or_b64 exec, exec, s[0:1]
	s_waitcnt lgkmcnt(0)
	s_barrier
	s_and_saveexec_b64 s[0:1], s[28:29]
	s_cbranch_execz .LBB44_173
; %bb.172:
	v_mov_b32_e32 v26, 0
	ds_read_b64 v[26:27], v26 offset:5208
	ds_read_b64 v[28:29], v13
	s_waitcnt lgkmcnt(0)
	v_fma_f64 v[10:11], v[26:27], v[28:29], v[10:11]
.LBB44_173:
	s_or_b64 exec, exec, s[0:1]
	s_barrier
	s_and_saveexec_b64 s[0:1], s[28:29]
; %bb.174:
	ds_write_b64 v13, v[10:11]
; %bb.175:
	s_or_b64 exec, exec, s[0:1]
	s_waitcnt lgkmcnt(0)
	s_barrier
	s_barrier
	s_and_saveexec_b64 s[0:1], s[2:3]
; %bb.176:
	v_xor_b32_e32 v11, 0x80000000, v11
	ds_write_b64 v12, v[10:11] offset:4176
; %bb.177:
	s_or_b64 exec, exec, s[0:1]
	s_waitcnt lgkmcnt(0)
	s_barrier
	s_barrier
	s_and_saveexec_b64 s[0:1], s[34:35]
	s_cbranch_execz .LBB44_179
; %bb.178:
	v_lshlrev_b32_e32 v26, 3, v0
	s_movk_i32 s10, 0x1f8
	v_mad_u32_u24 v27, v0, s10, v26
	ds_read_b64 v[10:11], v27 offset:4176
	s_waitcnt lgkmcnt(0)
	ds_write_b64 v26, v[10:11] offset:5184
	ds_read_b64 v[10:11], v27 offset:4184
	s_waitcnt lgkmcnt(0)
	ds_write_b64 v26, v[10:11] offset:5696
.LBB44_179:
	s_or_b64 exec, exec, s[0:1]
	s_waitcnt lgkmcnt(0)
	s_barrier
	s_and_saveexec_b64 s[0:1], vcc
	s_cbranch_execz .LBB44_181
; %bb.180:
	v_mov_b32_e32 v28, 0
	ds_read_b64 v[26:27], v28 offset:5208
	v_mov_b32_e32 v29, 0x3ff00000
	ds_write_b64 v28, v[28:29] offset:5200
	s_waitcnt lgkmcnt(1)
	ds_write_b128 v28, v[26:29] offset:5712
.LBB44_181:
	s_or_b64 exec, exec, s[0:1]
	v_mov_b32_e32 v10, 0
	v_mov_b32_e32 v11, 0
	s_waitcnt lgkmcnt(0)
	s_barrier
	s_and_saveexec_b64 s[0:1], s[18:19]
	s_cbranch_execz .LBB44_187
; %bb.182:
	v_mul_u32_u24_e32 v26, 0x208, v20
	ds_read_b64 v[10:11], v16 offset:4192
	ds_read_b64 v[27:28], v26 offset:4160
	v_cmp_gt_u32_e64 s[10:11], 12, v14
	s_waitcnt lgkmcnt(0)
	v_fma_f64 v[10:11], v[10:11], v[27:28], 0
	s_and_saveexec_b64 s[14:15], s[10:11]
	s_cbranch_execnz .LBB44_1178
; %bb.183:
	s_or_b64 exec, exec, s[14:15]
	v_cmp_gt_u32_e64 s[10:11], 8, v14
	s_and_saveexec_b64 s[14:15], s[10:11]
	s_cbranch_execnz .LBB44_1179
.LBB44_184:
	s_or_b64 exec, exec, s[14:15]
	v_cmp_gt_u32_e64 s[10:11], 4, v14
	s_and_saveexec_b64 s[14:15], s[10:11]
	s_cbranch_execz .LBB44_186
.LBB44_185:
	v_lshlrev_b32_e32 v26, 3, v0
	v_mov_b32_e32 v28, 0
	ds_read_b64 v[26:27], v26 offset:5728
	ds_read_b64 v[28:29], v28 offset:4184
	s_waitcnt lgkmcnt(0)
	v_fma_f64 v[10:11], v[26:27], v[28:29], v[10:11]
.LBB44_186:
	s_or_b64 exec, exec, s[14:15]
	v_xor_b32_e32 v11, 0x80000000, v11
.LBB44_187:
	s_or_b64 exec, exec, s[0:1]
	s_and_saveexec_b64 s[0:1], s[38:39]
; %bb.188:
	ds_write_b64 v18, v[10:11]
; %bb.189:
	s_or_b64 exec, exec, s[0:1]
	s_waitcnt lgkmcnt(0)
	s_barrier
	s_and_saveexec_b64 s[0:1], s[42:43]
	s_cbranch_execz .LBB44_191
; %bb.190:
	ds_read_b64 v[26:27], v17 offset:6240
	ds_read_b64 v[28:29], v18
	s_waitcnt lgkmcnt(0)
	v_fma_f64 v[10:11], v[26:27], v[28:29], v[10:11]
.LBB44_191:
	s_or_b64 exec, exec, s[0:1]
	s_barrier
	s_and_saveexec_b64 s[0:1], s[52:53]
; %bb.192:
	ds_write_b64 v18, v[10:11]
; %bb.193:
	s_or_b64 exec, exec, s[0:1]
	s_waitcnt lgkmcnt(0)
	s_barrier
	s_and_saveexec_b64 s[0:1], s[54:55]
	s_cbranch_execz .LBB44_195
; %bb.194:
	ds_read_b64 v[26:27], v17 offset:6752
	ds_read_b64 v[28:29], v18
	s_waitcnt lgkmcnt(0)
	v_fma_f64 v[10:11], v[26:27], v[28:29], v[10:11]
.LBB44_195:
	s_or_b64 exec, exec, s[0:1]
	s_barrier
	s_and_saveexec_b64 s[0:1], s[56:57]
; %bb.196:
	ds_write_b64 v18, v[10:11]
; %bb.197:
	s_or_b64 exec, exec, s[0:1]
	s_waitcnt lgkmcnt(0)
	s_barrier
	s_and_saveexec_b64 s[0:1], s[36:37]
	s_cbranch_execz .LBB44_199
; %bb.198:
	v_mov_b32_e32 v26, 0
	ds_read_b64 v[26:27], v26 offset:7288
	ds_read_b64 v[28:29], v18
	s_waitcnt lgkmcnt(0)
	v_fma_f64 v[10:11], v[26:27], v[28:29], v[10:11]
.LBB44_199:
	s_or_b64 exec, exec, s[0:1]
	s_barrier
	s_and_saveexec_b64 s[0:1], s[36:37]
; %bb.200:
	ds_write_b64 v18, v[10:11]
; %bb.201:
	s_or_b64 exec, exec, s[0:1]
	s_waitcnt lgkmcnt(0)
	s_barrier
	s_barrier
	s_and_saveexec_b64 s[0:1], s[18:19]
; %bb.202:
	v_xor_b32_e32 v11, 0x80000000, v11
	ds_write_b64 v16, v[10:11] offset:4192
; %bb.203:
	s_or_b64 exec, exec, s[0:1]
	s_waitcnt lgkmcnt(0)
	s_barrier
	s_barrier
	s_and_saveexec_b64 s[0:1], s[58:59]
	s_cbranch_execz .LBB44_205
; %bb.204:
	v_lshlrev_b32_e32 v26, 9, v0
	ds_read_b64 v[10:11], v26 offset:4192
	s_movk_i32 s10, 0xfe08
	v_mad_i32_i24 v27, v0, s10, v26
	s_waitcnt lgkmcnt(0)
	ds_write_b64 v27, v[10:11] offset:6208
	ds_read_b64 v[10:11], v26 offset:4200
	s_waitcnt lgkmcnt(0)
	ds_write_b64 v27, v[10:11] offset:6720
	ds_read_b64 v[10:11], v26 offset:4208
	;; [unrolled: 3-line block ×3, first 2 shown]
	s_waitcnt lgkmcnt(0)
	ds_write_b64 v27, v[10:11] offset:7744
.LBB44_205:
	s_or_b64 exec, exec, s[0:1]
	s_waitcnt lgkmcnt(0)
	s_barrier
	s_and_saveexec_b64 s[0:1], vcc
	s_cbranch_execz .LBB44_207
; %bb.206:
	v_mov_b32_e32 v28, 0
	ds_read_b64 v[26:27], v28 offset:6248
	v_mov_b32_e32 v29, 0x3ff00000
	ds_write_b64 v28, v[28:29] offset:6240
	s_waitcnt lgkmcnt(1)
	ds_write_b128 v28, v[26:29] offset:6752
.LBB44_207:
	s_or_b64 exec, exec, s[0:1]
	v_mov_b32_e32 v10, 0
	v_mov_b32_e32 v11, 0
	s_waitcnt lgkmcnt(0)
	s_barrier
	s_and_saveexec_b64 s[0:1], s[2:3]
	s_cbranch_execz .LBB44_211
; %bb.208:
	v_mul_u32_u24_e32 v26, 0x208, v15
	ds_read_b64 v[10:11], v12 offset:6256
	ds_read_b64 v[26:27], v26 offset:6240
	v_cmp_gt_u32_e64 s[10:11], 2, v14
	s_waitcnt lgkmcnt(0)
	v_fma_f64 v[10:11], v[10:11], v[26:27], 0
	s_and_saveexec_b64 s[14:15], s[10:11]
	s_cbranch_execz .LBB44_210
; %bb.209:
	v_lshlrev_b32_e32 v26, 3, v0
	v_mov_b32_e32 v28, 0
	ds_read_b64 v[26:27], v26 offset:6768
	ds_read_b64 v[28:29], v28 offset:6248
	s_waitcnt lgkmcnt(0)
	v_fma_f64 v[10:11], v[26:27], v[28:29], v[10:11]
.LBB44_210:
	s_or_b64 exec, exec, s[14:15]
	v_xor_b32_e32 v11, 0x80000000, v11
.LBB44_211:
	s_or_b64 exec, exec, s[0:1]
	s_and_saveexec_b64 s[0:1], s[30:31]
; %bb.212:
	ds_write_b64 v13, v[10:11]
; %bb.213:
	s_or_b64 exec, exec, s[0:1]
	s_waitcnt lgkmcnt(0)
	s_barrier
	s_and_saveexec_b64 s[0:1], s[28:29]
	s_cbranch_execz .LBB44_215
; %bb.214:
	v_mov_b32_e32 v26, 0
	ds_read_b64 v[26:27], v26 offset:7288
	ds_read_b64 v[28:29], v13
	s_waitcnt lgkmcnt(0)
	v_fma_f64 v[10:11], v[26:27], v[28:29], v[10:11]
.LBB44_215:
	s_or_b64 exec, exec, s[0:1]
	s_barrier
	s_and_saveexec_b64 s[0:1], s[28:29]
; %bb.216:
	ds_write_b64 v13, v[10:11]
; %bb.217:
	s_or_b64 exec, exec, s[0:1]
	s_waitcnt lgkmcnt(0)
	s_barrier
	s_barrier
	s_and_saveexec_b64 s[0:1], s[2:3]
; %bb.218:
	v_xor_b32_e32 v11, 0x80000000, v11
	ds_write_b64 v12, v[10:11] offset:6256
; %bb.219:
	s_or_b64 exec, exec, s[0:1]
	s_waitcnt lgkmcnt(0)
	s_barrier
	s_barrier
	s_and_saveexec_b64 s[0:1], s[34:35]
	s_cbranch_execz .LBB44_221
; %bb.220:
	v_lshlrev_b32_e32 v26, 3, v0
	s_movk_i32 s10, 0x1f8
	v_mad_u32_u24 v27, v0, s10, v26
	ds_read_b64 v[10:11], v27 offset:6256
	s_waitcnt lgkmcnt(0)
	ds_write_b64 v26, v[10:11] offset:7264
	ds_read_b64 v[10:11], v27 offset:6264
	s_waitcnt lgkmcnt(0)
	ds_write_b64 v26, v[10:11] offset:7776
.LBB44_221:
	s_or_b64 exec, exec, s[0:1]
	s_waitcnt lgkmcnt(0)
	s_barrier
	s_and_saveexec_b64 s[0:1], vcc
	s_cbranch_execz .LBB44_223
; %bb.222:
	v_mov_b32_e32 v28, 0
	ds_read_b64 v[26:27], v28 offset:7288
	v_mov_b32_e32 v29, 0x3ff00000
	ds_write_b64 v28, v[28:29] offset:7280
	s_waitcnt lgkmcnt(1)
	ds_write_b128 v28, v[26:29] offset:7792
.LBB44_223:
	s_or_b64 exec, exec, s[0:1]
	v_lshrrev_b32_e32 v30, 4, v14
	v_and_b32_e32 v27, 15, v0
	s_movk_i32 s0, 0xff
	v_lshlrev_b32_e32 v29, 6, v30
	v_cmp_lt_u32_e64 s[14:15], s0, v14
	s_movk_i32 s0, 0x100
	v_or_b32_e32 v26, v29, v27
	v_mov_b32_e32 v10, 0
	v_cmp_gt_u32_e64 s[10:11], s0, v14
	v_mov_b32_e32 v11, 0
	v_lshlrev_b32_e32 v26, 3, v26
	s_waitcnt lgkmcnt(0)
	s_barrier
	s_and_saveexec_b64 s[0:1], s[10:11]
	s_cbranch_execz .LBB44_251
; %bb.224:
	v_mul_u32_u24_e32 v28, 0x208, v30
	ds_read_b64 v[10:11], v26 offset:128
	ds_read_b64 v[31:32], v28
	s_movk_i32 s16, 0xf0
	v_cmp_gt_u32_e64 s[16:17], s16, v14
	s_waitcnt lgkmcnt(0)
	v_fma_f64 v[10:11], v[10:11], v[31:32], 0
	s_and_saveexec_b64 s[20:21], s[16:17]
	s_cbranch_execz .LBB44_226
; %bb.225:
	v_lshlrev_b32_e32 v31, 3, v30
	v_sub_u32_e32 v31, v28, v31
	v_lshl_add_u32 v31, v27, 3, v31
	ds_read_b64 v[31:32], v31 offset:640
	ds_read_b64 v[33:34], v28 offset:8
	s_waitcnt lgkmcnt(0)
	v_fma_f64 v[10:11], v[31:32], v[33:34], v[10:11]
.LBB44_226:
	s_or_b64 exec, exec, s[20:21]
	s_movk_i32 s16, 0xe0
	v_cmp_gt_u32_e64 s[16:17], s16, v14
	s_and_saveexec_b64 s[20:21], s[16:17]
	s_cbranch_execz .LBB44_228
; %bb.227:
	v_lshlrev_b32_e32 v31, 3, v30
	v_sub_u32_e32 v31, v28, v31
	v_lshl_add_u32 v31, v27, 3, v31
	ds_read_b64 v[31:32], v31 offset:1152
	ds_read_b64 v[33:34], v28 offset:16
	s_waitcnt lgkmcnt(0)
	v_fma_f64 v[10:11], v[31:32], v[33:34], v[10:11]
.LBB44_228:
	s_or_b64 exec, exec, s[20:21]
	s_movk_i32 s16, 0xd0
	v_cmp_gt_u32_e64 s[16:17], s16, v14
	;; [unrolled: 14-line block ×7, first 2 shown]
	s_and_saveexec_b64 s[20:21], s[16:17]
	s_cbranch_execz .LBB44_240
; %bb.239:
	ds_read_b64 v[31:32], v26 offset:4224
	ds_read_b64 v[33:34], v28 offset:64
	s_waitcnt lgkmcnt(0)
	v_fma_f64 v[10:11], v[31:32], v[33:34], v[10:11]
.LBB44_240:
	s_or_b64 exec, exec, s[20:21]
	s_movk_i32 s16, 0x70
	v_cmp_gt_u32_e64 s[16:17], s16, v14
	s_and_saveexec_b64 s[20:21], s[16:17]
	s_cbranch_execz .LBB44_242
; %bb.241:
	v_lshlrev_b32_e32 v31, 3, v30
	v_sub_u32_e32 v31, v28, v31
	v_lshl_add_u32 v31, v27, 3, v31
	ds_read_b64 v[31:32], v31 offset:4736
	ds_read_b64 v[33:34], v28 offset:72
	s_waitcnt lgkmcnt(0)
	v_fma_f64 v[10:11], v[31:32], v[33:34], v[10:11]
.LBB44_242:
	s_or_b64 exec, exec, s[20:21]
	s_movk_i32 s16, 0x60
	v_cmp_gt_u32_e64 s[16:17], s16, v14
	s_and_saveexec_b64 s[20:21], s[16:17]
	s_cbranch_execz .LBB44_244
; %bb.243:
	v_lshlrev_b32_e32 v31, 3, v27
	v_lshl_add_u32 v31, v29, 3, v31
	ds_read_b64 v[31:32], v31 offset:5248
	ds_read_b64 v[33:34], v28 offset:80
	s_waitcnt lgkmcnt(0)
	v_fma_f64 v[10:11], v[31:32], v[33:34], v[10:11]
.LBB44_244:
	s_or_b64 exec, exec, s[20:21]
	s_movk_i32 s16, 0x50
	v_cmp_gt_u32_e64 s[16:17], s16, v14
	s_and_saveexec_b64 s[20:21], s[16:17]
	s_cbranch_execnz .LBB44_1180
; %bb.245:
	s_or_b64 exec, exec, s[20:21]
	v_cmp_gt_u32_e64 s[16:17], 64, v14
	s_and_saveexec_b64 s[20:21], s[16:17]
	s_cbranch_execnz .LBB44_1181
.LBB44_246:
	s_or_b64 exec, exec, s[20:21]
	v_cmp_gt_u32_e64 s[16:17], 48, v14
	s_and_saveexec_b64 s[20:21], s[16:17]
	s_cbranch_execnz .LBB44_1182
.LBB44_247:
	s_or_b64 exec, exec, s[20:21]
	v_cmp_gt_u32_e64 s[16:17], 32, v14
	s_and_saveexec_b64 s[20:21], s[16:17]
	s_cbranch_execnz .LBB44_1183
.LBB44_248:
	s_or_b64 exec, exec, s[20:21]
	v_cmp_gt_u32_e64 s[16:17], 16, v14
	s_and_saveexec_b64 s[20:21], s[16:17]
	s_cbranch_execz .LBB44_250
.LBB44_249:
	v_lshlrev_b32_e32 v28, 3, v0
	v_mov_b32_e32 v33, 0
	ds_read_b64 v[31:32], v28 offset:7808
	ds_read_b64 v[33:34], v33 offset:120
	s_waitcnt lgkmcnt(0)
	v_fma_f64 v[10:11], v[31:32], v[33:34], v[10:11]
.LBB44_250:
	s_or_b64 exec, exec, s[20:21]
	v_xor_b32_e32 v11, 0x80000000, v11
.LBB44_251:
	s_or_b64 exec, exec, s[0:1]
	v_mov_b32_e32 v28, 0x8000
	v_lshl_add_u32 v28, v30, 3, v28
	v_cmp_eq_u32_e64 s[16:17], 0, v27
	s_xor_b64 s[20:21], s[14:15], -1
	s_and_b64 s[14:15], s[16:17], s[20:21]
	s_mov_b64 s[0:1], exec
	v_writelane_b32 v40, s14, 3
	v_writelane_b32 v40, s15, 4
	s_and_b64 s[14:15], s[0:1], s[14:15]
	s_mov_b64 exec, s[14:15]
; %bb.252:
	ds_write_b64 v28, v[10:11]
; %bb.253:
	s_or_b64 exec, exec, s[0:1]
	v_cmp_ne_u32_e64 s[14:15], 0, v27
	s_waitcnt lgkmcnt(0)
	s_barrier
	s_and_b64 s[14:15], s[14:15], s[20:21]
	s_mov_b64 s[0:1], exec
	v_writelane_b32 v40, s14, 5
	v_writelane_b32 v40, s15, 6
	s_and_b64 s[14:15], s[0:1], s[14:15]
	s_mov_b64 exec, s[14:15]
	s_cbranch_execz .LBB44_255
; %bb.254:
	v_lshlrev_b32_e32 v31, 3, v27
	ds_read_b64 v[31:32], v31 offset:8320
	ds_read_b64 v[33:34], v28
	s_waitcnt lgkmcnt(0)
	v_fma_f64 v[10:11], v[31:32], v[33:34], v[10:11]
.LBB44_255:
	s_or_b64 exec, exec, s[0:1]
	v_cmp_eq_u32_e64 s[14:15], 1, v27
	s_barrier
	s_and_b64 s[14:15], s[14:15], s[20:21]
	s_mov_b64 s[0:1], exec
	v_writelane_b32 v40, s14, 7
	v_writelane_b32 v40, s15, 8
	s_and_b64 s[14:15], s[0:1], s[14:15]
	s_mov_b64 exec, s[14:15]
; %bb.256:
	ds_write_b64 v28, v[10:11]
; %bb.257:
	s_or_b64 exec, exec, s[0:1]
	v_cmp_lt_u32_e64 s[14:15], 1, v27
	s_waitcnt lgkmcnt(0)
	s_barrier
	s_and_b64 s[14:15], s[14:15], s[20:21]
	s_mov_b64 s[0:1], exec
	v_writelane_b32 v40, s14, 9
	v_writelane_b32 v40, s15, 10
	s_and_b64 s[14:15], s[0:1], s[14:15]
	s_mov_b64 exec, s[14:15]
	s_cbranch_execz .LBB44_259
; %bb.258:
	v_lshlrev_b32_e32 v31, 3, v27
	ds_read_b64 v[31:32], v31 offset:8832
	ds_read_b64 v[33:34], v28
	s_waitcnt lgkmcnt(0)
	v_fma_f64 v[10:11], v[31:32], v[33:34], v[10:11]
.LBB44_259:
	s_or_b64 exec, exec, s[0:1]
	v_cmp_eq_u32_e64 s[14:15], 2, v27
	s_barrier
	s_and_b64 s[14:15], s[14:15], s[20:21]
	s_mov_b64 s[0:1], exec
	v_writelane_b32 v40, s14, 11
	v_writelane_b32 v40, s15, 12
	s_and_b64 s[14:15], s[0:1], s[14:15]
	s_mov_b64 exec, s[14:15]
; %bb.260:
	ds_write_b64 v28, v[10:11]
; %bb.261:
	s_or_b64 exec, exec, s[0:1]
	v_cmp_lt_u32_e64 s[14:15], 2, v27
	;; [unrolled: 30-line block ×13, first 2 shown]
	s_waitcnt lgkmcnt(0)
	s_barrier
	s_and_b64 s[14:15], s[14:15], s[20:21]
	s_mov_b64 s[0:1], exec
	v_writelane_b32 v40, s14, 57
	v_writelane_b32 v40, s15, 58
	s_and_b64 s[14:15], s[0:1], s[14:15]
	s_mov_b64 exec, s[14:15]
	s_cbranch_execz .LBB44_307
; %bb.306:
	v_lshlrev_b32_e32 v31, 3, v27
	ds_read_b64 v[31:32], v31 offset:14976
	ds_read_b64 v[33:34], v28
	s_waitcnt lgkmcnt(0)
	v_fma_f64 v[10:11], v[31:32], v[33:34], v[10:11]
.LBB44_307:
	s_or_b64 exec, exec, s[0:1]
	v_cmp_eq_u32_e64 s[14:15], 14, v27
	s_barrier
	s_and_b64 s[14:15], s[14:15], s[20:21]
	s_mov_b64 s[0:1], exec
	v_writelane_b32 v40, s14, 59
	v_writelane_b32 v40, s15, 60
	s_and_b64 s[14:15], s[0:1], s[14:15]
	s_mov_b64 exec, s[14:15]
; %bb.308:
	ds_write_b64 v28, v[10:11]
; %bb.309:
	s_or_b64 exec, exec, s[0:1]
	v_cmp_eq_u32_e64 s[14:15], 15, v27
	s_and_b64 s[92:93], s[14:15], s[20:21]
	s_waitcnt lgkmcnt(0)
	s_barrier
	s_and_saveexec_b64 s[0:1], s[92:93]
	s_cbranch_execz .LBB44_311
; %bb.310:
	v_mov_b32_e32 v31, 0
	ds_read_b64 v[31:32], v31 offset:15608
	ds_read_b64 v[33:34], v28
	s_waitcnt lgkmcnt(0)
	v_fma_f64 v[10:11], v[31:32], v[33:34], v[10:11]
.LBB44_311:
	s_or_b64 exec, exec, s[0:1]
	s_barrier
	s_and_saveexec_b64 s[0:1], s[92:93]
; %bb.312:
	ds_write_b64 v28, v[10:11]
; %bb.313:
	s_or_b64 exec, exec, s[0:1]
	s_waitcnt lgkmcnt(0)
	s_barrier
	s_barrier
	s_and_saveexec_b64 s[0:1], s[10:11]
; %bb.314:
	v_xor_b32_e32 v11, 0x80000000, v11
	ds_write_b64 v26, v[10:11] offset:128
; %bb.315:
	s_or_b64 exec, exec, s[0:1]
	v_cmp_gt_u32_e64 s[14:15], 16, v0
	s_waitcnt lgkmcnt(0)
	s_barrier
	s_barrier
	s_and_b64 s[0:1], s[12:13], s[14:15]
	s_mov_b64 s[14:15], exec
	v_writelane_b32 v40, s0, 61
	v_writelane_b32 v40, s1, 62
	s_and_b64 s[0:1], s[14:15], s[0:1]
	s_mov_b64 exec, s[0:1]
	s_cbranch_execz .LBB44_317
; %bb.316:
	v_lshlrev_b32_e32 v31, 9, v0
	ds_read_b64 v[10:11], v31 offset:128
	s_movk_i32 s0, 0xfe08
	v_mad_i32_i24 v32, v0, s0, v31
	s_waitcnt lgkmcnt(0)
	ds_write_b64 v32, v[10:11] offset:8192
	ds_read_b64 v[10:11], v31 offset:136
	s_waitcnt lgkmcnt(0)
	ds_write_b64 v32, v[10:11] offset:8704
	ds_read_b64 v[10:11], v31 offset:144
	;; [unrolled: 3-line block ×15, first 2 shown]
	s_waitcnt lgkmcnt(0)
	ds_write_b64 v32, v[10:11] offset:15872
.LBB44_317:
	s_or_b64 exec, exec, s[14:15]
	s_waitcnt lgkmcnt(0)
	s_barrier
	s_and_saveexec_b64 s[14:15], vcc
	s_cbranch_execz .LBB44_319
; %bb.318:
	v_mov_b32_e32 v33, 0
	ds_read_b64 v[31:32], v33 offset:8328
	v_mov_b32_e32 v34, 0x3ff00000
	ds_write_b64 v33, v[33:34] offset:8320
	s_waitcnt lgkmcnt(1)
	ds_write_b128 v33, v[31:34] offset:8832
.LBB44_319:
	s_or_b64 exec, exec, s[14:15]
	v_mov_b32_e32 v10, 0
	v_mov_b32_e32 v11, 0
	s_waitcnt lgkmcnt(0)
	s_barrier
	s_and_saveexec_b64 s[16:17], s[2:3]
	s_cbranch_execz .LBB44_323
; %bb.320:
	v_mul_u32_u24_e32 v31, 0x208, v15
	ds_read_b64 v[10:11], v12 offset:8336
	ds_read_b64 v[31:32], v31 offset:8320
	v_cmp_gt_u32_e64 s[14:15], 2, v14
	s_waitcnt lgkmcnt(0)
	v_fma_f64 v[10:11], v[10:11], v[31:32], 0
	s_and_saveexec_b64 s[20:21], s[14:15]
	s_cbranch_execz .LBB44_322
; %bb.321:
	v_lshlrev_b32_e32 v31, 3, v0
	v_mov_b32_e32 v33, 0
	ds_read_b64 v[31:32], v31 offset:8848
	ds_read_b64 v[33:34], v33 offset:8328
	s_waitcnt lgkmcnt(0)
	v_fma_f64 v[10:11], v[31:32], v[33:34], v[10:11]
.LBB44_322:
	s_or_b64 exec, exec, s[20:21]
	v_xor_b32_e32 v11, 0x80000000, v11
.LBB44_323:
	s_or_b64 exec, exec, s[16:17]
	s_and_saveexec_b64 s[0:1], s[30:31]
; %bb.324:
	ds_write_b64 v13, v[10:11]
; %bb.325:
	s_or_b64 exec, exec, s[0:1]
	s_waitcnt lgkmcnt(0)
	s_barrier
	s_and_saveexec_b64 s[0:1], s[28:29]
	s_cbranch_execz .LBB44_327
; %bb.326:
	v_mov_b32_e32 v31, 0
	ds_read_b64 v[31:32], v31 offset:9368
	ds_read_b64 v[33:34], v13
	s_waitcnt lgkmcnt(0)
	v_fma_f64 v[10:11], v[31:32], v[33:34], v[10:11]
.LBB44_327:
	s_or_b64 exec, exec, s[0:1]
	s_barrier
	s_and_saveexec_b64 s[0:1], s[28:29]
; %bb.328:
	ds_write_b64 v13, v[10:11]
; %bb.329:
	s_or_b64 exec, exec, s[0:1]
	s_waitcnt lgkmcnt(0)
	s_barrier
	s_barrier
	s_and_saveexec_b64 s[0:1], s[2:3]
; %bb.330:
	v_xor_b32_e32 v11, 0x80000000, v11
	ds_write_b64 v12, v[10:11] offset:8336
; %bb.331:
	s_or_b64 exec, exec, s[0:1]
	s_waitcnt lgkmcnt(0)
	s_barrier
	s_barrier
	s_and_saveexec_b64 s[14:15], s[34:35]
	s_cbranch_execz .LBB44_333
; %bb.332:
	v_lshlrev_b32_e32 v31, 3, v0
	s_movk_i32 s0, 0x1f8
	v_mad_u32_u24 v32, v0, s0, v31
	ds_read_b64 v[10:11], v32 offset:8336
	s_waitcnt lgkmcnt(0)
	ds_write_b64 v31, v[10:11] offset:9344
	ds_read_b64 v[10:11], v32 offset:8344
	s_waitcnt lgkmcnt(0)
	ds_write_b64 v31, v[10:11] offset:9856
.LBB44_333:
	s_or_b64 exec, exec, s[14:15]
	s_waitcnt lgkmcnt(0)
	s_barrier
	s_and_saveexec_b64 s[14:15], vcc
	s_cbranch_execz .LBB44_335
; %bb.334:
	v_mov_b32_e32 v33, 0
	ds_read_b64 v[31:32], v33 offset:9368
	v_mov_b32_e32 v34, 0x3ff00000
	ds_write_b64 v33, v[33:34] offset:9360
	s_waitcnt lgkmcnt(1)
	ds_write_b128 v33, v[31:34] offset:9872
.LBB44_335:
	s_or_b64 exec, exec, s[14:15]
	v_mov_b32_e32 v10, 0
	v_mov_b32_e32 v11, 0
	s_waitcnt lgkmcnt(0)
	s_barrier
	s_and_saveexec_b64 s[16:17], s[18:19]
	s_cbranch_execz .LBB44_341
; %bb.336:
	v_mul_u32_u24_e32 v31, 0x208, v20
	ds_read_b64 v[10:11], v16 offset:8352
	ds_read_b64 v[32:33], v31 offset:8320
	v_cmp_gt_u32_e64 s[14:15], 12, v14
	s_waitcnt lgkmcnt(0)
	v_fma_f64 v[10:11], v[10:11], v[32:33], 0
	s_and_saveexec_b64 s[20:21], s[14:15]
	s_cbranch_execnz .LBB44_1184
; %bb.337:
	s_or_b64 exec, exec, s[20:21]
	v_cmp_gt_u32_e64 s[14:15], 8, v14
	s_and_saveexec_b64 s[0:1], s[14:15]
	s_cbranch_execnz .LBB44_1185
.LBB44_338:
	s_or_b64 exec, exec, s[0:1]
	v_cmp_gt_u32_e64 s[14:15], 4, v14
	s_and_saveexec_b64 s[20:21], s[14:15]
	s_cbranch_execz .LBB44_340
.LBB44_339:
	v_lshlrev_b32_e32 v31, 3, v0
	v_mov_b32_e32 v33, 0
	ds_read_b64 v[31:32], v31 offset:9888
	ds_read_b64 v[33:34], v33 offset:8344
	s_waitcnt lgkmcnt(0)
	v_fma_f64 v[10:11], v[31:32], v[33:34], v[10:11]
.LBB44_340:
	s_or_b64 exec, exec, s[20:21]
	v_xor_b32_e32 v11, 0x80000000, v11
.LBB44_341:
	s_or_b64 exec, exec, s[16:17]
	s_and_saveexec_b64 s[0:1], s[38:39]
; %bb.342:
	ds_write_b64 v18, v[10:11]
; %bb.343:
	s_or_b64 exec, exec, s[0:1]
	s_waitcnt lgkmcnt(0)
	s_barrier
	s_and_saveexec_b64 s[0:1], s[42:43]
	s_cbranch_execz .LBB44_345
; %bb.344:
	ds_read_b64 v[31:32], v17 offset:10400
	ds_read_b64 v[33:34], v18
	s_waitcnt lgkmcnt(0)
	v_fma_f64 v[10:11], v[31:32], v[33:34], v[10:11]
.LBB44_345:
	s_or_b64 exec, exec, s[0:1]
	s_barrier
	s_and_saveexec_b64 s[0:1], s[52:53]
; %bb.346:
	ds_write_b64 v18, v[10:11]
; %bb.347:
	s_or_b64 exec, exec, s[0:1]
	s_waitcnt lgkmcnt(0)
	s_barrier
	s_and_saveexec_b64 s[0:1], s[54:55]
	s_cbranch_execz .LBB44_349
; %bb.348:
	ds_read_b64 v[31:32], v17 offset:10912
	ds_read_b64 v[33:34], v18
	s_waitcnt lgkmcnt(0)
	v_fma_f64 v[10:11], v[31:32], v[33:34], v[10:11]
.LBB44_349:
	s_or_b64 exec, exec, s[0:1]
	s_barrier
	s_and_saveexec_b64 s[0:1], s[56:57]
; %bb.350:
	ds_write_b64 v18, v[10:11]
; %bb.351:
	s_or_b64 exec, exec, s[0:1]
	s_waitcnt lgkmcnt(0)
	s_barrier
	s_and_saveexec_b64 s[0:1], s[36:37]
	s_cbranch_execz .LBB44_353
; %bb.352:
	v_mov_b32_e32 v31, 0
	ds_read_b64 v[31:32], v31 offset:11448
	ds_read_b64 v[33:34], v18
	s_waitcnt lgkmcnt(0)
	v_fma_f64 v[10:11], v[31:32], v[33:34], v[10:11]
.LBB44_353:
	s_or_b64 exec, exec, s[0:1]
	s_barrier
	s_and_saveexec_b64 s[0:1], s[36:37]
; %bb.354:
	ds_write_b64 v18, v[10:11]
; %bb.355:
	s_or_b64 exec, exec, s[0:1]
	s_waitcnt lgkmcnt(0)
	s_barrier
	s_barrier
	s_and_saveexec_b64 s[0:1], s[18:19]
; %bb.356:
	v_xor_b32_e32 v11, 0x80000000, v11
	ds_write_b64 v16, v[10:11] offset:8352
; %bb.357:
	s_or_b64 exec, exec, s[0:1]
	s_waitcnt lgkmcnt(0)
	s_barrier
	s_barrier
	s_and_saveexec_b64 s[14:15], s[58:59]
	s_cbranch_execz .LBB44_359
; %bb.358:
	v_lshlrev_b32_e32 v31, 9, v0
	ds_read_b64 v[10:11], v31 offset:8352
	s_movk_i32 s0, 0xfe08
	v_mad_i32_i24 v32, v0, s0, v31
	s_waitcnt lgkmcnt(0)
	ds_write_b64 v32, v[10:11] offset:10368
	ds_read_b64 v[10:11], v31 offset:8360
	s_waitcnt lgkmcnt(0)
	ds_write_b64 v32, v[10:11] offset:10880
	ds_read_b64 v[10:11], v31 offset:8368
	s_waitcnt lgkmcnt(0)
	ds_write_b64 v32, v[10:11] offset:11392
	ds_read_b64 v[10:11], v31 offset:8376
	s_waitcnt lgkmcnt(0)
	ds_write_b64 v32, v[10:11] offset:11904
.LBB44_359:
	s_or_b64 exec, exec, s[14:15]
	s_waitcnt lgkmcnt(0)
	s_barrier
	s_and_saveexec_b64 s[14:15], vcc
	s_cbranch_execz .LBB44_361
; %bb.360:
	v_mov_b32_e32 v33, 0
	ds_read_b64 v[31:32], v33 offset:10408
	v_mov_b32_e32 v34, 0x3ff00000
	ds_write_b64 v33, v[33:34] offset:10400
	s_waitcnt lgkmcnt(1)
	ds_write_b128 v33, v[31:34] offset:10912
.LBB44_361:
	s_or_b64 exec, exec, s[14:15]
	v_mov_b32_e32 v10, 0
	v_mov_b32_e32 v11, 0
	s_waitcnt lgkmcnt(0)
	s_barrier
	s_and_saveexec_b64 s[16:17], s[2:3]
	s_cbranch_execz .LBB44_365
; %bb.362:
	v_mul_u32_u24_e32 v31, 0x208, v15
	ds_read_b64 v[10:11], v12 offset:10416
	ds_read_b64 v[31:32], v31 offset:10400
	v_cmp_gt_u32_e64 s[14:15], 2, v14
	s_waitcnt lgkmcnt(0)
	v_fma_f64 v[10:11], v[10:11], v[31:32], 0
	s_and_saveexec_b64 s[20:21], s[14:15]
	s_cbranch_execz .LBB44_364
; %bb.363:
	v_lshlrev_b32_e32 v31, 3, v0
	v_mov_b32_e32 v33, 0
	ds_read_b64 v[31:32], v31 offset:10928
	ds_read_b64 v[33:34], v33 offset:10408
	s_waitcnt lgkmcnt(0)
	v_fma_f64 v[10:11], v[31:32], v[33:34], v[10:11]
.LBB44_364:
	s_or_b64 exec, exec, s[20:21]
	v_xor_b32_e32 v11, 0x80000000, v11
.LBB44_365:
	s_or_b64 exec, exec, s[16:17]
	s_and_saveexec_b64 s[0:1], s[30:31]
; %bb.366:
	ds_write_b64 v13, v[10:11]
; %bb.367:
	s_or_b64 exec, exec, s[0:1]
	s_waitcnt lgkmcnt(0)
	s_barrier
	s_and_saveexec_b64 s[0:1], s[28:29]
	s_cbranch_execz .LBB44_369
; %bb.368:
	v_mov_b32_e32 v31, 0
	ds_read_b64 v[31:32], v31 offset:11448
	ds_read_b64 v[33:34], v13
	s_waitcnt lgkmcnt(0)
	v_fma_f64 v[10:11], v[31:32], v[33:34], v[10:11]
.LBB44_369:
	s_or_b64 exec, exec, s[0:1]
	s_barrier
	s_and_saveexec_b64 s[0:1], s[28:29]
; %bb.370:
	ds_write_b64 v13, v[10:11]
; %bb.371:
	s_or_b64 exec, exec, s[0:1]
	s_waitcnt lgkmcnt(0)
	s_barrier
	s_barrier
	s_and_saveexec_b64 s[0:1], s[2:3]
; %bb.372:
	v_xor_b32_e32 v11, 0x80000000, v11
	ds_write_b64 v12, v[10:11] offset:10416
; %bb.373:
	s_or_b64 exec, exec, s[0:1]
	s_waitcnt lgkmcnt(0)
	s_barrier
	s_barrier
	s_and_saveexec_b64 s[14:15], s[34:35]
	s_cbranch_execz .LBB44_375
; %bb.374:
	v_lshlrev_b32_e32 v31, 3, v0
	s_movk_i32 s0, 0x1f8
	v_mad_u32_u24 v32, v0, s0, v31
	ds_read_b64 v[10:11], v32 offset:10416
	s_waitcnt lgkmcnt(0)
	ds_write_b64 v31, v[10:11] offset:11424
	ds_read_b64 v[10:11], v32 offset:10424
	s_waitcnt lgkmcnt(0)
	ds_write_b64 v31, v[10:11] offset:11936
.LBB44_375:
	s_or_b64 exec, exec, s[14:15]
	s_waitcnt lgkmcnt(0)
	s_barrier
	s_and_saveexec_b64 s[14:15], vcc
	s_cbranch_execz .LBB44_377
; %bb.376:
	v_mov_b32_e32 v33, 0
	ds_read_b64 v[31:32], v33 offset:11448
	v_mov_b32_e32 v34, 0x3ff00000
	ds_write_b64 v33, v[33:34] offset:11440
	s_waitcnt lgkmcnt(1)
	ds_write_b128 v33, v[31:34] offset:11952
.LBB44_377:
	s_or_b64 exec, exec, s[14:15]
	v_mov_b32_e32 v10, 0
	v_mov_b32_e32 v11, 0
	s_waitcnt lgkmcnt(0)
	s_barrier
	s_and_saveexec_b64 s[16:17], s[8:9]
	s_cbranch_execz .LBB44_387
; %bb.378:
	v_mul_u32_u24_e32 v31, 0x208, v25
	ds_read_b64 v[10:11], v21 offset:8384
	ds_read_b64 v[32:33], v31 offset:8320
	v_cmp_gt_u32_e64 s[14:15], 56, v14
	s_waitcnt lgkmcnt(0)
	v_fma_f64 v[10:11], v[10:11], v[32:33], 0
	s_and_saveexec_b64 s[20:21], s[14:15]
	s_cbranch_execnz .LBB44_1186
; %bb.379:
	s_or_b64 exec, exec, s[20:21]
	v_cmp_gt_u32_e64 s[14:15], 48, v14
	s_and_saveexec_b64 s[20:21], s[14:15]
	s_cbranch_execnz .LBB44_1187
.LBB44_380:
	s_or_b64 exec, exec, s[20:21]
	v_cmp_gt_u32_e64 s[14:15], 40, v14
	s_and_saveexec_b64 s[20:21], s[14:15]
	s_cbranch_execnz .LBB44_1188
.LBB44_381:
	s_or_b64 exec, exec, s[20:21]
	v_cmp_gt_u32_e64 s[14:15], 32, v14
	s_and_saveexec_b64 s[0:1], s[14:15]
	s_cbranch_execnz .LBB44_1189
.LBB44_382:
	s_or_b64 exec, exec, s[0:1]
	v_cmp_gt_u32_e64 s[14:15], 24, v14
	s_and_saveexec_b64 s[20:21], s[14:15]
	s_cbranch_execnz .LBB44_1190
.LBB44_383:
	s_or_b64 exec, exec, s[20:21]
	v_cmp_gt_u32_e64 s[14:15], 16, v14
	s_and_saveexec_b64 s[0:1], s[14:15]
	s_cbranch_execnz .LBB44_1191
.LBB44_384:
	s_or_b64 exec, exec, s[0:1]
	v_cmp_gt_u32_e64 s[14:15], 8, v14
	s_and_saveexec_b64 s[20:21], s[14:15]
	s_cbranch_execz .LBB44_386
.LBB44_385:
	v_lshlrev_b32_e32 v31, 3, v0
	v_mov_b32_e32 v33, 0
	ds_read_b64 v[31:32], v31 offset:11968
	ds_read_b64 v[33:34], v33 offset:8376
	s_waitcnt lgkmcnt(0)
	v_fma_f64 v[10:11], v[31:32], v[33:34], v[10:11]
.LBB44_386:
	s_or_b64 exec, exec, s[20:21]
	v_xor_b32_e32 v11, 0x80000000, v11
.LBB44_387:
	s_or_b64 exec, exec, s[16:17]
	s_and_saveexec_b64 s[0:1], s[60:61]
; %bb.388:
	ds_write_b64 v23, v[10:11]
; %bb.389:
	s_or_b64 exec, exec, s[0:1]
	s_waitcnt lgkmcnt(0)
	s_barrier
	s_and_saveexec_b64 s[0:1], s[62:63]
	s_cbranch_execz .LBB44_391
; %bb.390:
	ds_read_b64 v[31:32], v22 offset:12480
	ds_read_b64 v[33:34], v23
	s_waitcnt lgkmcnt(0)
	v_fma_f64 v[10:11], v[31:32], v[33:34], v[10:11]
.LBB44_391:
	s_or_b64 exec, exec, s[0:1]
	s_barrier
	s_and_saveexec_b64 s[0:1], s[64:65]
; %bb.392:
	ds_write_b64 v23, v[10:11]
; %bb.393:
	s_or_b64 exec, exec, s[0:1]
	s_waitcnt lgkmcnt(0)
	s_barrier
	s_and_saveexec_b64 s[0:1], s[66:67]
	s_cbranch_execz .LBB44_395
; %bb.394:
	ds_read_b64 v[31:32], v22 offset:12992
	ds_read_b64 v[33:34], v23
	s_waitcnt lgkmcnt(0)
	v_fma_f64 v[10:11], v[31:32], v[33:34], v[10:11]
.LBB44_395:
	s_or_b64 exec, exec, s[0:1]
	s_barrier
	;; [unrolled: 17-line block ×6, first 2 shown]
	s_and_saveexec_b64 s[0:1], s[86:87]
; %bb.412:
	ds_write_b64 v23, v[10:11]
; %bb.413:
	s_or_b64 exec, exec, s[0:1]
	s_waitcnt lgkmcnt(0)
	s_barrier
	s_and_saveexec_b64 s[0:1], s[70:71]
	s_cbranch_execz .LBB44_415
; %bb.414:
	v_mov_b32_e32 v31, 0
	ds_read_b64 v[31:32], v31 offset:15608
	ds_read_b64 v[33:34], v23
	s_waitcnt lgkmcnt(0)
	v_fma_f64 v[10:11], v[31:32], v[33:34], v[10:11]
.LBB44_415:
	s_or_b64 exec, exec, s[0:1]
	s_barrier
	s_and_saveexec_b64 s[0:1], s[70:71]
; %bb.416:
	ds_write_b64 v23, v[10:11]
; %bb.417:
	s_or_b64 exec, exec, s[0:1]
	s_waitcnt lgkmcnt(0)
	s_barrier
	s_barrier
	s_and_saveexec_b64 s[0:1], s[8:9]
; %bb.418:
	v_xor_b32_e32 v11, 0x80000000, v11
	ds_write_b64 v21, v[10:11] offset:8384
; %bb.419:
	s_or_b64 exec, exec, s[0:1]
	s_waitcnt lgkmcnt(0)
	s_barrier
	s_barrier
	s_and_saveexec_b64 s[14:15], s[88:89]
	s_cbranch_execz .LBB44_421
; %bb.420:
	v_lshlrev_b32_e32 v31, 9, v0
	ds_read_b64 v[10:11], v31 offset:8384
	s_movk_i32 s0, 0xfe08
	v_mad_i32_i24 v32, v0, s0, v31
	s_waitcnt lgkmcnt(0)
	ds_write_b64 v32, v[10:11] offset:12416
	ds_read_b64 v[10:11], v31 offset:8392
	s_waitcnt lgkmcnt(0)
	ds_write_b64 v32, v[10:11] offset:12928
	ds_read_b64 v[10:11], v31 offset:8400
	;; [unrolled: 3-line block ×7, first 2 shown]
	s_waitcnt lgkmcnt(0)
	ds_write_b64 v32, v[10:11] offset:16000
.LBB44_421:
	s_or_b64 exec, exec, s[14:15]
	s_waitcnt lgkmcnt(0)
	s_barrier
	s_and_saveexec_b64 s[14:15], vcc
	s_cbranch_execz .LBB44_423
; %bb.422:
	v_mov_b32_e32 v33, 0
	ds_read_b64 v[31:32], v33 offset:12488
	v_mov_b32_e32 v34, 0x3ff00000
	ds_write_b64 v33, v[33:34] offset:12480
	s_waitcnt lgkmcnt(1)
	ds_write_b128 v33, v[31:34] offset:12992
.LBB44_423:
	s_or_b64 exec, exec, s[14:15]
	v_mov_b32_e32 v10, 0
	v_mov_b32_e32 v11, 0
	s_waitcnt lgkmcnt(0)
	s_barrier
	s_and_saveexec_b64 s[16:17], s[2:3]
	s_cbranch_execz .LBB44_427
; %bb.424:
	v_mul_u32_u24_e32 v31, 0x208, v15
	ds_read_b64 v[10:11], v12 offset:12496
	ds_read_b64 v[31:32], v31 offset:12480
	v_cmp_gt_u32_e64 s[14:15], 2, v14
	s_waitcnt lgkmcnt(0)
	v_fma_f64 v[10:11], v[10:11], v[31:32], 0
	s_and_saveexec_b64 s[20:21], s[14:15]
	s_cbranch_execz .LBB44_426
; %bb.425:
	v_lshlrev_b32_e32 v31, 3, v0
	v_mov_b32_e32 v33, 0
	ds_read_b64 v[31:32], v31 offset:13008
	ds_read_b64 v[33:34], v33 offset:12488
	s_waitcnt lgkmcnt(0)
	v_fma_f64 v[10:11], v[31:32], v[33:34], v[10:11]
.LBB44_426:
	s_or_b64 exec, exec, s[20:21]
	v_xor_b32_e32 v11, 0x80000000, v11
.LBB44_427:
	s_or_b64 exec, exec, s[16:17]
	s_and_saveexec_b64 s[0:1], s[30:31]
; %bb.428:
	ds_write_b64 v13, v[10:11]
; %bb.429:
	s_or_b64 exec, exec, s[0:1]
	s_waitcnt lgkmcnt(0)
	s_barrier
	s_and_saveexec_b64 s[0:1], s[28:29]
	s_cbranch_execz .LBB44_431
; %bb.430:
	v_mov_b32_e32 v31, 0
	ds_read_b64 v[31:32], v31 offset:13528
	ds_read_b64 v[33:34], v13
	s_waitcnt lgkmcnt(0)
	v_fma_f64 v[10:11], v[31:32], v[33:34], v[10:11]
.LBB44_431:
	s_or_b64 exec, exec, s[0:1]
	s_barrier
	s_and_saveexec_b64 s[0:1], s[28:29]
; %bb.432:
	ds_write_b64 v13, v[10:11]
; %bb.433:
	s_or_b64 exec, exec, s[0:1]
	s_waitcnt lgkmcnt(0)
	s_barrier
	s_barrier
	s_and_saveexec_b64 s[0:1], s[2:3]
; %bb.434:
	v_xor_b32_e32 v11, 0x80000000, v11
	ds_write_b64 v12, v[10:11] offset:12496
; %bb.435:
	s_or_b64 exec, exec, s[0:1]
	s_waitcnt lgkmcnt(0)
	s_barrier
	s_barrier
	s_and_saveexec_b64 s[14:15], s[34:35]
	s_cbranch_execz .LBB44_437
; %bb.436:
	v_lshlrev_b32_e32 v31, 3, v0
	s_movk_i32 s0, 0x1f8
	v_mad_u32_u24 v32, v0, s0, v31
	ds_read_b64 v[10:11], v32 offset:12496
	s_waitcnt lgkmcnt(0)
	ds_write_b64 v31, v[10:11] offset:13504
	ds_read_b64 v[10:11], v32 offset:12504
	s_waitcnt lgkmcnt(0)
	ds_write_b64 v31, v[10:11] offset:14016
.LBB44_437:
	s_or_b64 exec, exec, s[14:15]
	s_waitcnt lgkmcnt(0)
	s_barrier
	s_and_saveexec_b64 s[14:15], vcc
	s_cbranch_execz .LBB44_439
; %bb.438:
	v_mov_b32_e32 v33, 0
	ds_read_b64 v[31:32], v33 offset:13528
	v_mov_b32_e32 v34, 0x3ff00000
	ds_write_b64 v33, v[33:34] offset:13520
	s_waitcnt lgkmcnt(1)
	ds_write_b128 v33, v[31:34] offset:14032
.LBB44_439:
	s_or_b64 exec, exec, s[14:15]
	v_mov_b32_e32 v10, 0
	v_mov_b32_e32 v11, 0
	s_waitcnt lgkmcnt(0)
	s_barrier
	s_and_saveexec_b64 s[16:17], s[18:19]
	s_cbranch_execz .LBB44_445
; %bb.440:
	v_mul_u32_u24_e32 v31, 0x208, v20
	ds_read_b64 v[10:11], v16 offset:12512
	ds_read_b64 v[32:33], v31 offset:12480
	v_cmp_gt_u32_e64 s[14:15], 12, v14
	s_waitcnt lgkmcnt(0)
	v_fma_f64 v[10:11], v[10:11], v[32:33], 0
	s_and_saveexec_b64 s[20:21], s[14:15]
	s_cbranch_execnz .LBB44_1192
; %bb.441:
	s_or_b64 exec, exec, s[20:21]
	v_cmp_gt_u32_e64 s[14:15], 8, v14
	s_and_saveexec_b64 s[0:1], s[14:15]
	s_cbranch_execnz .LBB44_1193
.LBB44_442:
	s_or_b64 exec, exec, s[0:1]
	v_cmp_gt_u32_e64 s[14:15], 4, v14
	s_and_saveexec_b64 s[20:21], s[14:15]
	s_cbranch_execz .LBB44_444
.LBB44_443:
	v_lshlrev_b32_e32 v31, 3, v0
	v_mov_b32_e32 v33, 0
	ds_read_b64 v[31:32], v31 offset:14048
	ds_read_b64 v[33:34], v33 offset:12504
	s_waitcnt lgkmcnt(0)
	v_fma_f64 v[10:11], v[31:32], v[33:34], v[10:11]
.LBB44_444:
	s_or_b64 exec, exec, s[20:21]
	v_xor_b32_e32 v11, 0x80000000, v11
.LBB44_445:
	s_or_b64 exec, exec, s[16:17]
	s_and_saveexec_b64 s[0:1], s[38:39]
; %bb.446:
	ds_write_b64 v18, v[10:11]
; %bb.447:
	s_or_b64 exec, exec, s[0:1]
	s_waitcnt lgkmcnt(0)
	s_barrier
	s_and_saveexec_b64 s[0:1], s[42:43]
	s_cbranch_execz .LBB44_449
; %bb.448:
	ds_read_b64 v[31:32], v17 offset:14560
	ds_read_b64 v[33:34], v18
	s_waitcnt lgkmcnt(0)
	v_fma_f64 v[10:11], v[31:32], v[33:34], v[10:11]
.LBB44_449:
	s_or_b64 exec, exec, s[0:1]
	s_barrier
	s_and_saveexec_b64 s[0:1], s[52:53]
; %bb.450:
	ds_write_b64 v18, v[10:11]
; %bb.451:
	s_or_b64 exec, exec, s[0:1]
	s_waitcnt lgkmcnt(0)
	s_barrier
	s_and_saveexec_b64 s[0:1], s[54:55]
	s_cbranch_execz .LBB44_453
; %bb.452:
	ds_read_b64 v[31:32], v17 offset:15072
	ds_read_b64 v[33:34], v18
	s_waitcnt lgkmcnt(0)
	v_fma_f64 v[10:11], v[31:32], v[33:34], v[10:11]
.LBB44_453:
	s_or_b64 exec, exec, s[0:1]
	s_barrier
	s_and_saveexec_b64 s[0:1], s[56:57]
; %bb.454:
	ds_write_b64 v18, v[10:11]
; %bb.455:
	s_or_b64 exec, exec, s[0:1]
	s_waitcnt lgkmcnt(0)
	s_barrier
	s_and_saveexec_b64 s[0:1], s[36:37]
	s_cbranch_execz .LBB44_457
; %bb.456:
	v_mov_b32_e32 v31, 0
	ds_read_b64 v[31:32], v31 offset:15608
	ds_read_b64 v[33:34], v18
	s_waitcnt lgkmcnt(0)
	v_fma_f64 v[10:11], v[31:32], v[33:34], v[10:11]
.LBB44_457:
	s_or_b64 exec, exec, s[0:1]
	s_barrier
	s_and_saveexec_b64 s[0:1], s[36:37]
; %bb.458:
	ds_write_b64 v18, v[10:11]
; %bb.459:
	s_or_b64 exec, exec, s[0:1]
	s_waitcnt lgkmcnt(0)
	s_barrier
	s_barrier
	s_and_saveexec_b64 s[0:1], s[18:19]
; %bb.460:
	v_xor_b32_e32 v11, 0x80000000, v11
	ds_write_b64 v16, v[10:11] offset:12512
; %bb.461:
	s_or_b64 exec, exec, s[0:1]
	s_waitcnt lgkmcnt(0)
	s_barrier
	s_barrier
	s_and_saveexec_b64 s[14:15], s[58:59]
	s_cbranch_execz .LBB44_463
; %bb.462:
	v_lshlrev_b32_e32 v31, 9, v0
	ds_read_b64 v[10:11], v31 offset:12512
	s_movk_i32 s0, 0xfe08
	v_mad_i32_i24 v32, v0, s0, v31
	s_waitcnt lgkmcnt(0)
	ds_write_b64 v32, v[10:11] offset:14528
	ds_read_b64 v[10:11], v31 offset:12520
	s_waitcnt lgkmcnt(0)
	ds_write_b64 v32, v[10:11] offset:15040
	ds_read_b64 v[10:11], v31 offset:12528
	;; [unrolled: 3-line block ×3, first 2 shown]
	s_waitcnt lgkmcnt(0)
	ds_write_b64 v32, v[10:11] offset:16064
.LBB44_463:
	s_or_b64 exec, exec, s[14:15]
	s_waitcnt lgkmcnt(0)
	s_barrier
	s_and_saveexec_b64 s[14:15], vcc
	s_cbranch_execz .LBB44_465
; %bb.464:
	v_mov_b32_e32 v33, 0
	ds_read_b64 v[31:32], v33 offset:14568
	v_mov_b32_e32 v34, 0x3ff00000
	ds_write_b64 v33, v[33:34] offset:14560
	s_waitcnt lgkmcnt(1)
	ds_write_b128 v33, v[31:34] offset:15072
.LBB44_465:
	s_or_b64 exec, exec, s[14:15]
	v_mov_b32_e32 v10, 0
	v_mov_b32_e32 v11, 0
	s_waitcnt lgkmcnt(0)
	s_barrier
	s_and_saveexec_b64 s[16:17], s[2:3]
	s_cbranch_execz .LBB44_469
; %bb.466:
	v_mul_u32_u24_e32 v31, 0x208, v15
	ds_read_b64 v[10:11], v12 offset:14576
	ds_read_b64 v[31:32], v31 offset:14560
	v_cmp_gt_u32_e64 s[14:15], 2, v14
	s_waitcnt lgkmcnt(0)
	v_fma_f64 v[10:11], v[10:11], v[31:32], 0
	s_and_saveexec_b64 s[20:21], s[14:15]
	s_cbranch_execz .LBB44_468
; %bb.467:
	v_lshlrev_b32_e32 v31, 3, v0
	v_mov_b32_e32 v33, 0
	ds_read_b64 v[31:32], v31 offset:15088
	ds_read_b64 v[33:34], v33 offset:14568
	s_waitcnt lgkmcnt(0)
	v_fma_f64 v[10:11], v[31:32], v[33:34], v[10:11]
.LBB44_468:
	s_or_b64 exec, exec, s[20:21]
	v_xor_b32_e32 v11, 0x80000000, v11
.LBB44_469:
	s_or_b64 exec, exec, s[16:17]
	s_and_saveexec_b64 s[0:1], s[30:31]
; %bb.470:
	ds_write_b64 v13, v[10:11]
; %bb.471:
	s_or_b64 exec, exec, s[0:1]
	s_waitcnt lgkmcnt(0)
	s_barrier
	s_and_saveexec_b64 s[0:1], s[28:29]
	s_cbranch_execz .LBB44_473
; %bb.472:
	v_mov_b32_e32 v31, 0
	ds_read_b64 v[31:32], v31 offset:15608
	ds_read_b64 v[33:34], v13
	s_waitcnt lgkmcnt(0)
	v_fma_f64 v[10:11], v[31:32], v[33:34], v[10:11]
.LBB44_473:
	s_or_b64 exec, exec, s[0:1]
	s_barrier
	s_and_saveexec_b64 s[0:1], s[28:29]
; %bb.474:
	ds_write_b64 v13, v[10:11]
; %bb.475:
	s_or_b64 exec, exec, s[0:1]
	s_waitcnt lgkmcnt(0)
	s_barrier
	s_barrier
	s_and_saveexec_b64 s[0:1], s[2:3]
; %bb.476:
	v_xor_b32_e32 v11, 0x80000000, v11
	ds_write_b64 v12, v[10:11] offset:14576
; %bb.477:
	s_or_b64 exec, exec, s[0:1]
	s_waitcnt lgkmcnt(0)
	s_barrier
	s_barrier
	s_and_saveexec_b64 s[14:15], s[34:35]
	s_cbranch_execz .LBB44_479
; %bb.478:
	v_lshlrev_b32_e32 v31, 3, v0
	s_movk_i32 s0, 0x1f8
	v_mad_u32_u24 v32, v0, s0, v31
	ds_read_b64 v[10:11], v32 offset:14576
	s_waitcnt lgkmcnt(0)
	ds_write_b64 v31, v[10:11] offset:15584
	ds_read_b64 v[10:11], v32 offset:14584
	s_waitcnt lgkmcnt(0)
	ds_write_b64 v31, v[10:11] offset:16096
.LBB44_479:
	s_or_b64 exec, exec, s[14:15]
	s_waitcnt lgkmcnt(0)
	s_barrier
	s_and_saveexec_b64 s[14:15], vcc
	s_cbranch_execz .LBB44_481
; %bb.480:
	v_mov_b32_e32 v33, 0
	ds_read_b64 v[31:32], v33 offset:15608
	v_mov_b32_e32 v34, 0x3ff00000
	ds_write_b64 v33, v[33:34] offset:15600
	s_waitcnt lgkmcnt(1)
	ds_write_b128 v33, v[31:34] offset:16112
.LBB44_481:
	s_or_b64 exec, exec, s[14:15]
	v_and_b32_e32 v33, 31, v0
	s_movk_i32 s0, 0x3ff
	v_lshrrev_b32_e32 v34, 5, v14
	v_cmp_lt_u32_e64 s[16:17], s0, v14
	s_movk_i32 s0, 0x400
	v_lshlrev_b32_e32 v32, 3, v33
	v_mov_b32_e32 v10, 0
	v_cmp_gt_u32_e64 s[14:15], s0, v14
	v_mov_b32_e32 v11, 0
	v_lshl_or_b32 v31, v34, 9, v32
	s_waitcnt lgkmcnt(0)
	s_barrier
	s_and_saveexec_b64 s[94:95], s[14:15]
	s_cbranch_execz .LBB44_543
; %bb.482:
	v_mul_u32_u24_e32 v35, 0x208, v34
	ds_read_b64 v[10:11], v31 offset:256
	ds_read_b64 v[36:37], v35
	s_movk_i32 s0, 0x3e0
	v_cmp_gt_u32_e64 s[20:21], s0, v14
	s_waitcnt lgkmcnt(0)
	v_fma_f64 v[10:11], v[10:11], v[36:37], 0
	s_and_saveexec_b64 s[0:1], s[20:21]
	s_cbranch_execz .LBB44_484
; %bb.483:
	ds_read_b64 v[36:37], v31 offset:768
	ds_read_b64 v[38:39], v35 offset:8
	s_waitcnt lgkmcnt(0)
	v_fma_f64 v[10:11], v[36:37], v[38:39], v[10:11]
.LBB44_484:
	s_or_b64 exec, exec, s[0:1]
	s_movk_i32 s0, 0x3c0
	v_cmp_gt_u32_e64 s[20:21], s0, v14
	s_and_saveexec_b64 s[0:1], s[20:21]
	s_cbranch_execz .LBB44_486
; %bb.485:
	ds_read_b64 v[36:37], v31 offset:1280
	ds_read_b64 v[38:39], v35 offset:16
	s_waitcnt lgkmcnt(0)
	v_fma_f64 v[10:11], v[36:37], v[38:39], v[10:11]
.LBB44_486:
	s_or_b64 exec, exec, s[0:1]
	s_movk_i32 s0, 0x3a0
	v_cmp_gt_u32_e64 s[20:21], s0, v14
	;; [unrolled: 11-line block ×28, first 2 shown]
	s_and_saveexec_b64 s[0:1], s[20:21]
	s_cbranch_execnz .LBB44_1194
; %bb.539:
	s_or_b64 exec, exec, s[0:1]
	v_cmp_gt_u32_e64 s[20:21], 64, v14
	s_and_saveexec_b64 s[0:1], s[20:21]
	s_cbranch_execnz .LBB44_1195
.LBB44_540:
	s_or_b64 exec, exec, s[0:1]
	v_cmp_gt_u32_e64 s[20:21], 32, v14
	s_and_saveexec_b64 s[0:1], s[20:21]
	s_cbranch_execz .LBB44_542
.LBB44_541:
	v_lshlrev_b32_e32 v35, 3, v0
	v_mov_b32_e32 v37, 0
	ds_read_b64 v[35:36], v35 offset:16128
	ds_read_b64 v[37:38], v37 offset:248
	s_waitcnt lgkmcnt(0)
	v_fma_f64 v[10:11], v[35:36], v[37:38], v[10:11]
.LBB44_542:
	s_or_b64 exec, exec, s[0:1]
	v_xor_b32_e32 v11, 0x80000000, v11
.LBB44_543:
	s_or_b64 exec, exec, s[94:95]
	v_mov_b32_e32 v35, 0x8000
	v_cmp_eq_u32_e64 s[20:21], 0, v33
	s_xor_b64 s[94:95], s[16:17], -1
	v_lshl_or_b32 v34, v34, 3, v35
	s_and_b64 s[16:17], s[94:95], s[20:21]
	s_and_saveexec_b64 s[0:1], s[16:17]
; %bb.544:
	ds_write_b64 v34, v[10:11]
; %bb.545:
	s_or_b64 exec, exec, s[0:1]
	v_cmp_ne_u32_e64 s[16:17], 0, v33
	s_and_b64 s[16:17], s[94:95], s[16:17]
	s_waitcnt lgkmcnt(0)
	s_barrier
	s_and_saveexec_b64 s[0:1], s[16:17]
	s_cbranch_execz .LBB44_547
; %bb.546:
	ds_read_b64 v[35:36], v32 offset:16640
	ds_read_b64 v[37:38], v34
	s_waitcnt lgkmcnt(0)
	v_fma_f64 v[10:11], v[35:36], v[37:38], v[10:11]
.LBB44_547:
	s_or_b64 exec, exec, s[0:1]
	v_cmp_eq_u32_e64 s[16:17], 1, v33
	s_and_b64 s[16:17], s[94:95], s[16:17]
	s_barrier
	s_and_saveexec_b64 s[0:1], s[16:17]
; %bb.548:
	ds_write_b64 v34, v[10:11]
; %bb.549:
	s_or_b64 exec, exec, s[0:1]
	v_cmp_lt_u32_e64 s[16:17], 1, v33
	s_and_b64 s[16:17], s[94:95], s[16:17]
	s_waitcnt lgkmcnt(0)
	s_barrier
	s_and_saveexec_b64 s[0:1], s[16:17]
	s_cbranch_execz .LBB44_551
; %bb.550:
	ds_read_b64 v[35:36], v32 offset:17152
	ds_read_b64 v[37:38], v34
	s_waitcnt lgkmcnt(0)
	v_fma_f64 v[10:11], v[35:36], v[37:38], v[10:11]
.LBB44_551:
	s_or_b64 exec, exec, s[0:1]
	v_cmp_eq_u32_e64 s[16:17], 2, v33
	s_and_b64 s[16:17], s[94:95], s[16:17]
	s_barrier
	s_and_saveexec_b64 s[0:1], s[16:17]
; %bb.552:
	ds_write_b64 v34, v[10:11]
; %bb.553:
	s_or_b64 exec, exec, s[0:1]
	v_cmp_lt_u32_e64 s[16:17], 2, v33
	;; [unrolled: 21-line block ×29, first 2 shown]
	s_and_b64 s[16:17], s[94:95], s[16:17]
	s_waitcnt lgkmcnt(0)
	s_barrier
	s_and_saveexec_b64 s[0:1], s[16:17]
	s_cbranch_execz .LBB44_663
; %bb.662:
	ds_read_b64 v[35:36], v32 offset:31488
	ds_read_b64 v[37:38], v34
	s_waitcnt lgkmcnt(0)
	v_fma_f64 v[10:11], v[35:36], v[37:38], v[10:11]
.LBB44_663:
	s_or_b64 exec, exec, s[0:1]
	v_cmp_eq_u32_e64 s[16:17], 30, v33
	s_and_b64 s[16:17], s[94:95], s[16:17]
	s_barrier
	s_and_saveexec_b64 s[0:1], s[16:17]
; %bb.664:
	ds_write_b64 v34, v[10:11]
; %bb.665:
	s_or_b64 exec, exec, s[0:1]
	v_cmp_eq_u32_e64 s[16:17], 31, v33
	s_and_b64 s[16:17], s[94:95], s[16:17]
	s_waitcnt lgkmcnt(0)
	s_barrier
	s_and_saveexec_b64 s[0:1], s[16:17]
	s_cbranch_execz .LBB44_667
; %bb.666:
	ds_read_b64 v[32:33], v32 offset:32000
	ds_read_b64 v[35:36], v34
	s_waitcnt lgkmcnt(0)
	v_fma_f64 v[10:11], v[32:33], v[35:36], v[10:11]
.LBB44_667:
	s_or_b64 exec, exec, s[0:1]
	s_barrier
	s_and_saveexec_b64 s[0:1], s[16:17]
; %bb.668:
	ds_write_b64 v34, v[10:11]
; %bb.669:
	s_or_b64 exec, exec, s[0:1]
	s_waitcnt lgkmcnt(0)
	s_barrier
	s_barrier
	s_and_saveexec_b64 s[0:1], s[14:15]
; %bb.670:
	v_xor_b32_e32 v11, 0x80000000, v11
	ds_write_b64 v31, v[10:11] offset:256
; %bb.671:
	s_or_b64 exec, exec, s[0:1]
	v_cmp_gt_u32_e64 s[14:15], 32, v0
	s_and_b64 s[0:1], s[12:13], s[14:15]
	s_waitcnt lgkmcnt(0)
	s_barrier
	s_barrier
	s_and_saveexec_b64 s[12:13], s[0:1]
	s_cbranch_execz .LBB44_673
; %bb.672:
	v_lshlrev_b32_e32 v31, 9, v0
	ds_read_b64 v[10:11], v31 offset:256
	s_movk_i32 s0, 0xfe08
	v_mad_i32_i24 v32, v0, s0, v31
	s_waitcnt lgkmcnt(0)
	ds_write_b64 v32, v[10:11] offset:16384
	ds_read_b64 v[10:11], v31 offset:264
	s_waitcnt lgkmcnt(0)
	ds_write_b64 v32, v[10:11] offset:16896
	ds_read_b64 v[10:11], v31 offset:272
	;; [unrolled: 3-line block ×31, first 2 shown]
	s_waitcnt lgkmcnt(0)
	ds_write_b64 v32, v[10:11] offset:32256
.LBB44_673:
	s_or_b64 exec, exec, s[12:13]
	s_waitcnt lgkmcnt(0)
	s_barrier
	s_and_saveexec_b64 s[12:13], vcc
	s_cbranch_execz .LBB44_675
; %bb.674:
	v_mov_b32_e32 v33, 0
	ds_read_b64 v[31:32], v33 offset:16648
	v_mov_b32_e32 v34, 0x3ff00000
	ds_write_b64 v33, v[33:34] offset:16640
	s_waitcnt lgkmcnt(1)
	ds_write_b128 v33, v[31:34] offset:17152
.LBB44_675:
	s_or_b64 exec, exec, s[12:13]
	v_mov_b32_e32 v10, 0
	v_mov_b32_e32 v11, 0
	s_waitcnt lgkmcnt(0)
	s_barrier
	s_and_saveexec_b64 s[14:15], s[2:3]
	s_cbranch_execz .LBB44_679
; %bb.676:
	v_mul_u32_u24_e32 v31, 0x208, v15
	ds_read_b64 v[10:11], v12 offset:16656
	ds_read_b64 v[31:32], v31 offset:16640
	v_cmp_gt_u32_e64 s[12:13], 2, v14
	s_waitcnt lgkmcnt(0)
	v_fma_f64 v[10:11], v[10:11], v[31:32], 0
	s_and_saveexec_b64 s[16:17], s[12:13]
	s_cbranch_execz .LBB44_678
; %bb.677:
	v_lshlrev_b32_e32 v31, 3, v0
	v_mov_b32_e32 v33, 0
	ds_read_b64 v[31:32], v31 offset:17168
	ds_read_b64 v[33:34], v33 offset:16648
	s_waitcnt lgkmcnt(0)
	v_fma_f64 v[10:11], v[31:32], v[33:34], v[10:11]
.LBB44_678:
	s_or_b64 exec, exec, s[16:17]
	v_xor_b32_e32 v11, 0x80000000, v11
.LBB44_679:
	s_or_b64 exec, exec, s[14:15]
	s_and_saveexec_b64 s[0:1], s[30:31]
; %bb.680:
	ds_write_b64 v13, v[10:11]
; %bb.681:
	s_or_b64 exec, exec, s[0:1]
	s_waitcnt lgkmcnt(0)
	s_barrier
	s_and_saveexec_b64 s[0:1], s[28:29]
	s_cbranch_execz .LBB44_683
; %bb.682:
	v_mov_b32_e32 v31, 0
	ds_read_b64 v[31:32], v31 offset:17688
	ds_read_b64 v[33:34], v13
	s_waitcnt lgkmcnt(0)
	v_fma_f64 v[10:11], v[31:32], v[33:34], v[10:11]
.LBB44_683:
	s_or_b64 exec, exec, s[0:1]
	s_barrier
	s_and_saveexec_b64 s[0:1], s[28:29]
; %bb.684:
	ds_write_b64 v13, v[10:11]
; %bb.685:
	s_or_b64 exec, exec, s[0:1]
	s_waitcnt lgkmcnt(0)
	s_barrier
	s_barrier
	s_and_saveexec_b64 s[0:1], s[2:3]
; %bb.686:
	v_xor_b32_e32 v11, 0x80000000, v11
	ds_write_b64 v12, v[10:11] offset:16656
; %bb.687:
	s_or_b64 exec, exec, s[0:1]
	s_waitcnt lgkmcnt(0)
	s_barrier
	s_barrier
	s_and_saveexec_b64 s[0:1], s[34:35]
	s_cbranch_execz .LBB44_689
; %bb.688:
	v_lshlrev_b32_e32 v31, 3, v0
	s_movk_i32 s12, 0x1f8
	v_mad_u32_u24 v32, v0, s12, v31
	ds_read_b64 v[10:11], v32 offset:16656
	s_waitcnt lgkmcnt(0)
	ds_write_b64 v31, v[10:11] offset:17664
	ds_read_b64 v[10:11], v32 offset:16664
	s_waitcnt lgkmcnt(0)
	ds_write_b64 v31, v[10:11] offset:18176
.LBB44_689:
	s_or_b64 exec, exec, s[0:1]
	s_waitcnt lgkmcnt(0)
	s_barrier
	s_and_saveexec_b64 s[12:13], vcc
	s_cbranch_execz .LBB44_691
; %bb.690:
	v_mov_b32_e32 v33, 0
	ds_read_b64 v[31:32], v33 offset:17688
	v_mov_b32_e32 v34, 0x3ff00000
	ds_write_b64 v33, v[33:34] offset:17680
	s_waitcnt lgkmcnt(1)
	ds_write_b128 v33, v[31:34] offset:18192
.LBB44_691:
	s_or_b64 exec, exec, s[12:13]
	v_mov_b32_e32 v10, 0
	v_mov_b32_e32 v11, 0
	s_waitcnt lgkmcnt(0)
	s_barrier
	s_and_saveexec_b64 s[14:15], s[18:19]
	s_cbranch_execz .LBB44_697
; %bb.692:
	v_mul_u32_u24_e32 v31, 0x208, v20
	ds_read_b64 v[10:11], v16 offset:16672
	ds_read_b64 v[32:33], v31 offset:16640
	v_cmp_gt_u32_e64 s[12:13], 12, v14
	s_waitcnt lgkmcnt(0)
	v_fma_f64 v[10:11], v[10:11], v[32:33], 0
	s_and_saveexec_b64 s[16:17], s[12:13]
	s_cbranch_execnz .LBB44_1196
; %bb.693:
	s_or_b64 exec, exec, s[16:17]
	v_cmp_gt_u32_e64 s[12:13], 8, v14
	s_and_saveexec_b64 s[0:1], s[12:13]
	s_cbranch_execnz .LBB44_1197
.LBB44_694:
	s_or_b64 exec, exec, s[0:1]
	v_cmp_gt_u32_e64 s[12:13], 4, v14
	s_and_saveexec_b64 s[0:1], s[12:13]
	s_cbranch_execz .LBB44_696
.LBB44_695:
	v_lshlrev_b32_e32 v31, 3, v0
	v_mov_b32_e32 v33, 0
	ds_read_b64 v[31:32], v31 offset:18208
	ds_read_b64 v[33:34], v33 offset:16664
	s_waitcnt lgkmcnt(0)
	v_fma_f64 v[10:11], v[31:32], v[33:34], v[10:11]
.LBB44_696:
	s_or_b64 exec, exec, s[0:1]
	v_xor_b32_e32 v11, 0x80000000, v11
.LBB44_697:
	s_or_b64 exec, exec, s[14:15]
	s_and_saveexec_b64 s[0:1], s[38:39]
; %bb.698:
	ds_write_b64 v18, v[10:11]
; %bb.699:
	s_or_b64 exec, exec, s[0:1]
	s_waitcnt lgkmcnt(0)
	s_barrier
	s_and_saveexec_b64 s[0:1], s[42:43]
	s_cbranch_execz .LBB44_701
; %bb.700:
	ds_read_b64 v[31:32], v17 offset:18720
	ds_read_b64 v[33:34], v18
	s_waitcnt lgkmcnt(0)
	v_fma_f64 v[10:11], v[31:32], v[33:34], v[10:11]
.LBB44_701:
	s_or_b64 exec, exec, s[0:1]
	s_barrier
	s_and_saveexec_b64 s[0:1], s[52:53]
; %bb.702:
	ds_write_b64 v18, v[10:11]
; %bb.703:
	s_or_b64 exec, exec, s[0:1]
	s_waitcnt lgkmcnt(0)
	s_barrier
	s_and_saveexec_b64 s[0:1], s[54:55]
	s_cbranch_execz .LBB44_705
; %bb.704:
	ds_read_b64 v[31:32], v17 offset:19232
	ds_read_b64 v[33:34], v18
	s_waitcnt lgkmcnt(0)
	v_fma_f64 v[10:11], v[31:32], v[33:34], v[10:11]
.LBB44_705:
	s_or_b64 exec, exec, s[0:1]
	s_barrier
	s_and_saveexec_b64 s[0:1], s[56:57]
; %bb.706:
	ds_write_b64 v18, v[10:11]
; %bb.707:
	s_or_b64 exec, exec, s[0:1]
	s_waitcnt lgkmcnt(0)
	s_barrier
	s_and_saveexec_b64 s[0:1], s[36:37]
	s_cbranch_execz .LBB44_709
; %bb.708:
	v_mov_b32_e32 v31, 0
	ds_read_b64 v[31:32], v31 offset:19768
	ds_read_b64 v[33:34], v18
	s_waitcnt lgkmcnt(0)
	v_fma_f64 v[10:11], v[31:32], v[33:34], v[10:11]
.LBB44_709:
	s_or_b64 exec, exec, s[0:1]
	s_barrier
	s_and_saveexec_b64 s[0:1], s[36:37]
; %bb.710:
	ds_write_b64 v18, v[10:11]
; %bb.711:
	s_or_b64 exec, exec, s[0:1]
	s_waitcnt lgkmcnt(0)
	s_barrier
	s_barrier
	s_and_saveexec_b64 s[0:1], s[18:19]
; %bb.712:
	v_xor_b32_e32 v11, 0x80000000, v11
	ds_write_b64 v16, v[10:11] offset:16672
; %bb.713:
	s_or_b64 exec, exec, s[0:1]
	s_waitcnt lgkmcnt(0)
	s_barrier
	s_barrier
	s_and_saveexec_b64 s[12:13], s[58:59]
	s_cbranch_execz .LBB44_715
; %bb.714:
	v_lshlrev_b32_e32 v31, 9, v0
	ds_read_b64 v[10:11], v31 offset:16672
	s_movk_i32 s0, 0xfe08
	v_mad_i32_i24 v32, v0, s0, v31
	s_waitcnt lgkmcnt(0)
	ds_write_b64 v32, v[10:11] offset:18688
	ds_read_b64 v[10:11], v31 offset:16680
	s_waitcnt lgkmcnt(0)
	ds_write_b64 v32, v[10:11] offset:19200
	ds_read_b64 v[10:11], v31 offset:16688
	;; [unrolled: 3-line block ×3, first 2 shown]
	s_waitcnt lgkmcnt(0)
	ds_write_b64 v32, v[10:11] offset:20224
.LBB44_715:
	s_or_b64 exec, exec, s[12:13]
	s_waitcnt lgkmcnt(0)
	s_barrier
	s_and_saveexec_b64 s[12:13], vcc
	s_cbranch_execz .LBB44_717
; %bb.716:
	v_mov_b32_e32 v33, 0
	ds_read_b64 v[31:32], v33 offset:18728
	v_mov_b32_e32 v34, 0x3ff00000
	ds_write_b64 v33, v[33:34] offset:18720
	s_waitcnt lgkmcnt(1)
	ds_write_b128 v33, v[31:34] offset:19232
.LBB44_717:
	s_or_b64 exec, exec, s[12:13]
	v_mov_b32_e32 v10, 0
	v_mov_b32_e32 v11, 0
	s_waitcnt lgkmcnt(0)
	s_barrier
	s_and_saveexec_b64 s[14:15], s[2:3]
	s_cbranch_execz .LBB44_721
; %bb.718:
	v_mul_u32_u24_e32 v31, 0x208, v15
	ds_read_b64 v[10:11], v12 offset:18736
	ds_read_b64 v[31:32], v31 offset:18720
	v_cmp_gt_u32_e64 s[12:13], 2, v14
	s_waitcnt lgkmcnt(0)
	v_fma_f64 v[10:11], v[10:11], v[31:32], 0
	s_and_saveexec_b64 s[16:17], s[12:13]
	s_cbranch_execz .LBB44_720
; %bb.719:
	v_lshlrev_b32_e32 v31, 3, v0
	v_mov_b32_e32 v33, 0
	ds_read_b64 v[31:32], v31 offset:19248
	ds_read_b64 v[33:34], v33 offset:18728
	s_waitcnt lgkmcnt(0)
	v_fma_f64 v[10:11], v[31:32], v[33:34], v[10:11]
.LBB44_720:
	s_or_b64 exec, exec, s[16:17]
	v_xor_b32_e32 v11, 0x80000000, v11
.LBB44_721:
	s_or_b64 exec, exec, s[14:15]
	s_and_saveexec_b64 s[0:1], s[30:31]
; %bb.722:
	ds_write_b64 v13, v[10:11]
; %bb.723:
	s_or_b64 exec, exec, s[0:1]
	s_waitcnt lgkmcnt(0)
	s_barrier
	s_and_saveexec_b64 s[0:1], s[28:29]
	s_cbranch_execz .LBB44_725
; %bb.724:
	v_mov_b32_e32 v31, 0
	ds_read_b64 v[31:32], v31 offset:19768
	ds_read_b64 v[33:34], v13
	s_waitcnt lgkmcnt(0)
	v_fma_f64 v[10:11], v[31:32], v[33:34], v[10:11]
.LBB44_725:
	s_or_b64 exec, exec, s[0:1]
	s_barrier
	s_and_saveexec_b64 s[0:1], s[28:29]
; %bb.726:
	ds_write_b64 v13, v[10:11]
; %bb.727:
	s_or_b64 exec, exec, s[0:1]
	s_waitcnt lgkmcnt(0)
	s_barrier
	s_barrier
	s_and_saveexec_b64 s[0:1], s[2:3]
; %bb.728:
	v_xor_b32_e32 v11, 0x80000000, v11
	ds_write_b64 v12, v[10:11] offset:18736
; %bb.729:
	s_or_b64 exec, exec, s[0:1]
	s_waitcnt lgkmcnt(0)
	s_barrier
	s_barrier
	s_and_saveexec_b64 s[0:1], s[34:35]
	s_cbranch_execz .LBB44_731
; %bb.730:
	v_lshlrev_b32_e32 v31, 3, v0
	s_movk_i32 s12, 0x1f8
	v_mad_u32_u24 v32, v0, s12, v31
	ds_read_b64 v[10:11], v32 offset:18736
	s_waitcnt lgkmcnt(0)
	ds_write_b64 v31, v[10:11] offset:19744
	ds_read_b64 v[10:11], v32 offset:18744
	s_waitcnt lgkmcnt(0)
	ds_write_b64 v31, v[10:11] offset:20256
.LBB44_731:
	s_or_b64 exec, exec, s[0:1]
	s_waitcnt lgkmcnt(0)
	s_barrier
	s_and_saveexec_b64 s[12:13], vcc
	s_cbranch_execz .LBB44_733
; %bb.732:
	v_mov_b32_e32 v33, 0
	ds_read_b64 v[31:32], v33 offset:19768
	v_mov_b32_e32 v34, 0x3ff00000
	ds_write_b64 v33, v[33:34] offset:19760
	s_waitcnt lgkmcnt(1)
	ds_write_b128 v33, v[31:34] offset:20272
.LBB44_733:
	s_or_b64 exec, exec, s[12:13]
	v_mov_b32_e32 v10, 0
	v_mov_b32_e32 v11, 0
	s_waitcnt lgkmcnt(0)
	s_barrier
	s_and_saveexec_b64 s[14:15], s[8:9]
	s_cbranch_execz .LBB44_743
; %bb.734:
	v_mul_u32_u24_e32 v31, 0x208, v25
	ds_read_b64 v[10:11], v21 offset:16704
	ds_read_b64 v[32:33], v31 offset:16640
	v_cmp_gt_u32_e64 s[12:13], 56, v14
	s_waitcnt lgkmcnt(0)
	v_fma_f64 v[10:11], v[10:11], v[32:33], 0
	s_and_saveexec_b64 s[16:17], s[12:13]
	s_cbranch_execnz .LBB44_1198
; %bb.735:
	s_or_b64 exec, exec, s[16:17]
	v_cmp_gt_u32_e64 s[12:13], 48, v14
	s_and_saveexec_b64 s[0:1], s[12:13]
	s_cbranch_execnz .LBB44_1199
.LBB44_736:
	s_or_b64 exec, exec, s[0:1]
	v_cmp_gt_u32_e64 s[12:13], 40, v14
	s_and_saveexec_b64 s[0:1], s[12:13]
	s_cbranch_execnz .LBB44_1200
.LBB44_737:
	s_or_b64 exec, exec, s[0:1]
	v_cmp_gt_u32_e64 s[12:13], 32, v14
	s_and_saveexec_b64 s[0:1], s[12:13]
	s_cbranch_execnz .LBB44_1201
.LBB44_738:
	s_or_b64 exec, exec, s[0:1]
	v_cmp_gt_u32_e64 s[12:13], 24, v14
	s_and_saveexec_b64 s[0:1], s[12:13]
	s_cbranch_execnz .LBB44_1202
.LBB44_739:
	s_or_b64 exec, exec, s[0:1]
	v_cmp_gt_u32_e64 s[12:13], 16, v14
	s_and_saveexec_b64 s[0:1], s[12:13]
	s_cbranch_execnz .LBB44_1203
.LBB44_740:
	s_or_b64 exec, exec, s[0:1]
	v_cmp_gt_u32_e64 s[12:13], 8, v14
	s_and_saveexec_b64 s[0:1], s[12:13]
	s_cbranch_execz .LBB44_742
.LBB44_741:
	v_lshlrev_b32_e32 v31, 3, v0
	v_mov_b32_e32 v33, 0
	ds_read_b64 v[31:32], v31 offset:20288
	ds_read_b64 v[33:34], v33 offset:16696
	s_waitcnt lgkmcnt(0)
	v_fma_f64 v[10:11], v[31:32], v[33:34], v[10:11]
.LBB44_742:
	s_or_b64 exec, exec, s[0:1]
	v_xor_b32_e32 v11, 0x80000000, v11
.LBB44_743:
	s_or_b64 exec, exec, s[14:15]
	s_and_saveexec_b64 s[0:1], s[60:61]
; %bb.744:
	ds_write_b64 v23, v[10:11]
; %bb.745:
	s_or_b64 exec, exec, s[0:1]
	s_waitcnt lgkmcnt(0)
	s_barrier
	s_and_saveexec_b64 s[0:1], s[62:63]
	s_cbranch_execz .LBB44_747
; %bb.746:
	ds_read_b64 v[31:32], v22 offset:20800
	ds_read_b64 v[33:34], v23
	s_waitcnt lgkmcnt(0)
	v_fma_f64 v[10:11], v[31:32], v[33:34], v[10:11]
.LBB44_747:
	s_or_b64 exec, exec, s[0:1]
	s_barrier
	s_and_saveexec_b64 s[0:1], s[64:65]
; %bb.748:
	ds_write_b64 v23, v[10:11]
; %bb.749:
	s_or_b64 exec, exec, s[0:1]
	s_waitcnt lgkmcnt(0)
	s_barrier
	s_and_saveexec_b64 s[0:1], s[66:67]
	s_cbranch_execz .LBB44_751
; %bb.750:
	ds_read_b64 v[31:32], v22 offset:21312
	ds_read_b64 v[33:34], v23
	s_waitcnt lgkmcnt(0)
	v_fma_f64 v[10:11], v[31:32], v[33:34], v[10:11]
.LBB44_751:
	s_or_b64 exec, exec, s[0:1]
	s_barrier
	;; [unrolled: 17-line block ×6, first 2 shown]
	s_and_saveexec_b64 s[0:1], s[86:87]
; %bb.768:
	ds_write_b64 v23, v[10:11]
; %bb.769:
	s_or_b64 exec, exec, s[0:1]
	s_waitcnt lgkmcnt(0)
	s_barrier
	s_and_saveexec_b64 s[0:1], s[70:71]
	s_cbranch_execz .LBB44_771
; %bb.770:
	v_mov_b32_e32 v31, 0
	ds_read_b64 v[31:32], v31 offset:23928
	ds_read_b64 v[33:34], v23
	s_waitcnt lgkmcnt(0)
	v_fma_f64 v[10:11], v[31:32], v[33:34], v[10:11]
.LBB44_771:
	s_or_b64 exec, exec, s[0:1]
	s_barrier
	s_and_saveexec_b64 s[0:1], s[70:71]
; %bb.772:
	ds_write_b64 v23, v[10:11]
; %bb.773:
	s_or_b64 exec, exec, s[0:1]
	s_waitcnt lgkmcnt(0)
	s_barrier
	s_barrier
	s_and_saveexec_b64 s[0:1], s[8:9]
; %bb.774:
	v_xor_b32_e32 v11, 0x80000000, v11
	ds_write_b64 v21, v[10:11] offset:16704
; %bb.775:
	s_or_b64 exec, exec, s[0:1]
	s_waitcnt lgkmcnt(0)
	s_barrier
	s_barrier
	s_and_saveexec_b64 s[12:13], s[88:89]
	s_cbranch_execz .LBB44_777
; %bb.776:
	v_lshlrev_b32_e32 v31, 9, v0
	ds_read_b64 v[10:11], v31 offset:16704
	s_movk_i32 s0, 0xfe08
	v_mad_i32_i24 v32, v0, s0, v31
	s_waitcnt lgkmcnt(0)
	ds_write_b64 v32, v[10:11] offset:20736
	ds_read_b64 v[10:11], v31 offset:16712
	s_waitcnt lgkmcnt(0)
	ds_write_b64 v32, v[10:11] offset:21248
	ds_read_b64 v[10:11], v31 offset:16720
	;; [unrolled: 3-line block ×7, first 2 shown]
	s_waitcnt lgkmcnt(0)
	ds_write_b64 v32, v[10:11] offset:24320
.LBB44_777:
	s_or_b64 exec, exec, s[12:13]
	s_waitcnt lgkmcnt(0)
	s_barrier
	s_and_saveexec_b64 s[12:13], vcc
	s_cbranch_execz .LBB44_779
; %bb.778:
	v_mov_b32_e32 v33, 0
	ds_read_b64 v[31:32], v33 offset:20808
	v_mov_b32_e32 v34, 0x3ff00000
	ds_write_b64 v33, v[33:34] offset:20800
	s_waitcnt lgkmcnt(1)
	ds_write_b128 v33, v[31:34] offset:21312
.LBB44_779:
	s_or_b64 exec, exec, s[12:13]
	v_mov_b32_e32 v10, 0
	v_mov_b32_e32 v11, 0
	s_waitcnt lgkmcnt(0)
	s_barrier
	s_and_saveexec_b64 s[14:15], s[2:3]
	s_cbranch_execz .LBB44_783
; %bb.780:
	v_mul_u32_u24_e32 v31, 0x208, v15
	ds_read_b64 v[10:11], v12 offset:20816
	ds_read_b64 v[31:32], v31 offset:20800
	v_cmp_gt_u32_e64 s[12:13], 2, v14
	s_waitcnt lgkmcnt(0)
	v_fma_f64 v[10:11], v[10:11], v[31:32], 0
	s_and_saveexec_b64 s[16:17], s[12:13]
	s_cbranch_execz .LBB44_782
; %bb.781:
	v_lshlrev_b32_e32 v31, 3, v0
	v_mov_b32_e32 v33, 0
	ds_read_b64 v[31:32], v31 offset:21328
	ds_read_b64 v[33:34], v33 offset:20808
	s_waitcnt lgkmcnt(0)
	v_fma_f64 v[10:11], v[31:32], v[33:34], v[10:11]
.LBB44_782:
	s_or_b64 exec, exec, s[16:17]
	v_xor_b32_e32 v11, 0x80000000, v11
.LBB44_783:
	s_or_b64 exec, exec, s[14:15]
	s_and_saveexec_b64 s[0:1], s[30:31]
; %bb.784:
	ds_write_b64 v13, v[10:11]
; %bb.785:
	s_or_b64 exec, exec, s[0:1]
	s_waitcnt lgkmcnt(0)
	s_barrier
	s_and_saveexec_b64 s[0:1], s[28:29]
	s_cbranch_execz .LBB44_787
; %bb.786:
	v_mov_b32_e32 v31, 0
	ds_read_b64 v[31:32], v31 offset:21848
	ds_read_b64 v[33:34], v13
	s_waitcnt lgkmcnt(0)
	v_fma_f64 v[10:11], v[31:32], v[33:34], v[10:11]
.LBB44_787:
	s_or_b64 exec, exec, s[0:1]
	s_barrier
	s_and_saveexec_b64 s[0:1], s[28:29]
; %bb.788:
	ds_write_b64 v13, v[10:11]
; %bb.789:
	s_or_b64 exec, exec, s[0:1]
	s_waitcnt lgkmcnt(0)
	s_barrier
	s_barrier
	s_and_saveexec_b64 s[0:1], s[2:3]
; %bb.790:
	v_xor_b32_e32 v11, 0x80000000, v11
	ds_write_b64 v12, v[10:11] offset:20816
; %bb.791:
	s_or_b64 exec, exec, s[0:1]
	s_waitcnt lgkmcnt(0)
	s_barrier
	s_barrier
	s_and_saveexec_b64 s[0:1], s[34:35]
	s_cbranch_execz .LBB44_793
; %bb.792:
	v_lshlrev_b32_e32 v31, 3, v0
	s_movk_i32 s12, 0x1f8
	v_mad_u32_u24 v32, v0, s12, v31
	ds_read_b64 v[10:11], v32 offset:20816
	s_waitcnt lgkmcnt(0)
	ds_write_b64 v31, v[10:11] offset:21824
	ds_read_b64 v[10:11], v32 offset:20824
	s_waitcnt lgkmcnt(0)
	ds_write_b64 v31, v[10:11] offset:22336
.LBB44_793:
	s_or_b64 exec, exec, s[0:1]
	s_waitcnt lgkmcnt(0)
	s_barrier
	s_and_saveexec_b64 s[12:13], vcc
	s_cbranch_execz .LBB44_795
; %bb.794:
	v_mov_b32_e32 v33, 0
	ds_read_b64 v[31:32], v33 offset:21848
	v_mov_b32_e32 v34, 0x3ff00000
	ds_write_b64 v33, v[33:34] offset:21840
	s_waitcnt lgkmcnt(1)
	ds_write_b128 v33, v[31:34] offset:22352
.LBB44_795:
	s_or_b64 exec, exec, s[12:13]
	v_mov_b32_e32 v10, 0
	v_mov_b32_e32 v11, 0
	s_waitcnt lgkmcnt(0)
	s_barrier
	s_and_saveexec_b64 s[14:15], s[18:19]
	s_cbranch_execz .LBB44_801
; %bb.796:
	v_mul_u32_u24_e32 v31, 0x208, v20
	ds_read_b64 v[10:11], v16 offset:20832
	ds_read_b64 v[32:33], v31 offset:20800
	v_cmp_gt_u32_e64 s[12:13], 12, v14
	s_waitcnt lgkmcnt(0)
	v_fma_f64 v[10:11], v[10:11], v[32:33], 0
	s_and_saveexec_b64 s[16:17], s[12:13]
	s_cbranch_execnz .LBB44_1204
; %bb.797:
	s_or_b64 exec, exec, s[16:17]
	v_cmp_gt_u32_e64 s[12:13], 8, v14
	s_and_saveexec_b64 s[0:1], s[12:13]
	s_cbranch_execnz .LBB44_1205
.LBB44_798:
	s_or_b64 exec, exec, s[0:1]
	v_cmp_gt_u32_e64 s[12:13], 4, v14
	s_and_saveexec_b64 s[0:1], s[12:13]
	s_cbranch_execz .LBB44_800
.LBB44_799:
	v_lshlrev_b32_e32 v31, 3, v0
	v_mov_b32_e32 v33, 0
	ds_read_b64 v[31:32], v31 offset:22368
	ds_read_b64 v[33:34], v33 offset:20824
	s_waitcnt lgkmcnt(0)
	v_fma_f64 v[10:11], v[31:32], v[33:34], v[10:11]
.LBB44_800:
	s_or_b64 exec, exec, s[0:1]
	v_xor_b32_e32 v11, 0x80000000, v11
.LBB44_801:
	s_or_b64 exec, exec, s[14:15]
	s_and_saveexec_b64 s[0:1], s[38:39]
; %bb.802:
	ds_write_b64 v18, v[10:11]
; %bb.803:
	s_or_b64 exec, exec, s[0:1]
	s_waitcnt lgkmcnt(0)
	s_barrier
	s_and_saveexec_b64 s[0:1], s[42:43]
	s_cbranch_execz .LBB44_805
; %bb.804:
	ds_read_b64 v[31:32], v17 offset:22880
	ds_read_b64 v[33:34], v18
	s_waitcnt lgkmcnt(0)
	v_fma_f64 v[10:11], v[31:32], v[33:34], v[10:11]
.LBB44_805:
	s_or_b64 exec, exec, s[0:1]
	s_barrier
	s_and_saveexec_b64 s[0:1], s[52:53]
; %bb.806:
	ds_write_b64 v18, v[10:11]
; %bb.807:
	s_or_b64 exec, exec, s[0:1]
	s_waitcnt lgkmcnt(0)
	s_barrier
	s_and_saveexec_b64 s[0:1], s[54:55]
	s_cbranch_execz .LBB44_809
; %bb.808:
	ds_read_b64 v[31:32], v17 offset:23392
	ds_read_b64 v[33:34], v18
	s_waitcnt lgkmcnt(0)
	v_fma_f64 v[10:11], v[31:32], v[33:34], v[10:11]
.LBB44_809:
	s_or_b64 exec, exec, s[0:1]
	s_barrier
	s_and_saveexec_b64 s[0:1], s[56:57]
; %bb.810:
	ds_write_b64 v18, v[10:11]
; %bb.811:
	s_or_b64 exec, exec, s[0:1]
	s_waitcnt lgkmcnt(0)
	s_barrier
	s_and_saveexec_b64 s[0:1], s[36:37]
	s_cbranch_execz .LBB44_813
; %bb.812:
	v_mov_b32_e32 v31, 0
	ds_read_b64 v[31:32], v31 offset:23928
	ds_read_b64 v[33:34], v18
	s_waitcnt lgkmcnt(0)
	v_fma_f64 v[10:11], v[31:32], v[33:34], v[10:11]
.LBB44_813:
	s_or_b64 exec, exec, s[0:1]
	s_barrier
	s_and_saveexec_b64 s[0:1], s[36:37]
; %bb.814:
	ds_write_b64 v18, v[10:11]
; %bb.815:
	s_or_b64 exec, exec, s[0:1]
	s_waitcnt lgkmcnt(0)
	s_barrier
	s_barrier
	s_and_saveexec_b64 s[0:1], s[18:19]
; %bb.816:
	v_xor_b32_e32 v11, 0x80000000, v11
	ds_write_b64 v16, v[10:11] offset:20832
; %bb.817:
	s_or_b64 exec, exec, s[0:1]
	s_waitcnt lgkmcnt(0)
	s_barrier
	s_barrier
	s_and_saveexec_b64 s[12:13], s[58:59]
	s_cbranch_execz .LBB44_819
; %bb.818:
	v_lshlrev_b32_e32 v31, 9, v0
	ds_read_b64 v[10:11], v31 offset:20832
	s_movk_i32 s0, 0xfe08
	v_mad_i32_i24 v32, v0, s0, v31
	s_waitcnt lgkmcnt(0)
	ds_write_b64 v32, v[10:11] offset:22848
	ds_read_b64 v[10:11], v31 offset:20840
	s_waitcnt lgkmcnt(0)
	ds_write_b64 v32, v[10:11] offset:23360
	ds_read_b64 v[10:11], v31 offset:20848
	;; [unrolled: 3-line block ×3, first 2 shown]
	s_waitcnt lgkmcnt(0)
	ds_write_b64 v32, v[10:11] offset:24384
.LBB44_819:
	s_or_b64 exec, exec, s[12:13]
	s_waitcnt lgkmcnt(0)
	s_barrier
	s_and_saveexec_b64 s[12:13], vcc
	s_cbranch_execz .LBB44_821
; %bb.820:
	v_mov_b32_e32 v33, 0
	ds_read_b64 v[31:32], v33 offset:22888
	v_mov_b32_e32 v34, 0x3ff00000
	ds_write_b64 v33, v[33:34] offset:22880
	s_waitcnt lgkmcnt(1)
	ds_write_b128 v33, v[31:34] offset:23392
.LBB44_821:
	s_or_b64 exec, exec, s[12:13]
	v_mov_b32_e32 v10, 0
	v_mov_b32_e32 v11, 0
	s_waitcnt lgkmcnt(0)
	s_barrier
	s_and_saveexec_b64 s[14:15], s[2:3]
	s_cbranch_execz .LBB44_825
; %bb.822:
	v_mul_u32_u24_e32 v31, 0x208, v15
	ds_read_b64 v[10:11], v12 offset:22896
	ds_read_b64 v[31:32], v31 offset:22880
	v_cmp_gt_u32_e64 s[12:13], 2, v14
	s_waitcnt lgkmcnt(0)
	v_fma_f64 v[10:11], v[10:11], v[31:32], 0
	s_and_saveexec_b64 s[16:17], s[12:13]
	s_cbranch_execz .LBB44_824
; %bb.823:
	v_lshlrev_b32_e32 v31, 3, v0
	v_mov_b32_e32 v33, 0
	ds_read_b64 v[31:32], v31 offset:23408
	ds_read_b64 v[33:34], v33 offset:22888
	s_waitcnt lgkmcnt(0)
	v_fma_f64 v[10:11], v[31:32], v[33:34], v[10:11]
.LBB44_824:
	s_or_b64 exec, exec, s[16:17]
	v_xor_b32_e32 v11, 0x80000000, v11
.LBB44_825:
	s_or_b64 exec, exec, s[14:15]
	s_and_saveexec_b64 s[0:1], s[30:31]
; %bb.826:
	ds_write_b64 v13, v[10:11]
; %bb.827:
	s_or_b64 exec, exec, s[0:1]
	s_waitcnt lgkmcnt(0)
	s_barrier
	s_and_saveexec_b64 s[0:1], s[28:29]
	s_cbranch_execz .LBB44_829
; %bb.828:
	v_mov_b32_e32 v31, 0
	ds_read_b64 v[31:32], v31 offset:23928
	ds_read_b64 v[33:34], v13
	s_waitcnt lgkmcnt(0)
	v_fma_f64 v[10:11], v[31:32], v[33:34], v[10:11]
.LBB44_829:
	s_or_b64 exec, exec, s[0:1]
	s_barrier
	s_and_saveexec_b64 s[0:1], s[28:29]
; %bb.830:
	ds_write_b64 v13, v[10:11]
; %bb.831:
	s_or_b64 exec, exec, s[0:1]
	s_waitcnt lgkmcnt(0)
	s_barrier
	s_barrier
	s_and_saveexec_b64 s[0:1], s[2:3]
; %bb.832:
	v_xor_b32_e32 v11, 0x80000000, v11
	ds_write_b64 v12, v[10:11] offset:22896
; %bb.833:
	s_or_b64 exec, exec, s[0:1]
	s_waitcnt lgkmcnt(0)
	s_barrier
	s_barrier
	s_and_saveexec_b64 s[0:1], s[34:35]
	s_cbranch_execz .LBB44_835
; %bb.834:
	v_lshlrev_b32_e32 v31, 3, v0
	s_movk_i32 s12, 0x1f8
	v_mad_u32_u24 v32, v0, s12, v31
	ds_read_b64 v[10:11], v32 offset:22896
	s_waitcnt lgkmcnt(0)
	ds_write_b64 v31, v[10:11] offset:23904
	ds_read_b64 v[10:11], v32 offset:22904
	s_waitcnt lgkmcnt(0)
	ds_write_b64 v31, v[10:11] offset:24416
.LBB44_835:
	s_or_b64 exec, exec, s[0:1]
	s_waitcnt lgkmcnt(0)
	s_barrier
	s_and_saveexec_b64 s[12:13], vcc
	s_cbranch_execz .LBB44_837
; %bb.836:
	v_mov_b32_e32 v33, 0
	ds_read_b64 v[31:32], v33 offset:23928
	v_mov_b32_e32 v34, 0x3ff00000
	ds_write_b64 v33, v[33:34] offset:23920
	s_waitcnt lgkmcnt(1)
	ds_write_b128 v33, v[31:34] offset:24432
.LBB44_837:
	s_or_b64 exec, exec, s[12:13]
	v_mov_b32_e32 v10, 0
	v_mov_b32_e32 v11, 0
	s_waitcnt lgkmcnt(0)
	s_barrier
	s_and_saveexec_b64 s[14:15], s[10:11]
	s_cbranch_execz .LBB44_865
; %bb.838:
	v_mul_u32_u24_e32 v31, 0x208, v30
	ds_read_b64 v[10:11], v26 offset:16768
	ds_read_b64 v[32:33], v31 offset:16640
	s_movk_i32 s0, 0xf0
	v_cmp_gt_u32_e64 s[12:13], s0, v14
	s_waitcnt lgkmcnt(0)
	v_fma_f64 v[10:11], v[10:11], v[32:33], 0
	s_and_saveexec_b64 s[16:17], s[12:13]
	s_cbranch_execz .LBB44_840
; %bb.839:
	v_lshlrev_b32_e32 v32, 3, v30
	v_sub_u32_e32 v32, v31, v32
	v_lshl_add_u32 v32, v27, 3, v32
	ds_read_b64 v[32:33], v32 offset:17280
	ds_read_b64 v[34:35], v31 offset:16648
	s_waitcnt lgkmcnt(0)
	v_fma_f64 v[10:11], v[32:33], v[34:35], v[10:11]
.LBB44_840:
	s_or_b64 exec, exec, s[16:17]
	s_movk_i32 s0, 0xe0
	v_cmp_gt_u32_e64 s[12:13], s0, v14
	s_and_saveexec_b64 s[0:1], s[12:13]
	s_cbranch_execz .LBB44_842
; %bb.841:
	v_lshlrev_b32_e32 v32, 3, v30
	v_sub_u32_e32 v32, v31, v32
	v_lshl_add_u32 v32, v27, 3, v32
	ds_read_b64 v[32:33], v32 offset:17792
	ds_read_b64 v[34:35], v31 offset:16656
	s_waitcnt lgkmcnt(0)
	v_fma_f64 v[10:11], v[32:33], v[34:35], v[10:11]
.LBB44_842:
	s_or_b64 exec, exec, s[0:1]
	s_movk_i32 s0, 0xd0
	v_cmp_gt_u32_e64 s[12:13], s0, v14
	;; [unrolled: 14-line block ×7, first 2 shown]
	s_and_saveexec_b64 s[0:1], s[12:13]
	s_cbranch_execz .LBB44_854
; %bb.853:
	ds_read_b64 v[32:33], v26 offset:20864
	ds_read_b64 v[34:35], v31 offset:16704
	s_waitcnt lgkmcnt(0)
	v_fma_f64 v[10:11], v[32:33], v[34:35], v[10:11]
.LBB44_854:
	s_or_b64 exec, exec, s[0:1]
	s_movk_i32 s0, 0x70
	v_cmp_gt_u32_e64 s[12:13], s0, v14
	s_and_saveexec_b64 s[0:1], s[12:13]
	s_cbranch_execz .LBB44_856
; %bb.855:
	v_lshlrev_b32_e32 v30, 3, v27
	v_lshl_add_u32 v30, v29, 3, v30
	ds_read_b64 v[32:33], v30 offset:21376
	ds_read_b64 v[34:35], v31 offset:16712
	s_waitcnt lgkmcnt(0)
	v_fma_f64 v[10:11], v[32:33], v[34:35], v[10:11]
.LBB44_856:
	s_or_b64 exec, exec, s[0:1]
	s_movk_i32 s0, 0x60
	v_cmp_gt_u32_e64 s[12:13], s0, v14
	s_and_saveexec_b64 s[0:1], s[12:13]
	s_cbranch_execz .LBB44_858
; %bb.857:
	v_lshlrev_b32_e32 v30, 3, v27
	v_lshl_add_u32 v30, v29, 3, v30
	ds_read_b64 v[32:33], v30 offset:21888
	ds_read_b64 v[34:35], v31 offset:16720
	s_waitcnt lgkmcnt(0)
	v_fma_f64 v[10:11], v[32:33], v[34:35], v[10:11]
.LBB44_858:
	s_or_b64 exec, exec, s[0:1]
	s_movk_i32 s0, 0x50
	v_cmp_gt_u32_e64 s[12:13], s0, v14
	s_and_saveexec_b64 s[0:1], s[12:13]
	s_cbranch_execnz .LBB44_1206
; %bb.859:
	s_or_b64 exec, exec, s[0:1]
	v_cmp_gt_u32_e64 s[12:13], 64, v14
	s_and_saveexec_b64 s[0:1], s[12:13]
	s_cbranch_execnz .LBB44_1207
.LBB44_860:
	s_or_b64 exec, exec, s[0:1]
	v_cmp_gt_u32_e64 s[12:13], 48, v14
	s_and_saveexec_b64 s[0:1], s[12:13]
	s_cbranch_execnz .LBB44_1208
.LBB44_861:
	s_or_b64 exec, exec, s[0:1]
	v_cmp_gt_u32_e64 s[12:13], 32, v14
	s_and_saveexec_b64 s[0:1], s[12:13]
	s_cbranch_execnz .LBB44_1209
.LBB44_862:
	s_or_b64 exec, exec, s[0:1]
	v_cmp_gt_u32_e64 s[12:13], 16, v14
	s_and_saveexec_b64 s[0:1], s[12:13]
	s_cbranch_execz .LBB44_864
.LBB44_863:
	v_lshlrev_b32_e32 v29, 3, v0
	v_mov_b32_e32 v31, 0
	ds_read_b64 v[29:30], v29 offset:24448
	ds_read_b64 v[31:32], v31 offset:16760
	s_waitcnt lgkmcnt(0)
	v_fma_f64 v[10:11], v[29:30], v[31:32], v[10:11]
.LBB44_864:
	s_or_b64 exec, exec, s[0:1]
	v_xor_b32_e32 v11, 0x80000000, v11
.LBB44_865:
	s_or_b64 exec, exec, s[14:15]
	s_mov_b64 s[0:1], exec
	v_readlane_b32 s12, v40, 3
	v_readlane_b32 s13, v40, 4
	s_and_b64 s[12:13], s[0:1], s[12:13]
	s_mov_b64 exec, s[12:13]
; %bb.866:
	ds_write_b64 v28, v[10:11]
; %bb.867:
	s_or_b64 exec, exec, s[0:1]
	s_waitcnt lgkmcnt(0)
	s_barrier
	s_mov_b64 s[0:1], exec
	v_readlane_b32 s12, v40, 5
	v_readlane_b32 s13, v40, 6
	s_and_b64 s[12:13], s[0:1], s[12:13]
	s_mov_b64 exec, s[12:13]
	s_cbranch_execz .LBB44_869
; %bb.868:
	v_lshlrev_b32_e32 v29, 3, v27
	ds_read_b64 v[29:30], v29 offset:24960
	ds_read_b64 v[31:32], v28
	s_waitcnt lgkmcnt(0)
	v_fma_f64 v[10:11], v[29:30], v[31:32], v[10:11]
.LBB44_869:
	s_or_b64 exec, exec, s[0:1]
	s_barrier
	s_mov_b64 s[0:1], exec
	v_readlane_b32 s12, v40, 7
	v_readlane_b32 s13, v40, 8
	s_and_b64 s[12:13], s[0:1], s[12:13]
	s_mov_b64 exec, s[12:13]
; %bb.870:
	ds_write_b64 v28, v[10:11]
; %bb.871:
	s_or_b64 exec, exec, s[0:1]
	s_waitcnt lgkmcnt(0)
	s_barrier
	s_mov_b64 s[0:1], exec
	v_readlane_b32 s12, v40, 9
	v_readlane_b32 s13, v40, 10
	s_and_b64 s[12:13], s[0:1], s[12:13]
	s_mov_b64 exec, s[12:13]
	s_cbranch_execz .LBB44_873
; %bb.872:
	v_lshlrev_b32_e32 v29, 3, v27
	ds_read_b64 v[29:30], v29 offset:25472
	ds_read_b64 v[31:32], v28
	s_waitcnt lgkmcnt(0)
	v_fma_f64 v[10:11], v[29:30], v[31:32], v[10:11]
.LBB44_873:
	s_or_b64 exec, exec, s[0:1]
	s_barrier
	;; [unrolled: 26-line block ×14, first 2 shown]
	s_mov_b64 s[0:1], exec
	v_readlane_b32 s12, v40, 59
	v_readlane_b32 s13, v40, 60
	s_and_b64 s[12:13], s[0:1], s[12:13]
	s_mov_b64 exec, s[12:13]
; %bb.922:
	ds_write_b64 v28, v[10:11]
; %bb.923:
	s_or_b64 exec, exec, s[0:1]
	s_waitcnt lgkmcnt(0)
	s_barrier
	s_and_saveexec_b64 s[0:1], s[92:93]
	s_cbranch_execz .LBB44_925
; %bb.924:
	v_mov_b32_e32 v27, 0
	ds_read_b64 v[29:30], v27 offset:32248
	ds_read_b64 v[31:32], v28
	s_waitcnt lgkmcnt(0)
	v_fma_f64 v[10:11], v[29:30], v[31:32], v[10:11]
.LBB44_925:
	s_or_b64 exec, exec, s[0:1]
	s_barrier
	s_and_saveexec_b64 s[0:1], s[92:93]
; %bb.926:
	ds_write_b64 v28, v[10:11]
; %bb.927:
	s_or_b64 exec, exec, s[0:1]
	s_waitcnt lgkmcnt(0)
	s_barrier
	s_barrier
	s_and_saveexec_b64 s[0:1], s[10:11]
; %bb.928:
	v_xor_b32_e32 v11, 0x80000000, v11
	ds_write_b64 v26, v[10:11] offset:16768
; %bb.929:
	s_or_b64 exec, exec, s[0:1]
	s_waitcnt lgkmcnt(0)
	s_barrier
	s_barrier
	s_mov_b64 s[0:1], exec
	v_readlane_b32 s10, v40, 61
	v_readlane_b32 s11, v40, 62
	s_and_b64 s[10:11], s[0:1], s[10:11]
	s_mov_b64 exec, s[10:11]
	s_cbranch_execz .LBB44_931
; %bb.930:
	v_lshlrev_b32_e32 v26, 9, v0
	ds_read_b64 v[10:11], v26 offset:16768
	s_movk_i32 s10, 0xfe08
	v_mad_i32_i24 v27, v0, s10, v26
	s_waitcnt lgkmcnt(0)
	ds_write_b64 v27, v[10:11] offset:24832
	ds_read_b64 v[10:11], v26 offset:16776
	s_waitcnt lgkmcnt(0)
	ds_write_b64 v27, v[10:11] offset:25344
	ds_read_b64 v[10:11], v26 offset:16784
	;; [unrolled: 3-line block ×15, first 2 shown]
	s_waitcnt lgkmcnt(0)
	ds_write_b64 v27, v[10:11] offset:32512
.LBB44_931:
	s_or_b64 exec, exec, s[0:1]
	s_waitcnt lgkmcnt(0)
	s_barrier
	s_and_saveexec_b64 s[0:1], vcc
	s_cbranch_execz .LBB44_933
; %bb.932:
	v_mov_b32_e32 v28, 0
	ds_read_b64 v[26:27], v28 offset:24968
	v_mov_b32_e32 v29, 0x3ff00000
	ds_write_b64 v28, v[28:29] offset:24960
	s_waitcnt lgkmcnt(1)
	ds_write_b128 v28, v[26:29] offset:25472
.LBB44_933:
	s_or_b64 exec, exec, s[0:1]
	v_mov_b32_e32 v10, 0
	v_mov_b32_e32 v11, 0
	s_waitcnt lgkmcnt(0)
	s_barrier
	s_and_saveexec_b64 s[0:1], s[2:3]
	s_cbranch_execz .LBB44_937
; %bb.934:
	v_mul_u32_u24_e32 v26, 0x208, v15
	ds_read_b64 v[10:11], v12 offset:24976
	ds_read_b64 v[26:27], v26 offset:24960
	v_cmp_gt_u32_e64 s[10:11], 2, v14
	s_waitcnt lgkmcnt(0)
	v_fma_f64 v[10:11], v[10:11], v[26:27], 0
	s_and_saveexec_b64 s[12:13], s[10:11]
	s_cbranch_execz .LBB44_936
; %bb.935:
	v_lshlrev_b32_e32 v26, 3, v0
	v_mov_b32_e32 v28, 0
	ds_read_b64 v[26:27], v26 offset:25488
	ds_read_b64 v[28:29], v28 offset:24968
	s_waitcnt lgkmcnt(0)
	v_fma_f64 v[10:11], v[26:27], v[28:29], v[10:11]
.LBB44_936:
	s_or_b64 exec, exec, s[12:13]
	v_xor_b32_e32 v11, 0x80000000, v11
.LBB44_937:
	s_or_b64 exec, exec, s[0:1]
	s_and_saveexec_b64 s[0:1], s[30:31]
; %bb.938:
	ds_write_b64 v13, v[10:11]
; %bb.939:
	s_or_b64 exec, exec, s[0:1]
	s_waitcnt lgkmcnt(0)
	s_barrier
	s_and_saveexec_b64 s[0:1], s[28:29]
	s_cbranch_execz .LBB44_941
; %bb.940:
	v_mov_b32_e32 v26, 0
	ds_read_b64 v[26:27], v26 offset:26008
	ds_read_b64 v[28:29], v13
	s_waitcnt lgkmcnt(0)
	v_fma_f64 v[10:11], v[26:27], v[28:29], v[10:11]
.LBB44_941:
	s_or_b64 exec, exec, s[0:1]
	s_barrier
	s_and_saveexec_b64 s[0:1], s[28:29]
; %bb.942:
	ds_write_b64 v13, v[10:11]
; %bb.943:
	s_or_b64 exec, exec, s[0:1]
	s_waitcnt lgkmcnt(0)
	s_barrier
	s_barrier
	s_and_saveexec_b64 s[0:1], s[2:3]
; %bb.944:
	v_xor_b32_e32 v11, 0x80000000, v11
	ds_write_b64 v12, v[10:11] offset:24976
; %bb.945:
	s_or_b64 exec, exec, s[0:1]
	s_waitcnt lgkmcnt(0)
	s_barrier
	s_barrier
	s_and_saveexec_b64 s[0:1], s[34:35]
	s_cbranch_execz .LBB44_947
; %bb.946:
	v_lshlrev_b32_e32 v26, 3, v0
	s_movk_i32 s10, 0x1f8
	v_mad_u32_u24 v27, v0, s10, v26
	ds_read_b64 v[10:11], v27 offset:24976
	s_waitcnt lgkmcnt(0)
	ds_write_b64 v26, v[10:11] offset:25984
	ds_read_b64 v[10:11], v27 offset:24984
	s_waitcnt lgkmcnt(0)
	ds_write_b64 v26, v[10:11] offset:26496
.LBB44_947:
	s_or_b64 exec, exec, s[0:1]
	s_waitcnt lgkmcnt(0)
	s_barrier
	s_and_saveexec_b64 s[0:1], vcc
	s_cbranch_execz .LBB44_949
; %bb.948:
	v_mov_b32_e32 v28, 0
	ds_read_b64 v[26:27], v28 offset:26008
	v_mov_b32_e32 v29, 0x3ff00000
	ds_write_b64 v28, v[28:29] offset:26000
	s_waitcnt lgkmcnt(1)
	ds_write_b128 v28, v[26:29] offset:26512
.LBB44_949:
	s_or_b64 exec, exec, s[0:1]
	v_mov_b32_e32 v10, 0
	v_mov_b32_e32 v11, 0
	s_waitcnt lgkmcnt(0)
	s_barrier
	s_and_saveexec_b64 s[0:1], s[18:19]
	s_cbranch_execz .LBB44_955
; %bb.950:
	v_mul_u32_u24_e32 v26, 0x208, v20
	ds_read_b64 v[10:11], v16 offset:24992
	ds_read_b64 v[27:28], v26 offset:24960
	v_cmp_gt_u32_e64 s[10:11], 12, v14
	s_waitcnt lgkmcnt(0)
	v_fma_f64 v[10:11], v[10:11], v[27:28], 0
	s_and_saveexec_b64 s[12:13], s[10:11]
	s_cbranch_execnz .LBB44_1210
; %bb.951:
	s_or_b64 exec, exec, s[12:13]
	v_cmp_gt_u32_e64 s[10:11], 8, v14
	s_and_saveexec_b64 s[12:13], s[10:11]
	s_cbranch_execnz .LBB44_1211
.LBB44_952:
	s_or_b64 exec, exec, s[12:13]
	v_cmp_gt_u32_e64 s[10:11], 4, v14
	s_and_saveexec_b64 s[12:13], s[10:11]
	s_cbranch_execz .LBB44_954
.LBB44_953:
	v_lshlrev_b32_e32 v26, 3, v0
	v_mov_b32_e32 v28, 0
	ds_read_b64 v[26:27], v26 offset:26528
	ds_read_b64 v[28:29], v28 offset:24984
	s_waitcnt lgkmcnt(0)
	v_fma_f64 v[10:11], v[26:27], v[28:29], v[10:11]
.LBB44_954:
	s_or_b64 exec, exec, s[12:13]
	v_xor_b32_e32 v11, 0x80000000, v11
.LBB44_955:
	s_or_b64 exec, exec, s[0:1]
	s_and_saveexec_b64 s[0:1], s[38:39]
; %bb.956:
	ds_write_b64 v18, v[10:11]
; %bb.957:
	s_or_b64 exec, exec, s[0:1]
	s_waitcnt lgkmcnt(0)
	s_barrier
	s_and_saveexec_b64 s[0:1], s[42:43]
	s_cbranch_execz .LBB44_959
; %bb.958:
	ds_read_b64 v[26:27], v17 offset:27040
	ds_read_b64 v[28:29], v18
	s_waitcnt lgkmcnt(0)
	v_fma_f64 v[10:11], v[26:27], v[28:29], v[10:11]
.LBB44_959:
	s_or_b64 exec, exec, s[0:1]
	s_barrier
	s_and_saveexec_b64 s[0:1], s[52:53]
; %bb.960:
	ds_write_b64 v18, v[10:11]
; %bb.961:
	s_or_b64 exec, exec, s[0:1]
	s_waitcnt lgkmcnt(0)
	s_barrier
	s_and_saveexec_b64 s[0:1], s[54:55]
	s_cbranch_execz .LBB44_963
; %bb.962:
	ds_read_b64 v[26:27], v17 offset:27552
	ds_read_b64 v[28:29], v18
	s_waitcnt lgkmcnt(0)
	v_fma_f64 v[10:11], v[26:27], v[28:29], v[10:11]
.LBB44_963:
	s_or_b64 exec, exec, s[0:1]
	s_barrier
	s_and_saveexec_b64 s[0:1], s[56:57]
; %bb.964:
	ds_write_b64 v18, v[10:11]
; %bb.965:
	s_or_b64 exec, exec, s[0:1]
	s_waitcnt lgkmcnt(0)
	s_barrier
	s_and_saveexec_b64 s[0:1], s[36:37]
	s_cbranch_execz .LBB44_967
; %bb.966:
	v_mov_b32_e32 v26, 0
	ds_read_b64 v[26:27], v26 offset:28088
	ds_read_b64 v[28:29], v18
	s_waitcnt lgkmcnt(0)
	v_fma_f64 v[10:11], v[26:27], v[28:29], v[10:11]
.LBB44_967:
	s_or_b64 exec, exec, s[0:1]
	s_barrier
	s_and_saveexec_b64 s[0:1], s[36:37]
; %bb.968:
	ds_write_b64 v18, v[10:11]
; %bb.969:
	s_or_b64 exec, exec, s[0:1]
	s_waitcnt lgkmcnt(0)
	s_barrier
	s_barrier
	s_and_saveexec_b64 s[0:1], s[18:19]
; %bb.970:
	v_xor_b32_e32 v11, 0x80000000, v11
	ds_write_b64 v16, v[10:11] offset:24992
; %bb.971:
	s_or_b64 exec, exec, s[0:1]
	s_waitcnt lgkmcnt(0)
	s_barrier
	s_barrier
	s_and_saveexec_b64 s[0:1], s[58:59]
	s_cbranch_execz .LBB44_973
; %bb.972:
	v_lshlrev_b32_e32 v26, 9, v0
	ds_read_b64 v[10:11], v26 offset:24992
	s_movk_i32 s10, 0xfe08
	v_mad_i32_i24 v27, v0, s10, v26
	s_waitcnt lgkmcnt(0)
	ds_write_b64 v27, v[10:11] offset:27008
	ds_read_b64 v[10:11], v26 offset:25000
	s_waitcnt lgkmcnt(0)
	ds_write_b64 v27, v[10:11] offset:27520
	ds_read_b64 v[10:11], v26 offset:25008
	s_waitcnt lgkmcnt(0)
	ds_write_b64 v27, v[10:11] offset:28032
	ds_read_b64 v[10:11], v26 offset:25016
	s_waitcnt lgkmcnt(0)
	ds_write_b64 v27, v[10:11] offset:28544
.LBB44_973:
	s_or_b64 exec, exec, s[0:1]
	s_waitcnt lgkmcnt(0)
	s_barrier
	s_and_saveexec_b64 s[0:1], vcc
	s_cbranch_execz .LBB44_975
; %bb.974:
	v_mov_b32_e32 v28, 0
	ds_read_b64 v[26:27], v28 offset:27048
	v_mov_b32_e32 v29, 0x3ff00000
	ds_write_b64 v28, v[28:29] offset:27040
	s_waitcnt lgkmcnt(1)
	ds_write_b128 v28, v[26:29] offset:27552
.LBB44_975:
	s_or_b64 exec, exec, s[0:1]
	v_mov_b32_e32 v10, 0
	v_mov_b32_e32 v11, 0
	s_waitcnt lgkmcnt(0)
	s_barrier
	s_and_saveexec_b64 s[0:1], s[2:3]
	s_cbranch_execz .LBB44_979
; %bb.976:
	v_mul_u32_u24_e32 v26, 0x208, v15
	ds_read_b64 v[10:11], v12 offset:27056
	ds_read_b64 v[26:27], v26 offset:27040
	v_cmp_gt_u32_e64 s[10:11], 2, v14
	s_waitcnt lgkmcnt(0)
	v_fma_f64 v[10:11], v[10:11], v[26:27], 0
	s_and_saveexec_b64 s[12:13], s[10:11]
	s_cbranch_execz .LBB44_978
; %bb.977:
	v_lshlrev_b32_e32 v26, 3, v0
	v_mov_b32_e32 v28, 0
	ds_read_b64 v[26:27], v26 offset:27568
	ds_read_b64 v[28:29], v28 offset:27048
	s_waitcnt lgkmcnt(0)
	v_fma_f64 v[10:11], v[26:27], v[28:29], v[10:11]
.LBB44_978:
	s_or_b64 exec, exec, s[12:13]
	v_xor_b32_e32 v11, 0x80000000, v11
.LBB44_979:
	s_or_b64 exec, exec, s[0:1]
	s_and_saveexec_b64 s[0:1], s[30:31]
; %bb.980:
	ds_write_b64 v13, v[10:11]
; %bb.981:
	s_or_b64 exec, exec, s[0:1]
	s_waitcnt lgkmcnt(0)
	s_barrier
	s_and_saveexec_b64 s[0:1], s[28:29]
	s_cbranch_execz .LBB44_983
; %bb.982:
	v_mov_b32_e32 v26, 0
	ds_read_b64 v[26:27], v26 offset:28088
	ds_read_b64 v[28:29], v13
	s_waitcnt lgkmcnt(0)
	v_fma_f64 v[10:11], v[26:27], v[28:29], v[10:11]
.LBB44_983:
	s_or_b64 exec, exec, s[0:1]
	s_barrier
	s_and_saveexec_b64 s[0:1], s[28:29]
; %bb.984:
	ds_write_b64 v13, v[10:11]
; %bb.985:
	s_or_b64 exec, exec, s[0:1]
	s_waitcnt lgkmcnt(0)
	s_barrier
	s_barrier
	s_and_saveexec_b64 s[0:1], s[2:3]
; %bb.986:
	v_xor_b32_e32 v11, 0x80000000, v11
	ds_write_b64 v12, v[10:11] offset:27056
; %bb.987:
	s_or_b64 exec, exec, s[0:1]
	s_waitcnt lgkmcnt(0)
	s_barrier
	s_barrier
	s_and_saveexec_b64 s[0:1], s[34:35]
	s_cbranch_execz .LBB44_989
; %bb.988:
	v_lshlrev_b32_e32 v26, 3, v0
	s_movk_i32 s10, 0x1f8
	v_mad_u32_u24 v27, v0, s10, v26
	ds_read_b64 v[10:11], v27 offset:27056
	s_waitcnt lgkmcnt(0)
	ds_write_b64 v26, v[10:11] offset:28064
	ds_read_b64 v[10:11], v27 offset:27064
	s_waitcnt lgkmcnt(0)
	ds_write_b64 v26, v[10:11] offset:28576
.LBB44_989:
	s_or_b64 exec, exec, s[0:1]
	s_waitcnt lgkmcnt(0)
	s_barrier
	s_and_saveexec_b64 s[0:1], vcc
	s_cbranch_execz .LBB44_991
; %bb.990:
	v_mov_b32_e32 v28, 0
	ds_read_b64 v[26:27], v28 offset:28088
	v_mov_b32_e32 v29, 0x3ff00000
	ds_write_b64 v28, v[28:29] offset:28080
	s_waitcnt lgkmcnt(1)
	ds_write_b128 v28, v[26:29] offset:28592
.LBB44_991:
	s_or_b64 exec, exec, s[0:1]
	v_mov_b32_e32 v10, 0
	v_mov_b32_e32 v11, 0
	s_waitcnt lgkmcnt(0)
	s_barrier
	s_and_saveexec_b64 s[0:1], s[8:9]
	s_cbranch_execz .LBB44_1001
; %bb.992:
	v_mul_u32_u24_e32 v26, 0x208, v25
	ds_read_b64 v[10:11], v21 offset:25024
	ds_read_b64 v[27:28], v26 offset:24960
	v_cmp_gt_u32_e64 s[10:11], 56, v14
	s_waitcnt lgkmcnt(0)
	v_fma_f64 v[10:11], v[10:11], v[27:28], 0
	s_and_saveexec_b64 s[12:13], s[10:11]
	s_cbranch_execnz .LBB44_1212
; %bb.993:
	s_or_b64 exec, exec, s[12:13]
	v_cmp_gt_u32_e64 s[10:11], 48, v14
	s_and_saveexec_b64 s[12:13], s[10:11]
	s_cbranch_execnz .LBB44_1213
.LBB44_994:
	s_or_b64 exec, exec, s[12:13]
	v_cmp_gt_u32_e64 s[10:11], 40, v14
	s_and_saveexec_b64 s[12:13], s[10:11]
	s_cbranch_execnz .LBB44_1214
.LBB44_995:
	s_or_b64 exec, exec, s[12:13]
	v_cmp_gt_u32_e64 s[10:11], 32, v14
	s_and_saveexec_b64 s[12:13], s[10:11]
	s_cbranch_execnz .LBB44_1215
.LBB44_996:
	s_or_b64 exec, exec, s[12:13]
	v_cmp_gt_u32_e64 s[10:11], 24, v14
	s_and_saveexec_b64 s[12:13], s[10:11]
	s_cbranch_execnz .LBB44_1216
.LBB44_997:
	s_or_b64 exec, exec, s[12:13]
	v_cmp_gt_u32_e64 s[10:11], 16, v14
	s_and_saveexec_b64 s[12:13], s[10:11]
	s_cbranch_execnz .LBB44_1217
.LBB44_998:
	s_or_b64 exec, exec, s[12:13]
	v_cmp_gt_u32_e64 s[10:11], 8, v14
	s_and_saveexec_b64 s[12:13], s[10:11]
	s_cbranch_execz .LBB44_1000
.LBB44_999:
	v_lshlrev_b32_e32 v24, 3, v0
	v_mov_b32_e32 v26, 0
	ds_read_b64 v[24:25], v24 offset:28608
	ds_read_b64 v[26:27], v26 offset:25016
	s_waitcnt lgkmcnt(0)
	v_fma_f64 v[10:11], v[24:25], v[26:27], v[10:11]
.LBB44_1000:
	s_or_b64 exec, exec, s[12:13]
	v_xor_b32_e32 v11, 0x80000000, v11
.LBB44_1001:
	s_or_b64 exec, exec, s[0:1]
	s_and_saveexec_b64 s[0:1], s[60:61]
; %bb.1002:
	ds_write_b64 v23, v[10:11]
; %bb.1003:
	s_or_b64 exec, exec, s[0:1]
	s_waitcnt lgkmcnt(0)
	s_barrier
	s_and_saveexec_b64 s[0:1], s[62:63]
	s_cbranch_execz .LBB44_1005
; %bb.1004:
	ds_read_b64 v[24:25], v22 offset:29120
	ds_read_b64 v[26:27], v23
	s_waitcnt lgkmcnt(0)
	v_fma_f64 v[10:11], v[24:25], v[26:27], v[10:11]
.LBB44_1005:
	s_or_b64 exec, exec, s[0:1]
	s_barrier
	s_and_saveexec_b64 s[0:1], s[64:65]
; %bb.1006:
	ds_write_b64 v23, v[10:11]
; %bb.1007:
	s_or_b64 exec, exec, s[0:1]
	s_waitcnt lgkmcnt(0)
	s_barrier
	s_and_saveexec_b64 s[0:1], s[66:67]
	s_cbranch_execz .LBB44_1009
; %bb.1008:
	ds_read_b64 v[24:25], v22 offset:29632
	ds_read_b64 v[26:27], v23
	s_waitcnt lgkmcnt(0)
	v_fma_f64 v[10:11], v[24:25], v[26:27], v[10:11]
.LBB44_1009:
	s_or_b64 exec, exec, s[0:1]
	s_barrier
	;; [unrolled: 17-line block ×6, first 2 shown]
	s_and_saveexec_b64 s[0:1], s[86:87]
; %bb.1026:
	ds_write_b64 v23, v[10:11]
; %bb.1027:
	s_or_b64 exec, exec, s[0:1]
	s_waitcnt lgkmcnt(0)
	s_barrier
	s_and_saveexec_b64 s[0:1], s[70:71]
	s_cbranch_execz .LBB44_1029
; %bb.1028:
	v_mov_b32_e32 v22, 0
	ds_read_b64 v[24:25], v22 offset:32248
	ds_read_b64 v[26:27], v23
	s_waitcnt lgkmcnt(0)
	v_fma_f64 v[10:11], v[24:25], v[26:27], v[10:11]
.LBB44_1029:
	s_or_b64 exec, exec, s[0:1]
	s_barrier
	s_and_saveexec_b64 s[0:1], s[70:71]
; %bb.1030:
	ds_write_b64 v23, v[10:11]
; %bb.1031:
	s_or_b64 exec, exec, s[0:1]
	s_waitcnt lgkmcnt(0)
	s_barrier
	s_barrier
	s_and_saveexec_b64 s[0:1], s[8:9]
; %bb.1032:
	v_xor_b32_e32 v11, 0x80000000, v11
	ds_write_b64 v21, v[10:11] offset:25024
; %bb.1033:
	s_or_b64 exec, exec, s[0:1]
	s_waitcnt lgkmcnt(0)
	s_barrier
	s_barrier
	s_and_saveexec_b64 s[0:1], s[88:89]
	s_cbranch_execz .LBB44_1035
; %bb.1034:
	v_lshlrev_b32_e32 v21, 9, v0
	ds_read_b64 v[10:11], v21 offset:25024
	s_movk_i32 s8, 0xfe08
	v_mad_i32_i24 v22, v0, s8, v21
	s_waitcnt lgkmcnt(0)
	ds_write_b64 v22, v[10:11] offset:29056
	ds_read_b64 v[10:11], v21 offset:25032
	s_waitcnt lgkmcnt(0)
	ds_write_b64 v22, v[10:11] offset:29568
	ds_read_b64 v[10:11], v21 offset:25040
	;; [unrolled: 3-line block ×7, first 2 shown]
	s_waitcnt lgkmcnt(0)
	ds_write_b64 v22, v[10:11] offset:32640
.LBB44_1035:
	s_or_b64 exec, exec, s[0:1]
	s_waitcnt lgkmcnt(0)
	s_barrier
	s_and_saveexec_b64 s[0:1], vcc
	s_cbranch_execz .LBB44_1037
; %bb.1036:
	v_mov_b32_e32 v23, 0
	ds_read_b64 v[21:22], v23 offset:29128
	v_mov_b32_e32 v24, 0x3ff00000
	ds_write_b64 v23, v[23:24] offset:29120
	s_waitcnt lgkmcnt(1)
	ds_write_b128 v23, v[21:24] offset:29632
.LBB44_1037:
	s_or_b64 exec, exec, s[0:1]
	v_mov_b32_e32 v10, 0
	v_mov_b32_e32 v11, 0
	s_waitcnt lgkmcnt(0)
	s_barrier
	s_and_saveexec_b64 s[0:1], s[2:3]
	s_cbranch_execz .LBB44_1041
; %bb.1038:
	v_mul_u32_u24_e32 v21, 0x208, v15
	ds_read_b64 v[10:11], v12 offset:29136
	ds_read_b64 v[21:22], v21 offset:29120
	v_cmp_gt_u32_e64 s[8:9], 2, v14
	s_waitcnt lgkmcnt(0)
	v_fma_f64 v[10:11], v[10:11], v[21:22], 0
	s_and_saveexec_b64 s[10:11], s[8:9]
	s_cbranch_execz .LBB44_1040
; %bb.1039:
	v_lshlrev_b32_e32 v21, 3, v0
	v_mov_b32_e32 v23, 0
	ds_read_b64 v[21:22], v21 offset:29648
	ds_read_b64 v[23:24], v23 offset:29128
	s_waitcnt lgkmcnt(0)
	v_fma_f64 v[10:11], v[21:22], v[23:24], v[10:11]
.LBB44_1040:
	s_or_b64 exec, exec, s[10:11]
	v_xor_b32_e32 v11, 0x80000000, v11
.LBB44_1041:
	s_or_b64 exec, exec, s[0:1]
	s_and_saveexec_b64 s[0:1], s[30:31]
; %bb.1042:
	ds_write_b64 v13, v[10:11]
; %bb.1043:
	s_or_b64 exec, exec, s[0:1]
	s_waitcnt lgkmcnt(0)
	s_barrier
	s_and_saveexec_b64 s[0:1], s[28:29]
	s_cbranch_execz .LBB44_1045
; %bb.1044:
	v_mov_b32_e32 v21, 0
	ds_read_b64 v[21:22], v21 offset:30168
	ds_read_b64 v[23:24], v13
	s_waitcnt lgkmcnt(0)
	v_fma_f64 v[10:11], v[21:22], v[23:24], v[10:11]
.LBB44_1045:
	s_or_b64 exec, exec, s[0:1]
	s_barrier
	s_and_saveexec_b64 s[0:1], s[28:29]
; %bb.1046:
	ds_write_b64 v13, v[10:11]
; %bb.1047:
	s_or_b64 exec, exec, s[0:1]
	s_waitcnt lgkmcnt(0)
	s_barrier
	s_barrier
	s_and_saveexec_b64 s[0:1], s[2:3]
; %bb.1048:
	v_xor_b32_e32 v11, 0x80000000, v11
	ds_write_b64 v12, v[10:11] offset:29136
; %bb.1049:
	s_or_b64 exec, exec, s[0:1]
	s_waitcnt lgkmcnt(0)
	s_barrier
	s_barrier
	s_and_saveexec_b64 s[0:1], s[34:35]
	s_cbranch_execz .LBB44_1051
; %bb.1050:
	v_lshlrev_b32_e32 v21, 3, v0
	s_movk_i32 s8, 0x1f8
	v_mad_u32_u24 v22, v0, s8, v21
	ds_read_b64 v[10:11], v22 offset:29136
	s_waitcnt lgkmcnt(0)
	ds_write_b64 v21, v[10:11] offset:30144
	ds_read_b64 v[10:11], v22 offset:29144
	s_waitcnt lgkmcnt(0)
	ds_write_b64 v21, v[10:11] offset:30656
.LBB44_1051:
	s_or_b64 exec, exec, s[0:1]
	s_waitcnt lgkmcnt(0)
	s_barrier
	s_and_saveexec_b64 s[0:1], vcc
	s_cbranch_execz .LBB44_1053
; %bb.1052:
	v_mov_b32_e32 v23, 0
	ds_read_b64 v[21:22], v23 offset:30168
	v_mov_b32_e32 v24, 0x3ff00000
	ds_write_b64 v23, v[23:24] offset:30160
	s_waitcnt lgkmcnt(1)
	ds_write_b128 v23, v[21:24] offset:30672
.LBB44_1053:
	s_or_b64 exec, exec, s[0:1]
	v_mov_b32_e32 v10, 0
	v_mov_b32_e32 v11, 0
	s_waitcnt lgkmcnt(0)
	s_barrier
	s_and_saveexec_b64 s[0:1], s[18:19]
	s_cbranch_execz .LBB44_1059
; %bb.1054:
	v_mul_u32_u24_e32 v21, 0x208, v20
	ds_read_b64 v[10:11], v16 offset:29152
	ds_read_b64 v[22:23], v21 offset:29120
	v_cmp_gt_u32_e64 s[8:9], 12, v14
	s_waitcnt lgkmcnt(0)
	v_fma_f64 v[10:11], v[10:11], v[22:23], 0
	s_and_saveexec_b64 s[10:11], s[8:9]
	s_cbranch_execnz .LBB44_1218
; %bb.1055:
	s_or_b64 exec, exec, s[10:11]
	v_cmp_gt_u32_e64 s[8:9], 8, v14
	s_and_saveexec_b64 s[10:11], s[8:9]
	s_cbranch_execnz .LBB44_1219
.LBB44_1056:
	s_or_b64 exec, exec, s[10:11]
	v_cmp_gt_u32_e64 s[8:9], 4, v14
	s_and_saveexec_b64 s[10:11], s[8:9]
	s_cbranch_execz .LBB44_1058
.LBB44_1057:
	v_lshlrev_b32_e32 v19, 3, v0
	v_mov_b32_e32 v21, 0
	ds_read_b64 v[19:20], v19 offset:30688
	ds_read_b64 v[21:22], v21 offset:29144
	s_waitcnt lgkmcnt(0)
	v_fma_f64 v[10:11], v[19:20], v[21:22], v[10:11]
.LBB44_1058:
	s_or_b64 exec, exec, s[10:11]
	v_xor_b32_e32 v11, 0x80000000, v11
.LBB44_1059:
	s_or_b64 exec, exec, s[0:1]
	s_and_saveexec_b64 s[0:1], s[38:39]
; %bb.1060:
	ds_write_b64 v18, v[10:11]
; %bb.1061:
	s_or_b64 exec, exec, s[0:1]
	s_waitcnt lgkmcnt(0)
	s_barrier
	s_and_saveexec_b64 s[0:1], s[42:43]
	v_readlane_b32 s38, v40, 1
	v_readlane_b32 s39, v40, 2
	s_cbranch_execz .LBB44_1063
; %bb.1062:
	ds_read_b64 v[19:20], v17 offset:31200
	ds_read_b64 v[21:22], v18
	s_waitcnt lgkmcnt(0)
	v_fma_f64 v[10:11], v[19:20], v[21:22], v[10:11]
.LBB44_1063:
	s_or_b64 exec, exec, s[0:1]
	s_barrier
	s_and_saveexec_b64 s[0:1], s[52:53]
; %bb.1064:
	ds_write_b64 v18, v[10:11]
; %bb.1065:
	s_or_b64 exec, exec, s[0:1]
	s_waitcnt lgkmcnt(0)
	s_barrier
	s_and_saveexec_b64 s[0:1], s[54:55]
	s_cbranch_execz .LBB44_1067
; %bb.1066:
	ds_read_b64 v[19:20], v17 offset:31712
	ds_read_b64 v[21:22], v18
	s_waitcnt lgkmcnt(0)
	v_fma_f64 v[10:11], v[19:20], v[21:22], v[10:11]
.LBB44_1067:
	s_or_b64 exec, exec, s[0:1]
	s_barrier
	s_and_saveexec_b64 s[0:1], s[56:57]
; %bb.1068:
	ds_write_b64 v18, v[10:11]
; %bb.1069:
	s_or_b64 exec, exec, s[0:1]
	s_waitcnt lgkmcnt(0)
	s_barrier
	s_and_saveexec_b64 s[0:1], s[36:37]
	s_cbranch_execz .LBB44_1071
; %bb.1070:
	v_mov_b32_e32 v17, 0
	ds_read_b64 v[19:20], v17 offset:32248
	ds_read_b64 v[21:22], v18
	s_waitcnt lgkmcnt(0)
	v_fma_f64 v[10:11], v[19:20], v[21:22], v[10:11]
.LBB44_1071:
	s_or_b64 exec, exec, s[0:1]
	s_barrier
	s_and_saveexec_b64 s[0:1], s[36:37]
; %bb.1072:
	ds_write_b64 v18, v[10:11]
; %bb.1073:
	s_or_b64 exec, exec, s[0:1]
	s_waitcnt lgkmcnt(0)
	s_barrier
	s_barrier
	s_and_saveexec_b64 s[0:1], s[18:19]
; %bb.1074:
	v_xor_b32_e32 v11, 0x80000000, v11
	ds_write_b64 v16, v[10:11] offset:29152
; %bb.1075:
	s_or_b64 exec, exec, s[0:1]
	s_waitcnt lgkmcnt(0)
	s_barrier
	s_barrier
	s_and_saveexec_b64 s[0:1], s[58:59]
	s_cbranch_execz .LBB44_1077
; %bb.1076:
	v_lshlrev_b32_e32 v16, 9, v0
	ds_read_b64 v[10:11], v16 offset:29152
	s_movk_i32 s8, 0xfe08
	v_mad_i32_i24 v17, v0, s8, v16
	s_waitcnt lgkmcnt(0)
	ds_write_b64 v17, v[10:11] offset:31168
	ds_read_b64 v[10:11], v16 offset:29160
	s_waitcnt lgkmcnt(0)
	ds_write_b64 v17, v[10:11] offset:31680
	ds_read_b64 v[10:11], v16 offset:29168
	;; [unrolled: 3-line block ×3, first 2 shown]
	s_waitcnt lgkmcnt(0)
	ds_write_b64 v17, v[10:11] offset:32704
.LBB44_1077:
	s_or_b64 exec, exec, s[0:1]
	s_waitcnt lgkmcnt(0)
	s_barrier
	s_and_saveexec_b64 s[0:1], vcc
	s_cbranch_execz .LBB44_1079
; %bb.1078:
	v_mov_b32_e32 v18, 0
	ds_read_b64 v[16:17], v18 offset:31208
	v_mov_b32_e32 v19, 0x3ff00000
	ds_write_b64 v18, v[18:19] offset:31200
	s_waitcnt lgkmcnt(1)
	ds_write_b128 v18, v[16:19] offset:31712
.LBB44_1079:
	s_or_b64 exec, exec, s[0:1]
	v_mov_b32_e32 v10, 0
	v_mov_b32_e32 v11, 0
	s_waitcnt lgkmcnt(0)
	s_barrier
	s_and_saveexec_b64 s[0:1], s[2:3]
	s_cbranch_execz .LBB44_1083
; %bb.1080:
	v_mul_u32_u24_e32 v15, 0x208, v15
	ds_read_b64 v[10:11], v12 offset:31216
	ds_read_b64 v[15:16], v15 offset:31200
	v_cmp_gt_u32_e64 s[8:9], 2, v14
	s_waitcnt lgkmcnt(0)
	v_fma_f64 v[10:11], v[10:11], v[15:16], 0
	s_and_saveexec_b64 s[10:11], s[8:9]
	s_cbranch_execz .LBB44_1082
; %bb.1081:
	v_lshlrev_b32_e32 v14, 3, v0
	v_mov_b32_e32 v16, 0
	ds_read_b64 v[14:15], v14 offset:31728
	ds_read_b64 v[16:17], v16 offset:31208
	s_waitcnt lgkmcnt(0)
	v_fma_f64 v[10:11], v[14:15], v[16:17], v[10:11]
.LBB44_1082:
	s_or_b64 exec, exec, s[10:11]
	v_xor_b32_e32 v11, 0x80000000, v11
.LBB44_1083:
	s_or_b64 exec, exec, s[0:1]
	s_and_saveexec_b64 s[0:1], s[30:31]
; %bb.1084:
	ds_write_b64 v13, v[10:11]
; %bb.1085:
	s_or_b64 exec, exec, s[0:1]
	s_waitcnt lgkmcnt(0)
	s_barrier
	s_and_saveexec_b64 s[0:1], s[28:29]
	s_load_dword s19, s[4:5], 0x6c
	v_readlane_b32 s18, v40, 0
	s_cbranch_execz .LBB44_1087
; %bb.1086:
	v_mov_b32_e32 v14, 0
	ds_read_b64 v[14:15], v14 offset:32248
	ds_read_b64 v[16:17], v13
	s_waitcnt lgkmcnt(0)
	v_fma_f64 v[10:11], v[14:15], v[16:17], v[10:11]
.LBB44_1087:
	s_or_b64 exec, exec, s[0:1]
	s_waitcnt lgkmcnt(0)
	s_barrier
	s_and_saveexec_b64 s[0:1], s[28:29]
; %bb.1088:
	ds_write_b64 v13, v[10:11]
; %bb.1089:
	s_or_b64 exec, exec, s[0:1]
	s_waitcnt lgkmcnt(0)
	s_barrier
	s_barrier
	s_and_saveexec_b64 s[0:1], s[2:3]
; %bb.1090:
	v_xor_b32_e32 v11, 0x80000000, v11
	ds_write_b64 v12, v[10:11] offset:31216
; %bb.1091:
	s_or_b64 exec, exec, s[0:1]
	s_waitcnt lgkmcnt(0)
	s_barrier
	s_barrier
	s_and_saveexec_b64 s[0:1], s[34:35]
	s_cbranch_execz .LBB44_1093
; %bb.1092:
	v_lshlrev_b32_e32 v12, 3, v0
	s_movk_i32 s2, 0x1f8
	v_mad_u32_u24 v13, v0, s2, v12
	ds_read_b64 v[10:11], v13 offset:31216
	s_waitcnt lgkmcnt(0)
	ds_write_b64 v12, v[10:11] offset:32224
	ds_read_b64 v[10:11], v13 offset:31224
	s_waitcnt lgkmcnt(0)
	ds_write_b64 v12, v[10:11] offset:32736
.LBB44_1093:
	s_or_b64 exec, exec, s[0:1]
	s_waitcnt lgkmcnt(0)
	s_barrier
	s_and_saveexec_b64 s[0:1], vcc
	s_cbranch_execz .LBB44_1095
; %bb.1094:
	v_mov_b32_e32 v12, 0
	ds_read_b64 v[10:11], v12 offset:32248
	v_mov_b32_e32 v13, 0x3ff00000
	ds_write_b64 v12, v[12:13] offset:32240
	s_waitcnt lgkmcnt(1)
	ds_write_b128 v12, v[10:13] offset:32752
.LBB44_1095:
	s_or_b64 exec, exec, s[0:1]
.LBB44_1096:
	s_load_dwordx4 s[12:15], s[4:5], 0x48
	v_cmp_le_i32_e32 vcc, s90, v0
	v_mov_b32_e32 v10, 0
	v_mov_b32_e32 v11, 0
	v_lshl_add_u32 v12, s33, 6, v0
	s_waitcnt lgkmcnt(0)
	s_mul_i32 s1, s13, s22
	s_mul_hi_u32 s2, s12, s22
	s_mul_i32 s0, s12, s22
	s_add_i32 s1, s2, s1
	s_lshl_b64 s[0:1], s[0:1], 3
	s_add_u32 s2, s46, s0
	s_addc_u32 s3, s47, s1
	s_lshl_b64 s[0:1], s[48:49], 3
	s_add_u32 s20, s2, s0
	s_addc_u32 s21, s3, s1
	s_and_b64 s[16:17], vcc, s[26:27]
	v_cmp_eq_u32_e64 s[2:3], 0, v1
	s_xor_b64 s[0:1], s[16:17], -1
	s_and_b64 s[4:5], s[2:3], s[0:1]
	s_barrier
	s_and_saveexec_b64 s[0:1], s[4:5]
	s_cbranch_execz .LBB44_1098
; %bb.1097:
	v_ashrrev_i32_e32 v13, 31, v12
	v_mul_lo_u32 v14, s51, v12
	v_mad_u64_u32 v[10:11], s[4:5], s50, v12, 0
	v_mul_lo_u32 v13, s50, v13
	v_add3_u32 v11, v11, v13, v14
	v_lshlrev_b64 v[10:11], 3, v[10:11]
	v_mov_b32_e32 v13, s21
	v_add_co_u32_e32 v10, vcc, s20, v10
	v_addc_co_u32_e32 v11, vcc, v13, v11, vcc
	global_load_dwordx2 v[10:11], v[10:11], off
	s_waitcnt vmcnt(0)
	v_mul_f64 v[10:11], v[10:11], -s[44:45]
.LBB44_1098:
	s_or_b64 exec, exec, s[0:1]
	s_and_b32 s0, 0xffff, s19
	v_mad_u32_u24 v17, v1, s0, v0
	v_mov_b32_e32 v18, 0
	s_cmp_lt_i32 s6, 1
	v_cmp_eq_u32_e64 s[4:5], 0, v17
	s_cbranch_scc1 .LBB44_1124
; %bb.1099:
	v_ashrrev_i32_e32 v15, 31, v12
	v_mul_lo_u32 v16, s41, v12
	v_mad_u64_u32 v[13:14], s[0:1], s40, v12, 0
	v_mul_lo_u32 v15, s40, v15
	v_cmp_gt_i32_e64 s[8:9], s24, v12
	s_lshl_b64 s[0:1], s[22:23], 2
	s_add_u32 s0, s14, s0
	v_add3_u32 v14, v14, v15, v16
	v_lshlrev_b64 v[12:13], 3, v[13:14]
	v_mov_b32_e32 v15, 0xa000
	v_mov_b32_e32 v14, s91
	v_add_co_u32_e32 v21, vcc, s18, v12
	s_mov_b32 s28, 0
	s_addc_u32 s1, s15, s1
	v_cmp_gt_u32_e64 s[12:13], 64, v17
	v_lshl_add_u32 v19, v17, 3, v15
	v_lshl_or_b32 v20, v1, 3, v15
	s_add_i32 s29, s33, 1
	v_addc_co_u32_e32 v22, vcc, v14, v13, vcc
	v_mov_b32_e32 v23, -1
	s_branch .LBB44_1102
.LBB44_1100:                            ;   in Loop: Header=BB44_1102 Depth=1
	ds_read_b64 v[12:13], v20 offset:384
	s_waitcnt vmcnt(0) lgkmcnt(0)
	v_fma_f64 v[10:11], v[14:15], v[12:13], v[10:11]
.LBB44_1101:                            ;   in Loop: Header=BB44_1102 Depth=1
	s_or_b64 exec, exec, s[18:19]
	s_add_i32 s28, s28, 1
	s_cmp_eq_u32 s28, s6
	s_cbranch_scc1 .LBB44_1124
.LBB44_1102:                            ; =>This Loop Header: Depth=1
                                        ;     Child Loop BB44_1104 Depth 2
	v_cmp_gt_i32_e32 vcc, s28, v23
	s_and_b64 s[18:19], s[4:5], vcc
	s_and_saveexec_b64 s[10:11], s[18:19]
	s_cbranch_execz .LBB44_1105
; %bb.1103:                             ;   in Loop: Header=BB44_1102 Depth=1
	global_load_dword v23, v18, s[0:1]
	s_waitcnt vmcnt(0)
	v_cmp_le_i32_e32 vcc, s28, v23
	s_cbranch_vccnz .LBB44_1105
.LBB44_1104:                            ;   Parent Loop BB44_1102 Depth=1
                                        ; =>  This Inner Loop Header: Depth=2
	buffer_wbinvl1_vol
	global_load_dword v23, v18, s[0:1]
	s_waitcnt vmcnt(0)
	v_cmp_gt_i32_e32 vcc, s28, v23
	s_cbranch_vccnz .LBB44_1104
.LBB44_1105:                            ;   in Loop: Header=BB44_1102 Depth=1
	s_or_b64 exec, exec, s[10:11]
	s_sub_i32 s30, s7, s28
	s_lshl_b32 s31, s30, 6
	buffer_wbinvl1_vol
	s_barrier
	s_and_saveexec_b64 s[10:11], s[12:13]
	s_cbranch_execz .LBB44_1109
; %bb.1106:                             ;   in Loop: Header=BB44_1102 Depth=1
	s_ashr_i32 s18, s31, 31
	v_mov_b32_e32 v13, s18
	v_or_b32_e32 v12, s31, v17
	v_cmp_gt_i64_e32 vcc, s[24:25], v[12:13]
	v_mov_b32_e32 v14, 0
	v_mov_b32_e32 v15, 0
	s_and_saveexec_b64 s[18:19], vcc
	s_cbranch_execz .LBB44_1108
; %bb.1107:                             ;   in Loop: Header=BB44_1102 Depth=1
	v_mul_lo_u32 v14, v13, s50
	v_mul_lo_u32 v15, v12, s51
	v_mad_u64_u32 v[12:13], s[34:35], v12, s50, 0
	v_add3_u32 v13, v13, v15, v14
	v_lshlrev_b64 v[12:13], 3, v[12:13]
	v_mov_b32_e32 v14, s21
	v_add_co_u32_e32 v12, vcc, s20, v12
	v_addc_co_u32_e32 v13, vcc, v14, v13, vcc
	global_load_dwordx2 v[14:15], v[12:13], off
.LBB44_1108:                            ;   in Loop: Header=BB44_1102 Depth=1
	s_or_b64 exec, exec, s[18:19]
	s_waitcnt vmcnt(0)
	ds_write_b64 v19, v[14:15]
.LBB44_1109:                            ;   in Loop: Header=BB44_1102 Depth=1
	s_or_b64 exec, exec, s[10:11]
	v_add_u32_e32 v14, s31, v1
	v_ashrrev_i32_e32 v15, 31, v14
	v_lshlrev_b64 v[12:13], 3, v[14:15]
	s_cmp_lg_u32 s30, s29
	v_add_co_u32_e32 v12, vcc, v21, v12
	s_cselect_b64 s[10:11], -1, 0
	v_addc_co_u32_e32 v13, vcc, v22, v13, vcc
	v_cmp_gt_i32_e32 vcc, s24, v14
	v_cndmask_b32_e64 v15, 0, 1, s[10:11]
	s_and_b64 s[30:31], vcc, s[8:9]
	v_cmp_ne_u32_e64 s[10:11], 1, v15
	s_waitcnt lgkmcnt(0)
	s_barrier
	s_and_saveexec_b64 s[18:19], s[30:31]
	s_cbranch_execz .LBB44_1113
; %bb.1110:                             ;   in Loop: Header=BB44_1102 Depth=1
	v_mov_b32_e32 v16, v5
	s_and_b64 vcc, exec, s[10:11]
	v_mov_b32_e32 v15, v4
	s_cbranch_vccnz .LBB44_1112
; %bb.1111:                             ;   in Loop: Header=BB44_1102 Depth=1
	global_load_dwordx2 v[15:16], v[12:13], off
.LBB44_1112:                            ;   in Loop: Header=BB44_1102 Depth=1
	ds_read_b64 v[24:25], v20
	s_waitcnt vmcnt(0) lgkmcnt(0)
	v_fma_f64 v[10:11], v[15:16], v[24:25], v[10:11]
.LBB44_1113:                            ;   in Loop: Header=BB44_1102 Depth=1
	s_or_b64 exec, exec, s[18:19]
	v_add_u32_e32 v15, 16, v14
	v_cmp_gt_i32_e32 vcc, s24, v15
	s_and_b64 s[30:31], vcc, s[8:9]
	s_and_saveexec_b64 s[18:19], s[30:31]
	s_cbranch_execz .LBB44_1117
; %bb.1114:                             ;   in Loop: Header=BB44_1102 Depth=1
	v_mov_b32_e32 v16, v3
	s_and_b64 vcc, exec, s[10:11]
	v_mov_b32_e32 v15, v2
	s_cbranch_vccnz .LBB44_1116
; %bb.1115:                             ;   in Loop: Header=BB44_1102 Depth=1
	global_load_dwordx2 v[15:16], v[12:13], off offset:128
.LBB44_1116:                            ;   in Loop: Header=BB44_1102 Depth=1
	ds_read_b64 v[24:25], v20 offset:128
	s_waitcnt vmcnt(0) lgkmcnt(0)
	v_fma_f64 v[10:11], v[15:16], v[24:25], v[10:11]
.LBB44_1117:                            ;   in Loop: Header=BB44_1102 Depth=1
	s_or_b64 exec, exec, s[18:19]
	v_add_u32_e32 v15, 32, v14
	v_cmp_gt_i32_e32 vcc, s24, v15
	s_and_b64 s[30:31], vcc, s[8:9]
	s_and_saveexec_b64 s[18:19], s[30:31]
	s_cbranch_execz .LBB44_1121
; %bb.1118:                             ;   in Loop: Header=BB44_1102 Depth=1
	v_mov_b32_e32 v16, v9
	s_and_b64 vcc, exec, s[10:11]
	v_mov_b32_e32 v15, v8
	s_cbranch_vccnz .LBB44_1120
; %bb.1119:                             ;   in Loop: Header=BB44_1102 Depth=1
	global_load_dwordx2 v[15:16], v[12:13], off offset:256
.LBB44_1120:                            ;   in Loop: Header=BB44_1102 Depth=1
	ds_read_b64 v[24:25], v20 offset:256
	s_waitcnt vmcnt(0) lgkmcnt(0)
	v_fma_f64 v[10:11], v[15:16], v[24:25], v[10:11]
.LBB44_1121:                            ;   in Loop: Header=BB44_1102 Depth=1
	s_or_b64 exec, exec, s[18:19]
	v_add_u32_e32 v14, 48, v14
	v_cmp_gt_i32_e32 vcc, s24, v14
	s_and_b64 s[30:31], vcc, s[8:9]
	s_and_saveexec_b64 s[18:19], s[30:31]
	s_cbranch_execz .LBB44_1101
; %bb.1122:                             ;   in Loop: Header=BB44_1102 Depth=1
	v_mov_b32_e32 v15, v7
	s_and_b64 vcc, exec, s[10:11]
	v_mov_b32_e32 v14, v6
	s_cbranch_vccnz .LBB44_1100
; %bb.1123:                             ;   in Loop: Header=BB44_1102 Depth=1
	global_load_dwordx2 v[14:15], v[12:13], off offset:384
	s_branch .LBB44_1100
.LBB44_1124:
	v_lshl_add_u32 v2, v1, 6, v0
	s_xor_b64 s[0:1], s[26:27], -1
	v_lshlrev_b32_e32 v4, 3, v2
	ds_write_b64 v4, v[10:11] offset:32768
	s_waitcnt lgkmcnt(0)
	s_barrier
	s_and_saveexec_b64 s[4:5], s[2:3]
	s_cbranch_execz .LBB44_1126
; %bb.1125:
	v_lshlrev_b32_e32 v15, 3, v0
	ds_read2st64_b64 v[5:8], v15 offset0:65 offset1:66
	ds_read_b64 v[2:3], v15 offset:40448
	s_waitcnt lgkmcnt(1)
	v_add_f64 v[5:6], v[10:11], v[5:6]
	v_add_f64 v[13:14], v[5:6], v[7:8]
	ds_read2st64_b64 v[5:8], v15 offset0:67 offset1:68
	ds_read2st64_b64 v[9:12], v15 offset0:69 offset1:70
	s_waitcnt lgkmcnt(1)
	v_add_f64 v[5:6], v[13:14], v[5:6]
	v_add_f64 v[5:6], v[5:6], v[7:8]
	s_waitcnt lgkmcnt(0)
	v_add_f64 v[5:6], v[5:6], v[9:10]
	v_add_f64 v[13:14], v[5:6], v[11:12]
	ds_read2st64_b64 v[5:8], v15 offset0:71 offset1:72
	ds_read2st64_b64 v[9:12], v15 offset0:73 offset1:74
	s_waitcnt lgkmcnt(1)
	v_add_f64 v[5:6], v[13:14], v[5:6]
	v_add_f64 v[5:6], v[5:6], v[7:8]
	s_waitcnt lgkmcnt(0)
	v_add_f64 v[5:6], v[5:6], v[9:10]
	v_add_f64 v[13:14], v[5:6], v[11:12]
	ds_read2st64_b64 v[5:8], v15 offset0:75 offset1:76
	ds_read2st64_b64 v[9:12], v15 offset0:77 offset1:78
	s_waitcnt lgkmcnt(1)
	v_add_f64 v[5:6], v[13:14], v[5:6]
	v_add_f64 v[5:6], v[5:6], v[7:8]
	s_waitcnt lgkmcnt(0)
	v_add_f64 v[5:6], v[5:6], v[9:10]
	v_add_f64 v[5:6], v[5:6], v[11:12]
	;; [unrolled: 1-line block ×3, first 2 shown]
	v_xor_b32_e32 v3, 0x80000000, v3
	v_cndmask_b32_e64 v11, v3, 0, s[16:17]
	v_cndmask_b32_e64 v10, v2, 0, s[16:17]
.LBB44_1126:
	s_or_b64 exec, exec, s[4:5]
	s_and_b64 vcc, exec, s[38:39]
	s_cbranch_vccnz .LBB44_1140
; %bb.1127:
	v_mov_b32_e32 v2, 0xa000
	v_lshl_or_b32 v5, v1, 3, v2
	s_and_saveexec_b64 s[4:5], s[2:3]
; %bb.1128:
	v_lshl_add_u32 v2, v0, 3, v5
	ds_write_b64 v2, v[10:11]
; %bb.1129:
	s_or_b64 exec, exec, s[4:5]
	v_mov_b32_e32 v2, 0
	v_mov_b32_e32 v3, 0
	v_cmp_le_u32_e32 vcc, v0, v1
	s_waitcnt lgkmcnt(0)
	s_barrier
	s_and_saveexec_b64 s[4:5], vcc
	s_cbranch_execz .LBB44_1131
; %bb.1130:
	ds_read_b64 v[2:3], v4
	ds_read_b64 v[6:7], v5
	s_waitcnt lgkmcnt(0)
	v_fma_f64 v[2:3], v[2:3], v[6:7], 0
.LBB44_1131:
	s_or_b64 exec, exec, s[4:5]
	v_add_u32_e32 v6, 16, v1
	v_cmp_le_u32_e32 vcc, v0, v6
	s_and_saveexec_b64 s[4:5], vcc
	s_cbranch_execz .LBB44_1133
; %bb.1132:
	ds_read_b64 v[6:7], v4 offset:8192
	ds_read_b64 v[8:9], v5 offset:128
	s_waitcnt lgkmcnt(0)
	v_fma_f64 v[2:3], v[6:7], v[8:9], v[2:3]
.LBB44_1133:
	s_or_b64 exec, exec, s[4:5]
	v_add_u32_e32 v6, 32, v1
	v_cmp_le_u32_e32 vcc, v0, v6
	s_and_saveexec_b64 s[4:5], vcc
	s_cbranch_execz .LBB44_1135
; %bb.1134:
	ds_read_b64 v[6:7], v4 offset:16384
	ds_read_b64 v[8:9], v5 offset:256
	s_waitcnt lgkmcnt(0)
	v_fma_f64 v[2:3], v[6:7], v[8:9], v[2:3]
.LBB44_1135:
	s_or_b64 exec, exec, s[4:5]
	v_add_u32_e32 v1, 48, v1
	v_add_u32_e32 v6, 0x8000, v4
	v_cmp_le_u32_e32 vcc, v0, v1
	s_and_saveexec_b64 s[4:5], vcc
	s_cbranch_execz .LBB44_1137
; %bb.1136:
	ds_read_b64 v[7:8], v4 offset:24576
	ds_read_b64 v[4:5], v5 offset:384
	s_waitcnt lgkmcnt(0)
	v_fma_f64 v[2:3], v[7:8], v[4:5], v[2:3]
.LBB44_1137:
	s_or_b64 exec, exec, s[4:5]
	s_mov_b64 s[6:7], 0
	s_mov_b64 s[4:5], 0
	ds_write_b64 v6, v[2:3]
	s_waitcnt lgkmcnt(0)
	s_barrier
                                        ; implicit-def: $vgpr4_vgpr5
	s_and_saveexec_b64 s[8:9], s[2:3]
	s_cbranch_execz .LBB44_1166
; %bb.1138:
	v_lshlrev_b32_e32 v9, 3, v0
	ds_read2st64_b64 v[4:7], v9 offset0:65 offset1:66
	ds_read_b64 v[12:13], v9 offset:40448
	s_mov_b64 s[4:5], exec
	s_waitcnt lgkmcnt(1)
	v_add_f64 v[1:2], v[2:3], v[4:5]
	v_add_f64 v[14:15], v[6:7], v[1:2]
	ds_read2st64_b64 v[1:4], v9 offset0:67 offset1:68
	ds_read2st64_b64 v[5:8], v9 offset0:69 offset1:70
	s_waitcnt lgkmcnt(1)
	v_add_f64 v[1:2], v[1:2], v[14:15]
	v_add_f64 v[1:2], v[3:4], v[1:2]
	s_waitcnt lgkmcnt(0)
	v_add_f64 v[1:2], v[5:6], v[1:2]
	v_add_f64 v[14:15], v[7:8], v[1:2]
	ds_read2st64_b64 v[1:4], v9 offset0:71 offset1:72
	ds_read2st64_b64 v[5:8], v9 offset0:73 offset1:74
	s_waitcnt lgkmcnt(1)
	v_add_f64 v[1:2], v[1:2], v[14:15]
	v_add_f64 v[1:2], v[3:4], v[1:2]
	;; [unrolled: 8-line block ×3, first 2 shown]
	s_waitcnt lgkmcnt(0)
	v_add_f64 v[1:2], v[5:6], v[1:2]
	v_add_f64 v[1:2], v[7:8], v[1:2]
	;; [unrolled: 1-line block ×3, first 2 shown]
	s_or_b64 exec, exec, s[8:9]
	s_and_b64 vcc, exec, s[6:7]
	s_cbranch_vccnz .LBB44_1141
	s_branch .LBB44_1167
.LBB44_1139:
	v_mad_u64_u32 v[12:13], s[2:3], s40, v15, 0
	s_or_b64 s[10:11], s[10:11], exec
	v_mad_u64_u32 v[13:14], s[2:3], s41, v15, v[13:14]
	v_lshlrev_b64 v[12:13], 3, v[12:13]
	v_add_co_u32_e32 v10, vcc, v10, v12
	v_addc_co_u32_e32 v11, vcc, v11, v13, vcc
	global_load_dwordx2 v[12:13], v[10:11], off
	s_waitcnt vmcnt(0)
	v_xor_b32_e32 v13, 0x80000000, v13
	s_or_b64 exec, exec, s[8:9]
	s_xor_b64 s[0:1], s[0:1], -1
	s_and_saveexec_b64 s[2:3], s[10:11]
	s_cbranch_execnz .LBB44_57
	s_branch .LBB44_58
.LBB44_1140:
	s_mov_b64 s[4:5], 0
                                        ; implicit-def: $vgpr4_vgpr5
	s_cbranch_execz .LBB44_1167
.LBB44_1141:
	v_mov_b32_e32 v1, 0x7800
	v_lshl_add_u32 v1, v0, 3, v1
	v_mov_b32_e32 v3, 63
	v_mov_b32_e32 v2, 0
	s_branch .LBB44_1143
.LBB44_1142:                            ;   in Loop: Header=BB44_1143 Depth=1
	s_or_b64 exec, exec, s[6:7]
	v_subrev_co_u32_e32 v3, vcc, 1, v3
	s_andn2_b64 vcc, exec, vcc
	v_add_u32_e32 v1, 0xfffff800, v1
	s_barrier
	s_cbranch_vccz .LBB44_1159
.LBB44_1143:                            ; =>This Inner Loop Header: Depth=1
	v_cmp_eq_u32_e32 vcc, v0, v3
	s_and_b64 s[8:9], s[2:3], vcc
	s_and_saveexec_b64 s[6:7], s[8:9]
; %bb.1144:                             ;   in Loop: Header=BB44_1143 Depth=1
	ds_write_b64 v2, v[10:11] offset:41472
; %bb.1145:                             ;   in Loop: Header=BB44_1143 Depth=1
	s_or_b64 exec, exec, s[6:7]
	v_cmp_lt_u32_e32 vcc, v0, v3
	s_and_b64 s[8:9], s[2:3], vcc
	s_waitcnt lgkmcnt(0)
	s_barrier
	s_and_saveexec_b64 s[6:7], s[8:9]
	s_cbranch_execz .LBB44_1147
; %bb.1146:                             ;   in Loop: Header=BB44_1143 Depth=1
	ds_read_b64 v[4:5], v1 offset:1536
	ds_read_b64 v[6:7], v2 offset:41472
	s_waitcnt lgkmcnt(0)
	v_fma_f64 v[10:11], v[4:5], v[6:7], v[10:11]
.LBB44_1147:                            ;   in Loop: Header=BB44_1143 Depth=1
	s_or_b64 exec, exec, s[6:7]
	v_add_u32_e32 v3, -1, v3
	v_cmp_eq_u32_e32 vcc, v0, v3
	s_and_b64 s[8:9], s[2:3], vcc
	s_barrier
	s_and_saveexec_b64 s[6:7], s[8:9]
; %bb.1148:                             ;   in Loop: Header=BB44_1143 Depth=1
	ds_write_b64 v2, v[10:11] offset:41472
; %bb.1149:                             ;   in Loop: Header=BB44_1143 Depth=1
	s_or_b64 exec, exec, s[6:7]
	v_cmp_lt_u32_e32 vcc, v0, v3
	s_and_b64 s[8:9], s[2:3], vcc
	s_waitcnt lgkmcnt(0)
	s_barrier
	s_and_saveexec_b64 s[6:7], s[8:9]
	s_cbranch_execz .LBB44_1151
; %bb.1150:                             ;   in Loop: Header=BB44_1143 Depth=1
	ds_read_b64 v[4:5], v1 offset:1024
	ds_read_b64 v[6:7], v2 offset:41472
	s_waitcnt lgkmcnt(0)
	v_fma_f64 v[10:11], v[4:5], v[6:7], v[10:11]
.LBB44_1151:                            ;   in Loop: Header=BB44_1143 Depth=1
	s_or_b64 exec, exec, s[6:7]
	v_add_u32_e32 v3, -1, v3
	v_cmp_eq_u32_e32 vcc, v0, v3
	s_and_b64 s[8:9], s[2:3], vcc
	s_barrier
	;; [unrolled: 22-line block ×3, first 2 shown]
	s_and_saveexec_b64 s[6:7], s[8:9]
; %bb.1156:                             ;   in Loop: Header=BB44_1143 Depth=1
	ds_write_b64 v2, v[10:11] offset:41472
; %bb.1157:                             ;   in Loop: Header=BB44_1143 Depth=1
	s_or_b64 exec, exec, s[6:7]
	v_cmp_lt_u32_e32 vcc, v0, v3
	s_and_b64 s[8:9], s[2:3], vcc
	s_waitcnt lgkmcnt(0)
	s_barrier
	s_and_saveexec_b64 s[6:7], s[8:9]
	s_cbranch_execz .LBB44_1142
; %bb.1158:                             ;   in Loop: Header=BB44_1143 Depth=1
	ds_read_b64 v[4:5], v1
	ds_read_b64 v[6:7], v2 offset:41472
	s_waitcnt lgkmcnt(0)
	v_fma_f64 v[10:11], v[4:5], v[6:7], v[10:11]
	s_branch .LBB44_1142
.LBB44_1159:
	s_mov_b64 s[6:7], -1
	s_and_b64 vcc, exec, s[0:1]
	s_cbranch_vccnz .LBB44_1168
; %bb.1160:
	s_andn2_b64 vcc, exec, s[6:7]
	s_cbranch_vccz .LBB44_1169
.LBB44_1161:
	s_and_saveexec_b64 s[0:1], s[4:5]
	s_cbranch_execz .LBB44_1163
.LBB44_1162:
	s_lshl_b32 s2, s33, 6
	s_ashr_i32 s3, s2, 31
	v_mov_b32_e32 v0, s3
	v_add_co_u32_e32 v1, vcc, s2, v17
	v_addc_co_u32_e32 v0, vcc, 0, v0, vcc
	v_mul_lo_u32 v2, v0, s50
	v_mul_lo_u32 v3, v1, s51
	v_mad_u64_u32 v[0:1], s[2:3], v1, s50, 0
	v_add3_u32 v1, v1, v3, v2
	v_lshlrev_b64 v[0:1], 3, v[0:1]
	v_mov_b32_e32 v2, s21
	v_add_co_u32_e32 v0, vcc, s20, v0
	v_addc_co_u32_e32 v1, vcc, v2, v1, vcc
	global_store_dwordx2 v[0:1], v[10:11], off
.LBB44_1163:
	s_or_b64 exec, exec, s[0:1]
	v_cmp_eq_u32_e32 vcc, 0, v17
	s_waitcnt vmcnt(0)
	buffer_wbinvl1_vol
	s_barrier
	s_and_saveexec_b64 s[0:1], vcc
	s_cbranch_execz .LBB44_1165
; %bb.1164:
	s_lshl_b64 s[2:3], s[22:23], 2
	s_add_u32 s2, s14, s2
	s_addc_u32 s3, s15, s3
	v_mov_b32_e32 v0, 0
	global_load_dword v1, v0, s[2:3]
	s_waitcnt vmcnt(0)
	v_add_u32_e32 v1, 1, v1
	global_store_dword v0, v1, s[2:3]
.LBB44_1165:
	s_or_b64 exec, exec, s[0:1]
	s_waitcnt vmcnt(0)
	buffer_wbinvl1_vol
	s_endpgm
.LBB44_1166:
	s_or_b64 exec, exec, s[8:9]
	s_and_b64 vcc, exec, s[6:7]
	s_cbranch_vccnz .LBB44_1141
.LBB44_1167:
	v_mov_b32_e32 v11, v5
	v_mov_b32_e32 v10, v4
	s_and_saveexec_b64 s[0:1], s[4:5]
	s_cbranch_execnz .LBB44_1162
	s_branch .LBB44_1163
.LBB44_1168:
	s_andn2_b64 s[0:1], s[4:5], exec
	s_and_b64 s[4:5], s[2:3], exec
	s_or_b64 s[4:5], s[0:1], s[4:5]
	s_cbranch_execnz .LBB44_1161
.LBB44_1169:
	v_cmp_gt_i32_e32 vcc, s90, v0
	s_and_b64 s[0:1], s[2:3], vcc
	s_andn2_b64 s[2:3], s[4:5], exec
	s_and_b64 s[0:1], s[0:1], exec
	s_or_b64 s[4:5], s[2:3], s[0:1]
	s_and_saveexec_b64 s[0:1], s[4:5]
	s_cbranch_execnz .LBB44_1162
	s_branch .LBB44_1163
.LBB44_1170:
	v_lshlrev_b32_e32 v21, 3, v20
	v_sub_u32_e32 v21, v18, v21
	v_lshl_add_u32 v21, v19, 3, v21
	ds_read_b64 v[21:22], v21 offset:544
	ds_read_b64 v[23:24], v18 offset:8
	s_waitcnt lgkmcnt(0)
	v_fma_f64 v[10:11], v[21:22], v[23:24], v[10:11]
	s_or_b64 exec, exec, s[14:15]
	v_cmp_gt_u32_e64 s[10:11], 8, v14
	s_and_saveexec_b64 s[14:15], s[10:11]
	s_cbranch_execz .LBB44_80
.LBB44_1171:
	ds_read_b64 v[21:22], v16 offset:1056
	ds_read_b64 v[23:24], v18 offset:16
	s_waitcnt lgkmcnt(0)
	v_fma_f64 v[10:11], v[21:22], v[23:24], v[10:11]
	s_or_b64 exec, exec, s[14:15]
	v_cmp_gt_u32_e64 s[10:11], 4, v14
	s_and_saveexec_b64 s[14:15], s[10:11]
	s_cbranch_execnz .LBB44_81
	s_branch .LBB44_82
.LBB44_1172:
	v_lshlrev_b32_e32 v26, 3, v25
	v_sub_u32_e32 v26, v23, v26
	v_lshl_add_u32 v26, v24, 3, v26
	ds_read_b64 v[26:27], v26 offset:576
	ds_read_b64 v[28:29], v23 offset:8
	s_waitcnt lgkmcnt(0)
	v_fma_f64 v[10:11], v[26:27], v[28:29], v[10:11]
	s_or_b64 exec, exec, s[16:17]
	v_cmp_gt_u32_e64 s[14:15], 48, v14
	s_and_saveexec_b64 s[16:17], s[14:15]
	s_cbranch_execz .LBB44_122
.LBB44_1173:
	v_lshlrev_b32_e32 v26, 3, v25
	v_sub_u32_e32 v26, v23, v26
	v_lshl_add_u32 v26, v24, 3, v26
	ds_read_b64 v[26:27], v26 offset:1088
	ds_read_b64 v[28:29], v23 offset:16
	s_waitcnt lgkmcnt(0)
	v_fma_f64 v[10:11], v[26:27], v[28:29], v[10:11]
	s_or_b64 exec, exec, s[16:17]
	v_cmp_gt_u32_e64 s[14:15], 40, v14
	s_and_saveexec_b64 s[16:17], s[14:15]
	s_cbranch_execz .LBB44_123
.LBB44_1174:
	v_lshlrev_b32_e32 v26, 3, v25
	v_sub_u32_e32 v26, v23, v26
	v_lshl_add_u32 v26, v24, 3, v26
	ds_read_b64 v[26:27], v26 offset:1600
	ds_read_b64 v[28:29], v23 offset:24
	s_waitcnt lgkmcnt(0)
	v_fma_f64 v[10:11], v[26:27], v[28:29], v[10:11]
	s_or_b64 exec, exec, s[16:17]
	v_cmp_gt_u32_e64 s[14:15], 32, v14
	s_and_saveexec_b64 s[16:17], s[14:15]
	s_cbranch_execz .LBB44_124
.LBB44_1175:
	ds_read_b64 v[26:27], v21 offset:2112
	ds_read_b64 v[28:29], v23 offset:32
	s_waitcnt lgkmcnt(0)
	v_fma_f64 v[10:11], v[26:27], v[28:29], v[10:11]
	s_or_b64 exec, exec, s[16:17]
	v_cmp_gt_u32_e64 s[14:15], 24, v14
	s_and_saveexec_b64 s[16:17], s[14:15]
	s_cbranch_execz .LBB44_125
.LBB44_1176:
	v_lshlrev_b32_e32 v26, 3, v25
	v_sub_u32_e32 v26, v23, v26
	v_lshl_add_u32 v26, v24, 3, v26
	ds_read_b64 v[26:27], v26 offset:2624
	ds_read_b64 v[28:29], v23 offset:40
	s_waitcnt lgkmcnt(0)
	v_fma_f64 v[10:11], v[26:27], v[28:29], v[10:11]
	s_or_b64 exec, exec, s[16:17]
	v_cmp_gt_u32_e64 s[14:15], 16, v14
	s_and_saveexec_b64 s[16:17], s[14:15]
	s_cbranch_execz .LBB44_126
.LBB44_1177:
	ds_read_b64 v[26:27], v21 offset:3136
	ds_read_b64 v[28:29], v23 offset:48
	s_waitcnt lgkmcnt(0)
	v_fma_f64 v[10:11], v[26:27], v[28:29], v[10:11]
	s_or_b64 exec, exec, s[16:17]
	v_cmp_gt_u32_e64 s[14:15], 8, v14
	s_and_saveexec_b64 s[16:17], s[14:15]
	s_cbranch_execnz .LBB44_127
	s_branch .LBB44_128
.LBB44_1178:
	v_lshlrev_b32_e32 v27, 3, v20
	v_sub_u32_e32 v27, v26, v27
	v_lshl_add_u32 v27, v19, 3, v27
	ds_read_b64 v[27:28], v27 offset:4704
	ds_read_b64 v[29:30], v26 offset:4168
	s_waitcnt lgkmcnt(0)
	v_fma_f64 v[10:11], v[27:28], v[29:30], v[10:11]
	s_or_b64 exec, exec, s[14:15]
	v_cmp_gt_u32_e64 s[10:11], 8, v14
	s_and_saveexec_b64 s[14:15], s[10:11]
	s_cbranch_execz .LBB44_184
.LBB44_1179:
	ds_read_b64 v[27:28], v16 offset:5216
	ds_read_b64 v[29:30], v26 offset:4176
	s_waitcnt lgkmcnt(0)
	v_fma_f64 v[10:11], v[27:28], v[29:30], v[10:11]
	s_or_b64 exec, exec, s[14:15]
	v_cmp_gt_u32_e64 s[10:11], 4, v14
	s_and_saveexec_b64 s[14:15], s[10:11]
	s_cbranch_execnz .LBB44_185
	s_branch .LBB44_186
.LBB44_1180:
	v_lshlrev_b32_e32 v31, 3, v27
	v_lshl_add_u32 v31, v29, 3, v31
	ds_read_b64 v[31:32], v31 offset:5760
	ds_read_b64 v[33:34], v28 offset:88
	s_waitcnt lgkmcnt(0)
	v_fma_f64 v[10:11], v[31:32], v[33:34], v[10:11]
	s_or_b64 exec, exec, s[20:21]
	v_cmp_gt_u32_e64 s[16:17], 64, v14
	s_and_saveexec_b64 s[20:21], s[16:17]
	s_cbranch_execz .LBB44_246
.LBB44_1181:
	ds_read_b64 v[31:32], v26 offset:6272
	ds_read_b64 v[33:34], v28 offset:96
	s_waitcnt lgkmcnt(0)
	v_fma_f64 v[10:11], v[31:32], v[33:34], v[10:11]
	s_or_b64 exec, exec, s[20:21]
	v_cmp_gt_u32_e64 s[16:17], 48, v14
	s_and_saveexec_b64 s[20:21], s[16:17]
	s_cbranch_execz .LBB44_247
.LBB44_1182:
	v_lshlrev_b32_e32 v31, 3, v27
	v_lshl_add_u32 v31, v29, 3, v31
	ds_read_b64 v[31:32], v31 offset:6784
	ds_read_b64 v[33:34], v28 offset:104
	s_waitcnt lgkmcnt(0)
	v_fma_f64 v[10:11], v[31:32], v[33:34], v[10:11]
	s_or_b64 exec, exec, s[20:21]
	v_cmp_gt_u32_e64 s[16:17], 32, v14
	s_and_saveexec_b64 s[20:21], s[16:17]
	s_cbranch_execz .LBB44_248
.LBB44_1183:
	ds_read_b64 v[31:32], v26 offset:7296
	ds_read_b64 v[33:34], v28 offset:112
	s_waitcnt lgkmcnt(0)
	v_fma_f64 v[10:11], v[31:32], v[33:34], v[10:11]
	s_or_b64 exec, exec, s[20:21]
	v_cmp_gt_u32_e64 s[16:17], 16, v14
	s_and_saveexec_b64 s[20:21], s[16:17]
	s_cbranch_execnz .LBB44_249
	s_branch .LBB44_250
.LBB44_1184:
	v_lshlrev_b32_e32 v32, 3, v20
	v_sub_u32_e32 v32, v31, v32
	v_lshl_add_u32 v32, v19, 3, v32
	ds_read_b64 v[32:33], v32 offset:8864
	ds_read_b64 v[34:35], v31 offset:8328
	s_waitcnt lgkmcnt(0)
	v_fma_f64 v[10:11], v[32:33], v[34:35], v[10:11]
	s_or_b64 exec, exec, s[20:21]
	v_cmp_gt_u32_e64 s[14:15], 8, v14
	s_and_saveexec_b64 s[0:1], s[14:15]
	s_cbranch_execz .LBB44_338
.LBB44_1185:
	ds_read_b64 v[32:33], v16 offset:9376
	ds_read_b64 v[34:35], v31 offset:8336
	s_waitcnt lgkmcnt(0)
	v_fma_f64 v[10:11], v[32:33], v[34:35], v[10:11]
	s_or_b64 exec, exec, s[0:1]
	v_cmp_gt_u32_e64 s[14:15], 4, v14
	s_and_saveexec_b64 s[20:21], s[14:15]
	s_cbranch_execnz .LBB44_339
	s_branch .LBB44_340
.LBB44_1186:
	v_lshlrev_b32_e32 v32, 3, v25
	v_sub_u32_e32 v32, v31, v32
	v_lshl_add_u32 v32, v24, 3, v32
	ds_read_b64 v[32:33], v32 offset:8896
	ds_read_b64 v[34:35], v31 offset:8328
	s_waitcnt lgkmcnt(0)
	v_fma_f64 v[10:11], v[32:33], v[34:35], v[10:11]
	s_or_b64 exec, exec, s[20:21]
	v_cmp_gt_u32_e64 s[14:15], 48, v14
	s_and_saveexec_b64 s[20:21], s[14:15]
	s_cbranch_execz .LBB44_380
.LBB44_1187:
	v_lshlrev_b32_e32 v32, 3, v25
	v_sub_u32_e32 v32, v31, v32
	v_lshl_add_u32 v32, v24, 3, v32
	ds_read_b64 v[32:33], v32 offset:9408
	ds_read_b64 v[34:35], v31 offset:8336
	s_waitcnt lgkmcnt(0)
	v_fma_f64 v[10:11], v[32:33], v[34:35], v[10:11]
	s_or_b64 exec, exec, s[20:21]
	v_cmp_gt_u32_e64 s[14:15], 40, v14
	s_and_saveexec_b64 s[20:21], s[14:15]
	s_cbranch_execz .LBB44_381
.LBB44_1188:
	v_lshlrev_b32_e32 v32, 3, v25
	v_sub_u32_e32 v32, v31, v32
	v_lshl_add_u32 v32, v24, 3, v32
	ds_read_b64 v[32:33], v32 offset:9920
	ds_read_b64 v[34:35], v31 offset:8344
	s_waitcnt lgkmcnt(0)
	v_fma_f64 v[10:11], v[32:33], v[34:35], v[10:11]
	s_or_b64 exec, exec, s[20:21]
	v_cmp_gt_u32_e64 s[14:15], 32, v14
	s_and_saveexec_b64 s[0:1], s[14:15]
	s_cbranch_execz .LBB44_382
.LBB44_1189:
	ds_read_b64 v[32:33], v21 offset:10432
	ds_read_b64 v[34:35], v31 offset:8352
	s_waitcnt lgkmcnt(0)
	v_fma_f64 v[10:11], v[32:33], v[34:35], v[10:11]
	s_or_b64 exec, exec, s[0:1]
	v_cmp_gt_u32_e64 s[14:15], 24, v14
	s_and_saveexec_b64 s[20:21], s[14:15]
	s_cbranch_execz .LBB44_383
.LBB44_1190:
	v_lshlrev_b32_e32 v32, 3, v25
	v_sub_u32_e32 v32, v31, v32
	v_lshl_add_u32 v32, v24, 3, v32
	ds_read_b64 v[32:33], v32 offset:10944
	ds_read_b64 v[34:35], v31 offset:8360
	s_waitcnt lgkmcnt(0)
	v_fma_f64 v[10:11], v[32:33], v[34:35], v[10:11]
	s_or_b64 exec, exec, s[20:21]
	v_cmp_gt_u32_e64 s[14:15], 16, v14
	s_and_saveexec_b64 s[0:1], s[14:15]
	s_cbranch_execz .LBB44_384
.LBB44_1191:
	ds_read_b64 v[32:33], v21 offset:11456
	ds_read_b64 v[34:35], v31 offset:8368
	s_waitcnt lgkmcnt(0)
	v_fma_f64 v[10:11], v[32:33], v[34:35], v[10:11]
	s_or_b64 exec, exec, s[0:1]
	v_cmp_gt_u32_e64 s[14:15], 8, v14
	s_and_saveexec_b64 s[20:21], s[14:15]
	s_cbranch_execnz .LBB44_385
	s_branch .LBB44_386
.LBB44_1192:
	v_lshlrev_b32_e32 v32, 3, v20
	v_sub_u32_e32 v32, v31, v32
	v_lshl_add_u32 v32, v19, 3, v32
	ds_read_b64 v[32:33], v32 offset:13024
	ds_read_b64 v[34:35], v31 offset:12488
	s_waitcnt lgkmcnt(0)
	v_fma_f64 v[10:11], v[32:33], v[34:35], v[10:11]
	s_or_b64 exec, exec, s[20:21]
	v_cmp_gt_u32_e64 s[14:15], 8, v14
	s_and_saveexec_b64 s[0:1], s[14:15]
	s_cbranch_execz .LBB44_442
.LBB44_1193:
	ds_read_b64 v[32:33], v16 offset:13536
	ds_read_b64 v[34:35], v31 offset:12496
	s_waitcnt lgkmcnt(0)
	v_fma_f64 v[10:11], v[32:33], v[34:35], v[10:11]
	s_or_b64 exec, exec, s[0:1]
	v_cmp_gt_u32_e64 s[14:15], 4, v14
	s_and_saveexec_b64 s[20:21], s[14:15]
	s_cbranch_execnz .LBB44_443
	s_branch .LBB44_444
.LBB44_1194:
	ds_read_b64 v[36:37], v31 offset:15104
	ds_read_b64 v[38:39], v35 offset:232
	s_waitcnt lgkmcnt(0)
	v_fma_f64 v[10:11], v[36:37], v[38:39], v[10:11]
	s_or_b64 exec, exec, s[0:1]
	v_cmp_gt_u32_e64 s[20:21], 64, v14
	s_and_saveexec_b64 s[0:1], s[20:21]
	s_cbranch_execz .LBB44_540
.LBB44_1195:
	ds_read_b64 v[36:37], v31 offset:15616
	ds_read_b64 v[38:39], v35 offset:240
	s_waitcnt lgkmcnt(0)
	v_fma_f64 v[10:11], v[36:37], v[38:39], v[10:11]
	s_or_b64 exec, exec, s[0:1]
	v_cmp_gt_u32_e64 s[20:21], 32, v14
	s_and_saveexec_b64 s[0:1], s[20:21]
	s_cbranch_execnz .LBB44_541
	s_branch .LBB44_542
.LBB44_1196:
	v_lshlrev_b32_e32 v32, 3, v20
	v_sub_u32_e32 v32, v31, v32
	v_lshl_add_u32 v32, v19, 3, v32
	ds_read_b64 v[32:33], v32 offset:17184
	ds_read_b64 v[34:35], v31 offset:16648
	s_waitcnt lgkmcnt(0)
	v_fma_f64 v[10:11], v[32:33], v[34:35], v[10:11]
	s_or_b64 exec, exec, s[16:17]
	v_cmp_gt_u32_e64 s[12:13], 8, v14
	s_and_saveexec_b64 s[0:1], s[12:13]
	s_cbranch_execz .LBB44_694
.LBB44_1197:
	ds_read_b64 v[32:33], v16 offset:17696
	ds_read_b64 v[34:35], v31 offset:16656
	s_waitcnt lgkmcnt(0)
	v_fma_f64 v[10:11], v[32:33], v[34:35], v[10:11]
	s_or_b64 exec, exec, s[0:1]
	v_cmp_gt_u32_e64 s[12:13], 4, v14
	s_and_saveexec_b64 s[0:1], s[12:13]
	s_cbranch_execnz .LBB44_695
	s_branch .LBB44_696
.LBB44_1198:
	v_lshlrev_b32_e32 v32, 3, v25
	v_sub_u32_e32 v32, v31, v32
	v_lshl_add_u32 v32, v24, 3, v32
	ds_read_b64 v[32:33], v32 offset:17216
	ds_read_b64 v[34:35], v31 offset:16648
	s_waitcnt lgkmcnt(0)
	v_fma_f64 v[10:11], v[32:33], v[34:35], v[10:11]
	s_or_b64 exec, exec, s[16:17]
	v_cmp_gt_u32_e64 s[12:13], 48, v14
	s_and_saveexec_b64 s[0:1], s[12:13]
	s_cbranch_execz .LBB44_736
.LBB44_1199:
	v_lshlrev_b32_e32 v32, 3, v25
	v_sub_u32_e32 v32, v31, v32
	v_lshl_add_u32 v32, v24, 3, v32
	ds_read_b64 v[32:33], v32 offset:17728
	ds_read_b64 v[34:35], v31 offset:16656
	s_waitcnt lgkmcnt(0)
	v_fma_f64 v[10:11], v[32:33], v[34:35], v[10:11]
	s_or_b64 exec, exec, s[0:1]
	v_cmp_gt_u32_e64 s[12:13], 40, v14
	s_and_saveexec_b64 s[0:1], s[12:13]
	s_cbranch_execz .LBB44_737
.LBB44_1200:
	v_lshlrev_b32_e32 v32, 3, v25
	v_sub_u32_e32 v32, v31, v32
	v_lshl_add_u32 v32, v24, 3, v32
	ds_read_b64 v[32:33], v32 offset:18240
	ds_read_b64 v[34:35], v31 offset:16664
	s_waitcnt lgkmcnt(0)
	v_fma_f64 v[10:11], v[32:33], v[34:35], v[10:11]
	s_or_b64 exec, exec, s[0:1]
	v_cmp_gt_u32_e64 s[12:13], 32, v14
	s_and_saveexec_b64 s[0:1], s[12:13]
	s_cbranch_execz .LBB44_738
.LBB44_1201:
	ds_read_b64 v[32:33], v21 offset:18752
	ds_read_b64 v[34:35], v31 offset:16672
	s_waitcnt lgkmcnt(0)
	v_fma_f64 v[10:11], v[32:33], v[34:35], v[10:11]
	s_or_b64 exec, exec, s[0:1]
	v_cmp_gt_u32_e64 s[12:13], 24, v14
	s_and_saveexec_b64 s[0:1], s[12:13]
	s_cbranch_execz .LBB44_739
.LBB44_1202:
	v_lshlrev_b32_e32 v32, 3, v25
	v_sub_u32_e32 v32, v31, v32
	v_lshl_add_u32 v32, v24, 3, v32
	ds_read_b64 v[32:33], v32 offset:19264
	ds_read_b64 v[34:35], v31 offset:16680
	s_waitcnt lgkmcnt(0)
	v_fma_f64 v[10:11], v[32:33], v[34:35], v[10:11]
	s_or_b64 exec, exec, s[0:1]
	v_cmp_gt_u32_e64 s[12:13], 16, v14
	s_and_saveexec_b64 s[0:1], s[12:13]
	s_cbranch_execz .LBB44_740
.LBB44_1203:
	ds_read_b64 v[32:33], v21 offset:19776
	ds_read_b64 v[34:35], v31 offset:16688
	s_waitcnt lgkmcnt(0)
	v_fma_f64 v[10:11], v[32:33], v[34:35], v[10:11]
	s_or_b64 exec, exec, s[0:1]
	v_cmp_gt_u32_e64 s[12:13], 8, v14
	s_and_saveexec_b64 s[0:1], s[12:13]
	s_cbranch_execnz .LBB44_741
	s_branch .LBB44_742
.LBB44_1204:
	v_lshlrev_b32_e32 v32, 3, v20
	v_sub_u32_e32 v32, v31, v32
	v_lshl_add_u32 v32, v19, 3, v32
	ds_read_b64 v[32:33], v32 offset:21344
	ds_read_b64 v[34:35], v31 offset:20808
	s_waitcnt lgkmcnt(0)
	v_fma_f64 v[10:11], v[32:33], v[34:35], v[10:11]
	s_or_b64 exec, exec, s[16:17]
	v_cmp_gt_u32_e64 s[12:13], 8, v14
	s_and_saveexec_b64 s[0:1], s[12:13]
	s_cbranch_execz .LBB44_798
.LBB44_1205:
	ds_read_b64 v[32:33], v16 offset:21856
	ds_read_b64 v[34:35], v31 offset:20816
	s_waitcnt lgkmcnt(0)
	v_fma_f64 v[10:11], v[32:33], v[34:35], v[10:11]
	s_or_b64 exec, exec, s[0:1]
	v_cmp_gt_u32_e64 s[12:13], 4, v14
	s_and_saveexec_b64 s[0:1], s[12:13]
	s_cbranch_execnz .LBB44_799
	s_branch .LBB44_800
.LBB44_1206:
	v_lshlrev_b32_e32 v30, 3, v27
	v_lshl_add_u32 v30, v29, 3, v30
	ds_read_b64 v[32:33], v30 offset:22400
	ds_read_b64 v[34:35], v31 offset:16728
	s_waitcnt lgkmcnt(0)
	v_fma_f64 v[10:11], v[32:33], v[34:35], v[10:11]
	s_or_b64 exec, exec, s[0:1]
	v_cmp_gt_u32_e64 s[12:13], 64, v14
	s_and_saveexec_b64 s[0:1], s[12:13]
	s_cbranch_execz .LBB44_860
.LBB44_1207:
	ds_read_b64 v[32:33], v26 offset:22912
	ds_read_b64 v[34:35], v31 offset:16736
	s_waitcnt lgkmcnt(0)
	v_fma_f64 v[10:11], v[32:33], v[34:35], v[10:11]
	s_or_b64 exec, exec, s[0:1]
	v_cmp_gt_u32_e64 s[12:13], 48, v14
	s_and_saveexec_b64 s[0:1], s[12:13]
	s_cbranch_execz .LBB44_861
.LBB44_1208:
	v_lshlrev_b32_e32 v30, 3, v27
	v_lshl_add_u32 v29, v29, 3, v30
	ds_read_b64 v[29:30], v29 offset:23424
	ds_read_b64 v[32:33], v31 offset:16744
	s_waitcnt lgkmcnt(0)
	v_fma_f64 v[10:11], v[29:30], v[32:33], v[10:11]
	s_or_b64 exec, exec, s[0:1]
	v_cmp_gt_u32_e64 s[12:13], 32, v14
	s_and_saveexec_b64 s[0:1], s[12:13]
	s_cbranch_execz .LBB44_862
.LBB44_1209:
	ds_read_b64 v[29:30], v26 offset:23936
	ds_read_b64 v[31:32], v31 offset:16752
	s_waitcnt lgkmcnt(0)
	v_fma_f64 v[10:11], v[29:30], v[31:32], v[10:11]
	s_or_b64 exec, exec, s[0:1]
	v_cmp_gt_u32_e64 s[12:13], 16, v14
	s_and_saveexec_b64 s[0:1], s[12:13]
	s_cbranch_execnz .LBB44_863
	s_branch .LBB44_864
.LBB44_1210:
	v_lshlrev_b32_e32 v27, 3, v20
	v_sub_u32_e32 v27, v26, v27
	v_lshl_add_u32 v27, v19, 3, v27
	ds_read_b64 v[27:28], v27 offset:25504
	ds_read_b64 v[29:30], v26 offset:24968
	s_waitcnt lgkmcnt(0)
	v_fma_f64 v[10:11], v[27:28], v[29:30], v[10:11]
	s_or_b64 exec, exec, s[12:13]
	v_cmp_gt_u32_e64 s[10:11], 8, v14
	s_and_saveexec_b64 s[12:13], s[10:11]
	s_cbranch_execz .LBB44_952
.LBB44_1211:
	ds_read_b64 v[27:28], v16 offset:26016
	ds_read_b64 v[29:30], v26 offset:24976
	s_waitcnt lgkmcnt(0)
	v_fma_f64 v[10:11], v[27:28], v[29:30], v[10:11]
	s_or_b64 exec, exec, s[12:13]
	v_cmp_gt_u32_e64 s[10:11], 4, v14
	s_and_saveexec_b64 s[12:13], s[10:11]
	s_cbranch_execnz .LBB44_953
	s_branch .LBB44_954
.LBB44_1212:
	v_lshlrev_b32_e32 v27, 3, v25
	v_sub_u32_e32 v27, v26, v27
	v_lshl_add_u32 v27, v24, 3, v27
	ds_read_b64 v[27:28], v27 offset:25536
	ds_read_b64 v[29:30], v26 offset:24968
	s_waitcnt lgkmcnt(0)
	v_fma_f64 v[10:11], v[27:28], v[29:30], v[10:11]
	s_or_b64 exec, exec, s[12:13]
	v_cmp_gt_u32_e64 s[10:11], 48, v14
	s_and_saveexec_b64 s[12:13], s[10:11]
	s_cbranch_execz .LBB44_994
.LBB44_1213:
	v_lshlrev_b32_e32 v27, 3, v25
	v_sub_u32_e32 v27, v26, v27
	v_lshl_add_u32 v27, v24, 3, v27
	ds_read_b64 v[27:28], v27 offset:26048
	ds_read_b64 v[29:30], v26 offset:24976
	s_waitcnt lgkmcnt(0)
	v_fma_f64 v[10:11], v[27:28], v[29:30], v[10:11]
	s_or_b64 exec, exec, s[12:13]
	v_cmp_gt_u32_e64 s[10:11], 40, v14
	s_and_saveexec_b64 s[12:13], s[10:11]
	s_cbranch_execz .LBB44_995
.LBB44_1214:
	v_lshlrev_b32_e32 v27, 3, v25
	v_sub_u32_e32 v27, v26, v27
	v_lshl_add_u32 v27, v24, 3, v27
	ds_read_b64 v[27:28], v27 offset:26560
	ds_read_b64 v[29:30], v26 offset:24984
	s_waitcnt lgkmcnt(0)
	v_fma_f64 v[10:11], v[27:28], v[29:30], v[10:11]
	s_or_b64 exec, exec, s[12:13]
	v_cmp_gt_u32_e64 s[10:11], 32, v14
	s_and_saveexec_b64 s[12:13], s[10:11]
	s_cbranch_execz .LBB44_996
.LBB44_1215:
	ds_read_b64 v[27:28], v21 offset:27072
	ds_read_b64 v[29:30], v26 offset:24992
	s_waitcnt lgkmcnt(0)
	v_fma_f64 v[10:11], v[27:28], v[29:30], v[10:11]
	s_or_b64 exec, exec, s[12:13]
	v_cmp_gt_u32_e64 s[10:11], 24, v14
	s_and_saveexec_b64 s[12:13], s[10:11]
	s_cbranch_execz .LBB44_997
.LBB44_1216:
	v_lshlrev_b32_e32 v25, 3, v25
	v_sub_u32_e32 v25, v26, v25
	v_lshl_add_u32 v24, v24, 3, v25
	ds_read_b64 v[24:25], v24 offset:27584
	ds_read_b64 v[27:28], v26 offset:25000
	s_waitcnt lgkmcnt(0)
	v_fma_f64 v[10:11], v[24:25], v[27:28], v[10:11]
	s_or_b64 exec, exec, s[12:13]
	v_cmp_gt_u32_e64 s[10:11], 16, v14
	s_and_saveexec_b64 s[12:13], s[10:11]
	s_cbranch_execz .LBB44_998
.LBB44_1217:
	ds_read_b64 v[24:25], v21 offset:28096
	ds_read_b64 v[26:27], v26 offset:25008
	s_waitcnt lgkmcnt(0)
	v_fma_f64 v[10:11], v[24:25], v[26:27], v[10:11]
	s_or_b64 exec, exec, s[12:13]
	v_cmp_gt_u32_e64 s[10:11], 8, v14
	s_and_saveexec_b64 s[12:13], s[10:11]
	s_cbranch_execnz .LBB44_999
	s_branch .LBB44_1000
.LBB44_1218:
	v_lshlrev_b32_e32 v20, 3, v20
	v_sub_u32_e32 v20, v21, v20
	v_lshl_add_u32 v19, v19, 3, v20
	ds_read_b64 v[19:20], v19 offset:29664
	ds_read_b64 v[22:23], v21 offset:29128
	s_waitcnt lgkmcnt(0)
	v_fma_f64 v[10:11], v[19:20], v[22:23], v[10:11]
	s_or_b64 exec, exec, s[10:11]
	v_cmp_gt_u32_e64 s[8:9], 8, v14
	s_and_saveexec_b64 s[10:11], s[8:9]
	s_cbranch_execz .LBB44_1056
.LBB44_1219:
	ds_read_b64 v[19:20], v16 offset:30176
	ds_read_b64 v[21:22], v21 offset:29136
	s_waitcnt lgkmcnt(0)
	v_fma_f64 v[10:11], v[19:20], v[21:22], v[10:11]
	s_or_b64 exec, exec, s[10:11]
	v_cmp_gt_u32_e64 s[8:9], 4, v14
	s_and_saveexec_b64 s[10:11], s[8:9]
	s_cbranch_execnz .LBB44_1057
	s_branch .LBB44_1058
	.section	.rodata,"a",@progbits
	.p2align	6, 0x0
	.amdhsa_kernel _ZL19rocblas_trsv_deviceILi64ELi16ELb1ELb1ELb0ELb1EddPKdPdEviT7_lllT6_T8_lllPii
		.amdhsa_group_segment_fixed_size 41480
		.amdhsa_private_segment_fixed_size 0
		.amdhsa_kernarg_size 352
		.amdhsa_user_sgpr_count 6
		.amdhsa_user_sgpr_private_segment_buffer 1
		.amdhsa_user_sgpr_dispatch_ptr 0
		.amdhsa_user_sgpr_queue_ptr 0
		.amdhsa_user_sgpr_kernarg_segment_ptr 1
		.amdhsa_user_sgpr_dispatch_id 0
		.amdhsa_user_sgpr_flat_scratch_init 0
		.amdhsa_user_sgpr_private_segment_size 0
		.amdhsa_uses_dynamic_stack 0
		.amdhsa_system_sgpr_private_segment_wavefront_offset 0
		.amdhsa_system_sgpr_workgroup_id_x 1
		.amdhsa_system_sgpr_workgroup_id_y 0
		.amdhsa_system_sgpr_workgroup_id_z 1
		.amdhsa_system_sgpr_workgroup_info 0
		.amdhsa_system_vgpr_workitem_id 1
		.amdhsa_next_free_vgpr 49
		.amdhsa_next_free_sgpr 98
		.amdhsa_reserve_vcc 1
		.amdhsa_reserve_flat_scratch 0
		.amdhsa_float_round_mode_32 0
		.amdhsa_float_round_mode_16_64 0
		.amdhsa_float_denorm_mode_32 3
		.amdhsa_float_denorm_mode_16_64 3
		.amdhsa_dx10_clamp 1
		.amdhsa_ieee_mode 1
		.amdhsa_fp16_overflow 0
		.amdhsa_exception_fp_ieee_invalid_op 0
		.amdhsa_exception_fp_denorm_src 0
		.amdhsa_exception_fp_ieee_div_zero 0
		.amdhsa_exception_fp_ieee_overflow 0
		.amdhsa_exception_fp_ieee_underflow 0
		.amdhsa_exception_fp_ieee_inexact 0
		.amdhsa_exception_int_div_zero 0
	.end_amdhsa_kernel
	.section	.text._ZL19rocblas_trsv_deviceILi64ELi16ELb1ELb1ELb0ELb1EddPKdPdEviT7_lllT6_T8_lllPii,"axG",@progbits,_ZL19rocblas_trsv_deviceILi64ELi16ELb1ELb1ELb0ELb1EddPKdPdEviT7_lllT6_T8_lllPii,comdat
.Lfunc_end44:
	.size	_ZL19rocblas_trsv_deviceILi64ELi16ELb1ELb1ELb0ELb1EddPKdPdEviT7_lllT6_T8_lllPii, .Lfunc_end44-_ZL19rocblas_trsv_deviceILi64ELi16ELb1ELb1ELb0ELb1EddPKdPdEviT7_lllT6_T8_lllPii
                                        ; -- End function
	.set _ZL19rocblas_trsv_deviceILi64ELi16ELb1ELb1ELb0ELb1EddPKdPdEviT7_lllT6_T8_lllPii.num_vgpr, 41
	.set _ZL19rocblas_trsv_deviceILi64ELi16ELb1ELb1ELb0ELb1EddPKdPdEviT7_lllT6_T8_lllPii.num_agpr, 0
	.set _ZL19rocblas_trsv_deviceILi64ELi16ELb1ELb1ELb0ELb1EddPKdPdEviT7_lllT6_T8_lllPii.numbered_sgpr, 96
	.set _ZL19rocblas_trsv_deviceILi64ELi16ELb1ELb1ELb0ELb1EddPKdPdEviT7_lllT6_T8_lllPii.num_named_barrier, 0
	.set _ZL19rocblas_trsv_deviceILi64ELi16ELb1ELb1ELb0ELb1EddPKdPdEviT7_lllT6_T8_lllPii.private_seg_size, 0
	.set _ZL19rocblas_trsv_deviceILi64ELi16ELb1ELb1ELb0ELb1EddPKdPdEviT7_lllT6_T8_lllPii.uses_vcc, 1
	.set _ZL19rocblas_trsv_deviceILi64ELi16ELb1ELb1ELb0ELb1EddPKdPdEviT7_lllT6_T8_lllPii.uses_flat_scratch, 0
	.set _ZL19rocblas_trsv_deviceILi64ELi16ELb1ELb1ELb0ELb1EddPKdPdEviT7_lllT6_T8_lllPii.has_dyn_sized_stack, 0
	.set _ZL19rocblas_trsv_deviceILi64ELi16ELb1ELb1ELb0ELb1EddPKdPdEviT7_lllT6_T8_lllPii.has_recursion, 0
	.set _ZL19rocblas_trsv_deviceILi64ELi16ELb1ELb1ELb0ELb1EddPKdPdEviT7_lllT6_T8_lllPii.has_indirect_call, 0
	.section	.AMDGPU.csdata,"",@progbits
; Kernel info:
; codeLenInByte = 35268
; TotalNumSgprs: 100
; NumVgprs: 41
; ScratchSize: 0
; MemoryBound: 0
; FloatMode: 240
; IeeeMode: 1
; LDSByteSize: 41480 bytes/workgroup (compile time only)
; SGPRBlocks: 12
; VGPRBlocks: 12
; NumSGPRsForWavesPerEU: 102
; NumVGPRsForWavesPerEU: 49
; Occupancy: 4
; WaveLimiterHint : 0
; COMPUTE_PGM_RSRC2:SCRATCH_EN: 0
; COMPUTE_PGM_RSRC2:USER_SGPR: 6
; COMPUTE_PGM_RSRC2:TRAP_HANDLER: 0
; COMPUTE_PGM_RSRC2:TGID_X_EN: 1
; COMPUTE_PGM_RSRC2:TGID_Y_EN: 0
; COMPUTE_PGM_RSRC2:TGID_Z_EN: 1
; COMPUTE_PGM_RSRC2:TIDIG_COMP_CNT: 1
	.section	.text._ZL19rocblas_trsv_deviceILi64ELi16ELb1ELb1ELb1ELb1EddPKdPdEviT7_lllT6_T8_lllPii,"axG",@progbits,_ZL19rocblas_trsv_deviceILi64ELi16ELb1ELb1ELb1ELb1EddPKdPdEviT7_lllT6_T8_lllPii,comdat
	.globl	_ZL19rocblas_trsv_deviceILi64ELi16ELb1ELb1ELb1ELb1EddPKdPdEviT7_lllT6_T8_lllPii ; -- Begin function _ZL19rocblas_trsv_deviceILi64ELi16ELb1ELb1ELb1ELb1EddPKdPdEviT7_lllT6_T8_lllPii
	.p2align	8
	.type	_ZL19rocblas_trsv_deviceILi64ELi16ELb1ELb1ELb1ELb1EddPKdPdEviT7_lllT6_T8_lllPii,@function
_ZL19rocblas_trsv_deviceILi64ELi16ELb1ELb1ELb1ELb1EddPKdPdEviT7_lllT6_T8_lllPii: ; @_ZL19rocblas_trsv_deviceILi64ELi16ELb1ELb1ELb1ELb1EddPKdPdEviT7_lllT6_T8_lllPii
; %bb.0:
	s_load_dwordx16 s[36:51], s[4:5], 0x8
	s_load_dword s24, s[4:5], 0x0
	s_mov_b32 s22, s7
	s_mov_b32 s23, 0
	s_load_dword s19, s[4:5], 0x6c
	s_waitcnt lgkmcnt(0)
	s_mul_i32 s0, s43, s7
	s_mul_hi_u32 s1, s42, s7
	s_add_i32 s1, s1, s0
	s_mul_i32 s0, s42, s7
	s_load_dword s7, s[4:5], 0x60
	s_lshl_b64 s[0:1], s[0:1], 3
	s_add_u32 s2, s36, s0
	s_addc_u32 s3, s37, s1
	s_lshl_b64 s[0:1], s[38:39], 3
	s_add_u32 s18, s2, s0
	s_addc_u32 s91, s3, s1
	s_waitcnt lgkmcnt(0)
	s_add_i32 s7, s7, -1
	s_sub_i32 s33, s7, s6
	s_cmp_eq_u32 s6, 0
	s_cbranch_scc1 .LBB45_10
; %bb.1:
	s_lshl_b32 s2, s33, 6
	v_add_u32_e32 v4, s2, v0
	v_ashrrev_i32_e32 v2, 31, v4
	v_mul_lo_u32 v5, s40, v2
	v_mul_lo_u32 v6, s41, v4
	v_mad_u64_u32 v[2:3], s[0:1], s40, v4, 0
	v_add3_u32 v10, v1, s2, 64
	v_ashrrev_i32_e32 v11, 31, v10
	v_add3_u32 v3, v3, v5, v6
	v_lshlrev_b64 v[2:3], 3, v[2:3]
	v_cmp_gt_i32_e32 vcc, s24, v4
	v_mov_b32_e32 v4, s91
	v_add_co_u32_e64 v5, s[0:1], s18, v2
	v_addc_co_u32_e64 v4, s[0:1], v4, v3, s[0:1]
	v_lshlrev_b64 v[2:3], 3, v[10:11]
	v_add_co_u32_e64 v11, s[0:1], v5, v2
	v_addc_co_u32_e64 v12, s[0:1], v4, v3, s[0:1]
	v_cmp_gt_i32_e64 s[0:1], s24, v10
	v_mov_b32_e32 v2, 0
	v_mov_b32_e32 v4, 0
	;; [unrolled: 1-line block ×4, first 2 shown]
	s_and_b64 s[2:3], s[0:1], vcc
	s_barrier
	s_and_saveexec_b64 s[0:1], s[2:3]
	s_cbranch_execz .LBB45_3
; %bb.2:
	global_load_dwordx2 v[4:5], v[11:12], off
.LBB45_3:
	s_or_b64 exec, exec, s[0:1]
	v_add_u32_e32 v6, 16, v10
	v_cmp_gt_i32_e64 s[0:1], s24, v6
	s_and_b64 s[2:3], s[0:1], vcc
	s_waitcnt vmcnt(0)
	s_barrier
	s_and_saveexec_b64 s[0:1], s[2:3]
	s_cbranch_execz .LBB45_5
; %bb.4:
	global_load_dwordx2 v[2:3], v[11:12], off offset:128
.LBB45_5:
	s_or_b64 exec, exec, s[0:1]
	v_add_u32_e32 v6, 32, v10
	v_cmp_gt_i32_e64 s[0:1], s24, v6
	v_mov_b32_e32 v6, 0
	v_mov_b32_e32 v8, 0
	;; [unrolled: 1-line block ×4, first 2 shown]
	s_and_b64 s[2:3], s[0:1], vcc
	s_waitcnt vmcnt(0)
	s_barrier
	s_and_saveexec_b64 s[0:1], s[2:3]
	s_cbranch_execz .LBB45_7
; %bb.6:
	global_load_dwordx2 v[8:9], v[11:12], off offset:256
.LBB45_7:
	s_or_b64 exec, exec, s[0:1]
	v_add_u32_e32 v10, 48, v10
	v_cmp_gt_i32_e64 s[0:1], s24, v10
	s_and_b64 s[2:3], s[0:1], vcc
	s_waitcnt vmcnt(0)
	s_barrier
	s_and_saveexec_b64 s[0:1], s[2:3]
	s_cbranch_execz .LBB45_9
; %bb.8:
	global_load_dwordx2 v[6:7], v[11:12], off offset:384
.LBB45_9:
	s_or_b64 exec, exec, s[0:1]
	s_branch .LBB45_11
.LBB45_10:
                                        ; implicit-def: $vgpr6_vgpr7
                                        ; implicit-def: $vgpr8_vgpr9
                                        ; implicit-def: $vgpr2_vgpr3
                                        ; implicit-def: $vgpr4_vgpr5
.LBB45_11:
	s_ashr_i32 s25, s24, 31
	s_lshr_b32 s0, s25, 26
	s_add_i32 s0, s24, s0
	s_andn2_b32 s0, s0, 63
	s_sub_i32 s90, s24, s0
	s_add_i32 s0, s24, -1
	s_ashr_i32 s1, s0, 31
	s_lshr_b32 s1, s1, 26
	s_add_i32 s0, s0, s1
	s_ashr_i32 s0, s0, 6
	s_cmp_eq_u32 s0, s33
	s_cselect_b64 s[0:1], -1, 0
	s_cmp_lg_u32 s90, 0
	s_cselect_b64 s[2:3], -1, 0
	s_and_b64 s[26:27], s[2:3], s[0:1]
	s_cmp_lt_i32 s6, 5
	s_cselect_b64 s[2:3], -1, 0
	s_mov_b64 s[12:13], -1
	s_or_b64 s[0:1], s[2:3], s[26:27]
	v_lshlrev_b32_e32 v14, 6, v0
	s_and_b64 vcc, exec, s[26:27]
	v_cmp_le_u32_e64 s[8:9], v0, v1
	s_cbranch_vccnz .LBB45_33
; %bb.12:
	s_add_u32 s10, s40, 1
	s_addc_u32 s11, s41, 0
	s_lshl_b32 s12, s33, 6
	s_ashr_i32 s13, s12, 31
	s_mul_hi_u32 s14, s10, s12
	s_mul_i32 s13, s10, s13
	s_add_i32 s13, s14, s13
	s_mul_i32 s11, s11, s12
	s_add_i32 s11, s13, s11
	s_mul_i32 s10, s10, s12
	s_lshl_b64 s[10:11], s[10:11], 3
	s_add_u32 s10, s18, s10
	s_addc_u32 s11, s91, s11
	v_lshlrev_b32_e32 v10, 3, v0
	v_mov_b32_e32 v11, s11
	v_add_co_u32_e32 v10, vcc, s10, v10
	v_addc_co_u32_e32 v11, vcc, 0, v11, vcc
	s_mov_b64 s[10:11], 0
	s_and_saveexec_b64 s[12:13], s[8:9]
	s_xor_b64 s[8:9], exec, s[12:13]
; %bb.13:
	v_or_b32_e32 v12, v1, v0
	v_cmp_gt_u32_e32 vcc, 64, v12
	s_and_b64 s[10:11], vcc, exec
; %bb.14:
	s_or_saveexec_b64 s[8:9], s[8:9]
	v_mov_b32_e32 v12, 0
	v_mov_b32_e32 v13, 0
	s_xor_b64 exec, exec, s[8:9]
	s_cbranch_execz .LBB45_16
; %bb.15:
	v_mad_u64_u32 v[12:13], s[12:13], s40, v1, 0
	s_or_b64 s[10:11], s[10:11], exec
	v_mad_u64_u32 v[15:16], s[12:13], s41, v1, v[13:14]
	v_mov_b32_e32 v13, v15
	v_lshlrev_b64 v[12:13], 3, v[12:13]
	v_add_co_u32_e32 v12, vcc, v10, v12
	v_addc_co_u32_e32 v13, vcc, v11, v13, vcc
	global_load_dwordx2 v[12:13], v[12:13], off
	s_waitcnt vmcnt(0)
	v_xor_b32_e32 v13, 0x80000000, v13
.LBB45_16:
	s_or_b64 exec, exec, s[8:9]
	s_and_saveexec_b64 s[8:9], s[10:11]
; %bb.17:
	v_add_u32_e32 v15, v1, v14
	v_lshl_add_u32 v16, v1, 6, v0
	v_cndmask_b32_e64 v15, v16, v15, s[2:3]
	v_lshlrev_b32_e32 v15, 3, v15
	ds_write_b64 v15, v[12:13]
; %bb.18:
	s_or_b64 exec, exec, s[8:9]
	v_add_u32_e32 v15, 16, v1
	v_cmp_le_u32_e32 vcc, v0, v15
	s_mov_b64 s[2:3], 0
	s_and_saveexec_b64 s[8:9], vcc
	s_xor_b64 s[8:9], exec, s[8:9]
; %bb.19:
	v_or_b32_e32 v12, v15, v0
	v_cmp_gt_u32_e32 vcc, 64, v12
	s_and_b64 s[2:3], vcc, exec
; %bb.20:
	s_or_saveexec_b64 s[8:9], s[8:9]
	v_mov_b32_e32 v12, 0
	v_mov_b32_e32 v13, 0
	s_xor_b64 exec, exec, s[8:9]
	s_cbranch_execz .LBB45_22
; %bb.21:
	v_mad_u64_u32 v[12:13], s[10:11], s40, v15, 0
	s_or_b64 s[2:3], s[2:3], exec
	v_mad_u64_u32 v[16:17], s[10:11], s41, v15, v[13:14]
	v_mov_b32_e32 v13, v16
	v_lshlrev_b64 v[12:13], 3, v[12:13]
	v_add_co_u32_e32 v12, vcc, v10, v12
	v_addc_co_u32_e32 v13, vcc, v11, v13, vcc
	global_load_dwordx2 v[12:13], v[12:13], off
	s_waitcnt vmcnt(0)
	v_xor_b32_e32 v13, 0x80000000, v13
.LBB45_22:
	s_or_b64 exec, exec, s[8:9]
	s_and_saveexec_b64 s[8:9], s[2:3]
; %bb.23:
	v_add_u32_e32 v16, v15, v14
	v_lshl_add_u32 v15, v15, 6, v0
	v_cndmask_b32_e64 v15, v15, v16, s[0:1]
	v_lshlrev_b32_e32 v15, 3, v15
	ds_write_b64 v15, v[12:13]
; %bb.24:
	s_or_b64 exec, exec, s[8:9]
	v_add_u32_e32 v15, 32, v1
	v_cmp_le_u32_e32 vcc, v0, v15
	s_mov_b64 s[2:3], 0
	s_and_saveexec_b64 s[8:9], vcc
	s_xor_b64 s[8:9], exec, s[8:9]
; %bb.25:
	v_or_b32_e32 v12, v15, v0
	v_cmp_gt_u32_e32 vcc, 64, v12
	s_and_b64 s[2:3], vcc, exec
; %bb.26:
	s_or_saveexec_b64 s[8:9], s[8:9]
	v_mov_b32_e32 v12, 0
	v_mov_b32_e32 v13, 0
	s_xor_b64 exec, exec, s[8:9]
	s_cbranch_execz .LBB45_28
; %bb.27:
	v_mad_u64_u32 v[12:13], s[10:11], s40, v15, 0
	s_or_b64 s[2:3], s[2:3], exec
	v_mad_u64_u32 v[16:17], s[10:11], s41, v15, v[13:14]
	v_mov_b32_e32 v13, v16
	v_lshlrev_b64 v[12:13], 3, v[12:13]
	v_add_co_u32_e32 v12, vcc, v10, v12
	v_addc_co_u32_e32 v13, vcc, v11, v13, vcc
	global_load_dwordx2 v[12:13], v[12:13], off
	s_waitcnt vmcnt(0)
	v_xor_b32_e32 v13, 0x80000000, v13
.LBB45_28:
	s_or_b64 exec, exec, s[8:9]
	s_and_saveexec_b64 s[8:9], s[2:3]
; %bb.29:
	v_add_u32_e32 v16, v15, v14
	v_lshl_add_u32 v15, v15, 6, v0
	v_cndmask_b32_e64 v15, v15, v16, s[0:1]
	v_lshlrev_b32_e32 v15, 3, v15
	ds_write_b64 v15, v[12:13]
; %bb.30:
	s_or_b64 exec, exec, s[8:9]
	v_add_u32_e32 v15, 48, v1
	v_add_u32_e32 v12, v15, v14
	v_lshl_add_u32 v13, v15, 6, v0
	v_cmp_le_u32_e32 vcc, v0, v15
	s_mov_b64 s[2:3], -1
	s_mov_b64 s[12:13], 0
	s_mov_b64 s[10:11], 0
	s_and_saveexec_b64 s[8:9], vcc
	s_xor_b64 s[8:9], exec, s[8:9]
; %bb.31:
	v_or_b32_e32 v16, v15, v0
	v_cmp_gt_u32_e32 vcc, 64, v16
	s_and_b64 s[10:11], vcc, exec
	s_xor_b64 s[2:3], exec, -1
; %bb.32:
	s_or_b64 exec, exec, s[8:9]
	v_cndmask_b32_e64 v16, v13, v12, s[0:1]
	s_and_b64 vcc, exec, s[12:13]
	s_cbranch_vccnz .LBB45_34
	s_branch .LBB45_55
.LBB45_33:
	s_mov_b64 s[2:3], 0
	s_mov_b64 s[10:11], 0
                                        ; implicit-def: $vgpr16
                                        ; implicit-def: $vgpr10_vgpr11
                                        ; implicit-def: $vgpr15
	s_and_b64 vcc, exec, s[12:13]
	s_cbranch_vccz .LBB45_55
.LBB45_34:
	s_add_u32 s2, s40, 1
	s_addc_u32 s3, s41, 0
	s_lshl_b32 s8, s33, 6
	s_ashr_i32 s9, s8, 31
	s_mul_hi_u32 s12, s2, s8
	s_mul_i32 s9, s2, s9
	s_add_i32 s9, s12, s9
	s_mul_i32 s3, s3, s8
	s_add_i32 s3, s9, s3
	s_mul_i32 s2, s2, s8
	s_lshl_b64 s[2:3], s[2:3], 3
	s_add_u32 s2, s18, s2
	s_addc_u32 s3, s91, s3
	v_lshlrev_b32_e32 v10, 3, v0
	v_mov_b32_e32 v11, s3
	v_add_co_u32_e64 v10, s[2:3], s2, v10
	v_addc_co_u32_e64 v11, s[2:3], 0, v11, s[2:3]
	v_max_i32_e32 v12, v1, v0
	v_cmp_le_u32_e64 s[2:3], v0, v1
	v_cmp_le_i32_e64 s[8:9], s90, v12
	v_cmp_gt_i32_e32 vcc, s90, v0
	s_or_b64 s[2:3], s[8:9], s[2:3]
	s_mov_b64 s[8:9], 0
	s_and_saveexec_b64 s[12:13], s[2:3]
	s_xor_b64 s[12:13], exec, s[12:13]
; %bb.35:
	v_or_b32_e32 v12, v1, v0
	v_cmp_gt_u32_e64 s[2:3], 64, v12
	s_and_b64 s[8:9], s[2:3], exec
; %bb.36:
	s_or_saveexec_b64 s[12:13], s[12:13]
	v_mov_b32_e32 v12, 0
	v_mov_b32_e32 v13, 0
	s_xor_b64 exec, exec, s[12:13]
	s_cbranch_execz .LBB45_38
; %bb.37:
	v_mad_u64_u32 v[12:13], s[2:3], s40, v1, 0
	s_or_b64 s[8:9], s[8:9], exec
	v_mad_u64_u32 v[15:16], s[2:3], s41, v1, v[13:14]
	v_mov_b32_e32 v13, v15
	v_lshlrev_b64 v[12:13], 3, v[12:13]
	v_add_co_u32_e64 v12, s[2:3], v10, v12
	v_addc_co_u32_e64 v13, s[2:3], v11, v13, s[2:3]
	global_load_dwordx2 v[12:13], v[12:13], off
	s_waitcnt vmcnt(0)
	v_xor_b32_e32 v13, 0x80000000, v13
.LBB45_38:
	s_or_b64 exec, exec, s[12:13]
	s_and_saveexec_b64 s[2:3], s[8:9]
; %bb.39:
	v_lshlrev_b32_e32 v15, 3, v14
	v_lshl_add_u32 v15, v1, 3, v15
	ds_write_b64 v15, v[12:13]
; %bb.40:
	s_or_b64 exec, exec, s[2:3]
	v_add_u32_e32 v15, 16, v1
	v_cmp_gt_u32_e64 s[2:3], v0, v15
	v_cmp_gt_i32_e64 s[8:9], s90, v15
	s_and_b64 s[2:3], s[2:3], s[8:9]
	s_and_b64 s[2:3], s[2:3], vcc
	s_xor_b64 s[2:3], s[2:3], -1
	s_mov_b64 s[8:9], 0
	s_and_saveexec_b64 s[12:13], s[2:3]
	s_xor_b64 s[12:13], exec, s[12:13]
; %bb.41:
	v_or_b32_e32 v12, v15, v0
	v_cmp_gt_u32_e64 s[2:3], 64, v12
	s_and_b64 s[8:9], s[2:3], exec
; %bb.42:
	s_or_saveexec_b64 s[12:13], s[12:13]
	v_mov_b32_e32 v12, 0
	v_mov_b32_e32 v13, 0
	s_xor_b64 exec, exec, s[12:13]
	s_cbranch_execz .LBB45_44
; %bb.43:
	v_mad_u64_u32 v[12:13], s[2:3], s40, v15, 0
	s_or_b64 s[8:9], s[8:9], exec
	v_mad_u64_u32 v[16:17], s[2:3], s41, v15, v[13:14]
	v_mov_b32_e32 v13, v16
	v_lshlrev_b64 v[12:13], 3, v[12:13]
	v_add_co_u32_e64 v12, s[2:3], v10, v12
	v_addc_co_u32_e64 v13, s[2:3], v11, v13, s[2:3]
	global_load_dwordx2 v[12:13], v[12:13], off
	s_waitcnt vmcnt(0)
	v_xor_b32_e32 v13, 0x80000000, v13
.LBB45_44:
	s_or_b64 exec, exec, s[12:13]
	s_and_saveexec_b64 s[2:3], s[8:9]
; %bb.45:
	v_add_u32_e32 v16, v15, v14
	v_lshl_add_u32 v15, v15, 6, v0
	v_cndmask_b32_e64 v15, v15, v16, s[0:1]
	v_lshlrev_b32_e32 v15, 3, v15
	ds_write_b64 v15, v[12:13]
; %bb.46:
	s_or_b64 exec, exec, s[2:3]
	v_add_u32_e32 v15, 32, v1
	v_cmp_gt_u32_e64 s[2:3], v0, v15
	v_cmp_gt_i32_e64 s[8:9], s90, v15
	s_and_b64 s[2:3], s[2:3], s[8:9]
	s_and_b64 s[2:3], s[2:3], vcc
	s_xor_b64 s[2:3], s[2:3], -1
	s_mov_b64 s[8:9], 0
	s_and_saveexec_b64 s[12:13], s[2:3]
	s_xor_b64 s[12:13], exec, s[12:13]
; %bb.47:
	v_or_b32_e32 v12, v15, v0
	v_cmp_gt_u32_e64 s[2:3], 64, v12
	s_and_b64 s[8:9], s[2:3], exec
; %bb.48:
	s_or_saveexec_b64 s[12:13], s[12:13]
	v_mov_b32_e32 v12, 0
	v_mov_b32_e32 v13, 0
	s_xor_b64 exec, exec, s[12:13]
	s_cbranch_execz .LBB45_50
; %bb.49:
	v_mad_u64_u32 v[12:13], s[2:3], s40, v15, 0
	s_or_b64 s[8:9], s[8:9], exec
	v_mad_u64_u32 v[16:17], s[2:3], s41, v15, v[13:14]
	v_mov_b32_e32 v13, v16
	v_lshlrev_b64 v[12:13], 3, v[12:13]
	v_add_co_u32_e64 v12, s[2:3], v10, v12
	v_addc_co_u32_e64 v13, s[2:3], v11, v13, s[2:3]
	global_load_dwordx2 v[12:13], v[12:13], off
	s_waitcnt vmcnt(0)
	v_xor_b32_e32 v13, 0x80000000, v13
.LBB45_50:
	s_or_b64 exec, exec, s[12:13]
	s_and_saveexec_b64 s[2:3], s[8:9]
; %bb.51:
	v_add_u32_e32 v16, v15, v14
	v_lshl_add_u32 v15, v15, 6, v0
	v_cndmask_b32_e64 v15, v15, v16, s[0:1]
	v_lshlrev_b32_e32 v15, 3, v15
	ds_write_b64 v15, v[12:13]
; %bb.52:
	s_or_b64 exec, exec, s[2:3]
	v_add_u32_e32 v15, 48, v1
	v_cmp_gt_u32_e64 s[2:3], v0, v15
	v_cmp_gt_i32_e64 s[8:9], s90, v15
	s_and_b64 s[2:3], s[2:3], s[8:9]
	s_and_b64 s[8:9], s[2:3], vcc
	v_add_u32_e32 v12, v15, v14
	v_lshl_add_u32 v13, v15, 6, v0
	s_mov_b64 s[2:3], -1
	s_xor_b64 s[12:13], s[8:9], -1
	s_and_saveexec_b64 s[8:9], s[12:13]
; %bb.53:
	v_or_b32_e32 v14, v15, v0
	v_cmp_gt_u32_e32 vcc, 64, v14
	s_andn2_b64 s[2:3], s[10:11], exec
	s_and_b64 s[10:11], vcc, exec
	s_or_b64 s[10:11], s[2:3], s[10:11]
	s_xor_b64 s[2:3], exec, -1
; %bb.54:
	s_or_b64 exec, exec, s[8:9]
	v_cndmask_b32_e64 v16, v13, v12, s[0:1]
.LBB45_55:
	v_mov_b32_e32 v12, 0
	v_mov_b32_e32 v13, 0
	s_and_saveexec_b64 s[8:9], s[2:3]
	s_cbranch_execnz .LBB45_1139
; %bb.56:
	s_or_b64 exec, exec, s[8:9]
	s_xor_b64 s[0:1], s[0:1], -1
	s_and_saveexec_b64 s[2:3], s[10:11]
.LBB45_57:
	v_lshlrev_b32_e32 v10, 3, v16
	ds_write_b64 v10, v[12:13]
.LBB45_58:
	s_or_b64 exec, exec, s[2:3]
	v_cndmask_b32_e64 v10, 0, 1, s[0:1]
	v_cmp_ne_u32_e64 s[38:39], 1, v10
	s_andn2_b64 vcc, exec, s[0:1]
	s_waitcnt vmcnt(0) lgkmcnt(0)
	s_barrier
	s_cbranch_vccnz .LBB45_1096
; %bb.59:
	v_or_b32_e32 v10, v0, v1
	v_cmp_eq_u32_e32 vcc, 0, v10
	s_and_saveexec_b64 s[0:1], vcc
	s_cbranch_execz .LBB45_61
; %bb.60:
	v_mov_b32_e32 v12, 0
	ds_read_b64 v[10:11], v12 offset:8
	v_mov_b32_e32 v13, 0x3ff00000
	ds_write_b64 v12, v[12:13]
	s_waitcnt lgkmcnt(1)
	ds_write_b128 v12, v[10:13] offset:512
.LBB45_61:
	s_or_b64 exec, exec, s[0:1]
	v_lshl_add_u32 v14, v1, 6, v0
	v_and_b32_e32 v16, 1, v0
	v_lshrrev_b32_e32 v15, 1, v14
	v_lshlrev_b32_e32 v12, 3, v16
	v_mov_b32_e32 v10, 0
	v_cmp_lt_u32_e64 s[8:9], 3, v14
	v_cmp_gt_u32_e64 s[2:3], 4, v14
	v_mov_b32_e32 v11, 0
	v_lshl_or_b32 v12, v15, 9, v12
	s_waitcnt lgkmcnt(0)
	s_barrier
	s_and_saveexec_b64 s[0:1], s[2:3]
	s_cbranch_execz .LBB45_65
; %bb.62:
	v_mul_u32_u24_e32 v13, 0x208, v15
	ds_read_b64 v[10:11], v12 offset:16
	ds_read_b64 v[17:18], v13
	v_cmp_gt_u32_e64 s[10:11], 2, v14
	s_waitcnt lgkmcnt(0)
	v_fma_f64 v[10:11], v[10:11], v[17:18], 0
	s_and_saveexec_b64 s[12:13], s[10:11]
	s_cbranch_execz .LBB45_64
; %bb.63:
	v_lshlrev_b32_e32 v13, 3, v0
	v_mov_b32_e32 v19, 0
	ds_read_b64 v[17:18], v13 offset:528
	ds_read_b64 v[19:20], v19 offset:8
	s_waitcnt lgkmcnt(0)
	v_fma_f64 v[10:11], v[17:18], v[19:20], v[10:11]
.LBB45_64:
	s_or_b64 exec, exec, s[12:13]
	v_xor_b32_e32 v11, 0x80000000, v11
.LBB45_65:
                                        ; implicit-def: $vgpr40 : SGPR spill to VGPR lane
	v_writelane_b32 v40, s18, 0
	s_or_b64 exec, exec, s[0:1]
	v_mov_b32_e32 v13, 0x8000
	v_cmp_eq_u32_e64 s[10:11], 0, v16
	s_xor_b64 s[0:1], s[8:9], -1
	v_lshl_add_u32 v13, v15, 3, v13
	s_and_b64 s[30:31], s[10:11], s[0:1]
	s_and_saveexec_b64 s[8:9], s[30:31]
; %bb.66:
	ds_write_b64 v13, v[10:11]
; %bb.67:
	s_or_b64 exec, exec, s[8:9]
	v_cmp_ne_u32_e64 s[8:9], 0, v16
	s_and_b64 s[28:29], s[8:9], s[0:1]
	s_waitcnt lgkmcnt(0)
	s_barrier
	s_and_saveexec_b64 s[0:1], s[28:29]
	s_cbranch_execz .LBB45_69
; %bb.68:
	v_mov_b32_e32 v16, 0
	ds_read_b64 v[16:17], v16 offset:1048
	ds_read_b64 v[18:19], v13
	s_waitcnt lgkmcnt(0)
	v_fma_f64 v[10:11], v[16:17], v[18:19], v[10:11]
.LBB45_69:
	s_or_b64 exec, exec, s[0:1]
	s_barrier
	s_and_saveexec_b64 s[0:1], s[28:29]
; %bb.70:
	ds_write_b64 v13, v[10:11]
; %bb.71:
	s_or_b64 exec, exec, s[0:1]
	s_waitcnt lgkmcnt(0)
	s_barrier
	s_barrier
	s_and_saveexec_b64 s[0:1], s[2:3]
; %bb.72:
	v_xor_b32_e32 v11, 0x80000000, v11
	ds_write_b64 v12, v[10:11] offset:16
; %bb.73:
	s_or_b64 exec, exec, s[0:1]
	v_cmp_eq_u32_e64 s[12:13], 0, v1
	v_cmp_gt_u32_e64 s[8:9], 2, v0
	s_and_b64 s[34:35], s[12:13], s[8:9]
	s_waitcnt lgkmcnt(0)
	s_barrier
	s_barrier
	s_and_saveexec_b64 s[0:1], s[34:35]
	s_cbranch_execz .LBB45_75
; %bb.74:
	v_lshlrev_b32_e32 v16, 3, v0
	s_movk_i32 s8, 0x1f8
	v_mad_u32_u24 v17, v0, s8, v16
	ds_read_b64 v[10:11], v17 offset:16
	s_waitcnt lgkmcnt(0)
	ds_write_b64 v16, v[10:11] offset:1024
	ds_read_b64 v[10:11], v17 offset:24
	s_waitcnt lgkmcnt(0)
	ds_write_b64 v16, v[10:11] offset:1536
.LBB45_75:
	s_or_b64 exec, exec, s[0:1]
	s_waitcnt lgkmcnt(0)
	s_barrier
	s_and_saveexec_b64 s[0:1], vcc
	s_cbranch_execz .LBB45_77
; %bb.76:
	v_mov_b32_e32 v18, 0
	ds_read_b64 v[16:17], v18 offset:1048
	v_mov_b32_e32 v19, 0x3ff00000
	ds_write_b64 v18, v[18:19] offset:1040
	s_waitcnt lgkmcnt(1)
	ds_write_b128 v18, v[16:19] offset:1552
.LBB45_77:
	s_or_b64 exec, exec, s[0:1]
	v_and_b32_e32 v19, 3, v0
	v_lshrrev_b32_e32 v20, 2, v14
	v_lshlrev_b32_e32 v17, 3, v19
	v_mov_b32_e32 v10, 0
	v_cmp_lt_u32_e64 s[8:9], 15, v14
	v_cmp_gt_u32_e64 s[18:19], 16, v14
	v_mov_b32_e32 v11, 0
	v_lshl_or_b32 v16, v20, 9, v17
	s_waitcnt lgkmcnt(0)
	s_barrier
	s_and_saveexec_b64 s[0:1], s[18:19]
	s_cbranch_execz .LBB45_83
; %bb.78:
	v_mul_u32_u24_e32 v18, 0x208, v20
	ds_read_b64 v[10:11], v16 offset:32
	ds_read_b64 v[21:22], v18
	v_cmp_gt_u32_e64 s[10:11], 12, v14
	s_waitcnt lgkmcnt(0)
	v_fma_f64 v[10:11], v[10:11], v[21:22], 0
	s_and_saveexec_b64 s[14:15], s[10:11]
	s_cbranch_execnz .LBB45_1170
; %bb.79:
	s_or_b64 exec, exec, s[14:15]
	v_cmp_gt_u32_e64 s[10:11], 8, v14
	s_and_saveexec_b64 s[14:15], s[10:11]
	s_cbranch_execnz .LBB45_1171
.LBB45_80:
	s_or_b64 exec, exec, s[14:15]
	v_cmp_gt_u32_e64 s[10:11], 4, v14
	s_and_saveexec_b64 s[14:15], s[10:11]
	s_cbranch_execz .LBB45_82
.LBB45_81:
	v_lshlrev_b32_e32 v18, 3, v0
	v_mov_b32_e32 v23, 0
	ds_read_b64 v[21:22], v18 offset:1568
	ds_read_b64 v[23:24], v23 offset:24
	s_waitcnt lgkmcnt(0)
	v_fma_f64 v[10:11], v[21:22], v[23:24], v[10:11]
.LBB45_82:
	s_or_b64 exec, exec, s[14:15]
	v_xor_b32_e32 v11, 0x80000000, v11
.LBB45_83:
	v_writelane_b32 v40, s38, 1
	v_writelane_b32 v40, s39, 2
	s_or_b64 exec, exec, s[0:1]
	v_mov_b32_e32 v18, 0x8000
	v_cmp_eq_u32_e64 s[10:11], 0, v19
	s_xor_b64 s[0:1], s[8:9], -1
	v_lshl_add_u32 v18, v20, 3, v18
	s_and_b64 s[38:39], s[10:11], s[0:1]
	s_and_saveexec_b64 s[8:9], s[38:39]
; %bb.84:
	ds_write_b64 v18, v[10:11]
; %bb.85:
	s_or_b64 exec, exec, s[8:9]
	v_cmp_ne_u32_e64 s[8:9], 0, v19
	s_and_b64 s[42:43], s[8:9], s[0:1]
	s_waitcnt lgkmcnt(0)
	s_barrier
	s_and_saveexec_b64 s[8:9], s[42:43]
	s_cbranch_execz .LBB45_87
; %bb.86:
	ds_read_b64 v[21:22], v17 offset:2080
	ds_read_b64 v[23:24], v18
	s_waitcnt lgkmcnt(0)
	v_fma_f64 v[10:11], v[21:22], v[23:24], v[10:11]
.LBB45_87:
	s_or_b64 exec, exec, s[8:9]
	v_cmp_eq_u32_e64 s[8:9], 1, v19
	s_and_b64 s[52:53], s[8:9], s[0:1]
	s_barrier
	s_and_saveexec_b64 s[8:9], s[52:53]
; %bb.88:
	ds_write_b64 v18, v[10:11]
; %bb.89:
	s_or_b64 exec, exec, s[8:9]
	v_cmp_lt_u32_e64 s[8:9], 1, v19
	s_and_b64 s[54:55], s[8:9], s[0:1]
	s_waitcnt lgkmcnt(0)
	s_barrier
	s_and_saveexec_b64 s[8:9], s[54:55]
	s_cbranch_execz .LBB45_91
; %bb.90:
	ds_read_b64 v[21:22], v17 offset:2592
	ds_read_b64 v[23:24], v18
	s_waitcnt lgkmcnt(0)
	v_fma_f64 v[10:11], v[21:22], v[23:24], v[10:11]
.LBB45_91:
	s_or_b64 exec, exec, s[8:9]
	v_cmp_eq_u32_e64 s[8:9], 2, v19
	s_and_b64 s[56:57], s[8:9], s[0:1]
	s_barrier
	s_and_saveexec_b64 s[8:9], s[56:57]
; %bb.92:
	ds_write_b64 v18, v[10:11]
; %bb.93:
	s_or_b64 exec, exec, s[8:9]
	v_cmp_eq_u32_e64 s[8:9], 3, v19
	s_and_b64 s[36:37], s[8:9], s[0:1]
	s_waitcnt lgkmcnt(0)
	s_barrier
	s_and_saveexec_b64 s[0:1], s[36:37]
	s_cbranch_execz .LBB45_95
; %bb.94:
	v_mov_b32_e32 v21, 0
	ds_read_b64 v[21:22], v21 offset:3128
	ds_read_b64 v[23:24], v18
	s_waitcnt lgkmcnt(0)
	v_fma_f64 v[10:11], v[21:22], v[23:24], v[10:11]
.LBB45_95:
	s_or_b64 exec, exec, s[0:1]
	s_barrier
	s_and_saveexec_b64 s[0:1], s[36:37]
; %bb.96:
	ds_write_b64 v18, v[10:11]
; %bb.97:
	s_or_b64 exec, exec, s[0:1]
	s_waitcnt lgkmcnt(0)
	s_barrier
	s_barrier
	s_and_saveexec_b64 s[0:1], s[18:19]
; %bb.98:
	v_xor_b32_e32 v11, 0x80000000, v11
	ds_write_b64 v16, v[10:11] offset:32
; %bb.99:
	s_or_b64 exec, exec, s[0:1]
	v_cmp_gt_u32_e64 s[8:9], 4, v0
	s_and_b64 s[58:59], s[12:13], s[8:9]
	s_waitcnt lgkmcnt(0)
	s_barrier
	s_barrier
	s_and_saveexec_b64 s[0:1], s[58:59]
	s_cbranch_execz .LBB45_101
; %bb.100:
	v_lshlrev_b32_e32 v21, 9, v0
	ds_read_b64 v[10:11], v21 offset:32
	s_movk_i32 s8, 0xfe08
	v_mad_i32_i24 v22, v0, s8, v21
	s_waitcnt lgkmcnt(0)
	ds_write_b64 v22, v[10:11] offset:2048
	ds_read_b64 v[10:11], v21 offset:40
	s_waitcnt lgkmcnt(0)
	ds_write_b64 v22, v[10:11] offset:2560
	ds_read_b64 v[10:11], v21 offset:48
	;; [unrolled: 3-line block ×3, first 2 shown]
	s_waitcnt lgkmcnt(0)
	ds_write_b64 v22, v[10:11] offset:3584
.LBB45_101:
	s_or_b64 exec, exec, s[0:1]
	s_waitcnt lgkmcnt(0)
	s_barrier
	s_and_saveexec_b64 s[0:1], vcc
	s_cbranch_execz .LBB45_103
; %bb.102:
	v_mov_b32_e32 v23, 0
	ds_read_b64 v[21:22], v23 offset:2088
	v_mov_b32_e32 v24, 0x3ff00000
	ds_write_b64 v23, v[23:24] offset:2080
	s_waitcnt lgkmcnt(1)
	ds_write_b128 v23, v[21:24] offset:2592
.LBB45_103:
	s_or_b64 exec, exec, s[0:1]
	v_mov_b32_e32 v10, 0
	v_mov_b32_e32 v11, 0
	s_waitcnt lgkmcnt(0)
	s_barrier
	s_and_saveexec_b64 s[0:1], s[2:3]
	s_cbranch_execz .LBB45_107
; %bb.104:
	v_mul_u32_u24_e32 v21, 0x208, v15
	ds_read_b64 v[10:11], v12 offset:2096
	ds_read_b64 v[21:22], v21 offset:2080
	v_cmp_gt_u32_e64 s[8:9], 2, v14
	s_waitcnt lgkmcnt(0)
	v_fma_f64 v[10:11], v[10:11], v[21:22], 0
	s_and_saveexec_b64 s[10:11], s[8:9]
	s_cbranch_execz .LBB45_106
; %bb.105:
	v_lshlrev_b32_e32 v21, 3, v0
	v_mov_b32_e32 v23, 0
	ds_read_b64 v[21:22], v21 offset:2608
	ds_read_b64 v[23:24], v23 offset:2088
	s_waitcnt lgkmcnt(0)
	v_fma_f64 v[10:11], v[21:22], v[23:24], v[10:11]
.LBB45_106:
	s_or_b64 exec, exec, s[10:11]
	v_xor_b32_e32 v11, 0x80000000, v11
.LBB45_107:
	s_or_b64 exec, exec, s[0:1]
	s_and_saveexec_b64 s[0:1], s[30:31]
; %bb.108:
	ds_write_b64 v13, v[10:11]
; %bb.109:
	s_or_b64 exec, exec, s[0:1]
	s_waitcnt lgkmcnt(0)
	s_barrier
	s_and_saveexec_b64 s[0:1], s[28:29]
	s_cbranch_execz .LBB45_111
; %bb.110:
	v_mov_b32_e32 v21, 0
	ds_read_b64 v[21:22], v21 offset:3128
	ds_read_b64 v[23:24], v13
	s_waitcnt lgkmcnt(0)
	v_fma_f64 v[10:11], v[21:22], v[23:24], v[10:11]
.LBB45_111:
	s_or_b64 exec, exec, s[0:1]
	s_barrier
	s_and_saveexec_b64 s[0:1], s[28:29]
; %bb.112:
	ds_write_b64 v13, v[10:11]
; %bb.113:
	s_or_b64 exec, exec, s[0:1]
	s_waitcnt lgkmcnt(0)
	s_barrier
	s_barrier
	s_and_saveexec_b64 s[0:1], s[2:3]
; %bb.114:
	v_xor_b32_e32 v11, 0x80000000, v11
	ds_write_b64 v12, v[10:11] offset:2096
; %bb.115:
	s_or_b64 exec, exec, s[0:1]
	s_waitcnt lgkmcnt(0)
	s_barrier
	s_barrier
	s_and_saveexec_b64 s[0:1], s[34:35]
	s_cbranch_execz .LBB45_117
; %bb.116:
	v_lshlrev_b32_e32 v21, 3, v0
	s_movk_i32 s8, 0x1f8
	v_mad_u32_u24 v22, v0, s8, v21
	ds_read_b64 v[10:11], v22 offset:2096
	s_waitcnt lgkmcnt(0)
	ds_write_b64 v21, v[10:11] offset:3104
	ds_read_b64 v[10:11], v22 offset:2104
	s_waitcnt lgkmcnt(0)
	ds_write_b64 v21, v[10:11] offset:3616
.LBB45_117:
	s_or_b64 exec, exec, s[0:1]
	s_waitcnt lgkmcnt(0)
	s_barrier
	s_and_saveexec_b64 s[0:1], vcc
	s_cbranch_execz .LBB45_119
; %bb.118:
	v_mov_b32_e32 v23, 0
	ds_read_b64 v[21:22], v23 offset:3128
	v_mov_b32_e32 v24, 0x3ff00000
	ds_write_b64 v23, v[23:24] offset:3120
	s_waitcnt lgkmcnt(1)
	ds_write_b128 v23, v[21:24] offset:3632
.LBB45_119:
	s_or_b64 exec, exec, s[0:1]
	v_and_b32_e32 v24, 7, v0
	v_lshrrev_b32_e32 v25, 3, v14
	v_lshlrev_b32_e32 v22, 3, v24
	v_mov_b32_e32 v10, 0
	v_cmp_lt_u32_e64 s[10:11], 63, v14
	v_cmp_gt_u32_e64 s[8:9], 64, v14
	v_mov_b32_e32 v11, 0
	v_lshl_or_b32 v21, v25, 9, v22
	s_waitcnt lgkmcnt(0)
	s_barrier
	s_and_saveexec_b64 s[0:1], s[8:9]
	s_cbranch_execz .LBB45_129
; %bb.120:
	v_mul_u32_u24_e32 v23, 0x208, v25
	ds_read_b64 v[10:11], v21 offset:64
	ds_read_b64 v[26:27], v23
	v_cmp_gt_u32_e64 s[14:15], 56, v14
	s_waitcnt lgkmcnt(0)
	v_fma_f64 v[10:11], v[10:11], v[26:27], 0
	s_and_saveexec_b64 s[16:17], s[14:15]
	s_cbranch_execnz .LBB45_1172
; %bb.121:
	s_or_b64 exec, exec, s[16:17]
	v_cmp_gt_u32_e64 s[14:15], 48, v14
	s_and_saveexec_b64 s[16:17], s[14:15]
	s_cbranch_execnz .LBB45_1173
.LBB45_122:
	s_or_b64 exec, exec, s[16:17]
	v_cmp_gt_u32_e64 s[14:15], 40, v14
	s_and_saveexec_b64 s[16:17], s[14:15]
	s_cbranch_execnz .LBB45_1174
.LBB45_123:
	s_or_b64 exec, exec, s[16:17]
	v_cmp_gt_u32_e64 s[14:15], 32, v14
	s_and_saveexec_b64 s[16:17], s[14:15]
	s_cbranch_execnz .LBB45_1175
.LBB45_124:
	s_or_b64 exec, exec, s[16:17]
	v_cmp_gt_u32_e64 s[14:15], 24, v14
	s_and_saveexec_b64 s[16:17], s[14:15]
	s_cbranch_execnz .LBB45_1176
.LBB45_125:
	s_or_b64 exec, exec, s[16:17]
	v_cmp_gt_u32_e64 s[14:15], 16, v14
	s_and_saveexec_b64 s[16:17], s[14:15]
	s_cbranch_execnz .LBB45_1177
.LBB45_126:
	s_or_b64 exec, exec, s[16:17]
	v_cmp_gt_u32_e64 s[14:15], 8, v14
	s_and_saveexec_b64 s[16:17], s[14:15]
	s_cbranch_execz .LBB45_128
.LBB45_127:
	v_lshlrev_b32_e32 v23, 3, v0
	v_mov_b32_e32 v28, 0
	ds_read_b64 v[26:27], v23 offset:3648
	ds_read_b64 v[28:29], v28 offset:56
	s_waitcnt lgkmcnt(0)
	v_fma_f64 v[10:11], v[26:27], v[28:29], v[10:11]
.LBB45_128:
	s_or_b64 exec, exec, s[16:17]
	v_xor_b32_e32 v11, 0x80000000, v11
.LBB45_129:
	s_or_b64 exec, exec, s[0:1]
	v_mov_b32_e32 v23, 0x8000
	v_cmp_eq_u32_e64 s[14:15], 0, v24
	s_xor_b64 s[0:1], s[10:11], -1
	v_lshl_add_u32 v23, v25, 3, v23
	s_and_b64 s[60:61], s[14:15], s[0:1]
	s_and_saveexec_b64 s[10:11], s[60:61]
; %bb.130:
	ds_write_b64 v23, v[10:11]
; %bb.131:
	s_or_b64 exec, exec, s[10:11]
	v_cmp_ne_u32_e64 s[10:11], 0, v24
	s_and_b64 s[62:63], s[10:11], s[0:1]
	s_waitcnt lgkmcnt(0)
	s_barrier
	s_and_saveexec_b64 s[10:11], s[62:63]
	s_cbranch_execz .LBB45_133
; %bb.132:
	ds_read_b64 v[26:27], v22 offset:4160
	ds_read_b64 v[28:29], v23
	s_waitcnt lgkmcnt(0)
	v_fma_f64 v[10:11], v[26:27], v[28:29], v[10:11]
.LBB45_133:
	s_or_b64 exec, exec, s[10:11]
	v_cmp_eq_u32_e64 s[10:11], 1, v24
	s_and_b64 s[64:65], s[10:11], s[0:1]
	s_barrier
	s_and_saveexec_b64 s[10:11], s[64:65]
; %bb.134:
	ds_write_b64 v23, v[10:11]
; %bb.135:
	s_or_b64 exec, exec, s[10:11]
	v_cmp_lt_u32_e64 s[10:11], 1, v24
	s_and_b64 s[66:67], s[10:11], s[0:1]
	s_waitcnt lgkmcnt(0)
	s_barrier
	s_and_saveexec_b64 s[10:11], s[66:67]
	s_cbranch_execz .LBB45_137
; %bb.136:
	ds_read_b64 v[26:27], v22 offset:4672
	ds_read_b64 v[28:29], v23
	s_waitcnt lgkmcnt(0)
	v_fma_f64 v[10:11], v[26:27], v[28:29], v[10:11]
.LBB45_137:
	s_or_b64 exec, exec, s[10:11]
	v_cmp_eq_u32_e64 s[10:11], 2, v24
	s_and_b64 s[68:69], s[10:11], s[0:1]
	s_barrier
	s_and_saveexec_b64 s[10:11], s[68:69]
; %bb.138:
	ds_write_b64 v23, v[10:11]
; %bb.139:
	s_or_b64 exec, exec, s[10:11]
	v_cmp_lt_u32_e64 s[10:11], 2, v24
	;; [unrolled: 21-line block ×5, first 2 shown]
	s_and_b64 s[84:85], s[10:11], s[0:1]
	s_waitcnt lgkmcnt(0)
	s_barrier
	s_and_saveexec_b64 s[10:11], s[84:85]
	s_cbranch_execz .LBB45_153
; %bb.152:
	ds_read_b64 v[26:27], v22 offset:6720
	ds_read_b64 v[28:29], v23
	s_waitcnt lgkmcnt(0)
	v_fma_f64 v[10:11], v[26:27], v[28:29], v[10:11]
.LBB45_153:
	s_or_b64 exec, exec, s[10:11]
	v_cmp_eq_u32_e64 s[10:11], 6, v24
	s_and_b64 s[86:87], s[10:11], s[0:1]
	s_barrier
	s_and_saveexec_b64 s[10:11], s[86:87]
; %bb.154:
	ds_write_b64 v23, v[10:11]
; %bb.155:
	s_or_b64 exec, exec, s[10:11]
	v_cmp_eq_u32_e64 s[10:11], 7, v24
	s_and_b64 s[70:71], s[10:11], s[0:1]
	s_waitcnt lgkmcnt(0)
	s_barrier
	s_and_saveexec_b64 s[0:1], s[70:71]
	s_cbranch_execz .LBB45_157
; %bb.156:
	v_mov_b32_e32 v26, 0
	ds_read_b64 v[26:27], v26 offset:7288
	ds_read_b64 v[28:29], v23
	s_waitcnt lgkmcnt(0)
	v_fma_f64 v[10:11], v[26:27], v[28:29], v[10:11]
.LBB45_157:
	s_or_b64 exec, exec, s[0:1]
	s_barrier
	s_and_saveexec_b64 s[0:1], s[70:71]
; %bb.158:
	ds_write_b64 v23, v[10:11]
; %bb.159:
	s_or_b64 exec, exec, s[0:1]
	s_waitcnt lgkmcnt(0)
	s_barrier
	s_barrier
	s_and_saveexec_b64 s[0:1], s[8:9]
; %bb.160:
	v_xor_b32_e32 v11, 0x80000000, v11
	ds_write_b64 v21, v[10:11] offset:64
; %bb.161:
	s_or_b64 exec, exec, s[0:1]
	v_cmp_gt_u32_e64 s[10:11], 8, v0
	s_and_b64 s[88:89], s[12:13], s[10:11]
	s_waitcnt lgkmcnt(0)
	s_barrier
	s_barrier
	s_and_saveexec_b64 s[0:1], s[88:89]
	s_cbranch_execz .LBB45_163
; %bb.162:
	v_lshlrev_b32_e32 v26, 9, v0
	ds_read_b64 v[10:11], v26 offset:64
	s_movk_i32 s10, 0xfe08
	v_mad_i32_i24 v27, v0, s10, v26
	s_waitcnt lgkmcnt(0)
	ds_write_b64 v27, v[10:11] offset:4096
	ds_read_b64 v[10:11], v26 offset:72
	s_waitcnt lgkmcnt(0)
	ds_write_b64 v27, v[10:11] offset:4608
	ds_read_b64 v[10:11], v26 offset:80
	;; [unrolled: 3-line block ×7, first 2 shown]
	s_waitcnt lgkmcnt(0)
	ds_write_b64 v27, v[10:11] offset:7680
.LBB45_163:
	s_or_b64 exec, exec, s[0:1]
	s_waitcnt lgkmcnt(0)
	s_barrier
	s_and_saveexec_b64 s[0:1], vcc
	s_cbranch_execz .LBB45_165
; %bb.164:
	v_mov_b32_e32 v28, 0
	ds_read_b64 v[26:27], v28 offset:4168
	v_mov_b32_e32 v29, 0x3ff00000
	ds_write_b64 v28, v[28:29] offset:4160
	s_waitcnt lgkmcnt(1)
	ds_write_b128 v28, v[26:29] offset:4672
.LBB45_165:
	s_or_b64 exec, exec, s[0:1]
	v_mov_b32_e32 v10, 0
	v_mov_b32_e32 v11, 0
	s_waitcnt lgkmcnt(0)
	s_barrier
	s_and_saveexec_b64 s[0:1], s[2:3]
	s_cbranch_execz .LBB45_169
; %bb.166:
	v_mul_u32_u24_e32 v26, 0x208, v15
	ds_read_b64 v[10:11], v12 offset:4176
	ds_read_b64 v[26:27], v26 offset:4160
	v_cmp_gt_u32_e64 s[10:11], 2, v14
	s_waitcnt lgkmcnt(0)
	v_fma_f64 v[10:11], v[10:11], v[26:27], 0
	s_and_saveexec_b64 s[14:15], s[10:11]
	s_cbranch_execz .LBB45_168
; %bb.167:
	v_lshlrev_b32_e32 v26, 3, v0
	v_mov_b32_e32 v28, 0
	ds_read_b64 v[26:27], v26 offset:4688
	ds_read_b64 v[28:29], v28 offset:4168
	s_waitcnt lgkmcnt(0)
	v_fma_f64 v[10:11], v[26:27], v[28:29], v[10:11]
.LBB45_168:
	s_or_b64 exec, exec, s[14:15]
	v_xor_b32_e32 v11, 0x80000000, v11
.LBB45_169:
	s_or_b64 exec, exec, s[0:1]
	s_and_saveexec_b64 s[0:1], s[30:31]
; %bb.170:
	ds_write_b64 v13, v[10:11]
; %bb.171:
	s_or_b64 exec, exec, s[0:1]
	s_waitcnt lgkmcnt(0)
	s_barrier
	s_and_saveexec_b64 s[0:1], s[28:29]
	s_cbranch_execz .LBB45_173
; %bb.172:
	v_mov_b32_e32 v26, 0
	ds_read_b64 v[26:27], v26 offset:5208
	ds_read_b64 v[28:29], v13
	s_waitcnt lgkmcnt(0)
	v_fma_f64 v[10:11], v[26:27], v[28:29], v[10:11]
.LBB45_173:
	s_or_b64 exec, exec, s[0:1]
	s_barrier
	s_and_saveexec_b64 s[0:1], s[28:29]
; %bb.174:
	ds_write_b64 v13, v[10:11]
; %bb.175:
	s_or_b64 exec, exec, s[0:1]
	s_waitcnt lgkmcnt(0)
	s_barrier
	s_barrier
	s_and_saveexec_b64 s[0:1], s[2:3]
; %bb.176:
	v_xor_b32_e32 v11, 0x80000000, v11
	ds_write_b64 v12, v[10:11] offset:4176
; %bb.177:
	s_or_b64 exec, exec, s[0:1]
	s_waitcnt lgkmcnt(0)
	s_barrier
	s_barrier
	s_and_saveexec_b64 s[0:1], s[34:35]
	s_cbranch_execz .LBB45_179
; %bb.178:
	v_lshlrev_b32_e32 v26, 3, v0
	s_movk_i32 s10, 0x1f8
	v_mad_u32_u24 v27, v0, s10, v26
	ds_read_b64 v[10:11], v27 offset:4176
	s_waitcnt lgkmcnt(0)
	ds_write_b64 v26, v[10:11] offset:5184
	ds_read_b64 v[10:11], v27 offset:4184
	s_waitcnt lgkmcnt(0)
	ds_write_b64 v26, v[10:11] offset:5696
.LBB45_179:
	s_or_b64 exec, exec, s[0:1]
	s_waitcnt lgkmcnt(0)
	s_barrier
	s_and_saveexec_b64 s[0:1], vcc
	s_cbranch_execz .LBB45_181
; %bb.180:
	v_mov_b32_e32 v28, 0
	ds_read_b64 v[26:27], v28 offset:5208
	v_mov_b32_e32 v29, 0x3ff00000
	ds_write_b64 v28, v[28:29] offset:5200
	s_waitcnt lgkmcnt(1)
	ds_write_b128 v28, v[26:29] offset:5712
.LBB45_181:
	s_or_b64 exec, exec, s[0:1]
	v_mov_b32_e32 v10, 0
	v_mov_b32_e32 v11, 0
	s_waitcnt lgkmcnt(0)
	s_barrier
	s_and_saveexec_b64 s[0:1], s[18:19]
	s_cbranch_execz .LBB45_187
; %bb.182:
	v_mul_u32_u24_e32 v26, 0x208, v20
	ds_read_b64 v[10:11], v16 offset:4192
	ds_read_b64 v[27:28], v26 offset:4160
	v_cmp_gt_u32_e64 s[10:11], 12, v14
	s_waitcnt lgkmcnt(0)
	v_fma_f64 v[10:11], v[10:11], v[27:28], 0
	s_and_saveexec_b64 s[14:15], s[10:11]
	s_cbranch_execnz .LBB45_1178
; %bb.183:
	s_or_b64 exec, exec, s[14:15]
	v_cmp_gt_u32_e64 s[10:11], 8, v14
	s_and_saveexec_b64 s[14:15], s[10:11]
	s_cbranch_execnz .LBB45_1179
.LBB45_184:
	s_or_b64 exec, exec, s[14:15]
	v_cmp_gt_u32_e64 s[10:11], 4, v14
	s_and_saveexec_b64 s[14:15], s[10:11]
	s_cbranch_execz .LBB45_186
.LBB45_185:
	v_lshlrev_b32_e32 v26, 3, v0
	v_mov_b32_e32 v28, 0
	ds_read_b64 v[26:27], v26 offset:5728
	ds_read_b64 v[28:29], v28 offset:4184
	s_waitcnt lgkmcnt(0)
	v_fma_f64 v[10:11], v[26:27], v[28:29], v[10:11]
.LBB45_186:
	s_or_b64 exec, exec, s[14:15]
	v_xor_b32_e32 v11, 0x80000000, v11
.LBB45_187:
	s_or_b64 exec, exec, s[0:1]
	s_and_saveexec_b64 s[0:1], s[38:39]
; %bb.188:
	ds_write_b64 v18, v[10:11]
; %bb.189:
	s_or_b64 exec, exec, s[0:1]
	s_waitcnt lgkmcnt(0)
	s_barrier
	s_and_saveexec_b64 s[0:1], s[42:43]
	s_cbranch_execz .LBB45_191
; %bb.190:
	ds_read_b64 v[26:27], v17 offset:6240
	ds_read_b64 v[28:29], v18
	s_waitcnt lgkmcnt(0)
	v_fma_f64 v[10:11], v[26:27], v[28:29], v[10:11]
.LBB45_191:
	s_or_b64 exec, exec, s[0:1]
	s_barrier
	s_and_saveexec_b64 s[0:1], s[52:53]
; %bb.192:
	ds_write_b64 v18, v[10:11]
; %bb.193:
	s_or_b64 exec, exec, s[0:1]
	s_waitcnt lgkmcnt(0)
	s_barrier
	s_and_saveexec_b64 s[0:1], s[54:55]
	s_cbranch_execz .LBB45_195
; %bb.194:
	ds_read_b64 v[26:27], v17 offset:6752
	ds_read_b64 v[28:29], v18
	s_waitcnt lgkmcnt(0)
	v_fma_f64 v[10:11], v[26:27], v[28:29], v[10:11]
.LBB45_195:
	s_or_b64 exec, exec, s[0:1]
	s_barrier
	s_and_saveexec_b64 s[0:1], s[56:57]
; %bb.196:
	ds_write_b64 v18, v[10:11]
; %bb.197:
	s_or_b64 exec, exec, s[0:1]
	s_waitcnt lgkmcnt(0)
	s_barrier
	s_and_saveexec_b64 s[0:1], s[36:37]
	s_cbranch_execz .LBB45_199
; %bb.198:
	v_mov_b32_e32 v26, 0
	ds_read_b64 v[26:27], v26 offset:7288
	ds_read_b64 v[28:29], v18
	s_waitcnt lgkmcnt(0)
	v_fma_f64 v[10:11], v[26:27], v[28:29], v[10:11]
.LBB45_199:
	s_or_b64 exec, exec, s[0:1]
	s_barrier
	s_and_saveexec_b64 s[0:1], s[36:37]
; %bb.200:
	ds_write_b64 v18, v[10:11]
; %bb.201:
	s_or_b64 exec, exec, s[0:1]
	s_waitcnt lgkmcnt(0)
	s_barrier
	s_barrier
	s_and_saveexec_b64 s[0:1], s[18:19]
; %bb.202:
	v_xor_b32_e32 v11, 0x80000000, v11
	ds_write_b64 v16, v[10:11] offset:4192
; %bb.203:
	s_or_b64 exec, exec, s[0:1]
	s_waitcnt lgkmcnt(0)
	s_barrier
	s_barrier
	s_and_saveexec_b64 s[0:1], s[58:59]
	s_cbranch_execz .LBB45_205
; %bb.204:
	v_lshlrev_b32_e32 v26, 9, v0
	ds_read_b64 v[10:11], v26 offset:4192
	s_movk_i32 s10, 0xfe08
	v_mad_i32_i24 v27, v0, s10, v26
	s_waitcnt lgkmcnt(0)
	ds_write_b64 v27, v[10:11] offset:6208
	ds_read_b64 v[10:11], v26 offset:4200
	s_waitcnt lgkmcnt(0)
	ds_write_b64 v27, v[10:11] offset:6720
	ds_read_b64 v[10:11], v26 offset:4208
	;; [unrolled: 3-line block ×3, first 2 shown]
	s_waitcnt lgkmcnt(0)
	ds_write_b64 v27, v[10:11] offset:7744
.LBB45_205:
	s_or_b64 exec, exec, s[0:1]
	s_waitcnt lgkmcnt(0)
	s_barrier
	s_and_saveexec_b64 s[0:1], vcc
	s_cbranch_execz .LBB45_207
; %bb.206:
	v_mov_b32_e32 v28, 0
	ds_read_b64 v[26:27], v28 offset:6248
	v_mov_b32_e32 v29, 0x3ff00000
	ds_write_b64 v28, v[28:29] offset:6240
	s_waitcnt lgkmcnt(1)
	ds_write_b128 v28, v[26:29] offset:6752
.LBB45_207:
	s_or_b64 exec, exec, s[0:1]
	v_mov_b32_e32 v10, 0
	v_mov_b32_e32 v11, 0
	s_waitcnt lgkmcnt(0)
	s_barrier
	s_and_saveexec_b64 s[0:1], s[2:3]
	s_cbranch_execz .LBB45_211
; %bb.208:
	v_mul_u32_u24_e32 v26, 0x208, v15
	ds_read_b64 v[10:11], v12 offset:6256
	ds_read_b64 v[26:27], v26 offset:6240
	v_cmp_gt_u32_e64 s[10:11], 2, v14
	s_waitcnt lgkmcnt(0)
	v_fma_f64 v[10:11], v[10:11], v[26:27], 0
	s_and_saveexec_b64 s[14:15], s[10:11]
	s_cbranch_execz .LBB45_210
; %bb.209:
	v_lshlrev_b32_e32 v26, 3, v0
	v_mov_b32_e32 v28, 0
	ds_read_b64 v[26:27], v26 offset:6768
	ds_read_b64 v[28:29], v28 offset:6248
	s_waitcnt lgkmcnt(0)
	v_fma_f64 v[10:11], v[26:27], v[28:29], v[10:11]
.LBB45_210:
	s_or_b64 exec, exec, s[14:15]
	v_xor_b32_e32 v11, 0x80000000, v11
.LBB45_211:
	s_or_b64 exec, exec, s[0:1]
	s_and_saveexec_b64 s[0:1], s[30:31]
; %bb.212:
	ds_write_b64 v13, v[10:11]
; %bb.213:
	s_or_b64 exec, exec, s[0:1]
	s_waitcnt lgkmcnt(0)
	s_barrier
	s_and_saveexec_b64 s[0:1], s[28:29]
	s_cbranch_execz .LBB45_215
; %bb.214:
	v_mov_b32_e32 v26, 0
	ds_read_b64 v[26:27], v26 offset:7288
	ds_read_b64 v[28:29], v13
	s_waitcnt lgkmcnt(0)
	v_fma_f64 v[10:11], v[26:27], v[28:29], v[10:11]
.LBB45_215:
	s_or_b64 exec, exec, s[0:1]
	s_barrier
	s_and_saveexec_b64 s[0:1], s[28:29]
; %bb.216:
	ds_write_b64 v13, v[10:11]
; %bb.217:
	s_or_b64 exec, exec, s[0:1]
	s_waitcnt lgkmcnt(0)
	s_barrier
	s_barrier
	s_and_saveexec_b64 s[0:1], s[2:3]
; %bb.218:
	v_xor_b32_e32 v11, 0x80000000, v11
	ds_write_b64 v12, v[10:11] offset:6256
; %bb.219:
	s_or_b64 exec, exec, s[0:1]
	s_waitcnt lgkmcnt(0)
	s_barrier
	s_barrier
	s_and_saveexec_b64 s[0:1], s[34:35]
	s_cbranch_execz .LBB45_221
; %bb.220:
	v_lshlrev_b32_e32 v26, 3, v0
	s_movk_i32 s10, 0x1f8
	v_mad_u32_u24 v27, v0, s10, v26
	ds_read_b64 v[10:11], v27 offset:6256
	s_waitcnt lgkmcnt(0)
	ds_write_b64 v26, v[10:11] offset:7264
	ds_read_b64 v[10:11], v27 offset:6264
	s_waitcnt lgkmcnt(0)
	ds_write_b64 v26, v[10:11] offset:7776
.LBB45_221:
	s_or_b64 exec, exec, s[0:1]
	s_waitcnt lgkmcnt(0)
	s_barrier
	s_and_saveexec_b64 s[0:1], vcc
	s_cbranch_execz .LBB45_223
; %bb.222:
	v_mov_b32_e32 v28, 0
	ds_read_b64 v[26:27], v28 offset:7288
	v_mov_b32_e32 v29, 0x3ff00000
	ds_write_b64 v28, v[28:29] offset:7280
	s_waitcnt lgkmcnt(1)
	ds_write_b128 v28, v[26:29] offset:7792
.LBB45_223:
	s_or_b64 exec, exec, s[0:1]
	v_lshrrev_b32_e32 v30, 4, v14
	v_and_b32_e32 v27, 15, v0
	s_movk_i32 s0, 0xff
	v_lshlrev_b32_e32 v29, 6, v30
	v_cmp_lt_u32_e64 s[14:15], s0, v14
	s_movk_i32 s0, 0x100
	v_or_b32_e32 v26, v29, v27
	v_mov_b32_e32 v10, 0
	v_cmp_gt_u32_e64 s[10:11], s0, v14
	v_mov_b32_e32 v11, 0
	v_lshlrev_b32_e32 v26, 3, v26
	s_waitcnt lgkmcnt(0)
	s_barrier
	s_and_saveexec_b64 s[0:1], s[10:11]
	s_cbranch_execz .LBB45_251
; %bb.224:
	v_mul_u32_u24_e32 v28, 0x208, v30
	ds_read_b64 v[10:11], v26 offset:128
	ds_read_b64 v[31:32], v28
	s_movk_i32 s16, 0xf0
	v_cmp_gt_u32_e64 s[16:17], s16, v14
	s_waitcnt lgkmcnt(0)
	v_fma_f64 v[10:11], v[10:11], v[31:32], 0
	s_and_saveexec_b64 s[20:21], s[16:17]
	s_cbranch_execz .LBB45_226
; %bb.225:
	v_lshlrev_b32_e32 v31, 3, v30
	v_sub_u32_e32 v31, v28, v31
	v_lshl_add_u32 v31, v27, 3, v31
	ds_read_b64 v[31:32], v31 offset:640
	ds_read_b64 v[33:34], v28 offset:8
	s_waitcnt lgkmcnt(0)
	v_fma_f64 v[10:11], v[31:32], v[33:34], v[10:11]
.LBB45_226:
	s_or_b64 exec, exec, s[20:21]
	s_movk_i32 s16, 0xe0
	v_cmp_gt_u32_e64 s[16:17], s16, v14
	s_and_saveexec_b64 s[20:21], s[16:17]
	s_cbranch_execz .LBB45_228
; %bb.227:
	v_lshlrev_b32_e32 v31, 3, v30
	v_sub_u32_e32 v31, v28, v31
	v_lshl_add_u32 v31, v27, 3, v31
	ds_read_b64 v[31:32], v31 offset:1152
	ds_read_b64 v[33:34], v28 offset:16
	s_waitcnt lgkmcnt(0)
	v_fma_f64 v[10:11], v[31:32], v[33:34], v[10:11]
.LBB45_228:
	s_or_b64 exec, exec, s[20:21]
	s_movk_i32 s16, 0xd0
	v_cmp_gt_u32_e64 s[16:17], s16, v14
	;; [unrolled: 14-line block ×7, first 2 shown]
	s_and_saveexec_b64 s[20:21], s[16:17]
	s_cbranch_execz .LBB45_240
; %bb.239:
	ds_read_b64 v[31:32], v26 offset:4224
	ds_read_b64 v[33:34], v28 offset:64
	s_waitcnt lgkmcnt(0)
	v_fma_f64 v[10:11], v[31:32], v[33:34], v[10:11]
.LBB45_240:
	s_or_b64 exec, exec, s[20:21]
	s_movk_i32 s16, 0x70
	v_cmp_gt_u32_e64 s[16:17], s16, v14
	s_and_saveexec_b64 s[20:21], s[16:17]
	s_cbranch_execz .LBB45_242
; %bb.241:
	v_lshlrev_b32_e32 v31, 3, v30
	v_sub_u32_e32 v31, v28, v31
	v_lshl_add_u32 v31, v27, 3, v31
	ds_read_b64 v[31:32], v31 offset:4736
	ds_read_b64 v[33:34], v28 offset:72
	s_waitcnt lgkmcnt(0)
	v_fma_f64 v[10:11], v[31:32], v[33:34], v[10:11]
.LBB45_242:
	s_or_b64 exec, exec, s[20:21]
	s_movk_i32 s16, 0x60
	v_cmp_gt_u32_e64 s[16:17], s16, v14
	s_and_saveexec_b64 s[20:21], s[16:17]
	s_cbranch_execz .LBB45_244
; %bb.243:
	v_lshlrev_b32_e32 v31, 3, v27
	v_lshl_add_u32 v31, v29, 3, v31
	ds_read_b64 v[31:32], v31 offset:5248
	ds_read_b64 v[33:34], v28 offset:80
	s_waitcnt lgkmcnt(0)
	v_fma_f64 v[10:11], v[31:32], v[33:34], v[10:11]
.LBB45_244:
	s_or_b64 exec, exec, s[20:21]
	s_movk_i32 s16, 0x50
	v_cmp_gt_u32_e64 s[16:17], s16, v14
	s_and_saveexec_b64 s[20:21], s[16:17]
	s_cbranch_execnz .LBB45_1180
; %bb.245:
	s_or_b64 exec, exec, s[20:21]
	v_cmp_gt_u32_e64 s[16:17], 64, v14
	s_and_saveexec_b64 s[20:21], s[16:17]
	s_cbranch_execnz .LBB45_1181
.LBB45_246:
	s_or_b64 exec, exec, s[20:21]
	v_cmp_gt_u32_e64 s[16:17], 48, v14
	s_and_saveexec_b64 s[20:21], s[16:17]
	s_cbranch_execnz .LBB45_1182
.LBB45_247:
	s_or_b64 exec, exec, s[20:21]
	v_cmp_gt_u32_e64 s[16:17], 32, v14
	s_and_saveexec_b64 s[20:21], s[16:17]
	s_cbranch_execnz .LBB45_1183
.LBB45_248:
	s_or_b64 exec, exec, s[20:21]
	v_cmp_gt_u32_e64 s[16:17], 16, v14
	s_and_saveexec_b64 s[20:21], s[16:17]
	s_cbranch_execz .LBB45_250
.LBB45_249:
	v_lshlrev_b32_e32 v28, 3, v0
	v_mov_b32_e32 v33, 0
	ds_read_b64 v[31:32], v28 offset:7808
	ds_read_b64 v[33:34], v33 offset:120
	s_waitcnt lgkmcnt(0)
	v_fma_f64 v[10:11], v[31:32], v[33:34], v[10:11]
.LBB45_250:
	s_or_b64 exec, exec, s[20:21]
	v_xor_b32_e32 v11, 0x80000000, v11
.LBB45_251:
	s_or_b64 exec, exec, s[0:1]
	v_mov_b32_e32 v28, 0x8000
	v_lshl_add_u32 v28, v30, 3, v28
	v_cmp_eq_u32_e64 s[16:17], 0, v27
	s_xor_b64 s[20:21], s[14:15], -1
	s_and_b64 s[14:15], s[16:17], s[20:21]
	s_mov_b64 s[0:1], exec
	v_writelane_b32 v40, s14, 3
	v_writelane_b32 v40, s15, 4
	s_and_b64 s[14:15], s[0:1], s[14:15]
	s_mov_b64 exec, s[14:15]
; %bb.252:
	ds_write_b64 v28, v[10:11]
; %bb.253:
	s_or_b64 exec, exec, s[0:1]
	v_cmp_ne_u32_e64 s[14:15], 0, v27
	s_waitcnt lgkmcnt(0)
	s_barrier
	s_and_b64 s[14:15], s[14:15], s[20:21]
	s_mov_b64 s[0:1], exec
	v_writelane_b32 v40, s14, 5
	v_writelane_b32 v40, s15, 6
	s_and_b64 s[14:15], s[0:1], s[14:15]
	s_mov_b64 exec, s[14:15]
	s_cbranch_execz .LBB45_255
; %bb.254:
	v_lshlrev_b32_e32 v31, 3, v27
	ds_read_b64 v[31:32], v31 offset:8320
	ds_read_b64 v[33:34], v28
	s_waitcnt lgkmcnt(0)
	v_fma_f64 v[10:11], v[31:32], v[33:34], v[10:11]
.LBB45_255:
	s_or_b64 exec, exec, s[0:1]
	v_cmp_eq_u32_e64 s[14:15], 1, v27
	s_barrier
	s_and_b64 s[14:15], s[14:15], s[20:21]
	s_mov_b64 s[0:1], exec
	v_writelane_b32 v40, s14, 7
	v_writelane_b32 v40, s15, 8
	s_and_b64 s[14:15], s[0:1], s[14:15]
	s_mov_b64 exec, s[14:15]
; %bb.256:
	ds_write_b64 v28, v[10:11]
; %bb.257:
	s_or_b64 exec, exec, s[0:1]
	v_cmp_lt_u32_e64 s[14:15], 1, v27
	s_waitcnt lgkmcnt(0)
	s_barrier
	s_and_b64 s[14:15], s[14:15], s[20:21]
	s_mov_b64 s[0:1], exec
	v_writelane_b32 v40, s14, 9
	v_writelane_b32 v40, s15, 10
	s_and_b64 s[14:15], s[0:1], s[14:15]
	s_mov_b64 exec, s[14:15]
	s_cbranch_execz .LBB45_259
; %bb.258:
	v_lshlrev_b32_e32 v31, 3, v27
	ds_read_b64 v[31:32], v31 offset:8832
	ds_read_b64 v[33:34], v28
	s_waitcnt lgkmcnt(0)
	v_fma_f64 v[10:11], v[31:32], v[33:34], v[10:11]
.LBB45_259:
	s_or_b64 exec, exec, s[0:1]
	v_cmp_eq_u32_e64 s[14:15], 2, v27
	s_barrier
	s_and_b64 s[14:15], s[14:15], s[20:21]
	s_mov_b64 s[0:1], exec
	v_writelane_b32 v40, s14, 11
	v_writelane_b32 v40, s15, 12
	s_and_b64 s[14:15], s[0:1], s[14:15]
	s_mov_b64 exec, s[14:15]
; %bb.260:
	ds_write_b64 v28, v[10:11]
; %bb.261:
	s_or_b64 exec, exec, s[0:1]
	v_cmp_lt_u32_e64 s[14:15], 2, v27
	;; [unrolled: 30-line block ×13, first 2 shown]
	s_waitcnt lgkmcnt(0)
	s_barrier
	s_and_b64 s[14:15], s[14:15], s[20:21]
	s_mov_b64 s[0:1], exec
	v_writelane_b32 v40, s14, 57
	v_writelane_b32 v40, s15, 58
	s_and_b64 s[14:15], s[0:1], s[14:15]
	s_mov_b64 exec, s[14:15]
	s_cbranch_execz .LBB45_307
; %bb.306:
	v_lshlrev_b32_e32 v31, 3, v27
	ds_read_b64 v[31:32], v31 offset:14976
	ds_read_b64 v[33:34], v28
	s_waitcnt lgkmcnt(0)
	v_fma_f64 v[10:11], v[31:32], v[33:34], v[10:11]
.LBB45_307:
	s_or_b64 exec, exec, s[0:1]
	v_cmp_eq_u32_e64 s[14:15], 14, v27
	s_barrier
	s_and_b64 s[14:15], s[14:15], s[20:21]
	s_mov_b64 s[0:1], exec
	v_writelane_b32 v40, s14, 59
	v_writelane_b32 v40, s15, 60
	s_and_b64 s[14:15], s[0:1], s[14:15]
	s_mov_b64 exec, s[14:15]
; %bb.308:
	ds_write_b64 v28, v[10:11]
; %bb.309:
	s_or_b64 exec, exec, s[0:1]
	v_cmp_eq_u32_e64 s[14:15], 15, v27
	s_and_b64 s[92:93], s[14:15], s[20:21]
	s_waitcnt lgkmcnt(0)
	s_barrier
	s_and_saveexec_b64 s[0:1], s[92:93]
	s_cbranch_execz .LBB45_311
; %bb.310:
	v_mov_b32_e32 v31, 0
	ds_read_b64 v[31:32], v31 offset:15608
	ds_read_b64 v[33:34], v28
	s_waitcnt lgkmcnt(0)
	v_fma_f64 v[10:11], v[31:32], v[33:34], v[10:11]
.LBB45_311:
	s_or_b64 exec, exec, s[0:1]
	s_barrier
	s_and_saveexec_b64 s[0:1], s[92:93]
; %bb.312:
	ds_write_b64 v28, v[10:11]
; %bb.313:
	s_or_b64 exec, exec, s[0:1]
	s_waitcnt lgkmcnt(0)
	s_barrier
	s_barrier
	s_and_saveexec_b64 s[0:1], s[10:11]
; %bb.314:
	v_xor_b32_e32 v11, 0x80000000, v11
	ds_write_b64 v26, v[10:11] offset:128
; %bb.315:
	s_or_b64 exec, exec, s[0:1]
	v_cmp_gt_u32_e64 s[14:15], 16, v0
	s_waitcnt lgkmcnt(0)
	s_barrier
	s_barrier
	s_and_b64 s[0:1], s[12:13], s[14:15]
	s_mov_b64 s[14:15], exec
	v_writelane_b32 v40, s0, 61
	v_writelane_b32 v40, s1, 62
	s_and_b64 s[0:1], s[14:15], s[0:1]
	s_mov_b64 exec, s[0:1]
	s_cbranch_execz .LBB45_317
; %bb.316:
	v_lshlrev_b32_e32 v31, 9, v0
	ds_read_b64 v[10:11], v31 offset:128
	s_movk_i32 s0, 0xfe08
	v_mad_i32_i24 v32, v0, s0, v31
	s_waitcnt lgkmcnt(0)
	ds_write_b64 v32, v[10:11] offset:8192
	ds_read_b64 v[10:11], v31 offset:136
	s_waitcnt lgkmcnt(0)
	ds_write_b64 v32, v[10:11] offset:8704
	ds_read_b64 v[10:11], v31 offset:144
	;; [unrolled: 3-line block ×15, first 2 shown]
	s_waitcnt lgkmcnt(0)
	ds_write_b64 v32, v[10:11] offset:15872
.LBB45_317:
	s_or_b64 exec, exec, s[14:15]
	s_waitcnt lgkmcnt(0)
	s_barrier
	s_and_saveexec_b64 s[14:15], vcc
	s_cbranch_execz .LBB45_319
; %bb.318:
	v_mov_b32_e32 v33, 0
	ds_read_b64 v[31:32], v33 offset:8328
	v_mov_b32_e32 v34, 0x3ff00000
	ds_write_b64 v33, v[33:34] offset:8320
	s_waitcnt lgkmcnt(1)
	ds_write_b128 v33, v[31:34] offset:8832
.LBB45_319:
	s_or_b64 exec, exec, s[14:15]
	v_mov_b32_e32 v10, 0
	v_mov_b32_e32 v11, 0
	s_waitcnt lgkmcnt(0)
	s_barrier
	s_and_saveexec_b64 s[16:17], s[2:3]
	s_cbranch_execz .LBB45_323
; %bb.320:
	v_mul_u32_u24_e32 v31, 0x208, v15
	ds_read_b64 v[10:11], v12 offset:8336
	ds_read_b64 v[31:32], v31 offset:8320
	v_cmp_gt_u32_e64 s[14:15], 2, v14
	s_waitcnt lgkmcnt(0)
	v_fma_f64 v[10:11], v[10:11], v[31:32], 0
	s_and_saveexec_b64 s[20:21], s[14:15]
	s_cbranch_execz .LBB45_322
; %bb.321:
	v_lshlrev_b32_e32 v31, 3, v0
	v_mov_b32_e32 v33, 0
	ds_read_b64 v[31:32], v31 offset:8848
	ds_read_b64 v[33:34], v33 offset:8328
	s_waitcnt lgkmcnt(0)
	v_fma_f64 v[10:11], v[31:32], v[33:34], v[10:11]
.LBB45_322:
	s_or_b64 exec, exec, s[20:21]
	v_xor_b32_e32 v11, 0x80000000, v11
.LBB45_323:
	s_or_b64 exec, exec, s[16:17]
	s_and_saveexec_b64 s[0:1], s[30:31]
; %bb.324:
	ds_write_b64 v13, v[10:11]
; %bb.325:
	s_or_b64 exec, exec, s[0:1]
	s_waitcnt lgkmcnt(0)
	s_barrier
	s_and_saveexec_b64 s[0:1], s[28:29]
	s_cbranch_execz .LBB45_327
; %bb.326:
	v_mov_b32_e32 v31, 0
	ds_read_b64 v[31:32], v31 offset:9368
	ds_read_b64 v[33:34], v13
	s_waitcnt lgkmcnt(0)
	v_fma_f64 v[10:11], v[31:32], v[33:34], v[10:11]
.LBB45_327:
	s_or_b64 exec, exec, s[0:1]
	s_barrier
	s_and_saveexec_b64 s[0:1], s[28:29]
; %bb.328:
	ds_write_b64 v13, v[10:11]
; %bb.329:
	s_or_b64 exec, exec, s[0:1]
	s_waitcnt lgkmcnt(0)
	s_barrier
	s_barrier
	s_and_saveexec_b64 s[0:1], s[2:3]
; %bb.330:
	v_xor_b32_e32 v11, 0x80000000, v11
	ds_write_b64 v12, v[10:11] offset:8336
; %bb.331:
	s_or_b64 exec, exec, s[0:1]
	s_waitcnt lgkmcnt(0)
	s_barrier
	s_barrier
	s_and_saveexec_b64 s[14:15], s[34:35]
	s_cbranch_execz .LBB45_333
; %bb.332:
	v_lshlrev_b32_e32 v31, 3, v0
	s_movk_i32 s0, 0x1f8
	v_mad_u32_u24 v32, v0, s0, v31
	ds_read_b64 v[10:11], v32 offset:8336
	s_waitcnt lgkmcnt(0)
	ds_write_b64 v31, v[10:11] offset:9344
	ds_read_b64 v[10:11], v32 offset:8344
	s_waitcnt lgkmcnt(0)
	ds_write_b64 v31, v[10:11] offset:9856
.LBB45_333:
	s_or_b64 exec, exec, s[14:15]
	s_waitcnt lgkmcnt(0)
	s_barrier
	s_and_saveexec_b64 s[14:15], vcc
	s_cbranch_execz .LBB45_335
; %bb.334:
	v_mov_b32_e32 v33, 0
	ds_read_b64 v[31:32], v33 offset:9368
	v_mov_b32_e32 v34, 0x3ff00000
	ds_write_b64 v33, v[33:34] offset:9360
	s_waitcnt lgkmcnt(1)
	ds_write_b128 v33, v[31:34] offset:9872
.LBB45_335:
	s_or_b64 exec, exec, s[14:15]
	v_mov_b32_e32 v10, 0
	v_mov_b32_e32 v11, 0
	s_waitcnt lgkmcnt(0)
	s_barrier
	s_and_saveexec_b64 s[16:17], s[18:19]
	s_cbranch_execz .LBB45_341
; %bb.336:
	v_mul_u32_u24_e32 v31, 0x208, v20
	ds_read_b64 v[10:11], v16 offset:8352
	ds_read_b64 v[32:33], v31 offset:8320
	v_cmp_gt_u32_e64 s[14:15], 12, v14
	s_waitcnt lgkmcnt(0)
	v_fma_f64 v[10:11], v[10:11], v[32:33], 0
	s_and_saveexec_b64 s[20:21], s[14:15]
	s_cbranch_execnz .LBB45_1184
; %bb.337:
	s_or_b64 exec, exec, s[20:21]
	v_cmp_gt_u32_e64 s[14:15], 8, v14
	s_and_saveexec_b64 s[0:1], s[14:15]
	s_cbranch_execnz .LBB45_1185
.LBB45_338:
	s_or_b64 exec, exec, s[0:1]
	v_cmp_gt_u32_e64 s[14:15], 4, v14
	s_and_saveexec_b64 s[20:21], s[14:15]
	s_cbranch_execz .LBB45_340
.LBB45_339:
	v_lshlrev_b32_e32 v31, 3, v0
	v_mov_b32_e32 v33, 0
	ds_read_b64 v[31:32], v31 offset:9888
	ds_read_b64 v[33:34], v33 offset:8344
	s_waitcnt lgkmcnt(0)
	v_fma_f64 v[10:11], v[31:32], v[33:34], v[10:11]
.LBB45_340:
	s_or_b64 exec, exec, s[20:21]
	v_xor_b32_e32 v11, 0x80000000, v11
.LBB45_341:
	s_or_b64 exec, exec, s[16:17]
	s_and_saveexec_b64 s[0:1], s[38:39]
; %bb.342:
	ds_write_b64 v18, v[10:11]
; %bb.343:
	s_or_b64 exec, exec, s[0:1]
	s_waitcnt lgkmcnt(0)
	s_barrier
	s_and_saveexec_b64 s[0:1], s[42:43]
	s_cbranch_execz .LBB45_345
; %bb.344:
	ds_read_b64 v[31:32], v17 offset:10400
	ds_read_b64 v[33:34], v18
	s_waitcnt lgkmcnt(0)
	v_fma_f64 v[10:11], v[31:32], v[33:34], v[10:11]
.LBB45_345:
	s_or_b64 exec, exec, s[0:1]
	s_barrier
	s_and_saveexec_b64 s[0:1], s[52:53]
; %bb.346:
	ds_write_b64 v18, v[10:11]
; %bb.347:
	s_or_b64 exec, exec, s[0:1]
	s_waitcnt lgkmcnt(0)
	s_barrier
	s_and_saveexec_b64 s[0:1], s[54:55]
	s_cbranch_execz .LBB45_349
; %bb.348:
	ds_read_b64 v[31:32], v17 offset:10912
	ds_read_b64 v[33:34], v18
	s_waitcnt lgkmcnt(0)
	v_fma_f64 v[10:11], v[31:32], v[33:34], v[10:11]
.LBB45_349:
	s_or_b64 exec, exec, s[0:1]
	s_barrier
	s_and_saveexec_b64 s[0:1], s[56:57]
; %bb.350:
	ds_write_b64 v18, v[10:11]
; %bb.351:
	s_or_b64 exec, exec, s[0:1]
	s_waitcnt lgkmcnt(0)
	s_barrier
	s_and_saveexec_b64 s[0:1], s[36:37]
	s_cbranch_execz .LBB45_353
; %bb.352:
	v_mov_b32_e32 v31, 0
	ds_read_b64 v[31:32], v31 offset:11448
	ds_read_b64 v[33:34], v18
	s_waitcnt lgkmcnt(0)
	v_fma_f64 v[10:11], v[31:32], v[33:34], v[10:11]
.LBB45_353:
	s_or_b64 exec, exec, s[0:1]
	s_barrier
	s_and_saveexec_b64 s[0:1], s[36:37]
; %bb.354:
	ds_write_b64 v18, v[10:11]
; %bb.355:
	s_or_b64 exec, exec, s[0:1]
	s_waitcnt lgkmcnt(0)
	s_barrier
	s_barrier
	s_and_saveexec_b64 s[0:1], s[18:19]
; %bb.356:
	v_xor_b32_e32 v11, 0x80000000, v11
	ds_write_b64 v16, v[10:11] offset:8352
; %bb.357:
	s_or_b64 exec, exec, s[0:1]
	s_waitcnt lgkmcnt(0)
	s_barrier
	s_barrier
	s_and_saveexec_b64 s[14:15], s[58:59]
	s_cbranch_execz .LBB45_359
; %bb.358:
	v_lshlrev_b32_e32 v31, 9, v0
	ds_read_b64 v[10:11], v31 offset:8352
	s_movk_i32 s0, 0xfe08
	v_mad_i32_i24 v32, v0, s0, v31
	s_waitcnt lgkmcnt(0)
	ds_write_b64 v32, v[10:11] offset:10368
	ds_read_b64 v[10:11], v31 offset:8360
	s_waitcnt lgkmcnt(0)
	ds_write_b64 v32, v[10:11] offset:10880
	ds_read_b64 v[10:11], v31 offset:8368
	;; [unrolled: 3-line block ×3, first 2 shown]
	s_waitcnt lgkmcnt(0)
	ds_write_b64 v32, v[10:11] offset:11904
.LBB45_359:
	s_or_b64 exec, exec, s[14:15]
	s_waitcnt lgkmcnt(0)
	s_barrier
	s_and_saveexec_b64 s[14:15], vcc
	s_cbranch_execz .LBB45_361
; %bb.360:
	v_mov_b32_e32 v33, 0
	ds_read_b64 v[31:32], v33 offset:10408
	v_mov_b32_e32 v34, 0x3ff00000
	ds_write_b64 v33, v[33:34] offset:10400
	s_waitcnt lgkmcnt(1)
	ds_write_b128 v33, v[31:34] offset:10912
.LBB45_361:
	s_or_b64 exec, exec, s[14:15]
	v_mov_b32_e32 v10, 0
	v_mov_b32_e32 v11, 0
	s_waitcnt lgkmcnt(0)
	s_barrier
	s_and_saveexec_b64 s[16:17], s[2:3]
	s_cbranch_execz .LBB45_365
; %bb.362:
	v_mul_u32_u24_e32 v31, 0x208, v15
	ds_read_b64 v[10:11], v12 offset:10416
	ds_read_b64 v[31:32], v31 offset:10400
	v_cmp_gt_u32_e64 s[14:15], 2, v14
	s_waitcnt lgkmcnt(0)
	v_fma_f64 v[10:11], v[10:11], v[31:32], 0
	s_and_saveexec_b64 s[20:21], s[14:15]
	s_cbranch_execz .LBB45_364
; %bb.363:
	v_lshlrev_b32_e32 v31, 3, v0
	v_mov_b32_e32 v33, 0
	ds_read_b64 v[31:32], v31 offset:10928
	ds_read_b64 v[33:34], v33 offset:10408
	s_waitcnt lgkmcnt(0)
	v_fma_f64 v[10:11], v[31:32], v[33:34], v[10:11]
.LBB45_364:
	s_or_b64 exec, exec, s[20:21]
	v_xor_b32_e32 v11, 0x80000000, v11
.LBB45_365:
	s_or_b64 exec, exec, s[16:17]
	s_and_saveexec_b64 s[0:1], s[30:31]
; %bb.366:
	ds_write_b64 v13, v[10:11]
; %bb.367:
	s_or_b64 exec, exec, s[0:1]
	s_waitcnt lgkmcnt(0)
	s_barrier
	s_and_saveexec_b64 s[0:1], s[28:29]
	s_cbranch_execz .LBB45_369
; %bb.368:
	v_mov_b32_e32 v31, 0
	ds_read_b64 v[31:32], v31 offset:11448
	ds_read_b64 v[33:34], v13
	s_waitcnt lgkmcnt(0)
	v_fma_f64 v[10:11], v[31:32], v[33:34], v[10:11]
.LBB45_369:
	s_or_b64 exec, exec, s[0:1]
	s_barrier
	s_and_saveexec_b64 s[0:1], s[28:29]
; %bb.370:
	ds_write_b64 v13, v[10:11]
; %bb.371:
	s_or_b64 exec, exec, s[0:1]
	s_waitcnt lgkmcnt(0)
	s_barrier
	s_barrier
	s_and_saveexec_b64 s[0:1], s[2:3]
; %bb.372:
	v_xor_b32_e32 v11, 0x80000000, v11
	ds_write_b64 v12, v[10:11] offset:10416
; %bb.373:
	s_or_b64 exec, exec, s[0:1]
	s_waitcnt lgkmcnt(0)
	s_barrier
	s_barrier
	s_and_saveexec_b64 s[14:15], s[34:35]
	s_cbranch_execz .LBB45_375
; %bb.374:
	v_lshlrev_b32_e32 v31, 3, v0
	s_movk_i32 s0, 0x1f8
	v_mad_u32_u24 v32, v0, s0, v31
	ds_read_b64 v[10:11], v32 offset:10416
	s_waitcnt lgkmcnt(0)
	ds_write_b64 v31, v[10:11] offset:11424
	ds_read_b64 v[10:11], v32 offset:10424
	s_waitcnt lgkmcnt(0)
	ds_write_b64 v31, v[10:11] offset:11936
.LBB45_375:
	s_or_b64 exec, exec, s[14:15]
	s_waitcnt lgkmcnt(0)
	s_barrier
	s_and_saveexec_b64 s[14:15], vcc
	s_cbranch_execz .LBB45_377
; %bb.376:
	v_mov_b32_e32 v33, 0
	ds_read_b64 v[31:32], v33 offset:11448
	v_mov_b32_e32 v34, 0x3ff00000
	ds_write_b64 v33, v[33:34] offset:11440
	s_waitcnt lgkmcnt(1)
	ds_write_b128 v33, v[31:34] offset:11952
.LBB45_377:
	s_or_b64 exec, exec, s[14:15]
	v_mov_b32_e32 v10, 0
	v_mov_b32_e32 v11, 0
	s_waitcnt lgkmcnt(0)
	s_barrier
	s_and_saveexec_b64 s[16:17], s[8:9]
	s_cbranch_execz .LBB45_387
; %bb.378:
	v_mul_u32_u24_e32 v31, 0x208, v25
	ds_read_b64 v[10:11], v21 offset:8384
	ds_read_b64 v[32:33], v31 offset:8320
	v_cmp_gt_u32_e64 s[14:15], 56, v14
	s_waitcnt lgkmcnt(0)
	v_fma_f64 v[10:11], v[10:11], v[32:33], 0
	s_and_saveexec_b64 s[20:21], s[14:15]
	s_cbranch_execnz .LBB45_1186
; %bb.379:
	s_or_b64 exec, exec, s[20:21]
	v_cmp_gt_u32_e64 s[14:15], 48, v14
	s_and_saveexec_b64 s[20:21], s[14:15]
	s_cbranch_execnz .LBB45_1187
.LBB45_380:
	s_or_b64 exec, exec, s[20:21]
	v_cmp_gt_u32_e64 s[14:15], 40, v14
	s_and_saveexec_b64 s[20:21], s[14:15]
	s_cbranch_execnz .LBB45_1188
.LBB45_381:
	s_or_b64 exec, exec, s[20:21]
	v_cmp_gt_u32_e64 s[14:15], 32, v14
	s_and_saveexec_b64 s[0:1], s[14:15]
	s_cbranch_execnz .LBB45_1189
.LBB45_382:
	s_or_b64 exec, exec, s[0:1]
	v_cmp_gt_u32_e64 s[14:15], 24, v14
	s_and_saveexec_b64 s[20:21], s[14:15]
	s_cbranch_execnz .LBB45_1190
.LBB45_383:
	s_or_b64 exec, exec, s[20:21]
	v_cmp_gt_u32_e64 s[14:15], 16, v14
	s_and_saveexec_b64 s[0:1], s[14:15]
	s_cbranch_execnz .LBB45_1191
.LBB45_384:
	s_or_b64 exec, exec, s[0:1]
	v_cmp_gt_u32_e64 s[14:15], 8, v14
	s_and_saveexec_b64 s[20:21], s[14:15]
	s_cbranch_execz .LBB45_386
.LBB45_385:
	v_lshlrev_b32_e32 v31, 3, v0
	v_mov_b32_e32 v33, 0
	ds_read_b64 v[31:32], v31 offset:11968
	ds_read_b64 v[33:34], v33 offset:8376
	s_waitcnt lgkmcnt(0)
	v_fma_f64 v[10:11], v[31:32], v[33:34], v[10:11]
.LBB45_386:
	s_or_b64 exec, exec, s[20:21]
	v_xor_b32_e32 v11, 0x80000000, v11
.LBB45_387:
	s_or_b64 exec, exec, s[16:17]
	s_and_saveexec_b64 s[0:1], s[60:61]
; %bb.388:
	ds_write_b64 v23, v[10:11]
; %bb.389:
	s_or_b64 exec, exec, s[0:1]
	s_waitcnt lgkmcnt(0)
	s_barrier
	s_and_saveexec_b64 s[0:1], s[62:63]
	s_cbranch_execz .LBB45_391
; %bb.390:
	ds_read_b64 v[31:32], v22 offset:12480
	ds_read_b64 v[33:34], v23
	s_waitcnt lgkmcnt(0)
	v_fma_f64 v[10:11], v[31:32], v[33:34], v[10:11]
.LBB45_391:
	s_or_b64 exec, exec, s[0:1]
	s_barrier
	s_and_saveexec_b64 s[0:1], s[64:65]
; %bb.392:
	ds_write_b64 v23, v[10:11]
; %bb.393:
	s_or_b64 exec, exec, s[0:1]
	s_waitcnt lgkmcnt(0)
	s_barrier
	s_and_saveexec_b64 s[0:1], s[66:67]
	s_cbranch_execz .LBB45_395
; %bb.394:
	ds_read_b64 v[31:32], v22 offset:12992
	ds_read_b64 v[33:34], v23
	s_waitcnt lgkmcnt(0)
	v_fma_f64 v[10:11], v[31:32], v[33:34], v[10:11]
.LBB45_395:
	s_or_b64 exec, exec, s[0:1]
	s_barrier
	;; [unrolled: 17-line block ×6, first 2 shown]
	s_and_saveexec_b64 s[0:1], s[86:87]
; %bb.412:
	ds_write_b64 v23, v[10:11]
; %bb.413:
	s_or_b64 exec, exec, s[0:1]
	s_waitcnt lgkmcnt(0)
	s_barrier
	s_and_saveexec_b64 s[0:1], s[70:71]
	s_cbranch_execz .LBB45_415
; %bb.414:
	v_mov_b32_e32 v31, 0
	ds_read_b64 v[31:32], v31 offset:15608
	ds_read_b64 v[33:34], v23
	s_waitcnt lgkmcnt(0)
	v_fma_f64 v[10:11], v[31:32], v[33:34], v[10:11]
.LBB45_415:
	s_or_b64 exec, exec, s[0:1]
	s_barrier
	s_and_saveexec_b64 s[0:1], s[70:71]
; %bb.416:
	ds_write_b64 v23, v[10:11]
; %bb.417:
	s_or_b64 exec, exec, s[0:1]
	s_waitcnt lgkmcnt(0)
	s_barrier
	s_barrier
	s_and_saveexec_b64 s[0:1], s[8:9]
; %bb.418:
	v_xor_b32_e32 v11, 0x80000000, v11
	ds_write_b64 v21, v[10:11] offset:8384
; %bb.419:
	s_or_b64 exec, exec, s[0:1]
	s_waitcnt lgkmcnt(0)
	s_barrier
	s_barrier
	s_and_saveexec_b64 s[14:15], s[88:89]
	s_cbranch_execz .LBB45_421
; %bb.420:
	v_lshlrev_b32_e32 v31, 9, v0
	ds_read_b64 v[10:11], v31 offset:8384
	s_movk_i32 s0, 0xfe08
	v_mad_i32_i24 v32, v0, s0, v31
	s_waitcnt lgkmcnt(0)
	ds_write_b64 v32, v[10:11] offset:12416
	ds_read_b64 v[10:11], v31 offset:8392
	s_waitcnt lgkmcnt(0)
	ds_write_b64 v32, v[10:11] offset:12928
	ds_read_b64 v[10:11], v31 offset:8400
	;; [unrolled: 3-line block ×7, first 2 shown]
	s_waitcnt lgkmcnt(0)
	ds_write_b64 v32, v[10:11] offset:16000
.LBB45_421:
	s_or_b64 exec, exec, s[14:15]
	s_waitcnt lgkmcnt(0)
	s_barrier
	s_and_saveexec_b64 s[14:15], vcc
	s_cbranch_execz .LBB45_423
; %bb.422:
	v_mov_b32_e32 v33, 0
	ds_read_b64 v[31:32], v33 offset:12488
	v_mov_b32_e32 v34, 0x3ff00000
	ds_write_b64 v33, v[33:34] offset:12480
	s_waitcnt lgkmcnt(1)
	ds_write_b128 v33, v[31:34] offset:12992
.LBB45_423:
	s_or_b64 exec, exec, s[14:15]
	v_mov_b32_e32 v10, 0
	v_mov_b32_e32 v11, 0
	s_waitcnt lgkmcnt(0)
	s_barrier
	s_and_saveexec_b64 s[16:17], s[2:3]
	s_cbranch_execz .LBB45_427
; %bb.424:
	v_mul_u32_u24_e32 v31, 0x208, v15
	ds_read_b64 v[10:11], v12 offset:12496
	ds_read_b64 v[31:32], v31 offset:12480
	v_cmp_gt_u32_e64 s[14:15], 2, v14
	s_waitcnt lgkmcnt(0)
	v_fma_f64 v[10:11], v[10:11], v[31:32], 0
	s_and_saveexec_b64 s[20:21], s[14:15]
	s_cbranch_execz .LBB45_426
; %bb.425:
	v_lshlrev_b32_e32 v31, 3, v0
	v_mov_b32_e32 v33, 0
	ds_read_b64 v[31:32], v31 offset:13008
	ds_read_b64 v[33:34], v33 offset:12488
	s_waitcnt lgkmcnt(0)
	v_fma_f64 v[10:11], v[31:32], v[33:34], v[10:11]
.LBB45_426:
	s_or_b64 exec, exec, s[20:21]
	v_xor_b32_e32 v11, 0x80000000, v11
.LBB45_427:
	s_or_b64 exec, exec, s[16:17]
	s_and_saveexec_b64 s[0:1], s[30:31]
; %bb.428:
	ds_write_b64 v13, v[10:11]
; %bb.429:
	s_or_b64 exec, exec, s[0:1]
	s_waitcnt lgkmcnt(0)
	s_barrier
	s_and_saveexec_b64 s[0:1], s[28:29]
	s_cbranch_execz .LBB45_431
; %bb.430:
	v_mov_b32_e32 v31, 0
	ds_read_b64 v[31:32], v31 offset:13528
	ds_read_b64 v[33:34], v13
	s_waitcnt lgkmcnt(0)
	v_fma_f64 v[10:11], v[31:32], v[33:34], v[10:11]
.LBB45_431:
	s_or_b64 exec, exec, s[0:1]
	s_barrier
	s_and_saveexec_b64 s[0:1], s[28:29]
; %bb.432:
	ds_write_b64 v13, v[10:11]
; %bb.433:
	s_or_b64 exec, exec, s[0:1]
	s_waitcnt lgkmcnt(0)
	s_barrier
	s_barrier
	s_and_saveexec_b64 s[0:1], s[2:3]
; %bb.434:
	v_xor_b32_e32 v11, 0x80000000, v11
	ds_write_b64 v12, v[10:11] offset:12496
; %bb.435:
	s_or_b64 exec, exec, s[0:1]
	s_waitcnt lgkmcnt(0)
	s_barrier
	s_barrier
	s_and_saveexec_b64 s[14:15], s[34:35]
	s_cbranch_execz .LBB45_437
; %bb.436:
	v_lshlrev_b32_e32 v31, 3, v0
	s_movk_i32 s0, 0x1f8
	v_mad_u32_u24 v32, v0, s0, v31
	ds_read_b64 v[10:11], v32 offset:12496
	s_waitcnt lgkmcnt(0)
	ds_write_b64 v31, v[10:11] offset:13504
	ds_read_b64 v[10:11], v32 offset:12504
	s_waitcnt lgkmcnt(0)
	ds_write_b64 v31, v[10:11] offset:14016
.LBB45_437:
	s_or_b64 exec, exec, s[14:15]
	s_waitcnt lgkmcnt(0)
	s_barrier
	s_and_saveexec_b64 s[14:15], vcc
	s_cbranch_execz .LBB45_439
; %bb.438:
	v_mov_b32_e32 v33, 0
	ds_read_b64 v[31:32], v33 offset:13528
	v_mov_b32_e32 v34, 0x3ff00000
	ds_write_b64 v33, v[33:34] offset:13520
	s_waitcnt lgkmcnt(1)
	ds_write_b128 v33, v[31:34] offset:14032
.LBB45_439:
	s_or_b64 exec, exec, s[14:15]
	v_mov_b32_e32 v10, 0
	v_mov_b32_e32 v11, 0
	s_waitcnt lgkmcnt(0)
	s_barrier
	s_and_saveexec_b64 s[16:17], s[18:19]
	s_cbranch_execz .LBB45_445
; %bb.440:
	v_mul_u32_u24_e32 v31, 0x208, v20
	ds_read_b64 v[10:11], v16 offset:12512
	ds_read_b64 v[32:33], v31 offset:12480
	v_cmp_gt_u32_e64 s[14:15], 12, v14
	s_waitcnt lgkmcnt(0)
	v_fma_f64 v[10:11], v[10:11], v[32:33], 0
	s_and_saveexec_b64 s[20:21], s[14:15]
	s_cbranch_execnz .LBB45_1192
; %bb.441:
	s_or_b64 exec, exec, s[20:21]
	v_cmp_gt_u32_e64 s[14:15], 8, v14
	s_and_saveexec_b64 s[0:1], s[14:15]
	s_cbranch_execnz .LBB45_1193
.LBB45_442:
	s_or_b64 exec, exec, s[0:1]
	v_cmp_gt_u32_e64 s[14:15], 4, v14
	s_and_saveexec_b64 s[20:21], s[14:15]
	s_cbranch_execz .LBB45_444
.LBB45_443:
	v_lshlrev_b32_e32 v31, 3, v0
	v_mov_b32_e32 v33, 0
	ds_read_b64 v[31:32], v31 offset:14048
	ds_read_b64 v[33:34], v33 offset:12504
	s_waitcnt lgkmcnt(0)
	v_fma_f64 v[10:11], v[31:32], v[33:34], v[10:11]
.LBB45_444:
	s_or_b64 exec, exec, s[20:21]
	v_xor_b32_e32 v11, 0x80000000, v11
.LBB45_445:
	s_or_b64 exec, exec, s[16:17]
	s_and_saveexec_b64 s[0:1], s[38:39]
; %bb.446:
	ds_write_b64 v18, v[10:11]
; %bb.447:
	s_or_b64 exec, exec, s[0:1]
	s_waitcnt lgkmcnt(0)
	s_barrier
	s_and_saveexec_b64 s[0:1], s[42:43]
	s_cbranch_execz .LBB45_449
; %bb.448:
	ds_read_b64 v[31:32], v17 offset:14560
	ds_read_b64 v[33:34], v18
	s_waitcnt lgkmcnt(0)
	v_fma_f64 v[10:11], v[31:32], v[33:34], v[10:11]
.LBB45_449:
	s_or_b64 exec, exec, s[0:1]
	s_barrier
	s_and_saveexec_b64 s[0:1], s[52:53]
; %bb.450:
	ds_write_b64 v18, v[10:11]
; %bb.451:
	s_or_b64 exec, exec, s[0:1]
	s_waitcnt lgkmcnt(0)
	s_barrier
	s_and_saveexec_b64 s[0:1], s[54:55]
	s_cbranch_execz .LBB45_453
; %bb.452:
	ds_read_b64 v[31:32], v17 offset:15072
	ds_read_b64 v[33:34], v18
	s_waitcnt lgkmcnt(0)
	v_fma_f64 v[10:11], v[31:32], v[33:34], v[10:11]
.LBB45_453:
	s_or_b64 exec, exec, s[0:1]
	s_barrier
	s_and_saveexec_b64 s[0:1], s[56:57]
; %bb.454:
	ds_write_b64 v18, v[10:11]
; %bb.455:
	s_or_b64 exec, exec, s[0:1]
	s_waitcnt lgkmcnt(0)
	s_barrier
	s_and_saveexec_b64 s[0:1], s[36:37]
	s_cbranch_execz .LBB45_457
; %bb.456:
	v_mov_b32_e32 v31, 0
	ds_read_b64 v[31:32], v31 offset:15608
	ds_read_b64 v[33:34], v18
	s_waitcnt lgkmcnt(0)
	v_fma_f64 v[10:11], v[31:32], v[33:34], v[10:11]
.LBB45_457:
	s_or_b64 exec, exec, s[0:1]
	s_barrier
	s_and_saveexec_b64 s[0:1], s[36:37]
; %bb.458:
	ds_write_b64 v18, v[10:11]
; %bb.459:
	s_or_b64 exec, exec, s[0:1]
	s_waitcnt lgkmcnt(0)
	s_barrier
	s_barrier
	s_and_saveexec_b64 s[0:1], s[18:19]
; %bb.460:
	v_xor_b32_e32 v11, 0x80000000, v11
	ds_write_b64 v16, v[10:11] offset:12512
; %bb.461:
	s_or_b64 exec, exec, s[0:1]
	s_waitcnt lgkmcnt(0)
	s_barrier
	s_barrier
	s_and_saveexec_b64 s[14:15], s[58:59]
	s_cbranch_execz .LBB45_463
; %bb.462:
	v_lshlrev_b32_e32 v31, 9, v0
	ds_read_b64 v[10:11], v31 offset:12512
	s_movk_i32 s0, 0xfe08
	v_mad_i32_i24 v32, v0, s0, v31
	s_waitcnt lgkmcnt(0)
	ds_write_b64 v32, v[10:11] offset:14528
	ds_read_b64 v[10:11], v31 offset:12520
	s_waitcnt lgkmcnt(0)
	ds_write_b64 v32, v[10:11] offset:15040
	ds_read_b64 v[10:11], v31 offset:12528
	;; [unrolled: 3-line block ×3, first 2 shown]
	s_waitcnt lgkmcnt(0)
	ds_write_b64 v32, v[10:11] offset:16064
.LBB45_463:
	s_or_b64 exec, exec, s[14:15]
	s_waitcnt lgkmcnt(0)
	s_barrier
	s_and_saveexec_b64 s[14:15], vcc
	s_cbranch_execz .LBB45_465
; %bb.464:
	v_mov_b32_e32 v33, 0
	ds_read_b64 v[31:32], v33 offset:14568
	v_mov_b32_e32 v34, 0x3ff00000
	ds_write_b64 v33, v[33:34] offset:14560
	s_waitcnt lgkmcnt(1)
	ds_write_b128 v33, v[31:34] offset:15072
.LBB45_465:
	s_or_b64 exec, exec, s[14:15]
	v_mov_b32_e32 v10, 0
	v_mov_b32_e32 v11, 0
	s_waitcnt lgkmcnt(0)
	s_barrier
	s_and_saveexec_b64 s[16:17], s[2:3]
	s_cbranch_execz .LBB45_469
; %bb.466:
	v_mul_u32_u24_e32 v31, 0x208, v15
	ds_read_b64 v[10:11], v12 offset:14576
	ds_read_b64 v[31:32], v31 offset:14560
	v_cmp_gt_u32_e64 s[14:15], 2, v14
	s_waitcnt lgkmcnt(0)
	v_fma_f64 v[10:11], v[10:11], v[31:32], 0
	s_and_saveexec_b64 s[20:21], s[14:15]
	s_cbranch_execz .LBB45_468
; %bb.467:
	v_lshlrev_b32_e32 v31, 3, v0
	v_mov_b32_e32 v33, 0
	ds_read_b64 v[31:32], v31 offset:15088
	ds_read_b64 v[33:34], v33 offset:14568
	s_waitcnt lgkmcnt(0)
	v_fma_f64 v[10:11], v[31:32], v[33:34], v[10:11]
.LBB45_468:
	s_or_b64 exec, exec, s[20:21]
	v_xor_b32_e32 v11, 0x80000000, v11
.LBB45_469:
	s_or_b64 exec, exec, s[16:17]
	s_and_saveexec_b64 s[0:1], s[30:31]
; %bb.470:
	ds_write_b64 v13, v[10:11]
; %bb.471:
	s_or_b64 exec, exec, s[0:1]
	s_waitcnt lgkmcnt(0)
	s_barrier
	s_and_saveexec_b64 s[0:1], s[28:29]
	s_cbranch_execz .LBB45_473
; %bb.472:
	v_mov_b32_e32 v31, 0
	ds_read_b64 v[31:32], v31 offset:15608
	ds_read_b64 v[33:34], v13
	s_waitcnt lgkmcnt(0)
	v_fma_f64 v[10:11], v[31:32], v[33:34], v[10:11]
.LBB45_473:
	s_or_b64 exec, exec, s[0:1]
	s_barrier
	s_and_saveexec_b64 s[0:1], s[28:29]
; %bb.474:
	ds_write_b64 v13, v[10:11]
; %bb.475:
	s_or_b64 exec, exec, s[0:1]
	s_waitcnt lgkmcnt(0)
	s_barrier
	s_barrier
	s_and_saveexec_b64 s[0:1], s[2:3]
; %bb.476:
	v_xor_b32_e32 v11, 0x80000000, v11
	ds_write_b64 v12, v[10:11] offset:14576
; %bb.477:
	s_or_b64 exec, exec, s[0:1]
	s_waitcnt lgkmcnt(0)
	s_barrier
	s_barrier
	s_and_saveexec_b64 s[14:15], s[34:35]
	s_cbranch_execz .LBB45_479
; %bb.478:
	v_lshlrev_b32_e32 v31, 3, v0
	s_movk_i32 s0, 0x1f8
	v_mad_u32_u24 v32, v0, s0, v31
	ds_read_b64 v[10:11], v32 offset:14576
	s_waitcnt lgkmcnt(0)
	ds_write_b64 v31, v[10:11] offset:15584
	ds_read_b64 v[10:11], v32 offset:14584
	s_waitcnt lgkmcnt(0)
	ds_write_b64 v31, v[10:11] offset:16096
.LBB45_479:
	s_or_b64 exec, exec, s[14:15]
	s_waitcnt lgkmcnt(0)
	s_barrier
	s_and_saveexec_b64 s[14:15], vcc
	s_cbranch_execz .LBB45_481
; %bb.480:
	v_mov_b32_e32 v33, 0
	ds_read_b64 v[31:32], v33 offset:15608
	v_mov_b32_e32 v34, 0x3ff00000
	ds_write_b64 v33, v[33:34] offset:15600
	s_waitcnt lgkmcnt(1)
	ds_write_b128 v33, v[31:34] offset:16112
.LBB45_481:
	s_or_b64 exec, exec, s[14:15]
	v_and_b32_e32 v33, 31, v0
	s_movk_i32 s0, 0x3ff
	v_lshrrev_b32_e32 v34, 5, v14
	v_cmp_lt_u32_e64 s[16:17], s0, v14
	s_movk_i32 s0, 0x400
	v_lshlrev_b32_e32 v32, 3, v33
	v_mov_b32_e32 v10, 0
	v_cmp_gt_u32_e64 s[14:15], s0, v14
	v_mov_b32_e32 v11, 0
	v_lshl_or_b32 v31, v34, 9, v32
	s_waitcnt lgkmcnt(0)
	s_barrier
	s_and_saveexec_b64 s[94:95], s[14:15]
	s_cbranch_execz .LBB45_543
; %bb.482:
	v_mul_u32_u24_e32 v35, 0x208, v34
	ds_read_b64 v[10:11], v31 offset:256
	ds_read_b64 v[36:37], v35
	s_movk_i32 s0, 0x3e0
	v_cmp_gt_u32_e64 s[20:21], s0, v14
	s_waitcnt lgkmcnt(0)
	v_fma_f64 v[10:11], v[10:11], v[36:37], 0
	s_and_saveexec_b64 s[0:1], s[20:21]
	s_cbranch_execz .LBB45_484
; %bb.483:
	ds_read_b64 v[36:37], v31 offset:768
	ds_read_b64 v[38:39], v35 offset:8
	s_waitcnt lgkmcnt(0)
	v_fma_f64 v[10:11], v[36:37], v[38:39], v[10:11]
.LBB45_484:
	s_or_b64 exec, exec, s[0:1]
	s_movk_i32 s0, 0x3c0
	v_cmp_gt_u32_e64 s[20:21], s0, v14
	s_and_saveexec_b64 s[0:1], s[20:21]
	s_cbranch_execz .LBB45_486
; %bb.485:
	ds_read_b64 v[36:37], v31 offset:1280
	ds_read_b64 v[38:39], v35 offset:16
	s_waitcnt lgkmcnt(0)
	v_fma_f64 v[10:11], v[36:37], v[38:39], v[10:11]
.LBB45_486:
	s_or_b64 exec, exec, s[0:1]
	s_movk_i32 s0, 0x3a0
	v_cmp_gt_u32_e64 s[20:21], s0, v14
	;; [unrolled: 11-line block ×28, first 2 shown]
	s_and_saveexec_b64 s[0:1], s[20:21]
	s_cbranch_execnz .LBB45_1194
; %bb.539:
	s_or_b64 exec, exec, s[0:1]
	v_cmp_gt_u32_e64 s[20:21], 64, v14
	s_and_saveexec_b64 s[0:1], s[20:21]
	s_cbranch_execnz .LBB45_1195
.LBB45_540:
	s_or_b64 exec, exec, s[0:1]
	v_cmp_gt_u32_e64 s[20:21], 32, v14
	s_and_saveexec_b64 s[0:1], s[20:21]
	s_cbranch_execz .LBB45_542
.LBB45_541:
	v_lshlrev_b32_e32 v35, 3, v0
	v_mov_b32_e32 v37, 0
	ds_read_b64 v[35:36], v35 offset:16128
	ds_read_b64 v[37:38], v37 offset:248
	s_waitcnt lgkmcnt(0)
	v_fma_f64 v[10:11], v[35:36], v[37:38], v[10:11]
.LBB45_542:
	s_or_b64 exec, exec, s[0:1]
	v_xor_b32_e32 v11, 0x80000000, v11
.LBB45_543:
	s_or_b64 exec, exec, s[94:95]
	v_mov_b32_e32 v35, 0x8000
	v_cmp_eq_u32_e64 s[20:21], 0, v33
	s_xor_b64 s[94:95], s[16:17], -1
	v_lshl_or_b32 v34, v34, 3, v35
	s_and_b64 s[16:17], s[94:95], s[20:21]
	s_and_saveexec_b64 s[0:1], s[16:17]
; %bb.544:
	ds_write_b64 v34, v[10:11]
; %bb.545:
	s_or_b64 exec, exec, s[0:1]
	v_cmp_ne_u32_e64 s[16:17], 0, v33
	s_and_b64 s[16:17], s[94:95], s[16:17]
	s_waitcnt lgkmcnt(0)
	s_barrier
	s_and_saveexec_b64 s[0:1], s[16:17]
	s_cbranch_execz .LBB45_547
; %bb.546:
	ds_read_b64 v[35:36], v32 offset:16640
	ds_read_b64 v[37:38], v34
	s_waitcnt lgkmcnt(0)
	v_fma_f64 v[10:11], v[35:36], v[37:38], v[10:11]
.LBB45_547:
	s_or_b64 exec, exec, s[0:1]
	v_cmp_eq_u32_e64 s[16:17], 1, v33
	s_and_b64 s[16:17], s[94:95], s[16:17]
	s_barrier
	s_and_saveexec_b64 s[0:1], s[16:17]
; %bb.548:
	ds_write_b64 v34, v[10:11]
; %bb.549:
	s_or_b64 exec, exec, s[0:1]
	v_cmp_lt_u32_e64 s[16:17], 1, v33
	s_and_b64 s[16:17], s[94:95], s[16:17]
	s_waitcnt lgkmcnt(0)
	s_barrier
	s_and_saveexec_b64 s[0:1], s[16:17]
	s_cbranch_execz .LBB45_551
; %bb.550:
	ds_read_b64 v[35:36], v32 offset:17152
	ds_read_b64 v[37:38], v34
	s_waitcnt lgkmcnt(0)
	v_fma_f64 v[10:11], v[35:36], v[37:38], v[10:11]
.LBB45_551:
	s_or_b64 exec, exec, s[0:1]
	v_cmp_eq_u32_e64 s[16:17], 2, v33
	s_and_b64 s[16:17], s[94:95], s[16:17]
	s_barrier
	s_and_saveexec_b64 s[0:1], s[16:17]
; %bb.552:
	ds_write_b64 v34, v[10:11]
; %bb.553:
	s_or_b64 exec, exec, s[0:1]
	v_cmp_lt_u32_e64 s[16:17], 2, v33
	;; [unrolled: 21-line block ×29, first 2 shown]
	s_and_b64 s[16:17], s[94:95], s[16:17]
	s_waitcnt lgkmcnt(0)
	s_barrier
	s_and_saveexec_b64 s[0:1], s[16:17]
	s_cbranch_execz .LBB45_663
; %bb.662:
	ds_read_b64 v[35:36], v32 offset:31488
	ds_read_b64 v[37:38], v34
	s_waitcnt lgkmcnt(0)
	v_fma_f64 v[10:11], v[35:36], v[37:38], v[10:11]
.LBB45_663:
	s_or_b64 exec, exec, s[0:1]
	v_cmp_eq_u32_e64 s[16:17], 30, v33
	s_and_b64 s[16:17], s[94:95], s[16:17]
	s_barrier
	s_and_saveexec_b64 s[0:1], s[16:17]
; %bb.664:
	ds_write_b64 v34, v[10:11]
; %bb.665:
	s_or_b64 exec, exec, s[0:1]
	v_cmp_eq_u32_e64 s[16:17], 31, v33
	s_and_b64 s[16:17], s[94:95], s[16:17]
	s_waitcnt lgkmcnt(0)
	s_barrier
	s_and_saveexec_b64 s[0:1], s[16:17]
	s_cbranch_execz .LBB45_667
; %bb.666:
	ds_read_b64 v[32:33], v32 offset:32000
	ds_read_b64 v[35:36], v34
	s_waitcnt lgkmcnt(0)
	v_fma_f64 v[10:11], v[32:33], v[35:36], v[10:11]
.LBB45_667:
	s_or_b64 exec, exec, s[0:1]
	s_barrier
	s_and_saveexec_b64 s[0:1], s[16:17]
; %bb.668:
	ds_write_b64 v34, v[10:11]
; %bb.669:
	s_or_b64 exec, exec, s[0:1]
	s_waitcnt lgkmcnt(0)
	s_barrier
	s_barrier
	s_and_saveexec_b64 s[0:1], s[14:15]
; %bb.670:
	v_xor_b32_e32 v11, 0x80000000, v11
	ds_write_b64 v31, v[10:11] offset:256
; %bb.671:
	s_or_b64 exec, exec, s[0:1]
	v_cmp_gt_u32_e64 s[14:15], 32, v0
	s_and_b64 s[0:1], s[12:13], s[14:15]
	s_waitcnt lgkmcnt(0)
	s_barrier
	s_barrier
	s_and_saveexec_b64 s[12:13], s[0:1]
	s_cbranch_execz .LBB45_673
; %bb.672:
	v_lshlrev_b32_e32 v31, 9, v0
	ds_read_b64 v[10:11], v31 offset:256
	s_movk_i32 s0, 0xfe08
	v_mad_i32_i24 v32, v0, s0, v31
	s_waitcnt lgkmcnt(0)
	ds_write_b64 v32, v[10:11] offset:16384
	ds_read_b64 v[10:11], v31 offset:264
	s_waitcnt lgkmcnt(0)
	ds_write_b64 v32, v[10:11] offset:16896
	ds_read_b64 v[10:11], v31 offset:272
	;; [unrolled: 3-line block ×31, first 2 shown]
	s_waitcnt lgkmcnt(0)
	ds_write_b64 v32, v[10:11] offset:32256
.LBB45_673:
	s_or_b64 exec, exec, s[12:13]
	s_waitcnt lgkmcnt(0)
	s_barrier
	s_and_saveexec_b64 s[12:13], vcc
	s_cbranch_execz .LBB45_675
; %bb.674:
	v_mov_b32_e32 v33, 0
	ds_read_b64 v[31:32], v33 offset:16648
	v_mov_b32_e32 v34, 0x3ff00000
	ds_write_b64 v33, v[33:34] offset:16640
	s_waitcnt lgkmcnt(1)
	ds_write_b128 v33, v[31:34] offset:17152
.LBB45_675:
	s_or_b64 exec, exec, s[12:13]
	v_mov_b32_e32 v10, 0
	v_mov_b32_e32 v11, 0
	s_waitcnt lgkmcnt(0)
	s_barrier
	s_and_saveexec_b64 s[14:15], s[2:3]
	s_cbranch_execz .LBB45_679
; %bb.676:
	v_mul_u32_u24_e32 v31, 0x208, v15
	ds_read_b64 v[10:11], v12 offset:16656
	ds_read_b64 v[31:32], v31 offset:16640
	v_cmp_gt_u32_e64 s[12:13], 2, v14
	s_waitcnt lgkmcnt(0)
	v_fma_f64 v[10:11], v[10:11], v[31:32], 0
	s_and_saveexec_b64 s[16:17], s[12:13]
	s_cbranch_execz .LBB45_678
; %bb.677:
	v_lshlrev_b32_e32 v31, 3, v0
	v_mov_b32_e32 v33, 0
	ds_read_b64 v[31:32], v31 offset:17168
	ds_read_b64 v[33:34], v33 offset:16648
	s_waitcnt lgkmcnt(0)
	v_fma_f64 v[10:11], v[31:32], v[33:34], v[10:11]
.LBB45_678:
	s_or_b64 exec, exec, s[16:17]
	v_xor_b32_e32 v11, 0x80000000, v11
.LBB45_679:
	s_or_b64 exec, exec, s[14:15]
	s_and_saveexec_b64 s[0:1], s[30:31]
; %bb.680:
	ds_write_b64 v13, v[10:11]
; %bb.681:
	s_or_b64 exec, exec, s[0:1]
	s_waitcnt lgkmcnt(0)
	s_barrier
	s_and_saveexec_b64 s[0:1], s[28:29]
	s_cbranch_execz .LBB45_683
; %bb.682:
	v_mov_b32_e32 v31, 0
	ds_read_b64 v[31:32], v31 offset:17688
	ds_read_b64 v[33:34], v13
	s_waitcnt lgkmcnt(0)
	v_fma_f64 v[10:11], v[31:32], v[33:34], v[10:11]
.LBB45_683:
	s_or_b64 exec, exec, s[0:1]
	s_barrier
	s_and_saveexec_b64 s[0:1], s[28:29]
; %bb.684:
	ds_write_b64 v13, v[10:11]
; %bb.685:
	s_or_b64 exec, exec, s[0:1]
	s_waitcnt lgkmcnt(0)
	s_barrier
	s_barrier
	s_and_saveexec_b64 s[0:1], s[2:3]
; %bb.686:
	v_xor_b32_e32 v11, 0x80000000, v11
	ds_write_b64 v12, v[10:11] offset:16656
; %bb.687:
	s_or_b64 exec, exec, s[0:1]
	s_waitcnt lgkmcnt(0)
	s_barrier
	s_barrier
	s_and_saveexec_b64 s[0:1], s[34:35]
	s_cbranch_execz .LBB45_689
; %bb.688:
	v_lshlrev_b32_e32 v31, 3, v0
	s_movk_i32 s12, 0x1f8
	v_mad_u32_u24 v32, v0, s12, v31
	ds_read_b64 v[10:11], v32 offset:16656
	s_waitcnt lgkmcnt(0)
	ds_write_b64 v31, v[10:11] offset:17664
	ds_read_b64 v[10:11], v32 offset:16664
	s_waitcnt lgkmcnt(0)
	ds_write_b64 v31, v[10:11] offset:18176
.LBB45_689:
	s_or_b64 exec, exec, s[0:1]
	s_waitcnt lgkmcnt(0)
	s_barrier
	s_and_saveexec_b64 s[12:13], vcc
	s_cbranch_execz .LBB45_691
; %bb.690:
	v_mov_b32_e32 v33, 0
	ds_read_b64 v[31:32], v33 offset:17688
	v_mov_b32_e32 v34, 0x3ff00000
	ds_write_b64 v33, v[33:34] offset:17680
	s_waitcnt lgkmcnt(1)
	ds_write_b128 v33, v[31:34] offset:18192
.LBB45_691:
	s_or_b64 exec, exec, s[12:13]
	v_mov_b32_e32 v10, 0
	v_mov_b32_e32 v11, 0
	s_waitcnt lgkmcnt(0)
	s_barrier
	s_and_saveexec_b64 s[14:15], s[18:19]
	s_cbranch_execz .LBB45_697
; %bb.692:
	v_mul_u32_u24_e32 v31, 0x208, v20
	ds_read_b64 v[10:11], v16 offset:16672
	ds_read_b64 v[32:33], v31 offset:16640
	v_cmp_gt_u32_e64 s[12:13], 12, v14
	s_waitcnt lgkmcnt(0)
	v_fma_f64 v[10:11], v[10:11], v[32:33], 0
	s_and_saveexec_b64 s[16:17], s[12:13]
	s_cbranch_execnz .LBB45_1196
; %bb.693:
	s_or_b64 exec, exec, s[16:17]
	v_cmp_gt_u32_e64 s[12:13], 8, v14
	s_and_saveexec_b64 s[0:1], s[12:13]
	s_cbranch_execnz .LBB45_1197
.LBB45_694:
	s_or_b64 exec, exec, s[0:1]
	v_cmp_gt_u32_e64 s[12:13], 4, v14
	s_and_saveexec_b64 s[0:1], s[12:13]
	s_cbranch_execz .LBB45_696
.LBB45_695:
	v_lshlrev_b32_e32 v31, 3, v0
	v_mov_b32_e32 v33, 0
	ds_read_b64 v[31:32], v31 offset:18208
	ds_read_b64 v[33:34], v33 offset:16664
	s_waitcnt lgkmcnt(0)
	v_fma_f64 v[10:11], v[31:32], v[33:34], v[10:11]
.LBB45_696:
	s_or_b64 exec, exec, s[0:1]
	v_xor_b32_e32 v11, 0x80000000, v11
.LBB45_697:
	s_or_b64 exec, exec, s[14:15]
	s_and_saveexec_b64 s[0:1], s[38:39]
; %bb.698:
	ds_write_b64 v18, v[10:11]
; %bb.699:
	s_or_b64 exec, exec, s[0:1]
	s_waitcnt lgkmcnt(0)
	s_barrier
	s_and_saveexec_b64 s[0:1], s[42:43]
	s_cbranch_execz .LBB45_701
; %bb.700:
	ds_read_b64 v[31:32], v17 offset:18720
	ds_read_b64 v[33:34], v18
	s_waitcnt lgkmcnt(0)
	v_fma_f64 v[10:11], v[31:32], v[33:34], v[10:11]
.LBB45_701:
	s_or_b64 exec, exec, s[0:1]
	s_barrier
	s_and_saveexec_b64 s[0:1], s[52:53]
; %bb.702:
	ds_write_b64 v18, v[10:11]
; %bb.703:
	s_or_b64 exec, exec, s[0:1]
	s_waitcnt lgkmcnt(0)
	s_barrier
	s_and_saveexec_b64 s[0:1], s[54:55]
	s_cbranch_execz .LBB45_705
; %bb.704:
	ds_read_b64 v[31:32], v17 offset:19232
	ds_read_b64 v[33:34], v18
	s_waitcnt lgkmcnt(0)
	v_fma_f64 v[10:11], v[31:32], v[33:34], v[10:11]
.LBB45_705:
	s_or_b64 exec, exec, s[0:1]
	s_barrier
	s_and_saveexec_b64 s[0:1], s[56:57]
; %bb.706:
	ds_write_b64 v18, v[10:11]
; %bb.707:
	s_or_b64 exec, exec, s[0:1]
	s_waitcnt lgkmcnt(0)
	s_barrier
	s_and_saveexec_b64 s[0:1], s[36:37]
	s_cbranch_execz .LBB45_709
; %bb.708:
	v_mov_b32_e32 v31, 0
	ds_read_b64 v[31:32], v31 offset:19768
	ds_read_b64 v[33:34], v18
	s_waitcnt lgkmcnt(0)
	v_fma_f64 v[10:11], v[31:32], v[33:34], v[10:11]
.LBB45_709:
	s_or_b64 exec, exec, s[0:1]
	s_barrier
	s_and_saveexec_b64 s[0:1], s[36:37]
; %bb.710:
	ds_write_b64 v18, v[10:11]
; %bb.711:
	s_or_b64 exec, exec, s[0:1]
	s_waitcnt lgkmcnt(0)
	s_barrier
	s_barrier
	s_and_saveexec_b64 s[0:1], s[18:19]
; %bb.712:
	v_xor_b32_e32 v11, 0x80000000, v11
	ds_write_b64 v16, v[10:11] offset:16672
; %bb.713:
	s_or_b64 exec, exec, s[0:1]
	s_waitcnt lgkmcnt(0)
	s_barrier
	s_barrier
	s_and_saveexec_b64 s[12:13], s[58:59]
	s_cbranch_execz .LBB45_715
; %bb.714:
	v_lshlrev_b32_e32 v31, 9, v0
	ds_read_b64 v[10:11], v31 offset:16672
	s_movk_i32 s0, 0xfe08
	v_mad_i32_i24 v32, v0, s0, v31
	s_waitcnt lgkmcnt(0)
	ds_write_b64 v32, v[10:11] offset:18688
	ds_read_b64 v[10:11], v31 offset:16680
	s_waitcnt lgkmcnt(0)
	ds_write_b64 v32, v[10:11] offset:19200
	ds_read_b64 v[10:11], v31 offset:16688
	;; [unrolled: 3-line block ×3, first 2 shown]
	s_waitcnt lgkmcnt(0)
	ds_write_b64 v32, v[10:11] offset:20224
.LBB45_715:
	s_or_b64 exec, exec, s[12:13]
	s_waitcnt lgkmcnt(0)
	s_barrier
	s_and_saveexec_b64 s[12:13], vcc
	s_cbranch_execz .LBB45_717
; %bb.716:
	v_mov_b32_e32 v33, 0
	ds_read_b64 v[31:32], v33 offset:18728
	v_mov_b32_e32 v34, 0x3ff00000
	ds_write_b64 v33, v[33:34] offset:18720
	s_waitcnt lgkmcnt(1)
	ds_write_b128 v33, v[31:34] offset:19232
.LBB45_717:
	s_or_b64 exec, exec, s[12:13]
	v_mov_b32_e32 v10, 0
	v_mov_b32_e32 v11, 0
	s_waitcnt lgkmcnt(0)
	s_barrier
	s_and_saveexec_b64 s[14:15], s[2:3]
	s_cbranch_execz .LBB45_721
; %bb.718:
	v_mul_u32_u24_e32 v31, 0x208, v15
	ds_read_b64 v[10:11], v12 offset:18736
	ds_read_b64 v[31:32], v31 offset:18720
	v_cmp_gt_u32_e64 s[12:13], 2, v14
	s_waitcnt lgkmcnt(0)
	v_fma_f64 v[10:11], v[10:11], v[31:32], 0
	s_and_saveexec_b64 s[16:17], s[12:13]
	s_cbranch_execz .LBB45_720
; %bb.719:
	v_lshlrev_b32_e32 v31, 3, v0
	v_mov_b32_e32 v33, 0
	ds_read_b64 v[31:32], v31 offset:19248
	ds_read_b64 v[33:34], v33 offset:18728
	s_waitcnt lgkmcnt(0)
	v_fma_f64 v[10:11], v[31:32], v[33:34], v[10:11]
.LBB45_720:
	s_or_b64 exec, exec, s[16:17]
	v_xor_b32_e32 v11, 0x80000000, v11
.LBB45_721:
	s_or_b64 exec, exec, s[14:15]
	s_and_saveexec_b64 s[0:1], s[30:31]
; %bb.722:
	ds_write_b64 v13, v[10:11]
; %bb.723:
	s_or_b64 exec, exec, s[0:1]
	s_waitcnt lgkmcnt(0)
	s_barrier
	s_and_saveexec_b64 s[0:1], s[28:29]
	s_cbranch_execz .LBB45_725
; %bb.724:
	v_mov_b32_e32 v31, 0
	ds_read_b64 v[31:32], v31 offset:19768
	ds_read_b64 v[33:34], v13
	s_waitcnt lgkmcnt(0)
	v_fma_f64 v[10:11], v[31:32], v[33:34], v[10:11]
.LBB45_725:
	s_or_b64 exec, exec, s[0:1]
	s_barrier
	s_and_saveexec_b64 s[0:1], s[28:29]
; %bb.726:
	ds_write_b64 v13, v[10:11]
; %bb.727:
	s_or_b64 exec, exec, s[0:1]
	s_waitcnt lgkmcnt(0)
	s_barrier
	s_barrier
	s_and_saveexec_b64 s[0:1], s[2:3]
; %bb.728:
	v_xor_b32_e32 v11, 0x80000000, v11
	ds_write_b64 v12, v[10:11] offset:18736
; %bb.729:
	s_or_b64 exec, exec, s[0:1]
	s_waitcnt lgkmcnt(0)
	s_barrier
	s_barrier
	s_and_saveexec_b64 s[0:1], s[34:35]
	s_cbranch_execz .LBB45_731
; %bb.730:
	v_lshlrev_b32_e32 v31, 3, v0
	s_movk_i32 s12, 0x1f8
	v_mad_u32_u24 v32, v0, s12, v31
	ds_read_b64 v[10:11], v32 offset:18736
	s_waitcnt lgkmcnt(0)
	ds_write_b64 v31, v[10:11] offset:19744
	ds_read_b64 v[10:11], v32 offset:18744
	s_waitcnt lgkmcnt(0)
	ds_write_b64 v31, v[10:11] offset:20256
.LBB45_731:
	s_or_b64 exec, exec, s[0:1]
	s_waitcnt lgkmcnt(0)
	s_barrier
	s_and_saveexec_b64 s[12:13], vcc
	s_cbranch_execz .LBB45_733
; %bb.732:
	v_mov_b32_e32 v33, 0
	ds_read_b64 v[31:32], v33 offset:19768
	v_mov_b32_e32 v34, 0x3ff00000
	ds_write_b64 v33, v[33:34] offset:19760
	s_waitcnt lgkmcnt(1)
	ds_write_b128 v33, v[31:34] offset:20272
.LBB45_733:
	s_or_b64 exec, exec, s[12:13]
	v_mov_b32_e32 v10, 0
	v_mov_b32_e32 v11, 0
	s_waitcnt lgkmcnt(0)
	s_barrier
	s_and_saveexec_b64 s[14:15], s[8:9]
	s_cbranch_execz .LBB45_743
; %bb.734:
	v_mul_u32_u24_e32 v31, 0x208, v25
	ds_read_b64 v[10:11], v21 offset:16704
	ds_read_b64 v[32:33], v31 offset:16640
	v_cmp_gt_u32_e64 s[12:13], 56, v14
	s_waitcnt lgkmcnt(0)
	v_fma_f64 v[10:11], v[10:11], v[32:33], 0
	s_and_saveexec_b64 s[16:17], s[12:13]
	s_cbranch_execnz .LBB45_1198
; %bb.735:
	s_or_b64 exec, exec, s[16:17]
	v_cmp_gt_u32_e64 s[12:13], 48, v14
	s_and_saveexec_b64 s[0:1], s[12:13]
	s_cbranch_execnz .LBB45_1199
.LBB45_736:
	s_or_b64 exec, exec, s[0:1]
	v_cmp_gt_u32_e64 s[12:13], 40, v14
	s_and_saveexec_b64 s[0:1], s[12:13]
	s_cbranch_execnz .LBB45_1200
.LBB45_737:
	s_or_b64 exec, exec, s[0:1]
	v_cmp_gt_u32_e64 s[12:13], 32, v14
	s_and_saveexec_b64 s[0:1], s[12:13]
	s_cbranch_execnz .LBB45_1201
.LBB45_738:
	s_or_b64 exec, exec, s[0:1]
	v_cmp_gt_u32_e64 s[12:13], 24, v14
	s_and_saveexec_b64 s[0:1], s[12:13]
	s_cbranch_execnz .LBB45_1202
.LBB45_739:
	s_or_b64 exec, exec, s[0:1]
	v_cmp_gt_u32_e64 s[12:13], 16, v14
	s_and_saveexec_b64 s[0:1], s[12:13]
	s_cbranch_execnz .LBB45_1203
.LBB45_740:
	s_or_b64 exec, exec, s[0:1]
	v_cmp_gt_u32_e64 s[12:13], 8, v14
	s_and_saveexec_b64 s[0:1], s[12:13]
	s_cbranch_execz .LBB45_742
.LBB45_741:
	v_lshlrev_b32_e32 v31, 3, v0
	v_mov_b32_e32 v33, 0
	ds_read_b64 v[31:32], v31 offset:20288
	ds_read_b64 v[33:34], v33 offset:16696
	s_waitcnt lgkmcnt(0)
	v_fma_f64 v[10:11], v[31:32], v[33:34], v[10:11]
.LBB45_742:
	s_or_b64 exec, exec, s[0:1]
	v_xor_b32_e32 v11, 0x80000000, v11
.LBB45_743:
	s_or_b64 exec, exec, s[14:15]
	s_and_saveexec_b64 s[0:1], s[60:61]
; %bb.744:
	ds_write_b64 v23, v[10:11]
; %bb.745:
	s_or_b64 exec, exec, s[0:1]
	s_waitcnt lgkmcnt(0)
	s_barrier
	s_and_saveexec_b64 s[0:1], s[62:63]
	s_cbranch_execz .LBB45_747
; %bb.746:
	ds_read_b64 v[31:32], v22 offset:20800
	ds_read_b64 v[33:34], v23
	s_waitcnt lgkmcnt(0)
	v_fma_f64 v[10:11], v[31:32], v[33:34], v[10:11]
.LBB45_747:
	s_or_b64 exec, exec, s[0:1]
	s_barrier
	s_and_saveexec_b64 s[0:1], s[64:65]
; %bb.748:
	ds_write_b64 v23, v[10:11]
; %bb.749:
	s_or_b64 exec, exec, s[0:1]
	s_waitcnt lgkmcnt(0)
	s_barrier
	s_and_saveexec_b64 s[0:1], s[66:67]
	s_cbranch_execz .LBB45_751
; %bb.750:
	ds_read_b64 v[31:32], v22 offset:21312
	ds_read_b64 v[33:34], v23
	s_waitcnt lgkmcnt(0)
	v_fma_f64 v[10:11], v[31:32], v[33:34], v[10:11]
.LBB45_751:
	s_or_b64 exec, exec, s[0:1]
	s_barrier
	;; [unrolled: 17-line block ×6, first 2 shown]
	s_and_saveexec_b64 s[0:1], s[86:87]
; %bb.768:
	ds_write_b64 v23, v[10:11]
; %bb.769:
	s_or_b64 exec, exec, s[0:1]
	s_waitcnt lgkmcnt(0)
	s_barrier
	s_and_saveexec_b64 s[0:1], s[70:71]
	s_cbranch_execz .LBB45_771
; %bb.770:
	v_mov_b32_e32 v31, 0
	ds_read_b64 v[31:32], v31 offset:23928
	ds_read_b64 v[33:34], v23
	s_waitcnt lgkmcnt(0)
	v_fma_f64 v[10:11], v[31:32], v[33:34], v[10:11]
.LBB45_771:
	s_or_b64 exec, exec, s[0:1]
	s_barrier
	s_and_saveexec_b64 s[0:1], s[70:71]
; %bb.772:
	ds_write_b64 v23, v[10:11]
; %bb.773:
	s_or_b64 exec, exec, s[0:1]
	s_waitcnt lgkmcnt(0)
	s_barrier
	s_barrier
	s_and_saveexec_b64 s[0:1], s[8:9]
; %bb.774:
	v_xor_b32_e32 v11, 0x80000000, v11
	ds_write_b64 v21, v[10:11] offset:16704
; %bb.775:
	s_or_b64 exec, exec, s[0:1]
	s_waitcnt lgkmcnt(0)
	s_barrier
	s_barrier
	s_and_saveexec_b64 s[12:13], s[88:89]
	s_cbranch_execz .LBB45_777
; %bb.776:
	v_lshlrev_b32_e32 v31, 9, v0
	ds_read_b64 v[10:11], v31 offset:16704
	s_movk_i32 s0, 0xfe08
	v_mad_i32_i24 v32, v0, s0, v31
	s_waitcnt lgkmcnt(0)
	ds_write_b64 v32, v[10:11] offset:20736
	ds_read_b64 v[10:11], v31 offset:16712
	s_waitcnt lgkmcnt(0)
	ds_write_b64 v32, v[10:11] offset:21248
	ds_read_b64 v[10:11], v31 offset:16720
	;; [unrolled: 3-line block ×7, first 2 shown]
	s_waitcnt lgkmcnt(0)
	ds_write_b64 v32, v[10:11] offset:24320
.LBB45_777:
	s_or_b64 exec, exec, s[12:13]
	s_waitcnt lgkmcnt(0)
	s_barrier
	s_and_saveexec_b64 s[12:13], vcc
	s_cbranch_execz .LBB45_779
; %bb.778:
	v_mov_b32_e32 v33, 0
	ds_read_b64 v[31:32], v33 offset:20808
	v_mov_b32_e32 v34, 0x3ff00000
	ds_write_b64 v33, v[33:34] offset:20800
	s_waitcnt lgkmcnt(1)
	ds_write_b128 v33, v[31:34] offset:21312
.LBB45_779:
	s_or_b64 exec, exec, s[12:13]
	v_mov_b32_e32 v10, 0
	v_mov_b32_e32 v11, 0
	s_waitcnt lgkmcnt(0)
	s_barrier
	s_and_saveexec_b64 s[14:15], s[2:3]
	s_cbranch_execz .LBB45_783
; %bb.780:
	v_mul_u32_u24_e32 v31, 0x208, v15
	ds_read_b64 v[10:11], v12 offset:20816
	ds_read_b64 v[31:32], v31 offset:20800
	v_cmp_gt_u32_e64 s[12:13], 2, v14
	s_waitcnt lgkmcnt(0)
	v_fma_f64 v[10:11], v[10:11], v[31:32], 0
	s_and_saveexec_b64 s[16:17], s[12:13]
	s_cbranch_execz .LBB45_782
; %bb.781:
	v_lshlrev_b32_e32 v31, 3, v0
	v_mov_b32_e32 v33, 0
	ds_read_b64 v[31:32], v31 offset:21328
	ds_read_b64 v[33:34], v33 offset:20808
	s_waitcnt lgkmcnt(0)
	v_fma_f64 v[10:11], v[31:32], v[33:34], v[10:11]
.LBB45_782:
	s_or_b64 exec, exec, s[16:17]
	v_xor_b32_e32 v11, 0x80000000, v11
.LBB45_783:
	s_or_b64 exec, exec, s[14:15]
	s_and_saveexec_b64 s[0:1], s[30:31]
; %bb.784:
	ds_write_b64 v13, v[10:11]
; %bb.785:
	s_or_b64 exec, exec, s[0:1]
	s_waitcnt lgkmcnt(0)
	s_barrier
	s_and_saveexec_b64 s[0:1], s[28:29]
	s_cbranch_execz .LBB45_787
; %bb.786:
	v_mov_b32_e32 v31, 0
	ds_read_b64 v[31:32], v31 offset:21848
	ds_read_b64 v[33:34], v13
	s_waitcnt lgkmcnt(0)
	v_fma_f64 v[10:11], v[31:32], v[33:34], v[10:11]
.LBB45_787:
	s_or_b64 exec, exec, s[0:1]
	s_barrier
	s_and_saveexec_b64 s[0:1], s[28:29]
; %bb.788:
	ds_write_b64 v13, v[10:11]
; %bb.789:
	s_or_b64 exec, exec, s[0:1]
	s_waitcnt lgkmcnt(0)
	s_barrier
	s_barrier
	s_and_saveexec_b64 s[0:1], s[2:3]
; %bb.790:
	v_xor_b32_e32 v11, 0x80000000, v11
	ds_write_b64 v12, v[10:11] offset:20816
; %bb.791:
	s_or_b64 exec, exec, s[0:1]
	s_waitcnt lgkmcnt(0)
	s_barrier
	s_barrier
	s_and_saveexec_b64 s[0:1], s[34:35]
	s_cbranch_execz .LBB45_793
; %bb.792:
	v_lshlrev_b32_e32 v31, 3, v0
	s_movk_i32 s12, 0x1f8
	v_mad_u32_u24 v32, v0, s12, v31
	ds_read_b64 v[10:11], v32 offset:20816
	s_waitcnt lgkmcnt(0)
	ds_write_b64 v31, v[10:11] offset:21824
	ds_read_b64 v[10:11], v32 offset:20824
	s_waitcnt lgkmcnt(0)
	ds_write_b64 v31, v[10:11] offset:22336
.LBB45_793:
	s_or_b64 exec, exec, s[0:1]
	s_waitcnt lgkmcnt(0)
	s_barrier
	s_and_saveexec_b64 s[12:13], vcc
	s_cbranch_execz .LBB45_795
; %bb.794:
	v_mov_b32_e32 v33, 0
	ds_read_b64 v[31:32], v33 offset:21848
	v_mov_b32_e32 v34, 0x3ff00000
	ds_write_b64 v33, v[33:34] offset:21840
	s_waitcnt lgkmcnt(1)
	ds_write_b128 v33, v[31:34] offset:22352
.LBB45_795:
	s_or_b64 exec, exec, s[12:13]
	v_mov_b32_e32 v10, 0
	v_mov_b32_e32 v11, 0
	s_waitcnt lgkmcnt(0)
	s_barrier
	s_and_saveexec_b64 s[14:15], s[18:19]
	s_cbranch_execz .LBB45_801
; %bb.796:
	v_mul_u32_u24_e32 v31, 0x208, v20
	ds_read_b64 v[10:11], v16 offset:20832
	ds_read_b64 v[32:33], v31 offset:20800
	v_cmp_gt_u32_e64 s[12:13], 12, v14
	s_waitcnt lgkmcnt(0)
	v_fma_f64 v[10:11], v[10:11], v[32:33], 0
	s_and_saveexec_b64 s[16:17], s[12:13]
	s_cbranch_execnz .LBB45_1204
; %bb.797:
	s_or_b64 exec, exec, s[16:17]
	v_cmp_gt_u32_e64 s[12:13], 8, v14
	s_and_saveexec_b64 s[0:1], s[12:13]
	s_cbranch_execnz .LBB45_1205
.LBB45_798:
	s_or_b64 exec, exec, s[0:1]
	v_cmp_gt_u32_e64 s[12:13], 4, v14
	s_and_saveexec_b64 s[0:1], s[12:13]
	s_cbranch_execz .LBB45_800
.LBB45_799:
	v_lshlrev_b32_e32 v31, 3, v0
	v_mov_b32_e32 v33, 0
	ds_read_b64 v[31:32], v31 offset:22368
	ds_read_b64 v[33:34], v33 offset:20824
	s_waitcnt lgkmcnt(0)
	v_fma_f64 v[10:11], v[31:32], v[33:34], v[10:11]
.LBB45_800:
	s_or_b64 exec, exec, s[0:1]
	v_xor_b32_e32 v11, 0x80000000, v11
.LBB45_801:
	s_or_b64 exec, exec, s[14:15]
	s_and_saveexec_b64 s[0:1], s[38:39]
; %bb.802:
	ds_write_b64 v18, v[10:11]
; %bb.803:
	s_or_b64 exec, exec, s[0:1]
	s_waitcnt lgkmcnt(0)
	s_barrier
	s_and_saveexec_b64 s[0:1], s[42:43]
	s_cbranch_execz .LBB45_805
; %bb.804:
	ds_read_b64 v[31:32], v17 offset:22880
	ds_read_b64 v[33:34], v18
	s_waitcnt lgkmcnt(0)
	v_fma_f64 v[10:11], v[31:32], v[33:34], v[10:11]
.LBB45_805:
	s_or_b64 exec, exec, s[0:1]
	s_barrier
	s_and_saveexec_b64 s[0:1], s[52:53]
; %bb.806:
	ds_write_b64 v18, v[10:11]
; %bb.807:
	s_or_b64 exec, exec, s[0:1]
	s_waitcnt lgkmcnt(0)
	s_barrier
	s_and_saveexec_b64 s[0:1], s[54:55]
	s_cbranch_execz .LBB45_809
; %bb.808:
	ds_read_b64 v[31:32], v17 offset:23392
	ds_read_b64 v[33:34], v18
	s_waitcnt lgkmcnt(0)
	v_fma_f64 v[10:11], v[31:32], v[33:34], v[10:11]
.LBB45_809:
	s_or_b64 exec, exec, s[0:1]
	s_barrier
	s_and_saveexec_b64 s[0:1], s[56:57]
; %bb.810:
	ds_write_b64 v18, v[10:11]
; %bb.811:
	s_or_b64 exec, exec, s[0:1]
	s_waitcnt lgkmcnt(0)
	s_barrier
	s_and_saveexec_b64 s[0:1], s[36:37]
	s_cbranch_execz .LBB45_813
; %bb.812:
	v_mov_b32_e32 v31, 0
	ds_read_b64 v[31:32], v31 offset:23928
	ds_read_b64 v[33:34], v18
	s_waitcnt lgkmcnt(0)
	v_fma_f64 v[10:11], v[31:32], v[33:34], v[10:11]
.LBB45_813:
	s_or_b64 exec, exec, s[0:1]
	s_barrier
	s_and_saveexec_b64 s[0:1], s[36:37]
; %bb.814:
	ds_write_b64 v18, v[10:11]
; %bb.815:
	s_or_b64 exec, exec, s[0:1]
	s_waitcnt lgkmcnt(0)
	s_barrier
	s_barrier
	s_and_saveexec_b64 s[0:1], s[18:19]
; %bb.816:
	v_xor_b32_e32 v11, 0x80000000, v11
	ds_write_b64 v16, v[10:11] offset:20832
; %bb.817:
	s_or_b64 exec, exec, s[0:1]
	s_waitcnt lgkmcnt(0)
	s_barrier
	s_barrier
	s_and_saveexec_b64 s[12:13], s[58:59]
	s_cbranch_execz .LBB45_819
; %bb.818:
	v_lshlrev_b32_e32 v31, 9, v0
	ds_read_b64 v[10:11], v31 offset:20832
	s_movk_i32 s0, 0xfe08
	v_mad_i32_i24 v32, v0, s0, v31
	s_waitcnt lgkmcnt(0)
	ds_write_b64 v32, v[10:11] offset:22848
	ds_read_b64 v[10:11], v31 offset:20840
	s_waitcnt lgkmcnt(0)
	ds_write_b64 v32, v[10:11] offset:23360
	ds_read_b64 v[10:11], v31 offset:20848
	;; [unrolled: 3-line block ×3, first 2 shown]
	s_waitcnt lgkmcnt(0)
	ds_write_b64 v32, v[10:11] offset:24384
.LBB45_819:
	s_or_b64 exec, exec, s[12:13]
	s_waitcnt lgkmcnt(0)
	s_barrier
	s_and_saveexec_b64 s[12:13], vcc
	s_cbranch_execz .LBB45_821
; %bb.820:
	v_mov_b32_e32 v33, 0
	ds_read_b64 v[31:32], v33 offset:22888
	v_mov_b32_e32 v34, 0x3ff00000
	ds_write_b64 v33, v[33:34] offset:22880
	s_waitcnt lgkmcnt(1)
	ds_write_b128 v33, v[31:34] offset:23392
.LBB45_821:
	s_or_b64 exec, exec, s[12:13]
	v_mov_b32_e32 v10, 0
	v_mov_b32_e32 v11, 0
	s_waitcnt lgkmcnt(0)
	s_barrier
	s_and_saveexec_b64 s[14:15], s[2:3]
	s_cbranch_execz .LBB45_825
; %bb.822:
	v_mul_u32_u24_e32 v31, 0x208, v15
	ds_read_b64 v[10:11], v12 offset:22896
	ds_read_b64 v[31:32], v31 offset:22880
	v_cmp_gt_u32_e64 s[12:13], 2, v14
	s_waitcnt lgkmcnt(0)
	v_fma_f64 v[10:11], v[10:11], v[31:32], 0
	s_and_saveexec_b64 s[16:17], s[12:13]
	s_cbranch_execz .LBB45_824
; %bb.823:
	v_lshlrev_b32_e32 v31, 3, v0
	v_mov_b32_e32 v33, 0
	ds_read_b64 v[31:32], v31 offset:23408
	ds_read_b64 v[33:34], v33 offset:22888
	s_waitcnt lgkmcnt(0)
	v_fma_f64 v[10:11], v[31:32], v[33:34], v[10:11]
.LBB45_824:
	s_or_b64 exec, exec, s[16:17]
	v_xor_b32_e32 v11, 0x80000000, v11
.LBB45_825:
	s_or_b64 exec, exec, s[14:15]
	s_and_saveexec_b64 s[0:1], s[30:31]
; %bb.826:
	ds_write_b64 v13, v[10:11]
; %bb.827:
	s_or_b64 exec, exec, s[0:1]
	s_waitcnt lgkmcnt(0)
	s_barrier
	s_and_saveexec_b64 s[0:1], s[28:29]
	s_cbranch_execz .LBB45_829
; %bb.828:
	v_mov_b32_e32 v31, 0
	ds_read_b64 v[31:32], v31 offset:23928
	ds_read_b64 v[33:34], v13
	s_waitcnt lgkmcnt(0)
	v_fma_f64 v[10:11], v[31:32], v[33:34], v[10:11]
.LBB45_829:
	s_or_b64 exec, exec, s[0:1]
	s_barrier
	s_and_saveexec_b64 s[0:1], s[28:29]
; %bb.830:
	ds_write_b64 v13, v[10:11]
; %bb.831:
	s_or_b64 exec, exec, s[0:1]
	s_waitcnt lgkmcnt(0)
	s_barrier
	s_barrier
	s_and_saveexec_b64 s[0:1], s[2:3]
; %bb.832:
	v_xor_b32_e32 v11, 0x80000000, v11
	ds_write_b64 v12, v[10:11] offset:22896
; %bb.833:
	s_or_b64 exec, exec, s[0:1]
	s_waitcnt lgkmcnt(0)
	s_barrier
	s_barrier
	s_and_saveexec_b64 s[0:1], s[34:35]
	s_cbranch_execz .LBB45_835
; %bb.834:
	v_lshlrev_b32_e32 v31, 3, v0
	s_movk_i32 s12, 0x1f8
	v_mad_u32_u24 v32, v0, s12, v31
	ds_read_b64 v[10:11], v32 offset:22896
	s_waitcnt lgkmcnt(0)
	ds_write_b64 v31, v[10:11] offset:23904
	ds_read_b64 v[10:11], v32 offset:22904
	s_waitcnt lgkmcnt(0)
	ds_write_b64 v31, v[10:11] offset:24416
.LBB45_835:
	s_or_b64 exec, exec, s[0:1]
	s_waitcnt lgkmcnt(0)
	s_barrier
	s_and_saveexec_b64 s[12:13], vcc
	s_cbranch_execz .LBB45_837
; %bb.836:
	v_mov_b32_e32 v33, 0
	ds_read_b64 v[31:32], v33 offset:23928
	v_mov_b32_e32 v34, 0x3ff00000
	ds_write_b64 v33, v[33:34] offset:23920
	s_waitcnt lgkmcnt(1)
	ds_write_b128 v33, v[31:34] offset:24432
.LBB45_837:
	s_or_b64 exec, exec, s[12:13]
	v_mov_b32_e32 v10, 0
	v_mov_b32_e32 v11, 0
	s_waitcnt lgkmcnt(0)
	s_barrier
	s_and_saveexec_b64 s[14:15], s[10:11]
	s_cbranch_execz .LBB45_865
; %bb.838:
	v_mul_u32_u24_e32 v31, 0x208, v30
	ds_read_b64 v[10:11], v26 offset:16768
	ds_read_b64 v[32:33], v31 offset:16640
	s_movk_i32 s0, 0xf0
	v_cmp_gt_u32_e64 s[12:13], s0, v14
	s_waitcnt lgkmcnt(0)
	v_fma_f64 v[10:11], v[10:11], v[32:33], 0
	s_and_saveexec_b64 s[16:17], s[12:13]
	s_cbranch_execz .LBB45_840
; %bb.839:
	v_lshlrev_b32_e32 v32, 3, v30
	v_sub_u32_e32 v32, v31, v32
	v_lshl_add_u32 v32, v27, 3, v32
	ds_read_b64 v[32:33], v32 offset:17280
	ds_read_b64 v[34:35], v31 offset:16648
	s_waitcnt lgkmcnt(0)
	v_fma_f64 v[10:11], v[32:33], v[34:35], v[10:11]
.LBB45_840:
	s_or_b64 exec, exec, s[16:17]
	s_movk_i32 s0, 0xe0
	v_cmp_gt_u32_e64 s[12:13], s0, v14
	s_and_saveexec_b64 s[0:1], s[12:13]
	s_cbranch_execz .LBB45_842
; %bb.841:
	v_lshlrev_b32_e32 v32, 3, v30
	v_sub_u32_e32 v32, v31, v32
	v_lshl_add_u32 v32, v27, 3, v32
	ds_read_b64 v[32:33], v32 offset:17792
	ds_read_b64 v[34:35], v31 offset:16656
	s_waitcnt lgkmcnt(0)
	v_fma_f64 v[10:11], v[32:33], v[34:35], v[10:11]
.LBB45_842:
	s_or_b64 exec, exec, s[0:1]
	s_movk_i32 s0, 0xd0
	v_cmp_gt_u32_e64 s[12:13], s0, v14
	;; [unrolled: 14-line block ×7, first 2 shown]
	s_and_saveexec_b64 s[0:1], s[12:13]
	s_cbranch_execz .LBB45_854
; %bb.853:
	ds_read_b64 v[32:33], v26 offset:20864
	ds_read_b64 v[34:35], v31 offset:16704
	s_waitcnt lgkmcnt(0)
	v_fma_f64 v[10:11], v[32:33], v[34:35], v[10:11]
.LBB45_854:
	s_or_b64 exec, exec, s[0:1]
	s_movk_i32 s0, 0x70
	v_cmp_gt_u32_e64 s[12:13], s0, v14
	s_and_saveexec_b64 s[0:1], s[12:13]
	s_cbranch_execz .LBB45_856
; %bb.855:
	v_lshlrev_b32_e32 v30, 3, v27
	v_lshl_add_u32 v30, v29, 3, v30
	ds_read_b64 v[32:33], v30 offset:21376
	ds_read_b64 v[34:35], v31 offset:16712
	s_waitcnt lgkmcnt(0)
	v_fma_f64 v[10:11], v[32:33], v[34:35], v[10:11]
.LBB45_856:
	s_or_b64 exec, exec, s[0:1]
	s_movk_i32 s0, 0x60
	v_cmp_gt_u32_e64 s[12:13], s0, v14
	s_and_saveexec_b64 s[0:1], s[12:13]
	s_cbranch_execz .LBB45_858
; %bb.857:
	v_lshlrev_b32_e32 v30, 3, v27
	v_lshl_add_u32 v30, v29, 3, v30
	ds_read_b64 v[32:33], v30 offset:21888
	ds_read_b64 v[34:35], v31 offset:16720
	s_waitcnt lgkmcnt(0)
	v_fma_f64 v[10:11], v[32:33], v[34:35], v[10:11]
.LBB45_858:
	s_or_b64 exec, exec, s[0:1]
	s_movk_i32 s0, 0x50
	v_cmp_gt_u32_e64 s[12:13], s0, v14
	s_and_saveexec_b64 s[0:1], s[12:13]
	s_cbranch_execnz .LBB45_1206
; %bb.859:
	s_or_b64 exec, exec, s[0:1]
	v_cmp_gt_u32_e64 s[12:13], 64, v14
	s_and_saveexec_b64 s[0:1], s[12:13]
	s_cbranch_execnz .LBB45_1207
.LBB45_860:
	s_or_b64 exec, exec, s[0:1]
	v_cmp_gt_u32_e64 s[12:13], 48, v14
	s_and_saveexec_b64 s[0:1], s[12:13]
	s_cbranch_execnz .LBB45_1208
.LBB45_861:
	s_or_b64 exec, exec, s[0:1]
	v_cmp_gt_u32_e64 s[12:13], 32, v14
	s_and_saveexec_b64 s[0:1], s[12:13]
	s_cbranch_execnz .LBB45_1209
.LBB45_862:
	s_or_b64 exec, exec, s[0:1]
	v_cmp_gt_u32_e64 s[12:13], 16, v14
	s_and_saveexec_b64 s[0:1], s[12:13]
	s_cbranch_execz .LBB45_864
.LBB45_863:
	v_lshlrev_b32_e32 v29, 3, v0
	v_mov_b32_e32 v31, 0
	ds_read_b64 v[29:30], v29 offset:24448
	ds_read_b64 v[31:32], v31 offset:16760
	s_waitcnt lgkmcnt(0)
	v_fma_f64 v[10:11], v[29:30], v[31:32], v[10:11]
.LBB45_864:
	s_or_b64 exec, exec, s[0:1]
	v_xor_b32_e32 v11, 0x80000000, v11
.LBB45_865:
	s_or_b64 exec, exec, s[14:15]
	s_mov_b64 s[0:1], exec
	v_readlane_b32 s12, v40, 3
	v_readlane_b32 s13, v40, 4
	s_and_b64 s[12:13], s[0:1], s[12:13]
	s_mov_b64 exec, s[12:13]
; %bb.866:
	ds_write_b64 v28, v[10:11]
; %bb.867:
	s_or_b64 exec, exec, s[0:1]
	s_waitcnt lgkmcnt(0)
	s_barrier
	s_mov_b64 s[0:1], exec
	v_readlane_b32 s12, v40, 5
	v_readlane_b32 s13, v40, 6
	s_and_b64 s[12:13], s[0:1], s[12:13]
	s_mov_b64 exec, s[12:13]
	s_cbranch_execz .LBB45_869
; %bb.868:
	v_lshlrev_b32_e32 v29, 3, v27
	ds_read_b64 v[29:30], v29 offset:24960
	ds_read_b64 v[31:32], v28
	s_waitcnt lgkmcnt(0)
	v_fma_f64 v[10:11], v[29:30], v[31:32], v[10:11]
.LBB45_869:
	s_or_b64 exec, exec, s[0:1]
	s_barrier
	s_mov_b64 s[0:1], exec
	v_readlane_b32 s12, v40, 7
	v_readlane_b32 s13, v40, 8
	s_and_b64 s[12:13], s[0:1], s[12:13]
	s_mov_b64 exec, s[12:13]
; %bb.870:
	ds_write_b64 v28, v[10:11]
; %bb.871:
	s_or_b64 exec, exec, s[0:1]
	s_waitcnt lgkmcnt(0)
	s_barrier
	s_mov_b64 s[0:1], exec
	v_readlane_b32 s12, v40, 9
	v_readlane_b32 s13, v40, 10
	s_and_b64 s[12:13], s[0:1], s[12:13]
	s_mov_b64 exec, s[12:13]
	s_cbranch_execz .LBB45_873
; %bb.872:
	v_lshlrev_b32_e32 v29, 3, v27
	ds_read_b64 v[29:30], v29 offset:25472
	ds_read_b64 v[31:32], v28
	s_waitcnt lgkmcnt(0)
	v_fma_f64 v[10:11], v[29:30], v[31:32], v[10:11]
.LBB45_873:
	s_or_b64 exec, exec, s[0:1]
	s_barrier
	;; [unrolled: 26-line block ×14, first 2 shown]
	s_mov_b64 s[0:1], exec
	v_readlane_b32 s12, v40, 59
	v_readlane_b32 s13, v40, 60
	s_and_b64 s[12:13], s[0:1], s[12:13]
	s_mov_b64 exec, s[12:13]
; %bb.922:
	ds_write_b64 v28, v[10:11]
; %bb.923:
	s_or_b64 exec, exec, s[0:1]
	s_waitcnt lgkmcnt(0)
	s_barrier
	s_and_saveexec_b64 s[0:1], s[92:93]
	s_cbranch_execz .LBB45_925
; %bb.924:
	v_mov_b32_e32 v27, 0
	ds_read_b64 v[29:30], v27 offset:32248
	ds_read_b64 v[31:32], v28
	s_waitcnt lgkmcnt(0)
	v_fma_f64 v[10:11], v[29:30], v[31:32], v[10:11]
.LBB45_925:
	s_or_b64 exec, exec, s[0:1]
	s_barrier
	s_and_saveexec_b64 s[0:1], s[92:93]
; %bb.926:
	ds_write_b64 v28, v[10:11]
; %bb.927:
	s_or_b64 exec, exec, s[0:1]
	s_waitcnt lgkmcnt(0)
	s_barrier
	s_barrier
	s_and_saveexec_b64 s[0:1], s[10:11]
; %bb.928:
	v_xor_b32_e32 v11, 0x80000000, v11
	ds_write_b64 v26, v[10:11] offset:16768
; %bb.929:
	s_or_b64 exec, exec, s[0:1]
	s_waitcnt lgkmcnt(0)
	s_barrier
	s_barrier
	s_mov_b64 s[0:1], exec
	v_readlane_b32 s10, v40, 61
	v_readlane_b32 s11, v40, 62
	s_and_b64 s[10:11], s[0:1], s[10:11]
	s_mov_b64 exec, s[10:11]
	s_cbranch_execz .LBB45_931
; %bb.930:
	v_lshlrev_b32_e32 v26, 9, v0
	ds_read_b64 v[10:11], v26 offset:16768
	s_movk_i32 s10, 0xfe08
	v_mad_i32_i24 v27, v0, s10, v26
	s_waitcnt lgkmcnt(0)
	ds_write_b64 v27, v[10:11] offset:24832
	ds_read_b64 v[10:11], v26 offset:16776
	s_waitcnt lgkmcnt(0)
	ds_write_b64 v27, v[10:11] offset:25344
	ds_read_b64 v[10:11], v26 offset:16784
	;; [unrolled: 3-line block ×15, first 2 shown]
	s_waitcnt lgkmcnt(0)
	ds_write_b64 v27, v[10:11] offset:32512
.LBB45_931:
	s_or_b64 exec, exec, s[0:1]
	s_waitcnt lgkmcnt(0)
	s_barrier
	s_and_saveexec_b64 s[0:1], vcc
	s_cbranch_execz .LBB45_933
; %bb.932:
	v_mov_b32_e32 v28, 0
	ds_read_b64 v[26:27], v28 offset:24968
	v_mov_b32_e32 v29, 0x3ff00000
	ds_write_b64 v28, v[28:29] offset:24960
	s_waitcnt lgkmcnt(1)
	ds_write_b128 v28, v[26:29] offset:25472
.LBB45_933:
	s_or_b64 exec, exec, s[0:1]
	v_mov_b32_e32 v10, 0
	v_mov_b32_e32 v11, 0
	s_waitcnt lgkmcnt(0)
	s_barrier
	s_and_saveexec_b64 s[0:1], s[2:3]
	s_cbranch_execz .LBB45_937
; %bb.934:
	v_mul_u32_u24_e32 v26, 0x208, v15
	ds_read_b64 v[10:11], v12 offset:24976
	ds_read_b64 v[26:27], v26 offset:24960
	v_cmp_gt_u32_e64 s[10:11], 2, v14
	s_waitcnt lgkmcnt(0)
	v_fma_f64 v[10:11], v[10:11], v[26:27], 0
	s_and_saveexec_b64 s[12:13], s[10:11]
	s_cbranch_execz .LBB45_936
; %bb.935:
	v_lshlrev_b32_e32 v26, 3, v0
	v_mov_b32_e32 v28, 0
	ds_read_b64 v[26:27], v26 offset:25488
	ds_read_b64 v[28:29], v28 offset:24968
	s_waitcnt lgkmcnt(0)
	v_fma_f64 v[10:11], v[26:27], v[28:29], v[10:11]
.LBB45_936:
	s_or_b64 exec, exec, s[12:13]
	v_xor_b32_e32 v11, 0x80000000, v11
.LBB45_937:
	s_or_b64 exec, exec, s[0:1]
	s_and_saveexec_b64 s[0:1], s[30:31]
; %bb.938:
	ds_write_b64 v13, v[10:11]
; %bb.939:
	s_or_b64 exec, exec, s[0:1]
	s_waitcnt lgkmcnt(0)
	s_barrier
	s_and_saveexec_b64 s[0:1], s[28:29]
	s_cbranch_execz .LBB45_941
; %bb.940:
	v_mov_b32_e32 v26, 0
	ds_read_b64 v[26:27], v26 offset:26008
	ds_read_b64 v[28:29], v13
	s_waitcnt lgkmcnt(0)
	v_fma_f64 v[10:11], v[26:27], v[28:29], v[10:11]
.LBB45_941:
	s_or_b64 exec, exec, s[0:1]
	s_barrier
	s_and_saveexec_b64 s[0:1], s[28:29]
; %bb.942:
	ds_write_b64 v13, v[10:11]
; %bb.943:
	s_or_b64 exec, exec, s[0:1]
	s_waitcnt lgkmcnt(0)
	s_barrier
	s_barrier
	s_and_saveexec_b64 s[0:1], s[2:3]
; %bb.944:
	v_xor_b32_e32 v11, 0x80000000, v11
	ds_write_b64 v12, v[10:11] offset:24976
; %bb.945:
	s_or_b64 exec, exec, s[0:1]
	s_waitcnt lgkmcnt(0)
	s_barrier
	s_barrier
	s_and_saveexec_b64 s[0:1], s[34:35]
	s_cbranch_execz .LBB45_947
; %bb.946:
	v_lshlrev_b32_e32 v26, 3, v0
	s_movk_i32 s10, 0x1f8
	v_mad_u32_u24 v27, v0, s10, v26
	ds_read_b64 v[10:11], v27 offset:24976
	s_waitcnt lgkmcnt(0)
	ds_write_b64 v26, v[10:11] offset:25984
	ds_read_b64 v[10:11], v27 offset:24984
	s_waitcnt lgkmcnt(0)
	ds_write_b64 v26, v[10:11] offset:26496
.LBB45_947:
	s_or_b64 exec, exec, s[0:1]
	s_waitcnt lgkmcnt(0)
	s_barrier
	s_and_saveexec_b64 s[0:1], vcc
	s_cbranch_execz .LBB45_949
; %bb.948:
	v_mov_b32_e32 v28, 0
	ds_read_b64 v[26:27], v28 offset:26008
	v_mov_b32_e32 v29, 0x3ff00000
	ds_write_b64 v28, v[28:29] offset:26000
	s_waitcnt lgkmcnt(1)
	ds_write_b128 v28, v[26:29] offset:26512
.LBB45_949:
	s_or_b64 exec, exec, s[0:1]
	v_mov_b32_e32 v10, 0
	v_mov_b32_e32 v11, 0
	s_waitcnt lgkmcnt(0)
	s_barrier
	s_and_saveexec_b64 s[0:1], s[18:19]
	s_cbranch_execz .LBB45_955
; %bb.950:
	v_mul_u32_u24_e32 v26, 0x208, v20
	ds_read_b64 v[10:11], v16 offset:24992
	ds_read_b64 v[27:28], v26 offset:24960
	v_cmp_gt_u32_e64 s[10:11], 12, v14
	s_waitcnt lgkmcnt(0)
	v_fma_f64 v[10:11], v[10:11], v[27:28], 0
	s_and_saveexec_b64 s[12:13], s[10:11]
	s_cbranch_execnz .LBB45_1210
; %bb.951:
	s_or_b64 exec, exec, s[12:13]
	v_cmp_gt_u32_e64 s[10:11], 8, v14
	s_and_saveexec_b64 s[12:13], s[10:11]
	s_cbranch_execnz .LBB45_1211
.LBB45_952:
	s_or_b64 exec, exec, s[12:13]
	v_cmp_gt_u32_e64 s[10:11], 4, v14
	s_and_saveexec_b64 s[12:13], s[10:11]
	s_cbranch_execz .LBB45_954
.LBB45_953:
	v_lshlrev_b32_e32 v26, 3, v0
	v_mov_b32_e32 v28, 0
	ds_read_b64 v[26:27], v26 offset:26528
	ds_read_b64 v[28:29], v28 offset:24984
	s_waitcnt lgkmcnt(0)
	v_fma_f64 v[10:11], v[26:27], v[28:29], v[10:11]
.LBB45_954:
	s_or_b64 exec, exec, s[12:13]
	v_xor_b32_e32 v11, 0x80000000, v11
.LBB45_955:
	s_or_b64 exec, exec, s[0:1]
	s_and_saveexec_b64 s[0:1], s[38:39]
; %bb.956:
	ds_write_b64 v18, v[10:11]
; %bb.957:
	s_or_b64 exec, exec, s[0:1]
	s_waitcnt lgkmcnt(0)
	s_barrier
	s_and_saveexec_b64 s[0:1], s[42:43]
	s_cbranch_execz .LBB45_959
; %bb.958:
	ds_read_b64 v[26:27], v17 offset:27040
	ds_read_b64 v[28:29], v18
	s_waitcnt lgkmcnt(0)
	v_fma_f64 v[10:11], v[26:27], v[28:29], v[10:11]
.LBB45_959:
	s_or_b64 exec, exec, s[0:1]
	s_barrier
	s_and_saveexec_b64 s[0:1], s[52:53]
; %bb.960:
	ds_write_b64 v18, v[10:11]
; %bb.961:
	s_or_b64 exec, exec, s[0:1]
	s_waitcnt lgkmcnt(0)
	s_barrier
	s_and_saveexec_b64 s[0:1], s[54:55]
	s_cbranch_execz .LBB45_963
; %bb.962:
	ds_read_b64 v[26:27], v17 offset:27552
	ds_read_b64 v[28:29], v18
	s_waitcnt lgkmcnt(0)
	v_fma_f64 v[10:11], v[26:27], v[28:29], v[10:11]
.LBB45_963:
	s_or_b64 exec, exec, s[0:1]
	s_barrier
	s_and_saveexec_b64 s[0:1], s[56:57]
; %bb.964:
	ds_write_b64 v18, v[10:11]
; %bb.965:
	s_or_b64 exec, exec, s[0:1]
	s_waitcnt lgkmcnt(0)
	s_barrier
	s_and_saveexec_b64 s[0:1], s[36:37]
	s_cbranch_execz .LBB45_967
; %bb.966:
	v_mov_b32_e32 v26, 0
	ds_read_b64 v[26:27], v26 offset:28088
	ds_read_b64 v[28:29], v18
	s_waitcnt lgkmcnt(0)
	v_fma_f64 v[10:11], v[26:27], v[28:29], v[10:11]
.LBB45_967:
	s_or_b64 exec, exec, s[0:1]
	s_barrier
	s_and_saveexec_b64 s[0:1], s[36:37]
; %bb.968:
	ds_write_b64 v18, v[10:11]
; %bb.969:
	s_or_b64 exec, exec, s[0:1]
	s_waitcnt lgkmcnt(0)
	s_barrier
	s_barrier
	s_and_saveexec_b64 s[0:1], s[18:19]
; %bb.970:
	v_xor_b32_e32 v11, 0x80000000, v11
	ds_write_b64 v16, v[10:11] offset:24992
; %bb.971:
	s_or_b64 exec, exec, s[0:1]
	s_waitcnt lgkmcnt(0)
	s_barrier
	s_barrier
	s_and_saveexec_b64 s[0:1], s[58:59]
	s_cbranch_execz .LBB45_973
; %bb.972:
	v_lshlrev_b32_e32 v26, 9, v0
	ds_read_b64 v[10:11], v26 offset:24992
	s_movk_i32 s10, 0xfe08
	v_mad_i32_i24 v27, v0, s10, v26
	s_waitcnt lgkmcnt(0)
	ds_write_b64 v27, v[10:11] offset:27008
	ds_read_b64 v[10:11], v26 offset:25000
	s_waitcnt lgkmcnt(0)
	ds_write_b64 v27, v[10:11] offset:27520
	ds_read_b64 v[10:11], v26 offset:25008
	;; [unrolled: 3-line block ×3, first 2 shown]
	s_waitcnt lgkmcnt(0)
	ds_write_b64 v27, v[10:11] offset:28544
.LBB45_973:
	s_or_b64 exec, exec, s[0:1]
	s_waitcnt lgkmcnt(0)
	s_barrier
	s_and_saveexec_b64 s[0:1], vcc
	s_cbranch_execz .LBB45_975
; %bb.974:
	v_mov_b32_e32 v28, 0
	ds_read_b64 v[26:27], v28 offset:27048
	v_mov_b32_e32 v29, 0x3ff00000
	ds_write_b64 v28, v[28:29] offset:27040
	s_waitcnt lgkmcnt(1)
	ds_write_b128 v28, v[26:29] offset:27552
.LBB45_975:
	s_or_b64 exec, exec, s[0:1]
	v_mov_b32_e32 v10, 0
	v_mov_b32_e32 v11, 0
	s_waitcnt lgkmcnt(0)
	s_barrier
	s_and_saveexec_b64 s[0:1], s[2:3]
	s_cbranch_execz .LBB45_979
; %bb.976:
	v_mul_u32_u24_e32 v26, 0x208, v15
	ds_read_b64 v[10:11], v12 offset:27056
	ds_read_b64 v[26:27], v26 offset:27040
	v_cmp_gt_u32_e64 s[10:11], 2, v14
	s_waitcnt lgkmcnt(0)
	v_fma_f64 v[10:11], v[10:11], v[26:27], 0
	s_and_saveexec_b64 s[12:13], s[10:11]
	s_cbranch_execz .LBB45_978
; %bb.977:
	v_lshlrev_b32_e32 v26, 3, v0
	v_mov_b32_e32 v28, 0
	ds_read_b64 v[26:27], v26 offset:27568
	ds_read_b64 v[28:29], v28 offset:27048
	s_waitcnt lgkmcnt(0)
	v_fma_f64 v[10:11], v[26:27], v[28:29], v[10:11]
.LBB45_978:
	s_or_b64 exec, exec, s[12:13]
	v_xor_b32_e32 v11, 0x80000000, v11
.LBB45_979:
	s_or_b64 exec, exec, s[0:1]
	s_and_saveexec_b64 s[0:1], s[30:31]
; %bb.980:
	ds_write_b64 v13, v[10:11]
; %bb.981:
	s_or_b64 exec, exec, s[0:1]
	s_waitcnt lgkmcnt(0)
	s_barrier
	s_and_saveexec_b64 s[0:1], s[28:29]
	s_cbranch_execz .LBB45_983
; %bb.982:
	v_mov_b32_e32 v26, 0
	ds_read_b64 v[26:27], v26 offset:28088
	ds_read_b64 v[28:29], v13
	s_waitcnt lgkmcnt(0)
	v_fma_f64 v[10:11], v[26:27], v[28:29], v[10:11]
.LBB45_983:
	s_or_b64 exec, exec, s[0:1]
	s_barrier
	s_and_saveexec_b64 s[0:1], s[28:29]
; %bb.984:
	ds_write_b64 v13, v[10:11]
; %bb.985:
	s_or_b64 exec, exec, s[0:1]
	s_waitcnt lgkmcnt(0)
	s_barrier
	s_barrier
	s_and_saveexec_b64 s[0:1], s[2:3]
; %bb.986:
	v_xor_b32_e32 v11, 0x80000000, v11
	ds_write_b64 v12, v[10:11] offset:27056
; %bb.987:
	s_or_b64 exec, exec, s[0:1]
	s_waitcnt lgkmcnt(0)
	s_barrier
	s_barrier
	s_and_saveexec_b64 s[0:1], s[34:35]
	s_cbranch_execz .LBB45_989
; %bb.988:
	v_lshlrev_b32_e32 v26, 3, v0
	s_movk_i32 s10, 0x1f8
	v_mad_u32_u24 v27, v0, s10, v26
	ds_read_b64 v[10:11], v27 offset:27056
	s_waitcnt lgkmcnt(0)
	ds_write_b64 v26, v[10:11] offset:28064
	ds_read_b64 v[10:11], v27 offset:27064
	s_waitcnt lgkmcnt(0)
	ds_write_b64 v26, v[10:11] offset:28576
.LBB45_989:
	s_or_b64 exec, exec, s[0:1]
	s_waitcnt lgkmcnt(0)
	s_barrier
	s_and_saveexec_b64 s[0:1], vcc
	s_cbranch_execz .LBB45_991
; %bb.990:
	v_mov_b32_e32 v28, 0
	ds_read_b64 v[26:27], v28 offset:28088
	v_mov_b32_e32 v29, 0x3ff00000
	ds_write_b64 v28, v[28:29] offset:28080
	s_waitcnt lgkmcnt(1)
	ds_write_b128 v28, v[26:29] offset:28592
.LBB45_991:
	s_or_b64 exec, exec, s[0:1]
	v_mov_b32_e32 v10, 0
	v_mov_b32_e32 v11, 0
	s_waitcnt lgkmcnt(0)
	s_barrier
	s_and_saveexec_b64 s[0:1], s[8:9]
	s_cbranch_execz .LBB45_1001
; %bb.992:
	v_mul_u32_u24_e32 v26, 0x208, v25
	ds_read_b64 v[10:11], v21 offset:25024
	ds_read_b64 v[27:28], v26 offset:24960
	v_cmp_gt_u32_e64 s[10:11], 56, v14
	s_waitcnt lgkmcnt(0)
	v_fma_f64 v[10:11], v[10:11], v[27:28], 0
	s_and_saveexec_b64 s[12:13], s[10:11]
	s_cbranch_execnz .LBB45_1212
; %bb.993:
	s_or_b64 exec, exec, s[12:13]
	v_cmp_gt_u32_e64 s[10:11], 48, v14
	s_and_saveexec_b64 s[12:13], s[10:11]
	s_cbranch_execnz .LBB45_1213
.LBB45_994:
	s_or_b64 exec, exec, s[12:13]
	v_cmp_gt_u32_e64 s[10:11], 40, v14
	s_and_saveexec_b64 s[12:13], s[10:11]
	s_cbranch_execnz .LBB45_1214
.LBB45_995:
	s_or_b64 exec, exec, s[12:13]
	v_cmp_gt_u32_e64 s[10:11], 32, v14
	s_and_saveexec_b64 s[12:13], s[10:11]
	s_cbranch_execnz .LBB45_1215
.LBB45_996:
	s_or_b64 exec, exec, s[12:13]
	v_cmp_gt_u32_e64 s[10:11], 24, v14
	s_and_saveexec_b64 s[12:13], s[10:11]
	s_cbranch_execnz .LBB45_1216
.LBB45_997:
	s_or_b64 exec, exec, s[12:13]
	v_cmp_gt_u32_e64 s[10:11], 16, v14
	s_and_saveexec_b64 s[12:13], s[10:11]
	s_cbranch_execnz .LBB45_1217
.LBB45_998:
	s_or_b64 exec, exec, s[12:13]
	v_cmp_gt_u32_e64 s[10:11], 8, v14
	s_and_saveexec_b64 s[12:13], s[10:11]
	s_cbranch_execz .LBB45_1000
.LBB45_999:
	v_lshlrev_b32_e32 v24, 3, v0
	v_mov_b32_e32 v26, 0
	ds_read_b64 v[24:25], v24 offset:28608
	ds_read_b64 v[26:27], v26 offset:25016
	s_waitcnt lgkmcnt(0)
	v_fma_f64 v[10:11], v[24:25], v[26:27], v[10:11]
.LBB45_1000:
	s_or_b64 exec, exec, s[12:13]
	v_xor_b32_e32 v11, 0x80000000, v11
.LBB45_1001:
	s_or_b64 exec, exec, s[0:1]
	s_and_saveexec_b64 s[0:1], s[60:61]
; %bb.1002:
	ds_write_b64 v23, v[10:11]
; %bb.1003:
	s_or_b64 exec, exec, s[0:1]
	s_waitcnt lgkmcnt(0)
	s_barrier
	s_and_saveexec_b64 s[0:1], s[62:63]
	s_cbranch_execz .LBB45_1005
; %bb.1004:
	ds_read_b64 v[24:25], v22 offset:29120
	ds_read_b64 v[26:27], v23
	s_waitcnt lgkmcnt(0)
	v_fma_f64 v[10:11], v[24:25], v[26:27], v[10:11]
.LBB45_1005:
	s_or_b64 exec, exec, s[0:1]
	s_barrier
	s_and_saveexec_b64 s[0:1], s[64:65]
; %bb.1006:
	ds_write_b64 v23, v[10:11]
; %bb.1007:
	s_or_b64 exec, exec, s[0:1]
	s_waitcnt lgkmcnt(0)
	s_barrier
	s_and_saveexec_b64 s[0:1], s[66:67]
	s_cbranch_execz .LBB45_1009
; %bb.1008:
	ds_read_b64 v[24:25], v22 offset:29632
	ds_read_b64 v[26:27], v23
	s_waitcnt lgkmcnt(0)
	v_fma_f64 v[10:11], v[24:25], v[26:27], v[10:11]
.LBB45_1009:
	s_or_b64 exec, exec, s[0:1]
	s_barrier
	s_and_saveexec_b64 s[0:1], s[68:69]
; %bb.1010:
	ds_write_b64 v23, v[10:11]
; %bb.1011:
	s_or_b64 exec, exec, s[0:1]
	s_waitcnt lgkmcnt(0)
	s_barrier
	s_and_saveexec_b64 s[0:1], s[72:73]
	s_cbranch_execz .LBB45_1013
; %bb.1012:
	ds_read_b64 v[24:25], v22 offset:30144
	ds_read_b64 v[26:27], v23
	s_waitcnt lgkmcnt(0)
	v_fma_f64 v[10:11], v[24:25], v[26:27], v[10:11]
.LBB45_1013:
	s_or_b64 exec, exec, s[0:1]
	s_barrier
	s_and_saveexec_b64 s[0:1], s[74:75]
; %bb.1014:
	ds_write_b64 v23, v[10:11]
; %bb.1015:
	s_or_b64 exec, exec, s[0:1]
	s_waitcnt lgkmcnt(0)
	s_barrier
	s_and_saveexec_b64 s[0:1], s[76:77]
	s_cbranch_execz .LBB45_1017
; %bb.1016:
	ds_read_b64 v[24:25], v22 offset:30656
	ds_read_b64 v[26:27], v23
	s_waitcnt lgkmcnt(0)
	v_fma_f64 v[10:11], v[24:25], v[26:27], v[10:11]
.LBB45_1017:
	s_or_b64 exec, exec, s[0:1]
	s_barrier
	s_and_saveexec_b64 s[0:1], s[78:79]
; %bb.1018:
	ds_write_b64 v23, v[10:11]
; %bb.1019:
	s_or_b64 exec, exec, s[0:1]
	s_waitcnt lgkmcnt(0)
	s_barrier
	s_and_saveexec_b64 s[0:1], s[80:81]
	s_cbranch_execz .LBB45_1021
; %bb.1020:
	ds_read_b64 v[24:25], v22 offset:31168
	ds_read_b64 v[26:27], v23
	s_waitcnt lgkmcnt(0)
	v_fma_f64 v[10:11], v[24:25], v[26:27], v[10:11]
.LBB45_1021:
	s_or_b64 exec, exec, s[0:1]
	s_barrier
	s_and_saveexec_b64 s[0:1], s[82:83]
; %bb.1022:
	ds_write_b64 v23, v[10:11]
; %bb.1023:
	s_or_b64 exec, exec, s[0:1]
	s_waitcnt lgkmcnt(0)
	s_barrier
	s_and_saveexec_b64 s[0:1], s[84:85]
	s_cbranch_execz .LBB45_1025
; %bb.1024:
	ds_read_b64 v[24:25], v22 offset:31680
	ds_read_b64 v[26:27], v23
	s_waitcnt lgkmcnt(0)
	v_fma_f64 v[10:11], v[24:25], v[26:27], v[10:11]
.LBB45_1025:
	s_or_b64 exec, exec, s[0:1]
	s_barrier
	s_and_saveexec_b64 s[0:1], s[86:87]
; %bb.1026:
	ds_write_b64 v23, v[10:11]
; %bb.1027:
	s_or_b64 exec, exec, s[0:1]
	s_waitcnt lgkmcnt(0)
	s_barrier
	s_and_saveexec_b64 s[0:1], s[70:71]
	s_cbranch_execz .LBB45_1029
; %bb.1028:
	v_mov_b32_e32 v22, 0
	ds_read_b64 v[24:25], v22 offset:32248
	ds_read_b64 v[26:27], v23
	s_waitcnt lgkmcnt(0)
	v_fma_f64 v[10:11], v[24:25], v[26:27], v[10:11]
.LBB45_1029:
	s_or_b64 exec, exec, s[0:1]
	s_barrier
	s_and_saveexec_b64 s[0:1], s[70:71]
; %bb.1030:
	ds_write_b64 v23, v[10:11]
; %bb.1031:
	s_or_b64 exec, exec, s[0:1]
	s_waitcnt lgkmcnt(0)
	s_barrier
	s_barrier
	s_and_saveexec_b64 s[0:1], s[8:9]
; %bb.1032:
	v_xor_b32_e32 v11, 0x80000000, v11
	ds_write_b64 v21, v[10:11] offset:25024
; %bb.1033:
	s_or_b64 exec, exec, s[0:1]
	s_waitcnt lgkmcnt(0)
	s_barrier
	s_barrier
	s_and_saveexec_b64 s[0:1], s[88:89]
	s_cbranch_execz .LBB45_1035
; %bb.1034:
	v_lshlrev_b32_e32 v21, 9, v0
	ds_read_b64 v[10:11], v21 offset:25024
	s_movk_i32 s8, 0xfe08
	v_mad_i32_i24 v22, v0, s8, v21
	s_waitcnt lgkmcnt(0)
	ds_write_b64 v22, v[10:11] offset:29056
	ds_read_b64 v[10:11], v21 offset:25032
	s_waitcnt lgkmcnt(0)
	ds_write_b64 v22, v[10:11] offset:29568
	ds_read_b64 v[10:11], v21 offset:25040
	;; [unrolled: 3-line block ×7, first 2 shown]
	s_waitcnt lgkmcnt(0)
	ds_write_b64 v22, v[10:11] offset:32640
.LBB45_1035:
	s_or_b64 exec, exec, s[0:1]
	s_waitcnt lgkmcnt(0)
	s_barrier
	s_and_saveexec_b64 s[0:1], vcc
	s_cbranch_execz .LBB45_1037
; %bb.1036:
	v_mov_b32_e32 v23, 0
	ds_read_b64 v[21:22], v23 offset:29128
	v_mov_b32_e32 v24, 0x3ff00000
	ds_write_b64 v23, v[23:24] offset:29120
	s_waitcnt lgkmcnt(1)
	ds_write_b128 v23, v[21:24] offset:29632
.LBB45_1037:
	s_or_b64 exec, exec, s[0:1]
	v_mov_b32_e32 v10, 0
	v_mov_b32_e32 v11, 0
	s_waitcnt lgkmcnt(0)
	s_barrier
	s_and_saveexec_b64 s[0:1], s[2:3]
	s_cbranch_execz .LBB45_1041
; %bb.1038:
	v_mul_u32_u24_e32 v21, 0x208, v15
	ds_read_b64 v[10:11], v12 offset:29136
	ds_read_b64 v[21:22], v21 offset:29120
	v_cmp_gt_u32_e64 s[8:9], 2, v14
	s_waitcnt lgkmcnt(0)
	v_fma_f64 v[10:11], v[10:11], v[21:22], 0
	s_and_saveexec_b64 s[10:11], s[8:9]
	s_cbranch_execz .LBB45_1040
; %bb.1039:
	v_lshlrev_b32_e32 v21, 3, v0
	v_mov_b32_e32 v23, 0
	ds_read_b64 v[21:22], v21 offset:29648
	ds_read_b64 v[23:24], v23 offset:29128
	s_waitcnt lgkmcnt(0)
	v_fma_f64 v[10:11], v[21:22], v[23:24], v[10:11]
.LBB45_1040:
	s_or_b64 exec, exec, s[10:11]
	v_xor_b32_e32 v11, 0x80000000, v11
.LBB45_1041:
	s_or_b64 exec, exec, s[0:1]
	s_and_saveexec_b64 s[0:1], s[30:31]
; %bb.1042:
	ds_write_b64 v13, v[10:11]
; %bb.1043:
	s_or_b64 exec, exec, s[0:1]
	s_waitcnt lgkmcnt(0)
	s_barrier
	s_and_saveexec_b64 s[0:1], s[28:29]
	s_cbranch_execz .LBB45_1045
; %bb.1044:
	v_mov_b32_e32 v21, 0
	ds_read_b64 v[21:22], v21 offset:30168
	ds_read_b64 v[23:24], v13
	s_waitcnt lgkmcnt(0)
	v_fma_f64 v[10:11], v[21:22], v[23:24], v[10:11]
.LBB45_1045:
	s_or_b64 exec, exec, s[0:1]
	s_barrier
	s_and_saveexec_b64 s[0:1], s[28:29]
; %bb.1046:
	ds_write_b64 v13, v[10:11]
; %bb.1047:
	s_or_b64 exec, exec, s[0:1]
	s_waitcnt lgkmcnt(0)
	s_barrier
	s_barrier
	s_and_saveexec_b64 s[0:1], s[2:3]
; %bb.1048:
	v_xor_b32_e32 v11, 0x80000000, v11
	ds_write_b64 v12, v[10:11] offset:29136
; %bb.1049:
	s_or_b64 exec, exec, s[0:1]
	s_waitcnt lgkmcnt(0)
	s_barrier
	s_barrier
	s_and_saveexec_b64 s[0:1], s[34:35]
	s_cbranch_execz .LBB45_1051
; %bb.1050:
	v_lshlrev_b32_e32 v21, 3, v0
	s_movk_i32 s8, 0x1f8
	v_mad_u32_u24 v22, v0, s8, v21
	ds_read_b64 v[10:11], v22 offset:29136
	s_waitcnt lgkmcnt(0)
	ds_write_b64 v21, v[10:11] offset:30144
	ds_read_b64 v[10:11], v22 offset:29144
	s_waitcnt lgkmcnt(0)
	ds_write_b64 v21, v[10:11] offset:30656
.LBB45_1051:
	s_or_b64 exec, exec, s[0:1]
	s_waitcnt lgkmcnt(0)
	s_barrier
	s_and_saveexec_b64 s[0:1], vcc
	s_cbranch_execz .LBB45_1053
; %bb.1052:
	v_mov_b32_e32 v23, 0
	ds_read_b64 v[21:22], v23 offset:30168
	v_mov_b32_e32 v24, 0x3ff00000
	ds_write_b64 v23, v[23:24] offset:30160
	s_waitcnt lgkmcnt(1)
	ds_write_b128 v23, v[21:24] offset:30672
.LBB45_1053:
	s_or_b64 exec, exec, s[0:1]
	v_mov_b32_e32 v10, 0
	v_mov_b32_e32 v11, 0
	s_waitcnt lgkmcnt(0)
	s_barrier
	s_and_saveexec_b64 s[0:1], s[18:19]
	s_cbranch_execz .LBB45_1059
; %bb.1054:
	v_mul_u32_u24_e32 v21, 0x208, v20
	ds_read_b64 v[10:11], v16 offset:29152
	ds_read_b64 v[22:23], v21 offset:29120
	v_cmp_gt_u32_e64 s[8:9], 12, v14
	s_waitcnt lgkmcnt(0)
	v_fma_f64 v[10:11], v[10:11], v[22:23], 0
	s_and_saveexec_b64 s[10:11], s[8:9]
	s_cbranch_execnz .LBB45_1218
; %bb.1055:
	s_or_b64 exec, exec, s[10:11]
	v_cmp_gt_u32_e64 s[8:9], 8, v14
	s_and_saveexec_b64 s[10:11], s[8:9]
	s_cbranch_execnz .LBB45_1219
.LBB45_1056:
	s_or_b64 exec, exec, s[10:11]
	v_cmp_gt_u32_e64 s[8:9], 4, v14
	s_and_saveexec_b64 s[10:11], s[8:9]
	s_cbranch_execz .LBB45_1058
.LBB45_1057:
	v_lshlrev_b32_e32 v19, 3, v0
	v_mov_b32_e32 v21, 0
	ds_read_b64 v[19:20], v19 offset:30688
	ds_read_b64 v[21:22], v21 offset:29144
	s_waitcnt lgkmcnt(0)
	v_fma_f64 v[10:11], v[19:20], v[21:22], v[10:11]
.LBB45_1058:
	s_or_b64 exec, exec, s[10:11]
	v_xor_b32_e32 v11, 0x80000000, v11
.LBB45_1059:
	s_or_b64 exec, exec, s[0:1]
	s_and_saveexec_b64 s[0:1], s[38:39]
; %bb.1060:
	ds_write_b64 v18, v[10:11]
; %bb.1061:
	s_or_b64 exec, exec, s[0:1]
	s_waitcnt lgkmcnt(0)
	s_barrier
	s_and_saveexec_b64 s[0:1], s[42:43]
	v_readlane_b32 s38, v40, 1
	v_readlane_b32 s39, v40, 2
	s_cbranch_execz .LBB45_1063
; %bb.1062:
	ds_read_b64 v[19:20], v17 offset:31200
	ds_read_b64 v[21:22], v18
	s_waitcnt lgkmcnt(0)
	v_fma_f64 v[10:11], v[19:20], v[21:22], v[10:11]
.LBB45_1063:
	s_or_b64 exec, exec, s[0:1]
	s_barrier
	s_and_saveexec_b64 s[0:1], s[52:53]
; %bb.1064:
	ds_write_b64 v18, v[10:11]
; %bb.1065:
	s_or_b64 exec, exec, s[0:1]
	s_waitcnt lgkmcnt(0)
	s_barrier
	s_and_saveexec_b64 s[0:1], s[54:55]
	s_cbranch_execz .LBB45_1067
; %bb.1066:
	ds_read_b64 v[19:20], v17 offset:31712
	ds_read_b64 v[21:22], v18
	s_waitcnt lgkmcnt(0)
	v_fma_f64 v[10:11], v[19:20], v[21:22], v[10:11]
.LBB45_1067:
	s_or_b64 exec, exec, s[0:1]
	s_barrier
	s_and_saveexec_b64 s[0:1], s[56:57]
; %bb.1068:
	ds_write_b64 v18, v[10:11]
; %bb.1069:
	s_or_b64 exec, exec, s[0:1]
	s_waitcnt lgkmcnt(0)
	s_barrier
	s_and_saveexec_b64 s[0:1], s[36:37]
	s_cbranch_execz .LBB45_1071
; %bb.1070:
	v_mov_b32_e32 v17, 0
	ds_read_b64 v[19:20], v17 offset:32248
	ds_read_b64 v[21:22], v18
	s_waitcnt lgkmcnt(0)
	v_fma_f64 v[10:11], v[19:20], v[21:22], v[10:11]
.LBB45_1071:
	s_or_b64 exec, exec, s[0:1]
	s_barrier
	s_and_saveexec_b64 s[0:1], s[36:37]
; %bb.1072:
	ds_write_b64 v18, v[10:11]
; %bb.1073:
	s_or_b64 exec, exec, s[0:1]
	s_waitcnt lgkmcnt(0)
	s_barrier
	s_barrier
	s_and_saveexec_b64 s[0:1], s[18:19]
; %bb.1074:
	v_xor_b32_e32 v11, 0x80000000, v11
	ds_write_b64 v16, v[10:11] offset:29152
; %bb.1075:
	s_or_b64 exec, exec, s[0:1]
	s_waitcnt lgkmcnt(0)
	s_barrier
	s_barrier
	s_and_saveexec_b64 s[0:1], s[58:59]
	s_cbranch_execz .LBB45_1077
; %bb.1076:
	v_lshlrev_b32_e32 v16, 9, v0
	ds_read_b64 v[10:11], v16 offset:29152
	s_movk_i32 s8, 0xfe08
	v_mad_i32_i24 v17, v0, s8, v16
	s_waitcnt lgkmcnt(0)
	ds_write_b64 v17, v[10:11] offset:31168
	ds_read_b64 v[10:11], v16 offset:29160
	s_waitcnt lgkmcnt(0)
	ds_write_b64 v17, v[10:11] offset:31680
	ds_read_b64 v[10:11], v16 offset:29168
	s_waitcnt lgkmcnt(0)
	ds_write_b64 v17, v[10:11] offset:32192
	ds_read_b64 v[10:11], v16 offset:29176
	s_waitcnt lgkmcnt(0)
	ds_write_b64 v17, v[10:11] offset:32704
.LBB45_1077:
	s_or_b64 exec, exec, s[0:1]
	s_waitcnt lgkmcnt(0)
	s_barrier
	s_and_saveexec_b64 s[0:1], vcc
	s_cbranch_execz .LBB45_1079
; %bb.1078:
	v_mov_b32_e32 v18, 0
	ds_read_b64 v[16:17], v18 offset:31208
	v_mov_b32_e32 v19, 0x3ff00000
	ds_write_b64 v18, v[18:19] offset:31200
	s_waitcnt lgkmcnt(1)
	ds_write_b128 v18, v[16:19] offset:31712
.LBB45_1079:
	s_or_b64 exec, exec, s[0:1]
	v_mov_b32_e32 v10, 0
	v_mov_b32_e32 v11, 0
	s_waitcnt lgkmcnt(0)
	s_barrier
	s_and_saveexec_b64 s[0:1], s[2:3]
	s_cbranch_execz .LBB45_1083
; %bb.1080:
	v_mul_u32_u24_e32 v15, 0x208, v15
	ds_read_b64 v[10:11], v12 offset:31216
	ds_read_b64 v[15:16], v15 offset:31200
	v_cmp_gt_u32_e64 s[8:9], 2, v14
	s_waitcnt lgkmcnt(0)
	v_fma_f64 v[10:11], v[10:11], v[15:16], 0
	s_and_saveexec_b64 s[10:11], s[8:9]
	s_cbranch_execz .LBB45_1082
; %bb.1081:
	v_lshlrev_b32_e32 v14, 3, v0
	v_mov_b32_e32 v16, 0
	ds_read_b64 v[14:15], v14 offset:31728
	ds_read_b64 v[16:17], v16 offset:31208
	s_waitcnt lgkmcnt(0)
	v_fma_f64 v[10:11], v[14:15], v[16:17], v[10:11]
.LBB45_1082:
	s_or_b64 exec, exec, s[10:11]
	v_xor_b32_e32 v11, 0x80000000, v11
.LBB45_1083:
	s_or_b64 exec, exec, s[0:1]
	s_and_saveexec_b64 s[0:1], s[30:31]
; %bb.1084:
	ds_write_b64 v13, v[10:11]
; %bb.1085:
	s_or_b64 exec, exec, s[0:1]
	s_waitcnt lgkmcnt(0)
	s_barrier
	s_and_saveexec_b64 s[0:1], s[28:29]
	s_load_dword s19, s[4:5], 0x6c
	v_readlane_b32 s18, v40, 0
	s_cbranch_execz .LBB45_1087
; %bb.1086:
	v_mov_b32_e32 v14, 0
	ds_read_b64 v[14:15], v14 offset:32248
	ds_read_b64 v[16:17], v13
	s_waitcnt lgkmcnt(0)
	v_fma_f64 v[10:11], v[14:15], v[16:17], v[10:11]
.LBB45_1087:
	s_or_b64 exec, exec, s[0:1]
	s_waitcnt lgkmcnt(0)
	s_barrier
	s_and_saveexec_b64 s[0:1], s[28:29]
; %bb.1088:
	ds_write_b64 v13, v[10:11]
; %bb.1089:
	s_or_b64 exec, exec, s[0:1]
	s_waitcnt lgkmcnt(0)
	s_barrier
	s_barrier
	s_and_saveexec_b64 s[0:1], s[2:3]
; %bb.1090:
	v_xor_b32_e32 v11, 0x80000000, v11
	ds_write_b64 v12, v[10:11] offset:31216
; %bb.1091:
	s_or_b64 exec, exec, s[0:1]
	s_waitcnt lgkmcnt(0)
	s_barrier
	s_barrier
	s_and_saveexec_b64 s[0:1], s[34:35]
	s_cbranch_execz .LBB45_1093
; %bb.1092:
	v_lshlrev_b32_e32 v12, 3, v0
	s_movk_i32 s2, 0x1f8
	v_mad_u32_u24 v13, v0, s2, v12
	ds_read_b64 v[10:11], v13 offset:31216
	s_waitcnt lgkmcnt(0)
	ds_write_b64 v12, v[10:11] offset:32224
	ds_read_b64 v[10:11], v13 offset:31224
	s_waitcnt lgkmcnt(0)
	ds_write_b64 v12, v[10:11] offset:32736
.LBB45_1093:
	s_or_b64 exec, exec, s[0:1]
	s_waitcnt lgkmcnt(0)
	s_barrier
	s_and_saveexec_b64 s[0:1], vcc
	s_cbranch_execz .LBB45_1095
; %bb.1094:
	v_mov_b32_e32 v12, 0
	ds_read_b64 v[10:11], v12 offset:32248
	v_mov_b32_e32 v13, 0x3ff00000
	ds_write_b64 v12, v[12:13] offset:32240
	s_waitcnt lgkmcnt(1)
	ds_write_b128 v12, v[10:13] offset:32752
.LBB45_1095:
	s_or_b64 exec, exec, s[0:1]
.LBB45_1096:
	s_load_dwordx4 s[12:15], s[4:5], 0x48
	v_cmp_le_i32_e32 vcc, s90, v0
	v_mov_b32_e32 v10, 0
	v_mov_b32_e32 v11, 0
	v_lshl_add_u32 v12, s33, 6, v0
	s_waitcnt lgkmcnt(0)
	s_mul_i32 s1, s13, s22
	s_mul_hi_u32 s2, s12, s22
	s_mul_i32 s0, s12, s22
	s_add_i32 s1, s2, s1
	s_lshl_b64 s[0:1], s[0:1], 3
	s_add_u32 s2, s46, s0
	s_addc_u32 s3, s47, s1
	s_lshl_b64 s[0:1], s[48:49], 3
	s_add_u32 s20, s2, s0
	s_addc_u32 s21, s3, s1
	s_and_b64 s[16:17], vcc, s[26:27]
	v_cmp_eq_u32_e64 s[2:3], 0, v1
	s_xor_b64 s[0:1], s[16:17], -1
	s_and_b64 s[4:5], s[2:3], s[0:1]
	s_barrier
	s_and_saveexec_b64 s[0:1], s[4:5]
	s_cbranch_execz .LBB45_1098
; %bb.1097:
	v_ashrrev_i32_e32 v13, 31, v12
	v_mul_lo_u32 v14, s51, v12
	v_mad_u64_u32 v[10:11], s[4:5], s50, v12, 0
	v_mul_lo_u32 v13, s50, v13
	v_add3_u32 v11, v11, v13, v14
	v_lshlrev_b64 v[10:11], 3, v[10:11]
	v_mov_b32_e32 v13, s21
	v_add_co_u32_e32 v10, vcc, s20, v10
	v_addc_co_u32_e32 v11, vcc, v13, v11, vcc
	global_load_dwordx2 v[10:11], v[10:11], off
	s_waitcnt vmcnt(0)
	v_mul_f64 v[10:11], v[10:11], -s[44:45]
.LBB45_1098:
	s_or_b64 exec, exec, s[0:1]
	s_and_b32 s0, 0xffff, s19
	v_mad_u32_u24 v17, v1, s0, v0
	v_mov_b32_e32 v18, 0
	s_cmp_lt_i32 s6, 1
	v_cmp_eq_u32_e64 s[4:5], 0, v17
	s_cbranch_scc1 .LBB45_1124
; %bb.1099:
	v_ashrrev_i32_e32 v15, 31, v12
	v_mul_lo_u32 v16, s41, v12
	v_mad_u64_u32 v[13:14], s[0:1], s40, v12, 0
	v_mul_lo_u32 v15, s40, v15
	v_cmp_gt_i32_e64 s[8:9], s24, v12
	s_lshl_b64 s[0:1], s[22:23], 2
	s_add_u32 s0, s14, s0
	v_add3_u32 v14, v14, v15, v16
	v_lshlrev_b64 v[12:13], 3, v[13:14]
	v_mov_b32_e32 v15, 0xa000
	v_mov_b32_e32 v14, s91
	v_add_co_u32_e32 v21, vcc, s18, v12
	s_mov_b32 s28, 0
	s_addc_u32 s1, s15, s1
	v_cmp_gt_u32_e64 s[12:13], 64, v17
	v_lshl_add_u32 v19, v17, 3, v15
	v_lshl_or_b32 v20, v1, 3, v15
	s_add_i32 s29, s33, 1
	v_addc_co_u32_e32 v22, vcc, v14, v13, vcc
	v_mov_b32_e32 v23, -1
	s_branch .LBB45_1102
.LBB45_1100:                            ;   in Loop: Header=BB45_1102 Depth=1
	ds_read_b64 v[12:13], v20 offset:384
	s_waitcnt vmcnt(0) lgkmcnt(0)
	v_fma_f64 v[10:11], v[14:15], v[12:13], v[10:11]
.LBB45_1101:                            ;   in Loop: Header=BB45_1102 Depth=1
	s_or_b64 exec, exec, s[18:19]
	s_add_i32 s28, s28, 1
	s_cmp_eq_u32 s28, s6
	s_cbranch_scc1 .LBB45_1124
.LBB45_1102:                            ; =>This Loop Header: Depth=1
                                        ;     Child Loop BB45_1104 Depth 2
	v_cmp_gt_i32_e32 vcc, s28, v23
	s_and_b64 s[18:19], s[4:5], vcc
	s_and_saveexec_b64 s[10:11], s[18:19]
	s_cbranch_execz .LBB45_1105
; %bb.1103:                             ;   in Loop: Header=BB45_1102 Depth=1
	global_load_dword v23, v18, s[0:1]
	s_waitcnt vmcnt(0)
	v_cmp_le_i32_e32 vcc, s28, v23
	s_cbranch_vccnz .LBB45_1105
.LBB45_1104:                            ;   Parent Loop BB45_1102 Depth=1
                                        ; =>  This Inner Loop Header: Depth=2
	buffer_wbinvl1_vol
	global_load_dword v23, v18, s[0:1]
	s_waitcnt vmcnt(0)
	v_cmp_gt_i32_e32 vcc, s28, v23
	s_cbranch_vccnz .LBB45_1104
.LBB45_1105:                            ;   in Loop: Header=BB45_1102 Depth=1
	s_or_b64 exec, exec, s[10:11]
	s_sub_i32 s30, s7, s28
	s_lshl_b32 s31, s30, 6
	buffer_wbinvl1_vol
	s_barrier
	s_and_saveexec_b64 s[10:11], s[12:13]
	s_cbranch_execz .LBB45_1109
; %bb.1106:                             ;   in Loop: Header=BB45_1102 Depth=1
	s_ashr_i32 s18, s31, 31
	v_mov_b32_e32 v13, s18
	v_or_b32_e32 v12, s31, v17
	v_cmp_gt_i64_e32 vcc, s[24:25], v[12:13]
	v_mov_b32_e32 v14, 0
	v_mov_b32_e32 v15, 0
	s_and_saveexec_b64 s[18:19], vcc
	s_cbranch_execz .LBB45_1108
; %bb.1107:                             ;   in Loop: Header=BB45_1102 Depth=1
	v_mul_lo_u32 v14, v13, s50
	v_mul_lo_u32 v15, v12, s51
	v_mad_u64_u32 v[12:13], s[34:35], v12, s50, 0
	v_add3_u32 v13, v13, v15, v14
	v_lshlrev_b64 v[12:13], 3, v[12:13]
	v_mov_b32_e32 v14, s21
	v_add_co_u32_e32 v12, vcc, s20, v12
	v_addc_co_u32_e32 v13, vcc, v14, v13, vcc
	global_load_dwordx2 v[14:15], v[12:13], off
.LBB45_1108:                            ;   in Loop: Header=BB45_1102 Depth=1
	s_or_b64 exec, exec, s[18:19]
	s_waitcnt vmcnt(0)
	ds_write_b64 v19, v[14:15]
.LBB45_1109:                            ;   in Loop: Header=BB45_1102 Depth=1
	s_or_b64 exec, exec, s[10:11]
	v_add_u32_e32 v14, s31, v1
	v_ashrrev_i32_e32 v15, 31, v14
	v_lshlrev_b64 v[12:13], 3, v[14:15]
	s_cmp_lg_u32 s30, s29
	v_add_co_u32_e32 v12, vcc, v21, v12
	s_cselect_b64 s[10:11], -1, 0
	v_addc_co_u32_e32 v13, vcc, v22, v13, vcc
	v_cmp_gt_i32_e32 vcc, s24, v14
	v_cndmask_b32_e64 v15, 0, 1, s[10:11]
	s_and_b64 s[30:31], vcc, s[8:9]
	v_cmp_ne_u32_e64 s[10:11], 1, v15
	s_waitcnt lgkmcnt(0)
	s_barrier
	s_and_saveexec_b64 s[18:19], s[30:31]
	s_cbranch_execz .LBB45_1113
; %bb.1110:                             ;   in Loop: Header=BB45_1102 Depth=1
	v_mov_b32_e32 v16, v5
	s_and_b64 vcc, exec, s[10:11]
	v_mov_b32_e32 v15, v4
	s_cbranch_vccnz .LBB45_1112
; %bb.1111:                             ;   in Loop: Header=BB45_1102 Depth=1
	global_load_dwordx2 v[15:16], v[12:13], off
.LBB45_1112:                            ;   in Loop: Header=BB45_1102 Depth=1
	ds_read_b64 v[24:25], v20
	s_waitcnt vmcnt(0) lgkmcnt(0)
	v_fma_f64 v[10:11], v[15:16], v[24:25], v[10:11]
.LBB45_1113:                            ;   in Loop: Header=BB45_1102 Depth=1
	s_or_b64 exec, exec, s[18:19]
	v_add_u32_e32 v15, 16, v14
	v_cmp_gt_i32_e32 vcc, s24, v15
	s_and_b64 s[30:31], vcc, s[8:9]
	s_and_saveexec_b64 s[18:19], s[30:31]
	s_cbranch_execz .LBB45_1117
; %bb.1114:                             ;   in Loop: Header=BB45_1102 Depth=1
	v_mov_b32_e32 v16, v3
	s_and_b64 vcc, exec, s[10:11]
	v_mov_b32_e32 v15, v2
	s_cbranch_vccnz .LBB45_1116
; %bb.1115:                             ;   in Loop: Header=BB45_1102 Depth=1
	global_load_dwordx2 v[15:16], v[12:13], off offset:128
.LBB45_1116:                            ;   in Loop: Header=BB45_1102 Depth=1
	ds_read_b64 v[24:25], v20 offset:128
	s_waitcnt vmcnt(0) lgkmcnt(0)
	v_fma_f64 v[10:11], v[15:16], v[24:25], v[10:11]
.LBB45_1117:                            ;   in Loop: Header=BB45_1102 Depth=1
	s_or_b64 exec, exec, s[18:19]
	v_add_u32_e32 v15, 32, v14
	v_cmp_gt_i32_e32 vcc, s24, v15
	s_and_b64 s[30:31], vcc, s[8:9]
	s_and_saveexec_b64 s[18:19], s[30:31]
	s_cbranch_execz .LBB45_1121
; %bb.1118:                             ;   in Loop: Header=BB45_1102 Depth=1
	v_mov_b32_e32 v16, v9
	s_and_b64 vcc, exec, s[10:11]
	v_mov_b32_e32 v15, v8
	s_cbranch_vccnz .LBB45_1120
; %bb.1119:                             ;   in Loop: Header=BB45_1102 Depth=1
	global_load_dwordx2 v[15:16], v[12:13], off offset:256
.LBB45_1120:                            ;   in Loop: Header=BB45_1102 Depth=1
	ds_read_b64 v[24:25], v20 offset:256
	s_waitcnt vmcnt(0) lgkmcnt(0)
	v_fma_f64 v[10:11], v[15:16], v[24:25], v[10:11]
.LBB45_1121:                            ;   in Loop: Header=BB45_1102 Depth=1
	s_or_b64 exec, exec, s[18:19]
	v_add_u32_e32 v14, 48, v14
	v_cmp_gt_i32_e32 vcc, s24, v14
	s_and_b64 s[30:31], vcc, s[8:9]
	s_and_saveexec_b64 s[18:19], s[30:31]
	s_cbranch_execz .LBB45_1101
; %bb.1122:                             ;   in Loop: Header=BB45_1102 Depth=1
	v_mov_b32_e32 v15, v7
	s_and_b64 vcc, exec, s[10:11]
	v_mov_b32_e32 v14, v6
	s_cbranch_vccnz .LBB45_1100
; %bb.1123:                             ;   in Loop: Header=BB45_1102 Depth=1
	global_load_dwordx2 v[14:15], v[12:13], off offset:384
	s_branch .LBB45_1100
.LBB45_1124:
	v_lshl_add_u32 v2, v1, 6, v0
	s_xor_b64 s[0:1], s[26:27], -1
	v_lshlrev_b32_e32 v4, 3, v2
	ds_write_b64 v4, v[10:11] offset:32768
	s_waitcnt lgkmcnt(0)
	s_barrier
	s_and_saveexec_b64 s[4:5], s[2:3]
	s_cbranch_execz .LBB45_1126
; %bb.1125:
	v_lshlrev_b32_e32 v15, 3, v0
	ds_read2st64_b64 v[5:8], v15 offset0:65 offset1:66
	ds_read_b64 v[2:3], v15 offset:40448
	s_waitcnt lgkmcnt(1)
	v_add_f64 v[5:6], v[10:11], v[5:6]
	v_add_f64 v[13:14], v[5:6], v[7:8]
	ds_read2st64_b64 v[5:8], v15 offset0:67 offset1:68
	ds_read2st64_b64 v[9:12], v15 offset0:69 offset1:70
	s_waitcnt lgkmcnt(1)
	v_add_f64 v[5:6], v[13:14], v[5:6]
	v_add_f64 v[5:6], v[5:6], v[7:8]
	s_waitcnt lgkmcnt(0)
	v_add_f64 v[5:6], v[5:6], v[9:10]
	v_add_f64 v[13:14], v[5:6], v[11:12]
	ds_read2st64_b64 v[5:8], v15 offset0:71 offset1:72
	ds_read2st64_b64 v[9:12], v15 offset0:73 offset1:74
	s_waitcnt lgkmcnt(1)
	v_add_f64 v[5:6], v[13:14], v[5:6]
	v_add_f64 v[5:6], v[5:6], v[7:8]
	;; [unrolled: 8-line block ×3, first 2 shown]
	s_waitcnt lgkmcnt(0)
	v_add_f64 v[5:6], v[5:6], v[9:10]
	v_add_f64 v[5:6], v[5:6], v[11:12]
	;; [unrolled: 1-line block ×3, first 2 shown]
	v_xor_b32_e32 v3, 0x80000000, v3
	v_cndmask_b32_e64 v11, v3, 0, s[16:17]
	v_cndmask_b32_e64 v10, v2, 0, s[16:17]
.LBB45_1126:
	s_or_b64 exec, exec, s[4:5]
	s_and_b64 vcc, exec, s[38:39]
	s_cbranch_vccnz .LBB45_1140
; %bb.1127:
	v_mov_b32_e32 v2, 0xa000
	v_lshl_or_b32 v5, v1, 3, v2
	s_and_saveexec_b64 s[4:5], s[2:3]
; %bb.1128:
	v_lshl_add_u32 v2, v0, 3, v5
	ds_write_b64 v2, v[10:11]
; %bb.1129:
	s_or_b64 exec, exec, s[4:5]
	v_mov_b32_e32 v2, 0
	v_mov_b32_e32 v3, 0
	v_cmp_le_u32_e32 vcc, v0, v1
	s_waitcnt lgkmcnt(0)
	s_barrier
	s_and_saveexec_b64 s[4:5], vcc
	s_cbranch_execz .LBB45_1131
; %bb.1130:
	ds_read_b64 v[2:3], v4
	ds_read_b64 v[6:7], v5
	s_waitcnt lgkmcnt(0)
	v_fma_f64 v[2:3], v[2:3], v[6:7], 0
.LBB45_1131:
	s_or_b64 exec, exec, s[4:5]
	v_add_u32_e32 v6, 16, v1
	v_cmp_le_u32_e32 vcc, v0, v6
	s_and_saveexec_b64 s[4:5], vcc
	s_cbranch_execz .LBB45_1133
; %bb.1132:
	ds_read_b64 v[6:7], v4 offset:8192
	ds_read_b64 v[8:9], v5 offset:128
	s_waitcnt lgkmcnt(0)
	v_fma_f64 v[2:3], v[6:7], v[8:9], v[2:3]
.LBB45_1133:
	s_or_b64 exec, exec, s[4:5]
	v_add_u32_e32 v6, 32, v1
	v_cmp_le_u32_e32 vcc, v0, v6
	s_and_saveexec_b64 s[4:5], vcc
	s_cbranch_execz .LBB45_1135
; %bb.1134:
	ds_read_b64 v[6:7], v4 offset:16384
	ds_read_b64 v[8:9], v5 offset:256
	s_waitcnt lgkmcnt(0)
	v_fma_f64 v[2:3], v[6:7], v[8:9], v[2:3]
.LBB45_1135:
	s_or_b64 exec, exec, s[4:5]
	v_add_u32_e32 v1, 48, v1
	v_add_u32_e32 v6, 0x8000, v4
	v_cmp_le_u32_e32 vcc, v0, v1
	s_and_saveexec_b64 s[4:5], vcc
	s_cbranch_execz .LBB45_1137
; %bb.1136:
	ds_read_b64 v[7:8], v4 offset:24576
	ds_read_b64 v[4:5], v5 offset:384
	s_waitcnt lgkmcnt(0)
	v_fma_f64 v[2:3], v[7:8], v[4:5], v[2:3]
.LBB45_1137:
	s_or_b64 exec, exec, s[4:5]
	s_mov_b64 s[6:7], 0
	s_mov_b64 s[4:5], 0
	ds_write_b64 v6, v[2:3]
	s_waitcnt lgkmcnt(0)
	s_barrier
                                        ; implicit-def: $vgpr4_vgpr5
	s_and_saveexec_b64 s[8:9], s[2:3]
	s_cbranch_execz .LBB45_1166
; %bb.1138:
	v_lshlrev_b32_e32 v9, 3, v0
	ds_read2st64_b64 v[4:7], v9 offset0:65 offset1:66
	ds_read_b64 v[12:13], v9 offset:40448
	s_mov_b64 s[4:5], exec
	s_waitcnt lgkmcnt(1)
	v_add_f64 v[1:2], v[2:3], v[4:5]
	v_add_f64 v[14:15], v[6:7], v[1:2]
	ds_read2st64_b64 v[1:4], v9 offset0:67 offset1:68
	ds_read2st64_b64 v[5:8], v9 offset0:69 offset1:70
	s_waitcnt lgkmcnt(1)
	v_add_f64 v[1:2], v[1:2], v[14:15]
	v_add_f64 v[1:2], v[3:4], v[1:2]
	s_waitcnt lgkmcnt(0)
	v_add_f64 v[1:2], v[5:6], v[1:2]
	v_add_f64 v[14:15], v[7:8], v[1:2]
	ds_read2st64_b64 v[1:4], v9 offset0:71 offset1:72
	ds_read2st64_b64 v[5:8], v9 offset0:73 offset1:74
	s_waitcnt lgkmcnt(1)
	v_add_f64 v[1:2], v[1:2], v[14:15]
	v_add_f64 v[1:2], v[3:4], v[1:2]
	;; [unrolled: 8-line block ×3, first 2 shown]
	s_waitcnt lgkmcnt(0)
	v_add_f64 v[1:2], v[5:6], v[1:2]
	v_add_f64 v[1:2], v[7:8], v[1:2]
	;; [unrolled: 1-line block ×3, first 2 shown]
	s_or_b64 exec, exec, s[8:9]
	s_and_b64 vcc, exec, s[6:7]
	s_cbranch_vccnz .LBB45_1141
	s_branch .LBB45_1167
.LBB45_1139:
	v_mad_u64_u32 v[12:13], s[2:3], s40, v15, 0
	s_or_b64 s[10:11], s[10:11], exec
	v_mad_u64_u32 v[13:14], s[2:3], s41, v15, v[13:14]
	v_lshlrev_b64 v[12:13], 3, v[12:13]
	v_add_co_u32_e32 v10, vcc, v10, v12
	v_addc_co_u32_e32 v11, vcc, v11, v13, vcc
	global_load_dwordx2 v[12:13], v[10:11], off
	s_waitcnt vmcnt(0)
	v_xor_b32_e32 v13, 0x80000000, v13
	s_or_b64 exec, exec, s[8:9]
	s_xor_b64 s[0:1], s[0:1], -1
	s_and_saveexec_b64 s[2:3], s[10:11]
	s_cbranch_execnz .LBB45_57
	s_branch .LBB45_58
.LBB45_1140:
	s_mov_b64 s[4:5], 0
                                        ; implicit-def: $vgpr4_vgpr5
	s_cbranch_execz .LBB45_1167
.LBB45_1141:
	v_mov_b32_e32 v1, 0x7800
	v_lshl_add_u32 v1, v0, 3, v1
	v_mov_b32_e32 v3, 63
	v_mov_b32_e32 v2, 0
	s_branch .LBB45_1143
.LBB45_1142:                            ;   in Loop: Header=BB45_1143 Depth=1
	s_or_b64 exec, exec, s[6:7]
	v_subrev_co_u32_e32 v3, vcc, 1, v3
	s_andn2_b64 vcc, exec, vcc
	v_add_u32_e32 v1, 0xfffff800, v1
	s_barrier
	s_cbranch_vccz .LBB45_1159
.LBB45_1143:                            ; =>This Inner Loop Header: Depth=1
	v_cmp_eq_u32_e32 vcc, v0, v3
	s_and_b64 s[8:9], s[2:3], vcc
	s_and_saveexec_b64 s[6:7], s[8:9]
; %bb.1144:                             ;   in Loop: Header=BB45_1143 Depth=1
	ds_write_b64 v2, v[10:11] offset:41472
; %bb.1145:                             ;   in Loop: Header=BB45_1143 Depth=1
	s_or_b64 exec, exec, s[6:7]
	v_cmp_lt_u32_e32 vcc, v0, v3
	s_and_b64 s[8:9], s[2:3], vcc
	s_waitcnt lgkmcnt(0)
	s_barrier
	s_and_saveexec_b64 s[6:7], s[8:9]
	s_cbranch_execz .LBB45_1147
; %bb.1146:                             ;   in Loop: Header=BB45_1143 Depth=1
	ds_read_b64 v[4:5], v1 offset:1536
	ds_read_b64 v[6:7], v2 offset:41472
	s_waitcnt lgkmcnt(0)
	v_fma_f64 v[10:11], v[4:5], v[6:7], v[10:11]
.LBB45_1147:                            ;   in Loop: Header=BB45_1143 Depth=1
	s_or_b64 exec, exec, s[6:7]
	v_add_u32_e32 v3, -1, v3
	v_cmp_eq_u32_e32 vcc, v0, v3
	s_and_b64 s[8:9], s[2:3], vcc
	s_barrier
	s_and_saveexec_b64 s[6:7], s[8:9]
; %bb.1148:                             ;   in Loop: Header=BB45_1143 Depth=1
	ds_write_b64 v2, v[10:11] offset:41472
; %bb.1149:                             ;   in Loop: Header=BB45_1143 Depth=1
	s_or_b64 exec, exec, s[6:7]
	v_cmp_lt_u32_e32 vcc, v0, v3
	s_and_b64 s[8:9], s[2:3], vcc
	s_waitcnt lgkmcnt(0)
	s_barrier
	s_and_saveexec_b64 s[6:7], s[8:9]
	s_cbranch_execz .LBB45_1151
; %bb.1150:                             ;   in Loop: Header=BB45_1143 Depth=1
	ds_read_b64 v[4:5], v1 offset:1024
	ds_read_b64 v[6:7], v2 offset:41472
	s_waitcnt lgkmcnt(0)
	v_fma_f64 v[10:11], v[4:5], v[6:7], v[10:11]
.LBB45_1151:                            ;   in Loop: Header=BB45_1143 Depth=1
	s_or_b64 exec, exec, s[6:7]
	v_add_u32_e32 v3, -1, v3
	v_cmp_eq_u32_e32 vcc, v0, v3
	s_and_b64 s[8:9], s[2:3], vcc
	s_barrier
	;; [unrolled: 22-line block ×3, first 2 shown]
	s_and_saveexec_b64 s[6:7], s[8:9]
; %bb.1156:                             ;   in Loop: Header=BB45_1143 Depth=1
	ds_write_b64 v2, v[10:11] offset:41472
; %bb.1157:                             ;   in Loop: Header=BB45_1143 Depth=1
	s_or_b64 exec, exec, s[6:7]
	v_cmp_lt_u32_e32 vcc, v0, v3
	s_and_b64 s[8:9], s[2:3], vcc
	s_waitcnt lgkmcnt(0)
	s_barrier
	s_and_saveexec_b64 s[6:7], s[8:9]
	s_cbranch_execz .LBB45_1142
; %bb.1158:                             ;   in Loop: Header=BB45_1143 Depth=1
	ds_read_b64 v[4:5], v1
	ds_read_b64 v[6:7], v2 offset:41472
	s_waitcnt lgkmcnt(0)
	v_fma_f64 v[10:11], v[4:5], v[6:7], v[10:11]
	s_branch .LBB45_1142
.LBB45_1159:
	s_mov_b64 s[6:7], -1
	s_and_b64 vcc, exec, s[0:1]
	s_cbranch_vccnz .LBB45_1168
; %bb.1160:
	s_andn2_b64 vcc, exec, s[6:7]
	s_cbranch_vccz .LBB45_1169
.LBB45_1161:
	s_and_saveexec_b64 s[0:1], s[4:5]
	s_cbranch_execz .LBB45_1163
.LBB45_1162:
	s_lshl_b32 s2, s33, 6
	s_ashr_i32 s3, s2, 31
	v_mov_b32_e32 v0, s3
	v_add_co_u32_e32 v1, vcc, s2, v17
	v_addc_co_u32_e32 v0, vcc, 0, v0, vcc
	v_mul_lo_u32 v2, v0, s50
	v_mul_lo_u32 v3, v1, s51
	v_mad_u64_u32 v[0:1], s[2:3], v1, s50, 0
	v_add3_u32 v1, v1, v3, v2
	v_lshlrev_b64 v[0:1], 3, v[0:1]
	v_mov_b32_e32 v2, s21
	v_add_co_u32_e32 v0, vcc, s20, v0
	v_addc_co_u32_e32 v1, vcc, v2, v1, vcc
	global_store_dwordx2 v[0:1], v[10:11], off
.LBB45_1163:
	s_or_b64 exec, exec, s[0:1]
	v_cmp_eq_u32_e32 vcc, 0, v17
	s_waitcnt vmcnt(0)
	buffer_wbinvl1_vol
	s_barrier
	s_and_saveexec_b64 s[0:1], vcc
	s_cbranch_execz .LBB45_1165
; %bb.1164:
	s_lshl_b64 s[2:3], s[22:23], 2
	s_add_u32 s2, s14, s2
	s_addc_u32 s3, s15, s3
	v_mov_b32_e32 v0, 0
	global_load_dword v1, v0, s[2:3]
	s_waitcnt vmcnt(0)
	v_add_u32_e32 v1, 1, v1
	global_store_dword v0, v1, s[2:3]
.LBB45_1165:
	s_or_b64 exec, exec, s[0:1]
	s_waitcnt vmcnt(0)
	buffer_wbinvl1_vol
	s_endpgm
.LBB45_1166:
	s_or_b64 exec, exec, s[8:9]
	s_and_b64 vcc, exec, s[6:7]
	s_cbranch_vccnz .LBB45_1141
.LBB45_1167:
	v_mov_b32_e32 v11, v5
	v_mov_b32_e32 v10, v4
	s_and_saveexec_b64 s[0:1], s[4:5]
	s_cbranch_execnz .LBB45_1162
	s_branch .LBB45_1163
.LBB45_1168:
	s_andn2_b64 s[0:1], s[4:5], exec
	s_and_b64 s[4:5], s[2:3], exec
	s_or_b64 s[4:5], s[0:1], s[4:5]
	s_cbranch_execnz .LBB45_1161
.LBB45_1169:
	v_cmp_gt_i32_e32 vcc, s90, v0
	s_and_b64 s[0:1], s[2:3], vcc
	s_andn2_b64 s[2:3], s[4:5], exec
	s_and_b64 s[0:1], s[0:1], exec
	s_or_b64 s[4:5], s[2:3], s[0:1]
	s_and_saveexec_b64 s[0:1], s[4:5]
	s_cbranch_execnz .LBB45_1162
	s_branch .LBB45_1163
.LBB45_1170:
	v_lshlrev_b32_e32 v21, 3, v20
	v_sub_u32_e32 v21, v18, v21
	v_lshl_add_u32 v21, v19, 3, v21
	ds_read_b64 v[21:22], v21 offset:544
	ds_read_b64 v[23:24], v18 offset:8
	s_waitcnt lgkmcnt(0)
	v_fma_f64 v[10:11], v[21:22], v[23:24], v[10:11]
	s_or_b64 exec, exec, s[14:15]
	v_cmp_gt_u32_e64 s[10:11], 8, v14
	s_and_saveexec_b64 s[14:15], s[10:11]
	s_cbranch_execz .LBB45_80
.LBB45_1171:
	ds_read_b64 v[21:22], v16 offset:1056
	ds_read_b64 v[23:24], v18 offset:16
	s_waitcnt lgkmcnt(0)
	v_fma_f64 v[10:11], v[21:22], v[23:24], v[10:11]
	s_or_b64 exec, exec, s[14:15]
	v_cmp_gt_u32_e64 s[10:11], 4, v14
	s_and_saveexec_b64 s[14:15], s[10:11]
	s_cbranch_execnz .LBB45_81
	s_branch .LBB45_82
.LBB45_1172:
	v_lshlrev_b32_e32 v26, 3, v25
	v_sub_u32_e32 v26, v23, v26
	v_lshl_add_u32 v26, v24, 3, v26
	ds_read_b64 v[26:27], v26 offset:576
	ds_read_b64 v[28:29], v23 offset:8
	s_waitcnt lgkmcnt(0)
	v_fma_f64 v[10:11], v[26:27], v[28:29], v[10:11]
	s_or_b64 exec, exec, s[16:17]
	v_cmp_gt_u32_e64 s[14:15], 48, v14
	s_and_saveexec_b64 s[16:17], s[14:15]
	s_cbranch_execz .LBB45_122
.LBB45_1173:
	v_lshlrev_b32_e32 v26, 3, v25
	v_sub_u32_e32 v26, v23, v26
	v_lshl_add_u32 v26, v24, 3, v26
	ds_read_b64 v[26:27], v26 offset:1088
	ds_read_b64 v[28:29], v23 offset:16
	s_waitcnt lgkmcnt(0)
	v_fma_f64 v[10:11], v[26:27], v[28:29], v[10:11]
	s_or_b64 exec, exec, s[16:17]
	v_cmp_gt_u32_e64 s[14:15], 40, v14
	s_and_saveexec_b64 s[16:17], s[14:15]
	s_cbranch_execz .LBB45_123
.LBB45_1174:
	v_lshlrev_b32_e32 v26, 3, v25
	v_sub_u32_e32 v26, v23, v26
	v_lshl_add_u32 v26, v24, 3, v26
	ds_read_b64 v[26:27], v26 offset:1600
	ds_read_b64 v[28:29], v23 offset:24
	s_waitcnt lgkmcnt(0)
	v_fma_f64 v[10:11], v[26:27], v[28:29], v[10:11]
	s_or_b64 exec, exec, s[16:17]
	v_cmp_gt_u32_e64 s[14:15], 32, v14
	s_and_saveexec_b64 s[16:17], s[14:15]
	s_cbranch_execz .LBB45_124
.LBB45_1175:
	ds_read_b64 v[26:27], v21 offset:2112
	ds_read_b64 v[28:29], v23 offset:32
	s_waitcnt lgkmcnt(0)
	v_fma_f64 v[10:11], v[26:27], v[28:29], v[10:11]
	s_or_b64 exec, exec, s[16:17]
	v_cmp_gt_u32_e64 s[14:15], 24, v14
	s_and_saveexec_b64 s[16:17], s[14:15]
	s_cbranch_execz .LBB45_125
.LBB45_1176:
	v_lshlrev_b32_e32 v26, 3, v25
	v_sub_u32_e32 v26, v23, v26
	v_lshl_add_u32 v26, v24, 3, v26
	ds_read_b64 v[26:27], v26 offset:2624
	ds_read_b64 v[28:29], v23 offset:40
	s_waitcnt lgkmcnt(0)
	v_fma_f64 v[10:11], v[26:27], v[28:29], v[10:11]
	s_or_b64 exec, exec, s[16:17]
	v_cmp_gt_u32_e64 s[14:15], 16, v14
	s_and_saveexec_b64 s[16:17], s[14:15]
	s_cbranch_execz .LBB45_126
.LBB45_1177:
	ds_read_b64 v[26:27], v21 offset:3136
	ds_read_b64 v[28:29], v23 offset:48
	s_waitcnt lgkmcnt(0)
	v_fma_f64 v[10:11], v[26:27], v[28:29], v[10:11]
	s_or_b64 exec, exec, s[16:17]
	v_cmp_gt_u32_e64 s[14:15], 8, v14
	s_and_saveexec_b64 s[16:17], s[14:15]
	s_cbranch_execnz .LBB45_127
	s_branch .LBB45_128
.LBB45_1178:
	v_lshlrev_b32_e32 v27, 3, v20
	v_sub_u32_e32 v27, v26, v27
	v_lshl_add_u32 v27, v19, 3, v27
	ds_read_b64 v[27:28], v27 offset:4704
	ds_read_b64 v[29:30], v26 offset:4168
	s_waitcnt lgkmcnt(0)
	v_fma_f64 v[10:11], v[27:28], v[29:30], v[10:11]
	s_or_b64 exec, exec, s[14:15]
	v_cmp_gt_u32_e64 s[10:11], 8, v14
	s_and_saveexec_b64 s[14:15], s[10:11]
	s_cbranch_execz .LBB45_184
.LBB45_1179:
	ds_read_b64 v[27:28], v16 offset:5216
	ds_read_b64 v[29:30], v26 offset:4176
	s_waitcnt lgkmcnt(0)
	v_fma_f64 v[10:11], v[27:28], v[29:30], v[10:11]
	s_or_b64 exec, exec, s[14:15]
	v_cmp_gt_u32_e64 s[10:11], 4, v14
	s_and_saveexec_b64 s[14:15], s[10:11]
	s_cbranch_execnz .LBB45_185
	s_branch .LBB45_186
.LBB45_1180:
	v_lshlrev_b32_e32 v31, 3, v27
	v_lshl_add_u32 v31, v29, 3, v31
	ds_read_b64 v[31:32], v31 offset:5760
	ds_read_b64 v[33:34], v28 offset:88
	s_waitcnt lgkmcnt(0)
	v_fma_f64 v[10:11], v[31:32], v[33:34], v[10:11]
	s_or_b64 exec, exec, s[20:21]
	v_cmp_gt_u32_e64 s[16:17], 64, v14
	s_and_saveexec_b64 s[20:21], s[16:17]
	s_cbranch_execz .LBB45_246
.LBB45_1181:
	ds_read_b64 v[31:32], v26 offset:6272
	ds_read_b64 v[33:34], v28 offset:96
	s_waitcnt lgkmcnt(0)
	v_fma_f64 v[10:11], v[31:32], v[33:34], v[10:11]
	s_or_b64 exec, exec, s[20:21]
	v_cmp_gt_u32_e64 s[16:17], 48, v14
	s_and_saveexec_b64 s[20:21], s[16:17]
	s_cbranch_execz .LBB45_247
.LBB45_1182:
	v_lshlrev_b32_e32 v31, 3, v27
	v_lshl_add_u32 v31, v29, 3, v31
	ds_read_b64 v[31:32], v31 offset:6784
	ds_read_b64 v[33:34], v28 offset:104
	s_waitcnt lgkmcnt(0)
	v_fma_f64 v[10:11], v[31:32], v[33:34], v[10:11]
	s_or_b64 exec, exec, s[20:21]
	v_cmp_gt_u32_e64 s[16:17], 32, v14
	s_and_saveexec_b64 s[20:21], s[16:17]
	s_cbranch_execz .LBB45_248
.LBB45_1183:
	ds_read_b64 v[31:32], v26 offset:7296
	ds_read_b64 v[33:34], v28 offset:112
	s_waitcnt lgkmcnt(0)
	v_fma_f64 v[10:11], v[31:32], v[33:34], v[10:11]
	s_or_b64 exec, exec, s[20:21]
	v_cmp_gt_u32_e64 s[16:17], 16, v14
	s_and_saveexec_b64 s[20:21], s[16:17]
	s_cbranch_execnz .LBB45_249
	s_branch .LBB45_250
.LBB45_1184:
	v_lshlrev_b32_e32 v32, 3, v20
	v_sub_u32_e32 v32, v31, v32
	v_lshl_add_u32 v32, v19, 3, v32
	ds_read_b64 v[32:33], v32 offset:8864
	ds_read_b64 v[34:35], v31 offset:8328
	s_waitcnt lgkmcnt(0)
	v_fma_f64 v[10:11], v[32:33], v[34:35], v[10:11]
	s_or_b64 exec, exec, s[20:21]
	v_cmp_gt_u32_e64 s[14:15], 8, v14
	s_and_saveexec_b64 s[0:1], s[14:15]
	s_cbranch_execz .LBB45_338
.LBB45_1185:
	ds_read_b64 v[32:33], v16 offset:9376
	ds_read_b64 v[34:35], v31 offset:8336
	s_waitcnt lgkmcnt(0)
	v_fma_f64 v[10:11], v[32:33], v[34:35], v[10:11]
	s_or_b64 exec, exec, s[0:1]
	v_cmp_gt_u32_e64 s[14:15], 4, v14
	s_and_saveexec_b64 s[20:21], s[14:15]
	s_cbranch_execnz .LBB45_339
	s_branch .LBB45_340
.LBB45_1186:
	v_lshlrev_b32_e32 v32, 3, v25
	v_sub_u32_e32 v32, v31, v32
	v_lshl_add_u32 v32, v24, 3, v32
	ds_read_b64 v[32:33], v32 offset:8896
	ds_read_b64 v[34:35], v31 offset:8328
	s_waitcnt lgkmcnt(0)
	v_fma_f64 v[10:11], v[32:33], v[34:35], v[10:11]
	s_or_b64 exec, exec, s[20:21]
	v_cmp_gt_u32_e64 s[14:15], 48, v14
	s_and_saveexec_b64 s[20:21], s[14:15]
	s_cbranch_execz .LBB45_380
.LBB45_1187:
	v_lshlrev_b32_e32 v32, 3, v25
	v_sub_u32_e32 v32, v31, v32
	v_lshl_add_u32 v32, v24, 3, v32
	ds_read_b64 v[32:33], v32 offset:9408
	ds_read_b64 v[34:35], v31 offset:8336
	s_waitcnt lgkmcnt(0)
	v_fma_f64 v[10:11], v[32:33], v[34:35], v[10:11]
	s_or_b64 exec, exec, s[20:21]
	v_cmp_gt_u32_e64 s[14:15], 40, v14
	s_and_saveexec_b64 s[20:21], s[14:15]
	s_cbranch_execz .LBB45_381
.LBB45_1188:
	v_lshlrev_b32_e32 v32, 3, v25
	v_sub_u32_e32 v32, v31, v32
	v_lshl_add_u32 v32, v24, 3, v32
	ds_read_b64 v[32:33], v32 offset:9920
	ds_read_b64 v[34:35], v31 offset:8344
	s_waitcnt lgkmcnt(0)
	v_fma_f64 v[10:11], v[32:33], v[34:35], v[10:11]
	s_or_b64 exec, exec, s[20:21]
	v_cmp_gt_u32_e64 s[14:15], 32, v14
	s_and_saveexec_b64 s[0:1], s[14:15]
	s_cbranch_execz .LBB45_382
.LBB45_1189:
	ds_read_b64 v[32:33], v21 offset:10432
	ds_read_b64 v[34:35], v31 offset:8352
	s_waitcnt lgkmcnt(0)
	v_fma_f64 v[10:11], v[32:33], v[34:35], v[10:11]
	s_or_b64 exec, exec, s[0:1]
	v_cmp_gt_u32_e64 s[14:15], 24, v14
	s_and_saveexec_b64 s[20:21], s[14:15]
	s_cbranch_execz .LBB45_383
.LBB45_1190:
	v_lshlrev_b32_e32 v32, 3, v25
	v_sub_u32_e32 v32, v31, v32
	v_lshl_add_u32 v32, v24, 3, v32
	ds_read_b64 v[32:33], v32 offset:10944
	ds_read_b64 v[34:35], v31 offset:8360
	s_waitcnt lgkmcnt(0)
	v_fma_f64 v[10:11], v[32:33], v[34:35], v[10:11]
	s_or_b64 exec, exec, s[20:21]
	v_cmp_gt_u32_e64 s[14:15], 16, v14
	s_and_saveexec_b64 s[0:1], s[14:15]
	s_cbranch_execz .LBB45_384
.LBB45_1191:
	ds_read_b64 v[32:33], v21 offset:11456
	ds_read_b64 v[34:35], v31 offset:8368
	s_waitcnt lgkmcnt(0)
	v_fma_f64 v[10:11], v[32:33], v[34:35], v[10:11]
	s_or_b64 exec, exec, s[0:1]
	v_cmp_gt_u32_e64 s[14:15], 8, v14
	s_and_saveexec_b64 s[20:21], s[14:15]
	s_cbranch_execnz .LBB45_385
	s_branch .LBB45_386
.LBB45_1192:
	v_lshlrev_b32_e32 v32, 3, v20
	v_sub_u32_e32 v32, v31, v32
	v_lshl_add_u32 v32, v19, 3, v32
	ds_read_b64 v[32:33], v32 offset:13024
	ds_read_b64 v[34:35], v31 offset:12488
	s_waitcnt lgkmcnt(0)
	v_fma_f64 v[10:11], v[32:33], v[34:35], v[10:11]
	s_or_b64 exec, exec, s[20:21]
	v_cmp_gt_u32_e64 s[14:15], 8, v14
	s_and_saveexec_b64 s[0:1], s[14:15]
	s_cbranch_execz .LBB45_442
.LBB45_1193:
	ds_read_b64 v[32:33], v16 offset:13536
	ds_read_b64 v[34:35], v31 offset:12496
	s_waitcnt lgkmcnt(0)
	v_fma_f64 v[10:11], v[32:33], v[34:35], v[10:11]
	s_or_b64 exec, exec, s[0:1]
	v_cmp_gt_u32_e64 s[14:15], 4, v14
	s_and_saveexec_b64 s[20:21], s[14:15]
	s_cbranch_execnz .LBB45_443
	s_branch .LBB45_444
.LBB45_1194:
	ds_read_b64 v[36:37], v31 offset:15104
	ds_read_b64 v[38:39], v35 offset:232
	s_waitcnt lgkmcnt(0)
	v_fma_f64 v[10:11], v[36:37], v[38:39], v[10:11]
	s_or_b64 exec, exec, s[0:1]
	v_cmp_gt_u32_e64 s[20:21], 64, v14
	s_and_saveexec_b64 s[0:1], s[20:21]
	s_cbranch_execz .LBB45_540
.LBB45_1195:
	ds_read_b64 v[36:37], v31 offset:15616
	ds_read_b64 v[38:39], v35 offset:240
	s_waitcnt lgkmcnt(0)
	v_fma_f64 v[10:11], v[36:37], v[38:39], v[10:11]
	s_or_b64 exec, exec, s[0:1]
	v_cmp_gt_u32_e64 s[20:21], 32, v14
	s_and_saveexec_b64 s[0:1], s[20:21]
	s_cbranch_execnz .LBB45_541
	s_branch .LBB45_542
.LBB45_1196:
	v_lshlrev_b32_e32 v32, 3, v20
	v_sub_u32_e32 v32, v31, v32
	v_lshl_add_u32 v32, v19, 3, v32
	ds_read_b64 v[32:33], v32 offset:17184
	ds_read_b64 v[34:35], v31 offset:16648
	s_waitcnt lgkmcnt(0)
	v_fma_f64 v[10:11], v[32:33], v[34:35], v[10:11]
	s_or_b64 exec, exec, s[16:17]
	v_cmp_gt_u32_e64 s[12:13], 8, v14
	s_and_saveexec_b64 s[0:1], s[12:13]
	s_cbranch_execz .LBB45_694
.LBB45_1197:
	ds_read_b64 v[32:33], v16 offset:17696
	ds_read_b64 v[34:35], v31 offset:16656
	s_waitcnt lgkmcnt(0)
	v_fma_f64 v[10:11], v[32:33], v[34:35], v[10:11]
	s_or_b64 exec, exec, s[0:1]
	v_cmp_gt_u32_e64 s[12:13], 4, v14
	s_and_saveexec_b64 s[0:1], s[12:13]
	s_cbranch_execnz .LBB45_695
	s_branch .LBB45_696
.LBB45_1198:
	v_lshlrev_b32_e32 v32, 3, v25
	v_sub_u32_e32 v32, v31, v32
	v_lshl_add_u32 v32, v24, 3, v32
	ds_read_b64 v[32:33], v32 offset:17216
	ds_read_b64 v[34:35], v31 offset:16648
	s_waitcnt lgkmcnt(0)
	v_fma_f64 v[10:11], v[32:33], v[34:35], v[10:11]
	s_or_b64 exec, exec, s[16:17]
	v_cmp_gt_u32_e64 s[12:13], 48, v14
	s_and_saveexec_b64 s[0:1], s[12:13]
	s_cbranch_execz .LBB45_736
.LBB45_1199:
	v_lshlrev_b32_e32 v32, 3, v25
	v_sub_u32_e32 v32, v31, v32
	v_lshl_add_u32 v32, v24, 3, v32
	ds_read_b64 v[32:33], v32 offset:17728
	ds_read_b64 v[34:35], v31 offset:16656
	s_waitcnt lgkmcnt(0)
	v_fma_f64 v[10:11], v[32:33], v[34:35], v[10:11]
	s_or_b64 exec, exec, s[0:1]
	v_cmp_gt_u32_e64 s[12:13], 40, v14
	s_and_saveexec_b64 s[0:1], s[12:13]
	s_cbranch_execz .LBB45_737
.LBB45_1200:
	v_lshlrev_b32_e32 v32, 3, v25
	v_sub_u32_e32 v32, v31, v32
	v_lshl_add_u32 v32, v24, 3, v32
	ds_read_b64 v[32:33], v32 offset:18240
	ds_read_b64 v[34:35], v31 offset:16664
	s_waitcnt lgkmcnt(0)
	v_fma_f64 v[10:11], v[32:33], v[34:35], v[10:11]
	s_or_b64 exec, exec, s[0:1]
	v_cmp_gt_u32_e64 s[12:13], 32, v14
	s_and_saveexec_b64 s[0:1], s[12:13]
	s_cbranch_execz .LBB45_738
.LBB45_1201:
	ds_read_b64 v[32:33], v21 offset:18752
	ds_read_b64 v[34:35], v31 offset:16672
	s_waitcnt lgkmcnt(0)
	v_fma_f64 v[10:11], v[32:33], v[34:35], v[10:11]
	s_or_b64 exec, exec, s[0:1]
	v_cmp_gt_u32_e64 s[12:13], 24, v14
	s_and_saveexec_b64 s[0:1], s[12:13]
	s_cbranch_execz .LBB45_739
.LBB45_1202:
	v_lshlrev_b32_e32 v32, 3, v25
	v_sub_u32_e32 v32, v31, v32
	v_lshl_add_u32 v32, v24, 3, v32
	ds_read_b64 v[32:33], v32 offset:19264
	ds_read_b64 v[34:35], v31 offset:16680
	s_waitcnt lgkmcnt(0)
	v_fma_f64 v[10:11], v[32:33], v[34:35], v[10:11]
	s_or_b64 exec, exec, s[0:1]
	v_cmp_gt_u32_e64 s[12:13], 16, v14
	s_and_saveexec_b64 s[0:1], s[12:13]
	s_cbranch_execz .LBB45_740
.LBB45_1203:
	ds_read_b64 v[32:33], v21 offset:19776
	ds_read_b64 v[34:35], v31 offset:16688
	s_waitcnt lgkmcnt(0)
	v_fma_f64 v[10:11], v[32:33], v[34:35], v[10:11]
	s_or_b64 exec, exec, s[0:1]
	v_cmp_gt_u32_e64 s[12:13], 8, v14
	s_and_saveexec_b64 s[0:1], s[12:13]
	s_cbranch_execnz .LBB45_741
	s_branch .LBB45_742
.LBB45_1204:
	v_lshlrev_b32_e32 v32, 3, v20
	v_sub_u32_e32 v32, v31, v32
	v_lshl_add_u32 v32, v19, 3, v32
	ds_read_b64 v[32:33], v32 offset:21344
	ds_read_b64 v[34:35], v31 offset:20808
	s_waitcnt lgkmcnt(0)
	v_fma_f64 v[10:11], v[32:33], v[34:35], v[10:11]
	s_or_b64 exec, exec, s[16:17]
	v_cmp_gt_u32_e64 s[12:13], 8, v14
	s_and_saveexec_b64 s[0:1], s[12:13]
	s_cbranch_execz .LBB45_798
.LBB45_1205:
	ds_read_b64 v[32:33], v16 offset:21856
	ds_read_b64 v[34:35], v31 offset:20816
	s_waitcnt lgkmcnt(0)
	v_fma_f64 v[10:11], v[32:33], v[34:35], v[10:11]
	s_or_b64 exec, exec, s[0:1]
	v_cmp_gt_u32_e64 s[12:13], 4, v14
	s_and_saveexec_b64 s[0:1], s[12:13]
	s_cbranch_execnz .LBB45_799
	s_branch .LBB45_800
.LBB45_1206:
	v_lshlrev_b32_e32 v30, 3, v27
	v_lshl_add_u32 v30, v29, 3, v30
	ds_read_b64 v[32:33], v30 offset:22400
	ds_read_b64 v[34:35], v31 offset:16728
	s_waitcnt lgkmcnt(0)
	v_fma_f64 v[10:11], v[32:33], v[34:35], v[10:11]
	s_or_b64 exec, exec, s[0:1]
	v_cmp_gt_u32_e64 s[12:13], 64, v14
	s_and_saveexec_b64 s[0:1], s[12:13]
	s_cbranch_execz .LBB45_860
.LBB45_1207:
	ds_read_b64 v[32:33], v26 offset:22912
	ds_read_b64 v[34:35], v31 offset:16736
	s_waitcnt lgkmcnt(0)
	v_fma_f64 v[10:11], v[32:33], v[34:35], v[10:11]
	s_or_b64 exec, exec, s[0:1]
	v_cmp_gt_u32_e64 s[12:13], 48, v14
	s_and_saveexec_b64 s[0:1], s[12:13]
	s_cbranch_execz .LBB45_861
.LBB45_1208:
	v_lshlrev_b32_e32 v30, 3, v27
	v_lshl_add_u32 v29, v29, 3, v30
	ds_read_b64 v[29:30], v29 offset:23424
	ds_read_b64 v[32:33], v31 offset:16744
	s_waitcnt lgkmcnt(0)
	v_fma_f64 v[10:11], v[29:30], v[32:33], v[10:11]
	s_or_b64 exec, exec, s[0:1]
	v_cmp_gt_u32_e64 s[12:13], 32, v14
	s_and_saveexec_b64 s[0:1], s[12:13]
	s_cbranch_execz .LBB45_862
.LBB45_1209:
	ds_read_b64 v[29:30], v26 offset:23936
	ds_read_b64 v[31:32], v31 offset:16752
	s_waitcnt lgkmcnt(0)
	v_fma_f64 v[10:11], v[29:30], v[31:32], v[10:11]
	s_or_b64 exec, exec, s[0:1]
	v_cmp_gt_u32_e64 s[12:13], 16, v14
	s_and_saveexec_b64 s[0:1], s[12:13]
	s_cbranch_execnz .LBB45_863
	s_branch .LBB45_864
.LBB45_1210:
	v_lshlrev_b32_e32 v27, 3, v20
	v_sub_u32_e32 v27, v26, v27
	v_lshl_add_u32 v27, v19, 3, v27
	ds_read_b64 v[27:28], v27 offset:25504
	ds_read_b64 v[29:30], v26 offset:24968
	s_waitcnt lgkmcnt(0)
	v_fma_f64 v[10:11], v[27:28], v[29:30], v[10:11]
	s_or_b64 exec, exec, s[12:13]
	v_cmp_gt_u32_e64 s[10:11], 8, v14
	s_and_saveexec_b64 s[12:13], s[10:11]
	s_cbranch_execz .LBB45_952
.LBB45_1211:
	ds_read_b64 v[27:28], v16 offset:26016
	ds_read_b64 v[29:30], v26 offset:24976
	s_waitcnt lgkmcnt(0)
	v_fma_f64 v[10:11], v[27:28], v[29:30], v[10:11]
	s_or_b64 exec, exec, s[12:13]
	v_cmp_gt_u32_e64 s[10:11], 4, v14
	s_and_saveexec_b64 s[12:13], s[10:11]
	s_cbranch_execnz .LBB45_953
	s_branch .LBB45_954
.LBB45_1212:
	v_lshlrev_b32_e32 v27, 3, v25
	v_sub_u32_e32 v27, v26, v27
	v_lshl_add_u32 v27, v24, 3, v27
	ds_read_b64 v[27:28], v27 offset:25536
	ds_read_b64 v[29:30], v26 offset:24968
	s_waitcnt lgkmcnt(0)
	v_fma_f64 v[10:11], v[27:28], v[29:30], v[10:11]
	s_or_b64 exec, exec, s[12:13]
	v_cmp_gt_u32_e64 s[10:11], 48, v14
	s_and_saveexec_b64 s[12:13], s[10:11]
	s_cbranch_execz .LBB45_994
.LBB45_1213:
	v_lshlrev_b32_e32 v27, 3, v25
	v_sub_u32_e32 v27, v26, v27
	v_lshl_add_u32 v27, v24, 3, v27
	ds_read_b64 v[27:28], v27 offset:26048
	ds_read_b64 v[29:30], v26 offset:24976
	s_waitcnt lgkmcnt(0)
	v_fma_f64 v[10:11], v[27:28], v[29:30], v[10:11]
	s_or_b64 exec, exec, s[12:13]
	v_cmp_gt_u32_e64 s[10:11], 40, v14
	s_and_saveexec_b64 s[12:13], s[10:11]
	s_cbranch_execz .LBB45_995
.LBB45_1214:
	v_lshlrev_b32_e32 v27, 3, v25
	v_sub_u32_e32 v27, v26, v27
	v_lshl_add_u32 v27, v24, 3, v27
	ds_read_b64 v[27:28], v27 offset:26560
	ds_read_b64 v[29:30], v26 offset:24984
	s_waitcnt lgkmcnt(0)
	v_fma_f64 v[10:11], v[27:28], v[29:30], v[10:11]
	s_or_b64 exec, exec, s[12:13]
	v_cmp_gt_u32_e64 s[10:11], 32, v14
	s_and_saveexec_b64 s[12:13], s[10:11]
	s_cbranch_execz .LBB45_996
.LBB45_1215:
	ds_read_b64 v[27:28], v21 offset:27072
	ds_read_b64 v[29:30], v26 offset:24992
	s_waitcnt lgkmcnt(0)
	v_fma_f64 v[10:11], v[27:28], v[29:30], v[10:11]
	s_or_b64 exec, exec, s[12:13]
	v_cmp_gt_u32_e64 s[10:11], 24, v14
	s_and_saveexec_b64 s[12:13], s[10:11]
	s_cbranch_execz .LBB45_997
.LBB45_1216:
	v_lshlrev_b32_e32 v25, 3, v25
	v_sub_u32_e32 v25, v26, v25
	v_lshl_add_u32 v24, v24, 3, v25
	ds_read_b64 v[24:25], v24 offset:27584
	ds_read_b64 v[27:28], v26 offset:25000
	s_waitcnt lgkmcnt(0)
	v_fma_f64 v[10:11], v[24:25], v[27:28], v[10:11]
	s_or_b64 exec, exec, s[12:13]
	v_cmp_gt_u32_e64 s[10:11], 16, v14
	s_and_saveexec_b64 s[12:13], s[10:11]
	s_cbranch_execz .LBB45_998
.LBB45_1217:
	ds_read_b64 v[24:25], v21 offset:28096
	ds_read_b64 v[26:27], v26 offset:25008
	s_waitcnt lgkmcnt(0)
	v_fma_f64 v[10:11], v[24:25], v[26:27], v[10:11]
	s_or_b64 exec, exec, s[12:13]
	v_cmp_gt_u32_e64 s[10:11], 8, v14
	s_and_saveexec_b64 s[12:13], s[10:11]
	s_cbranch_execnz .LBB45_999
	s_branch .LBB45_1000
.LBB45_1218:
	v_lshlrev_b32_e32 v20, 3, v20
	v_sub_u32_e32 v20, v21, v20
	v_lshl_add_u32 v19, v19, 3, v20
	ds_read_b64 v[19:20], v19 offset:29664
	ds_read_b64 v[22:23], v21 offset:29128
	s_waitcnt lgkmcnt(0)
	v_fma_f64 v[10:11], v[19:20], v[22:23], v[10:11]
	s_or_b64 exec, exec, s[10:11]
	v_cmp_gt_u32_e64 s[8:9], 8, v14
	s_and_saveexec_b64 s[10:11], s[8:9]
	s_cbranch_execz .LBB45_1056
.LBB45_1219:
	ds_read_b64 v[19:20], v16 offset:30176
	ds_read_b64 v[21:22], v21 offset:29136
	s_waitcnt lgkmcnt(0)
	v_fma_f64 v[10:11], v[19:20], v[21:22], v[10:11]
	s_or_b64 exec, exec, s[10:11]
	v_cmp_gt_u32_e64 s[8:9], 4, v14
	s_and_saveexec_b64 s[10:11], s[8:9]
	s_cbranch_execnz .LBB45_1057
	s_branch .LBB45_1058
	.section	.rodata,"a",@progbits
	.p2align	6, 0x0
	.amdhsa_kernel _ZL19rocblas_trsv_deviceILi64ELi16ELb1ELb1ELb1ELb1EddPKdPdEviT7_lllT6_T8_lllPii
		.amdhsa_group_segment_fixed_size 41480
		.amdhsa_private_segment_fixed_size 0
		.amdhsa_kernarg_size 352
		.amdhsa_user_sgpr_count 6
		.amdhsa_user_sgpr_private_segment_buffer 1
		.amdhsa_user_sgpr_dispatch_ptr 0
		.amdhsa_user_sgpr_queue_ptr 0
		.amdhsa_user_sgpr_kernarg_segment_ptr 1
		.amdhsa_user_sgpr_dispatch_id 0
		.amdhsa_user_sgpr_flat_scratch_init 0
		.amdhsa_user_sgpr_private_segment_size 0
		.amdhsa_uses_dynamic_stack 0
		.amdhsa_system_sgpr_private_segment_wavefront_offset 0
		.amdhsa_system_sgpr_workgroup_id_x 1
		.amdhsa_system_sgpr_workgroup_id_y 0
		.amdhsa_system_sgpr_workgroup_id_z 1
		.amdhsa_system_sgpr_workgroup_info 0
		.amdhsa_system_vgpr_workitem_id 1
		.amdhsa_next_free_vgpr 49
		.amdhsa_next_free_sgpr 98
		.amdhsa_reserve_vcc 1
		.amdhsa_reserve_flat_scratch 0
		.amdhsa_float_round_mode_32 0
		.amdhsa_float_round_mode_16_64 0
		.amdhsa_float_denorm_mode_32 3
		.amdhsa_float_denorm_mode_16_64 3
		.amdhsa_dx10_clamp 1
		.amdhsa_ieee_mode 1
		.amdhsa_fp16_overflow 0
		.amdhsa_exception_fp_ieee_invalid_op 0
		.amdhsa_exception_fp_denorm_src 0
		.amdhsa_exception_fp_ieee_div_zero 0
		.amdhsa_exception_fp_ieee_overflow 0
		.amdhsa_exception_fp_ieee_underflow 0
		.amdhsa_exception_fp_ieee_inexact 0
		.amdhsa_exception_int_div_zero 0
	.end_amdhsa_kernel
	.section	.text._ZL19rocblas_trsv_deviceILi64ELi16ELb1ELb1ELb1ELb1EddPKdPdEviT7_lllT6_T8_lllPii,"axG",@progbits,_ZL19rocblas_trsv_deviceILi64ELi16ELb1ELb1ELb1ELb1EddPKdPdEviT7_lllT6_T8_lllPii,comdat
.Lfunc_end45:
	.size	_ZL19rocblas_trsv_deviceILi64ELi16ELb1ELb1ELb1ELb1EddPKdPdEviT7_lllT6_T8_lllPii, .Lfunc_end45-_ZL19rocblas_trsv_deviceILi64ELi16ELb1ELb1ELb1ELb1EddPKdPdEviT7_lllT6_T8_lllPii
                                        ; -- End function
	.set _ZL19rocblas_trsv_deviceILi64ELi16ELb1ELb1ELb1ELb1EddPKdPdEviT7_lllT6_T8_lllPii.num_vgpr, 41
	.set _ZL19rocblas_trsv_deviceILi64ELi16ELb1ELb1ELb1ELb1EddPKdPdEviT7_lllT6_T8_lllPii.num_agpr, 0
	.set _ZL19rocblas_trsv_deviceILi64ELi16ELb1ELb1ELb1ELb1EddPKdPdEviT7_lllT6_T8_lllPii.numbered_sgpr, 96
	.set _ZL19rocblas_trsv_deviceILi64ELi16ELb1ELb1ELb1ELb1EddPKdPdEviT7_lllT6_T8_lllPii.num_named_barrier, 0
	.set _ZL19rocblas_trsv_deviceILi64ELi16ELb1ELb1ELb1ELb1EddPKdPdEviT7_lllT6_T8_lllPii.private_seg_size, 0
	.set _ZL19rocblas_trsv_deviceILi64ELi16ELb1ELb1ELb1ELb1EddPKdPdEviT7_lllT6_T8_lllPii.uses_vcc, 1
	.set _ZL19rocblas_trsv_deviceILi64ELi16ELb1ELb1ELb1ELb1EddPKdPdEviT7_lllT6_T8_lllPii.uses_flat_scratch, 0
	.set _ZL19rocblas_trsv_deviceILi64ELi16ELb1ELb1ELb1ELb1EddPKdPdEviT7_lllT6_T8_lllPii.has_dyn_sized_stack, 0
	.set _ZL19rocblas_trsv_deviceILi64ELi16ELb1ELb1ELb1ELb1EddPKdPdEviT7_lllT6_T8_lllPii.has_recursion, 0
	.set _ZL19rocblas_trsv_deviceILi64ELi16ELb1ELb1ELb1ELb1EddPKdPdEviT7_lllT6_T8_lllPii.has_indirect_call, 0
	.section	.AMDGPU.csdata,"",@progbits
; Kernel info:
; codeLenInByte = 35268
; TotalNumSgprs: 100
; NumVgprs: 41
; ScratchSize: 0
; MemoryBound: 0
; FloatMode: 240
; IeeeMode: 1
; LDSByteSize: 41480 bytes/workgroup (compile time only)
; SGPRBlocks: 12
; VGPRBlocks: 12
; NumSGPRsForWavesPerEU: 102
; NumVGPRsForWavesPerEU: 49
; Occupancy: 4
; WaveLimiterHint : 0
; COMPUTE_PGM_RSRC2:SCRATCH_EN: 0
; COMPUTE_PGM_RSRC2:USER_SGPR: 6
; COMPUTE_PGM_RSRC2:TRAP_HANDLER: 0
; COMPUTE_PGM_RSRC2:TGID_X_EN: 1
; COMPUTE_PGM_RSRC2:TGID_Y_EN: 0
; COMPUTE_PGM_RSRC2:TGID_Z_EN: 1
; COMPUTE_PGM_RSRC2:TIDIG_COMP_CNT: 1
	.section	.text._ZL19rocblas_trsv_deviceILi64ELi16ELb1ELb0ELb0ELb0EddPKdPdEviT7_lllT6_T8_lllPii,"axG",@progbits,_ZL19rocblas_trsv_deviceILi64ELi16ELb1ELb0ELb0ELb0EddPKdPdEviT7_lllT6_T8_lllPii,comdat
	.globl	_ZL19rocblas_trsv_deviceILi64ELi16ELb1ELb0ELb0ELb0EddPKdPdEviT7_lllT6_T8_lllPii ; -- Begin function _ZL19rocblas_trsv_deviceILi64ELi16ELb1ELb0ELb0ELb0EddPKdPdEviT7_lllT6_T8_lllPii
	.p2align	8
	.type	_ZL19rocblas_trsv_deviceILi64ELi16ELb1ELb0ELb0ELb0EddPKdPdEviT7_lllT6_T8_lllPii,@function
_ZL19rocblas_trsv_deviceILi64ELi16ELb1ELb0ELb0ELb0EddPKdPdEviT7_lllT6_T8_lllPii: ; @_ZL19rocblas_trsv_deviceILi64ELi16ELb1ELb0ELb0ELb0EddPKdPdEviT7_lllT6_T8_lllPii
; %bb.0:
	s_mov_b32 s34, s7
	s_load_dwordx16 s[16:31], s[4:5], 0x8
	s_load_dword s7, s[4:5], 0x0
	s_load_dword s85, s[4:5], 0x6c
	v_mov_b32_e32 v2, v1
	s_mov_b32 s35, 0
	s_waitcnt lgkmcnt(0)
	s_mul_i32 s0, s23, s34
	s_mul_hi_u32 s1, s22, s34
	s_add_i32 s1, s1, s0
	s_mul_i32 s0, s22, s34
	s_lshl_b64 s[0:1], s[0:1], 3
	s_add_u32 s2, s16, s0
	s_addc_u32 s3, s17, s1
	s_lshl_b64 s[0:1], s[18:19], 3
	s_add_u32 s83, s2, s0
	s_addc_u32 s84, s3, s1
	s_cmp_eq_u32 s6, 0
	s_cbranch_scc1 .LBB46_10
; %bb.1:
	s_lshl_b32 s33, s6, 6
	v_add_u32_e32 v1, s33, v2
	v_subrev_u32_e32 v1, 64, v1
	v_ashrrev_i32_e32 v3, 31, v1
	v_mul_lo_u32 v7, s20, v3
	v_mul_lo_u32 v8, s21, v1
	v_mad_u64_u32 v[3:4], s[0:1], s20, v1, 0
	v_add_u32_e32 v5, s33, v0
	v_ashrrev_i32_e32 v6, 31, v5
	v_add3_u32 v4, v4, v7, v8
	v_lshlrev_b64 v[3:4], 3, v[3:4]
	v_mov_b32_e32 v7, s84
	v_add_co_u32_e64 v8, s[0:1], s83, v3
	v_addc_co_u32_e64 v7, s[0:1], v7, v4, s[0:1]
	v_lshlrev_b64 v[3:4], 3, v[5:6]
	v_cmp_gt_i32_e32 vcc, s7, v5
	v_add_co_u32_e64 v11, s[0:1], v8, v3
	v_addc_co_u32_e64 v12, s[0:1], v7, v4, s[0:1]
	v_cmp_gt_i32_e64 s[0:1], s7, v1
	v_mov_b32_e32 v5, 0
	v_mov_b32_e32 v3, 0
	v_mov_b32_e32 v6, 0
	v_mov_b32_e32 v4, 0
	s_and_b64 s[2:3], vcc, s[0:1]
	s_barrier
	s_and_saveexec_b64 s[0:1], s[2:3]
	s_cbranch_execz .LBB46_3
; %bb.2:
	global_load_dwordx2 v[3:4], v[11:12], off
.LBB46_3:
	s_or_b64 exec, exec, s[0:1]
	v_add_u32_e32 v7, 16, v1
	v_cmp_gt_i32_e64 s[0:1], s7, v7
	s_and_b64 s[0:1], vcc, s[0:1]
	s_waitcnt vmcnt(0)
	s_barrier
	s_and_saveexec_b64 s[2:3], s[0:1]
	s_cbranch_execz .LBB46_5
; %bb.4:
	s_lshl_b64 s[0:1], s[20:21], 7
	v_mov_b32_e32 v6, s1
	v_add_co_u32_e64 v5, s[0:1], s0, v11
	v_addc_co_u32_e64 v6, s[0:1], v12, v6, s[0:1]
	global_load_dwordx2 v[5:6], v[5:6], off
.LBB46_5:
	s_or_b64 exec, exec, s[2:3]
	v_add_u32_e32 v7, 32, v1
	v_cmp_gt_i32_e64 s[0:1], s7, v7
	v_mov_b32_e32 v7, 0
	v_mov_b32_e32 v9, 0
	;; [unrolled: 1-line block ×4, first 2 shown]
	s_and_b64 s[0:1], vcc, s[0:1]
	s_waitcnt vmcnt(0)
	s_barrier
	s_and_saveexec_b64 s[2:3], s[0:1]
	s_cbranch_execz .LBB46_7
; %bb.6:
	s_lshl_b64 s[0:1], s[20:21], 8
	v_mov_b32_e32 v10, s1
	v_add_co_u32_e64 v9, s[0:1], s0, v11
	v_addc_co_u32_e64 v10, s[0:1], v12, v10, s[0:1]
	global_load_dwordx2 v[9:10], v[9:10], off
.LBB46_7:
	s_or_b64 exec, exec, s[2:3]
	v_add_u32_e32 v1, 48, v1
	v_cmp_gt_i32_e64 s[0:1], s7, v1
	s_and_b64 s[2:3], vcc, s[0:1]
	s_waitcnt vmcnt(0)
	s_barrier
	s_and_saveexec_b64 s[0:1], s[2:3]
	s_cbranch_execz .LBB46_9
; %bb.8:
	v_mov_b32_e32 v1, 0x180
	v_mad_u64_u32 v[7:8], s[2:3], s20, v1, v[11:12]
	s_mul_i32 s2, s21, 0x180
	v_add_u32_e32 v8, s2, v8
	global_load_dwordx2 v[7:8], v[7:8], off
.LBB46_9:
	s_or_b64 exec, exec, s[0:1]
	s_branch .LBB46_11
.LBB46_10:
                                        ; implicit-def: $vgpr7_vgpr8
                                        ; implicit-def: $vgpr9_vgpr10
                                        ; implicit-def: $vgpr5_vgpr6
                                        ; implicit-def: $vgpr3_vgpr4
	s_mov_b32 s33, s35
.LBB46_11:
	s_ashr_i32 s0, s7, 31
	s_lshr_b32 s0, s0, 26
	s_add_i32 s0, s7, s0
	s_andn2_b32 s0, s0, 63
	s_sub_i32 s82, s7, s0
	s_add_i32 s0, s7, -1
	s_ashr_i32 s1, s0, 31
	s_lshr_b32 s1, s1, 26
	s_add_i32 s0, s0, s1
	s_ashr_i32 s0, s0, 6
	s_cmp_eq_u32 s0, s6
	s_cselect_b64 s[0:1], -1, 0
	s_cmp_lg_u32 s82, 0
	s_cselect_b64 s[2:3], -1, 0
	s_and_b64 s[18:19], s[2:3], s[0:1]
	s_ashr_i32 s52, s33, 31
	s_add_u32 s8, s20, 1
	v_mov_b32_e32 v1, 0
	v_mov_b32_e32 v11, s33
	v_mad_u64_u32 v[11:12], s[0:1], s8, v11, v[0:1]
	s_addc_u32 s9, s21, 0
	s_mul_i32 s0, s8, s52
	s_mul_i32 s9, s9, s33
	s_add_i32 s0, s0, s9
	s_mov_b64 s[2:3], -1
	v_add_u32_e32 v12, s0, v12
	s_and_b64 vcc, exec, s[18:19]
	v_cmp_le_u32_e64 s[0:1], v0, v2
	s_cbranch_vccnz .LBB46_33
; %bb.12:
	v_mad_u64_u32 v[15:16], s[2:3], s20, v2, v[11:12]
	v_mov_b32_e32 v1, v16
	v_mad_u64_u32 v[13:14], s[2:3], s21, v2, v[1:2]
	s_mov_b64 s[2:3], 0
	v_mov_b32_e32 v16, v13
                                        ; implicit-def: $vgpr13_vgpr14
	s_and_saveexec_b64 s[8:9], s[0:1]
	s_xor_b64 s[0:1], exec, s[8:9]
	s_cbranch_execnz .LBB46_989
; %bb.13:
	s_andn2_saveexec_b64 s[0:1], s[0:1]
	s_cbranch_execnz .LBB46_994
.LBB46_14:
	s_or_b64 exec, exec, s[0:1]
	s_and_saveexec_b64 s[0:1], s[2:3]
.LBB46_15:
	v_lshlrev_b32_e32 v1, 3, v0
	v_lshl_add_u32 v1, v2, 9, v1
	ds_write_b64 v1, v[13:14]
.LBB46_16:
	s_or_b64 exec, exec, s[0:1]
	v_add_u32_e32 v1, 16, v2
	v_mad_u64_u32 v[15:16], s[0:1], s20, v1, v[11:12]
	v_cmp_le_u32_e32 vcc, v0, v1
	s_mov_b64 s[2:3], 0
	v_mov_b32_e32 v13, v16
	v_mad_u64_u32 v[13:14], s[0:1], s21, v1, v[13:14]
	v_mov_b32_e32 v16, v13
                                        ; implicit-def: $vgpr13_vgpr14
	s_and_saveexec_b64 s[0:1], vcc
	s_xor_b64 s[0:1], exec, s[0:1]
	s_cbranch_execnz .LBB46_995
; %bb.17:
	s_andn2_saveexec_b64 s[0:1], s[0:1]
	s_cbranch_execnz .LBB46_1000
.LBB46_18:
	s_or_b64 exec, exec, s[0:1]
	s_and_saveexec_b64 s[0:1], s[2:3]
.LBB46_19:
	v_lshlrev_b32_e32 v15, 3, v0
	v_lshl_add_u32 v1, v1, 9, v15
	ds_write_b64 v1, v[13:14]
.LBB46_20:
	s_or_b64 exec, exec, s[0:1]
	v_add_u32_e32 v1, 32, v2
	v_mad_u64_u32 v[15:16], s[0:1], s20, v1, v[11:12]
	v_cmp_le_u32_e32 vcc, v0, v1
	s_mov_b64 s[2:3], 0
	v_mov_b32_e32 v13, v16
	v_mad_u64_u32 v[13:14], s[0:1], s21, v1, v[13:14]
	v_mov_b32_e32 v16, v13
                                        ; implicit-def: $vgpr13_vgpr14
	s_and_saveexec_b64 s[0:1], vcc
	s_xor_b64 s[0:1], exec, s[0:1]
	s_cbranch_execnz .LBB46_1001
; %bb.21:
	s_andn2_saveexec_b64 s[0:1], s[0:1]
	s_cbranch_execnz .LBB46_1006
.LBB46_22:
	s_or_b64 exec, exec, s[0:1]
	s_and_saveexec_b64 s[0:1], s[2:3]
.LBB46_23:
	v_lshlrev_b32_e32 v15, 3, v0
	v_lshl_add_u32 v1, v1, 9, v15
	ds_write_b64 v1, v[13:14]
.LBB46_24:
	s_or_b64 exec, exec, s[0:1]
	v_add_u32_e32 v1, 48, v2
	v_mad_u64_u32 v[15:16], s[0:1], s20, v1, v[11:12]
	v_cmp_le_u32_e32 vcc, v0, v1
	s_mov_b64 s[8:9], 0
	v_mov_b32_e32 v13, v16
	v_mad_u64_u32 v[13:14], s[0:1], s21, v1, v[13:14]
	v_mov_b32_e32 v16, v13
                                        ; implicit-def: $vgpr13_vgpr14
	s_and_saveexec_b64 s[0:1], vcc
	s_xor_b64 s[0:1], exec, s[0:1]
	s_cbranch_execz .LBB46_30
; %bb.25:
	v_cmp_ne_u32_e32 vcc, v0, v1
	s_mov_b64 s[2:3], 0
	s_and_saveexec_b64 s[8:9], vcc
	s_xor_b64 s[8:9], exec, s[8:9]
; %bb.26:
	v_or_b32_e32 v13, v1, v0
	v_cmp_gt_u32_e32 vcc, 64, v13
	s_and_b64 s[2:3], vcc, exec
                                        ; implicit-def: $vgpr15_vgpr16
; %bb.27:
	s_or_saveexec_b64 s[8:9], s[8:9]
	v_mov_b32_e32 v13, 0
	v_mov_b32_e32 v14, 0
	s_xor_b64 exec, exec, s[8:9]
	s_cbranch_execz .LBB46_29
; %bb.28:
	v_lshlrev_b64 v[13:14], 3, v[15:16]
	v_mov_b32_e32 v1, s84
	v_add_co_u32_e32 v13, vcc, s83, v13
	v_addc_co_u32_e32 v14, vcc, v1, v14, vcc
	global_load_dwordx2 v[13:14], v[13:14], off
	s_or_b64 s[2:3], s[2:3], exec
	v_mov_b32_e32 v1, v0
	s_waitcnt vmcnt(0)
	v_div_scale_f64 v[15:16], s[10:11], v[13:14], v[13:14], 1.0
	v_div_scale_f64 v[21:22], vcc, 1.0, v[13:14], 1.0
	v_rcp_f64_e32 v[17:18], v[15:16]
	v_fma_f64 v[19:20], -v[15:16], v[17:18], 1.0
	v_fma_f64 v[17:18], v[17:18], v[19:20], v[17:18]
	v_fma_f64 v[19:20], -v[15:16], v[17:18], 1.0
	v_fma_f64 v[17:18], v[17:18], v[19:20], v[17:18]
	v_mul_f64 v[19:20], v[21:22], v[17:18]
	v_fma_f64 v[15:16], -v[15:16], v[19:20], v[21:22]
	v_div_fmas_f64 v[15:16], v[15:16], v[17:18], v[19:20]
	v_div_fixup_f64 v[13:14], v[15:16], v[13:14], 1.0
.LBB46_29:
	s_or_b64 exec, exec, s[8:9]
	s_and_b64 s[8:9], s[2:3], exec
                                        ; implicit-def: $vgpr15_vgpr16
.LBB46_30:
	s_andn2_saveexec_b64 s[0:1], s[0:1]
	s_cbranch_execz .LBB46_32
; %bb.31:
	v_lshlrev_b64 v[13:14], 3, v[15:16]
	v_mov_b32_e32 v15, s84
	v_add_co_u32_e32 v13, vcc, s83, v13
	v_addc_co_u32_e32 v14, vcc, v15, v14, vcc
	global_load_dwordx2 v[13:14], v[13:14], off
	s_or_b64 s[8:9], s[8:9], exec
	s_waitcnt vmcnt(0)
	v_xor_b32_e32 v14, 0x80000000, v14
.LBB46_32:
	s_or_b64 exec, exec, s[0:1]
	s_branch .LBB46_55
.LBB46_33:
	s_mov_b64 s[8:9], 0
                                        ; implicit-def: $vgpr13_vgpr14
                                        ; implicit-def: $vgpr1
	s_and_b64 vcc, exec, s[2:3]
	s_cbranch_vccz .LBB46_55
; %bb.34:
	v_mad_u64_u32 v[13:14], s[0:1], s20, v2, v[11:12]
	v_cmp_le_u32_e32 vcc, v0, v2
	v_cmp_gt_i32_e64 s[0:1], s82, v0
	v_mov_b32_e32 v1, v14
	v_mad_u64_u32 v[14:15], s[2:3], s21, v2, v[1:2]
	v_max_i32_e32 v1, v2, v0
	v_cmp_le_i32_e64 s[2:3], s82, v1
	s_or_b64 s[2:3], s[2:3], vcc
	s_mov_b64 s[10:11], 0
                                        ; implicit-def: $vgpr15_vgpr16
	s_and_saveexec_b64 s[12:13], s[2:3]
	s_xor_b64 s[2:3], exec, s[12:13]
	s_cbranch_execnz .LBB46_1007
; %bb.35:
	s_andn2_saveexec_b64 s[2:3], s[2:3]
	s_cbranch_execnz .LBB46_1012
.LBB46_36:
	s_or_b64 exec, exec, s[2:3]
	s_and_saveexec_b64 s[2:3], s[10:11]
.LBB46_37:
	v_lshlrev_b32_e32 v1, 3, v0
	v_lshl_add_u32 v1, v2, 9, v1
	ds_write_b64 v1, v[15:16]
.LBB46_38:
	s_or_b64 exec, exec, s[2:3]
	v_add_u32_e32 v1, 16, v2
	v_mad_u64_u32 v[13:14], s[2:3], s20, v1, v[11:12]
	v_cmp_gt_u32_e32 vcc, v0, v1
	s_mov_b64 s[10:11], 0
	v_mad_u64_u32 v[14:15], s[2:3], s21, v1, v[14:15]
	v_cmp_gt_i32_e64 s[2:3], s82, v1
	s_and_b64 s[2:3], vcc, s[2:3]
	s_and_b64 s[2:3], s[0:1], s[2:3]
	s_xor_b64 s[2:3], s[2:3], -1
                                        ; implicit-def: $vgpr15_vgpr16
	s_and_saveexec_b64 s[12:13], s[2:3]
	s_xor_b64 s[2:3], exec, s[12:13]
	s_cbranch_execnz .LBB46_1013
; %bb.39:
	s_andn2_saveexec_b64 s[2:3], s[2:3]
	s_cbranch_execnz .LBB46_1018
.LBB46_40:
	s_or_b64 exec, exec, s[2:3]
	s_and_saveexec_b64 s[2:3], s[10:11]
.LBB46_41:
	v_lshlrev_b32_e32 v13, 3, v0
	v_lshl_add_u32 v1, v1, 9, v13
	ds_write_b64 v1, v[15:16]
.LBB46_42:
	s_or_b64 exec, exec, s[2:3]
	v_add_u32_e32 v1, 32, v2
	v_mad_u64_u32 v[13:14], s[2:3], s20, v1, v[11:12]
	v_cmp_gt_u32_e32 vcc, v0, v1
	s_mov_b64 s[10:11], 0
	v_mad_u64_u32 v[14:15], s[2:3], s21, v1, v[14:15]
	v_cmp_gt_i32_e64 s[2:3], s82, v1
	s_and_b64 s[2:3], vcc, s[2:3]
	s_and_b64 s[2:3], s[0:1], s[2:3]
	s_xor_b64 s[2:3], s[2:3], -1
                                        ; implicit-def: $vgpr15_vgpr16
	s_and_saveexec_b64 s[12:13], s[2:3]
	s_xor_b64 s[2:3], exec, s[12:13]
	s_cbranch_execnz .LBB46_1019
; %bb.43:
	s_andn2_saveexec_b64 s[2:3], s[2:3]
	s_cbranch_execnz .LBB46_1024
.LBB46_44:
	s_or_b64 exec, exec, s[2:3]
	s_and_saveexec_b64 s[2:3], s[10:11]
.LBB46_45:
	v_lshlrev_b32_e32 v13, 3, v0
	v_lshl_add_u32 v1, v1, 9, v13
	ds_write_b64 v1, v[15:16]
.LBB46_46:
	s_or_b64 exec, exec, s[2:3]
	v_add_u32_e32 v1, 48, v2
	v_mad_u64_u32 v[11:12], s[2:3], s20, v1, v[11:12]
	v_cmp_gt_u32_e32 vcc, v0, v1
	v_mad_u64_u32 v[12:13], s[2:3], s21, v1, v[12:13]
	v_cmp_gt_i32_e64 s[2:3], s82, v1
	s_and_b64 s[2:3], vcc, s[2:3]
	s_and_b64 s[2:3], s[0:1], s[2:3]
	s_xor_b64 s[2:3], s[2:3], -1
                                        ; implicit-def: $vgpr13_vgpr14
	s_and_saveexec_b64 s[10:11], s[2:3]
	s_xor_b64 s[2:3], exec, s[10:11]
	s_cbranch_execz .LBB46_52
; %bb.47:
	v_cmp_ne_u32_e32 vcc, v0, v1
	s_xor_b64 s[0:1], s[0:1], -1
	s_or_b64 s[10:11], s[0:1], vcc
	s_mov_b64 s[0:1], s[8:9]
	s_and_saveexec_b64 s[12:13], s[10:11]
	s_xor_b64 s[10:11], exec, s[12:13]
; %bb.48:
	v_or_b32_e32 v11, v1, v0
	v_cmp_gt_u32_e32 vcc, 64, v11
	s_andn2_b64 s[0:1], s[8:9], exec
	s_and_b64 s[12:13], vcc, exec
	s_or_b64 s[0:1], s[0:1], s[12:13]
                                        ; implicit-def: $vgpr11_vgpr12
; %bb.49:
	s_or_saveexec_b64 s[10:11], s[10:11]
	v_mov_b32_e32 v13, 0
	v_mov_b32_e32 v14, 0
	s_xor_b64 exec, exec, s[10:11]
	s_cbranch_execz .LBB46_51
; %bb.50:
	v_lshlrev_b64 v[11:12], 3, v[11:12]
	v_mov_b32_e32 v1, s84
	v_add_co_u32_e32 v11, vcc, s83, v11
	v_addc_co_u32_e32 v12, vcc, v1, v12, vcc
	global_load_dwordx2 v[11:12], v[11:12], off
	s_or_b64 s[0:1], s[0:1], exec
	v_mov_b32_e32 v1, v0
	s_waitcnt vmcnt(0)
	v_div_scale_f64 v[13:14], s[12:13], v[11:12], v[11:12], 1.0
	v_div_scale_f64 v[19:20], vcc, 1.0, v[11:12], 1.0
	v_rcp_f64_e32 v[15:16], v[13:14]
	v_fma_f64 v[17:18], -v[13:14], v[15:16], 1.0
	v_fma_f64 v[15:16], v[15:16], v[17:18], v[15:16]
	v_fma_f64 v[17:18], -v[13:14], v[15:16], 1.0
	v_fma_f64 v[15:16], v[15:16], v[17:18], v[15:16]
	v_mul_f64 v[17:18], v[19:20], v[15:16]
	v_fma_f64 v[13:14], -v[13:14], v[17:18], v[19:20]
	v_div_fmas_f64 v[13:14], v[13:14], v[15:16], v[17:18]
	v_div_fixup_f64 v[13:14], v[13:14], v[11:12], 1.0
.LBB46_51:
	s_or_b64 exec, exec, s[10:11]
	s_andn2_b64 s[8:9], s[8:9], exec
	s_and_b64 s[0:1], s[0:1], exec
	s_or_b64 s[8:9], s[8:9], s[0:1]
                                        ; implicit-def: $vgpr11_vgpr12
.LBB46_52:
	s_andn2_saveexec_b64 s[0:1], s[2:3]
	s_cbranch_execz .LBB46_54
; %bb.53:
	v_lshlrev_b64 v[11:12], 3, v[11:12]
	v_mov_b32_e32 v13, s84
	v_add_co_u32_e32 v11, vcc, s83, v11
	v_addc_co_u32_e32 v12, vcc, v13, v12, vcc
	global_load_dwordx2 v[13:14], v[11:12], off
	s_or_b64 s[8:9], s[8:9], exec
	s_waitcnt vmcnt(0)
	v_xor_b32_e32 v14, 0x80000000, v14
.LBB46_54:
	s_or_b64 exec, exec, s[0:1]
.LBB46_55:
	s_and_saveexec_b64 s[0:1], s[8:9]
; %bb.56:
	v_lshlrev_b32_e32 v11, 3, v0
	v_lshl_add_u32 v1, v1, 9, v11
	ds_write_b64 v1, v[13:14]
; %bb.57:
	s_or_b64 exec, exec, s[0:1]
	s_cmp_lt_i32 s6, 5
	s_cselect_b64 s[0:1], -1, 0
	s_or_b64 s[22:23], s[0:1], s[18:19]
	s_and_b64 vcc, exec, s[22:23]
	s_waitcnt vmcnt(0) lgkmcnt(0)
	s_barrier
	s_cbranch_vccnz .LBB46_925
; %bb.58:
	v_or_b32_e32 v1, v0, v2
	v_cmp_eq_u32_e32 vcc, 0, v1
	s_and_saveexec_b64 s[0:1], vcc
	s_cbranch_execz .LBB46_60
; %bb.59:
	v_mov_b32_e32 v1, 0
	ds_read_b128 v[11:14], v1
	ds_read_b64 v[15:16], v1 offset:520
	s_waitcnt lgkmcnt(0)
	v_mul_f64 v[11:12], v[11:12], v[15:16]
	v_mul_f64 v[11:12], v[13:14], v[11:12]
	ds_write_b64 v1, v[11:12] offset:8
.LBB46_60:
	s_or_b64 exec, exec, s[0:1]
	v_lshl_add_u32 v14, v2, 6, v0
	v_and_b32_e32 v16, 1, v0
	v_lshrrev_b32_e32 v15, 1, v14
	v_lshlrev_b32_e32 v1, 3, v16
	v_mov_b32_e32 v11, 0
	v_cmp_lt_u32_e64 s[2:3], 3, v14
	v_cmp_gt_u32_e64 s[0:1], 4, v14
	v_mov_b32_e32 v12, 0
	v_lshl_or_b32 v1, v15, 9, v1
	s_waitcnt lgkmcnt(0)
	s_barrier
	s_and_saveexec_b64 s[10:11], s[0:1]
	s_cbranch_execz .LBB46_64
; %bb.61:
	v_mul_u32_u24_e32 v13, 0x208, v15
	ds_read_b64 v[11:12], v1 offset:16
	ds_read_b64 v[17:18], v13
	v_cmp_gt_u32_e64 s[8:9], 2, v14
	s_waitcnt lgkmcnt(0)
	v_fma_f64 v[11:12], v[11:12], v[17:18], 0
	s_and_saveexec_b64 s[12:13], s[8:9]
	s_cbranch_execz .LBB46_63
; %bb.62:
	v_lshlrev_b32_e32 v13, 3, v0
	v_mov_b32_e32 v19, 0
	ds_read_b64 v[17:18], v13 offset:528
	ds_read_b64 v[19:20], v19 offset:8
	s_waitcnt lgkmcnt(0)
	v_fma_f64 v[11:12], v[17:18], v[19:20], v[11:12]
.LBB46_63:
	s_or_b64 exec, exec, s[12:13]
	v_xor_b32_e32 v12, 0x80000000, v12
.LBB46_64:
	s_or_b64 exec, exec, s[10:11]
	v_mov_b32_e32 v13, 0x8000
	v_cmp_eq_u32_e64 s[8:9], 0, v16
	s_xor_b64 s[10:11], s[2:3], -1
	v_lshl_add_u32 v13, v15, 3, v13
	s_and_b64 s[38:39], s[8:9], s[10:11]
	s_and_saveexec_b64 s[2:3], s[38:39]
	s_cbranch_execz .LBB46_66
; %bb.65:
	v_mov_b32_e32 v17, 0
	ds_read_b64 v[17:18], v17 offset:1040
	s_waitcnt lgkmcnt(0)
	v_mul_f64 v[11:12], v[11:12], v[17:18]
	ds_write_b64 v13, v[11:12]
.LBB46_66:
	s_or_b64 exec, exec, s[2:3]
	v_cmp_ne_u32_e64 s[2:3], 0, v16
	s_and_b64 s[36:37], s[2:3], s[10:11]
	s_waitcnt lgkmcnt(0)
	s_barrier
	s_and_saveexec_b64 s[2:3], s[36:37]
	s_cbranch_execz .LBB46_68
; %bb.67:
	v_mov_b32_e32 v16, 0
	ds_read_b64 v[16:17], v16 offset:1048
	ds_read_b64 v[18:19], v13
	s_waitcnt lgkmcnt(0)
	v_fma_f64 v[11:12], v[16:17], v[18:19], v[11:12]
.LBB46_68:
	s_or_b64 exec, exec, s[2:3]
	s_barrier
	s_and_saveexec_b64 s[2:3], s[36:37]
	s_cbranch_execz .LBB46_70
; %bb.69:
	v_mov_b32_e32 v16, 0
	ds_read_b64 v[16:17], v16 offset:1560
	s_waitcnt lgkmcnt(0)
	v_mul_f64 v[11:12], v[11:12], v[16:17]
	ds_write_b64 v13, v[11:12]
.LBB46_70:
	s_or_b64 exec, exec, s[2:3]
	s_waitcnt lgkmcnt(0)
	s_barrier
	s_barrier
	s_and_saveexec_b64 s[2:3], s[0:1]
; %bb.71:
	v_xor_b32_e32 v12, 0x80000000, v12
	ds_write_b64 v1, v[11:12] offset:16
; %bb.72:
	s_or_b64 exec, exec, s[2:3]
	s_waitcnt lgkmcnt(0)
	s_barrier
	s_barrier
	s_and_saveexec_b64 s[2:3], vcc
	s_cbranch_execz .LBB46_74
; %bb.73:
	v_mov_b32_e32 v20, 0
	ds_read_b128 v[16:19], v20 offset:1040
	ds_read_b64 v[11:12], v20 offset:1560
	s_waitcnt lgkmcnt(0)
	v_mul_f64 v[11:12], v[16:17], v[11:12]
	v_mul_f64 v[11:12], v[18:19], v[11:12]
	ds_write_b64 v20, v[11:12] offset:1048
.LBB46_74:
	s_or_b64 exec, exec, s[2:3]
	v_and_b32_e32 v19, 3, v0
	v_lshrrev_b32_e32 v20, 2, v14
	v_lshlrev_b32_e32 v17, 3, v19
	v_mov_b32_e32 v11, 0
	v_cmp_lt_u32_e64 s[8:9], 15, v14
	v_cmp_gt_u32_e64 s[2:3], 16, v14
	v_mov_b32_e32 v12, 0
	v_lshl_or_b32 v16, v20, 9, v17
	s_waitcnt lgkmcnt(0)
	s_barrier
	s_and_saveexec_b64 s[12:13], s[2:3]
	s_cbranch_execz .LBB46_80
; %bb.75:
	v_mul_u32_u24_e32 v18, 0x208, v20
	ds_read_b64 v[11:12], v16 offset:32
	ds_read_b64 v[21:22], v18
	v_cmp_gt_u32_e64 s[10:11], 12, v14
	s_waitcnt lgkmcnt(0)
	v_fma_f64 v[11:12], v[11:12], v[21:22], 0
	s_and_saveexec_b64 s[14:15], s[10:11]
	s_cbranch_execnz .LBB46_1036
; %bb.76:
	s_or_b64 exec, exec, s[14:15]
	v_cmp_gt_u32_e64 s[10:11], 8, v14
	s_and_saveexec_b64 s[14:15], s[10:11]
	s_cbranch_execnz .LBB46_1037
.LBB46_77:
	s_or_b64 exec, exec, s[14:15]
	v_cmp_gt_u32_e64 s[10:11], 4, v14
	s_and_saveexec_b64 s[14:15], s[10:11]
	s_cbranch_execz .LBB46_79
.LBB46_78:
	v_lshlrev_b32_e32 v18, 3, v0
	v_mov_b32_e32 v23, 0
	ds_read_b64 v[21:22], v18 offset:1568
	ds_read_b64 v[23:24], v23 offset:24
	s_waitcnt lgkmcnt(0)
	v_fma_f64 v[11:12], v[21:22], v[23:24], v[11:12]
.LBB46_79:
	s_or_b64 exec, exec, s[14:15]
	v_xor_b32_e32 v12, 0x80000000, v12
.LBB46_80:
	s_or_b64 exec, exec, s[12:13]
	v_mov_b32_e32 v18, 0x8000
	v_cmp_eq_u32_e64 s[10:11], 0, v19
	s_xor_b64 s[12:13], s[8:9], -1
	v_lshl_add_u32 v18, v20, 3, v18
	s_and_b64 s[42:43], s[10:11], s[12:13]
	s_and_saveexec_b64 s[8:9], s[42:43]
	s_cbranch_execz .LBB46_82
; %bb.81:
	v_mov_b32_e32 v21, 0
	ds_read_b64 v[21:22], v21 offset:2080
	s_waitcnt lgkmcnt(0)
	v_mul_f64 v[11:12], v[11:12], v[21:22]
	ds_write_b64 v18, v[11:12]
.LBB46_82:
	s_or_b64 exec, exec, s[8:9]
	v_cmp_ne_u32_e64 s[8:9], 0, v19
	s_and_b64 s[44:45], s[8:9], s[12:13]
	s_waitcnt lgkmcnt(0)
	s_barrier
	s_and_saveexec_b64 s[8:9], s[44:45]
	s_cbranch_execz .LBB46_84
; %bb.83:
	ds_read_b64 v[21:22], v17 offset:2080
	ds_read_b64 v[23:24], v18
	s_waitcnt lgkmcnt(0)
	v_fma_f64 v[11:12], v[21:22], v[23:24], v[11:12]
.LBB46_84:
	s_or_b64 exec, exec, s[8:9]
	v_cmp_eq_u32_e64 s[8:9], 1, v19
	s_and_b64 s[46:47], s[8:9], s[12:13]
	s_barrier
	s_and_saveexec_b64 s[8:9], s[46:47]
	s_cbranch_execz .LBB46_86
; %bb.85:
	v_mov_b32_e32 v21, 0
	ds_read_b64 v[21:22], v21 offset:2600
	s_waitcnt lgkmcnt(0)
	v_mul_f64 v[11:12], v[11:12], v[21:22]
	ds_write_b64 v18, v[11:12]
.LBB46_86:
	s_or_b64 exec, exec, s[8:9]
	v_cmp_lt_u32_e64 s[8:9], 1, v19
	s_and_b64 s[48:49], s[8:9], s[12:13]
	s_waitcnt lgkmcnt(0)
	s_barrier
	s_and_saveexec_b64 s[8:9], s[48:49]
	s_cbranch_execz .LBB46_88
; %bb.87:
	ds_read_b64 v[21:22], v17 offset:2592
	ds_read_b64 v[23:24], v18
	s_waitcnt lgkmcnt(0)
	v_fma_f64 v[11:12], v[21:22], v[23:24], v[11:12]
.LBB46_88:
	s_or_b64 exec, exec, s[8:9]
	v_cmp_eq_u32_e64 s[8:9], 2, v19
	s_and_b64 s[50:51], s[8:9], s[12:13]
	s_barrier
	s_and_saveexec_b64 s[8:9], s[50:51]
	s_cbranch_execz .LBB46_90
; %bb.89:
	v_mov_b32_e32 v21, 0
	ds_read_b64 v[21:22], v21 offset:3120
	s_waitcnt lgkmcnt(0)
	v_mul_f64 v[11:12], v[11:12], v[21:22]
	ds_write_b64 v18, v[11:12]
.LBB46_90:
	s_or_b64 exec, exec, s[8:9]
	v_cmp_eq_u32_e64 s[8:9], 3, v19
	s_and_b64 s[40:41], s[8:9], s[12:13]
	s_waitcnt lgkmcnt(0)
	s_barrier
	s_and_saveexec_b64 s[8:9], s[40:41]
	s_cbranch_execz .LBB46_92
; %bb.91:
	v_mov_b32_e32 v21, 0
	ds_read_b64 v[21:22], v21 offset:3128
	ds_read_b64 v[23:24], v18
	s_waitcnt lgkmcnt(0)
	v_fma_f64 v[11:12], v[21:22], v[23:24], v[11:12]
.LBB46_92:
	s_or_b64 exec, exec, s[8:9]
	s_barrier
	s_and_saveexec_b64 s[8:9], s[40:41]
	s_cbranch_execz .LBB46_94
; %bb.93:
	v_mov_b32_e32 v21, 0
	ds_read_b64 v[21:22], v21 offset:3640
	s_waitcnt lgkmcnt(0)
	v_mul_f64 v[11:12], v[11:12], v[21:22]
	ds_write_b64 v18, v[11:12]
.LBB46_94:
	s_or_b64 exec, exec, s[8:9]
	s_waitcnt lgkmcnt(0)
	s_barrier
	s_barrier
	s_and_saveexec_b64 s[8:9], s[2:3]
; %bb.95:
	v_xor_b32_e32 v12, 0x80000000, v12
	ds_write_b64 v16, v[11:12] offset:32
; %bb.96:
	s_or_b64 exec, exec, s[8:9]
	s_waitcnt lgkmcnt(0)
	s_barrier
	s_barrier
	s_and_saveexec_b64 s[8:9], vcc
	s_cbranch_execz .LBB46_98
; %bb.97:
	v_mov_b32_e32 v25, 0
	ds_read_b128 v[21:24], v25 offset:2080
	ds_read_b64 v[11:12], v25 offset:2600
	s_waitcnt lgkmcnt(0)
	v_mul_f64 v[11:12], v[21:22], v[11:12]
	v_mul_f64 v[11:12], v[23:24], v[11:12]
	ds_write_b64 v25, v[11:12] offset:2088
.LBB46_98:
	s_or_b64 exec, exec, s[8:9]
	v_mov_b32_e32 v11, 0
	v_mov_b32_e32 v12, 0
	s_waitcnt lgkmcnt(0)
	s_barrier
	s_and_saveexec_b64 s[10:11], s[0:1]
	s_cbranch_execz .LBB46_102
; %bb.99:
	v_mul_u32_u24_e32 v21, 0x208, v15
	ds_read_b64 v[11:12], v1 offset:2096
	ds_read_b64 v[21:22], v21 offset:2080
	v_cmp_gt_u32_e64 s[8:9], 2, v14
	s_waitcnt lgkmcnt(0)
	v_fma_f64 v[11:12], v[11:12], v[21:22], 0
	s_and_saveexec_b64 s[12:13], s[8:9]
	s_cbranch_execz .LBB46_101
; %bb.100:
	v_lshlrev_b32_e32 v21, 3, v0
	v_mov_b32_e32 v23, 0
	ds_read_b64 v[21:22], v21 offset:2608
	ds_read_b64 v[23:24], v23 offset:2088
	s_waitcnt lgkmcnt(0)
	v_fma_f64 v[11:12], v[21:22], v[23:24], v[11:12]
.LBB46_101:
	s_or_b64 exec, exec, s[12:13]
	v_xor_b32_e32 v12, 0x80000000, v12
.LBB46_102:
	s_or_b64 exec, exec, s[10:11]
	s_and_saveexec_b64 s[8:9], s[38:39]
	s_cbranch_execz .LBB46_104
; %bb.103:
	v_mov_b32_e32 v21, 0
	ds_read_b64 v[21:22], v21 offset:3120
	s_waitcnt lgkmcnt(0)
	v_mul_f64 v[11:12], v[11:12], v[21:22]
	ds_write_b64 v13, v[11:12]
.LBB46_104:
	s_or_b64 exec, exec, s[8:9]
	s_waitcnt lgkmcnt(0)
	s_barrier
	s_and_saveexec_b64 s[8:9], s[36:37]
	s_cbranch_execz .LBB46_106
; %bb.105:
	v_mov_b32_e32 v21, 0
	ds_read_b64 v[21:22], v21 offset:3128
	ds_read_b64 v[23:24], v13
	s_waitcnt lgkmcnt(0)
	v_fma_f64 v[11:12], v[21:22], v[23:24], v[11:12]
.LBB46_106:
	s_or_b64 exec, exec, s[8:9]
	s_barrier
	s_and_saveexec_b64 s[8:9], s[36:37]
	s_cbranch_execz .LBB46_108
; %bb.107:
	v_mov_b32_e32 v21, 0
	ds_read_b64 v[21:22], v21 offset:3640
	s_waitcnt lgkmcnt(0)
	v_mul_f64 v[11:12], v[11:12], v[21:22]
	ds_write_b64 v13, v[11:12]
.LBB46_108:
	s_or_b64 exec, exec, s[8:9]
	s_waitcnt lgkmcnt(0)
	s_barrier
	s_barrier
	s_and_saveexec_b64 s[8:9], s[0:1]
; %bb.109:
	v_xor_b32_e32 v12, 0x80000000, v12
	ds_write_b64 v1, v[11:12] offset:2096
; %bb.110:
	s_or_b64 exec, exec, s[8:9]
	s_waitcnt lgkmcnt(0)
	s_barrier
	s_barrier
	s_and_saveexec_b64 s[8:9], vcc
	s_cbranch_execz .LBB46_112
; %bb.111:
	v_mov_b32_e32 v25, 0
	ds_read_b128 v[21:24], v25 offset:3120
	ds_read_b64 v[11:12], v25 offset:3640
	s_waitcnt lgkmcnt(0)
	v_mul_f64 v[11:12], v[21:22], v[11:12]
	v_mul_f64 v[11:12], v[23:24], v[11:12]
	ds_write_b64 v25, v[11:12] offset:3128
.LBB46_112:
	s_or_b64 exec, exec, s[8:9]
	v_and_b32_e32 v24, 7, v0
	v_lshrrev_b32_e32 v25, 3, v14
	v_lshlrev_b32_e32 v22, 3, v24
	v_mov_b32_e32 v11, 0
	v_cmp_lt_u32_e64 s[8:9], 63, v14
	v_cmp_gt_u32_e64 s[14:15], 64, v14
	v_mov_b32_e32 v12, 0
	v_lshl_or_b32 v21, v25, 9, v22
	s_waitcnt lgkmcnt(0)
	s_barrier
	s_and_saveexec_b64 s[12:13], s[14:15]
	s_cbranch_execz .LBB46_122
; %bb.113:
	v_mul_u32_u24_e32 v23, 0x208, v25
	ds_read_b64 v[11:12], v21 offset:64
	ds_read_b64 v[26:27], v23
	v_cmp_gt_u32_e64 s[10:11], 56, v14
	s_waitcnt lgkmcnt(0)
	v_fma_f64 v[11:12], v[11:12], v[26:27], 0
	s_and_saveexec_b64 s[16:17], s[10:11]
	s_cbranch_execnz .LBB46_1038
; %bb.114:
	s_or_b64 exec, exec, s[16:17]
	v_cmp_gt_u32_e64 s[10:11], 48, v14
	s_and_saveexec_b64 s[16:17], s[10:11]
	s_cbranch_execnz .LBB46_1039
.LBB46_115:
	s_or_b64 exec, exec, s[16:17]
	v_cmp_gt_u32_e64 s[10:11], 40, v14
	s_and_saveexec_b64 s[16:17], s[10:11]
	s_cbranch_execnz .LBB46_1040
.LBB46_116:
	s_or_b64 exec, exec, s[16:17]
	v_cmp_gt_u32_e64 s[10:11], 32, v14
	s_and_saveexec_b64 s[16:17], s[10:11]
	s_cbranch_execnz .LBB46_1041
.LBB46_117:
	s_or_b64 exec, exec, s[16:17]
	v_cmp_gt_u32_e64 s[10:11], 24, v14
	s_and_saveexec_b64 s[16:17], s[10:11]
	s_cbranch_execnz .LBB46_1042
.LBB46_118:
	s_or_b64 exec, exec, s[16:17]
	v_cmp_gt_u32_e64 s[10:11], 16, v14
	s_and_saveexec_b64 s[16:17], s[10:11]
	s_cbranch_execnz .LBB46_1043
.LBB46_119:
	s_or_b64 exec, exec, s[16:17]
	v_cmp_gt_u32_e64 s[10:11], 8, v14
	s_and_saveexec_b64 s[16:17], s[10:11]
	s_cbranch_execz .LBB46_121
.LBB46_120:
	v_lshlrev_b32_e32 v23, 3, v0
	v_mov_b32_e32 v28, 0
	ds_read_b64 v[26:27], v23 offset:3648
	ds_read_b64 v[28:29], v28 offset:56
	s_waitcnt lgkmcnt(0)
	v_fma_f64 v[11:12], v[26:27], v[28:29], v[11:12]
.LBB46_121:
	s_or_b64 exec, exec, s[16:17]
	v_xor_b32_e32 v12, 0x80000000, v12
.LBB46_122:
                                        ; implicit-def: $vgpr41 : SGPR spill to VGPR lane
	v_writelane_b32 v41, s52, 0
	s_or_b64 exec, exec, s[12:13]
	v_mov_b32_e32 v23, 0x8000
	v_cmp_eq_u32_e64 s[10:11], 0, v24
	s_xor_b64 s[12:13], s[8:9], -1
	v_lshl_add_u32 v23, v25, 3, v23
	s_and_b64 s[52:53], s[10:11], s[12:13]
	s_and_saveexec_b64 s[8:9], s[52:53]
	s_cbranch_execz .LBB46_124
; %bb.123:
	v_mov_b32_e32 v26, 0
	ds_read_b64 v[26:27], v26 offset:4160
	s_waitcnt lgkmcnt(0)
	v_mul_f64 v[11:12], v[11:12], v[26:27]
	ds_write_b64 v23, v[11:12]
.LBB46_124:
	s_or_b64 exec, exec, s[8:9]
	v_cmp_ne_u32_e64 s[8:9], 0, v24
	s_and_b64 s[54:55], s[8:9], s[12:13]
	s_waitcnt lgkmcnt(0)
	s_barrier
	s_and_saveexec_b64 s[8:9], s[54:55]
	s_cbranch_execz .LBB46_126
; %bb.125:
	ds_read_b64 v[26:27], v22 offset:4160
	ds_read_b64 v[28:29], v23
	s_waitcnt lgkmcnt(0)
	v_fma_f64 v[11:12], v[26:27], v[28:29], v[11:12]
.LBB46_126:
	s_or_b64 exec, exec, s[8:9]
	v_cmp_eq_u32_e64 s[8:9], 1, v24
	s_and_b64 s[56:57], s[8:9], s[12:13]
	s_barrier
	s_and_saveexec_b64 s[8:9], s[56:57]
	s_cbranch_execz .LBB46_128
; %bb.127:
	v_mov_b32_e32 v26, 0
	ds_read_b64 v[26:27], v26 offset:4680
	s_waitcnt lgkmcnt(0)
	v_mul_f64 v[11:12], v[11:12], v[26:27]
	ds_write_b64 v23, v[11:12]
.LBB46_128:
	s_or_b64 exec, exec, s[8:9]
	v_cmp_lt_u32_e64 s[8:9], 1, v24
	s_and_b64 s[58:59], s[8:9], s[12:13]
	s_waitcnt lgkmcnt(0)
	s_barrier
	s_and_saveexec_b64 s[8:9], s[58:59]
	s_cbranch_execz .LBB46_130
; %bb.129:
	ds_read_b64 v[26:27], v22 offset:4672
	ds_read_b64 v[28:29], v23
	s_waitcnt lgkmcnt(0)
	v_fma_f64 v[11:12], v[26:27], v[28:29], v[11:12]
.LBB46_130:
	s_or_b64 exec, exec, s[8:9]
	v_cmp_eq_u32_e64 s[8:9], 2, v24
	s_and_b64 s[60:61], s[8:9], s[12:13]
	s_barrier
	s_and_saveexec_b64 s[8:9], s[60:61]
	s_cbranch_execz .LBB46_132
; %bb.131:
	v_mov_b32_e32 v26, 0
	ds_read_b64 v[26:27], v26 offset:5200
	s_waitcnt lgkmcnt(0)
	v_mul_f64 v[11:12], v[11:12], v[26:27]
	ds_write_b64 v23, v[11:12]
.LBB46_132:
	s_or_b64 exec, exec, s[8:9]
	v_cmp_lt_u32_e64 s[8:9], 2, v24
	;; [unrolled: 26-line block ×5, first 2 shown]
	s_and_b64 s[76:77], s[8:9], s[12:13]
	s_waitcnt lgkmcnt(0)
	s_barrier
	s_and_saveexec_b64 s[8:9], s[76:77]
	s_cbranch_execz .LBB46_146
; %bb.145:
	ds_read_b64 v[26:27], v22 offset:6720
	ds_read_b64 v[28:29], v23
	s_waitcnt lgkmcnt(0)
	v_fma_f64 v[11:12], v[26:27], v[28:29], v[11:12]
.LBB46_146:
	s_or_b64 exec, exec, s[8:9]
	v_cmp_eq_u32_e64 s[8:9], 6, v24
	s_and_b64 s[78:79], s[8:9], s[12:13]
	s_barrier
	s_and_saveexec_b64 s[8:9], s[78:79]
	s_cbranch_execz .LBB46_148
; %bb.147:
	v_mov_b32_e32 v26, 0
	ds_read_b64 v[26:27], v26 offset:7280
	s_waitcnt lgkmcnt(0)
	v_mul_f64 v[11:12], v[11:12], v[26:27]
	ds_write_b64 v23, v[11:12]
.LBB46_148:
	s_or_b64 exec, exec, s[8:9]
	v_cmp_eq_u32_e64 s[8:9], 7, v24
	s_and_b64 s[62:63], s[8:9], s[12:13]
	s_waitcnt lgkmcnt(0)
	s_barrier
	s_and_saveexec_b64 s[8:9], s[62:63]
	s_cbranch_execz .LBB46_150
; %bb.149:
	v_mov_b32_e32 v26, 0
	ds_read_b64 v[26:27], v26 offset:7288
	ds_read_b64 v[28:29], v23
	s_waitcnt lgkmcnt(0)
	v_fma_f64 v[11:12], v[26:27], v[28:29], v[11:12]
.LBB46_150:
	s_or_b64 exec, exec, s[8:9]
	s_barrier
	s_and_saveexec_b64 s[8:9], s[62:63]
	s_cbranch_execz .LBB46_152
; %bb.151:
	v_mov_b32_e32 v26, 0
	ds_read_b64 v[26:27], v26 offset:7800
	s_waitcnt lgkmcnt(0)
	v_mul_f64 v[11:12], v[11:12], v[26:27]
	ds_write_b64 v23, v[11:12]
.LBB46_152:
	s_or_b64 exec, exec, s[8:9]
	s_waitcnt lgkmcnt(0)
	s_barrier
	s_barrier
	s_and_saveexec_b64 s[8:9], s[14:15]
; %bb.153:
	v_xor_b32_e32 v12, 0x80000000, v12
	ds_write_b64 v21, v[11:12] offset:64
; %bb.154:
	s_or_b64 exec, exec, s[8:9]
	s_waitcnt lgkmcnt(0)
	s_barrier
	s_barrier
	s_and_saveexec_b64 s[8:9], vcc
	s_cbranch_execz .LBB46_156
; %bb.155:
	v_mov_b32_e32 v30, 0
	ds_read_b128 v[26:29], v30 offset:4160
	ds_read_b64 v[11:12], v30 offset:4680
	s_waitcnt lgkmcnt(0)
	v_mul_f64 v[11:12], v[26:27], v[11:12]
	v_mul_f64 v[11:12], v[28:29], v[11:12]
	ds_write_b64 v30, v[11:12] offset:4168
.LBB46_156:
	s_or_b64 exec, exec, s[8:9]
	v_mov_b32_e32 v11, 0
	v_mov_b32_e32 v12, 0
	s_waitcnt lgkmcnt(0)
	s_barrier
	s_and_saveexec_b64 s[10:11], s[0:1]
	s_cbranch_execz .LBB46_160
; %bb.157:
	v_mul_u32_u24_e32 v26, 0x208, v15
	ds_read_b64 v[11:12], v1 offset:4176
	ds_read_b64 v[26:27], v26 offset:4160
	v_cmp_gt_u32_e64 s[8:9], 2, v14
	s_waitcnt lgkmcnt(0)
	v_fma_f64 v[11:12], v[11:12], v[26:27], 0
	s_and_saveexec_b64 s[12:13], s[8:9]
	s_cbranch_execz .LBB46_159
; %bb.158:
	v_lshlrev_b32_e32 v26, 3, v0
	v_mov_b32_e32 v28, 0
	ds_read_b64 v[26:27], v26 offset:4688
	ds_read_b64 v[28:29], v28 offset:4168
	s_waitcnt lgkmcnt(0)
	v_fma_f64 v[11:12], v[26:27], v[28:29], v[11:12]
.LBB46_159:
	s_or_b64 exec, exec, s[12:13]
	v_xor_b32_e32 v12, 0x80000000, v12
.LBB46_160:
	s_or_b64 exec, exec, s[10:11]
	s_and_saveexec_b64 s[8:9], s[38:39]
	s_cbranch_execz .LBB46_162
; %bb.161:
	v_mov_b32_e32 v26, 0
	ds_read_b64 v[26:27], v26 offset:5200
	s_waitcnt lgkmcnt(0)
	v_mul_f64 v[11:12], v[11:12], v[26:27]
	ds_write_b64 v13, v[11:12]
.LBB46_162:
	s_or_b64 exec, exec, s[8:9]
	s_waitcnt lgkmcnt(0)
	s_barrier
	s_and_saveexec_b64 s[8:9], s[36:37]
	s_cbranch_execz .LBB46_164
; %bb.163:
	v_mov_b32_e32 v26, 0
	ds_read_b64 v[26:27], v26 offset:5208
	ds_read_b64 v[28:29], v13
	s_waitcnt lgkmcnt(0)
	v_fma_f64 v[11:12], v[26:27], v[28:29], v[11:12]
.LBB46_164:
	s_or_b64 exec, exec, s[8:9]
	s_barrier
	s_and_saveexec_b64 s[8:9], s[36:37]
	s_cbranch_execz .LBB46_166
; %bb.165:
	v_mov_b32_e32 v26, 0
	ds_read_b64 v[26:27], v26 offset:5720
	s_waitcnt lgkmcnt(0)
	v_mul_f64 v[11:12], v[11:12], v[26:27]
	ds_write_b64 v13, v[11:12]
.LBB46_166:
	s_or_b64 exec, exec, s[8:9]
	s_waitcnt lgkmcnt(0)
	s_barrier
	s_barrier
	s_and_saveexec_b64 s[8:9], s[0:1]
; %bb.167:
	v_xor_b32_e32 v12, 0x80000000, v12
	ds_write_b64 v1, v[11:12] offset:4176
; %bb.168:
	s_or_b64 exec, exec, s[8:9]
	s_waitcnt lgkmcnt(0)
	s_barrier
	s_barrier
	s_and_saveexec_b64 s[8:9], vcc
	s_cbranch_execz .LBB46_170
; %bb.169:
	v_mov_b32_e32 v30, 0
	ds_read_b128 v[26:29], v30 offset:5200
	ds_read_b64 v[11:12], v30 offset:5720
	s_waitcnt lgkmcnt(0)
	v_mul_f64 v[11:12], v[26:27], v[11:12]
	v_mul_f64 v[11:12], v[28:29], v[11:12]
	ds_write_b64 v30, v[11:12] offset:5208
.LBB46_170:
	s_or_b64 exec, exec, s[8:9]
	v_mov_b32_e32 v11, 0
	v_mov_b32_e32 v12, 0
	s_waitcnt lgkmcnt(0)
	s_barrier
	s_and_saveexec_b64 s[10:11], s[2:3]
	s_cbranch_execz .LBB46_176
; %bb.171:
	v_mul_u32_u24_e32 v26, 0x208, v20
	ds_read_b64 v[11:12], v16 offset:4192
	ds_read_b64 v[27:28], v26 offset:4160
	v_cmp_gt_u32_e64 s[8:9], 12, v14
	s_waitcnt lgkmcnt(0)
	v_fma_f64 v[11:12], v[11:12], v[27:28], 0
	s_and_saveexec_b64 s[12:13], s[8:9]
	s_cbranch_execnz .LBB46_1044
; %bb.172:
	s_or_b64 exec, exec, s[12:13]
	v_cmp_gt_u32_e64 s[8:9], 8, v14
	s_and_saveexec_b64 s[12:13], s[8:9]
	s_cbranch_execnz .LBB46_1045
.LBB46_173:
	s_or_b64 exec, exec, s[12:13]
	v_cmp_gt_u32_e64 s[8:9], 4, v14
	s_and_saveexec_b64 s[12:13], s[8:9]
	s_cbranch_execz .LBB46_175
.LBB46_174:
	v_lshlrev_b32_e32 v26, 3, v0
	v_mov_b32_e32 v28, 0
	ds_read_b64 v[26:27], v26 offset:5728
	ds_read_b64 v[28:29], v28 offset:4184
	s_waitcnt lgkmcnt(0)
	v_fma_f64 v[11:12], v[26:27], v[28:29], v[11:12]
.LBB46_175:
	s_or_b64 exec, exec, s[12:13]
	v_xor_b32_e32 v12, 0x80000000, v12
.LBB46_176:
	s_or_b64 exec, exec, s[10:11]
	s_and_saveexec_b64 s[8:9], s[42:43]
	s_cbranch_execz .LBB46_178
; %bb.177:
	v_mov_b32_e32 v26, 0
	ds_read_b64 v[26:27], v26 offset:6240
	s_waitcnt lgkmcnt(0)
	v_mul_f64 v[11:12], v[11:12], v[26:27]
	ds_write_b64 v18, v[11:12]
.LBB46_178:
	s_or_b64 exec, exec, s[8:9]
	s_waitcnt lgkmcnt(0)
	s_barrier
	s_and_saveexec_b64 s[8:9], s[44:45]
	s_cbranch_execz .LBB46_180
; %bb.179:
	ds_read_b64 v[26:27], v17 offset:6240
	ds_read_b64 v[28:29], v18
	s_waitcnt lgkmcnt(0)
	v_fma_f64 v[11:12], v[26:27], v[28:29], v[11:12]
.LBB46_180:
	s_or_b64 exec, exec, s[8:9]
	s_barrier
	s_and_saveexec_b64 s[8:9], s[46:47]
	s_cbranch_execz .LBB46_182
; %bb.181:
	v_mov_b32_e32 v26, 0
	ds_read_b64 v[26:27], v26 offset:6760
	s_waitcnt lgkmcnt(0)
	v_mul_f64 v[11:12], v[11:12], v[26:27]
	ds_write_b64 v18, v[11:12]
.LBB46_182:
	s_or_b64 exec, exec, s[8:9]
	s_waitcnt lgkmcnt(0)
	s_barrier
	s_and_saveexec_b64 s[8:9], s[48:49]
	s_cbranch_execz .LBB46_184
; %bb.183:
	ds_read_b64 v[26:27], v17 offset:6752
	ds_read_b64 v[28:29], v18
	s_waitcnt lgkmcnt(0)
	v_fma_f64 v[11:12], v[26:27], v[28:29], v[11:12]
.LBB46_184:
	s_or_b64 exec, exec, s[8:9]
	s_barrier
	s_and_saveexec_b64 s[8:9], s[50:51]
	s_cbranch_execz .LBB46_186
; %bb.185:
	v_mov_b32_e32 v26, 0
	ds_read_b64 v[26:27], v26 offset:7280
	s_waitcnt lgkmcnt(0)
	v_mul_f64 v[11:12], v[11:12], v[26:27]
	ds_write_b64 v18, v[11:12]
.LBB46_186:
	s_or_b64 exec, exec, s[8:9]
	s_waitcnt lgkmcnt(0)
	s_barrier
	s_and_saveexec_b64 s[8:9], s[40:41]
	s_cbranch_execz .LBB46_188
; %bb.187:
	v_mov_b32_e32 v26, 0
	ds_read_b64 v[26:27], v26 offset:7288
	ds_read_b64 v[28:29], v18
	s_waitcnt lgkmcnt(0)
	v_fma_f64 v[11:12], v[26:27], v[28:29], v[11:12]
.LBB46_188:
	s_or_b64 exec, exec, s[8:9]
	s_barrier
	s_and_saveexec_b64 s[8:9], s[40:41]
	s_cbranch_execz .LBB46_190
; %bb.189:
	v_mov_b32_e32 v26, 0
	ds_read_b64 v[26:27], v26 offset:7800
	s_waitcnt lgkmcnt(0)
	v_mul_f64 v[11:12], v[11:12], v[26:27]
	ds_write_b64 v18, v[11:12]
.LBB46_190:
	s_or_b64 exec, exec, s[8:9]
	s_waitcnt lgkmcnt(0)
	s_barrier
	s_barrier
	s_and_saveexec_b64 s[8:9], s[2:3]
; %bb.191:
	v_xor_b32_e32 v12, 0x80000000, v12
	ds_write_b64 v16, v[11:12] offset:4192
; %bb.192:
	s_or_b64 exec, exec, s[8:9]
	s_waitcnt lgkmcnt(0)
	s_barrier
	s_barrier
	s_and_saveexec_b64 s[8:9], vcc
	s_cbranch_execz .LBB46_194
; %bb.193:
	v_mov_b32_e32 v30, 0
	ds_read_b128 v[26:29], v30 offset:6240
	ds_read_b64 v[11:12], v30 offset:6760
	s_waitcnt lgkmcnt(0)
	v_mul_f64 v[11:12], v[26:27], v[11:12]
	v_mul_f64 v[11:12], v[28:29], v[11:12]
	ds_write_b64 v30, v[11:12] offset:6248
.LBB46_194:
	s_or_b64 exec, exec, s[8:9]
	v_mov_b32_e32 v11, 0
	v_mov_b32_e32 v12, 0
	s_waitcnt lgkmcnt(0)
	s_barrier
	s_and_saveexec_b64 s[10:11], s[0:1]
	s_cbranch_execz .LBB46_198
; %bb.195:
	v_mul_u32_u24_e32 v26, 0x208, v15
	ds_read_b64 v[11:12], v1 offset:6256
	ds_read_b64 v[26:27], v26 offset:6240
	v_cmp_gt_u32_e64 s[8:9], 2, v14
	s_waitcnt lgkmcnt(0)
	v_fma_f64 v[11:12], v[11:12], v[26:27], 0
	s_and_saveexec_b64 s[12:13], s[8:9]
	s_cbranch_execz .LBB46_197
; %bb.196:
	v_lshlrev_b32_e32 v26, 3, v0
	v_mov_b32_e32 v28, 0
	ds_read_b64 v[26:27], v26 offset:6768
	ds_read_b64 v[28:29], v28 offset:6248
	s_waitcnt lgkmcnt(0)
	v_fma_f64 v[11:12], v[26:27], v[28:29], v[11:12]
.LBB46_197:
	s_or_b64 exec, exec, s[12:13]
	v_xor_b32_e32 v12, 0x80000000, v12
.LBB46_198:
	s_or_b64 exec, exec, s[10:11]
	s_and_saveexec_b64 s[8:9], s[38:39]
	s_cbranch_execz .LBB46_200
; %bb.199:
	v_mov_b32_e32 v26, 0
	ds_read_b64 v[26:27], v26 offset:7280
	s_waitcnt lgkmcnt(0)
	v_mul_f64 v[11:12], v[11:12], v[26:27]
	ds_write_b64 v13, v[11:12]
.LBB46_200:
	s_or_b64 exec, exec, s[8:9]
	s_waitcnt lgkmcnt(0)
	s_barrier
	s_and_saveexec_b64 s[8:9], s[36:37]
	s_cbranch_execz .LBB46_202
; %bb.201:
	v_mov_b32_e32 v26, 0
	ds_read_b64 v[26:27], v26 offset:7288
	ds_read_b64 v[28:29], v13
	s_waitcnt lgkmcnt(0)
	v_fma_f64 v[11:12], v[26:27], v[28:29], v[11:12]
.LBB46_202:
	s_or_b64 exec, exec, s[8:9]
	s_barrier
	s_and_saveexec_b64 s[8:9], s[36:37]
	s_cbranch_execz .LBB46_204
; %bb.203:
	v_mov_b32_e32 v26, 0
	ds_read_b64 v[26:27], v26 offset:7800
	s_waitcnt lgkmcnt(0)
	v_mul_f64 v[11:12], v[11:12], v[26:27]
	ds_write_b64 v13, v[11:12]
.LBB46_204:
	s_or_b64 exec, exec, s[8:9]
	s_waitcnt lgkmcnt(0)
	s_barrier
	s_barrier
	s_and_saveexec_b64 s[8:9], s[0:1]
; %bb.205:
	v_xor_b32_e32 v12, 0x80000000, v12
	ds_write_b64 v1, v[11:12] offset:6256
; %bb.206:
	s_or_b64 exec, exec, s[8:9]
	s_waitcnt lgkmcnt(0)
	s_barrier
	s_barrier
	s_and_saveexec_b64 s[8:9], vcc
	s_cbranch_execz .LBB46_208
; %bb.207:
	v_mov_b32_e32 v30, 0
	ds_read_b128 v[26:29], v30 offset:7280
	ds_read_b64 v[11:12], v30 offset:7800
	s_waitcnt lgkmcnt(0)
	v_mul_f64 v[11:12], v[26:27], v[11:12]
	v_mul_f64 v[11:12], v[28:29], v[11:12]
	ds_write_b64 v30, v[11:12] offset:7288
.LBB46_208:
	s_or_b64 exec, exec, s[8:9]
	v_lshrrev_b32_e32 v30, 4, v14
	v_and_b32_e32 v27, 15, v0
	s_movk_i32 s8, 0xff
	v_lshlrev_b32_e32 v29, 6, v30
	v_cmp_lt_u32_e64 s[10:11], s8, v14
	s_movk_i32 s8, 0x100
	v_or_b32_e32 v26, v29, v27
	v_mov_b32_e32 v11, 0
	v_cmp_gt_u32_e64 s[8:9], s8, v14
	v_mov_b32_e32 v12, 0
	v_lshlrev_b32_e32 v26, 3, v26
	s_waitcnt lgkmcnt(0)
	s_barrier
	s_and_saveexec_b64 s[16:17], s[8:9]
	s_cbranch_execz .LBB46_236
; %bb.209:
	v_mul_u32_u24_e32 v28, 0x208, v30
	ds_read_b64 v[11:12], v26 offset:128
	ds_read_b64 v[31:32], v28
	s_movk_i32 s12, 0xf0
	v_cmp_gt_u32_e64 s[12:13], s12, v14
	s_waitcnt lgkmcnt(0)
	v_fma_f64 v[11:12], v[11:12], v[31:32], 0
	s_and_saveexec_b64 s[80:81], s[12:13]
	s_cbranch_execz .LBB46_211
; %bb.210:
	v_lshlrev_b32_e32 v31, 3, v30
	v_sub_u32_e32 v31, v28, v31
	v_lshl_add_u32 v31, v27, 3, v31
	ds_read_b64 v[31:32], v31 offset:640
	ds_read_b64 v[33:34], v28 offset:8
	s_waitcnt lgkmcnt(0)
	v_fma_f64 v[11:12], v[31:32], v[33:34], v[11:12]
.LBB46_211:
	s_or_b64 exec, exec, s[80:81]
	s_movk_i32 s12, 0xe0
	v_cmp_gt_u32_e64 s[12:13], s12, v14
	s_and_saveexec_b64 s[80:81], s[12:13]
	s_cbranch_execz .LBB46_213
; %bb.212:
	v_lshlrev_b32_e32 v31, 3, v30
	v_sub_u32_e32 v31, v28, v31
	v_lshl_add_u32 v31, v27, 3, v31
	ds_read_b64 v[31:32], v31 offset:1152
	ds_read_b64 v[33:34], v28 offset:16
	s_waitcnt lgkmcnt(0)
	v_fma_f64 v[11:12], v[31:32], v[33:34], v[11:12]
.LBB46_213:
	s_or_b64 exec, exec, s[80:81]
	s_movk_i32 s12, 0xd0
	v_cmp_gt_u32_e64 s[12:13], s12, v14
	;; [unrolled: 14-line block ×7, first 2 shown]
	s_and_saveexec_b64 s[80:81], s[12:13]
	s_cbranch_execz .LBB46_225
; %bb.224:
	ds_read_b64 v[31:32], v26 offset:4224
	ds_read_b64 v[33:34], v28 offset:64
	s_waitcnt lgkmcnt(0)
	v_fma_f64 v[11:12], v[31:32], v[33:34], v[11:12]
.LBB46_225:
	s_or_b64 exec, exec, s[80:81]
	s_movk_i32 s12, 0x70
	v_cmp_gt_u32_e64 s[12:13], s12, v14
	s_and_saveexec_b64 s[80:81], s[12:13]
	s_cbranch_execz .LBB46_227
; %bb.226:
	v_lshlrev_b32_e32 v31, 3, v30
	v_sub_u32_e32 v31, v28, v31
	v_lshl_add_u32 v31, v27, 3, v31
	ds_read_b64 v[31:32], v31 offset:4736
	ds_read_b64 v[33:34], v28 offset:72
	s_waitcnt lgkmcnt(0)
	v_fma_f64 v[11:12], v[31:32], v[33:34], v[11:12]
.LBB46_227:
	s_or_b64 exec, exec, s[80:81]
	s_movk_i32 s12, 0x60
	v_cmp_gt_u32_e64 s[12:13], s12, v14
	s_and_saveexec_b64 s[80:81], s[12:13]
	s_cbranch_execz .LBB46_229
; %bb.228:
	v_lshlrev_b32_e32 v31, 3, v27
	v_lshl_add_u32 v31, v29, 3, v31
	ds_read_b64 v[31:32], v31 offset:5248
	ds_read_b64 v[33:34], v28 offset:80
	s_waitcnt lgkmcnt(0)
	v_fma_f64 v[11:12], v[31:32], v[33:34], v[11:12]
.LBB46_229:
	s_or_b64 exec, exec, s[80:81]
	s_movk_i32 s12, 0x50
	v_cmp_gt_u32_e64 s[12:13], s12, v14
	s_and_saveexec_b64 s[80:81], s[12:13]
	s_cbranch_execnz .LBB46_1046
; %bb.230:
	s_or_b64 exec, exec, s[80:81]
	v_cmp_gt_u32_e64 s[12:13], 64, v14
	s_and_saveexec_b64 s[80:81], s[12:13]
	s_cbranch_execnz .LBB46_1047
.LBB46_231:
	s_or_b64 exec, exec, s[80:81]
	v_cmp_gt_u32_e64 s[12:13], 48, v14
	s_and_saveexec_b64 s[80:81], s[12:13]
	s_cbranch_execnz .LBB46_1048
.LBB46_232:
	s_or_b64 exec, exec, s[80:81]
	v_cmp_gt_u32_e64 s[12:13], 32, v14
	s_and_saveexec_b64 s[80:81], s[12:13]
	s_cbranch_execnz .LBB46_1049
.LBB46_233:
	s_or_b64 exec, exec, s[80:81]
	v_cmp_gt_u32_e64 s[12:13], 16, v14
	s_and_saveexec_b64 s[80:81], s[12:13]
	s_cbranch_execz .LBB46_235
.LBB46_234:
	v_lshlrev_b32_e32 v28, 3, v0
	v_mov_b32_e32 v33, 0
	ds_read_b64 v[31:32], v28 offset:7808
	ds_read_b64 v[33:34], v33 offset:120
	s_waitcnt lgkmcnt(0)
	v_fma_f64 v[11:12], v[31:32], v[33:34], v[11:12]
.LBB46_235:
	s_or_b64 exec, exec, s[80:81]
	v_xor_b32_e32 v12, 0x80000000, v12
.LBB46_236:
	s_or_b64 exec, exec, s[16:17]
	v_mov_b32_e32 v28, 0x8000
	v_lshl_add_u32 v28, v30, 3, v28
	v_cmp_eq_u32_e64 s[12:13], 0, v27
	s_xor_b64 s[16:17], s[10:11], -1
	s_and_b64 s[12:13], s[12:13], s[16:17]
	s_mov_b64 s[10:11], exec
	v_writelane_b32 v41, s12, 1
	v_writelane_b32 v41, s13, 2
	s_and_b64 s[12:13], s[10:11], s[12:13]
	s_mov_b64 exec, s[12:13]
	s_cbranch_execz .LBB46_238
; %bb.237:
	v_mov_b32_e32 v31, 0
	ds_read_b64 v[31:32], v31 offset:8320
	s_waitcnt lgkmcnt(0)
	v_mul_f64 v[11:12], v[11:12], v[31:32]
	ds_write_b64 v28, v[11:12]
.LBB46_238:
	s_or_b64 exec, exec, s[10:11]
	v_cmp_ne_u32_e64 s[10:11], 0, v27
	s_waitcnt lgkmcnt(0)
	s_barrier
	s_and_b64 s[12:13], s[10:11], s[16:17]
	s_mov_b64 s[10:11], exec
	v_writelane_b32 v41, s12, 3
	v_writelane_b32 v41, s13, 4
	s_and_b64 s[12:13], s[10:11], s[12:13]
	s_mov_b64 exec, s[12:13]
	s_cbranch_execz .LBB46_240
; %bb.239:
	v_lshlrev_b32_e32 v31, 3, v27
	ds_read_b64 v[31:32], v31 offset:8320
	ds_read_b64 v[33:34], v28
	s_waitcnt lgkmcnt(0)
	v_fma_f64 v[11:12], v[31:32], v[33:34], v[11:12]
.LBB46_240:
	s_or_b64 exec, exec, s[10:11]
	v_cmp_eq_u32_e64 s[10:11], 1, v27
	s_barrier
	s_and_b64 s[12:13], s[10:11], s[16:17]
	s_mov_b64 s[10:11], exec
	v_writelane_b32 v41, s12, 5
	v_writelane_b32 v41, s13, 6
	s_and_b64 s[12:13], s[10:11], s[12:13]
	s_mov_b64 exec, s[12:13]
	s_cbranch_execz .LBB46_242
; %bb.241:
	v_mov_b32_e32 v31, 0
	ds_read_b64 v[31:32], v31 offset:8840
	s_waitcnt lgkmcnt(0)
	v_mul_f64 v[11:12], v[11:12], v[31:32]
	ds_write_b64 v28, v[11:12]
.LBB46_242:
	s_or_b64 exec, exec, s[10:11]
	v_cmp_lt_u32_e64 s[10:11], 1, v27
	s_waitcnt lgkmcnt(0)
	s_barrier
	s_and_b64 s[12:13], s[10:11], s[16:17]
	s_mov_b64 s[10:11], exec
	v_writelane_b32 v41, s12, 7
	v_writelane_b32 v41, s13, 8
	s_and_b64 s[12:13], s[10:11], s[12:13]
	s_mov_b64 exec, s[12:13]
	s_cbranch_execz .LBB46_244
; %bb.243:
	v_lshlrev_b32_e32 v31, 3, v27
	ds_read_b64 v[31:32], v31 offset:8832
	ds_read_b64 v[33:34], v28
	s_waitcnt lgkmcnt(0)
	v_fma_f64 v[11:12], v[31:32], v[33:34], v[11:12]
.LBB46_244:
	s_or_b64 exec, exec, s[10:11]
	v_cmp_eq_u32_e64 s[10:11], 2, v27
	s_barrier
	s_and_b64 s[12:13], s[10:11], s[16:17]
	s_mov_b64 s[10:11], exec
	v_writelane_b32 v41, s12, 9
	v_writelane_b32 v41, s13, 10
	s_and_b64 s[12:13], s[10:11], s[12:13]
	s_mov_b64 exec, s[12:13]
	s_cbranch_execz .LBB46_246
; %bb.245:
	v_mov_b32_e32 v31, 0
	ds_read_b64 v[31:32], v31 offset:9360
	s_waitcnt lgkmcnt(0)
	v_mul_f64 v[11:12], v[11:12], v[31:32]
	ds_write_b64 v28, v[11:12]
.LBB46_246:
	s_or_b64 exec, exec, s[10:11]
	v_cmp_lt_u32_e64 s[10:11], 2, v27
	;; [unrolled: 35-line block ×12, first 2 shown]
	s_waitcnt lgkmcnt(0)
	s_barrier
	s_and_b64 s[12:13], s[10:11], s[16:17]
	s_mov_b64 s[10:11], exec
	v_writelane_b32 v41, s12, 51
	v_writelane_b32 v41, s13, 52
	s_and_b64 s[12:13], s[10:11], s[12:13]
	s_mov_b64 exec, s[12:13]
	s_cbranch_execz .LBB46_288
; %bb.287:
	v_lshlrev_b32_e32 v31, 3, v27
	ds_read_b64 v[31:32], v31 offset:14464
	ds_read_b64 v[33:34], v28
	s_waitcnt lgkmcnt(0)
	v_fma_f64 v[11:12], v[31:32], v[33:34], v[11:12]
.LBB46_288:
	s_or_b64 exec, exec, s[10:11]
	v_cmp_eq_u32_e64 s[10:11], 13, v27
	s_and_b64 s[86:87], s[10:11], s[16:17]
	s_barrier
	s_and_saveexec_b64 s[10:11], s[86:87]
	s_cbranch_execz .LBB46_290
; %bb.289:
	v_mov_b32_e32 v31, 0
	ds_read_b64 v[31:32], v31 offset:15080
	s_waitcnt lgkmcnt(0)
	v_mul_f64 v[11:12], v[11:12], v[31:32]
	ds_write_b64 v28, v[11:12]
.LBB46_290:
	s_or_b64 exec, exec, s[10:11]
	v_cmp_lt_u32_e64 s[10:11], 13, v27
	s_and_b64 s[88:89], s[10:11], s[16:17]
	s_waitcnt lgkmcnt(0)
	s_barrier
	s_and_saveexec_b64 s[10:11], s[88:89]
	s_cbranch_execz .LBB46_292
; %bb.291:
	v_lshlrev_b32_e32 v31, 3, v27
	ds_read_b64 v[31:32], v31 offset:14976
	ds_read_b64 v[33:34], v28
	s_waitcnt lgkmcnt(0)
	v_fma_f64 v[11:12], v[31:32], v[33:34], v[11:12]
.LBB46_292:
	s_or_b64 exec, exec, s[10:11]
	v_cmp_eq_u32_e64 s[10:11], 14, v27
	s_and_b64 s[92:93], s[10:11], s[16:17]
	s_barrier
	s_and_saveexec_b64 s[10:11], s[92:93]
	s_cbranch_execz .LBB46_294
; %bb.293:
	v_mov_b32_e32 v31, 0
	ds_read_b64 v[31:32], v31 offset:15600
	s_waitcnt lgkmcnt(0)
	v_mul_f64 v[11:12], v[11:12], v[31:32]
	ds_write_b64 v28, v[11:12]
.LBB46_294:
	s_or_b64 exec, exec, s[10:11]
	v_cmp_eq_u32_e64 s[10:11], 15, v27
	s_and_b64 s[90:91], s[10:11], s[16:17]
	s_waitcnt lgkmcnt(0)
	s_barrier
	s_and_saveexec_b64 s[10:11], s[90:91]
	s_cbranch_execz .LBB46_296
; %bb.295:
	v_mov_b32_e32 v31, 0
	ds_read_b64 v[31:32], v31 offset:15608
	ds_read_b64 v[33:34], v28
	s_waitcnt lgkmcnt(0)
	v_fma_f64 v[11:12], v[31:32], v[33:34], v[11:12]
.LBB46_296:
	s_or_b64 exec, exec, s[10:11]
	s_barrier
	s_and_saveexec_b64 s[10:11], s[90:91]
	s_cbranch_execz .LBB46_298
; %bb.297:
	v_mov_b32_e32 v31, 0
	ds_read_b64 v[31:32], v31 offset:16120
	s_waitcnt lgkmcnt(0)
	v_mul_f64 v[11:12], v[11:12], v[31:32]
	ds_write_b64 v28, v[11:12]
.LBB46_298:
	s_or_b64 exec, exec, s[10:11]
	s_waitcnt lgkmcnt(0)
	s_barrier
	s_barrier
	s_and_saveexec_b64 s[10:11], s[8:9]
; %bb.299:
	v_xor_b32_e32 v12, 0x80000000, v12
	ds_write_b64 v26, v[11:12] offset:128
; %bb.300:
	s_or_b64 exec, exec, s[10:11]
	s_waitcnt lgkmcnt(0)
	s_barrier
	s_barrier
	s_and_saveexec_b64 s[10:11], vcc
	s_cbranch_execz .LBB46_302
; %bb.301:
	v_mov_b32_e32 v35, 0
	ds_read_b128 v[31:34], v35 offset:8320
	ds_read_b64 v[11:12], v35 offset:8840
	s_waitcnt lgkmcnt(0)
	v_mul_f64 v[11:12], v[31:32], v[11:12]
	v_mul_f64 v[11:12], v[33:34], v[11:12]
	ds_write_b64 v35, v[11:12] offset:8328
.LBB46_302:
	s_or_b64 exec, exec, s[10:11]
	v_mov_b32_e32 v11, 0
	v_mov_b32_e32 v12, 0
	s_waitcnt lgkmcnt(0)
	s_barrier
	s_and_saveexec_b64 s[12:13], s[0:1]
	s_cbranch_execz .LBB46_306
; %bb.303:
	v_mul_u32_u24_e32 v31, 0x208, v15
	ds_read_b64 v[11:12], v1 offset:8336
	ds_read_b64 v[31:32], v31 offset:8320
	v_cmp_gt_u32_e64 s[10:11], 2, v14
	s_waitcnt lgkmcnt(0)
	v_fma_f64 v[11:12], v[11:12], v[31:32], 0
	s_and_saveexec_b64 s[16:17], s[10:11]
	s_cbranch_execz .LBB46_305
; %bb.304:
	v_lshlrev_b32_e32 v31, 3, v0
	v_mov_b32_e32 v33, 0
	ds_read_b64 v[31:32], v31 offset:8848
	ds_read_b64 v[33:34], v33 offset:8328
	s_waitcnt lgkmcnt(0)
	v_fma_f64 v[11:12], v[31:32], v[33:34], v[11:12]
.LBB46_305:
	s_or_b64 exec, exec, s[16:17]
	v_xor_b32_e32 v12, 0x80000000, v12
.LBB46_306:
	s_or_b64 exec, exec, s[12:13]
	s_and_saveexec_b64 s[10:11], s[38:39]
	s_cbranch_execz .LBB46_308
; %bb.307:
	v_mov_b32_e32 v31, 0
	ds_read_b64 v[31:32], v31 offset:9360
	s_waitcnt lgkmcnt(0)
	v_mul_f64 v[11:12], v[11:12], v[31:32]
	ds_write_b64 v13, v[11:12]
.LBB46_308:
	s_or_b64 exec, exec, s[10:11]
	s_waitcnt lgkmcnt(0)
	s_barrier
	s_and_saveexec_b64 s[10:11], s[36:37]
	s_cbranch_execz .LBB46_310
; %bb.309:
	v_mov_b32_e32 v31, 0
	ds_read_b64 v[31:32], v31 offset:9368
	ds_read_b64 v[33:34], v13
	s_waitcnt lgkmcnt(0)
	v_fma_f64 v[11:12], v[31:32], v[33:34], v[11:12]
.LBB46_310:
	s_or_b64 exec, exec, s[10:11]
	s_barrier
	s_and_saveexec_b64 s[10:11], s[36:37]
	s_cbranch_execz .LBB46_312
; %bb.311:
	v_mov_b32_e32 v31, 0
	ds_read_b64 v[31:32], v31 offset:9880
	s_waitcnt lgkmcnt(0)
	v_mul_f64 v[11:12], v[11:12], v[31:32]
	ds_write_b64 v13, v[11:12]
.LBB46_312:
	s_or_b64 exec, exec, s[10:11]
	s_waitcnt lgkmcnt(0)
	s_barrier
	s_barrier
	s_and_saveexec_b64 s[10:11], s[0:1]
; %bb.313:
	v_xor_b32_e32 v12, 0x80000000, v12
	ds_write_b64 v1, v[11:12] offset:8336
; %bb.314:
	s_or_b64 exec, exec, s[10:11]
	s_waitcnt lgkmcnt(0)
	s_barrier
	s_barrier
	s_and_saveexec_b64 s[10:11], vcc
	s_cbranch_execz .LBB46_316
; %bb.315:
	v_mov_b32_e32 v35, 0
	ds_read_b128 v[31:34], v35 offset:9360
	ds_read_b64 v[11:12], v35 offset:9880
	s_waitcnt lgkmcnt(0)
	v_mul_f64 v[11:12], v[31:32], v[11:12]
	v_mul_f64 v[11:12], v[33:34], v[11:12]
	ds_write_b64 v35, v[11:12] offset:9368
.LBB46_316:
	s_or_b64 exec, exec, s[10:11]
	v_mov_b32_e32 v11, 0
	v_mov_b32_e32 v12, 0
	s_waitcnt lgkmcnt(0)
	s_barrier
	s_and_saveexec_b64 s[12:13], s[2:3]
	s_cbranch_execz .LBB46_322
; %bb.317:
	v_mul_u32_u24_e32 v31, 0x208, v20
	ds_read_b64 v[11:12], v16 offset:8352
	ds_read_b64 v[32:33], v31 offset:8320
	v_cmp_gt_u32_e64 s[10:11], 12, v14
	s_waitcnt lgkmcnt(0)
	v_fma_f64 v[11:12], v[11:12], v[32:33], 0
	s_and_saveexec_b64 s[16:17], s[10:11]
	s_cbranch_execnz .LBB46_1050
; %bb.318:
	s_or_b64 exec, exec, s[16:17]
	v_cmp_gt_u32_e64 s[10:11], 8, v14
	s_and_saveexec_b64 s[16:17], s[10:11]
	s_cbranch_execnz .LBB46_1051
.LBB46_319:
	s_or_b64 exec, exec, s[16:17]
	v_cmp_gt_u32_e64 s[10:11], 4, v14
	s_and_saveexec_b64 s[16:17], s[10:11]
	s_cbranch_execz .LBB46_321
.LBB46_320:
	v_lshlrev_b32_e32 v31, 3, v0
	v_mov_b32_e32 v33, 0
	ds_read_b64 v[31:32], v31 offset:9888
	ds_read_b64 v[33:34], v33 offset:8344
	s_waitcnt lgkmcnt(0)
	v_fma_f64 v[11:12], v[31:32], v[33:34], v[11:12]
.LBB46_321:
	s_or_b64 exec, exec, s[16:17]
	v_xor_b32_e32 v12, 0x80000000, v12
.LBB46_322:
	s_or_b64 exec, exec, s[12:13]
	s_and_saveexec_b64 s[10:11], s[42:43]
	s_cbranch_execz .LBB46_324
; %bb.323:
	v_mov_b32_e32 v31, 0
	ds_read_b64 v[31:32], v31 offset:10400
	s_waitcnt lgkmcnt(0)
	v_mul_f64 v[11:12], v[11:12], v[31:32]
	ds_write_b64 v18, v[11:12]
.LBB46_324:
	s_or_b64 exec, exec, s[10:11]
	s_waitcnt lgkmcnt(0)
	s_barrier
	s_and_saveexec_b64 s[10:11], s[44:45]
	s_cbranch_execz .LBB46_326
; %bb.325:
	ds_read_b64 v[31:32], v17 offset:10400
	ds_read_b64 v[33:34], v18
	s_waitcnt lgkmcnt(0)
	v_fma_f64 v[11:12], v[31:32], v[33:34], v[11:12]
.LBB46_326:
	s_or_b64 exec, exec, s[10:11]
	s_barrier
	s_and_saveexec_b64 s[10:11], s[46:47]
	s_cbranch_execz .LBB46_328
; %bb.327:
	v_mov_b32_e32 v31, 0
	ds_read_b64 v[31:32], v31 offset:10920
	s_waitcnt lgkmcnt(0)
	v_mul_f64 v[11:12], v[11:12], v[31:32]
	ds_write_b64 v18, v[11:12]
.LBB46_328:
	s_or_b64 exec, exec, s[10:11]
	s_waitcnt lgkmcnt(0)
	s_barrier
	s_and_saveexec_b64 s[10:11], s[48:49]
	s_cbranch_execz .LBB46_330
; %bb.329:
	ds_read_b64 v[31:32], v17 offset:10912
	ds_read_b64 v[33:34], v18
	s_waitcnt lgkmcnt(0)
	v_fma_f64 v[11:12], v[31:32], v[33:34], v[11:12]
.LBB46_330:
	s_or_b64 exec, exec, s[10:11]
	s_barrier
	s_and_saveexec_b64 s[10:11], s[50:51]
	s_cbranch_execz .LBB46_332
; %bb.331:
	v_mov_b32_e32 v31, 0
	ds_read_b64 v[31:32], v31 offset:11440
	s_waitcnt lgkmcnt(0)
	v_mul_f64 v[11:12], v[11:12], v[31:32]
	ds_write_b64 v18, v[11:12]
.LBB46_332:
	s_or_b64 exec, exec, s[10:11]
	s_waitcnt lgkmcnt(0)
	s_barrier
	s_and_saveexec_b64 s[10:11], s[40:41]
	s_cbranch_execz .LBB46_334
; %bb.333:
	v_mov_b32_e32 v31, 0
	ds_read_b64 v[31:32], v31 offset:11448
	ds_read_b64 v[33:34], v18
	s_waitcnt lgkmcnt(0)
	v_fma_f64 v[11:12], v[31:32], v[33:34], v[11:12]
.LBB46_334:
	s_or_b64 exec, exec, s[10:11]
	s_barrier
	s_and_saveexec_b64 s[10:11], s[40:41]
	s_cbranch_execz .LBB46_336
; %bb.335:
	v_mov_b32_e32 v31, 0
	ds_read_b64 v[31:32], v31 offset:11960
	s_waitcnt lgkmcnt(0)
	v_mul_f64 v[11:12], v[11:12], v[31:32]
	ds_write_b64 v18, v[11:12]
.LBB46_336:
	s_or_b64 exec, exec, s[10:11]
	s_waitcnt lgkmcnt(0)
	s_barrier
	s_barrier
	s_and_saveexec_b64 s[10:11], s[2:3]
; %bb.337:
	v_xor_b32_e32 v12, 0x80000000, v12
	ds_write_b64 v16, v[11:12] offset:8352
; %bb.338:
	s_or_b64 exec, exec, s[10:11]
	s_waitcnt lgkmcnt(0)
	s_barrier
	s_barrier
	s_and_saveexec_b64 s[10:11], vcc
	s_cbranch_execz .LBB46_340
; %bb.339:
	v_mov_b32_e32 v35, 0
	ds_read_b128 v[31:34], v35 offset:10400
	ds_read_b64 v[11:12], v35 offset:10920
	s_waitcnt lgkmcnt(0)
	v_mul_f64 v[11:12], v[31:32], v[11:12]
	v_mul_f64 v[11:12], v[33:34], v[11:12]
	ds_write_b64 v35, v[11:12] offset:10408
.LBB46_340:
	s_or_b64 exec, exec, s[10:11]
	v_mov_b32_e32 v11, 0
	v_mov_b32_e32 v12, 0
	s_waitcnt lgkmcnt(0)
	s_barrier
	s_and_saveexec_b64 s[12:13], s[0:1]
	s_cbranch_execz .LBB46_344
; %bb.341:
	v_mul_u32_u24_e32 v31, 0x208, v15
	ds_read_b64 v[11:12], v1 offset:10416
	ds_read_b64 v[31:32], v31 offset:10400
	v_cmp_gt_u32_e64 s[10:11], 2, v14
	s_waitcnt lgkmcnt(0)
	v_fma_f64 v[11:12], v[11:12], v[31:32], 0
	s_and_saveexec_b64 s[16:17], s[10:11]
	s_cbranch_execz .LBB46_343
; %bb.342:
	v_lshlrev_b32_e32 v31, 3, v0
	v_mov_b32_e32 v33, 0
	ds_read_b64 v[31:32], v31 offset:10928
	ds_read_b64 v[33:34], v33 offset:10408
	s_waitcnt lgkmcnt(0)
	v_fma_f64 v[11:12], v[31:32], v[33:34], v[11:12]
.LBB46_343:
	s_or_b64 exec, exec, s[16:17]
	v_xor_b32_e32 v12, 0x80000000, v12
.LBB46_344:
	s_or_b64 exec, exec, s[12:13]
	s_and_saveexec_b64 s[10:11], s[38:39]
	s_cbranch_execz .LBB46_346
; %bb.345:
	v_mov_b32_e32 v31, 0
	ds_read_b64 v[31:32], v31 offset:11440
	s_waitcnt lgkmcnt(0)
	v_mul_f64 v[11:12], v[11:12], v[31:32]
	ds_write_b64 v13, v[11:12]
.LBB46_346:
	s_or_b64 exec, exec, s[10:11]
	s_waitcnt lgkmcnt(0)
	s_barrier
	s_and_saveexec_b64 s[10:11], s[36:37]
	s_cbranch_execz .LBB46_348
; %bb.347:
	v_mov_b32_e32 v31, 0
	ds_read_b64 v[31:32], v31 offset:11448
	ds_read_b64 v[33:34], v13
	s_waitcnt lgkmcnt(0)
	v_fma_f64 v[11:12], v[31:32], v[33:34], v[11:12]
.LBB46_348:
	s_or_b64 exec, exec, s[10:11]
	s_barrier
	s_and_saveexec_b64 s[10:11], s[36:37]
	s_cbranch_execz .LBB46_350
; %bb.349:
	v_mov_b32_e32 v31, 0
	ds_read_b64 v[31:32], v31 offset:11960
	s_waitcnt lgkmcnt(0)
	v_mul_f64 v[11:12], v[11:12], v[31:32]
	ds_write_b64 v13, v[11:12]
.LBB46_350:
	s_or_b64 exec, exec, s[10:11]
	s_waitcnt lgkmcnt(0)
	s_barrier
	s_barrier
	s_and_saveexec_b64 s[10:11], s[0:1]
; %bb.351:
	v_xor_b32_e32 v12, 0x80000000, v12
	ds_write_b64 v1, v[11:12] offset:10416
; %bb.352:
	s_or_b64 exec, exec, s[10:11]
	s_waitcnt lgkmcnt(0)
	s_barrier
	s_barrier
	s_and_saveexec_b64 s[10:11], vcc
	s_cbranch_execz .LBB46_354
; %bb.353:
	v_mov_b32_e32 v35, 0
	ds_read_b128 v[31:34], v35 offset:11440
	ds_read_b64 v[11:12], v35 offset:11960
	s_waitcnt lgkmcnt(0)
	v_mul_f64 v[11:12], v[31:32], v[11:12]
	v_mul_f64 v[11:12], v[33:34], v[11:12]
	ds_write_b64 v35, v[11:12] offset:11448
.LBB46_354:
	s_or_b64 exec, exec, s[10:11]
	v_mov_b32_e32 v11, 0
	v_mov_b32_e32 v12, 0
	s_waitcnt lgkmcnt(0)
	s_barrier
	s_and_saveexec_b64 s[12:13], s[14:15]
	s_cbranch_execz .LBB46_364
; %bb.355:
	v_mul_u32_u24_e32 v31, 0x208, v25
	ds_read_b64 v[11:12], v21 offset:8384
	ds_read_b64 v[32:33], v31 offset:8320
	v_cmp_gt_u32_e64 s[10:11], 56, v14
	s_waitcnt lgkmcnt(0)
	v_fma_f64 v[11:12], v[11:12], v[32:33], 0
	s_and_saveexec_b64 s[16:17], s[10:11]
	s_cbranch_execnz .LBB46_1052
; %bb.356:
	s_or_b64 exec, exec, s[16:17]
	v_cmp_gt_u32_e64 s[10:11], 48, v14
	s_and_saveexec_b64 s[16:17], s[10:11]
	s_cbranch_execnz .LBB46_1053
.LBB46_357:
	s_or_b64 exec, exec, s[16:17]
	v_cmp_gt_u32_e64 s[10:11], 40, v14
	s_and_saveexec_b64 s[16:17], s[10:11]
	s_cbranch_execnz .LBB46_1054
.LBB46_358:
	s_or_b64 exec, exec, s[16:17]
	v_cmp_gt_u32_e64 s[10:11], 32, v14
	s_and_saveexec_b64 s[16:17], s[10:11]
	s_cbranch_execnz .LBB46_1055
.LBB46_359:
	s_or_b64 exec, exec, s[16:17]
	v_cmp_gt_u32_e64 s[10:11], 24, v14
	s_and_saveexec_b64 s[16:17], s[10:11]
	s_cbranch_execnz .LBB46_1056
.LBB46_360:
	s_or_b64 exec, exec, s[16:17]
	v_cmp_gt_u32_e64 s[10:11], 16, v14
	s_and_saveexec_b64 s[16:17], s[10:11]
	s_cbranch_execnz .LBB46_1057
.LBB46_361:
	s_or_b64 exec, exec, s[16:17]
	v_cmp_gt_u32_e64 s[10:11], 8, v14
	s_and_saveexec_b64 s[16:17], s[10:11]
	s_cbranch_execz .LBB46_363
.LBB46_362:
	v_lshlrev_b32_e32 v31, 3, v0
	v_mov_b32_e32 v33, 0
	ds_read_b64 v[31:32], v31 offset:11968
	ds_read_b64 v[33:34], v33 offset:8376
	s_waitcnt lgkmcnt(0)
	v_fma_f64 v[11:12], v[31:32], v[33:34], v[11:12]
.LBB46_363:
	s_or_b64 exec, exec, s[16:17]
	v_xor_b32_e32 v12, 0x80000000, v12
.LBB46_364:
	s_or_b64 exec, exec, s[12:13]
	s_and_saveexec_b64 s[10:11], s[52:53]
	s_cbranch_execz .LBB46_366
; %bb.365:
	v_mov_b32_e32 v31, 0
	ds_read_b64 v[31:32], v31 offset:12480
	s_waitcnt lgkmcnt(0)
	v_mul_f64 v[11:12], v[11:12], v[31:32]
	ds_write_b64 v23, v[11:12]
.LBB46_366:
	s_or_b64 exec, exec, s[10:11]
	s_waitcnt lgkmcnt(0)
	s_barrier
	s_and_saveexec_b64 s[10:11], s[54:55]
	s_cbranch_execz .LBB46_368
; %bb.367:
	ds_read_b64 v[31:32], v22 offset:12480
	ds_read_b64 v[33:34], v23
	s_waitcnt lgkmcnt(0)
	v_fma_f64 v[11:12], v[31:32], v[33:34], v[11:12]
.LBB46_368:
	s_or_b64 exec, exec, s[10:11]
	s_barrier
	s_and_saveexec_b64 s[10:11], s[56:57]
	s_cbranch_execz .LBB46_370
; %bb.369:
	v_mov_b32_e32 v31, 0
	ds_read_b64 v[31:32], v31 offset:13000
	s_waitcnt lgkmcnt(0)
	v_mul_f64 v[11:12], v[11:12], v[31:32]
	ds_write_b64 v23, v[11:12]
.LBB46_370:
	s_or_b64 exec, exec, s[10:11]
	s_waitcnt lgkmcnt(0)
	s_barrier
	s_and_saveexec_b64 s[10:11], s[58:59]
	s_cbranch_execz .LBB46_372
; %bb.371:
	ds_read_b64 v[31:32], v22 offset:12992
	ds_read_b64 v[33:34], v23
	s_waitcnt lgkmcnt(0)
	v_fma_f64 v[11:12], v[31:32], v[33:34], v[11:12]
.LBB46_372:
	s_or_b64 exec, exec, s[10:11]
	s_barrier
	;; [unrolled: 22-line block ×6, first 2 shown]
	s_and_saveexec_b64 s[10:11], s[78:79]
	s_cbranch_execz .LBB46_390
; %bb.389:
	v_mov_b32_e32 v31, 0
	ds_read_b64 v[31:32], v31 offset:15600
	s_waitcnt lgkmcnt(0)
	v_mul_f64 v[11:12], v[11:12], v[31:32]
	ds_write_b64 v23, v[11:12]
.LBB46_390:
	s_or_b64 exec, exec, s[10:11]
	s_waitcnt lgkmcnt(0)
	s_barrier
	s_and_saveexec_b64 s[10:11], s[62:63]
	s_cbranch_execz .LBB46_392
; %bb.391:
	v_mov_b32_e32 v31, 0
	ds_read_b64 v[31:32], v31 offset:15608
	ds_read_b64 v[33:34], v23
	s_waitcnt lgkmcnt(0)
	v_fma_f64 v[11:12], v[31:32], v[33:34], v[11:12]
.LBB46_392:
	s_or_b64 exec, exec, s[10:11]
	s_barrier
	s_and_saveexec_b64 s[10:11], s[62:63]
	s_cbranch_execz .LBB46_394
; %bb.393:
	v_mov_b32_e32 v31, 0
	ds_read_b64 v[31:32], v31 offset:16120
	s_waitcnt lgkmcnt(0)
	v_mul_f64 v[11:12], v[11:12], v[31:32]
	ds_write_b64 v23, v[11:12]
.LBB46_394:
	s_or_b64 exec, exec, s[10:11]
	s_waitcnt lgkmcnt(0)
	s_barrier
	s_barrier
	s_and_saveexec_b64 s[10:11], s[14:15]
; %bb.395:
	v_xor_b32_e32 v12, 0x80000000, v12
	ds_write_b64 v21, v[11:12] offset:8384
; %bb.396:
	s_or_b64 exec, exec, s[10:11]
	s_waitcnt lgkmcnt(0)
	s_barrier
	s_barrier
	s_and_saveexec_b64 s[10:11], vcc
	s_cbranch_execz .LBB46_398
; %bb.397:
	v_mov_b32_e32 v35, 0
	ds_read_b128 v[31:34], v35 offset:12480
	ds_read_b64 v[11:12], v35 offset:13000
	s_waitcnt lgkmcnt(0)
	v_mul_f64 v[11:12], v[31:32], v[11:12]
	v_mul_f64 v[11:12], v[33:34], v[11:12]
	ds_write_b64 v35, v[11:12] offset:12488
.LBB46_398:
	s_or_b64 exec, exec, s[10:11]
	v_mov_b32_e32 v11, 0
	v_mov_b32_e32 v12, 0
	s_waitcnt lgkmcnt(0)
	s_barrier
	s_and_saveexec_b64 s[12:13], s[0:1]
	s_cbranch_execz .LBB46_402
; %bb.399:
	v_mul_u32_u24_e32 v31, 0x208, v15
	ds_read_b64 v[11:12], v1 offset:12496
	ds_read_b64 v[31:32], v31 offset:12480
	v_cmp_gt_u32_e64 s[10:11], 2, v14
	s_waitcnt lgkmcnt(0)
	v_fma_f64 v[11:12], v[11:12], v[31:32], 0
	s_and_saveexec_b64 s[16:17], s[10:11]
	s_cbranch_execz .LBB46_401
; %bb.400:
	v_lshlrev_b32_e32 v31, 3, v0
	v_mov_b32_e32 v33, 0
	ds_read_b64 v[31:32], v31 offset:13008
	ds_read_b64 v[33:34], v33 offset:12488
	s_waitcnt lgkmcnt(0)
	v_fma_f64 v[11:12], v[31:32], v[33:34], v[11:12]
.LBB46_401:
	s_or_b64 exec, exec, s[16:17]
	v_xor_b32_e32 v12, 0x80000000, v12
.LBB46_402:
	s_or_b64 exec, exec, s[12:13]
	s_and_saveexec_b64 s[10:11], s[38:39]
	s_cbranch_execz .LBB46_404
; %bb.403:
	v_mov_b32_e32 v31, 0
	ds_read_b64 v[31:32], v31 offset:13520
	s_waitcnt lgkmcnt(0)
	v_mul_f64 v[11:12], v[11:12], v[31:32]
	ds_write_b64 v13, v[11:12]
.LBB46_404:
	s_or_b64 exec, exec, s[10:11]
	s_waitcnt lgkmcnt(0)
	s_barrier
	s_and_saveexec_b64 s[10:11], s[36:37]
	s_cbranch_execz .LBB46_406
; %bb.405:
	v_mov_b32_e32 v31, 0
	ds_read_b64 v[31:32], v31 offset:13528
	ds_read_b64 v[33:34], v13
	s_waitcnt lgkmcnt(0)
	v_fma_f64 v[11:12], v[31:32], v[33:34], v[11:12]
.LBB46_406:
	s_or_b64 exec, exec, s[10:11]
	s_barrier
	s_and_saveexec_b64 s[10:11], s[36:37]
	s_cbranch_execz .LBB46_408
; %bb.407:
	v_mov_b32_e32 v31, 0
	ds_read_b64 v[31:32], v31 offset:14040
	s_waitcnt lgkmcnt(0)
	v_mul_f64 v[11:12], v[11:12], v[31:32]
	ds_write_b64 v13, v[11:12]
.LBB46_408:
	s_or_b64 exec, exec, s[10:11]
	s_waitcnt lgkmcnt(0)
	s_barrier
	s_barrier
	s_and_saveexec_b64 s[10:11], s[0:1]
; %bb.409:
	v_xor_b32_e32 v12, 0x80000000, v12
	ds_write_b64 v1, v[11:12] offset:12496
; %bb.410:
	s_or_b64 exec, exec, s[10:11]
	s_waitcnt lgkmcnt(0)
	s_barrier
	s_barrier
	s_and_saveexec_b64 s[10:11], vcc
	s_cbranch_execz .LBB46_412
; %bb.411:
	v_mov_b32_e32 v35, 0
	ds_read_b128 v[31:34], v35 offset:13520
	ds_read_b64 v[11:12], v35 offset:14040
	s_waitcnt lgkmcnt(0)
	v_mul_f64 v[11:12], v[31:32], v[11:12]
	v_mul_f64 v[11:12], v[33:34], v[11:12]
	ds_write_b64 v35, v[11:12] offset:13528
.LBB46_412:
	s_or_b64 exec, exec, s[10:11]
	v_mov_b32_e32 v11, 0
	v_mov_b32_e32 v12, 0
	s_waitcnt lgkmcnt(0)
	s_barrier
	s_and_saveexec_b64 s[12:13], s[2:3]
	s_cbranch_execz .LBB46_418
; %bb.413:
	v_mul_u32_u24_e32 v31, 0x208, v20
	ds_read_b64 v[11:12], v16 offset:12512
	ds_read_b64 v[32:33], v31 offset:12480
	v_cmp_gt_u32_e64 s[10:11], 12, v14
	s_waitcnt lgkmcnt(0)
	v_fma_f64 v[11:12], v[11:12], v[32:33], 0
	s_and_saveexec_b64 s[16:17], s[10:11]
	s_cbranch_execnz .LBB46_1058
; %bb.414:
	s_or_b64 exec, exec, s[16:17]
	v_cmp_gt_u32_e64 s[10:11], 8, v14
	s_and_saveexec_b64 s[16:17], s[10:11]
	s_cbranch_execnz .LBB46_1059
.LBB46_415:
	s_or_b64 exec, exec, s[16:17]
	v_cmp_gt_u32_e64 s[10:11], 4, v14
	s_and_saveexec_b64 s[16:17], s[10:11]
	s_cbranch_execz .LBB46_417
.LBB46_416:
	v_lshlrev_b32_e32 v31, 3, v0
	v_mov_b32_e32 v33, 0
	ds_read_b64 v[31:32], v31 offset:14048
	ds_read_b64 v[33:34], v33 offset:12504
	s_waitcnt lgkmcnt(0)
	v_fma_f64 v[11:12], v[31:32], v[33:34], v[11:12]
.LBB46_417:
	s_or_b64 exec, exec, s[16:17]
	v_xor_b32_e32 v12, 0x80000000, v12
.LBB46_418:
	s_or_b64 exec, exec, s[12:13]
	s_and_saveexec_b64 s[10:11], s[42:43]
	s_cbranch_execz .LBB46_420
; %bb.419:
	v_mov_b32_e32 v31, 0
	ds_read_b64 v[31:32], v31 offset:14560
	s_waitcnt lgkmcnt(0)
	v_mul_f64 v[11:12], v[11:12], v[31:32]
	ds_write_b64 v18, v[11:12]
.LBB46_420:
	s_or_b64 exec, exec, s[10:11]
	s_waitcnt lgkmcnt(0)
	s_barrier
	s_and_saveexec_b64 s[10:11], s[44:45]
	s_cbranch_execz .LBB46_422
; %bb.421:
	ds_read_b64 v[31:32], v17 offset:14560
	ds_read_b64 v[33:34], v18
	s_waitcnt lgkmcnt(0)
	v_fma_f64 v[11:12], v[31:32], v[33:34], v[11:12]
.LBB46_422:
	s_or_b64 exec, exec, s[10:11]
	s_barrier
	s_and_saveexec_b64 s[10:11], s[46:47]
	s_cbranch_execz .LBB46_424
; %bb.423:
	v_mov_b32_e32 v31, 0
	ds_read_b64 v[31:32], v31 offset:15080
	s_waitcnt lgkmcnt(0)
	v_mul_f64 v[11:12], v[11:12], v[31:32]
	ds_write_b64 v18, v[11:12]
.LBB46_424:
	s_or_b64 exec, exec, s[10:11]
	s_waitcnt lgkmcnt(0)
	s_barrier
	s_and_saveexec_b64 s[10:11], s[48:49]
	s_cbranch_execz .LBB46_426
; %bb.425:
	ds_read_b64 v[31:32], v17 offset:15072
	ds_read_b64 v[33:34], v18
	s_waitcnt lgkmcnt(0)
	v_fma_f64 v[11:12], v[31:32], v[33:34], v[11:12]
.LBB46_426:
	s_or_b64 exec, exec, s[10:11]
	s_barrier
	s_and_saveexec_b64 s[10:11], s[50:51]
	s_cbranch_execz .LBB46_428
; %bb.427:
	v_mov_b32_e32 v31, 0
	ds_read_b64 v[31:32], v31 offset:15600
	s_waitcnt lgkmcnt(0)
	v_mul_f64 v[11:12], v[11:12], v[31:32]
	ds_write_b64 v18, v[11:12]
.LBB46_428:
	s_or_b64 exec, exec, s[10:11]
	s_waitcnt lgkmcnt(0)
	s_barrier
	s_and_saveexec_b64 s[10:11], s[40:41]
	s_cbranch_execz .LBB46_430
; %bb.429:
	v_mov_b32_e32 v31, 0
	ds_read_b64 v[31:32], v31 offset:15608
	ds_read_b64 v[33:34], v18
	s_waitcnt lgkmcnt(0)
	v_fma_f64 v[11:12], v[31:32], v[33:34], v[11:12]
.LBB46_430:
	s_or_b64 exec, exec, s[10:11]
	s_barrier
	s_and_saveexec_b64 s[10:11], s[40:41]
	s_cbranch_execz .LBB46_432
; %bb.431:
	v_mov_b32_e32 v31, 0
	ds_read_b64 v[31:32], v31 offset:16120
	s_waitcnt lgkmcnt(0)
	v_mul_f64 v[11:12], v[11:12], v[31:32]
	ds_write_b64 v18, v[11:12]
.LBB46_432:
	s_or_b64 exec, exec, s[10:11]
	s_waitcnt lgkmcnt(0)
	s_barrier
	s_barrier
	s_and_saveexec_b64 s[10:11], s[2:3]
; %bb.433:
	v_xor_b32_e32 v12, 0x80000000, v12
	ds_write_b64 v16, v[11:12] offset:12512
; %bb.434:
	s_or_b64 exec, exec, s[10:11]
	s_waitcnt lgkmcnt(0)
	s_barrier
	s_barrier
	s_and_saveexec_b64 s[10:11], vcc
	s_cbranch_execz .LBB46_436
; %bb.435:
	v_mov_b32_e32 v35, 0
	ds_read_b128 v[31:34], v35 offset:14560
	ds_read_b64 v[11:12], v35 offset:15080
	s_waitcnt lgkmcnt(0)
	v_mul_f64 v[11:12], v[31:32], v[11:12]
	v_mul_f64 v[11:12], v[33:34], v[11:12]
	ds_write_b64 v35, v[11:12] offset:14568
.LBB46_436:
	s_or_b64 exec, exec, s[10:11]
	v_mov_b32_e32 v11, 0
	v_mov_b32_e32 v12, 0
	s_waitcnt lgkmcnt(0)
	s_barrier
	s_and_saveexec_b64 s[12:13], s[0:1]
	s_cbranch_execz .LBB46_440
; %bb.437:
	v_mul_u32_u24_e32 v31, 0x208, v15
	ds_read_b64 v[11:12], v1 offset:14576
	ds_read_b64 v[31:32], v31 offset:14560
	v_cmp_gt_u32_e64 s[10:11], 2, v14
	s_waitcnt lgkmcnt(0)
	v_fma_f64 v[11:12], v[11:12], v[31:32], 0
	s_and_saveexec_b64 s[16:17], s[10:11]
	s_cbranch_execz .LBB46_439
; %bb.438:
	v_lshlrev_b32_e32 v31, 3, v0
	v_mov_b32_e32 v33, 0
	ds_read_b64 v[31:32], v31 offset:15088
	ds_read_b64 v[33:34], v33 offset:14568
	s_waitcnt lgkmcnt(0)
	v_fma_f64 v[11:12], v[31:32], v[33:34], v[11:12]
.LBB46_439:
	s_or_b64 exec, exec, s[16:17]
	v_xor_b32_e32 v12, 0x80000000, v12
.LBB46_440:
	s_or_b64 exec, exec, s[12:13]
	s_and_saveexec_b64 s[10:11], s[38:39]
	s_cbranch_execz .LBB46_442
; %bb.441:
	v_mov_b32_e32 v31, 0
	ds_read_b64 v[31:32], v31 offset:15600
	s_waitcnt lgkmcnt(0)
	v_mul_f64 v[11:12], v[11:12], v[31:32]
	ds_write_b64 v13, v[11:12]
.LBB46_442:
	s_or_b64 exec, exec, s[10:11]
	s_waitcnt lgkmcnt(0)
	s_barrier
	s_and_saveexec_b64 s[10:11], s[36:37]
	s_cbranch_execz .LBB46_444
; %bb.443:
	v_mov_b32_e32 v31, 0
	ds_read_b64 v[31:32], v31 offset:15608
	ds_read_b64 v[33:34], v13
	s_waitcnt lgkmcnt(0)
	v_fma_f64 v[11:12], v[31:32], v[33:34], v[11:12]
.LBB46_444:
	s_or_b64 exec, exec, s[10:11]
	s_barrier
	s_and_saveexec_b64 s[10:11], s[36:37]
	s_cbranch_execz .LBB46_446
; %bb.445:
	v_mov_b32_e32 v31, 0
	ds_read_b64 v[31:32], v31 offset:16120
	s_waitcnt lgkmcnt(0)
	v_mul_f64 v[11:12], v[11:12], v[31:32]
	ds_write_b64 v13, v[11:12]
.LBB46_446:
	s_or_b64 exec, exec, s[10:11]
	s_waitcnt lgkmcnt(0)
	s_barrier
	s_barrier
	s_and_saveexec_b64 s[10:11], s[0:1]
; %bb.447:
	v_xor_b32_e32 v12, 0x80000000, v12
	ds_write_b64 v1, v[11:12] offset:14576
; %bb.448:
	s_or_b64 exec, exec, s[10:11]
	s_waitcnt lgkmcnt(0)
	s_barrier
	s_barrier
	s_and_saveexec_b64 s[10:11], vcc
	s_cbranch_execz .LBB46_450
; %bb.449:
	v_mov_b32_e32 v35, 0
	ds_read_b128 v[31:34], v35 offset:15600
	ds_read_b64 v[11:12], v35 offset:16120
	s_waitcnt lgkmcnt(0)
	v_mul_f64 v[11:12], v[31:32], v[11:12]
	v_mul_f64 v[11:12], v[33:34], v[11:12]
	ds_write_b64 v35, v[11:12] offset:15608
.LBB46_450:
	s_or_b64 exec, exec, s[10:11]
	v_and_b32_e32 v32, 31, v0
	v_lshrrev_b32_e32 v33, 5, v14
	s_movk_i32 s10, 0x3ff
	v_lshlrev_b32_e32 v11, 3, v32
	v_cmp_lt_u32_e64 s[12:13], s10, v14
	s_movk_i32 s10, 0x400
	v_lshl_or_b32 v31, v33, 9, v11
	v_mov_b32_e32 v11, 0
	v_cmp_gt_u32_e64 s[10:11], s10, v14
	v_mov_b32_e32 v12, 0
	s_waitcnt lgkmcnt(0)
	s_barrier
	s_and_saveexec_b64 s[94:95], s[10:11]
	s_cbranch_execz .LBB46_512
; %bb.451:
	v_mul_u32_u24_e32 v34, 0x208, v33
	ds_read_b64 v[11:12], v31 offset:256
	ds_read_b64 v[35:36], v34
	s_movk_i32 s16, 0x3e0
	v_cmp_gt_u32_e64 s[16:17], s16, v14
	s_waitcnt lgkmcnt(0)
	v_fma_f64 v[11:12], v[11:12], v[35:36], 0
	s_and_saveexec_b64 s[80:81], s[16:17]
	s_cbranch_execz .LBB46_453
; %bb.452:
	ds_read_b64 v[35:36], v31 offset:768
	ds_read_b64 v[37:38], v34 offset:8
	s_waitcnt lgkmcnt(0)
	v_fma_f64 v[11:12], v[35:36], v[37:38], v[11:12]
.LBB46_453:
	s_or_b64 exec, exec, s[80:81]
	s_movk_i32 s16, 0x3c0
	v_cmp_gt_u32_e64 s[16:17], s16, v14
	s_and_saveexec_b64 s[80:81], s[16:17]
	s_cbranch_execz .LBB46_455
; %bb.454:
	ds_read_b64 v[35:36], v31 offset:1280
	ds_read_b64 v[37:38], v34 offset:16
	s_waitcnt lgkmcnt(0)
	v_fma_f64 v[11:12], v[35:36], v[37:38], v[11:12]
.LBB46_455:
	s_or_b64 exec, exec, s[80:81]
	s_movk_i32 s16, 0x3a0
	v_cmp_gt_u32_e64 s[16:17], s16, v14
	;; [unrolled: 11-line block ×28, first 2 shown]
	s_and_saveexec_b64 s[80:81], s[16:17]
	s_cbranch_execnz .LBB46_1060
; %bb.508:
	s_or_b64 exec, exec, s[80:81]
	v_cmp_gt_u32_e64 s[16:17], 64, v14
	s_and_saveexec_b64 s[80:81], s[16:17]
	s_cbranch_execnz .LBB46_1061
.LBB46_509:
	s_or_b64 exec, exec, s[80:81]
	v_cmp_gt_u32_e64 s[16:17], 32, v14
	s_and_saveexec_b64 s[80:81], s[16:17]
	s_cbranch_execz .LBB46_511
.LBB46_510:
	v_lshlrev_b32_e32 v34, 3, v0
	v_mov_b32_e32 v36, 0
	ds_read_b64 v[34:35], v34 offset:16128
	ds_read_b64 v[36:37], v36 offset:248
	s_waitcnt lgkmcnt(0)
	v_fma_f64 v[11:12], v[34:35], v[36:37], v[11:12]
.LBB46_511:
	s_or_b64 exec, exec, s[80:81]
	v_xor_b32_e32 v12, 0x80000000, v12
.LBB46_512:
	s_or_b64 exec, exec, s[94:95]
	v_mov_b32_e32 v34, 0x8000
	v_lshl_or_b32 v33, v33, 3, v34
	v_mul_u32_u24_e32 v34, 0x208, v32
	v_lshlrev_b32_e32 v35, 9, v32
	v_sub_u32_e32 v35, v34, v35
	v_add_u32_e32 v35, 0x4100, v35
	s_mov_b32 s80, 0
	s_xor_b64 s[16:17], s[12:13], -1
	v_mov_b32_e32 v36, v32
	s_branch .LBB46_514
.LBB46_513:                             ;   in Loop: Header=BB46_514 Depth=1
	s_or_b64 exec, exec, s[12:13]
	s_add_i32 s80, s80, 4
	v_add_u32_e32 v35, 0x800, v35
	s_cmp_eq_u32 s80, 32
	v_add_u32_e32 v36, -4, v36
	s_barrier
	s_cbranch_scc1 .LBB46_530
.LBB46_514:                             ; =>This Inner Loop Header: Depth=1
	v_cmp_eq_u32_e64 s[12:13], 0, v36
	s_and_b64 s[94:95], s[16:17], s[12:13]
	s_and_saveexec_b64 s[12:13], s[94:95]
	s_cbranch_execz .LBB46_516
; %bb.515:                              ;   in Loop: Header=BB46_514 Depth=1
	ds_read_b64 v[37:38], v34 offset:16640
	s_waitcnt lgkmcnt(0)
	v_mul_f64 v[11:12], v[11:12], v[37:38]
	ds_write_b64 v33, v[11:12]
.LBB46_516:                             ;   in Loop: Header=BB46_514 Depth=1
	s_or_b64 exec, exec, s[12:13]
	v_cmp_lt_u32_e64 s[12:13], s80, v32
	s_and_b64 s[94:95], s[16:17], s[12:13]
	s_waitcnt lgkmcnt(0)
	s_barrier
	s_and_saveexec_b64 s[12:13], s[94:95]
	s_cbranch_execz .LBB46_518
; %bb.517:                              ;   in Loop: Header=BB46_514 Depth=1
	ds_read_b64 v[37:38], v35
	ds_read_b64 v[39:40], v33
	s_waitcnt lgkmcnt(0)
	v_fma_f64 v[11:12], v[37:38], v[39:40], v[11:12]
.LBB46_518:                             ;   in Loop: Header=BB46_514 Depth=1
	s_or_b64 exec, exec, s[12:13]
	s_or_b32 s81, s80, 1
	v_cmp_eq_u32_e64 s[12:13], s81, v32
	s_and_b64 s[94:95], s[16:17], s[12:13]
	s_barrier
	s_and_saveexec_b64 s[12:13], s[94:95]
	s_cbranch_execz .LBB46_520
; %bb.519:                              ;   in Loop: Header=BB46_514 Depth=1
	ds_read_b64 v[37:38], v34 offset:16640
	s_waitcnt lgkmcnt(0)
	v_mul_f64 v[11:12], v[11:12], v[37:38]
	ds_write_b64 v33, v[11:12]
.LBB46_520:                             ;   in Loop: Header=BB46_514 Depth=1
	s_or_b64 exec, exec, s[12:13]
	v_cmp_lt_u32_e64 s[12:13], s81, v32
	s_and_b64 s[94:95], s[16:17], s[12:13]
	s_waitcnt lgkmcnt(0)
	s_barrier
	s_and_saveexec_b64 s[12:13], s[94:95]
	s_cbranch_execz .LBB46_522
; %bb.521:                              ;   in Loop: Header=BB46_514 Depth=1
	ds_read_b64 v[37:38], v35 offset:512
	ds_read_b64 v[39:40], v33
	s_waitcnt lgkmcnt(0)
	v_fma_f64 v[11:12], v[37:38], v[39:40], v[11:12]
.LBB46_522:                             ;   in Loop: Header=BB46_514 Depth=1
	s_or_b64 exec, exec, s[12:13]
	s_or_b32 s81, s80, 2
	v_cmp_eq_u32_e64 s[12:13], s81, v32
	s_and_b64 s[94:95], s[16:17], s[12:13]
	s_barrier
	s_and_saveexec_b64 s[12:13], s[94:95]
	s_cbranch_execz .LBB46_524
; %bb.523:                              ;   in Loop: Header=BB46_514 Depth=1
	ds_read_b64 v[37:38], v34 offset:16640
	s_waitcnt lgkmcnt(0)
	v_mul_f64 v[11:12], v[11:12], v[37:38]
	ds_write_b64 v33, v[11:12]
.LBB46_524:                             ;   in Loop: Header=BB46_514 Depth=1
	s_or_b64 exec, exec, s[12:13]
	v_cmp_lt_u32_e64 s[12:13], s81, v32
	s_and_b64 s[94:95], s[16:17], s[12:13]
	s_waitcnt lgkmcnt(0)
	s_barrier
	s_and_saveexec_b64 s[12:13], s[94:95]
	s_cbranch_execz .LBB46_526
; %bb.525:                              ;   in Loop: Header=BB46_514 Depth=1
	ds_read_b64 v[37:38], v35 offset:1024
	ds_read_b64 v[39:40], v33
	s_waitcnt lgkmcnt(0)
	v_fma_f64 v[11:12], v[37:38], v[39:40], v[11:12]
.LBB46_526:                             ;   in Loop: Header=BB46_514 Depth=1
	s_or_b64 exec, exec, s[12:13]
	s_or_b32 s81, s80, 3
	v_cmp_eq_u32_e64 s[12:13], s81, v32
	s_and_b64 s[94:95], s[16:17], s[12:13]
	s_barrier
	s_and_saveexec_b64 s[12:13], s[94:95]
	s_cbranch_execz .LBB46_528
; %bb.527:                              ;   in Loop: Header=BB46_514 Depth=1
	ds_read_b64 v[37:38], v34 offset:16640
	s_waitcnt lgkmcnt(0)
	v_mul_f64 v[11:12], v[11:12], v[37:38]
	ds_write_b64 v33, v[11:12]
.LBB46_528:                             ;   in Loop: Header=BB46_514 Depth=1
	s_or_b64 exec, exec, s[12:13]
	v_cmp_lt_u32_e64 s[12:13], s81, v32
	s_and_b64 s[94:95], s[16:17], s[12:13]
	s_waitcnt lgkmcnt(0)
	s_barrier
	s_and_saveexec_b64 s[12:13], s[94:95]
	s_cbranch_execz .LBB46_513
; %bb.529:                              ;   in Loop: Header=BB46_514 Depth=1
	ds_read_b64 v[37:38], v35 offset:1536
	ds_read_b64 v[39:40], v33
	s_waitcnt lgkmcnt(0)
	v_fma_f64 v[11:12], v[37:38], v[39:40], v[11:12]
	s_branch .LBB46_513
.LBB46_530:
	s_and_saveexec_b64 s[12:13], s[10:11]
; %bb.531:
	v_xor_b32_e32 v12, 0x80000000, v12
	ds_write_b64 v31, v[11:12] offset:256
; %bb.532:
	s_or_b64 exec, exec, s[12:13]
	s_waitcnt lgkmcnt(0)
	s_barrier
	s_barrier
	s_and_saveexec_b64 s[10:11], vcc
	s_cbranch_execz .LBB46_534
; %bb.533:
	v_mov_b32_e32 v35, 0
	ds_read_b128 v[31:34], v35 offset:16640
	ds_read_b64 v[11:12], v35 offset:17160
	s_waitcnt lgkmcnt(0)
	v_mul_f64 v[11:12], v[31:32], v[11:12]
	v_mul_f64 v[11:12], v[33:34], v[11:12]
	ds_write_b64 v35, v[11:12] offset:16648
.LBB46_534:
	s_or_b64 exec, exec, s[10:11]
	v_mov_b32_e32 v11, 0
	v_mov_b32_e32 v12, 0
	s_waitcnt lgkmcnt(0)
	s_barrier
	s_and_saveexec_b64 s[12:13], s[0:1]
	s_cbranch_execz .LBB46_538
; %bb.535:
	v_mul_u32_u24_e32 v31, 0x208, v15
	ds_read_b64 v[11:12], v1 offset:16656
	ds_read_b64 v[31:32], v31 offset:16640
	v_cmp_gt_u32_e64 s[10:11], 2, v14
	s_waitcnt lgkmcnt(0)
	v_fma_f64 v[11:12], v[11:12], v[31:32], 0
	s_and_saveexec_b64 s[16:17], s[10:11]
	s_cbranch_execz .LBB46_537
; %bb.536:
	v_lshlrev_b32_e32 v31, 3, v0
	v_mov_b32_e32 v33, 0
	ds_read_b64 v[31:32], v31 offset:17168
	ds_read_b64 v[33:34], v33 offset:16648
	s_waitcnt lgkmcnt(0)
	v_fma_f64 v[11:12], v[31:32], v[33:34], v[11:12]
.LBB46_537:
	s_or_b64 exec, exec, s[16:17]
	v_xor_b32_e32 v12, 0x80000000, v12
.LBB46_538:
	s_or_b64 exec, exec, s[12:13]
	s_and_saveexec_b64 s[10:11], s[38:39]
	s_cbranch_execz .LBB46_540
; %bb.539:
	v_mov_b32_e32 v31, 0
	ds_read_b64 v[31:32], v31 offset:17680
	s_waitcnt lgkmcnt(0)
	v_mul_f64 v[11:12], v[11:12], v[31:32]
	ds_write_b64 v13, v[11:12]
.LBB46_540:
	s_or_b64 exec, exec, s[10:11]
	s_waitcnt lgkmcnt(0)
	s_barrier
	s_and_saveexec_b64 s[10:11], s[36:37]
	s_cbranch_execz .LBB46_542
; %bb.541:
	v_mov_b32_e32 v31, 0
	ds_read_b64 v[31:32], v31 offset:17688
	ds_read_b64 v[33:34], v13
	s_waitcnt lgkmcnt(0)
	v_fma_f64 v[11:12], v[31:32], v[33:34], v[11:12]
.LBB46_542:
	s_or_b64 exec, exec, s[10:11]
	s_barrier
	s_and_saveexec_b64 s[10:11], s[36:37]
	s_cbranch_execz .LBB46_544
; %bb.543:
	v_mov_b32_e32 v31, 0
	ds_read_b64 v[31:32], v31 offset:18200
	s_waitcnt lgkmcnt(0)
	v_mul_f64 v[11:12], v[11:12], v[31:32]
	ds_write_b64 v13, v[11:12]
.LBB46_544:
	s_or_b64 exec, exec, s[10:11]
	s_waitcnt lgkmcnt(0)
	s_barrier
	s_barrier
	s_and_saveexec_b64 s[10:11], s[0:1]
; %bb.545:
	v_xor_b32_e32 v12, 0x80000000, v12
	ds_write_b64 v1, v[11:12] offset:16656
; %bb.546:
	s_or_b64 exec, exec, s[10:11]
	s_waitcnt lgkmcnt(0)
	s_barrier
	s_barrier
	s_and_saveexec_b64 s[10:11], vcc
	s_cbranch_execz .LBB46_548
; %bb.547:
	v_mov_b32_e32 v35, 0
	ds_read_b128 v[31:34], v35 offset:17680
	ds_read_b64 v[11:12], v35 offset:18200
	s_waitcnt lgkmcnt(0)
	v_mul_f64 v[11:12], v[31:32], v[11:12]
	v_mul_f64 v[11:12], v[33:34], v[11:12]
	ds_write_b64 v35, v[11:12] offset:17688
.LBB46_548:
	s_or_b64 exec, exec, s[10:11]
	v_mov_b32_e32 v11, 0
	v_mov_b32_e32 v12, 0
	s_waitcnt lgkmcnt(0)
	s_barrier
	s_and_saveexec_b64 s[12:13], s[2:3]
	s_cbranch_execz .LBB46_554
; %bb.549:
	v_mul_u32_u24_e32 v31, 0x208, v20
	ds_read_b64 v[11:12], v16 offset:16672
	ds_read_b64 v[32:33], v31 offset:16640
	v_cmp_gt_u32_e64 s[10:11], 12, v14
	s_waitcnt lgkmcnt(0)
	v_fma_f64 v[11:12], v[11:12], v[32:33], 0
	s_and_saveexec_b64 s[16:17], s[10:11]
	s_cbranch_execnz .LBB46_1062
; %bb.550:
	s_or_b64 exec, exec, s[16:17]
	v_cmp_gt_u32_e64 s[10:11], 8, v14
	s_and_saveexec_b64 s[16:17], s[10:11]
	s_cbranch_execnz .LBB46_1063
.LBB46_551:
	s_or_b64 exec, exec, s[16:17]
	v_cmp_gt_u32_e64 s[10:11], 4, v14
	s_and_saveexec_b64 s[16:17], s[10:11]
	s_cbranch_execz .LBB46_553
.LBB46_552:
	v_lshlrev_b32_e32 v31, 3, v0
	v_mov_b32_e32 v33, 0
	ds_read_b64 v[31:32], v31 offset:18208
	ds_read_b64 v[33:34], v33 offset:16664
	s_waitcnt lgkmcnt(0)
	v_fma_f64 v[11:12], v[31:32], v[33:34], v[11:12]
.LBB46_553:
	s_or_b64 exec, exec, s[16:17]
	v_xor_b32_e32 v12, 0x80000000, v12
.LBB46_554:
	s_or_b64 exec, exec, s[12:13]
	s_and_saveexec_b64 s[10:11], s[42:43]
	s_cbranch_execz .LBB46_556
; %bb.555:
	v_mov_b32_e32 v31, 0
	ds_read_b64 v[31:32], v31 offset:18720
	s_waitcnt lgkmcnt(0)
	v_mul_f64 v[11:12], v[11:12], v[31:32]
	ds_write_b64 v18, v[11:12]
.LBB46_556:
	s_or_b64 exec, exec, s[10:11]
	s_waitcnt lgkmcnt(0)
	s_barrier
	s_and_saveexec_b64 s[10:11], s[44:45]
	s_cbranch_execz .LBB46_558
; %bb.557:
	ds_read_b64 v[31:32], v17 offset:18720
	ds_read_b64 v[33:34], v18
	s_waitcnt lgkmcnt(0)
	v_fma_f64 v[11:12], v[31:32], v[33:34], v[11:12]
.LBB46_558:
	s_or_b64 exec, exec, s[10:11]
	s_barrier
	s_and_saveexec_b64 s[10:11], s[46:47]
	s_cbranch_execz .LBB46_560
; %bb.559:
	v_mov_b32_e32 v31, 0
	ds_read_b64 v[31:32], v31 offset:19240
	s_waitcnt lgkmcnt(0)
	v_mul_f64 v[11:12], v[11:12], v[31:32]
	ds_write_b64 v18, v[11:12]
.LBB46_560:
	s_or_b64 exec, exec, s[10:11]
	s_waitcnt lgkmcnt(0)
	s_barrier
	s_and_saveexec_b64 s[10:11], s[48:49]
	s_cbranch_execz .LBB46_562
; %bb.561:
	ds_read_b64 v[31:32], v17 offset:19232
	ds_read_b64 v[33:34], v18
	s_waitcnt lgkmcnt(0)
	v_fma_f64 v[11:12], v[31:32], v[33:34], v[11:12]
.LBB46_562:
	s_or_b64 exec, exec, s[10:11]
	s_barrier
	s_and_saveexec_b64 s[10:11], s[50:51]
	s_cbranch_execz .LBB46_564
; %bb.563:
	v_mov_b32_e32 v31, 0
	ds_read_b64 v[31:32], v31 offset:19760
	s_waitcnt lgkmcnt(0)
	v_mul_f64 v[11:12], v[11:12], v[31:32]
	ds_write_b64 v18, v[11:12]
.LBB46_564:
	s_or_b64 exec, exec, s[10:11]
	s_waitcnt lgkmcnt(0)
	s_barrier
	s_and_saveexec_b64 s[10:11], s[40:41]
	s_cbranch_execz .LBB46_566
; %bb.565:
	v_mov_b32_e32 v31, 0
	ds_read_b64 v[31:32], v31 offset:19768
	ds_read_b64 v[33:34], v18
	s_waitcnt lgkmcnt(0)
	v_fma_f64 v[11:12], v[31:32], v[33:34], v[11:12]
.LBB46_566:
	s_or_b64 exec, exec, s[10:11]
	s_barrier
	s_and_saveexec_b64 s[10:11], s[40:41]
	s_cbranch_execz .LBB46_568
; %bb.567:
	v_mov_b32_e32 v31, 0
	ds_read_b64 v[31:32], v31 offset:20280
	s_waitcnt lgkmcnt(0)
	v_mul_f64 v[11:12], v[11:12], v[31:32]
	ds_write_b64 v18, v[11:12]
.LBB46_568:
	s_or_b64 exec, exec, s[10:11]
	s_waitcnt lgkmcnt(0)
	s_barrier
	s_barrier
	s_and_saveexec_b64 s[10:11], s[2:3]
; %bb.569:
	v_xor_b32_e32 v12, 0x80000000, v12
	ds_write_b64 v16, v[11:12] offset:16672
; %bb.570:
	s_or_b64 exec, exec, s[10:11]
	s_waitcnt lgkmcnt(0)
	s_barrier
	s_barrier
	s_and_saveexec_b64 s[10:11], vcc
	s_cbranch_execz .LBB46_572
; %bb.571:
	v_mov_b32_e32 v35, 0
	ds_read_b128 v[31:34], v35 offset:18720
	ds_read_b64 v[11:12], v35 offset:19240
	s_waitcnt lgkmcnt(0)
	v_mul_f64 v[11:12], v[31:32], v[11:12]
	v_mul_f64 v[11:12], v[33:34], v[11:12]
	ds_write_b64 v35, v[11:12] offset:18728
.LBB46_572:
	s_or_b64 exec, exec, s[10:11]
	v_mov_b32_e32 v11, 0
	v_mov_b32_e32 v12, 0
	s_waitcnt lgkmcnt(0)
	s_barrier
	s_and_saveexec_b64 s[12:13], s[0:1]
	s_cbranch_execz .LBB46_576
; %bb.573:
	v_mul_u32_u24_e32 v31, 0x208, v15
	ds_read_b64 v[11:12], v1 offset:18736
	ds_read_b64 v[31:32], v31 offset:18720
	v_cmp_gt_u32_e64 s[10:11], 2, v14
	s_waitcnt lgkmcnt(0)
	v_fma_f64 v[11:12], v[11:12], v[31:32], 0
	s_and_saveexec_b64 s[16:17], s[10:11]
	s_cbranch_execz .LBB46_575
; %bb.574:
	v_lshlrev_b32_e32 v31, 3, v0
	v_mov_b32_e32 v33, 0
	ds_read_b64 v[31:32], v31 offset:19248
	ds_read_b64 v[33:34], v33 offset:18728
	s_waitcnt lgkmcnt(0)
	v_fma_f64 v[11:12], v[31:32], v[33:34], v[11:12]
.LBB46_575:
	s_or_b64 exec, exec, s[16:17]
	v_xor_b32_e32 v12, 0x80000000, v12
.LBB46_576:
	s_or_b64 exec, exec, s[12:13]
	s_and_saveexec_b64 s[10:11], s[38:39]
	s_cbranch_execz .LBB46_578
; %bb.577:
	v_mov_b32_e32 v31, 0
	ds_read_b64 v[31:32], v31 offset:19760
	s_waitcnt lgkmcnt(0)
	v_mul_f64 v[11:12], v[11:12], v[31:32]
	ds_write_b64 v13, v[11:12]
.LBB46_578:
	s_or_b64 exec, exec, s[10:11]
	s_waitcnt lgkmcnt(0)
	s_barrier
	s_and_saveexec_b64 s[10:11], s[36:37]
	s_cbranch_execz .LBB46_580
; %bb.579:
	v_mov_b32_e32 v31, 0
	ds_read_b64 v[31:32], v31 offset:19768
	ds_read_b64 v[33:34], v13
	s_waitcnt lgkmcnt(0)
	v_fma_f64 v[11:12], v[31:32], v[33:34], v[11:12]
.LBB46_580:
	s_or_b64 exec, exec, s[10:11]
	s_barrier
	s_and_saveexec_b64 s[10:11], s[36:37]
	s_cbranch_execz .LBB46_582
; %bb.581:
	v_mov_b32_e32 v31, 0
	ds_read_b64 v[31:32], v31 offset:20280
	s_waitcnt lgkmcnt(0)
	v_mul_f64 v[11:12], v[11:12], v[31:32]
	ds_write_b64 v13, v[11:12]
.LBB46_582:
	s_or_b64 exec, exec, s[10:11]
	s_waitcnt lgkmcnt(0)
	s_barrier
	s_barrier
	s_and_saveexec_b64 s[10:11], s[0:1]
; %bb.583:
	v_xor_b32_e32 v12, 0x80000000, v12
	ds_write_b64 v1, v[11:12] offset:18736
; %bb.584:
	s_or_b64 exec, exec, s[10:11]
	s_waitcnt lgkmcnt(0)
	s_barrier
	s_barrier
	s_and_saveexec_b64 s[10:11], vcc
	s_cbranch_execz .LBB46_586
; %bb.585:
	v_mov_b32_e32 v35, 0
	ds_read_b128 v[31:34], v35 offset:19760
	ds_read_b64 v[11:12], v35 offset:20280
	s_waitcnt lgkmcnt(0)
	v_mul_f64 v[11:12], v[31:32], v[11:12]
	v_mul_f64 v[11:12], v[33:34], v[11:12]
	ds_write_b64 v35, v[11:12] offset:19768
.LBB46_586:
	s_or_b64 exec, exec, s[10:11]
	v_mov_b32_e32 v11, 0
	v_mov_b32_e32 v12, 0
	s_waitcnt lgkmcnt(0)
	s_barrier
	s_and_saveexec_b64 s[12:13], s[14:15]
	s_cbranch_execz .LBB46_596
; %bb.587:
	v_mul_u32_u24_e32 v31, 0x208, v25
	ds_read_b64 v[11:12], v21 offset:16704
	ds_read_b64 v[32:33], v31 offset:16640
	v_cmp_gt_u32_e64 s[10:11], 56, v14
	s_waitcnt lgkmcnt(0)
	v_fma_f64 v[11:12], v[11:12], v[32:33], 0
	s_and_saveexec_b64 s[16:17], s[10:11]
	s_cbranch_execnz .LBB46_1064
; %bb.588:
	s_or_b64 exec, exec, s[16:17]
	v_cmp_gt_u32_e64 s[10:11], 48, v14
	s_and_saveexec_b64 s[16:17], s[10:11]
	s_cbranch_execnz .LBB46_1065
.LBB46_589:
	s_or_b64 exec, exec, s[16:17]
	v_cmp_gt_u32_e64 s[10:11], 40, v14
	s_and_saveexec_b64 s[16:17], s[10:11]
	s_cbranch_execnz .LBB46_1066
.LBB46_590:
	s_or_b64 exec, exec, s[16:17]
	v_cmp_gt_u32_e64 s[10:11], 32, v14
	s_and_saveexec_b64 s[16:17], s[10:11]
	s_cbranch_execnz .LBB46_1067
.LBB46_591:
	s_or_b64 exec, exec, s[16:17]
	v_cmp_gt_u32_e64 s[10:11], 24, v14
	s_and_saveexec_b64 s[16:17], s[10:11]
	s_cbranch_execnz .LBB46_1068
.LBB46_592:
	s_or_b64 exec, exec, s[16:17]
	v_cmp_gt_u32_e64 s[10:11], 16, v14
	s_and_saveexec_b64 s[16:17], s[10:11]
	s_cbranch_execnz .LBB46_1069
.LBB46_593:
	s_or_b64 exec, exec, s[16:17]
	v_cmp_gt_u32_e64 s[10:11], 8, v14
	s_and_saveexec_b64 s[16:17], s[10:11]
	s_cbranch_execz .LBB46_595
.LBB46_594:
	v_lshlrev_b32_e32 v31, 3, v0
	v_mov_b32_e32 v33, 0
	ds_read_b64 v[31:32], v31 offset:20288
	ds_read_b64 v[33:34], v33 offset:16696
	s_waitcnt lgkmcnt(0)
	v_fma_f64 v[11:12], v[31:32], v[33:34], v[11:12]
.LBB46_595:
	s_or_b64 exec, exec, s[16:17]
	v_xor_b32_e32 v12, 0x80000000, v12
.LBB46_596:
	s_or_b64 exec, exec, s[12:13]
	s_and_saveexec_b64 s[10:11], s[52:53]
	s_cbranch_execz .LBB46_598
; %bb.597:
	v_mov_b32_e32 v31, 0
	ds_read_b64 v[31:32], v31 offset:20800
	s_waitcnt lgkmcnt(0)
	v_mul_f64 v[11:12], v[11:12], v[31:32]
	ds_write_b64 v23, v[11:12]
.LBB46_598:
	s_or_b64 exec, exec, s[10:11]
	s_waitcnt lgkmcnt(0)
	s_barrier
	s_and_saveexec_b64 s[10:11], s[54:55]
	s_cbranch_execz .LBB46_600
; %bb.599:
	ds_read_b64 v[31:32], v22 offset:20800
	ds_read_b64 v[33:34], v23
	s_waitcnt lgkmcnt(0)
	v_fma_f64 v[11:12], v[31:32], v[33:34], v[11:12]
.LBB46_600:
	s_or_b64 exec, exec, s[10:11]
	s_barrier
	s_and_saveexec_b64 s[10:11], s[56:57]
	s_cbranch_execz .LBB46_602
; %bb.601:
	v_mov_b32_e32 v31, 0
	ds_read_b64 v[31:32], v31 offset:21320
	s_waitcnt lgkmcnt(0)
	v_mul_f64 v[11:12], v[11:12], v[31:32]
	ds_write_b64 v23, v[11:12]
.LBB46_602:
	s_or_b64 exec, exec, s[10:11]
	s_waitcnt lgkmcnt(0)
	s_barrier
	s_and_saveexec_b64 s[10:11], s[58:59]
	s_cbranch_execz .LBB46_604
; %bb.603:
	ds_read_b64 v[31:32], v22 offset:21312
	ds_read_b64 v[33:34], v23
	s_waitcnt lgkmcnt(0)
	v_fma_f64 v[11:12], v[31:32], v[33:34], v[11:12]
.LBB46_604:
	s_or_b64 exec, exec, s[10:11]
	s_barrier
	;; [unrolled: 22-line block ×6, first 2 shown]
	s_and_saveexec_b64 s[10:11], s[78:79]
	s_cbranch_execz .LBB46_622
; %bb.621:
	v_mov_b32_e32 v31, 0
	ds_read_b64 v[31:32], v31 offset:23920
	s_waitcnt lgkmcnt(0)
	v_mul_f64 v[11:12], v[11:12], v[31:32]
	ds_write_b64 v23, v[11:12]
.LBB46_622:
	s_or_b64 exec, exec, s[10:11]
	s_waitcnt lgkmcnt(0)
	s_barrier
	s_and_saveexec_b64 s[10:11], s[62:63]
	s_cbranch_execz .LBB46_624
; %bb.623:
	v_mov_b32_e32 v31, 0
	ds_read_b64 v[31:32], v31 offset:23928
	ds_read_b64 v[33:34], v23
	s_waitcnt lgkmcnt(0)
	v_fma_f64 v[11:12], v[31:32], v[33:34], v[11:12]
.LBB46_624:
	s_or_b64 exec, exec, s[10:11]
	s_barrier
	s_and_saveexec_b64 s[10:11], s[62:63]
	s_cbranch_execz .LBB46_626
; %bb.625:
	v_mov_b32_e32 v31, 0
	ds_read_b64 v[31:32], v31 offset:24440
	s_waitcnt lgkmcnt(0)
	v_mul_f64 v[11:12], v[11:12], v[31:32]
	ds_write_b64 v23, v[11:12]
.LBB46_626:
	s_or_b64 exec, exec, s[10:11]
	s_waitcnt lgkmcnt(0)
	s_barrier
	s_barrier
	s_and_saveexec_b64 s[10:11], s[14:15]
; %bb.627:
	v_xor_b32_e32 v12, 0x80000000, v12
	ds_write_b64 v21, v[11:12] offset:16704
; %bb.628:
	s_or_b64 exec, exec, s[10:11]
	s_waitcnt lgkmcnt(0)
	s_barrier
	s_barrier
	s_and_saveexec_b64 s[10:11], vcc
	s_cbranch_execz .LBB46_630
; %bb.629:
	v_mov_b32_e32 v35, 0
	ds_read_b128 v[31:34], v35 offset:20800
	ds_read_b64 v[11:12], v35 offset:21320
	s_waitcnt lgkmcnt(0)
	v_mul_f64 v[11:12], v[31:32], v[11:12]
	v_mul_f64 v[11:12], v[33:34], v[11:12]
	ds_write_b64 v35, v[11:12] offset:20808
.LBB46_630:
	s_or_b64 exec, exec, s[10:11]
	v_mov_b32_e32 v11, 0
	v_mov_b32_e32 v12, 0
	s_waitcnt lgkmcnt(0)
	s_barrier
	s_and_saveexec_b64 s[12:13], s[0:1]
	s_cbranch_execz .LBB46_634
; %bb.631:
	v_mul_u32_u24_e32 v31, 0x208, v15
	ds_read_b64 v[11:12], v1 offset:20816
	ds_read_b64 v[31:32], v31 offset:20800
	v_cmp_gt_u32_e64 s[10:11], 2, v14
	s_waitcnt lgkmcnt(0)
	v_fma_f64 v[11:12], v[11:12], v[31:32], 0
	s_and_saveexec_b64 s[16:17], s[10:11]
	s_cbranch_execz .LBB46_633
; %bb.632:
	v_lshlrev_b32_e32 v31, 3, v0
	v_mov_b32_e32 v33, 0
	ds_read_b64 v[31:32], v31 offset:21328
	ds_read_b64 v[33:34], v33 offset:20808
	s_waitcnt lgkmcnt(0)
	v_fma_f64 v[11:12], v[31:32], v[33:34], v[11:12]
.LBB46_633:
	s_or_b64 exec, exec, s[16:17]
	v_xor_b32_e32 v12, 0x80000000, v12
.LBB46_634:
	s_or_b64 exec, exec, s[12:13]
	s_and_saveexec_b64 s[10:11], s[38:39]
	s_cbranch_execz .LBB46_636
; %bb.635:
	v_mov_b32_e32 v31, 0
	ds_read_b64 v[31:32], v31 offset:21840
	s_waitcnt lgkmcnt(0)
	v_mul_f64 v[11:12], v[11:12], v[31:32]
	ds_write_b64 v13, v[11:12]
.LBB46_636:
	s_or_b64 exec, exec, s[10:11]
	s_waitcnt lgkmcnt(0)
	s_barrier
	s_and_saveexec_b64 s[10:11], s[36:37]
	s_cbranch_execz .LBB46_638
; %bb.637:
	v_mov_b32_e32 v31, 0
	ds_read_b64 v[31:32], v31 offset:21848
	ds_read_b64 v[33:34], v13
	s_waitcnt lgkmcnt(0)
	v_fma_f64 v[11:12], v[31:32], v[33:34], v[11:12]
.LBB46_638:
	s_or_b64 exec, exec, s[10:11]
	s_barrier
	s_and_saveexec_b64 s[10:11], s[36:37]
	s_cbranch_execz .LBB46_640
; %bb.639:
	v_mov_b32_e32 v31, 0
	ds_read_b64 v[31:32], v31 offset:22360
	s_waitcnt lgkmcnt(0)
	v_mul_f64 v[11:12], v[11:12], v[31:32]
	ds_write_b64 v13, v[11:12]
.LBB46_640:
	s_or_b64 exec, exec, s[10:11]
	s_waitcnt lgkmcnt(0)
	s_barrier
	s_barrier
	s_and_saveexec_b64 s[10:11], s[0:1]
; %bb.641:
	v_xor_b32_e32 v12, 0x80000000, v12
	ds_write_b64 v1, v[11:12] offset:20816
; %bb.642:
	s_or_b64 exec, exec, s[10:11]
	s_waitcnt lgkmcnt(0)
	s_barrier
	s_barrier
	s_and_saveexec_b64 s[10:11], vcc
	s_cbranch_execz .LBB46_644
; %bb.643:
	v_mov_b32_e32 v35, 0
	ds_read_b128 v[31:34], v35 offset:21840
	ds_read_b64 v[11:12], v35 offset:22360
	s_waitcnt lgkmcnt(0)
	v_mul_f64 v[11:12], v[31:32], v[11:12]
	v_mul_f64 v[11:12], v[33:34], v[11:12]
	ds_write_b64 v35, v[11:12] offset:21848
.LBB46_644:
	s_or_b64 exec, exec, s[10:11]
	v_mov_b32_e32 v11, 0
	v_mov_b32_e32 v12, 0
	s_waitcnt lgkmcnt(0)
	s_barrier
	s_and_saveexec_b64 s[12:13], s[2:3]
	s_cbranch_execz .LBB46_650
; %bb.645:
	v_mul_u32_u24_e32 v31, 0x208, v20
	ds_read_b64 v[11:12], v16 offset:20832
	ds_read_b64 v[32:33], v31 offset:20800
	v_cmp_gt_u32_e64 s[10:11], 12, v14
	s_waitcnt lgkmcnt(0)
	v_fma_f64 v[11:12], v[11:12], v[32:33], 0
	s_and_saveexec_b64 s[16:17], s[10:11]
	s_cbranch_execnz .LBB46_1070
; %bb.646:
	s_or_b64 exec, exec, s[16:17]
	v_cmp_gt_u32_e64 s[10:11], 8, v14
	s_and_saveexec_b64 s[16:17], s[10:11]
	s_cbranch_execnz .LBB46_1071
.LBB46_647:
	s_or_b64 exec, exec, s[16:17]
	v_cmp_gt_u32_e64 s[10:11], 4, v14
	s_and_saveexec_b64 s[16:17], s[10:11]
	s_cbranch_execz .LBB46_649
.LBB46_648:
	v_lshlrev_b32_e32 v31, 3, v0
	v_mov_b32_e32 v33, 0
	ds_read_b64 v[31:32], v31 offset:22368
	ds_read_b64 v[33:34], v33 offset:20824
	s_waitcnt lgkmcnt(0)
	v_fma_f64 v[11:12], v[31:32], v[33:34], v[11:12]
.LBB46_649:
	s_or_b64 exec, exec, s[16:17]
	v_xor_b32_e32 v12, 0x80000000, v12
.LBB46_650:
	s_or_b64 exec, exec, s[12:13]
	s_and_saveexec_b64 s[10:11], s[42:43]
	s_cbranch_execz .LBB46_652
; %bb.651:
	v_mov_b32_e32 v31, 0
	ds_read_b64 v[31:32], v31 offset:22880
	s_waitcnt lgkmcnt(0)
	v_mul_f64 v[11:12], v[11:12], v[31:32]
	ds_write_b64 v18, v[11:12]
.LBB46_652:
	s_or_b64 exec, exec, s[10:11]
	s_waitcnt lgkmcnt(0)
	s_barrier
	s_and_saveexec_b64 s[10:11], s[44:45]
	s_cbranch_execz .LBB46_654
; %bb.653:
	ds_read_b64 v[31:32], v17 offset:22880
	ds_read_b64 v[33:34], v18
	s_waitcnt lgkmcnt(0)
	v_fma_f64 v[11:12], v[31:32], v[33:34], v[11:12]
.LBB46_654:
	s_or_b64 exec, exec, s[10:11]
	s_barrier
	s_and_saveexec_b64 s[10:11], s[46:47]
	s_cbranch_execz .LBB46_656
; %bb.655:
	v_mov_b32_e32 v31, 0
	ds_read_b64 v[31:32], v31 offset:23400
	s_waitcnt lgkmcnt(0)
	v_mul_f64 v[11:12], v[11:12], v[31:32]
	ds_write_b64 v18, v[11:12]
.LBB46_656:
	s_or_b64 exec, exec, s[10:11]
	s_waitcnt lgkmcnt(0)
	s_barrier
	s_and_saveexec_b64 s[10:11], s[48:49]
	s_cbranch_execz .LBB46_658
; %bb.657:
	ds_read_b64 v[31:32], v17 offset:23392
	ds_read_b64 v[33:34], v18
	s_waitcnt lgkmcnt(0)
	v_fma_f64 v[11:12], v[31:32], v[33:34], v[11:12]
.LBB46_658:
	s_or_b64 exec, exec, s[10:11]
	s_barrier
	s_and_saveexec_b64 s[10:11], s[50:51]
	s_cbranch_execz .LBB46_660
; %bb.659:
	v_mov_b32_e32 v31, 0
	ds_read_b64 v[31:32], v31 offset:23920
	s_waitcnt lgkmcnt(0)
	v_mul_f64 v[11:12], v[11:12], v[31:32]
	ds_write_b64 v18, v[11:12]
.LBB46_660:
	s_or_b64 exec, exec, s[10:11]
	s_waitcnt lgkmcnt(0)
	s_barrier
	s_and_saveexec_b64 s[10:11], s[40:41]
	s_cbranch_execz .LBB46_662
; %bb.661:
	v_mov_b32_e32 v31, 0
	ds_read_b64 v[31:32], v31 offset:23928
	ds_read_b64 v[33:34], v18
	s_waitcnt lgkmcnt(0)
	v_fma_f64 v[11:12], v[31:32], v[33:34], v[11:12]
.LBB46_662:
	s_or_b64 exec, exec, s[10:11]
	s_barrier
	s_and_saveexec_b64 s[10:11], s[40:41]
	s_cbranch_execz .LBB46_664
; %bb.663:
	v_mov_b32_e32 v31, 0
	ds_read_b64 v[31:32], v31 offset:24440
	s_waitcnt lgkmcnt(0)
	v_mul_f64 v[11:12], v[11:12], v[31:32]
	ds_write_b64 v18, v[11:12]
.LBB46_664:
	s_or_b64 exec, exec, s[10:11]
	s_waitcnt lgkmcnt(0)
	s_barrier
	s_barrier
	s_and_saveexec_b64 s[10:11], s[2:3]
; %bb.665:
	v_xor_b32_e32 v12, 0x80000000, v12
	ds_write_b64 v16, v[11:12] offset:20832
; %bb.666:
	s_or_b64 exec, exec, s[10:11]
	s_waitcnt lgkmcnt(0)
	s_barrier
	s_barrier
	s_and_saveexec_b64 s[10:11], vcc
	s_cbranch_execz .LBB46_668
; %bb.667:
	v_mov_b32_e32 v35, 0
	ds_read_b128 v[31:34], v35 offset:22880
	ds_read_b64 v[11:12], v35 offset:23400
	s_waitcnt lgkmcnt(0)
	v_mul_f64 v[11:12], v[31:32], v[11:12]
	v_mul_f64 v[11:12], v[33:34], v[11:12]
	ds_write_b64 v35, v[11:12] offset:22888
.LBB46_668:
	s_or_b64 exec, exec, s[10:11]
	v_mov_b32_e32 v11, 0
	v_mov_b32_e32 v12, 0
	s_waitcnt lgkmcnt(0)
	s_barrier
	s_and_saveexec_b64 s[12:13], s[0:1]
	s_cbranch_execz .LBB46_672
; %bb.669:
	v_mul_u32_u24_e32 v31, 0x208, v15
	ds_read_b64 v[11:12], v1 offset:22896
	ds_read_b64 v[31:32], v31 offset:22880
	v_cmp_gt_u32_e64 s[10:11], 2, v14
	s_waitcnt lgkmcnt(0)
	v_fma_f64 v[11:12], v[11:12], v[31:32], 0
	s_and_saveexec_b64 s[16:17], s[10:11]
	s_cbranch_execz .LBB46_671
; %bb.670:
	v_lshlrev_b32_e32 v31, 3, v0
	v_mov_b32_e32 v33, 0
	ds_read_b64 v[31:32], v31 offset:23408
	ds_read_b64 v[33:34], v33 offset:22888
	s_waitcnt lgkmcnt(0)
	v_fma_f64 v[11:12], v[31:32], v[33:34], v[11:12]
.LBB46_671:
	s_or_b64 exec, exec, s[16:17]
	v_xor_b32_e32 v12, 0x80000000, v12
.LBB46_672:
	s_or_b64 exec, exec, s[12:13]
	s_and_saveexec_b64 s[10:11], s[38:39]
	s_cbranch_execz .LBB46_674
; %bb.673:
	v_mov_b32_e32 v31, 0
	ds_read_b64 v[31:32], v31 offset:23920
	s_waitcnt lgkmcnt(0)
	v_mul_f64 v[11:12], v[11:12], v[31:32]
	ds_write_b64 v13, v[11:12]
.LBB46_674:
	s_or_b64 exec, exec, s[10:11]
	s_waitcnt lgkmcnt(0)
	s_barrier
	s_and_saveexec_b64 s[10:11], s[36:37]
	s_cbranch_execz .LBB46_676
; %bb.675:
	v_mov_b32_e32 v31, 0
	ds_read_b64 v[31:32], v31 offset:23928
	ds_read_b64 v[33:34], v13
	s_waitcnt lgkmcnt(0)
	v_fma_f64 v[11:12], v[31:32], v[33:34], v[11:12]
.LBB46_676:
	s_or_b64 exec, exec, s[10:11]
	s_barrier
	s_and_saveexec_b64 s[10:11], s[36:37]
	s_cbranch_execz .LBB46_678
; %bb.677:
	v_mov_b32_e32 v31, 0
	ds_read_b64 v[31:32], v31 offset:24440
	s_waitcnt lgkmcnt(0)
	v_mul_f64 v[11:12], v[11:12], v[31:32]
	ds_write_b64 v13, v[11:12]
.LBB46_678:
	s_or_b64 exec, exec, s[10:11]
	s_waitcnt lgkmcnt(0)
	s_barrier
	s_barrier
	s_and_saveexec_b64 s[10:11], s[0:1]
; %bb.679:
	v_xor_b32_e32 v12, 0x80000000, v12
	ds_write_b64 v1, v[11:12] offset:22896
; %bb.680:
	s_or_b64 exec, exec, s[10:11]
	s_waitcnt lgkmcnt(0)
	s_barrier
	s_barrier
	s_and_saveexec_b64 s[10:11], vcc
	s_cbranch_execz .LBB46_682
; %bb.681:
	v_mov_b32_e32 v35, 0
	ds_read_b128 v[31:34], v35 offset:23920
	ds_read_b64 v[11:12], v35 offset:24440
	s_waitcnt lgkmcnt(0)
	v_mul_f64 v[11:12], v[31:32], v[11:12]
	v_mul_f64 v[11:12], v[33:34], v[11:12]
	ds_write_b64 v35, v[11:12] offset:23928
.LBB46_682:
	s_or_b64 exec, exec, s[10:11]
	v_mov_b32_e32 v11, 0
	v_mov_b32_e32 v12, 0
	s_waitcnt lgkmcnt(0)
	s_barrier
	s_and_saveexec_b64 s[12:13], s[8:9]
	s_cbranch_execz .LBB46_710
; %bb.683:
	v_mul_u32_u24_e32 v31, 0x208, v30
	ds_read_b64 v[11:12], v26 offset:16768
	ds_read_b64 v[32:33], v31 offset:16640
	s_movk_i32 s10, 0xf0
	v_cmp_gt_u32_e64 s[10:11], s10, v14
	s_waitcnt lgkmcnt(0)
	v_fma_f64 v[11:12], v[11:12], v[32:33], 0
	s_and_saveexec_b64 s[16:17], s[10:11]
	s_cbranch_execz .LBB46_685
; %bb.684:
	v_lshlrev_b32_e32 v32, 3, v30
	v_sub_u32_e32 v32, v31, v32
	v_lshl_add_u32 v32, v27, 3, v32
	ds_read_b64 v[32:33], v32 offset:17280
	ds_read_b64 v[34:35], v31 offset:16648
	s_waitcnt lgkmcnt(0)
	v_fma_f64 v[11:12], v[32:33], v[34:35], v[11:12]
.LBB46_685:
	s_or_b64 exec, exec, s[16:17]
	s_movk_i32 s10, 0xe0
	v_cmp_gt_u32_e64 s[10:11], s10, v14
	s_and_saveexec_b64 s[16:17], s[10:11]
	s_cbranch_execz .LBB46_687
; %bb.686:
	v_lshlrev_b32_e32 v32, 3, v30
	v_sub_u32_e32 v32, v31, v32
	v_lshl_add_u32 v32, v27, 3, v32
	ds_read_b64 v[32:33], v32 offset:17792
	ds_read_b64 v[34:35], v31 offset:16656
	s_waitcnt lgkmcnt(0)
	v_fma_f64 v[11:12], v[32:33], v[34:35], v[11:12]
.LBB46_687:
	s_or_b64 exec, exec, s[16:17]
	s_movk_i32 s10, 0xd0
	v_cmp_gt_u32_e64 s[10:11], s10, v14
	;; [unrolled: 14-line block ×7, first 2 shown]
	s_and_saveexec_b64 s[16:17], s[10:11]
	s_cbranch_execz .LBB46_699
; %bb.698:
	ds_read_b64 v[32:33], v26 offset:20864
	ds_read_b64 v[34:35], v31 offset:16704
	s_waitcnt lgkmcnt(0)
	v_fma_f64 v[11:12], v[32:33], v[34:35], v[11:12]
.LBB46_699:
	s_or_b64 exec, exec, s[16:17]
	s_movk_i32 s10, 0x70
	v_cmp_gt_u32_e64 s[10:11], s10, v14
	s_and_saveexec_b64 s[16:17], s[10:11]
	s_cbranch_execz .LBB46_701
; %bb.700:
	v_lshlrev_b32_e32 v30, 3, v27
	v_lshl_add_u32 v30, v29, 3, v30
	ds_read_b64 v[32:33], v30 offset:21376
	ds_read_b64 v[34:35], v31 offset:16712
	s_waitcnt lgkmcnt(0)
	v_fma_f64 v[11:12], v[32:33], v[34:35], v[11:12]
.LBB46_701:
	s_or_b64 exec, exec, s[16:17]
	s_movk_i32 s10, 0x60
	v_cmp_gt_u32_e64 s[10:11], s10, v14
	s_and_saveexec_b64 s[16:17], s[10:11]
	s_cbranch_execz .LBB46_703
; %bb.702:
	v_lshlrev_b32_e32 v30, 3, v27
	v_lshl_add_u32 v30, v29, 3, v30
	ds_read_b64 v[32:33], v30 offset:21888
	ds_read_b64 v[34:35], v31 offset:16720
	s_waitcnt lgkmcnt(0)
	v_fma_f64 v[11:12], v[32:33], v[34:35], v[11:12]
.LBB46_703:
	s_or_b64 exec, exec, s[16:17]
	s_movk_i32 s10, 0x50
	v_cmp_gt_u32_e64 s[10:11], s10, v14
	s_and_saveexec_b64 s[16:17], s[10:11]
	s_cbranch_execnz .LBB46_1072
; %bb.704:
	s_or_b64 exec, exec, s[16:17]
	v_cmp_gt_u32_e64 s[10:11], 64, v14
	s_and_saveexec_b64 s[16:17], s[10:11]
	s_cbranch_execnz .LBB46_1073
.LBB46_705:
	s_or_b64 exec, exec, s[16:17]
	v_cmp_gt_u32_e64 s[10:11], 48, v14
	s_and_saveexec_b64 s[16:17], s[10:11]
	s_cbranch_execnz .LBB46_1074
.LBB46_706:
	s_or_b64 exec, exec, s[16:17]
	v_cmp_gt_u32_e64 s[10:11], 32, v14
	s_and_saveexec_b64 s[16:17], s[10:11]
	s_cbranch_execnz .LBB46_1075
.LBB46_707:
	s_or_b64 exec, exec, s[16:17]
	v_cmp_gt_u32_e64 s[10:11], 16, v14
	s_and_saveexec_b64 s[16:17], s[10:11]
	s_cbranch_execz .LBB46_709
.LBB46_708:
	v_lshlrev_b32_e32 v29, 3, v0
	v_mov_b32_e32 v31, 0
	ds_read_b64 v[29:30], v29 offset:24448
	ds_read_b64 v[31:32], v31 offset:16760
	s_waitcnt lgkmcnt(0)
	v_fma_f64 v[11:12], v[29:30], v[31:32], v[11:12]
.LBB46_709:
	s_or_b64 exec, exec, s[16:17]
	v_xor_b32_e32 v12, 0x80000000, v12
.LBB46_710:
	s_or_b64 exec, exec, s[12:13]
	s_mov_b64 s[10:11], exec
	v_readlane_b32 s12, v41, 1
	v_readlane_b32 s13, v41, 2
	s_and_b64 s[12:13], s[10:11], s[12:13]
	s_mov_b64 exec, s[12:13]
	s_cbranch_execz .LBB46_712
; %bb.711:
	v_mov_b32_e32 v29, 0
	ds_read_b64 v[29:30], v29 offset:24960
	s_waitcnt lgkmcnt(0)
	v_mul_f64 v[11:12], v[11:12], v[29:30]
	ds_write_b64 v28, v[11:12]
.LBB46_712:
	s_or_b64 exec, exec, s[10:11]
	s_waitcnt lgkmcnt(0)
	s_barrier
	s_mov_b64 s[10:11], exec
	v_readlane_b32 s12, v41, 3
	v_readlane_b32 s13, v41, 4
	s_and_b64 s[12:13], s[10:11], s[12:13]
	s_mov_b64 exec, s[12:13]
	s_cbranch_execz .LBB46_714
; %bb.713:
	v_lshlrev_b32_e32 v29, 3, v27
	ds_read_b64 v[29:30], v29 offset:24960
	ds_read_b64 v[31:32], v28
	s_waitcnt lgkmcnt(0)
	v_fma_f64 v[11:12], v[29:30], v[31:32], v[11:12]
.LBB46_714:
	s_or_b64 exec, exec, s[10:11]
	s_barrier
	s_mov_b64 s[10:11], exec
	v_readlane_b32 s12, v41, 5
	v_readlane_b32 s13, v41, 6
	s_and_b64 s[12:13], s[10:11], s[12:13]
	s_mov_b64 exec, s[12:13]
	s_cbranch_execz .LBB46_716
; %bb.715:
	v_mov_b32_e32 v29, 0
	ds_read_b64 v[29:30], v29 offset:25480
	s_waitcnt lgkmcnt(0)
	v_mul_f64 v[11:12], v[11:12], v[29:30]
	ds_write_b64 v28, v[11:12]
.LBB46_716:
	s_or_b64 exec, exec, s[10:11]
	s_waitcnt lgkmcnt(0)
	s_barrier
	s_mov_b64 s[10:11], exec
	v_readlane_b32 s12, v41, 7
	v_readlane_b32 s13, v41, 8
	s_and_b64 s[12:13], s[10:11], s[12:13]
	s_mov_b64 exec, s[12:13]
	s_cbranch_execz .LBB46_718
; %bb.717:
	v_lshlrev_b32_e32 v29, 3, v27
	ds_read_b64 v[29:30], v29 offset:25472
	ds_read_b64 v[31:32], v28
	s_waitcnt lgkmcnt(0)
	v_fma_f64 v[11:12], v[29:30], v[31:32], v[11:12]
.LBB46_718:
	s_or_b64 exec, exec, s[10:11]
	s_barrier
	;; [unrolled: 31-line block ×13, first 2 shown]
	s_and_saveexec_b64 s[10:11], s[86:87]
	s_cbranch_execz .LBB46_764
; %bb.763:
	v_mov_b32_e32 v29, 0
	ds_read_b64 v[29:30], v29 offset:31720
	s_waitcnt lgkmcnt(0)
	v_mul_f64 v[11:12], v[11:12], v[29:30]
	ds_write_b64 v28, v[11:12]
.LBB46_764:
	s_or_b64 exec, exec, s[10:11]
	s_waitcnt lgkmcnt(0)
	s_barrier
	s_and_saveexec_b64 s[10:11], s[88:89]
	s_cbranch_execz .LBB46_766
; %bb.765:
	v_lshlrev_b32_e32 v27, 3, v27
	ds_read_b64 v[29:30], v27 offset:31616
	ds_read_b64 v[31:32], v28
	s_waitcnt lgkmcnt(0)
	v_fma_f64 v[11:12], v[29:30], v[31:32], v[11:12]
.LBB46_766:
	s_or_b64 exec, exec, s[10:11]
	s_barrier
	s_and_saveexec_b64 s[10:11], s[92:93]
	s_cbranch_execz .LBB46_768
; %bb.767:
	v_mov_b32_e32 v27, 0
	ds_read_b64 v[29:30], v27 offset:32240
	s_waitcnt lgkmcnt(0)
	v_mul_f64 v[11:12], v[11:12], v[29:30]
	ds_write_b64 v28, v[11:12]
.LBB46_768:
	s_or_b64 exec, exec, s[10:11]
	s_waitcnt lgkmcnt(0)
	s_barrier
	s_and_saveexec_b64 s[10:11], s[90:91]
	s_cbranch_execz .LBB46_770
; %bb.769:
	v_mov_b32_e32 v27, 0
	ds_read_b64 v[29:30], v27 offset:32248
	ds_read_b64 v[31:32], v28
	s_waitcnt lgkmcnt(0)
	v_fma_f64 v[11:12], v[29:30], v[31:32], v[11:12]
.LBB46_770:
	s_or_b64 exec, exec, s[10:11]
	s_barrier
	s_and_saveexec_b64 s[10:11], s[90:91]
	s_cbranch_execz .LBB46_772
; %bb.771:
	v_mov_b32_e32 v27, 0
	ds_read_b64 v[29:30], v27 offset:32760
	s_waitcnt lgkmcnt(0)
	v_mul_f64 v[11:12], v[11:12], v[29:30]
	ds_write_b64 v28, v[11:12]
.LBB46_772:
	s_or_b64 exec, exec, s[10:11]
	s_waitcnt lgkmcnt(0)
	s_barrier
	s_barrier
	s_and_saveexec_b64 s[10:11], s[8:9]
; %bb.773:
	v_xor_b32_e32 v12, 0x80000000, v12
	ds_write_b64 v26, v[11:12] offset:16768
; %bb.774:
	s_or_b64 exec, exec, s[10:11]
	s_waitcnt lgkmcnt(0)
	s_barrier
	s_barrier
	s_and_saveexec_b64 s[8:9], vcc
	s_cbranch_execz .LBB46_776
; %bb.775:
	v_mov_b32_e32 v30, 0
	ds_read_b128 v[26:29], v30 offset:24960
	ds_read_b64 v[11:12], v30 offset:25480
	s_waitcnt lgkmcnt(0)
	v_mul_f64 v[11:12], v[26:27], v[11:12]
	v_mul_f64 v[11:12], v[28:29], v[11:12]
	ds_write_b64 v30, v[11:12] offset:24968
.LBB46_776:
	s_or_b64 exec, exec, s[8:9]
	v_mov_b32_e32 v11, 0
	v_mov_b32_e32 v12, 0
	s_waitcnt lgkmcnt(0)
	s_barrier
	s_and_saveexec_b64 s[10:11], s[0:1]
	s_cbranch_execz .LBB46_780
; %bb.777:
	v_mul_u32_u24_e32 v26, 0x208, v15
	ds_read_b64 v[11:12], v1 offset:24976
	ds_read_b64 v[26:27], v26 offset:24960
	v_cmp_gt_u32_e64 s[8:9], 2, v14
	s_waitcnt lgkmcnt(0)
	v_fma_f64 v[11:12], v[11:12], v[26:27], 0
	s_and_saveexec_b64 s[12:13], s[8:9]
	s_cbranch_execz .LBB46_779
; %bb.778:
	v_lshlrev_b32_e32 v26, 3, v0
	v_mov_b32_e32 v28, 0
	ds_read_b64 v[26:27], v26 offset:25488
	ds_read_b64 v[28:29], v28 offset:24968
	s_waitcnt lgkmcnt(0)
	v_fma_f64 v[11:12], v[26:27], v[28:29], v[11:12]
.LBB46_779:
	s_or_b64 exec, exec, s[12:13]
	v_xor_b32_e32 v12, 0x80000000, v12
.LBB46_780:
	s_or_b64 exec, exec, s[10:11]
	s_and_saveexec_b64 s[8:9], s[38:39]
	s_cbranch_execz .LBB46_782
; %bb.781:
	v_mov_b32_e32 v26, 0
	ds_read_b64 v[26:27], v26 offset:26000
	s_waitcnt lgkmcnt(0)
	v_mul_f64 v[11:12], v[11:12], v[26:27]
	ds_write_b64 v13, v[11:12]
.LBB46_782:
	s_or_b64 exec, exec, s[8:9]
	s_waitcnt lgkmcnt(0)
	s_barrier
	s_and_saveexec_b64 s[8:9], s[36:37]
	s_cbranch_execz .LBB46_784
; %bb.783:
	v_mov_b32_e32 v26, 0
	ds_read_b64 v[26:27], v26 offset:26008
	ds_read_b64 v[28:29], v13
	s_waitcnt lgkmcnt(0)
	v_fma_f64 v[11:12], v[26:27], v[28:29], v[11:12]
.LBB46_784:
	s_or_b64 exec, exec, s[8:9]
	s_barrier
	s_and_saveexec_b64 s[8:9], s[36:37]
	s_cbranch_execz .LBB46_786
; %bb.785:
	v_mov_b32_e32 v26, 0
	ds_read_b64 v[26:27], v26 offset:26520
	s_waitcnt lgkmcnt(0)
	v_mul_f64 v[11:12], v[11:12], v[26:27]
	ds_write_b64 v13, v[11:12]
.LBB46_786:
	s_or_b64 exec, exec, s[8:9]
	s_waitcnt lgkmcnt(0)
	s_barrier
	s_barrier
	s_and_saveexec_b64 s[8:9], s[0:1]
; %bb.787:
	v_xor_b32_e32 v12, 0x80000000, v12
	ds_write_b64 v1, v[11:12] offset:24976
; %bb.788:
	s_or_b64 exec, exec, s[8:9]
	s_waitcnt lgkmcnt(0)
	s_barrier
	s_barrier
	s_and_saveexec_b64 s[8:9], vcc
	s_cbranch_execz .LBB46_790
; %bb.789:
	v_mov_b32_e32 v30, 0
	ds_read_b128 v[26:29], v30 offset:26000
	ds_read_b64 v[11:12], v30 offset:26520
	s_waitcnt lgkmcnt(0)
	v_mul_f64 v[11:12], v[26:27], v[11:12]
	v_mul_f64 v[11:12], v[28:29], v[11:12]
	ds_write_b64 v30, v[11:12] offset:26008
.LBB46_790:
	s_or_b64 exec, exec, s[8:9]
	v_mov_b32_e32 v11, 0
	v_mov_b32_e32 v12, 0
	s_waitcnt lgkmcnt(0)
	s_barrier
	s_and_saveexec_b64 s[10:11], s[2:3]
	s_cbranch_execz .LBB46_796
; %bb.791:
	v_mul_u32_u24_e32 v26, 0x208, v20
	ds_read_b64 v[11:12], v16 offset:24992
	ds_read_b64 v[27:28], v26 offset:24960
	v_cmp_gt_u32_e64 s[8:9], 12, v14
	s_waitcnt lgkmcnt(0)
	v_fma_f64 v[11:12], v[11:12], v[27:28], 0
	s_and_saveexec_b64 s[12:13], s[8:9]
	s_cbranch_execnz .LBB46_1076
; %bb.792:
	s_or_b64 exec, exec, s[12:13]
	v_cmp_gt_u32_e64 s[8:9], 8, v14
	s_and_saveexec_b64 s[12:13], s[8:9]
	s_cbranch_execnz .LBB46_1077
.LBB46_793:
	s_or_b64 exec, exec, s[12:13]
	v_cmp_gt_u32_e64 s[8:9], 4, v14
	s_and_saveexec_b64 s[12:13], s[8:9]
	s_cbranch_execz .LBB46_795
.LBB46_794:
	v_lshlrev_b32_e32 v26, 3, v0
	v_mov_b32_e32 v28, 0
	ds_read_b64 v[26:27], v26 offset:26528
	ds_read_b64 v[28:29], v28 offset:24984
	s_waitcnt lgkmcnt(0)
	v_fma_f64 v[11:12], v[26:27], v[28:29], v[11:12]
.LBB46_795:
	s_or_b64 exec, exec, s[12:13]
	v_xor_b32_e32 v12, 0x80000000, v12
.LBB46_796:
	s_or_b64 exec, exec, s[10:11]
	s_and_saveexec_b64 s[8:9], s[42:43]
	s_cbranch_execz .LBB46_798
; %bb.797:
	v_mov_b32_e32 v26, 0
	ds_read_b64 v[26:27], v26 offset:27040
	s_waitcnt lgkmcnt(0)
	v_mul_f64 v[11:12], v[11:12], v[26:27]
	ds_write_b64 v18, v[11:12]
.LBB46_798:
	s_or_b64 exec, exec, s[8:9]
	s_waitcnt lgkmcnt(0)
	s_barrier
	s_and_saveexec_b64 s[8:9], s[44:45]
	s_cbranch_execz .LBB46_800
; %bb.799:
	ds_read_b64 v[26:27], v17 offset:27040
	ds_read_b64 v[28:29], v18
	s_waitcnt lgkmcnt(0)
	v_fma_f64 v[11:12], v[26:27], v[28:29], v[11:12]
.LBB46_800:
	s_or_b64 exec, exec, s[8:9]
	s_barrier
	s_and_saveexec_b64 s[8:9], s[46:47]
	s_cbranch_execz .LBB46_802
; %bb.801:
	v_mov_b32_e32 v26, 0
	ds_read_b64 v[26:27], v26 offset:27560
	s_waitcnt lgkmcnt(0)
	v_mul_f64 v[11:12], v[11:12], v[26:27]
	ds_write_b64 v18, v[11:12]
.LBB46_802:
	s_or_b64 exec, exec, s[8:9]
	s_waitcnt lgkmcnt(0)
	s_barrier
	s_and_saveexec_b64 s[8:9], s[48:49]
	s_cbranch_execz .LBB46_804
; %bb.803:
	ds_read_b64 v[26:27], v17 offset:27552
	ds_read_b64 v[28:29], v18
	s_waitcnt lgkmcnt(0)
	v_fma_f64 v[11:12], v[26:27], v[28:29], v[11:12]
.LBB46_804:
	s_or_b64 exec, exec, s[8:9]
	s_barrier
	s_and_saveexec_b64 s[8:9], s[50:51]
	s_cbranch_execz .LBB46_806
; %bb.805:
	v_mov_b32_e32 v26, 0
	ds_read_b64 v[26:27], v26 offset:28080
	s_waitcnt lgkmcnt(0)
	v_mul_f64 v[11:12], v[11:12], v[26:27]
	ds_write_b64 v18, v[11:12]
.LBB46_806:
	s_or_b64 exec, exec, s[8:9]
	s_waitcnt lgkmcnt(0)
	s_barrier
	s_and_saveexec_b64 s[8:9], s[40:41]
	s_cbranch_execz .LBB46_808
; %bb.807:
	v_mov_b32_e32 v26, 0
	ds_read_b64 v[26:27], v26 offset:28088
	ds_read_b64 v[28:29], v18
	s_waitcnt lgkmcnt(0)
	v_fma_f64 v[11:12], v[26:27], v[28:29], v[11:12]
.LBB46_808:
	s_or_b64 exec, exec, s[8:9]
	s_barrier
	s_and_saveexec_b64 s[8:9], s[40:41]
	s_cbranch_execz .LBB46_810
; %bb.809:
	v_mov_b32_e32 v26, 0
	ds_read_b64 v[26:27], v26 offset:28600
	s_waitcnt lgkmcnt(0)
	v_mul_f64 v[11:12], v[11:12], v[26:27]
	ds_write_b64 v18, v[11:12]
.LBB46_810:
	s_or_b64 exec, exec, s[8:9]
	s_waitcnt lgkmcnt(0)
	s_barrier
	s_barrier
	s_and_saveexec_b64 s[8:9], s[2:3]
; %bb.811:
	v_xor_b32_e32 v12, 0x80000000, v12
	ds_write_b64 v16, v[11:12] offset:24992
; %bb.812:
	s_or_b64 exec, exec, s[8:9]
	s_waitcnt lgkmcnt(0)
	s_barrier
	s_barrier
	s_and_saveexec_b64 s[8:9], vcc
	s_cbranch_execz .LBB46_814
; %bb.813:
	v_mov_b32_e32 v30, 0
	ds_read_b128 v[26:29], v30 offset:27040
	ds_read_b64 v[11:12], v30 offset:27560
	s_waitcnt lgkmcnt(0)
	v_mul_f64 v[11:12], v[26:27], v[11:12]
	v_mul_f64 v[11:12], v[28:29], v[11:12]
	ds_write_b64 v30, v[11:12] offset:27048
.LBB46_814:
	s_or_b64 exec, exec, s[8:9]
	v_mov_b32_e32 v11, 0
	v_mov_b32_e32 v12, 0
	s_waitcnt lgkmcnt(0)
	s_barrier
	s_and_saveexec_b64 s[10:11], s[0:1]
	s_cbranch_execz .LBB46_818
; %bb.815:
	v_mul_u32_u24_e32 v26, 0x208, v15
	ds_read_b64 v[11:12], v1 offset:27056
	ds_read_b64 v[26:27], v26 offset:27040
	v_cmp_gt_u32_e64 s[8:9], 2, v14
	s_waitcnt lgkmcnt(0)
	v_fma_f64 v[11:12], v[11:12], v[26:27], 0
	s_and_saveexec_b64 s[12:13], s[8:9]
	s_cbranch_execz .LBB46_817
; %bb.816:
	v_lshlrev_b32_e32 v26, 3, v0
	v_mov_b32_e32 v28, 0
	ds_read_b64 v[26:27], v26 offset:27568
	ds_read_b64 v[28:29], v28 offset:27048
	s_waitcnt lgkmcnt(0)
	v_fma_f64 v[11:12], v[26:27], v[28:29], v[11:12]
.LBB46_817:
	s_or_b64 exec, exec, s[12:13]
	v_xor_b32_e32 v12, 0x80000000, v12
.LBB46_818:
	s_or_b64 exec, exec, s[10:11]
	s_and_saveexec_b64 s[8:9], s[38:39]
	s_cbranch_execz .LBB46_820
; %bb.819:
	v_mov_b32_e32 v26, 0
	ds_read_b64 v[26:27], v26 offset:28080
	s_waitcnt lgkmcnt(0)
	v_mul_f64 v[11:12], v[11:12], v[26:27]
	ds_write_b64 v13, v[11:12]
.LBB46_820:
	s_or_b64 exec, exec, s[8:9]
	s_waitcnt lgkmcnt(0)
	s_barrier
	s_and_saveexec_b64 s[8:9], s[36:37]
	s_cbranch_execz .LBB46_822
; %bb.821:
	v_mov_b32_e32 v26, 0
	ds_read_b64 v[26:27], v26 offset:28088
	ds_read_b64 v[28:29], v13
	s_waitcnt lgkmcnt(0)
	v_fma_f64 v[11:12], v[26:27], v[28:29], v[11:12]
.LBB46_822:
	s_or_b64 exec, exec, s[8:9]
	s_barrier
	s_and_saveexec_b64 s[8:9], s[36:37]
	s_cbranch_execz .LBB46_824
; %bb.823:
	v_mov_b32_e32 v26, 0
	ds_read_b64 v[26:27], v26 offset:28600
	s_waitcnt lgkmcnt(0)
	v_mul_f64 v[11:12], v[11:12], v[26:27]
	ds_write_b64 v13, v[11:12]
.LBB46_824:
	s_or_b64 exec, exec, s[8:9]
	s_waitcnt lgkmcnt(0)
	s_barrier
	s_barrier
	s_and_saveexec_b64 s[8:9], s[0:1]
; %bb.825:
	v_xor_b32_e32 v12, 0x80000000, v12
	ds_write_b64 v1, v[11:12] offset:27056
; %bb.826:
	s_or_b64 exec, exec, s[8:9]
	s_waitcnt lgkmcnt(0)
	s_barrier
	s_barrier
	s_and_saveexec_b64 s[8:9], vcc
	s_cbranch_execz .LBB46_828
; %bb.827:
	v_mov_b32_e32 v30, 0
	ds_read_b128 v[26:29], v30 offset:28080
	ds_read_b64 v[11:12], v30 offset:28600
	s_waitcnt lgkmcnt(0)
	v_mul_f64 v[11:12], v[26:27], v[11:12]
	v_mul_f64 v[11:12], v[28:29], v[11:12]
	ds_write_b64 v30, v[11:12] offset:28088
.LBB46_828:
	s_or_b64 exec, exec, s[8:9]
	v_mov_b32_e32 v11, 0
	v_mov_b32_e32 v12, 0
	s_waitcnt lgkmcnt(0)
	s_barrier
	s_and_saveexec_b64 s[10:11], s[14:15]
	s_cbranch_execz .LBB46_838
; %bb.829:
	v_mul_u32_u24_e32 v26, 0x208, v25
	ds_read_b64 v[11:12], v21 offset:25024
	ds_read_b64 v[27:28], v26 offset:24960
	v_cmp_gt_u32_e64 s[8:9], 56, v14
	s_waitcnt lgkmcnt(0)
	v_fma_f64 v[11:12], v[11:12], v[27:28], 0
	s_and_saveexec_b64 s[12:13], s[8:9]
	s_cbranch_execnz .LBB46_1078
; %bb.830:
	s_or_b64 exec, exec, s[12:13]
	v_cmp_gt_u32_e64 s[8:9], 48, v14
	s_and_saveexec_b64 s[12:13], s[8:9]
	s_cbranch_execnz .LBB46_1079
.LBB46_831:
	s_or_b64 exec, exec, s[12:13]
	v_cmp_gt_u32_e64 s[8:9], 40, v14
	s_and_saveexec_b64 s[12:13], s[8:9]
	s_cbranch_execnz .LBB46_1080
.LBB46_832:
	s_or_b64 exec, exec, s[12:13]
	v_cmp_gt_u32_e64 s[8:9], 32, v14
	s_and_saveexec_b64 s[12:13], s[8:9]
	s_cbranch_execnz .LBB46_1081
.LBB46_833:
	s_or_b64 exec, exec, s[12:13]
	v_cmp_gt_u32_e64 s[8:9], 24, v14
	s_and_saveexec_b64 s[12:13], s[8:9]
	s_cbranch_execnz .LBB46_1082
.LBB46_834:
	s_or_b64 exec, exec, s[12:13]
	v_cmp_gt_u32_e64 s[8:9], 16, v14
	s_and_saveexec_b64 s[12:13], s[8:9]
	s_cbranch_execnz .LBB46_1083
.LBB46_835:
	s_or_b64 exec, exec, s[12:13]
	v_cmp_gt_u32_e64 s[8:9], 8, v14
	s_and_saveexec_b64 s[12:13], s[8:9]
	s_cbranch_execz .LBB46_837
.LBB46_836:
	v_lshlrev_b32_e32 v24, 3, v0
	v_mov_b32_e32 v26, 0
	ds_read_b64 v[24:25], v24 offset:28608
	ds_read_b64 v[26:27], v26 offset:25016
	s_waitcnt lgkmcnt(0)
	v_fma_f64 v[11:12], v[24:25], v[26:27], v[11:12]
.LBB46_837:
	s_or_b64 exec, exec, s[12:13]
	v_xor_b32_e32 v12, 0x80000000, v12
.LBB46_838:
	s_or_b64 exec, exec, s[10:11]
	s_and_saveexec_b64 s[8:9], s[52:53]
	s_cbranch_execz .LBB46_840
; %bb.839:
	v_mov_b32_e32 v24, 0
	ds_read_b64 v[24:25], v24 offset:29120
	s_waitcnt lgkmcnt(0)
	v_mul_f64 v[11:12], v[11:12], v[24:25]
	ds_write_b64 v23, v[11:12]
.LBB46_840:
	s_or_b64 exec, exec, s[8:9]
	s_waitcnt lgkmcnt(0)
	s_barrier
	s_and_saveexec_b64 s[8:9], s[54:55]
	v_readlane_b32 s52, v41, 0
	s_cbranch_execz .LBB46_842
; %bb.841:
	ds_read_b64 v[24:25], v22 offset:29120
	ds_read_b64 v[26:27], v23
	s_waitcnt lgkmcnt(0)
	v_fma_f64 v[11:12], v[24:25], v[26:27], v[11:12]
.LBB46_842:
	s_or_b64 exec, exec, s[8:9]
	s_barrier
	s_and_saveexec_b64 s[8:9], s[56:57]
	s_cbranch_execz .LBB46_844
; %bb.843:
	v_mov_b32_e32 v24, 0
	ds_read_b64 v[24:25], v24 offset:29640
	s_waitcnt lgkmcnt(0)
	v_mul_f64 v[11:12], v[11:12], v[24:25]
	ds_write_b64 v23, v[11:12]
.LBB46_844:
	s_or_b64 exec, exec, s[8:9]
	s_waitcnt lgkmcnt(0)
	s_barrier
	s_and_saveexec_b64 s[8:9], s[58:59]
	s_cbranch_execz .LBB46_846
; %bb.845:
	ds_read_b64 v[24:25], v22 offset:29632
	ds_read_b64 v[26:27], v23
	s_waitcnt lgkmcnt(0)
	v_fma_f64 v[11:12], v[24:25], v[26:27], v[11:12]
.LBB46_846:
	s_or_b64 exec, exec, s[8:9]
	s_barrier
	s_and_saveexec_b64 s[8:9], s[60:61]
	s_cbranch_execz .LBB46_848
; %bb.847:
	v_mov_b32_e32 v24, 0
	ds_read_b64 v[24:25], v24 offset:30160
	s_waitcnt lgkmcnt(0)
	v_mul_f64 v[11:12], v[11:12], v[24:25]
	ds_write_b64 v23, v[11:12]
.LBB46_848:
	s_or_b64 exec, exec, s[8:9]
	s_waitcnt lgkmcnt(0)
	s_barrier
	s_and_saveexec_b64 s[8:9], s[64:65]
	;; [unrolled: 22-line block ×6, first 2 shown]
	s_cbranch_execz .LBB46_866
; %bb.865:
	v_mov_b32_e32 v22, 0
	ds_read_b64 v[24:25], v22 offset:32248
	ds_read_b64 v[26:27], v23
	s_waitcnt lgkmcnt(0)
	v_fma_f64 v[11:12], v[24:25], v[26:27], v[11:12]
.LBB46_866:
	s_or_b64 exec, exec, s[8:9]
	s_barrier
	s_and_saveexec_b64 s[8:9], s[62:63]
	s_cbranch_execz .LBB46_868
; %bb.867:
	v_mov_b32_e32 v22, 0
	ds_read_b64 v[24:25], v22 offset:32760
	s_waitcnt lgkmcnt(0)
	v_mul_f64 v[11:12], v[11:12], v[24:25]
	ds_write_b64 v23, v[11:12]
.LBB46_868:
	s_or_b64 exec, exec, s[8:9]
	s_waitcnt lgkmcnt(0)
	s_barrier
	s_barrier
	s_and_saveexec_b64 s[8:9], s[14:15]
; %bb.869:
	v_xor_b32_e32 v12, 0x80000000, v12
	ds_write_b64 v21, v[11:12] offset:25024
; %bb.870:
	s_or_b64 exec, exec, s[8:9]
	s_waitcnt lgkmcnt(0)
	s_barrier
	s_barrier
	s_and_saveexec_b64 s[8:9], vcc
	s_cbranch_execz .LBB46_872
; %bb.871:
	v_mov_b32_e32 v25, 0
	ds_read_b128 v[21:24], v25 offset:29120
	ds_read_b64 v[11:12], v25 offset:29640
	s_waitcnt lgkmcnt(0)
	v_mul_f64 v[11:12], v[21:22], v[11:12]
	v_mul_f64 v[11:12], v[23:24], v[11:12]
	ds_write_b64 v25, v[11:12] offset:29128
.LBB46_872:
	s_or_b64 exec, exec, s[8:9]
	v_mov_b32_e32 v11, 0
	v_mov_b32_e32 v12, 0
	s_waitcnt lgkmcnt(0)
	s_barrier
	s_and_saveexec_b64 s[10:11], s[0:1]
	s_cbranch_execz .LBB46_876
; %bb.873:
	v_mul_u32_u24_e32 v21, 0x208, v15
	ds_read_b64 v[11:12], v1 offset:29136
	ds_read_b64 v[21:22], v21 offset:29120
	v_cmp_gt_u32_e64 s[8:9], 2, v14
	s_waitcnt lgkmcnt(0)
	v_fma_f64 v[11:12], v[11:12], v[21:22], 0
	s_and_saveexec_b64 s[12:13], s[8:9]
	s_cbranch_execz .LBB46_875
; %bb.874:
	v_lshlrev_b32_e32 v21, 3, v0
	v_mov_b32_e32 v23, 0
	ds_read_b64 v[21:22], v21 offset:29648
	ds_read_b64 v[23:24], v23 offset:29128
	s_waitcnt lgkmcnt(0)
	v_fma_f64 v[11:12], v[21:22], v[23:24], v[11:12]
.LBB46_875:
	s_or_b64 exec, exec, s[12:13]
	v_xor_b32_e32 v12, 0x80000000, v12
.LBB46_876:
	s_or_b64 exec, exec, s[10:11]
	s_and_saveexec_b64 s[8:9], s[38:39]
	s_cbranch_execz .LBB46_878
; %bb.877:
	v_mov_b32_e32 v21, 0
	ds_read_b64 v[21:22], v21 offset:30160
	s_waitcnt lgkmcnt(0)
	v_mul_f64 v[11:12], v[11:12], v[21:22]
	ds_write_b64 v13, v[11:12]
.LBB46_878:
	s_or_b64 exec, exec, s[8:9]
	s_waitcnt lgkmcnt(0)
	s_barrier
	s_and_saveexec_b64 s[8:9], s[36:37]
	s_cbranch_execz .LBB46_880
; %bb.879:
	v_mov_b32_e32 v21, 0
	ds_read_b64 v[21:22], v21 offset:30168
	ds_read_b64 v[23:24], v13
	s_waitcnt lgkmcnt(0)
	v_fma_f64 v[11:12], v[21:22], v[23:24], v[11:12]
.LBB46_880:
	s_or_b64 exec, exec, s[8:9]
	s_barrier
	s_and_saveexec_b64 s[8:9], s[36:37]
	s_cbranch_execz .LBB46_882
; %bb.881:
	v_mov_b32_e32 v21, 0
	ds_read_b64 v[21:22], v21 offset:30680
	s_waitcnt lgkmcnt(0)
	v_mul_f64 v[11:12], v[11:12], v[21:22]
	ds_write_b64 v13, v[11:12]
.LBB46_882:
	s_or_b64 exec, exec, s[8:9]
	s_waitcnt lgkmcnt(0)
	s_barrier
	s_barrier
	s_and_saveexec_b64 s[8:9], s[0:1]
; %bb.883:
	v_xor_b32_e32 v12, 0x80000000, v12
	ds_write_b64 v1, v[11:12] offset:29136
; %bb.884:
	s_or_b64 exec, exec, s[8:9]
	s_waitcnt lgkmcnt(0)
	s_barrier
	s_barrier
	s_and_saveexec_b64 s[8:9], vcc
	s_cbranch_execz .LBB46_886
; %bb.885:
	v_mov_b32_e32 v25, 0
	ds_read_b128 v[21:24], v25 offset:30160
	ds_read_b64 v[11:12], v25 offset:30680
	s_waitcnt lgkmcnt(0)
	v_mul_f64 v[11:12], v[21:22], v[11:12]
	v_mul_f64 v[11:12], v[23:24], v[11:12]
	ds_write_b64 v25, v[11:12] offset:30168
.LBB46_886:
	s_or_b64 exec, exec, s[8:9]
	v_mov_b32_e32 v11, 0
	v_mov_b32_e32 v12, 0
	s_waitcnt lgkmcnt(0)
	s_barrier
	s_and_saveexec_b64 s[10:11], s[2:3]
	s_cbranch_execz .LBB46_892
; %bb.887:
	v_mul_u32_u24_e32 v21, 0x208, v20
	ds_read_b64 v[11:12], v16 offset:29152
	ds_read_b64 v[22:23], v21 offset:29120
	v_cmp_gt_u32_e64 s[8:9], 12, v14
	s_waitcnt lgkmcnt(0)
	v_fma_f64 v[11:12], v[11:12], v[22:23], 0
	s_and_saveexec_b64 s[12:13], s[8:9]
	s_cbranch_execnz .LBB46_1084
; %bb.888:
	s_or_b64 exec, exec, s[12:13]
	v_cmp_gt_u32_e64 s[8:9], 8, v14
	s_and_saveexec_b64 s[12:13], s[8:9]
	s_cbranch_execnz .LBB46_1085
.LBB46_889:
	s_or_b64 exec, exec, s[12:13]
	v_cmp_gt_u32_e64 s[8:9], 4, v14
	s_and_saveexec_b64 s[12:13], s[8:9]
	s_cbranch_execz .LBB46_891
.LBB46_890:
	v_lshlrev_b32_e32 v19, 3, v0
	v_mov_b32_e32 v21, 0
	ds_read_b64 v[19:20], v19 offset:30688
	ds_read_b64 v[21:22], v21 offset:29144
	s_waitcnt lgkmcnt(0)
	v_fma_f64 v[11:12], v[19:20], v[21:22], v[11:12]
.LBB46_891:
	s_or_b64 exec, exec, s[12:13]
	v_xor_b32_e32 v12, 0x80000000, v12
.LBB46_892:
	s_or_b64 exec, exec, s[10:11]
	s_and_saveexec_b64 s[8:9], s[42:43]
	s_cbranch_execz .LBB46_894
; %bb.893:
	v_mov_b32_e32 v19, 0
	ds_read_b64 v[19:20], v19 offset:31200
	s_waitcnt lgkmcnt(0)
	v_mul_f64 v[11:12], v[11:12], v[19:20]
	ds_write_b64 v18, v[11:12]
.LBB46_894:
	s_or_b64 exec, exec, s[8:9]
	s_waitcnt lgkmcnt(0)
	s_barrier
	s_and_saveexec_b64 s[8:9], s[44:45]
	s_cbranch_execz .LBB46_896
; %bb.895:
	ds_read_b64 v[19:20], v17 offset:31200
	ds_read_b64 v[21:22], v18
	s_waitcnt lgkmcnt(0)
	v_fma_f64 v[11:12], v[19:20], v[21:22], v[11:12]
.LBB46_896:
	s_or_b64 exec, exec, s[8:9]
	s_barrier
	s_and_saveexec_b64 s[8:9], s[46:47]
	s_cbranch_execz .LBB46_898
; %bb.897:
	v_mov_b32_e32 v19, 0
	ds_read_b64 v[19:20], v19 offset:31720
	s_waitcnt lgkmcnt(0)
	v_mul_f64 v[11:12], v[11:12], v[19:20]
	ds_write_b64 v18, v[11:12]
.LBB46_898:
	s_or_b64 exec, exec, s[8:9]
	s_waitcnt lgkmcnt(0)
	s_barrier
	s_and_saveexec_b64 s[8:9], s[48:49]
	s_cbranch_execz .LBB46_900
; %bb.899:
	ds_read_b64 v[19:20], v17 offset:31712
	ds_read_b64 v[21:22], v18
	s_waitcnt lgkmcnt(0)
	v_fma_f64 v[11:12], v[19:20], v[21:22], v[11:12]
.LBB46_900:
	s_or_b64 exec, exec, s[8:9]
	s_barrier
	s_and_saveexec_b64 s[8:9], s[50:51]
	s_cbranch_execz .LBB46_902
; %bb.901:
	v_mov_b32_e32 v17, 0
	ds_read_b64 v[19:20], v17 offset:32240
	s_waitcnt lgkmcnt(0)
	v_mul_f64 v[11:12], v[11:12], v[19:20]
	ds_write_b64 v18, v[11:12]
.LBB46_902:
	s_or_b64 exec, exec, s[8:9]
	s_waitcnt lgkmcnt(0)
	s_barrier
	s_and_saveexec_b64 s[8:9], s[40:41]
	s_cbranch_execz .LBB46_904
; %bb.903:
	v_mov_b32_e32 v17, 0
	ds_read_b64 v[19:20], v17 offset:32248
	ds_read_b64 v[21:22], v18
	s_waitcnt lgkmcnt(0)
	v_fma_f64 v[11:12], v[19:20], v[21:22], v[11:12]
.LBB46_904:
	s_or_b64 exec, exec, s[8:9]
	s_barrier
	s_and_saveexec_b64 s[8:9], s[40:41]
	s_cbranch_execz .LBB46_906
; %bb.905:
	v_mov_b32_e32 v17, 0
	ds_read_b64 v[19:20], v17 offset:32760
	s_waitcnt lgkmcnt(0)
	v_mul_f64 v[11:12], v[11:12], v[19:20]
	ds_write_b64 v18, v[11:12]
.LBB46_906:
	s_or_b64 exec, exec, s[8:9]
	s_waitcnt lgkmcnt(0)
	s_barrier
	s_barrier
	s_and_saveexec_b64 s[8:9], s[2:3]
; %bb.907:
	v_xor_b32_e32 v12, 0x80000000, v12
	ds_write_b64 v16, v[11:12] offset:29152
; %bb.908:
	s_or_b64 exec, exec, s[8:9]
	s_waitcnt lgkmcnt(0)
	s_barrier
	s_barrier
	s_and_saveexec_b64 s[2:3], vcc
	s_cbranch_execz .LBB46_910
; %bb.909:
	v_mov_b32_e32 v20, 0
	ds_read_b128 v[16:19], v20 offset:31200
	ds_read_b64 v[11:12], v20 offset:31720
	s_waitcnt lgkmcnt(0)
	v_mul_f64 v[11:12], v[16:17], v[11:12]
	v_mul_f64 v[11:12], v[18:19], v[11:12]
	ds_write_b64 v20, v[11:12] offset:31208
.LBB46_910:
	s_or_b64 exec, exec, s[2:3]
	v_mov_b32_e32 v11, 0
	v_mov_b32_e32 v12, 0
	s_waitcnt lgkmcnt(0)
	s_barrier
	s_and_saveexec_b64 s[8:9], s[0:1]
	s_cbranch_execz .LBB46_914
; %bb.911:
	v_mul_u32_u24_e32 v15, 0x208, v15
	ds_read_b64 v[11:12], v1 offset:31216
	ds_read_b64 v[15:16], v15 offset:31200
	v_cmp_gt_u32_e64 s[2:3], 2, v14
	s_waitcnt lgkmcnt(0)
	v_fma_f64 v[11:12], v[11:12], v[15:16], 0
	s_and_saveexec_b64 s[10:11], s[2:3]
	s_cbranch_execz .LBB46_913
; %bb.912:
	v_lshlrev_b32_e32 v14, 3, v0
	v_mov_b32_e32 v16, 0
	ds_read_b64 v[14:15], v14 offset:31728
	ds_read_b64 v[16:17], v16 offset:31208
	s_waitcnt lgkmcnt(0)
	v_fma_f64 v[11:12], v[14:15], v[16:17], v[11:12]
.LBB46_913:
	s_or_b64 exec, exec, s[10:11]
	v_xor_b32_e32 v12, 0x80000000, v12
.LBB46_914:
	s_or_b64 exec, exec, s[8:9]
	s_and_saveexec_b64 s[2:3], s[38:39]
	s_cbranch_execz .LBB46_916
; %bb.915:
	v_mov_b32_e32 v14, 0
	ds_read_b64 v[14:15], v14 offset:32240
	s_waitcnt lgkmcnt(0)
	v_mul_f64 v[11:12], v[11:12], v[14:15]
	ds_write_b64 v13, v[11:12]
.LBB46_916:
	s_or_b64 exec, exec, s[2:3]
	s_waitcnt lgkmcnt(0)
	s_barrier
	s_and_saveexec_b64 s[2:3], s[36:37]
	s_cbranch_execz .LBB46_918
; %bb.917:
	v_mov_b32_e32 v14, 0
	ds_read_b64 v[14:15], v14 offset:32248
	ds_read_b64 v[16:17], v13
	s_waitcnt lgkmcnt(0)
	v_fma_f64 v[11:12], v[14:15], v[16:17], v[11:12]
.LBB46_918:
	s_or_b64 exec, exec, s[2:3]
	s_barrier
	s_and_saveexec_b64 s[2:3], s[36:37]
	s_cbranch_execz .LBB46_920
; %bb.919:
	v_mov_b32_e32 v14, 0
	ds_read_b64 v[14:15], v14 offset:32760
	s_waitcnt lgkmcnt(0)
	v_mul_f64 v[11:12], v[11:12], v[14:15]
	ds_write_b64 v13, v[11:12]
.LBB46_920:
	s_or_b64 exec, exec, s[2:3]
	s_waitcnt lgkmcnt(0)
	s_barrier
	s_barrier
	s_and_saveexec_b64 s[2:3], s[0:1]
; %bb.921:
	v_xor_b32_e32 v12, 0x80000000, v12
	ds_write_b64 v1, v[11:12] offset:31216
; %bb.922:
	s_or_b64 exec, exec, s[2:3]
	s_waitcnt lgkmcnt(0)
	s_barrier
	s_barrier
	s_and_saveexec_b64 s[0:1], vcc
	s_cbranch_execz .LBB46_924
; %bb.923:
	v_mov_b32_e32 v1, 0
	ds_read_b128 v[11:14], v1 offset:32240
	ds_read_b64 v[15:16], v1 offset:32760
	s_waitcnt lgkmcnt(0)
	v_mul_f64 v[11:12], v[11:12], v[15:16]
	v_mul_f64 v[11:12], v[13:14], v[11:12]
	ds_write_b64 v1, v[11:12] offset:32248
.LBB46_924:
	s_or_b64 exec, exec, s[0:1]
.LBB46_925:
	s_load_dwordx4 s[12:15], s[4:5], 0x48
	v_cmp_le_i32_e32 vcc, s82, v0
	v_mov_b32_e32 v11, 0
	v_mov_b32_e32 v12, 0
	v_add_u32_e32 v13, s33, v0
	s_waitcnt lgkmcnt(0)
	s_mul_i32 s1, s13, s34
	s_mul_hi_u32 s2, s12, s34
	s_mul_i32 s0, s12, s34
	s_add_i32 s1, s2, s1
	s_lshl_b64 s[0:1], s[0:1], 3
	s_add_u32 s2, s26, s0
	s_addc_u32 s3, s27, s1
	s_lshl_b64 s[0:1], s[28:29], 3
	s_add_u32 s36, s2, s0
	s_addc_u32 s37, s3, s1
	s_and_b64 s[12:13], vcc, s[18:19]
	v_cmp_eq_u32_e64 s[0:1], 0, v2
	s_xor_b64 s[2:3], s[12:13], -1
	s_and_b64 s[4:5], s[0:1], s[2:3]
	s_barrier
	s_and_saveexec_b64 s[2:3], s[4:5]
	s_cbranch_execz .LBB46_927
; %bb.926:
	v_ashrrev_i32_e32 v1, 31, v13
	v_mul_lo_u32 v14, s31, v13
	v_mad_u64_u32 v[11:12], s[4:5], s30, v13, 0
	v_mul_lo_u32 v1, s30, v1
	v_add3_u32 v12, v12, v1, v14
	v_lshlrev_b64 v[11:12], 3, v[11:12]
	v_mov_b32_e32 v1, s37
	v_add_co_u32_e32 v11, vcc, s36, v11
	v_addc_co_u32_e32 v12, vcc, v1, v12, vcc
	global_load_dwordx2 v[11:12], v[11:12], off
	s_waitcnt vmcnt(0)
	v_mul_f64 v[11:12], v[11:12], -s[24:25]
.LBB46_927:
	s_or_b64 exec, exec, s[2:3]
	s_and_b32 s2, 0xffff, s85
	v_mad_u32_u24 v19, v2, s2, v0
	v_mov_b32_e32 v14, 0
	s_cmp_lt_i32 s6, 1
	v_cmp_eq_u32_e64 s[2:3], 0, v19
	s_cbranch_scc1 .LBB46_953
; %bb.928:
	v_mov_b32_e32 v15, 0xa000
	v_lshl_add_u32 v1, v19, 3, v15
	v_lshl_or_b32 v20, v2, 3, v15
	v_lshlrev_b64 v[15:16], 3, v[13:14]
	s_lshl_b64 s[4:5], s[34:35], 2
	s_add_u32 s16, s14, s4
	v_cmp_gt_i32_e64 s[10:11], s7, v13
	v_mov_b32_e32 v17, s84
	v_add_co_u32_e32 v13, vcc, s83, v15
	s_mul_i32 s8, s21, 0x180
	s_mul_hi_u32 s9, s20, 0x180
	s_mov_b32 s38, 0
	s_addc_u32 s17, s15, s5
	v_cmp_gt_u32_e64 s[4:5], 64, v19
	s_add_i32 s39, s6, -1
	v_addc_co_u32_e32 v21, vcc, v17, v16, vcc
	s_lshl_b64 s[24:25], s[20:21], 7
	s_lshl_b64 s[26:27], s[20:21], 8
	s_add_i32 s40, s9, s8
	s_mul_i32 s41, s20, 0x180
	v_mov_b32_e32 v22, -1
	s_branch .LBB46_931
.LBB46_929:                             ;   in Loop: Header=BB46_931 Depth=1
	ds_read_b64 v[15:16], v20 offset:384
	s_waitcnt vmcnt(0) lgkmcnt(0)
	v_fma_f64 v[11:12], v[17:18], v[15:16], v[11:12]
.LBB46_930:                             ;   in Loop: Header=BB46_931 Depth=1
	s_or_b64 exec, exec, s[28:29]
	s_add_i32 s38, s38, 1
	s_cmp_eq_u32 s38, s6
	s_cbranch_scc1 .LBB46_953
.LBB46_931:                             ; =>This Loop Header: Depth=1
                                        ;     Child Loop BB46_933 Depth 2
	v_cmp_gt_i32_e32 vcc, s38, v22
	s_and_b64 s[28:29], s[2:3], vcc
	s_and_saveexec_b64 s[8:9], s[28:29]
	s_cbranch_execz .LBB46_934
; %bb.932:                              ;   in Loop: Header=BB46_931 Depth=1
	global_load_dword v22, v14, s[16:17]
	s_waitcnt vmcnt(0)
	v_cmp_le_i32_e32 vcc, s38, v22
	s_cbranch_vccnz .LBB46_934
.LBB46_933:                             ;   Parent Loop BB46_931 Depth=1
                                        ; =>  This Inner Loop Header: Depth=2
	buffer_wbinvl1_vol
	global_load_dword v22, v14, s[16:17]
	s_waitcnt vmcnt(0)
	v_cmp_gt_i32_e32 vcc, s38, v22
	s_cbranch_vccnz .LBB46_933
.LBB46_934:                             ;   in Loop: Header=BB46_931 Depth=1
	s_or_b64 exec, exec, s[8:9]
	s_lshl_b32 s42, s38, 6
	buffer_wbinvl1_vol
	s_barrier
	s_and_saveexec_b64 s[8:9], s[4:5]
	s_cbranch_execz .LBB46_938
; %bb.935:                              ;   in Loop: Header=BB46_931 Depth=1
	v_or_b32_e32 v17, s42, v19
	v_mov_b32_e32 v15, 0
	v_mov_b32_e32 v16, 0
	v_cmp_gt_i32_e32 vcc, s7, v17
	s_and_saveexec_b64 s[28:29], vcc
	s_cbranch_execz .LBB46_937
; %bb.936:                              ;   in Loop: Header=BB46_931 Depth=1
	v_mad_u64_u32 v[15:16], s[44:45], s30, v17, 0
	v_mad_u64_u32 v[16:17], s[44:45], s31, v17, v[16:17]
	v_mov_b32_e32 v17, s37
	v_lshlrev_b64 v[15:16], 3, v[15:16]
	v_add_co_u32_e32 v15, vcc, s36, v15
	v_addc_co_u32_e32 v16, vcc, v17, v16, vcc
	global_load_dwordx2 v[15:16], v[15:16], off
.LBB46_937:                             ;   in Loop: Header=BB46_931 Depth=1
	s_or_b64 exec, exec, s[28:29]
	s_waitcnt vmcnt(0)
	ds_write_b64 v1, v[15:16]
.LBB46_938:                             ;   in Loop: Header=BB46_931 Depth=1
	s_or_b64 exec, exec, s[8:9]
	v_add_u32_e32 v23, s42, v2
	v_mad_u64_u32 v[15:16], s[8:9], s20, v23, 0
	s_cmp_lg_u32 s38, s39
	s_waitcnt lgkmcnt(0)
	v_mad_u64_u32 v[16:17], s[8:9], s21, v23, v[16:17]
	s_cselect_b64 s[8:9], -1, 0
	v_cndmask_b32_e64 v17, 0, 1, s[8:9]
	v_lshlrev_b64 v[15:16], 3, v[15:16]
	v_cmp_ne_u32_e64 s[8:9], 1, v17
	v_add_co_u32_e32 v15, vcc, v13, v15
	v_addc_co_u32_e32 v16, vcc, v21, v16, vcc
	v_cmp_gt_i32_e32 vcc, s7, v23
	s_and_b64 s[42:43], s[10:11], vcc
	s_barrier
	s_and_saveexec_b64 s[28:29], s[42:43]
	s_cbranch_execz .LBB46_942
; %bb.939:                              ;   in Loop: Header=BB46_931 Depth=1
	v_mov_b32_e32 v18, v4
	s_and_b64 vcc, exec, s[8:9]
	v_mov_b32_e32 v17, v3
	s_cbranch_vccnz .LBB46_941
; %bb.940:                              ;   in Loop: Header=BB46_931 Depth=1
	global_load_dwordx2 v[17:18], v[15:16], off
.LBB46_941:                             ;   in Loop: Header=BB46_931 Depth=1
	ds_read_b64 v[24:25], v20
	s_waitcnt vmcnt(0) lgkmcnt(0)
	v_fma_f64 v[11:12], v[17:18], v[24:25], v[11:12]
.LBB46_942:                             ;   in Loop: Header=BB46_931 Depth=1
	s_or_b64 exec, exec, s[28:29]
	v_add_u32_e32 v17, 16, v23
	v_cmp_gt_i32_e32 vcc, s7, v17
	s_and_b64 s[42:43], s[10:11], vcc
	s_and_saveexec_b64 s[28:29], s[42:43]
	s_cbranch_execz .LBB46_946
; %bb.943:                              ;   in Loop: Header=BB46_931 Depth=1
	v_mov_b32_e32 v18, v6
	s_and_b64 vcc, exec, s[8:9]
	v_mov_b32_e32 v17, v5
	s_cbranch_vccnz .LBB46_945
; %bb.944:                              ;   in Loop: Header=BB46_931 Depth=1
	v_mov_b32_e32 v18, s25
	v_add_co_u32_e32 v17, vcc, s24, v15
	v_addc_co_u32_e32 v18, vcc, v16, v18, vcc
	global_load_dwordx2 v[17:18], v[17:18], off
.LBB46_945:                             ;   in Loop: Header=BB46_931 Depth=1
	ds_read_b64 v[24:25], v20 offset:128
	s_waitcnt vmcnt(0) lgkmcnt(0)
	v_fma_f64 v[11:12], v[17:18], v[24:25], v[11:12]
.LBB46_946:                             ;   in Loop: Header=BB46_931 Depth=1
	s_or_b64 exec, exec, s[28:29]
	v_add_u32_e32 v17, 32, v23
	v_cmp_gt_i32_e32 vcc, s7, v17
	s_and_b64 s[42:43], s[10:11], vcc
	s_and_saveexec_b64 s[28:29], s[42:43]
	s_cbranch_execz .LBB46_950
; %bb.947:                              ;   in Loop: Header=BB46_931 Depth=1
	v_mov_b32_e32 v18, v10
	s_and_b64 vcc, exec, s[8:9]
	v_mov_b32_e32 v17, v9
	s_cbranch_vccnz .LBB46_949
; %bb.948:                              ;   in Loop: Header=BB46_931 Depth=1
	v_mov_b32_e32 v18, s27
	v_add_co_u32_e32 v17, vcc, s26, v15
	v_addc_co_u32_e32 v18, vcc, v16, v18, vcc
	global_load_dwordx2 v[17:18], v[17:18], off
.LBB46_949:                             ;   in Loop: Header=BB46_931 Depth=1
	ds_read_b64 v[24:25], v20 offset:256
	s_waitcnt vmcnt(0) lgkmcnt(0)
	v_fma_f64 v[11:12], v[17:18], v[24:25], v[11:12]
.LBB46_950:                             ;   in Loop: Header=BB46_931 Depth=1
	s_or_b64 exec, exec, s[28:29]
	v_add_u32_e32 v17, 48, v23
	v_cmp_gt_i32_e32 vcc, s7, v17
	s_and_b64 s[42:43], s[10:11], vcc
	s_and_saveexec_b64 s[28:29], s[42:43]
	s_cbranch_execz .LBB46_930
; %bb.951:                              ;   in Loop: Header=BB46_931 Depth=1
	v_mov_b32_e32 v18, v8
	s_and_b64 vcc, exec, s[8:9]
	v_mov_b32_e32 v17, v7
	s_cbranch_vccnz .LBB46_929
; %bb.952:                              ;   in Loop: Header=BB46_931 Depth=1
	v_mov_b32_e32 v17, s40
	v_add_co_u32_e32 v15, vcc, s41, v15
	v_addc_co_u32_e32 v16, vcc, v16, v17, vcc
	global_load_dwordx2 v[17:18], v[15:16], off
	s_branch .LBB46_929
.LBB46_953:
	v_lshl_add_u32 v1, v2, 6, v0
	s_xor_b64 s[2:3], s[18:19], -1
	s_xor_b64 s[4:5], s[22:23], -1
	v_lshlrev_b32_e32 v1, 3, v1
	ds_write_b64 v1, v[11:12] offset:32768
	s_waitcnt lgkmcnt(0)
	s_barrier
	s_and_saveexec_b64 s[6:7], s[0:1]
	s_cbranch_execz .LBB46_955
; %bb.954:
	v_lshlrev_b32_e32 v15, 3, v0
	ds_read2st64_b64 v[3:6], v15 offset0:65 offset1:66
	ds_read_b64 v[13:14], v15 offset:40448
	s_waitcnt lgkmcnt(1)
	v_add_f64 v[3:4], v[11:12], v[3:4]
	v_add_f64 v[11:12], v[3:4], v[5:6]
	ds_read2st64_b64 v[3:6], v15 offset0:67 offset1:68
	ds_read2st64_b64 v[7:10], v15 offset0:69 offset1:70
	s_waitcnt lgkmcnt(1)
	v_add_f64 v[3:4], v[11:12], v[3:4]
	v_add_f64 v[3:4], v[3:4], v[5:6]
	s_waitcnt lgkmcnt(0)
	v_add_f64 v[3:4], v[3:4], v[7:8]
	v_add_f64 v[11:12], v[3:4], v[9:10]
	ds_read2st64_b64 v[3:6], v15 offset0:71 offset1:72
	ds_read2st64_b64 v[7:10], v15 offset0:73 offset1:74
	s_waitcnt lgkmcnt(1)
	v_add_f64 v[3:4], v[11:12], v[3:4]
	v_add_f64 v[3:4], v[3:4], v[5:6]
	;; [unrolled: 8-line block ×3, first 2 shown]
	s_waitcnt lgkmcnt(0)
	v_add_f64 v[3:4], v[3:4], v[7:8]
	v_add_f64 v[3:4], v[3:4], v[9:10]
	;; [unrolled: 1-line block ×3, first 2 shown]
	v_xor_b32_e32 v4, 0x80000000, v4
	v_cndmask_b32_e64 v12, v4, 0, s[12:13]
	v_cndmask_b32_e64 v11, v3, 0, s[12:13]
.LBB46_955:
	s_or_b64 exec, exec, s[6:7]
	s_andn2_b64 vcc, exec, s[4:5]
	s_cbranch_vccnz .LBB46_968
; %bb.956:
	v_mov_b32_e32 v3, 0xa000
	v_lshl_or_b32 v5, v2, 3, v3
	s_and_saveexec_b64 s[4:5], s[0:1]
; %bb.957:
	v_lshl_add_u32 v3, v0, 3, v5
	ds_write_b64 v3, v[11:12]
; %bb.958:
	s_or_b64 exec, exec, s[4:5]
	v_mov_b32_e32 v3, 0
	v_mov_b32_e32 v4, 0
	v_cmp_ge_u32_e32 vcc, v0, v2
	s_waitcnt lgkmcnt(0)
	s_barrier
	s_and_saveexec_b64 s[4:5], vcc
	s_cbranch_execz .LBB46_960
; %bb.959:
	ds_read_b64 v[3:4], v1
	ds_read_b64 v[6:7], v5
	s_waitcnt lgkmcnt(0)
	v_fma_f64 v[3:4], v[3:4], v[6:7], 0
.LBB46_960:
	s_or_b64 exec, exec, s[4:5]
	v_add_u32_e32 v6, 16, v2
	v_cmp_ge_u32_e32 vcc, v0, v6
	s_and_saveexec_b64 s[4:5], vcc
	s_cbranch_execz .LBB46_962
; %bb.961:
	ds_read_b64 v[6:7], v1 offset:8192
	ds_read_b64 v[8:9], v5 offset:128
	s_waitcnt lgkmcnt(0)
	v_fma_f64 v[3:4], v[6:7], v[8:9], v[3:4]
.LBB46_962:
	s_or_b64 exec, exec, s[4:5]
	v_add_u32_e32 v6, 32, v2
	v_cmp_ge_u32_e32 vcc, v0, v6
	s_and_saveexec_b64 s[4:5], vcc
	s_cbranch_execz .LBB46_964
; %bb.963:
	ds_read_b64 v[6:7], v1 offset:16384
	ds_read_b64 v[8:9], v5 offset:256
	s_waitcnt lgkmcnt(0)
	v_fma_f64 v[3:4], v[6:7], v[8:9], v[3:4]
.LBB46_964:
	s_or_b64 exec, exec, s[4:5]
	v_add_u32_e32 v2, 48, v2
	v_add_u32_e32 v6, 0x8000, v1
	v_cmp_ge_u32_e32 vcc, v0, v2
	s_and_saveexec_b64 s[4:5], vcc
	s_cbranch_execz .LBB46_966
; %bb.965:
	ds_read_b64 v[1:2], v1 offset:24576
	ds_read_b64 v[7:8], v5 offset:384
	s_waitcnt lgkmcnt(0)
	v_fma_f64 v[3:4], v[1:2], v[7:8], v[3:4]
.LBB46_966:
	s_or_b64 exec, exec, s[4:5]
	s_mov_b64 s[6:7], 0
	s_mov_b64 s[4:5], 0
	ds_write_b64 v6, v[3:4]
	s_waitcnt lgkmcnt(0)
	s_barrier
                                        ; implicit-def: $vgpr5_vgpr6
                                        ; implicit-def: $vgpr1_vgpr2
	s_and_saveexec_b64 s[8:9], s[0:1]
	s_cbranch_execz .LBB46_1025
; %bb.967:
	v_lshlrev_b32_e32 v15, 3, v0
	ds_read2st64_b64 v[5:8], v15 offset0:65 offset1:66
	ds_read_b64 v[9:10], v15 offset:40448
	s_mov_b64 s[4:5], exec
	s_waitcnt lgkmcnt(1)
	v_add_f64 v[1:2], v[3:4], v[5:6]
	v_add_f64 v[13:14], v[7:8], v[1:2]
	ds_read2st64_b64 v[1:4], v15 offset0:67 offset1:68
	ds_read2st64_b64 v[5:8], v15 offset0:69 offset1:70
	s_waitcnt lgkmcnt(1)
	v_add_f64 v[1:2], v[1:2], v[13:14]
	v_add_f64 v[1:2], v[3:4], v[1:2]
	s_waitcnt lgkmcnt(0)
	v_add_f64 v[1:2], v[5:6], v[1:2]
	v_add_f64 v[13:14], v[7:8], v[1:2]
	ds_read2st64_b64 v[1:4], v15 offset0:71 offset1:72
	ds_read2st64_b64 v[5:8], v15 offset0:73 offset1:74
	s_waitcnt lgkmcnt(1)
	v_add_f64 v[1:2], v[1:2], v[13:14]
	v_add_f64 v[1:2], v[3:4], v[1:2]
	;; [unrolled: 8-line block ×3, first 2 shown]
	s_waitcnt lgkmcnt(0)
	v_add_f64 v[1:2], v[5:6], v[1:2]
	v_add_f64 v[3:4], v[7:8], v[1:2]
	v_add_u32_e32 v7, s33, v19
	v_mad_u64_u32 v[1:2], s[10:11], s30, v7, 0
	v_add_f64 v[5:6], v[9:10], v[3:4]
	v_mad_u64_u32 v[2:3], s[10:11], s31, v7, v[2:3]
	s_or_b64 exec, exec, s[8:9]
	s_and_b64 vcc, exec, s[6:7]
	s_cbranch_vccnz .LBB46_969
	s_branch .LBB46_1026
.LBB46_968:
	s_mov_b64 s[4:5], 0
                                        ; implicit-def: $vgpr5_vgpr6
                                        ; implicit-def: $vgpr1_vgpr2
	s_cbranch_execz .LBB46_1026
.LBB46_969:
	v_mul_u32_u24_e32 v1, 0x208, v0
	v_lshlrev_b32_e32 v2, 9, v0
	v_sub_u32_e32 v2, v1, v2
	s_mov_b32 s8, 0
	v_mov_b32_e32 v3, 0
	v_mov_b32_e32 v4, v0
	s_branch .LBB46_971
.LBB46_970:                             ;   in Loop: Header=BB46_971 Depth=1
	s_or_b64 exec, exec, s[6:7]
	s_add_i32 s8, s8, 4
	v_add_u32_e32 v2, 0x800, v2
	s_cmp_lg_u32 s8, 64
	v_add_u32_e32 v4, -4, v4
	s_barrier
	s_cbranch_scc0 .LBB46_987
.LBB46_971:                             ; =>This Inner Loop Header: Depth=1
	v_cmp_eq_u32_e32 vcc, 0, v4
	s_and_b64 s[10:11], s[0:1], vcc
	s_and_saveexec_b64 s[6:7], s[10:11]
	s_cbranch_execz .LBB46_973
; %bb.972:                              ;   in Loop: Header=BB46_971 Depth=1
	ds_read_b64 v[5:6], v1
	s_waitcnt lgkmcnt(0)
	v_mul_f64 v[11:12], v[11:12], v[5:6]
	ds_write_b64 v3, v[11:12] offset:41472
.LBB46_973:                             ;   in Loop: Header=BB46_971 Depth=1
	s_or_b64 exec, exec, s[6:7]
	v_cmp_lt_u32_e32 vcc, s8, v0
	s_and_b64 s[10:11], s[0:1], vcc
	s_waitcnt lgkmcnt(0)
	s_barrier
	s_and_saveexec_b64 s[6:7], s[10:11]
	s_cbranch_execz .LBB46_975
; %bb.974:                              ;   in Loop: Header=BB46_971 Depth=1
	ds_read_b64 v[5:6], v2
	ds_read_b64 v[7:8], v3 offset:41472
	s_waitcnt lgkmcnt(0)
	v_fma_f64 v[11:12], v[5:6], v[7:8], v[11:12]
.LBB46_975:                             ;   in Loop: Header=BB46_971 Depth=1
	s_or_b64 exec, exec, s[6:7]
	s_or_b32 s9, s8, 1
	v_cmp_eq_u32_e32 vcc, s9, v0
	s_and_b64 s[10:11], s[0:1], vcc
	s_barrier
	s_and_saveexec_b64 s[6:7], s[10:11]
	s_cbranch_execz .LBB46_977
; %bb.976:                              ;   in Loop: Header=BB46_971 Depth=1
	ds_read_b64 v[5:6], v1
	s_waitcnt lgkmcnt(0)
	v_mul_f64 v[11:12], v[11:12], v[5:6]
	ds_write_b64 v3, v[11:12] offset:41472
.LBB46_977:                             ;   in Loop: Header=BB46_971 Depth=1
	s_or_b64 exec, exec, s[6:7]
	v_cmp_lt_u32_e32 vcc, s9, v0
	s_and_b64 s[10:11], s[0:1], vcc
	s_waitcnt lgkmcnt(0)
	s_barrier
	s_and_saveexec_b64 s[6:7], s[10:11]
	s_cbranch_execz .LBB46_979
; %bb.978:                              ;   in Loop: Header=BB46_971 Depth=1
	ds_read_b64 v[5:6], v2 offset:512
	ds_read_b64 v[7:8], v3 offset:41472
	s_waitcnt lgkmcnt(0)
	v_fma_f64 v[11:12], v[5:6], v[7:8], v[11:12]
.LBB46_979:                             ;   in Loop: Header=BB46_971 Depth=1
	s_or_b64 exec, exec, s[6:7]
	s_or_b32 s9, s8, 2
	v_cmp_eq_u32_e32 vcc, s9, v0
	s_and_b64 s[10:11], s[0:1], vcc
	s_barrier
	s_and_saveexec_b64 s[6:7], s[10:11]
	s_cbranch_execz .LBB46_981
; %bb.980:                              ;   in Loop: Header=BB46_971 Depth=1
	ds_read_b64 v[5:6], v1
	s_waitcnt lgkmcnt(0)
	v_mul_f64 v[11:12], v[11:12], v[5:6]
	ds_write_b64 v3, v[11:12] offset:41472
.LBB46_981:                             ;   in Loop: Header=BB46_971 Depth=1
	s_or_b64 exec, exec, s[6:7]
	v_cmp_lt_u32_e32 vcc, s9, v0
	s_and_b64 s[10:11], s[0:1], vcc
	s_waitcnt lgkmcnt(0)
	s_barrier
	s_and_saveexec_b64 s[6:7], s[10:11]
	s_cbranch_execz .LBB46_983
; %bb.982:                              ;   in Loop: Header=BB46_971 Depth=1
	ds_read_b64 v[5:6], v2 offset:1024
	ds_read_b64 v[7:8], v3 offset:41472
	s_waitcnt lgkmcnt(0)
	v_fma_f64 v[11:12], v[5:6], v[7:8], v[11:12]
.LBB46_983:                             ;   in Loop: Header=BB46_971 Depth=1
	s_or_b64 exec, exec, s[6:7]
	s_or_b32 s9, s8, 3
	v_cmp_eq_u32_e32 vcc, s9, v0
	s_and_b64 s[10:11], s[0:1], vcc
	s_barrier
	s_and_saveexec_b64 s[6:7], s[10:11]
	s_cbranch_execz .LBB46_985
; %bb.984:                              ;   in Loop: Header=BB46_971 Depth=1
	ds_read_b64 v[5:6], v1
	s_waitcnt lgkmcnt(0)
	v_mul_f64 v[11:12], v[11:12], v[5:6]
	ds_write_b64 v3, v[11:12] offset:41472
.LBB46_985:                             ;   in Loop: Header=BB46_971 Depth=1
	s_or_b64 exec, exec, s[6:7]
	v_cmp_lt_u32_e32 vcc, s9, v0
	s_and_b64 s[10:11], s[0:1], vcc
	s_waitcnt lgkmcnt(0)
	s_barrier
	s_and_saveexec_b64 s[6:7], s[10:11]
	s_cbranch_execz .LBB46_970
; %bb.986:                              ;   in Loop: Header=BB46_971 Depth=1
	ds_read_b64 v[5:6], v2 offset:1536
	ds_read_b64 v[7:8], v3 offset:41472
	s_waitcnt lgkmcnt(0)
	v_fma_f64 v[11:12], v[5:6], v[7:8], v[11:12]
	s_branch .LBB46_970
.LBB46_987:
	s_and_b64 vcc, exec, s[2:3]
	s_cbranch_vccz .LBB46_1027
; %bb.988:
	s_and_b64 s[2:3], s[0:1], exec
	s_cbranch_execz .LBB46_1028
	s_branch .LBB46_1029
.LBB46_989:
	v_cmp_ne_u32_e32 vcc, v0, v2
	s_and_saveexec_b64 s[8:9], vcc
	s_xor_b64 s[8:9], exec, s[8:9]
; %bb.990:
	v_or_b32_e32 v1, v2, v0
	v_cmp_gt_u32_e32 vcc, 64, v1
	s_and_b64 s[2:3], vcc, exec
                                        ; implicit-def: $vgpr15_vgpr16
; %bb.991:
	s_or_saveexec_b64 s[8:9], s[8:9]
	v_mov_b32_e32 v13, 0
	v_mov_b32_e32 v14, 0
	s_xor_b64 exec, exec, s[8:9]
	s_cbranch_execz .LBB46_993
; %bb.992:
	v_lshlrev_b64 v[13:14], 3, v[15:16]
	v_mov_b32_e32 v1, s84
	v_add_co_u32_e32 v13, vcc, s83, v13
	v_addc_co_u32_e32 v14, vcc, v1, v14, vcc
	global_load_dwordx2 v[13:14], v[13:14], off
	s_or_b64 s[2:3], s[2:3], exec
	s_waitcnt vmcnt(0)
	v_div_scale_f64 v[15:16], s[10:11], v[13:14], v[13:14], 1.0
	v_div_scale_f64 v[21:22], vcc, 1.0, v[13:14], 1.0
	v_rcp_f64_e32 v[17:18], v[15:16]
	v_fma_f64 v[19:20], -v[15:16], v[17:18], 1.0
	v_fma_f64 v[17:18], v[17:18], v[19:20], v[17:18]
	v_fma_f64 v[19:20], -v[15:16], v[17:18], 1.0
	v_fma_f64 v[17:18], v[17:18], v[19:20], v[17:18]
	v_mul_f64 v[19:20], v[21:22], v[17:18]
	v_fma_f64 v[15:16], -v[15:16], v[19:20], v[21:22]
	v_div_fmas_f64 v[15:16], v[15:16], v[17:18], v[19:20]
	v_div_fixup_f64 v[13:14], v[15:16], v[13:14], 1.0
.LBB46_993:
	s_or_b64 exec, exec, s[8:9]
	s_and_b64 s[2:3], s[2:3], exec
                                        ; implicit-def: $vgpr15_vgpr16
	s_andn2_saveexec_b64 s[0:1], s[0:1]
	s_cbranch_execz .LBB46_14
.LBB46_994:
	v_lshlrev_b64 v[13:14], 3, v[15:16]
	v_mov_b32_e32 v1, s84
	v_add_co_u32_e32 v13, vcc, s83, v13
	v_addc_co_u32_e32 v14, vcc, v1, v14, vcc
	global_load_dwordx2 v[13:14], v[13:14], off
	s_or_b64 s[2:3], s[2:3], exec
	s_waitcnt vmcnt(0)
	v_xor_b32_e32 v14, 0x80000000, v14
	s_or_b64 exec, exec, s[0:1]
	s_and_saveexec_b64 s[0:1], s[2:3]
	s_cbranch_execnz .LBB46_15
	s_branch .LBB46_16
.LBB46_995:
	v_cmp_ne_u32_e32 vcc, v0, v1
	s_and_saveexec_b64 s[8:9], vcc
	s_xor_b64 s[8:9], exec, s[8:9]
; %bb.996:
	v_or_b32_e32 v13, v1, v0
	v_cmp_gt_u32_e32 vcc, 64, v13
	s_and_b64 s[2:3], vcc, exec
                                        ; implicit-def: $vgpr15_vgpr16
; %bb.997:
	s_or_saveexec_b64 s[8:9], s[8:9]
	v_mov_b32_e32 v13, 0
	v_mov_b32_e32 v14, 0
	s_xor_b64 exec, exec, s[8:9]
	s_cbranch_execz .LBB46_999
; %bb.998:
	v_lshlrev_b64 v[13:14], 3, v[15:16]
	v_mov_b32_e32 v15, s84
	v_add_co_u32_e32 v13, vcc, s83, v13
	v_addc_co_u32_e32 v14, vcc, v15, v14, vcc
	global_load_dwordx2 v[13:14], v[13:14], off
	s_or_b64 s[2:3], s[2:3], exec
	s_waitcnt vmcnt(0)
	v_div_scale_f64 v[15:16], s[10:11], v[13:14], v[13:14], 1.0
	v_div_scale_f64 v[21:22], vcc, 1.0, v[13:14], 1.0
	v_rcp_f64_e32 v[17:18], v[15:16]
	v_fma_f64 v[19:20], -v[15:16], v[17:18], 1.0
	v_fma_f64 v[17:18], v[17:18], v[19:20], v[17:18]
	v_fma_f64 v[19:20], -v[15:16], v[17:18], 1.0
	v_fma_f64 v[17:18], v[17:18], v[19:20], v[17:18]
	v_mul_f64 v[19:20], v[21:22], v[17:18]
	v_fma_f64 v[15:16], -v[15:16], v[19:20], v[21:22]
	v_div_fmas_f64 v[15:16], v[15:16], v[17:18], v[19:20]
	v_div_fixup_f64 v[13:14], v[15:16], v[13:14], 1.0
.LBB46_999:
	s_or_b64 exec, exec, s[8:9]
	s_and_b64 s[2:3], s[2:3], exec
                                        ; implicit-def: $vgpr15_vgpr16
	s_andn2_saveexec_b64 s[0:1], s[0:1]
	s_cbranch_execz .LBB46_18
.LBB46_1000:
	v_lshlrev_b64 v[13:14], 3, v[15:16]
	v_mov_b32_e32 v15, s84
	v_add_co_u32_e32 v13, vcc, s83, v13
	v_addc_co_u32_e32 v14, vcc, v15, v14, vcc
	global_load_dwordx2 v[13:14], v[13:14], off
	s_or_b64 s[2:3], s[2:3], exec
	s_waitcnt vmcnt(0)
	v_xor_b32_e32 v14, 0x80000000, v14
	s_or_b64 exec, exec, s[0:1]
	s_and_saveexec_b64 s[0:1], s[2:3]
	s_cbranch_execnz .LBB46_19
	s_branch .LBB46_20
.LBB46_1001:
	v_cmp_ne_u32_e32 vcc, v0, v1
	s_and_saveexec_b64 s[8:9], vcc
	s_xor_b64 s[8:9], exec, s[8:9]
; %bb.1002:
	v_or_b32_e32 v13, v1, v0
	v_cmp_gt_u32_e32 vcc, 64, v13
	s_and_b64 s[2:3], vcc, exec
                                        ; implicit-def: $vgpr15_vgpr16
; %bb.1003:
	s_or_saveexec_b64 s[8:9], s[8:9]
	v_mov_b32_e32 v13, 0
	v_mov_b32_e32 v14, 0
	s_xor_b64 exec, exec, s[8:9]
	s_cbranch_execz .LBB46_1005
; %bb.1004:
	v_lshlrev_b64 v[13:14], 3, v[15:16]
	v_mov_b32_e32 v15, s84
	v_add_co_u32_e32 v13, vcc, s83, v13
	v_addc_co_u32_e32 v14, vcc, v15, v14, vcc
	global_load_dwordx2 v[13:14], v[13:14], off
	s_or_b64 s[2:3], s[2:3], exec
	s_waitcnt vmcnt(0)
	v_div_scale_f64 v[15:16], s[10:11], v[13:14], v[13:14], 1.0
	v_div_scale_f64 v[21:22], vcc, 1.0, v[13:14], 1.0
	v_rcp_f64_e32 v[17:18], v[15:16]
	v_fma_f64 v[19:20], -v[15:16], v[17:18], 1.0
	v_fma_f64 v[17:18], v[17:18], v[19:20], v[17:18]
	v_fma_f64 v[19:20], -v[15:16], v[17:18], 1.0
	v_fma_f64 v[17:18], v[17:18], v[19:20], v[17:18]
	v_mul_f64 v[19:20], v[21:22], v[17:18]
	v_fma_f64 v[15:16], -v[15:16], v[19:20], v[21:22]
	v_div_fmas_f64 v[15:16], v[15:16], v[17:18], v[19:20]
	v_div_fixup_f64 v[13:14], v[15:16], v[13:14], 1.0
.LBB46_1005:
	s_or_b64 exec, exec, s[8:9]
	s_and_b64 s[2:3], s[2:3], exec
                                        ; implicit-def: $vgpr15_vgpr16
	s_andn2_saveexec_b64 s[0:1], s[0:1]
	s_cbranch_execz .LBB46_22
.LBB46_1006:
	v_lshlrev_b64 v[13:14], 3, v[15:16]
	v_mov_b32_e32 v15, s84
	v_add_co_u32_e32 v13, vcc, s83, v13
	v_addc_co_u32_e32 v14, vcc, v15, v14, vcc
	global_load_dwordx2 v[13:14], v[13:14], off
	s_or_b64 s[2:3], s[2:3], exec
	s_waitcnt vmcnt(0)
	v_xor_b32_e32 v14, 0x80000000, v14
	s_or_b64 exec, exec, s[0:1]
	s_and_saveexec_b64 s[0:1], s[2:3]
	s_cbranch_execnz .LBB46_23
	s_branch .LBB46_24
.LBB46_1007:
	v_cmp_ne_u32_e32 vcc, v0, v2
	s_xor_b64 s[10:11], s[0:1], -1
	s_or_b64 s[12:13], s[10:11], vcc
	s_mov_b64 s[10:11], 0
	s_and_saveexec_b64 s[14:15], s[12:13]
	s_xor_b64 s[12:13], exec, s[14:15]
; %bb.1008:
	v_or_b32_e32 v1, v2, v0
	v_cmp_gt_u32_e32 vcc, 64, v1
	s_and_b64 s[10:11], vcc, exec
                                        ; implicit-def: $vgpr13_vgpr14
; %bb.1009:
	s_or_saveexec_b64 s[12:13], s[12:13]
	v_mov_b32_e32 v15, 0
	v_mov_b32_e32 v16, 0
	s_xor_b64 exec, exec, s[12:13]
	s_cbranch_execz .LBB46_1011
; %bb.1010:
	v_lshlrev_b64 v[13:14], 3, v[13:14]
	v_mov_b32_e32 v1, s84
	v_add_co_u32_e32 v13, vcc, s83, v13
	v_addc_co_u32_e32 v14, vcc, v1, v14, vcc
	global_load_dwordx2 v[13:14], v[13:14], off
	s_or_b64 s[10:11], s[10:11], exec
	s_waitcnt vmcnt(0)
	v_div_scale_f64 v[15:16], s[14:15], v[13:14], v[13:14], 1.0
	v_div_scale_f64 v[21:22], vcc, 1.0, v[13:14], 1.0
	v_rcp_f64_e32 v[17:18], v[15:16]
	v_fma_f64 v[19:20], -v[15:16], v[17:18], 1.0
	v_fma_f64 v[17:18], v[17:18], v[19:20], v[17:18]
	v_fma_f64 v[19:20], -v[15:16], v[17:18], 1.0
	v_fma_f64 v[17:18], v[17:18], v[19:20], v[17:18]
	v_mul_f64 v[19:20], v[21:22], v[17:18]
	v_fma_f64 v[15:16], -v[15:16], v[19:20], v[21:22]
	v_div_fmas_f64 v[15:16], v[15:16], v[17:18], v[19:20]
	v_div_fixup_f64 v[15:16], v[15:16], v[13:14], 1.0
.LBB46_1011:
	s_or_b64 exec, exec, s[12:13]
	s_and_b64 s[10:11], s[10:11], exec
                                        ; implicit-def: $vgpr13_vgpr14
	s_andn2_saveexec_b64 s[2:3], s[2:3]
	s_cbranch_execz .LBB46_36
.LBB46_1012:
	v_lshlrev_b64 v[13:14], 3, v[13:14]
	v_mov_b32_e32 v1, s84
	v_add_co_u32_e32 v13, vcc, s83, v13
	v_addc_co_u32_e32 v14, vcc, v1, v14, vcc
	global_load_dwordx2 v[15:16], v[13:14], off
	s_or_b64 s[10:11], s[10:11], exec
	s_waitcnt vmcnt(0)
	v_xor_b32_e32 v16, 0x80000000, v16
	s_or_b64 exec, exec, s[2:3]
	s_and_saveexec_b64 s[2:3], s[10:11]
	s_cbranch_execnz .LBB46_37
	s_branch .LBB46_38
.LBB46_1013:
	v_cmp_ne_u32_e32 vcc, v0, v1
	s_xor_b64 s[10:11], s[0:1], -1
	s_or_b64 s[12:13], s[10:11], vcc
	s_mov_b64 s[10:11], 0
	s_and_saveexec_b64 s[14:15], s[12:13]
	s_xor_b64 s[12:13], exec, s[14:15]
; %bb.1014:
	v_or_b32_e32 v13, v1, v0
	v_cmp_gt_u32_e32 vcc, 64, v13
	s_and_b64 s[10:11], vcc, exec
                                        ; implicit-def: $vgpr13_vgpr14
; %bb.1015:
	s_or_saveexec_b64 s[12:13], s[12:13]
	v_mov_b32_e32 v15, 0
	v_mov_b32_e32 v16, 0
	s_xor_b64 exec, exec, s[12:13]
	s_cbranch_execz .LBB46_1017
; %bb.1016:
	v_lshlrev_b64 v[13:14], 3, v[13:14]
	v_mov_b32_e32 v15, s84
	v_add_co_u32_e32 v13, vcc, s83, v13
	v_addc_co_u32_e32 v14, vcc, v15, v14, vcc
	global_load_dwordx2 v[13:14], v[13:14], off
	s_or_b64 s[10:11], s[10:11], exec
	s_waitcnt vmcnt(0)
	v_div_scale_f64 v[15:16], s[14:15], v[13:14], v[13:14], 1.0
	v_div_scale_f64 v[21:22], vcc, 1.0, v[13:14], 1.0
	v_rcp_f64_e32 v[17:18], v[15:16]
	v_fma_f64 v[19:20], -v[15:16], v[17:18], 1.0
	v_fma_f64 v[17:18], v[17:18], v[19:20], v[17:18]
	v_fma_f64 v[19:20], -v[15:16], v[17:18], 1.0
	v_fma_f64 v[17:18], v[17:18], v[19:20], v[17:18]
	v_mul_f64 v[19:20], v[21:22], v[17:18]
	v_fma_f64 v[15:16], -v[15:16], v[19:20], v[21:22]
	v_div_fmas_f64 v[15:16], v[15:16], v[17:18], v[19:20]
	v_div_fixup_f64 v[15:16], v[15:16], v[13:14], 1.0
.LBB46_1017:
	s_or_b64 exec, exec, s[12:13]
	s_and_b64 s[10:11], s[10:11], exec
                                        ; implicit-def: $vgpr13_vgpr14
	s_andn2_saveexec_b64 s[2:3], s[2:3]
	s_cbranch_execz .LBB46_40
.LBB46_1018:
	v_lshlrev_b64 v[13:14], 3, v[13:14]
	v_mov_b32_e32 v15, s84
	v_add_co_u32_e32 v13, vcc, s83, v13
	v_addc_co_u32_e32 v14, vcc, v15, v14, vcc
	global_load_dwordx2 v[15:16], v[13:14], off
	s_or_b64 s[10:11], s[10:11], exec
	s_waitcnt vmcnt(0)
	v_xor_b32_e32 v16, 0x80000000, v16
	s_or_b64 exec, exec, s[2:3]
	s_and_saveexec_b64 s[2:3], s[10:11]
	s_cbranch_execnz .LBB46_41
	s_branch .LBB46_42
.LBB46_1019:
	v_cmp_ne_u32_e32 vcc, v0, v1
	s_xor_b64 s[10:11], s[0:1], -1
	s_or_b64 s[12:13], s[10:11], vcc
	s_mov_b64 s[10:11], 0
	s_and_saveexec_b64 s[14:15], s[12:13]
	s_xor_b64 s[12:13], exec, s[14:15]
; %bb.1020:
	v_or_b32_e32 v13, v1, v0
	v_cmp_gt_u32_e32 vcc, 64, v13
	s_and_b64 s[10:11], vcc, exec
                                        ; implicit-def: $vgpr13_vgpr14
; %bb.1021:
	s_or_saveexec_b64 s[12:13], s[12:13]
	v_mov_b32_e32 v15, 0
	v_mov_b32_e32 v16, 0
	s_xor_b64 exec, exec, s[12:13]
	s_cbranch_execz .LBB46_1023
; %bb.1022:
	v_lshlrev_b64 v[13:14], 3, v[13:14]
	v_mov_b32_e32 v15, s84
	v_add_co_u32_e32 v13, vcc, s83, v13
	v_addc_co_u32_e32 v14, vcc, v15, v14, vcc
	global_load_dwordx2 v[13:14], v[13:14], off
	s_or_b64 s[10:11], s[10:11], exec
	s_waitcnt vmcnt(0)
	v_div_scale_f64 v[15:16], s[14:15], v[13:14], v[13:14], 1.0
	v_div_scale_f64 v[21:22], vcc, 1.0, v[13:14], 1.0
	v_rcp_f64_e32 v[17:18], v[15:16]
	v_fma_f64 v[19:20], -v[15:16], v[17:18], 1.0
	v_fma_f64 v[17:18], v[17:18], v[19:20], v[17:18]
	v_fma_f64 v[19:20], -v[15:16], v[17:18], 1.0
	v_fma_f64 v[17:18], v[17:18], v[19:20], v[17:18]
	v_mul_f64 v[19:20], v[21:22], v[17:18]
	v_fma_f64 v[15:16], -v[15:16], v[19:20], v[21:22]
	v_div_fmas_f64 v[15:16], v[15:16], v[17:18], v[19:20]
	v_div_fixup_f64 v[15:16], v[15:16], v[13:14], 1.0
.LBB46_1023:
	s_or_b64 exec, exec, s[12:13]
	s_and_b64 s[10:11], s[10:11], exec
                                        ; implicit-def: $vgpr13_vgpr14
	s_andn2_saveexec_b64 s[2:3], s[2:3]
	s_cbranch_execz .LBB46_44
.LBB46_1024:
	v_lshlrev_b64 v[13:14], 3, v[13:14]
	v_mov_b32_e32 v15, s84
	v_add_co_u32_e32 v13, vcc, s83, v13
	v_addc_co_u32_e32 v14, vcc, v15, v14, vcc
	global_load_dwordx2 v[15:16], v[13:14], off
	s_or_b64 s[10:11], s[10:11], exec
	s_waitcnt vmcnt(0)
	v_xor_b32_e32 v16, 0x80000000, v16
	s_or_b64 exec, exec, s[2:3]
	s_and_saveexec_b64 s[2:3], s[10:11]
	s_cbranch_execnz .LBB46_45
	s_branch .LBB46_46
.LBB46_1025:
	s_or_b64 exec, exec, s[8:9]
	s_and_b64 vcc, exec, s[6:7]
	s_cbranch_vccnz .LBB46_969
.LBB46_1026:
	v_mov_b32_e32 v12, v6
	v_mov_b32_e32 v11, v5
	s_and_saveexec_b64 s[0:1], s[4:5]
	s_cbranch_execnz .LBB46_1032
	s_branch .LBB46_1033
.LBB46_1027:
	s_mov_b64 s[2:3], 0
.LBB46_1028:
	v_cmp_gt_i32_e32 vcc, s82, v0
	s_and_b64 s[0:1], s[0:1], vcc
	s_andn2_b64 s[2:3], s[2:3], exec
	s_and_b64 s[0:1], s[0:1], exec
	s_or_b64 s[2:3], s[2:3], s[0:1]
.LBB46_1029:
                                        ; implicit-def: $vgpr1_vgpr2
	s_and_saveexec_b64 s[0:1], s[2:3]
	s_cbranch_execz .LBB46_1031
; %bb.1030:
	v_mov_b32_e32 v0, s52
	v_add_co_u32_e32 v1, vcc, s33, v19
	v_addc_co_u32_e32 v0, vcc, 0, v0, vcc
	v_mul_lo_u32 v0, v0, s30
	v_mul_lo_u32 v3, v1, s31
	v_mad_u64_u32 v[1:2], s[2:3], v1, s30, 0
	s_or_b64 s[4:5], s[4:5], exec
	v_add3_u32 v2, v2, v3, v0
.LBB46_1031:
	s_or_b64 exec, exec, s[0:1]
	s_and_saveexec_b64 s[0:1], s[4:5]
	s_cbranch_execz .LBB46_1033
.LBB46_1032:
	v_lshlrev_b64 v[0:1], 3, v[1:2]
	v_mov_b32_e32 v2, s37
	v_add_co_u32_e32 v0, vcc, s36, v0
	v_addc_co_u32_e32 v1, vcc, v2, v1, vcc
	global_store_dwordx2 v[0:1], v[11:12], off
.LBB46_1033:
	s_or_b64 exec, exec, s[0:1]
	v_cmp_eq_u32_e32 vcc, 0, v19
	s_waitcnt vmcnt(0)
	buffer_wbinvl1_vol
	s_barrier
	s_and_saveexec_b64 s[0:1], vcc
	s_cbranch_execz .LBB46_1035
; %bb.1034:
	s_lshl_b64 s[2:3], s[34:35], 2
	s_add_u32 s2, s14, s2
	s_addc_u32 s3, s15, s3
	v_mov_b32_e32 v0, 0
	global_load_dword v1, v0, s[2:3]
	s_waitcnt vmcnt(0)
	v_add_u32_e32 v1, 1, v1
	global_store_dword v0, v1, s[2:3]
.LBB46_1035:
	s_or_b64 exec, exec, s[0:1]
	s_waitcnt vmcnt(0)
	buffer_wbinvl1_vol
	s_endpgm
.LBB46_1036:
	v_lshlrev_b32_e32 v21, 3, v20
	v_sub_u32_e32 v21, v18, v21
	v_lshl_add_u32 v21, v19, 3, v21
	ds_read_b64 v[21:22], v21 offset:544
	ds_read_b64 v[23:24], v18 offset:8
	s_waitcnt lgkmcnt(0)
	v_fma_f64 v[11:12], v[21:22], v[23:24], v[11:12]
	s_or_b64 exec, exec, s[14:15]
	v_cmp_gt_u32_e64 s[10:11], 8, v14
	s_and_saveexec_b64 s[14:15], s[10:11]
	s_cbranch_execz .LBB46_77
.LBB46_1037:
	ds_read_b64 v[21:22], v16 offset:1056
	ds_read_b64 v[23:24], v18 offset:16
	s_waitcnt lgkmcnt(0)
	v_fma_f64 v[11:12], v[21:22], v[23:24], v[11:12]
	s_or_b64 exec, exec, s[14:15]
	v_cmp_gt_u32_e64 s[10:11], 4, v14
	s_and_saveexec_b64 s[14:15], s[10:11]
	s_cbranch_execnz .LBB46_78
	s_branch .LBB46_79
.LBB46_1038:
	v_lshlrev_b32_e32 v26, 3, v25
	v_sub_u32_e32 v26, v23, v26
	v_lshl_add_u32 v26, v24, 3, v26
	ds_read_b64 v[26:27], v26 offset:576
	ds_read_b64 v[28:29], v23 offset:8
	s_waitcnt lgkmcnt(0)
	v_fma_f64 v[11:12], v[26:27], v[28:29], v[11:12]
	s_or_b64 exec, exec, s[16:17]
	v_cmp_gt_u32_e64 s[10:11], 48, v14
	s_and_saveexec_b64 s[16:17], s[10:11]
	s_cbranch_execz .LBB46_115
.LBB46_1039:
	v_lshlrev_b32_e32 v26, 3, v25
	v_sub_u32_e32 v26, v23, v26
	v_lshl_add_u32 v26, v24, 3, v26
	ds_read_b64 v[26:27], v26 offset:1088
	ds_read_b64 v[28:29], v23 offset:16
	s_waitcnt lgkmcnt(0)
	v_fma_f64 v[11:12], v[26:27], v[28:29], v[11:12]
	s_or_b64 exec, exec, s[16:17]
	v_cmp_gt_u32_e64 s[10:11], 40, v14
	s_and_saveexec_b64 s[16:17], s[10:11]
	s_cbranch_execz .LBB46_116
.LBB46_1040:
	v_lshlrev_b32_e32 v26, 3, v25
	v_sub_u32_e32 v26, v23, v26
	v_lshl_add_u32 v26, v24, 3, v26
	ds_read_b64 v[26:27], v26 offset:1600
	ds_read_b64 v[28:29], v23 offset:24
	s_waitcnt lgkmcnt(0)
	v_fma_f64 v[11:12], v[26:27], v[28:29], v[11:12]
	s_or_b64 exec, exec, s[16:17]
	v_cmp_gt_u32_e64 s[10:11], 32, v14
	s_and_saveexec_b64 s[16:17], s[10:11]
	s_cbranch_execz .LBB46_117
.LBB46_1041:
	ds_read_b64 v[26:27], v21 offset:2112
	ds_read_b64 v[28:29], v23 offset:32
	s_waitcnt lgkmcnt(0)
	v_fma_f64 v[11:12], v[26:27], v[28:29], v[11:12]
	s_or_b64 exec, exec, s[16:17]
	v_cmp_gt_u32_e64 s[10:11], 24, v14
	s_and_saveexec_b64 s[16:17], s[10:11]
	s_cbranch_execz .LBB46_118
.LBB46_1042:
	v_lshlrev_b32_e32 v26, 3, v25
	v_sub_u32_e32 v26, v23, v26
	v_lshl_add_u32 v26, v24, 3, v26
	ds_read_b64 v[26:27], v26 offset:2624
	ds_read_b64 v[28:29], v23 offset:40
	s_waitcnt lgkmcnt(0)
	v_fma_f64 v[11:12], v[26:27], v[28:29], v[11:12]
	s_or_b64 exec, exec, s[16:17]
	v_cmp_gt_u32_e64 s[10:11], 16, v14
	s_and_saveexec_b64 s[16:17], s[10:11]
	s_cbranch_execz .LBB46_119
.LBB46_1043:
	ds_read_b64 v[26:27], v21 offset:3136
	ds_read_b64 v[28:29], v23 offset:48
	s_waitcnt lgkmcnt(0)
	v_fma_f64 v[11:12], v[26:27], v[28:29], v[11:12]
	s_or_b64 exec, exec, s[16:17]
	v_cmp_gt_u32_e64 s[10:11], 8, v14
	s_and_saveexec_b64 s[16:17], s[10:11]
	s_cbranch_execnz .LBB46_120
	s_branch .LBB46_121
.LBB46_1044:
	v_lshlrev_b32_e32 v27, 3, v20
	v_sub_u32_e32 v27, v26, v27
	v_lshl_add_u32 v27, v19, 3, v27
	ds_read_b64 v[27:28], v27 offset:4704
	ds_read_b64 v[29:30], v26 offset:4168
	s_waitcnt lgkmcnt(0)
	v_fma_f64 v[11:12], v[27:28], v[29:30], v[11:12]
	s_or_b64 exec, exec, s[12:13]
	v_cmp_gt_u32_e64 s[8:9], 8, v14
	s_and_saveexec_b64 s[12:13], s[8:9]
	s_cbranch_execz .LBB46_173
.LBB46_1045:
	ds_read_b64 v[27:28], v16 offset:5216
	ds_read_b64 v[29:30], v26 offset:4176
	s_waitcnt lgkmcnt(0)
	v_fma_f64 v[11:12], v[27:28], v[29:30], v[11:12]
	s_or_b64 exec, exec, s[12:13]
	v_cmp_gt_u32_e64 s[8:9], 4, v14
	s_and_saveexec_b64 s[12:13], s[8:9]
	s_cbranch_execnz .LBB46_174
	s_branch .LBB46_175
.LBB46_1046:
	v_lshlrev_b32_e32 v31, 3, v27
	v_lshl_add_u32 v31, v29, 3, v31
	ds_read_b64 v[31:32], v31 offset:5760
	ds_read_b64 v[33:34], v28 offset:88
	s_waitcnt lgkmcnt(0)
	v_fma_f64 v[11:12], v[31:32], v[33:34], v[11:12]
	s_or_b64 exec, exec, s[80:81]
	v_cmp_gt_u32_e64 s[12:13], 64, v14
	s_and_saveexec_b64 s[80:81], s[12:13]
	s_cbranch_execz .LBB46_231
.LBB46_1047:
	ds_read_b64 v[31:32], v26 offset:6272
	ds_read_b64 v[33:34], v28 offset:96
	s_waitcnt lgkmcnt(0)
	v_fma_f64 v[11:12], v[31:32], v[33:34], v[11:12]
	s_or_b64 exec, exec, s[80:81]
	v_cmp_gt_u32_e64 s[12:13], 48, v14
	s_and_saveexec_b64 s[80:81], s[12:13]
	s_cbranch_execz .LBB46_232
.LBB46_1048:
	v_lshlrev_b32_e32 v31, 3, v27
	v_lshl_add_u32 v31, v29, 3, v31
	ds_read_b64 v[31:32], v31 offset:6784
	ds_read_b64 v[33:34], v28 offset:104
	s_waitcnt lgkmcnt(0)
	v_fma_f64 v[11:12], v[31:32], v[33:34], v[11:12]
	s_or_b64 exec, exec, s[80:81]
	v_cmp_gt_u32_e64 s[12:13], 32, v14
	s_and_saveexec_b64 s[80:81], s[12:13]
	s_cbranch_execz .LBB46_233
.LBB46_1049:
	ds_read_b64 v[31:32], v26 offset:7296
	ds_read_b64 v[33:34], v28 offset:112
	s_waitcnt lgkmcnt(0)
	v_fma_f64 v[11:12], v[31:32], v[33:34], v[11:12]
	s_or_b64 exec, exec, s[80:81]
	v_cmp_gt_u32_e64 s[12:13], 16, v14
	s_and_saveexec_b64 s[80:81], s[12:13]
	s_cbranch_execnz .LBB46_234
	s_branch .LBB46_235
.LBB46_1050:
	v_lshlrev_b32_e32 v32, 3, v20
	v_sub_u32_e32 v32, v31, v32
	v_lshl_add_u32 v32, v19, 3, v32
	ds_read_b64 v[32:33], v32 offset:8864
	ds_read_b64 v[34:35], v31 offset:8328
	s_waitcnt lgkmcnt(0)
	v_fma_f64 v[11:12], v[32:33], v[34:35], v[11:12]
	s_or_b64 exec, exec, s[16:17]
	v_cmp_gt_u32_e64 s[10:11], 8, v14
	s_and_saveexec_b64 s[16:17], s[10:11]
	s_cbranch_execz .LBB46_319
.LBB46_1051:
	ds_read_b64 v[32:33], v16 offset:9376
	ds_read_b64 v[34:35], v31 offset:8336
	s_waitcnt lgkmcnt(0)
	v_fma_f64 v[11:12], v[32:33], v[34:35], v[11:12]
	s_or_b64 exec, exec, s[16:17]
	v_cmp_gt_u32_e64 s[10:11], 4, v14
	s_and_saveexec_b64 s[16:17], s[10:11]
	s_cbranch_execnz .LBB46_320
	s_branch .LBB46_321
.LBB46_1052:
	v_lshlrev_b32_e32 v32, 3, v25
	v_sub_u32_e32 v32, v31, v32
	v_lshl_add_u32 v32, v24, 3, v32
	ds_read_b64 v[32:33], v32 offset:8896
	ds_read_b64 v[34:35], v31 offset:8328
	s_waitcnt lgkmcnt(0)
	v_fma_f64 v[11:12], v[32:33], v[34:35], v[11:12]
	s_or_b64 exec, exec, s[16:17]
	v_cmp_gt_u32_e64 s[10:11], 48, v14
	s_and_saveexec_b64 s[16:17], s[10:11]
	s_cbranch_execz .LBB46_357
.LBB46_1053:
	v_lshlrev_b32_e32 v32, 3, v25
	v_sub_u32_e32 v32, v31, v32
	v_lshl_add_u32 v32, v24, 3, v32
	ds_read_b64 v[32:33], v32 offset:9408
	ds_read_b64 v[34:35], v31 offset:8336
	s_waitcnt lgkmcnt(0)
	v_fma_f64 v[11:12], v[32:33], v[34:35], v[11:12]
	s_or_b64 exec, exec, s[16:17]
	v_cmp_gt_u32_e64 s[10:11], 40, v14
	s_and_saveexec_b64 s[16:17], s[10:11]
	s_cbranch_execz .LBB46_358
.LBB46_1054:
	v_lshlrev_b32_e32 v32, 3, v25
	v_sub_u32_e32 v32, v31, v32
	v_lshl_add_u32 v32, v24, 3, v32
	ds_read_b64 v[32:33], v32 offset:9920
	ds_read_b64 v[34:35], v31 offset:8344
	s_waitcnt lgkmcnt(0)
	v_fma_f64 v[11:12], v[32:33], v[34:35], v[11:12]
	s_or_b64 exec, exec, s[16:17]
	v_cmp_gt_u32_e64 s[10:11], 32, v14
	s_and_saveexec_b64 s[16:17], s[10:11]
	s_cbranch_execz .LBB46_359
.LBB46_1055:
	ds_read_b64 v[32:33], v21 offset:10432
	ds_read_b64 v[34:35], v31 offset:8352
	s_waitcnt lgkmcnt(0)
	v_fma_f64 v[11:12], v[32:33], v[34:35], v[11:12]
	s_or_b64 exec, exec, s[16:17]
	v_cmp_gt_u32_e64 s[10:11], 24, v14
	s_and_saveexec_b64 s[16:17], s[10:11]
	s_cbranch_execz .LBB46_360
.LBB46_1056:
	v_lshlrev_b32_e32 v32, 3, v25
	v_sub_u32_e32 v32, v31, v32
	v_lshl_add_u32 v32, v24, 3, v32
	ds_read_b64 v[32:33], v32 offset:10944
	ds_read_b64 v[34:35], v31 offset:8360
	s_waitcnt lgkmcnt(0)
	v_fma_f64 v[11:12], v[32:33], v[34:35], v[11:12]
	s_or_b64 exec, exec, s[16:17]
	v_cmp_gt_u32_e64 s[10:11], 16, v14
	s_and_saveexec_b64 s[16:17], s[10:11]
	s_cbranch_execz .LBB46_361
.LBB46_1057:
	ds_read_b64 v[32:33], v21 offset:11456
	ds_read_b64 v[34:35], v31 offset:8368
	s_waitcnt lgkmcnt(0)
	v_fma_f64 v[11:12], v[32:33], v[34:35], v[11:12]
	s_or_b64 exec, exec, s[16:17]
	v_cmp_gt_u32_e64 s[10:11], 8, v14
	s_and_saveexec_b64 s[16:17], s[10:11]
	s_cbranch_execnz .LBB46_362
	s_branch .LBB46_363
.LBB46_1058:
	v_lshlrev_b32_e32 v32, 3, v20
	v_sub_u32_e32 v32, v31, v32
	v_lshl_add_u32 v32, v19, 3, v32
	ds_read_b64 v[32:33], v32 offset:13024
	ds_read_b64 v[34:35], v31 offset:12488
	s_waitcnt lgkmcnt(0)
	v_fma_f64 v[11:12], v[32:33], v[34:35], v[11:12]
	s_or_b64 exec, exec, s[16:17]
	v_cmp_gt_u32_e64 s[10:11], 8, v14
	s_and_saveexec_b64 s[16:17], s[10:11]
	s_cbranch_execz .LBB46_415
.LBB46_1059:
	ds_read_b64 v[32:33], v16 offset:13536
	ds_read_b64 v[34:35], v31 offset:12496
	s_waitcnt lgkmcnt(0)
	v_fma_f64 v[11:12], v[32:33], v[34:35], v[11:12]
	s_or_b64 exec, exec, s[16:17]
	v_cmp_gt_u32_e64 s[10:11], 4, v14
	s_and_saveexec_b64 s[16:17], s[10:11]
	s_cbranch_execnz .LBB46_416
	s_branch .LBB46_417
.LBB46_1060:
	ds_read_b64 v[35:36], v31 offset:15104
	ds_read_b64 v[37:38], v34 offset:232
	s_waitcnt lgkmcnt(0)
	v_fma_f64 v[11:12], v[35:36], v[37:38], v[11:12]
	s_or_b64 exec, exec, s[80:81]
	v_cmp_gt_u32_e64 s[16:17], 64, v14
	s_and_saveexec_b64 s[80:81], s[16:17]
	s_cbranch_execz .LBB46_509
.LBB46_1061:
	ds_read_b64 v[35:36], v31 offset:15616
	ds_read_b64 v[37:38], v34 offset:240
	s_waitcnt lgkmcnt(0)
	v_fma_f64 v[11:12], v[35:36], v[37:38], v[11:12]
	s_or_b64 exec, exec, s[80:81]
	v_cmp_gt_u32_e64 s[16:17], 32, v14
	s_and_saveexec_b64 s[80:81], s[16:17]
	s_cbranch_execnz .LBB46_510
	s_branch .LBB46_511
.LBB46_1062:
	v_lshlrev_b32_e32 v32, 3, v20
	v_sub_u32_e32 v32, v31, v32
	v_lshl_add_u32 v32, v19, 3, v32
	ds_read_b64 v[32:33], v32 offset:17184
	ds_read_b64 v[34:35], v31 offset:16648
	s_waitcnt lgkmcnt(0)
	v_fma_f64 v[11:12], v[32:33], v[34:35], v[11:12]
	s_or_b64 exec, exec, s[16:17]
	v_cmp_gt_u32_e64 s[10:11], 8, v14
	s_and_saveexec_b64 s[16:17], s[10:11]
	s_cbranch_execz .LBB46_551
.LBB46_1063:
	ds_read_b64 v[32:33], v16 offset:17696
	ds_read_b64 v[34:35], v31 offset:16656
	s_waitcnt lgkmcnt(0)
	v_fma_f64 v[11:12], v[32:33], v[34:35], v[11:12]
	s_or_b64 exec, exec, s[16:17]
	v_cmp_gt_u32_e64 s[10:11], 4, v14
	s_and_saveexec_b64 s[16:17], s[10:11]
	s_cbranch_execnz .LBB46_552
	s_branch .LBB46_553
.LBB46_1064:
	v_lshlrev_b32_e32 v32, 3, v25
	v_sub_u32_e32 v32, v31, v32
	v_lshl_add_u32 v32, v24, 3, v32
	ds_read_b64 v[32:33], v32 offset:17216
	ds_read_b64 v[34:35], v31 offset:16648
	s_waitcnt lgkmcnt(0)
	v_fma_f64 v[11:12], v[32:33], v[34:35], v[11:12]
	s_or_b64 exec, exec, s[16:17]
	v_cmp_gt_u32_e64 s[10:11], 48, v14
	s_and_saveexec_b64 s[16:17], s[10:11]
	s_cbranch_execz .LBB46_589
.LBB46_1065:
	v_lshlrev_b32_e32 v32, 3, v25
	v_sub_u32_e32 v32, v31, v32
	v_lshl_add_u32 v32, v24, 3, v32
	ds_read_b64 v[32:33], v32 offset:17728
	ds_read_b64 v[34:35], v31 offset:16656
	s_waitcnt lgkmcnt(0)
	v_fma_f64 v[11:12], v[32:33], v[34:35], v[11:12]
	s_or_b64 exec, exec, s[16:17]
	v_cmp_gt_u32_e64 s[10:11], 40, v14
	s_and_saveexec_b64 s[16:17], s[10:11]
	s_cbranch_execz .LBB46_590
.LBB46_1066:
	v_lshlrev_b32_e32 v32, 3, v25
	v_sub_u32_e32 v32, v31, v32
	v_lshl_add_u32 v32, v24, 3, v32
	ds_read_b64 v[32:33], v32 offset:18240
	ds_read_b64 v[34:35], v31 offset:16664
	s_waitcnt lgkmcnt(0)
	v_fma_f64 v[11:12], v[32:33], v[34:35], v[11:12]
	s_or_b64 exec, exec, s[16:17]
	v_cmp_gt_u32_e64 s[10:11], 32, v14
	s_and_saveexec_b64 s[16:17], s[10:11]
	s_cbranch_execz .LBB46_591
.LBB46_1067:
	ds_read_b64 v[32:33], v21 offset:18752
	ds_read_b64 v[34:35], v31 offset:16672
	s_waitcnt lgkmcnt(0)
	v_fma_f64 v[11:12], v[32:33], v[34:35], v[11:12]
	s_or_b64 exec, exec, s[16:17]
	v_cmp_gt_u32_e64 s[10:11], 24, v14
	s_and_saveexec_b64 s[16:17], s[10:11]
	s_cbranch_execz .LBB46_592
.LBB46_1068:
	v_lshlrev_b32_e32 v32, 3, v25
	v_sub_u32_e32 v32, v31, v32
	v_lshl_add_u32 v32, v24, 3, v32
	ds_read_b64 v[32:33], v32 offset:19264
	ds_read_b64 v[34:35], v31 offset:16680
	s_waitcnt lgkmcnt(0)
	v_fma_f64 v[11:12], v[32:33], v[34:35], v[11:12]
	s_or_b64 exec, exec, s[16:17]
	v_cmp_gt_u32_e64 s[10:11], 16, v14
	s_and_saveexec_b64 s[16:17], s[10:11]
	s_cbranch_execz .LBB46_593
.LBB46_1069:
	ds_read_b64 v[32:33], v21 offset:19776
	ds_read_b64 v[34:35], v31 offset:16688
	s_waitcnt lgkmcnt(0)
	v_fma_f64 v[11:12], v[32:33], v[34:35], v[11:12]
	s_or_b64 exec, exec, s[16:17]
	v_cmp_gt_u32_e64 s[10:11], 8, v14
	s_and_saveexec_b64 s[16:17], s[10:11]
	s_cbranch_execnz .LBB46_594
	s_branch .LBB46_595
.LBB46_1070:
	v_lshlrev_b32_e32 v32, 3, v20
	v_sub_u32_e32 v32, v31, v32
	v_lshl_add_u32 v32, v19, 3, v32
	ds_read_b64 v[32:33], v32 offset:21344
	ds_read_b64 v[34:35], v31 offset:20808
	s_waitcnt lgkmcnt(0)
	v_fma_f64 v[11:12], v[32:33], v[34:35], v[11:12]
	s_or_b64 exec, exec, s[16:17]
	v_cmp_gt_u32_e64 s[10:11], 8, v14
	s_and_saveexec_b64 s[16:17], s[10:11]
	s_cbranch_execz .LBB46_647
.LBB46_1071:
	ds_read_b64 v[32:33], v16 offset:21856
	ds_read_b64 v[34:35], v31 offset:20816
	s_waitcnt lgkmcnt(0)
	v_fma_f64 v[11:12], v[32:33], v[34:35], v[11:12]
	s_or_b64 exec, exec, s[16:17]
	v_cmp_gt_u32_e64 s[10:11], 4, v14
	s_and_saveexec_b64 s[16:17], s[10:11]
	s_cbranch_execnz .LBB46_648
	s_branch .LBB46_649
.LBB46_1072:
	v_lshlrev_b32_e32 v30, 3, v27
	v_lshl_add_u32 v30, v29, 3, v30
	ds_read_b64 v[32:33], v30 offset:22400
	ds_read_b64 v[34:35], v31 offset:16728
	s_waitcnt lgkmcnt(0)
	v_fma_f64 v[11:12], v[32:33], v[34:35], v[11:12]
	s_or_b64 exec, exec, s[16:17]
	v_cmp_gt_u32_e64 s[10:11], 64, v14
	s_and_saveexec_b64 s[16:17], s[10:11]
	s_cbranch_execz .LBB46_705
.LBB46_1073:
	ds_read_b64 v[32:33], v26 offset:22912
	ds_read_b64 v[34:35], v31 offset:16736
	s_waitcnt lgkmcnt(0)
	v_fma_f64 v[11:12], v[32:33], v[34:35], v[11:12]
	s_or_b64 exec, exec, s[16:17]
	v_cmp_gt_u32_e64 s[10:11], 48, v14
	s_and_saveexec_b64 s[16:17], s[10:11]
	s_cbranch_execz .LBB46_706
.LBB46_1074:
	v_lshlrev_b32_e32 v30, 3, v27
	v_lshl_add_u32 v29, v29, 3, v30
	ds_read_b64 v[29:30], v29 offset:23424
	ds_read_b64 v[32:33], v31 offset:16744
	s_waitcnt lgkmcnt(0)
	v_fma_f64 v[11:12], v[29:30], v[32:33], v[11:12]
	s_or_b64 exec, exec, s[16:17]
	v_cmp_gt_u32_e64 s[10:11], 32, v14
	s_and_saveexec_b64 s[16:17], s[10:11]
	s_cbranch_execz .LBB46_707
.LBB46_1075:
	ds_read_b64 v[29:30], v26 offset:23936
	ds_read_b64 v[31:32], v31 offset:16752
	s_waitcnt lgkmcnt(0)
	v_fma_f64 v[11:12], v[29:30], v[31:32], v[11:12]
	s_or_b64 exec, exec, s[16:17]
	v_cmp_gt_u32_e64 s[10:11], 16, v14
	s_and_saveexec_b64 s[16:17], s[10:11]
	s_cbranch_execnz .LBB46_708
	s_branch .LBB46_709
.LBB46_1076:
	v_lshlrev_b32_e32 v27, 3, v20
	v_sub_u32_e32 v27, v26, v27
	v_lshl_add_u32 v27, v19, 3, v27
	ds_read_b64 v[27:28], v27 offset:25504
	ds_read_b64 v[29:30], v26 offset:24968
	s_waitcnt lgkmcnt(0)
	v_fma_f64 v[11:12], v[27:28], v[29:30], v[11:12]
	s_or_b64 exec, exec, s[12:13]
	v_cmp_gt_u32_e64 s[8:9], 8, v14
	s_and_saveexec_b64 s[12:13], s[8:9]
	s_cbranch_execz .LBB46_793
.LBB46_1077:
	ds_read_b64 v[27:28], v16 offset:26016
	ds_read_b64 v[29:30], v26 offset:24976
	s_waitcnt lgkmcnt(0)
	v_fma_f64 v[11:12], v[27:28], v[29:30], v[11:12]
	s_or_b64 exec, exec, s[12:13]
	v_cmp_gt_u32_e64 s[8:9], 4, v14
	s_and_saveexec_b64 s[12:13], s[8:9]
	s_cbranch_execnz .LBB46_794
	s_branch .LBB46_795
.LBB46_1078:
	v_lshlrev_b32_e32 v27, 3, v25
	v_sub_u32_e32 v27, v26, v27
	v_lshl_add_u32 v27, v24, 3, v27
	ds_read_b64 v[27:28], v27 offset:25536
	ds_read_b64 v[29:30], v26 offset:24968
	s_waitcnt lgkmcnt(0)
	v_fma_f64 v[11:12], v[27:28], v[29:30], v[11:12]
	s_or_b64 exec, exec, s[12:13]
	v_cmp_gt_u32_e64 s[8:9], 48, v14
	s_and_saveexec_b64 s[12:13], s[8:9]
	s_cbranch_execz .LBB46_831
.LBB46_1079:
	v_lshlrev_b32_e32 v27, 3, v25
	v_sub_u32_e32 v27, v26, v27
	v_lshl_add_u32 v27, v24, 3, v27
	ds_read_b64 v[27:28], v27 offset:26048
	ds_read_b64 v[29:30], v26 offset:24976
	s_waitcnt lgkmcnt(0)
	v_fma_f64 v[11:12], v[27:28], v[29:30], v[11:12]
	s_or_b64 exec, exec, s[12:13]
	v_cmp_gt_u32_e64 s[8:9], 40, v14
	s_and_saveexec_b64 s[12:13], s[8:9]
	s_cbranch_execz .LBB46_832
.LBB46_1080:
	v_lshlrev_b32_e32 v27, 3, v25
	v_sub_u32_e32 v27, v26, v27
	v_lshl_add_u32 v27, v24, 3, v27
	ds_read_b64 v[27:28], v27 offset:26560
	ds_read_b64 v[29:30], v26 offset:24984
	s_waitcnt lgkmcnt(0)
	v_fma_f64 v[11:12], v[27:28], v[29:30], v[11:12]
	s_or_b64 exec, exec, s[12:13]
	v_cmp_gt_u32_e64 s[8:9], 32, v14
	s_and_saveexec_b64 s[12:13], s[8:9]
	s_cbranch_execz .LBB46_833
.LBB46_1081:
	ds_read_b64 v[27:28], v21 offset:27072
	ds_read_b64 v[29:30], v26 offset:24992
	s_waitcnt lgkmcnt(0)
	v_fma_f64 v[11:12], v[27:28], v[29:30], v[11:12]
	s_or_b64 exec, exec, s[12:13]
	v_cmp_gt_u32_e64 s[8:9], 24, v14
	s_and_saveexec_b64 s[12:13], s[8:9]
	s_cbranch_execz .LBB46_834
.LBB46_1082:
	v_lshlrev_b32_e32 v25, 3, v25
	v_sub_u32_e32 v25, v26, v25
	v_lshl_add_u32 v24, v24, 3, v25
	ds_read_b64 v[24:25], v24 offset:27584
	ds_read_b64 v[27:28], v26 offset:25000
	s_waitcnt lgkmcnt(0)
	v_fma_f64 v[11:12], v[24:25], v[27:28], v[11:12]
	s_or_b64 exec, exec, s[12:13]
	v_cmp_gt_u32_e64 s[8:9], 16, v14
	s_and_saveexec_b64 s[12:13], s[8:9]
	s_cbranch_execz .LBB46_835
.LBB46_1083:
	ds_read_b64 v[24:25], v21 offset:28096
	ds_read_b64 v[26:27], v26 offset:25008
	s_waitcnt lgkmcnt(0)
	v_fma_f64 v[11:12], v[24:25], v[26:27], v[11:12]
	s_or_b64 exec, exec, s[12:13]
	v_cmp_gt_u32_e64 s[8:9], 8, v14
	s_and_saveexec_b64 s[12:13], s[8:9]
	s_cbranch_execnz .LBB46_836
	s_branch .LBB46_837
.LBB46_1084:
	v_lshlrev_b32_e32 v20, 3, v20
	v_sub_u32_e32 v20, v21, v20
	v_lshl_add_u32 v19, v19, 3, v20
	ds_read_b64 v[19:20], v19 offset:29664
	ds_read_b64 v[22:23], v21 offset:29128
	s_waitcnt lgkmcnt(0)
	v_fma_f64 v[11:12], v[19:20], v[22:23], v[11:12]
	s_or_b64 exec, exec, s[12:13]
	v_cmp_gt_u32_e64 s[8:9], 8, v14
	s_and_saveexec_b64 s[12:13], s[8:9]
	s_cbranch_execz .LBB46_889
.LBB46_1085:
	ds_read_b64 v[19:20], v16 offset:30176
	ds_read_b64 v[21:22], v21 offset:29136
	s_waitcnt lgkmcnt(0)
	v_fma_f64 v[11:12], v[19:20], v[21:22], v[11:12]
	s_or_b64 exec, exec, s[12:13]
	v_cmp_gt_u32_e64 s[8:9], 4, v14
	s_and_saveexec_b64 s[12:13], s[8:9]
	s_cbranch_execnz .LBB46_890
	s_branch .LBB46_891
	.section	.rodata,"a",@progbits
	.p2align	6, 0x0
	.amdhsa_kernel _ZL19rocblas_trsv_deviceILi64ELi16ELb1ELb0ELb0ELb0EddPKdPdEviT7_lllT6_T8_lllPii
		.amdhsa_group_segment_fixed_size 41480
		.amdhsa_private_segment_fixed_size 0
		.amdhsa_kernarg_size 352
		.amdhsa_user_sgpr_count 6
		.amdhsa_user_sgpr_private_segment_buffer 1
		.amdhsa_user_sgpr_dispatch_ptr 0
		.amdhsa_user_sgpr_queue_ptr 0
		.amdhsa_user_sgpr_kernarg_segment_ptr 1
		.amdhsa_user_sgpr_dispatch_id 0
		.amdhsa_user_sgpr_flat_scratch_init 0
		.amdhsa_user_sgpr_private_segment_size 0
		.amdhsa_uses_dynamic_stack 0
		.amdhsa_system_sgpr_private_segment_wavefront_offset 0
		.amdhsa_system_sgpr_workgroup_id_x 1
		.amdhsa_system_sgpr_workgroup_id_y 0
		.amdhsa_system_sgpr_workgroup_id_z 1
		.amdhsa_system_sgpr_workgroup_info 0
		.amdhsa_system_vgpr_workitem_id 1
		.amdhsa_next_free_vgpr 49
		.amdhsa_next_free_sgpr 98
		.amdhsa_reserve_vcc 1
		.amdhsa_reserve_flat_scratch 0
		.amdhsa_float_round_mode_32 0
		.amdhsa_float_round_mode_16_64 0
		.amdhsa_float_denorm_mode_32 3
		.amdhsa_float_denorm_mode_16_64 3
		.amdhsa_dx10_clamp 1
		.amdhsa_ieee_mode 1
		.amdhsa_fp16_overflow 0
		.amdhsa_exception_fp_ieee_invalid_op 0
		.amdhsa_exception_fp_denorm_src 0
		.amdhsa_exception_fp_ieee_div_zero 0
		.amdhsa_exception_fp_ieee_overflow 0
		.amdhsa_exception_fp_ieee_underflow 0
		.amdhsa_exception_fp_ieee_inexact 0
		.amdhsa_exception_int_div_zero 0
	.end_amdhsa_kernel
	.section	.text._ZL19rocblas_trsv_deviceILi64ELi16ELb1ELb0ELb0ELb0EddPKdPdEviT7_lllT6_T8_lllPii,"axG",@progbits,_ZL19rocblas_trsv_deviceILi64ELi16ELb1ELb0ELb0ELb0EddPKdPdEviT7_lllT6_T8_lllPii,comdat
.Lfunc_end46:
	.size	_ZL19rocblas_trsv_deviceILi64ELi16ELb1ELb0ELb0ELb0EddPKdPdEviT7_lllT6_T8_lllPii, .Lfunc_end46-_ZL19rocblas_trsv_deviceILi64ELi16ELb1ELb0ELb0ELb0EddPKdPdEviT7_lllT6_T8_lllPii
                                        ; -- End function
	.set _ZL19rocblas_trsv_deviceILi64ELi16ELb1ELb0ELb0ELb0EddPKdPdEviT7_lllT6_T8_lllPii.num_vgpr, 42
	.set _ZL19rocblas_trsv_deviceILi64ELi16ELb1ELb0ELb0ELb0EddPKdPdEviT7_lllT6_T8_lllPii.num_agpr, 0
	.set _ZL19rocblas_trsv_deviceILi64ELi16ELb1ELb0ELb0ELb0EddPKdPdEviT7_lllT6_T8_lllPii.numbered_sgpr, 96
	.set _ZL19rocblas_trsv_deviceILi64ELi16ELb1ELb0ELb0ELb0EddPKdPdEviT7_lllT6_T8_lllPii.num_named_barrier, 0
	.set _ZL19rocblas_trsv_deviceILi64ELi16ELb1ELb0ELb0ELb0EddPKdPdEviT7_lllT6_T8_lllPii.private_seg_size, 0
	.set _ZL19rocblas_trsv_deviceILi64ELi16ELb1ELb0ELb0ELb0EddPKdPdEviT7_lllT6_T8_lllPii.uses_vcc, 1
	.set _ZL19rocblas_trsv_deviceILi64ELi16ELb1ELb0ELb0ELb0EddPKdPdEviT7_lllT6_T8_lllPii.uses_flat_scratch, 0
	.set _ZL19rocblas_trsv_deviceILi64ELi16ELb1ELb0ELb0ELb0EddPKdPdEviT7_lllT6_T8_lllPii.has_dyn_sized_stack, 0
	.set _ZL19rocblas_trsv_deviceILi64ELi16ELb1ELb0ELb0ELb0EddPKdPdEviT7_lllT6_T8_lllPii.has_recursion, 0
	.set _ZL19rocblas_trsv_deviceILi64ELi16ELb1ELb0ELb0ELb0EddPKdPdEviT7_lllT6_T8_lllPii.has_indirect_call, 0
	.section	.AMDGPU.csdata,"",@progbits
; Kernel info:
; codeLenInByte = 33576
; TotalNumSgprs: 100
; NumVgprs: 42
; ScratchSize: 0
; MemoryBound: 0
; FloatMode: 240
; IeeeMode: 1
; LDSByteSize: 41480 bytes/workgroup (compile time only)
; SGPRBlocks: 12
; VGPRBlocks: 12
; NumSGPRsForWavesPerEU: 102
; NumVGPRsForWavesPerEU: 49
; Occupancy: 4
; WaveLimiterHint : 0
; COMPUTE_PGM_RSRC2:SCRATCH_EN: 0
; COMPUTE_PGM_RSRC2:USER_SGPR: 6
; COMPUTE_PGM_RSRC2:TRAP_HANDLER: 0
; COMPUTE_PGM_RSRC2:TGID_X_EN: 1
; COMPUTE_PGM_RSRC2:TGID_Y_EN: 0
; COMPUTE_PGM_RSRC2:TGID_Z_EN: 1
; COMPUTE_PGM_RSRC2:TIDIG_COMP_CNT: 1
	.section	.text._ZL19rocblas_trsv_deviceILi64ELi16ELb1ELb1ELb0ELb0EddPKdPdEviT7_lllT6_T8_lllPii,"axG",@progbits,_ZL19rocblas_trsv_deviceILi64ELi16ELb1ELb1ELb0ELb0EddPKdPdEviT7_lllT6_T8_lllPii,comdat
	.globl	_ZL19rocblas_trsv_deviceILi64ELi16ELb1ELb1ELb0ELb0EddPKdPdEviT7_lllT6_T8_lllPii ; -- Begin function _ZL19rocblas_trsv_deviceILi64ELi16ELb1ELb1ELb0ELb0EddPKdPdEviT7_lllT6_T8_lllPii
	.p2align	8
	.type	_ZL19rocblas_trsv_deviceILi64ELi16ELb1ELb1ELb0ELb0EddPKdPdEviT7_lllT6_T8_lllPii,@function
_ZL19rocblas_trsv_deviceILi64ELi16ELb1ELb1ELb0ELb0EddPKdPdEviT7_lllT6_T8_lllPii: ; @_ZL19rocblas_trsv_deviceILi64ELi16ELb1ELb1ELb0ELb0EddPKdPdEviT7_lllT6_T8_lllPii
; %bb.0:
	s_load_dwordx16 s[36:51], s[4:5], 0x8
	s_load_dword s24, s[4:5], 0x0
	s_mov_b32 s22, s7
	v_mov_b32_e32 v2, v1
	s_mov_b32 s23, 0
	s_waitcnt lgkmcnt(0)
	s_mul_i32 s0, s43, s7
	s_mul_hi_u32 s1, s42, s7
	s_add_i32 s1, s1, s0
	s_mul_i32 s0, s42, s7
	s_load_dword s7, s[4:5], 0x60
	s_load_dword s30, s[4:5], 0x6c
	s_lshl_b64 s[0:1], s[0:1], 3
	s_add_u32 s2, s36, s0
	s_addc_u32 s3, s37, s1
	s_lshl_b64 s[0:1], s[38:39], 3
	s_add_u32 s91, s2, s0
	s_addc_u32 s60, s3, s1
	s_waitcnt lgkmcnt(0)
	s_add_i32 s7, s7, -1
	s_sub_i32 s61, s7, s6
	s_cmp_lg_u32 s6, 0
	s_cbranch_scc0 .LBB47_1056
; %bb.1:
	s_lshl_b32 s33, s61, 6
	v_add_u32_e32 v1, s33, v0
	v_ashrrev_i32_e32 v3, 31, v1
	v_mul_lo_u32 v5, s40, v3
	v_mul_lo_u32 v6, s41, v1
	v_mad_u64_u32 v[3:4], s[0:1], s40, v1, 0
	v_add3_u32 v11, v2, s33, 64
	v_ashrrev_i32_e32 v12, 31, v11
	v_add3_u32 v4, v4, v5, v6
	v_lshlrev_b64 v[3:4], 3, v[3:4]
	v_cmp_gt_i32_e32 vcc, s24, v1
	v_mov_b32_e32 v1, s60
	v_add_co_u32_e64 v5, s[0:1], s91, v3
	v_addc_co_u32_e64 v1, s[0:1], v1, v4, s[0:1]
	v_lshlrev_b64 v[3:4], 3, v[11:12]
	v_add_co_u32_e64 v12, s[0:1], v5, v3
	v_addc_co_u32_e64 v13, s[0:1], v1, v4, s[0:1]
	v_cmp_gt_i32_e64 s[0:1], s24, v11
	v_mov_b32_e32 v3, 0
	v_mov_b32_e32 v5, 0
	;; [unrolled: 1-line block ×4, first 2 shown]
	s_and_b64 s[2:3], s[0:1], vcc
	s_barrier
	s_and_saveexec_b64 s[0:1], s[2:3]
	s_cbranch_execz .LBB47_3
; %bb.2:
	global_load_dwordx2 v[5:6], v[12:13], off
.LBB47_3:
	s_or_b64 exec, exec, s[0:1]
	v_add_u32_e32 v1, 16, v11
	v_cmp_gt_i32_e64 s[0:1], s24, v1
	s_and_b64 s[2:3], s[0:1], vcc
	s_waitcnt vmcnt(0)
	s_barrier
	s_and_saveexec_b64 s[0:1], s[2:3]
	s_cbranch_execz .LBB47_5
; %bb.4:
	global_load_dwordx2 v[3:4], v[12:13], off offset:128
.LBB47_5:
	s_or_b64 exec, exec, s[0:1]
	v_add_u32_e32 v1, 32, v11
	v_cmp_gt_i32_e64 s[0:1], s24, v1
	v_mov_b32_e32 v7, 0
	v_mov_b32_e32 v9, 0
	;; [unrolled: 1-line block ×4, first 2 shown]
	s_and_b64 s[2:3], s[0:1], vcc
	s_waitcnt vmcnt(0)
	s_barrier
	s_and_saveexec_b64 s[0:1], s[2:3]
	s_cbranch_execz .LBB47_7
; %bb.6:
	global_load_dwordx2 v[9:10], v[12:13], off offset:256
.LBB47_7:
	s_or_b64 exec, exec, s[0:1]
	v_add_u32_e32 v1, 48, v11
	v_cmp_gt_i32_e64 s[0:1], s24, v1
	s_and_b64 s[2:3], s[0:1], vcc
	s_waitcnt vmcnt(0)
	s_barrier
	s_and_saveexec_b64 s[0:1], s[2:3]
	s_cbranch_execz .LBB47_9
; %bb.8:
	global_load_dwordx2 v[7:8], v[12:13], off offset:384
.LBB47_9:
	s_or_b64 exec, exec, s[0:1]
	s_branch .LBB47_11
.LBB47_10:
	s_lshl_b32 s33, s61, 6
                                        ; implicit-def: $vgpr5_vgpr6
                                        ; implicit-def: $vgpr3_vgpr4
                                        ; implicit-def: $vgpr9_vgpr10
                                        ; implicit-def: $vgpr7_vgpr8
.LBB47_11:
	s_ashr_i32 s25, s24, 31
	s_lshr_b32 s0, s25, 26
	s_add_i32 s0, s24, s0
	s_andn2_b32 s0, s0, 63
	s_sub_i32 s90, s24, s0
	s_add_i32 s0, s24, -1
	s_ashr_i32 s1, s0, 31
	s_lshr_b32 s1, s1, 26
	s_add_i32 s0, s0, s1
	s_ashr_i32 s0, s0, 6
	s_cmp_eq_u32 s0, s61
	s_cselect_b64 s[0:1], -1, 0
	s_cmp_lg_u32 s90, 0
	s_cselect_b64 s[2:3], -1, 0
	s_and_b64 s[26:27], s[2:3], s[0:1]
	s_cmp_lt_i32 s6, 5
	s_cselect_b64 s[2:3], -1, 0
	s_or_b64 s[0:1], s[2:3], s[26:27]
	s_ashr_i32 s38, s33, 31
	s_add_u32 s10, s40, 1
	v_mov_b32_e32 v1, 0
	v_mov_b32_e32 v11, s33
	v_mad_u64_u32 v[11:12], s[8:9], s10, v11, v[0:1]
	s_addc_u32 s11, s41, 0
	s_mul_i32 s8, s10, s38
	s_mul_i32 s11, s11, s33
	s_add_i32 s8, s8, s11
	s_mov_b64 s[12:13], -1
	v_lshlrev_b32_e32 v17, 6, v0
	v_add_u32_e32 v12, s8, v12
	s_and_b64 vcc, exec, s[26:27]
	v_cmp_le_u32_e64 s[8:9], v0, v2
	s_cbranch_vccnz .LBB47_33
; %bb.12:
	v_mad_u64_u32 v[15:16], s[10:11], s40, v2, v[11:12]
	v_mov_b32_e32 v1, v16
	v_mad_u64_u32 v[13:14], s[10:11], s41, v2, v[1:2]
	s_mov_b64 s[10:11], 0
	v_mov_b32_e32 v16, v13
                                        ; implicit-def: $vgpr13_vgpr14
	s_and_saveexec_b64 s[12:13], s[8:9]
	s_xor_b64 s[8:9], exec, s[12:13]
	s_cbranch_execnz .LBB47_1057
; %bb.13:
	s_andn2_saveexec_b64 s[8:9], s[8:9]
	s_cbranch_execnz .LBB47_1062
.LBB47_14:
	s_or_b64 exec, exec, s[8:9]
	s_and_saveexec_b64 s[8:9], s[10:11]
.LBB47_15:
	v_add_u32_e32 v1, v2, v17
	v_lshl_add_u32 v15, v2, 6, v0
	v_cndmask_b32_e64 v1, v15, v1, s[2:3]
	v_lshlrev_b32_e32 v1, 3, v1
	ds_write_b64 v1, v[13:14]
.LBB47_16:
	s_or_b64 exec, exec, s[8:9]
	v_add_u32_e32 v1, 16, v2
	v_mad_u64_u32 v[15:16], s[2:3], s40, v1, v[11:12]
	v_cmp_le_u32_e32 vcc, v0, v1
	s_mov_b64 s[8:9], 0
	v_mov_b32_e32 v13, v16
	v_mad_u64_u32 v[13:14], s[2:3], s41, v1, v[13:14]
	v_mov_b32_e32 v16, v13
                                        ; implicit-def: $vgpr13_vgpr14
	s_and_saveexec_b64 s[2:3], vcc
	s_xor_b64 s[2:3], exec, s[2:3]
	s_cbranch_execnz .LBB47_1063
; %bb.17:
	s_andn2_saveexec_b64 s[2:3], s[2:3]
	s_cbranch_execnz .LBB47_1068
.LBB47_18:
	s_or_b64 exec, exec, s[2:3]
	s_and_saveexec_b64 s[2:3], s[8:9]
.LBB47_19:
	v_add_u32_e32 v15, v1, v17
	v_lshl_add_u32 v1, v1, 6, v0
	v_cndmask_b32_e64 v1, v1, v15, s[0:1]
	v_lshlrev_b32_e32 v1, 3, v1
	ds_write_b64 v1, v[13:14]
.LBB47_20:
	s_or_b64 exec, exec, s[2:3]
	v_add_u32_e32 v1, 32, v2
	v_mad_u64_u32 v[15:16], s[2:3], s40, v1, v[11:12]
	v_cmp_le_u32_e32 vcc, v0, v1
	s_mov_b64 s[8:9], 0
	v_mov_b32_e32 v13, v16
	v_mad_u64_u32 v[13:14], s[2:3], s41, v1, v[13:14]
	v_mov_b32_e32 v16, v13
                                        ; implicit-def: $vgpr13_vgpr14
	s_and_saveexec_b64 s[2:3], vcc
	s_xor_b64 s[2:3], exec, s[2:3]
	s_cbranch_execnz .LBB47_1069
; %bb.21:
	s_andn2_saveexec_b64 s[2:3], s[2:3]
	s_cbranch_execnz .LBB47_1074
.LBB47_22:
	s_or_b64 exec, exec, s[2:3]
	s_and_saveexec_b64 s[2:3], s[8:9]
.LBB47_23:
	v_add_u32_e32 v15, v1, v17
	v_lshl_add_u32 v1, v1, 6, v0
	v_cndmask_b32_e64 v1, v1, v15, s[0:1]
	v_lshlrev_b32_e32 v1, 3, v1
	ds_write_b64 v1, v[13:14]
.LBB47_24:
	s_or_b64 exec, exec, s[2:3]
	v_add_u32_e32 v1, 48, v2
	v_mad_u64_u32 v[15:16], s[2:3], s40, v1, v[11:12]
	v_cmp_le_u32_e32 vcc, v0, v1
	s_mov_b64 s[10:11], 0
	v_mov_b32_e32 v13, v16
	v_mad_u64_u32 v[13:14], s[2:3], s41, v1, v[13:14]
	v_mov_b32_e32 v16, v13
                                        ; implicit-def: $vgpr13_vgpr14
	s_and_saveexec_b64 s[2:3], vcc
	s_xor_b64 s[2:3], exec, s[2:3]
	s_cbranch_execz .LBB47_30
; %bb.25:
	v_cmp_ne_u32_e32 vcc, v0, v1
	s_mov_b64 s[8:9], 0
	s_and_saveexec_b64 s[10:11], vcc
	s_xor_b64 s[10:11], exec, s[10:11]
; %bb.26:
	v_or_b32_e32 v13, v1, v0
	v_cmp_gt_u32_e32 vcc, 64, v13
	s_and_b64 s[8:9], vcc, exec
                                        ; implicit-def: $vgpr15_vgpr16
; %bb.27:
	s_or_saveexec_b64 s[10:11], s[10:11]
	v_mov_b32_e32 v13, 0
	v_mov_b32_e32 v14, 0
	s_xor_b64 exec, exec, s[10:11]
	s_cbranch_execz .LBB47_29
; %bb.28:
	v_lshlrev_b64 v[13:14], 3, v[15:16]
	v_mov_b32_e32 v15, s60
	v_add_co_u32_e32 v13, vcc, s91, v13
	v_addc_co_u32_e32 v14, vcc, v15, v14, vcc
	global_load_dwordx2 v[13:14], v[13:14], off
	s_or_b64 s[8:9], s[8:9], exec
	s_waitcnt vmcnt(0)
	v_div_scale_f64 v[15:16], s[12:13], v[13:14], v[13:14], 1.0
	v_div_scale_f64 v[22:23], vcc, 1.0, v[13:14], 1.0
	v_rcp_f64_e32 v[18:19], v[15:16]
	v_fma_f64 v[20:21], -v[15:16], v[18:19], 1.0
	v_fma_f64 v[18:19], v[18:19], v[20:21], v[18:19]
	v_fma_f64 v[20:21], -v[15:16], v[18:19], 1.0
	v_fma_f64 v[18:19], v[18:19], v[20:21], v[18:19]
	v_mul_f64 v[20:21], v[22:23], v[18:19]
	v_fma_f64 v[15:16], -v[15:16], v[20:21], v[22:23]
	v_div_fmas_f64 v[15:16], v[15:16], v[18:19], v[20:21]
	v_div_fixup_f64 v[13:14], v[15:16], v[13:14], 1.0
.LBB47_29:
	s_or_b64 exec, exec, s[10:11]
	s_and_b64 s[10:11], s[8:9], exec
                                        ; implicit-def: $vgpr15_vgpr16
.LBB47_30:
	s_or_saveexec_b64 s[2:3], s[2:3]
	v_add_u32_e32 v18, v1, v17
	v_lshl_add_u32 v1, v1, 6, v0
	s_xor_b64 exec, exec, s[2:3]
	s_cbranch_execz .LBB47_32
; %bb.31:
	v_lshlrev_b64 v[13:14], 3, v[15:16]
	v_mov_b32_e32 v15, s60
	v_add_co_u32_e32 v13, vcc, s91, v13
	v_addc_co_u32_e32 v14, vcc, v15, v14, vcc
	global_load_dwordx2 v[13:14], v[13:14], off
	s_or_b64 s[10:11], s[10:11], exec
	s_waitcnt vmcnt(0)
	v_xor_b32_e32 v14, 0x80000000, v14
.LBB47_32:
	s_or_b64 exec, exec, s[2:3]
	v_cndmask_b32_e64 v1, v1, v18, s[0:1]
	s_branch .LBB47_55
.LBB47_33:
	s_mov_b64 s[10:11], 0
                                        ; implicit-def: $vgpr13_vgpr14
                                        ; implicit-def: $vgpr1
	s_and_b64 vcc, exec, s[12:13]
	s_cbranch_vccz .LBB47_55
; %bb.34:
	v_mad_u64_u32 v[13:14], s[2:3], s40, v2, v[11:12]
	v_cmp_le_u32_e32 vcc, v0, v2
	v_cmp_gt_i32_e64 s[2:3], s90, v0
	v_mov_b32_e32 v1, v14
	v_mad_u64_u32 v[14:15], s[8:9], s41, v2, v[1:2]
	v_max_i32_e32 v1, v2, v0
	v_cmp_le_i32_e64 s[8:9], s90, v1
	s_or_b64 s[8:9], s[8:9], vcc
	s_mov_b64 s[12:13], 0
                                        ; implicit-def: $vgpr15_vgpr16
	s_and_saveexec_b64 s[14:15], s[8:9]
	s_xor_b64 s[8:9], exec, s[14:15]
	s_cbranch_execnz .LBB47_1075
; %bb.35:
	s_andn2_saveexec_b64 s[8:9], s[8:9]
	s_cbranch_execnz .LBB47_1080
.LBB47_36:
	s_or_b64 exec, exec, s[8:9]
	s_and_saveexec_b64 s[8:9], s[12:13]
.LBB47_37:
	v_lshlrev_b32_e32 v1, 3, v17
	v_lshl_add_u32 v1, v2, 3, v1
	ds_write_b64 v1, v[15:16]
.LBB47_38:
	s_or_b64 exec, exec, s[8:9]
	v_add_u32_e32 v1, 16, v2
	v_mad_u64_u32 v[13:14], s[8:9], s40, v1, v[11:12]
	v_cmp_gt_u32_e32 vcc, v0, v1
	s_mov_b64 s[12:13], 0
	v_mad_u64_u32 v[14:15], s[8:9], s41, v1, v[14:15]
	v_cmp_gt_i32_e64 s[8:9], s90, v1
	s_and_b64 s[8:9], vcc, s[8:9]
	s_and_b64 s[8:9], s[2:3], s[8:9]
	s_xor_b64 s[8:9], s[8:9], -1
                                        ; implicit-def: $vgpr15_vgpr16
	s_and_saveexec_b64 s[14:15], s[8:9]
	s_xor_b64 s[8:9], exec, s[14:15]
	s_cbranch_execnz .LBB47_1081
; %bb.39:
	s_andn2_saveexec_b64 s[8:9], s[8:9]
	s_cbranch_execnz .LBB47_1086
.LBB47_40:
	s_or_b64 exec, exec, s[8:9]
	s_and_saveexec_b64 s[8:9], s[12:13]
.LBB47_41:
	v_add_u32_e32 v13, v1, v17
	v_lshl_add_u32 v1, v1, 6, v0
	v_cndmask_b32_e64 v1, v1, v13, s[0:1]
	v_lshlrev_b32_e32 v1, 3, v1
	ds_write_b64 v1, v[15:16]
.LBB47_42:
	s_or_b64 exec, exec, s[8:9]
	v_add_u32_e32 v1, 32, v2
	v_mad_u64_u32 v[13:14], s[8:9], s40, v1, v[11:12]
	v_cmp_gt_u32_e32 vcc, v0, v1
	s_mov_b64 s[12:13], 0
	v_mad_u64_u32 v[14:15], s[8:9], s41, v1, v[14:15]
	v_cmp_gt_i32_e64 s[8:9], s90, v1
	s_and_b64 s[8:9], vcc, s[8:9]
	s_and_b64 s[8:9], s[2:3], s[8:9]
	s_xor_b64 s[8:9], s[8:9], -1
                                        ; implicit-def: $vgpr15_vgpr16
	s_and_saveexec_b64 s[14:15], s[8:9]
	s_xor_b64 s[8:9], exec, s[14:15]
	s_cbranch_execnz .LBB47_1087
; %bb.43:
	s_andn2_saveexec_b64 s[8:9], s[8:9]
	s_cbranch_execnz .LBB47_1092
.LBB47_44:
	s_or_b64 exec, exec, s[8:9]
	s_and_saveexec_b64 s[8:9], s[12:13]
.LBB47_45:
	v_add_u32_e32 v13, v1, v17
	v_lshl_add_u32 v1, v1, 6, v0
	v_cndmask_b32_e64 v1, v1, v13, s[0:1]
	v_lshlrev_b32_e32 v1, 3, v1
	ds_write_b64 v1, v[15:16]
.LBB47_46:
	s_or_b64 exec, exec, s[8:9]
	v_add_u32_e32 v1, 48, v2
	v_mad_u64_u32 v[11:12], s[8:9], s40, v1, v[11:12]
	v_cmp_gt_u32_e32 vcc, v0, v1
	v_mad_u64_u32 v[12:13], s[8:9], s41, v1, v[12:13]
	v_cmp_gt_i32_e64 s[8:9], s90, v1
	s_and_b64 s[8:9], vcc, s[8:9]
	s_and_b64 s[8:9], s[2:3], s[8:9]
	s_xor_b64 s[8:9], s[8:9], -1
                                        ; implicit-def: $vgpr13_vgpr14
	s_and_saveexec_b64 s[12:13], s[8:9]
	s_xor_b64 s[8:9], exec, s[12:13]
	s_cbranch_execz .LBB47_52
; %bb.47:
	v_cmp_ne_u32_e32 vcc, v0, v1
	s_xor_b64 s[2:3], s[2:3], -1
	s_or_b64 s[12:13], s[2:3], vcc
	s_mov_b64 s[2:3], s[10:11]
	s_and_saveexec_b64 s[14:15], s[12:13]
	s_xor_b64 s[12:13], exec, s[14:15]
; %bb.48:
	v_or_b32_e32 v11, v1, v0
	v_cmp_gt_u32_e32 vcc, 64, v11
	s_andn2_b64 s[2:3], s[10:11], exec
	s_and_b64 s[14:15], vcc, exec
	s_or_b64 s[2:3], s[2:3], s[14:15]
                                        ; implicit-def: $vgpr11_vgpr12
; %bb.49:
	s_or_saveexec_b64 s[12:13], s[12:13]
	v_mov_b32_e32 v13, 0
	v_mov_b32_e32 v14, 0
	s_xor_b64 exec, exec, s[12:13]
	s_cbranch_execz .LBB47_51
; %bb.50:
	v_lshlrev_b64 v[11:12], 3, v[11:12]
	v_mov_b32_e32 v13, s60
	v_add_co_u32_e32 v11, vcc, s91, v11
	v_addc_co_u32_e32 v12, vcc, v13, v12, vcc
	global_load_dwordx2 v[11:12], v[11:12], off
	s_or_b64 s[2:3], s[2:3], exec
	s_waitcnt vmcnt(0)
	v_div_scale_f64 v[13:14], s[14:15], v[11:12], v[11:12], 1.0
	v_div_scale_f64 v[20:21], vcc, 1.0, v[11:12], 1.0
	v_rcp_f64_e32 v[15:16], v[13:14]
	v_fma_f64 v[18:19], -v[13:14], v[15:16], 1.0
	v_fma_f64 v[15:16], v[15:16], v[18:19], v[15:16]
	v_fma_f64 v[18:19], -v[13:14], v[15:16], 1.0
	v_fma_f64 v[15:16], v[15:16], v[18:19], v[15:16]
	v_mul_f64 v[18:19], v[20:21], v[15:16]
	v_fma_f64 v[13:14], -v[13:14], v[18:19], v[20:21]
	v_div_fmas_f64 v[13:14], v[13:14], v[15:16], v[18:19]
	v_div_fixup_f64 v[13:14], v[13:14], v[11:12], 1.0
.LBB47_51:
	s_or_b64 exec, exec, s[12:13]
	s_andn2_b64 s[10:11], s[10:11], exec
	s_and_b64 s[2:3], s[2:3], exec
	s_or_b64 s[10:11], s[10:11], s[2:3]
                                        ; implicit-def: $vgpr11_vgpr12
.LBB47_52:
	s_or_saveexec_b64 s[2:3], s[8:9]
	v_add_u32_e32 v15, v1, v17
	v_lshl_add_u32 v1, v1, 6, v0
	s_xor_b64 exec, exec, s[2:3]
	s_cbranch_execz .LBB47_54
; %bb.53:
	v_lshlrev_b64 v[11:12], 3, v[11:12]
	v_mov_b32_e32 v13, s60
	v_add_co_u32_e32 v11, vcc, s91, v11
	v_addc_co_u32_e32 v12, vcc, v13, v12, vcc
	global_load_dwordx2 v[13:14], v[11:12], off
	s_or_b64 s[10:11], s[10:11], exec
	s_waitcnt vmcnt(0)
	v_xor_b32_e32 v14, 0x80000000, v14
.LBB47_54:
	s_or_b64 exec, exec, s[2:3]
	v_cndmask_b32_e64 v1, v1, v15, s[0:1]
.LBB47_55:
	s_xor_b64 s[0:1], s[0:1], -1
	s_and_saveexec_b64 s[2:3], s[10:11]
; %bb.56:
	v_lshlrev_b32_e32 v1, 3, v1
	ds_write_b64 v1, v[13:14]
; %bb.57:
	s_or_b64 exec, exec, s[2:3]
	v_cndmask_b32_e64 v1, 0, 1, s[0:1]
	v_cmp_ne_u32_e64 s[2:3], 1, v1
                                        ; implicit-def: $vgpr42 : SGPR spill to VGPR lane
	s_andn2_b64 vcc, exec, s[0:1]
	v_writelane_b32 v42, s2, 0
	s_waitcnt vmcnt(0) lgkmcnt(0)
	s_barrier
	v_writelane_b32 v42, s3, 1
	s_cbranch_vccnz .LBB47_987
; %bb.58:
	v_or_b32_e32 v1, v0, v2
	v_cmp_eq_u32_e32 vcc, 0, v1
	s_and_saveexec_b64 s[0:1], vcc
	s_cbranch_execz .LBB47_60
; %bb.59:
	v_mov_b32_e32 v1, 0
	ds_read_b128 v[11:14], v1
	ds_read_b64 v[15:16], v1 offset:520
	s_waitcnt lgkmcnt(0)
	v_mul_f64 v[11:12], v[11:12], v[15:16]
	v_mul_f64 v[11:12], v[13:14], v[11:12]
	ds_write2_b64 v1, v[11:12], v[11:12] offset0:1 offset1:64
.LBB47_60:
	s_or_b64 exec, exec, s[0:1]
	v_lshl_add_u32 v14, v2, 6, v0
	v_and_b32_e32 v16, 1, v0
	v_lshrrev_b32_e32 v15, 1, v14
	v_lshlrev_b32_e32 v1, 3, v16
	v_mov_b32_e32 v11, 0
	v_cmp_lt_u32_e64 s[8:9], 3, v14
	v_cmp_gt_u32_e64 s[2:3], 4, v14
	v_mov_b32_e32 v12, 0
	v_lshl_or_b32 v1, v15, 9, v1
	s_waitcnt lgkmcnt(0)
	s_barrier
	s_and_saveexec_b64 s[0:1], s[2:3]
	s_cbranch_execz .LBB47_64
; %bb.61:
	v_mul_u32_u24_e32 v13, 0x208, v15
	ds_read_b64 v[11:12], v1 offset:16
	ds_read_b64 v[17:18], v13
	v_cmp_gt_u32_e64 s[10:11], 2, v14
	s_waitcnt lgkmcnt(0)
	v_fma_f64 v[11:12], v[11:12], v[17:18], 0
	s_and_saveexec_b64 s[12:13], s[10:11]
	s_cbranch_execz .LBB47_63
; %bb.62:
	v_lshlrev_b32_e32 v13, 3, v0
	v_mov_b32_e32 v19, 0
	ds_read_b64 v[17:18], v13 offset:528
	ds_read_b64 v[19:20], v19 offset:8
	s_waitcnt lgkmcnt(0)
	v_fma_f64 v[11:12], v[17:18], v[19:20], v[11:12]
.LBB47_63:
	s_or_b64 exec, exec, s[12:13]
	v_xor_b32_e32 v12, 0x80000000, v12
.LBB47_64:
	s_or_b64 exec, exec, s[0:1]
	v_mov_b32_e32 v13, 0x8000
	v_cmp_eq_u32_e64 s[10:11], 0, v16
	s_xor_b64 s[0:1], s[8:9], -1
	v_lshl_add_u32 v13, v15, 3, v13
	s_and_b64 s[30:31], s[10:11], s[0:1]
	s_and_saveexec_b64 s[8:9], s[30:31]
	s_cbranch_execz .LBB47_66
; %bb.65:
	v_mov_b32_e32 v17, 0
	ds_read_b64 v[17:18], v17 offset:1040
	s_waitcnt lgkmcnt(0)
	v_mul_f64 v[11:12], v[11:12], v[17:18]
	ds_write_b64 v13, v[11:12]
.LBB47_66:
	s_or_b64 exec, exec, s[8:9]
	v_cmp_ne_u32_e64 s[8:9], 0, v16
	s_and_b64 s[28:29], s[8:9], s[0:1]
	s_waitcnt lgkmcnt(0)
	s_barrier
	s_and_saveexec_b64 s[0:1], s[28:29]
	s_cbranch_execz .LBB47_68
; %bb.67:
	v_mov_b32_e32 v16, 0
	ds_read_b64 v[16:17], v16 offset:1048
	ds_read_b64 v[18:19], v13
	s_waitcnt lgkmcnt(0)
	v_fma_f64 v[11:12], v[16:17], v[18:19], v[11:12]
.LBB47_68:
	s_or_b64 exec, exec, s[0:1]
	s_barrier
	s_and_saveexec_b64 s[0:1], s[28:29]
	s_cbranch_execz .LBB47_70
; %bb.69:
	v_mov_b32_e32 v16, 0
	ds_read_b64 v[16:17], v16 offset:1560
	s_waitcnt lgkmcnt(0)
	v_mul_f64 v[11:12], v[11:12], v[16:17]
	ds_write_b64 v13, v[11:12]
.LBB47_70:
	s_or_b64 exec, exec, s[0:1]
	s_waitcnt lgkmcnt(0)
	s_barrier
	s_barrier
	s_and_saveexec_b64 s[0:1], s[2:3]
; %bb.71:
	v_xor_b32_e32 v12, 0x80000000, v12
	ds_write_b64 v1, v[11:12] offset:16
; %bb.72:
	s_or_b64 exec, exec, s[0:1]
	v_cmp_eq_u32_e64 s[12:13], 0, v2
	v_cmp_gt_u32_e64 s[8:9], 2, v0
	s_and_b64 s[34:35], s[12:13], s[8:9]
	s_waitcnt lgkmcnt(0)
	s_barrier
	s_barrier
	s_and_saveexec_b64 s[0:1], s[34:35]
	s_cbranch_execz .LBB47_74
; %bb.73:
	v_lshlrev_b32_e32 v16, 3, v0
	s_movk_i32 s8, 0x1f8
	v_mad_u32_u24 v17, v0, s8, v16
	ds_read_b64 v[11:12], v17 offset:16
	s_waitcnt lgkmcnt(0)
	ds_write_b64 v16, v[11:12] offset:1024
	ds_read_b64 v[11:12], v17 offset:24
	s_waitcnt lgkmcnt(0)
	ds_write_b64 v16, v[11:12] offset:1536
.LBB47_74:
	s_or_b64 exec, exec, s[0:1]
	s_waitcnt lgkmcnt(0)
	s_barrier
	s_and_saveexec_b64 s[0:1], vcc
	s_cbranch_execz .LBB47_76
; %bb.75:
	v_mov_b32_e32 v20, 0
	ds_read_b128 v[16:19], v20 offset:1040
	ds_read_b64 v[11:12], v20 offset:1560
	s_waitcnt lgkmcnt(0)
	v_mul_f64 v[11:12], v[16:17], v[11:12]
	v_mul_f64 v[11:12], v[18:19], v[11:12]
	ds_write2_b64 v20, v[11:12], v[11:12] offset0:131 offset1:194
.LBB47_76:
	s_or_b64 exec, exec, s[0:1]
	v_and_b32_e32 v19, 3, v0
	v_lshrrev_b32_e32 v20, 2, v14
	v_lshlrev_b32_e32 v17, 3, v19
	v_mov_b32_e32 v11, 0
	v_cmp_lt_u32_e64 s[8:9], 15, v14
	v_cmp_gt_u32_e64 s[18:19], 16, v14
	v_mov_b32_e32 v12, 0
	v_lshl_or_b32 v16, v20, 9, v17
	s_waitcnt lgkmcnt(0)
	s_barrier
	s_and_saveexec_b64 s[0:1], s[18:19]
	s_cbranch_execz .LBB47_82
; %bb.77:
	v_mul_u32_u24_e32 v18, 0x208, v20
	ds_read_b64 v[11:12], v16 offset:32
	ds_read_b64 v[21:22], v18
	v_cmp_gt_u32_e64 s[10:11], 12, v14
	s_waitcnt lgkmcnt(0)
	v_fma_f64 v[11:12], v[11:12], v[21:22], 0
	s_and_saveexec_b64 s[14:15], s[10:11]
	s_cbranch_execnz .LBB47_1097
; %bb.78:
	s_or_b64 exec, exec, s[14:15]
	v_cmp_gt_u32_e64 s[10:11], 8, v14
	s_and_saveexec_b64 s[14:15], s[10:11]
	s_cbranch_execnz .LBB47_1098
.LBB47_79:
	s_or_b64 exec, exec, s[14:15]
	v_cmp_gt_u32_e64 s[10:11], 4, v14
	s_and_saveexec_b64 s[14:15], s[10:11]
	s_cbranch_execz .LBB47_81
.LBB47_80:
	v_lshlrev_b32_e32 v18, 3, v0
	v_mov_b32_e32 v23, 0
	ds_read_b64 v[21:22], v18 offset:1568
	ds_read_b64 v[23:24], v23 offset:24
	s_waitcnt lgkmcnt(0)
	v_fma_f64 v[11:12], v[21:22], v[23:24], v[11:12]
.LBB47_81:
	s_or_b64 exec, exec, s[14:15]
	v_xor_b32_e32 v12, 0x80000000, v12
.LBB47_82:
	v_writelane_b32 v42, s38, 2
	s_or_b64 exec, exec, s[0:1]
	v_mov_b32_e32 v18, 0x8000
	v_cmp_eq_u32_e64 s[10:11], 0, v19
	s_xor_b64 s[0:1], s[8:9], -1
	v_lshl_add_u32 v18, v20, 3, v18
	s_and_b64 s[38:39], s[10:11], s[0:1]
	s_and_saveexec_b64 s[8:9], s[38:39]
	s_cbranch_execz .LBB47_84
; %bb.83:
	v_mov_b32_e32 v21, 0
	ds_read_b64 v[21:22], v21 offset:2080
	s_waitcnt lgkmcnt(0)
	v_mul_f64 v[11:12], v[11:12], v[21:22]
	ds_write_b64 v18, v[11:12]
.LBB47_84:
	s_or_b64 exec, exec, s[8:9]
	v_cmp_ne_u32_e64 s[8:9], 0, v19
	s_and_b64 s[42:43], s[8:9], s[0:1]
	s_waitcnt lgkmcnt(0)
	s_barrier
	s_and_saveexec_b64 s[8:9], s[42:43]
	s_cbranch_execz .LBB47_86
; %bb.85:
	ds_read_b64 v[21:22], v17 offset:2080
	ds_read_b64 v[23:24], v18
	s_waitcnt lgkmcnt(0)
	v_fma_f64 v[11:12], v[21:22], v[23:24], v[11:12]
.LBB47_86:
	s_or_b64 exec, exec, s[8:9]
	v_cmp_eq_u32_e64 s[8:9], 1, v19
	s_and_b64 s[52:53], s[8:9], s[0:1]
	s_barrier
	s_and_saveexec_b64 s[8:9], s[52:53]
	s_cbranch_execz .LBB47_88
; %bb.87:
	v_mov_b32_e32 v21, 0
	ds_read_b64 v[21:22], v21 offset:2600
	s_waitcnt lgkmcnt(0)
	v_mul_f64 v[11:12], v[11:12], v[21:22]
	ds_write_b64 v18, v[11:12]
.LBB47_88:
	s_or_b64 exec, exec, s[8:9]
	v_cmp_lt_u32_e64 s[8:9], 1, v19
	s_and_b64 s[54:55], s[8:9], s[0:1]
	s_waitcnt lgkmcnt(0)
	s_barrier
	s_and_saveexec_b64 s[8:9], s[54:55]
	s_cbranch_execz .LBB47_90
; %bb.89:
	ds_read_b64 v[21:22], v17 offset:2592
	ds_read_b64 v[23:24], v18
	s_waitcnt lgkmcnt(0)
	v_fma_f64 v[11:12], v[21:22], v[23:24], v[11:12]
.LBB47_90:
	s_or_b64 exec, exec, s[8:9]
	v_cmp_eq_u32_e64 s[8:9], 2, v19
	s_and_b64 s[56:57], s[8:9], s[0:1]
	s_barrier
	s_and_saveexec_b64 s[8:9], s[56:57]
	s_cbranch_execz .LBB47_92
; %bb.91:
	v_mov_b32_e32 v21, 0
	ds_read_b64 v[21:22], v21 offset:3120
	s_waitcnt lgkmcnt(0)
	v_mul_f64 v[11:12], v[11:12], v[21:22]
	ds_write_b64 v18, v[11:12]
.LBB47_92:
	s_or_b64 exec, exec, s[8:9]
	v_cmp_eq_u32_e64 s[8:9], 3, v19
	s_and_b64 s[36:37], s[8:9], s[0:1]
	s_waitcnt lgkmcnt(0)
	s_barrier
	s_and_saveexec_b64 s[0:1], s[36:37]
	s_cbranch_execz .LBB47_94
; %bb.93:
	v_mov_b32_e32 v21, 0
	ds_read_b64 v[21:22], v21 offset:3128
	ds_read_b64 v[23:24], v18
	s_waitcnt lgkmcnt(0)
	v_fma_f64 v[11:12], v[21:22], v[23:24], v[11:12]
.LBB47_94:
	s_or_b64 exec, exec, s[0:1]
	s_barrier
	s_and_saveexec_b64 s[0:1], s[36:37]
	s_cbranch_execz .LBB47_96
; %bb.95:
	v_mov_b32_e32 v21, 0
	ds_read_b64 v[21:22], v21 offset:3640
	s_waitcnt lgkmcnt(0)
	v_mul_f64 v[11:12], v[11:12], v[21:22]
	ds_write_b64 v18, v[11:12]
.LBB47_96:
	s_or_b64 exec, exec, s[0:1]
	s_waitcnt lgkmcnt(0)
	s_barrier
	s_barrier
	s_and_saveexec_b64 s[0:1], s[18:19]
; %bb.97:
	v_xor_b32_e32 v12, 0x80000000, v12
	ds_write_b64 v16, v[11:12] offset:32
; %bb.98:
	s_or_b64 exec, exec, s[0:1]
	v_cmp_gt_u32_e64 s[8:9], 4, v0
	s_and_b64 s[58:59], s[12:13], s[8:9]
	s_waitcnt lgkmcnt(0)
	s_barrier
	s_barrier
	s_and_saveexec_b64 s[0:1], s[58:59]
	s_cbranch_execz .LBB47_100
; %bb.99:
	v_lshlrev_b32_e32 v21, 9, v0
	ds_read_b64 v[11:12], v21 offset:32
	s_movk_i32 s8, 0xfe08
	v_mad_i32_i24 v22, v0, s8, v21
	s_waitcnt lgkmcnt(0)
	ds_write_b64 v22, v[11:12] offset:2048
	ds_read_b64 v[11:12], v21 offset:40
	s_waitcnt lgkmcnt(0)
	ds_write_b64 v22, v[11:12] offset:2560
	ds_read_b64 v[11:12], v21 offset:48
	;; [unrolled: 3-line block ×3, first 2 shown]
	s_waitcnt lgkmcnt(0)
	ds_write_b64 v22, v[11:12] offset:3584
.LBB47_100:
	s_or_b64 exec, exec, s[0:1]
	s_waitcnt lgkmcnt(0)
	s_barrier
	s_and_saveexec_b64 s[0:1], vcc
	s_cbranch_execz .LBB47_102
; %bb.101:
	v_mov_b32_e32 v11, 0
	ds_read_b128 v[21:24], v11 offset:2080
	ds_read_b64 v[11:12], v11 offset:2600
	s_movk_i32 s8, 0x800
	s_waitcnt lgkmcnt(0)
	v_mul_f64 v[11:12], v[21:22], v[11:12]
	v_add_u32_e64 v21, s8, 0
	v_mul_f64 v[11:12], v[23:24], v[11:12]
	ds_write2_b64 v21, v[11:12], v[11:12] offset0:5 offset1:68
.LBB47_102:
	s_or_b64 exec, exec, s[0:1]
	v_mov_b32_e32 v11, 0
	v_mov_b32_e32 v12, 0
	s_waitcnt lgkmcnt(0)
	s_barrier
	s_and_saveexec_b64 s[0:1], s[2:3]
	s_cbranch_execz .LBB47_106
; %bb.103:
	v_mul_u32_u24_e32 v21, 0x208, v15
	ds_read_b64 v[11:12], v1 offset:2096
	ds_read_b64 v[21:22], v21 offset:2080
	v_cmp_gt_u32_e64 s[8:9], 2, v14
	s_waitcnt lgkmcnt(0)
	v_fma_f64 v[11:12], v[11:12], v[21:22], 0
	s_and_saveexec_b64 s[10:11], s[8:9]
	s_cbranch_execz .LBB47_105
; %bb.104:
	v_lshlrev_b32_e32 v21, 3, v0
	v_mov_b32_e32 v23, 0
	ds_read_b64 v[21:22], v21 offset:2608
	ds_read_b64 v[23:24], v23 offset:2088
	s_waitcnt lgkmcnt(0)
	v_fma_f64 v[11:12], v[21:22], v[23:24], v[11:12]
.LBB47_105:
	s_or_b64 exec, exec, s[10:11]
	v_xor_b32_e32 v12, 0x80000000, v12
.LBB47_106:
	s_or_b64 exec, exec, s[0:1]
	s_and_saveexec_b64 s[0:1], s[30:31]
	s_cbranch_execz .LBB47_108
; %bb.107:
	v_mov_b32_e32 v21, 0
	ds_read_b64 v[21:22], v21 offset:3120
	s_waitcnt lgkmcnt(0)
	v_mul_f64 v[11:12], v[11:12], v[21:22]
	ds_write_b64 v13, v[11:12]
.LBB47_108:
	s_or_b64 exec, exec, s[0:1]
	s_waitcnt lgkmcnt(0)
	s_barrier
	s_and_saveexec_b64 s[0:1], s[28:29]
	s_cbranch_execz .LBB47_110
; %bb.109:
	v_mov_b32_e32 v21, 0
	ds_read_b64 v[21:22], v21 offset:3128
	ds_read_b64 v[23:24], v13
	s_waitcnt lgkmcnt(0)
	v_fma_f64 v[11:12], v[21:22], v[23:24], v[11:12]
.LBB47_110:
	s_or_b64 exec, exec, s[0:1]
	s_barrier
	s_and_saveexec_b64 s[0:1], s[28:29]
	s_cbranch_execz .LBB47_112
; %bb.111:
	v_mov_b32_e32 v21, 0
	ds_read_b64 v[21:22], v21 offset:3640
	s_waitcnt lgkmcnt(0)
	v_mul_f64 v[11:12], v[11:12], v[21:22]
	ds_write_b64 v13, v[11:12]
.LBB47_112:
	s_or_b64 exec, exec, s[0:1]
	s_waitcnt lgkmcnt(0)
	s_barrier
	s_barrier
	s_and_saveexec_b64 s[0:1], s[2:3]
; %bb.113:
	v_xor_b32_e32 v12, 0x80000000, v12
	ds_write_b64 v1, v[11:12] offset:2096
; %bb.114:
	s_or_b64 exec, exec, s[0:1]
	s_waitcnt lgkmcnt(0)
	s_barrier
	s_barrier
	s_and_saveexec_b64 s[0:1], s[34:35]
	s_cbranch_execz .LBB47_116
; %bb.115:
	v_lshlrev_b32_e32 v21, 3, v0
	s_movk_i32 s8, 0x1f8
	v_mad_u32_u24 v22, v0, s8, v21
	ds_read_b64 v[11:12], v22 offset:2096
	s_waitcnt lgkmcnt(0)
	ds_write_b64 v21, v[11:12] offset:3104
	ds_read_b64 v[11:12], v22 offset:2104
	s_waitcnt lgkmcnt(0)
	ds_write_b64 v21, v[11:12] offset:3616
.LBB47_116:
	s_or_b64 exec, exec, s[0:1]
	s_waitcnt lgkmcnt(0)
	s_barrier
	s_and_saveexec_b64 s[0:1], vcc
	s_cbranch_execz .LBB47_118
; %bb.117:
	v_mov_b32_e32 v11, 0
	ds_read_b128 v[21:24], v11 offset:3120
	ds_read_b64 v[11:12], v11 offset:3640
	s_movk_i32 s8, 0x800
	s_waitcnt lgkmcnt(0)
	v_mul_f64 v[11:12], v[21:22], v[11:12]
	v_add_u32_e64 v21, s8, 0
	v_mul_f64 v[11:12], v[23:24], v[11:12]
	ds_write2_b64 v21, v[11:12], v[11:12] offset0:135 offset1:198
.LBB47_118:
	s_or_b64 exec, exec, s[0:1]
	v_and_b32_e32 v24, 7, v0
	v_lshrrev_b32_e32 v25, 3, v14
	v_lshlrev_b32_e32 v22, 3, v24
	v_mov_b32_e32 v11, 0
	v_cmp_lt_u32_e64 s[10:11], 63, v14
	v_cmp_gt_u32_e64 s[8:9], 64, v14
	v_mov_b32_e32 v12, 0
	v_lshl_or_b32 v21, v25, 9, v22
	s_waitcnt lgkmcnt(0)
	s_barrier
	s_and_saveexec_b64 s[0:1], s[8:9]
	s_cbranch_execz .LBB47_128
; %bb.119:
	v_mul_u32_u24_e32 v23, 0x208, v25
	ds_read_b64 v[11:12], v21 offset:64
	ds_read_b64 v[26:27], v23
	v_cmp_gt_u32_e64 s[14:15], 56, v14
	s_waitcnt lgkmcnt(0)
	v_fma_f64 v[11:12], v[11:12], v[26:27], 0
	s_and_saveexec_b64 s[16:17], s[14:15]
	s_cbranch_execnz .LBB47_1099
; %bb.120:
	s_or_b64 exec, exec, s[16:17]
	v_cmp_gt_u32_e64 s[14:15], 48, v14
	s_and_saveexec_b64 s[16:17], s[14:15]
	s_cbranch_execnz .LBB47_1100
.LBB47_121:
	s_or_b64 exec, exec, s[16:17]
	v_cmp_gt_u32_e64 s[14:15], 40, v14
	s_and_saveexec_b64 s[16:17], s[14:15]
	s_cbranch_execnz .LBB47_1101
.LBB47_122:
	s_or_b64 exec, exec, s[16:17]
	v_cmp_gt_u32_e64 s[14:15], 32, v14
	s_and_saveexec_b64 s[16:17], s[14:15]
	s_cbranch_execnz .LBB47_1102
.LBB47_123:
	s_or_b64 exec, exec, s[16:17]
	v_cmp_gt_u32_e64 s[14:15], 24, v14
	s_and_saveexec_b64 s[16:17], s[14:15]
	s_cbranch_execnz .LBB47_1103
.LBB47_124:
	s_or_b64 exec, exec, s[16:17]
	v_cmp_gt_u32_e64 s[14:15], 16, v14
	s_and_saveexec_b64 s[16:17], s[14:15]
	s_cbranch_execnz .LBB47_1104
.LBB47_125:
	s_or_b64 exec, exec, s[16:17]
	v_cmp_gt_u32_e64 s[14:15], 8, v14
	s_and_saveexec_b64 s[16:17], s[14:15]
	s_cbranch_execz .LBB47_127
.LBB47_126:
	v_lshlrev_b32_e32 v23, 3, v0
	v_mov_b32_e32 v28, 0
	ds_read_b64 v[26:27], v23 offset:3648
	ds_read_b64 v[28:29], v28 offset:56
	s_waitcnt lgkmcnt(0)
	v_fma_f64 v[11:12], v[26:27], v[28:29], v[11:12]
.LBB47_127:
	s_or_b64 exec, exec, s[16:17]
	v_xor_b32_e32 v12, 0x80000000, v12
.LBB47_128:
	s_or_b64 exec, exec, s[0:1]
	v_mov_b32_e32 v23, 0x8000
	v_lshl_add_u32 v23, v25, 3, v23
	v_cmp_eq_u32_e64 s[14:15], 0, v24
	s_xor_b64 s[0:1], s[10:11], -1
	s_and_b64 s[14:15], s[14:15], s[0:1]
	s_mov_b64 s[10:11], exec
	v_writelane_b32 v42, s14, 3
	v_writelane_b32 v42, s15, 4
	s_and_b64 s[14:15], s[10:11], s[14:15]
	s_mov_b64 exec, s[14:15]
	s_cbranch_execz .LBB47_130
; %bb.129:
	v_mov_b32_e32 v26, 0
	ds_read_b64 v[26:27], v26 offset:4160
	s_waitcnt lgkmcnt(0)
	v_mul_f64 v[11:12], v[11:12], v[26:27]
	ds_write_b64 v23, v[11:12]
.LBB47_130:
	s_or_b64 exec, exec, s[10:11]
	v_cmp_ne_u32_e64 s[10:11], 0, v24
	s_and_b64 s[62:63], s[10:11], s[0:1]
	s_waitcnt lgkmcnt(0)
	s_barrier
	s_and_saveexec_b64 s[10:11], s[62:63]
	s_cbranch_execz .LBB47_132
; %bb.131:
	ds_read_b64 v[26:27], v22 offset:4160
	ds_read_b64 v[28:29], v23
	s_waitcnt lgkmcnt(0)
	v_fma_f64 v[11:12], v[26:27], v[28:29], v[11:12]
.LBB47_132:
	s_or_b64 exec, exec, s[10:11]
	v_cmp_eq_u32_e64 s[10:11], 1, v24
	s_and_b64 s[64:65], s[10:11], s[0:1]
	s_barrier
	s_and_saveexec_b64 s[10:11], s[64:65]
	s_cbranch_execz .LBB47_134
; %bb.133:
	v_mov_b32_e32 v26, 0
	ds_read_b64 v[26:27], v26 offset:4680
	s_waitcnt lgkmcnt(0)
	v_mul_f64 v[11:12], v[11:12], v[26:27]
	ds_write_b64 v23, v[11:12]
.LBB47_134:
	s_or_b64 exec, exec, s[10:11]
	v_cmp_lt_u32_e64 s[10:11], 1, v24
	s_and_b64 s[66:67], s[10:11], s[0:1]
	s_waitcnt lgkmcnt(0)
	s_barrier
	s_and_saveexec_b64 s[10:11], s[66:67]
	s_cbranch_execz .LBB47_136
; %bb.135:
	ds_read_b64 v[26:27], v22 offset:4672
	ds_read_b64 v[28:29], v23
	s_waitcnt lgkmcnt(0)
	v_fma_f64 v[11:12], v[26:27], v[28:29], v[11:12]
.LBB47_136:
	s_or_b64 exec, exec, s[10:11]
	v_cmp_eq_u32_e64 s[10:11], 2, v24
	s_and_b64 s[68:69], s[10:11], s[0:1]
	s_barrier
	s_and_saveexec_b64 s[10:11], s[68:69]
	s_cbranch_execz .LBB47_138
; %bb.137:
	v_mov_b32_e32 v26, 0
	ds_read_b64 v[26:27], v26 offset:5200
	s_waitcnt lgkmcnt(0)
	v_mul_f64 v[11:12], v[11:12], v[26:27]
	ds_write_b64 v23, v[11:12]
.LBB47_138:
	s_or_b64 exec, exec, s[10:11]
	v_cmp_lt_u32_e64 s[10:11], 2, v24
	;; [unrolled: 26-line block ×5, first 2 shown]
	s_and_b64 s[84:85], s[10:11], s[0:1]
	s_waitcnt lgkmcnt(0)
	s_barrier
	s_and_saveexec_b64 s[10:11], s[84:85]
	s_cbranch_execz .LBB47_152
; %bb.151:
	ds_read_b64 v[26:27], v22 offset:6720
	ds_read_b64 v[28:29], v23
	s_waitcnt lgkmcnt(0)
	v_fma_f64 v[11:12], v[26:27], v[28:29], v[11:12]
.LBB47_152:
	s_or_b64 exec, exec, s[10:11]
	v_cmp_eq_u32_e64 s[10:11], 6, v24
	s_and_b64 s[86:87], s[10:11], s[0:1]
	s_barrier
	s_and_saveexec_b64 s[10:11], s[86:87]
	s_cbranch_execz .LBB47_154
; %bb.153:
	v_mov_b32_e32 v26, 0
	ds_read_b64 v[26:27], v26 offset:7280
	s_waitcnt lgkmcnt(0)
	v_mul_f64 v[11:12], v[11:12], v[26:27]
	ds_write_b64 v23, v[11:12]
.LBB47_154:
	s_or_b64 exec, exec, s[10:11]
	v_cmp_eq_u32_e64 s[10:11], 7, v24
	s_and_b64 s[70:71], s[10:11], s[0:1]
	s_waitcnt lgkmcnt(0)
	s_barrier
	s_and_saveexec_b64 s[0:1], s[70:71]
	s_cbranch_execz .LBB47_156
; %bb.155:
	v_mov_b32_e32 v26, 0
	ds_read_b64 v[26:27], v26 offset:7288
	ds_read_b64 v[28:29], v23
	s_waitcnt lgkmcnt(0)
	v_fma_f64 v[11:12], v[26:27], v[28:29], v[11:12]
.LBB47_156:
	s_or_b64 exec, exec, s[0:1]
	s_barrier
	s_and_saveexec_b64 s[0:1], s[70:71]
	s_cbranch_execz .LBB47_158
; %bb.157:
	v_mov_b32_e32 v26, 0
	ds_read_b64 v[26:27], v26 offset:7800
	s_waitcnt lgkmcnt(0)
	v_mul_f64 v[11:12], v[11:12], v[26:27]
	ds_write_b64 v23, v[11:12]
.LBB47_158:
	s_or_b64 exec, exec, s[0:1]
	s_waitcnt lgkmcnt(0)
	s_barrier
	s_barrier
	s_and_saveexec_b64 s[0:1], s[8:9]
; %bb.159:
	v_xor_b32_e32 v12, 0x80000000, v12
	ds_write_b64 v21, v[11:12] offset:64
; %bb.160:
	s_or_b64 exec, exec, s[0:1]
	v_cmp_gt_u32_e64 s[10:11], 8, v0
	s_and_b64 s[88:89], s[12:13], s[10:11]
	s_waitcnt lgkmcnt(0)
	s_barrier
	s_barrier
	s_and_saveexec_b64 s[0:1], s[88:89]
	s_cbranch_execz .LBB47_162
; %bb.161:
	v_lshlrev_b32_e32 v26, 9, v0
	ds_read_b64 v[11:12], v26 offset:64
	s_movk_i32 s10, 0xfe08
	v_mad_i32_i24 v27, v0, s10, v26
	s_waitcnt lgkmcnt(0)
	ds_write_b64 v27, v[11:12] offset:4096
	ds_read_b64 v[11:12], v26 offset:72
	s_waitcnt lgkmcnt(0)
	ds_write_b64 v27, v[11:12] offset:4608
	ds_read_b64 v[11:12], v26 offset:80
	;; [unrolled: 3-line block ×7, first 2 shown]
	s_waitcnt lgkmcnt(0)
	ds_write_b64 v27, v[11:12] offset:7680
.LBB47_162:
	s_or_b64 exec, exec, s[0:1]
	s_waitcnt lgkmcnt(0)
	s_barrier
	s_and_saveexec_b64 s[0:1], vcc
	s_cbranch_execz .LBB47_164
; %bb.163:
	v_mov_b32_e32 v11, 0
	ds_read_b128 v[26:29], v11 offset:4160
	ds_read_b64 v[11:12], v11 offset:4680
	s_movk_i32 s10, 0x1000
	s_waitcnt lgkmcnt(0)
	v_mul_f64 v[11:12], v[26:27], v[11:12]
	v_add_u32_e64 v26, s10, 0
	v_mul_f64 v[11:12], v[28:29], v[11:12]
	ds_write2_b64 v26, v[11:12], v[11:12] offset0:9 offset1:72
.LBB47_164:
	s_or_b64 exec, exec, s[0:1]
	v_mov_b32_e32 v11, 0
	v_mov_b32_e32 v12, 0
	s_waitcnt lgkmcnt(0)
	s_barrier
	s_and_saveexec_b64 s[0:1], s[2:3]
	s_cbranch_execz .LBB47_168
; %bb.165:
	v_mul_u32_u24_e32 v26, 0x208, v15
	ds_read_b64 v[11:12], v1 offset:4176
	ds_read_b64 v[26:27], v26 offset:4160
	v_cmp_gt_u32_e64 s[10:11], 2, v14
	s_waitcnt lgkmcnt(0)
	v_fma_f64 v[11:12], v[11:12], v[26:27], 0
	s_and_saveexec_b64 s[14:15], s[10:11]
	s_cbranch_execz .LBB47_167
; %bb.166:
	v_lshlrev_b32_e32 v26, 3, v0
	v_mov_b32_e32 v28, 0
	ds_read_b64 v[26:27], v26 offset:4688
	ds_read_b64 v[28:29], v28 offset:4168
	s_waitcnt lgkmcnt(0)
	v_fma_f64 v[11:12], v[26:27], v[28:29], v[11:12]
.LBB47_167:
	s_or_b64 exec, exec, s[14:15]
	v_xor_b32_e32 v12, 0x80000000, v12
.LBB47_168:
	s_or_b64 exec, exec, s[0:1]
	s_and_saveexec_b64 s[0:1], s[30:31]
	s_cbranch_execz .LBB47_170
; %bb.169:
	v_mov_b32_e32 v26, 0
	ds_read_b64 v[26:27], v26 offset:5200
	s_waitcnt lgkmcnt(0)
	v_mul_f64 v[11:12], v[11:12], v[26:27]
	ds_write_b64 v13, v[11:12]
.LBB47_170:
	s_or_b64 exec, exec, s[0:1]
	s_waitcnt lgkmcnt(0)
	s_barrier
	s_and_saveexec_b64 s[0:1], s[28:29]
	s_cbranch_execz .LBB47_172
; %bb.171:
	v_mov_b32_e32 v26, 0
	ds_read_b64 v[26:27], v26 offset:5208
	ds_read_b64 v[28:29], v13
	s_waitcnt lgkmcnt(0)
	v_fma_f64 v[11:12], v[26:27], v[28:29], v[11:12]
.LBB47_172:
	s_or_b64 exec, exec, s[0:1]
	s_barrier
	s_and_saveexec_b64 s[0:1], s[28:29]
	s_cbranch_execz .LBB47_174
; %bb.173:
	v_mov_b32_e32 v26, 0
	ds_read_b64 v[26:27], v26 offset:5720
	s_waitcnt lgkmcnt(0)
	v_mul_f64 v[11:12], v[11:12], v[26:27]
	ds_write_b64 v13, v[11:12]
.LBB47_174:
	s_or_b64 exec, exec, s[0:1]
	s_waitcnt lgkmcnt(0)
	s_barrier
	s_barrier
	s_and_saveexec_b64 s[0:1], s[2:3]
; %bb.175:
	v_xor_b32_e32 v12, 0x80000000, v12
	ds_write_b64 v1, v[11:12] offset:4176
; %bb.176:
	s_or_b64 exec, exec, s[0:1]
	s_waitcnt lgkmcnt(0)
	s_barrier
	s_barrier
	s_and_saveexec_b64 s[0:1], s[34:35]
	s_cbranch_execz .LBB47_178
; %bb.177:
	v_lshlrev_b32_e32 v26, 3, v0
	s_movk_i32 s10, 0x1f8
	v_mad_u32_u24 v27, v0, s10, v26
	ds_read_b64 v[11:12], v27 offset:4176
	s_waitcnt lgkmcnt(0)
	ds_write_b64 v26, v[11:12] offset:5184
	ds_read_b64 v[11:12], v27 offset:4184
	s_waitcnt lgkmcnt(0)
	ds_write_b64 v26, v[11:12] offset:5696
.LBB47_178:
	s_or_b64 exec, exec, s[0:1]
	s_waitcnt lgkmcnt(0)
	s_barrier
	s_and_saveexec_b64 s[0:1], vcc
	s_cbranch_execz .LBB47_180
; %bb.179:
	v_mov_b32_e32 v11, 0
	ds_read_b128 v[26:29], v11 offset:5200
	ds_read_b64 v[11:12], v11 offset:5720
	s_movk_i32 s10, 0x1000
	s_waitcnt lgkmcnt(0)
	v_mul_f64 v[11:12], v[26:27], v[11:12]
	v_add_u32_e64 v26, s10, 0
	v_mul_f64 v[11:12], v[28:29], v[11:12]
	ds_write2_b64 v26, v[11:12], v[11:12] offset0:139 offset1:202
.LBB47_180:
	s_or_b64 exec, exec, s[0:1]
	v_mov_b32_e32 v11, 0
	v_mov_b32_e32 v12, 0
	s_waitcnt lgkmcnt(0)
	s_barrier
	s_and_saveexec_b64 s[0:1], s[18:19]
	s_cbranch_execz .LBB47_186
; %bb.181:
	v_mul_u32_u24_e32 v26, 0x208, v20
	ds_read_b64 v[11:12], v16 offset:4192
	ds_read_b64 v[27:28], v26 offset:4160
	v_cmp_gt_u32_e64 s[10:11], 12, v14
	s_waitcnt lgkmcnt(0)
	v_fma_f64 v[11:12], v[11:12], v[27:28], 0
	s_and_saveexec_b64 s[14:15], s[10:11]
	s_cbranch_execnz .LBB47_1105
; %bb.182:
	s_or_b64 exec, exec, s[14:15]
	v_cmp_gt_u32_e64 s[10:11], 8, v14
	s_and_saveexec_b64 s[14:15], s[10:11]
	s_cbranch_execnz .LBB47_1106
.LBB47_183:
	s_or_b64 exec, exec, s[14:15]
	v_cmp_gt_u32_e64 s[10:11], 4, v14
	s_and_saveexec_b64 s[14:15], s[10:11]
	s_cbranch_execz .LBB47_185
.LBB47_184:
	v_lshlrev_b32_e32 v26, 3, v0
	v_mov_b32_e32 v28, 0
	ds_read_b64 v[26:27], v26 offset:5728
	ds_read_b64 v[28:29], v28 offset:4184
	s_waitcnt lgkmcnt(0)
	v_fma_f64 v[11:12], v[26:27], v[28:29], v[11:12]
.LBB47_185:
	s_or_b64 exec, exec, s[14:15]
	v_xor_b32_e32 v12, 0x80000000, v12
.LBB47_186:
	s_or_b64 exec, exec, s[0:1]
	s_and_saveexec_b64 s[0:1], s[38:39]
	s_cbranch_execz .LBB47_188
; %bb.187:
	v_mov_b32_e32 v26, 0
	ds_read_b64 v[26:27], v26 offset:6240
	s_waitcnt lgkmcnt(0)
	v_mul_f64 v[11:12], v[11:12], v[26:27]
	ds_write_b64 v18, v[11:12]
.LBB47_188:
	s_or_b64 exec, exec, s[0:1]
	s_waitcnt lgkmcnt(0)
	s_barrier
	s_and_saveexec_b64 s[0:1], s[42:43]
	s_cbranch_execz .LBB47_190
; %bb.189:
	ds_read_b64 v[26:27], v17 offset:6240
	ds_read_b64 v[28:29], v18
	s_waitcnt lgkmcnt(0)
	v_fma_f64 v[11:12], v[26:27], v[28:29], v[11:12]
.LBB47_190:
	s_or_b64 exec, exec, s[0:1]
	s_barrier
	s_and_saveexec_b64 s[0:1], s[52:53]
	s_cbranch_execz .LBB47_192
; %bb.191:
	v_mov_b32_e32 v26, 0
	ds_read_b64 v[26:27], v26 offset:6760
	s_waitcnt lgkmcnt(0)
	v_mul_f64 v[11:12], v[11:12], v[26:27]
	ds_write_b64 v18, v[11:12]
.LBB47_192:
	s_or_b64 exec, exec, s[0:1]
	s_waitcnt lgkmcnt(0)
	s_barrier
	s_and_saveexec_b64 s[0:1], s[54:55]
	s_cbranch_execz .LBB47_194
; %bb.193:
	ds_read_b64 v[26:27], v17 offset:6752
	ds_read_b64 v[28:29], v18
	s_waitcnt lgkmcnt(0)
	v_fma_f64 v[11:12], v[26:27], v[28:29], v[11:12]
.LBB47_194:
	s_or_b64 exec, exec, s[0:1]
	s_barrier
	s_and_saveexec_b64 s[0:1], s[56:57]
	s_cbranch_execz .LBB47_196
; %bb.195:
	v_mov_b32_e32 v26, 0
	ds_read_b64 v[26:27], v26 offset:7280
	s_waitcnt lgkmcnt(0)
	v_mul_f64 v[11:12], v[11:12], v[26:27]
	ds_write_b64 v18, v[11:12]
.LBB47_196:
	s_or_b64 exec, exec, s[0:1]
	s_waitcnt lgkmcnt(0)
	s_barrier
	s_and_saveexec_b64 s[0:1], s[36:37]
	s_cbranch_execz .LBB47_198
; %bb.197:
	v_mov_b32_e32 v26, 0
	ds_read_b64 v[26:27], v26 offset:7288
	ds_read_b64 v[28:29], v18
	s_waitcnt lgkmcnt(0)
	v_fma_f64 v[11:12], v[26:27], v[28:29], v[11:12]
.LBB47_198:
	s_or_b64 exec, exec, s[0:1]
	s_barrier
	s_and_saveexec_b64 s[0:1], s[36:37]
	s_cbranch_execz .LBB47_200
; %bb.199:
	v_mov_b32_e32 v26, 0
	ds_read_b64 v[26:27], v26 offset:7800
	s_waitcnt lgkmcnt(0)
	v_mul_f64 v[11:12], v[11:12], v[26:27]
	ds_write_b64 v18, v[11:12]
.LBB47_200:
	s_or_b64 exec, exec, s[0:1]
	s_waitcnt lgkmcnt(0)
	s_barrier
	s_barrier
	s_and_saveexec_b64 s[0:1], s[18:19]
; %bb.201:
	v_xor_b32_e32 v12, 0x80000000, v12
	ds_write_b64 v16, v[11:12] offset:4192
; %bb.202:
	s_or_b64 exec, exec, s[0:1]
	s_waitcnt lgkmcnt(0)
	s_barrier
	s_barrier
	s_and_saveexec_b64 s[0:1], s[58:59]
	s_cbranch_execz .LBB47_204
; %bb.203:
	v_lshlrev_b32_e32 v26, 9, v0
	ds_read_b64 v[11:12], v26 offset:4192
	s_movk_i32 s10, 0xfe08
	v_mad_i32_i24 v27, v0, s10, v26
	s_waitcnt lgkmcnt(0)
	ds_write_b64 v27, v[11:12] offset:6208
	ds_read_b64 v[11:12], v26 offset:4200
	s_waitcnt lgkmcnt(0)
	ds_write_b64 v27, v[11:12] offset:6720
	ds_read_b64 v[11:12], v26 offset:4208
	;; [unrolled: 3-line block ×3, first 2 shown]
	s_waitcnt lgkmcnt(0)
	ds_write_b64 v27, v[11:12] offset:7744
.LBB47_204:
	s_or_b64 exec, exec, s[0:1]
	s_waitcnt lgkmcnt(0)
	s_barrier
	s_and_saveexec_b64 s[0:1], vcc
	s_cbranch_execz .LBB47_206
; %bb.205:
	v_mov_b32_e32 v11, 0
	ds_read_b128 v[26:29], v11 offset:6240
	ds_read_b64 v[11:12], v11 offset:6760
	s_movk_i32 s10, 0x1800
	s_waitcnt lgkmcnt(0)
	v_mul_f64 v[11:12], v[26:27], v[11:12]
	v_add_u32_e64 v26, s10, 0
	v_mul_f64 v[11:12], v[28:29], v[11:12]
	ds_write2_b64 v26, v[11:12], v[11:12] offset0:13 offset1:76
.LBB47_206:
	s_or_b64 exec, exec, s[0:1]
	v_mov_b32_e32 v11, 0
	v_mov_b32_e32 v12, 0
	s_waitcnt lgkmcnt(0)
	s_barrier
	s_and_saveexec_b64 s[0:1], s[2:3]
	s_cbranch_execz .LBB47_210
; %bb.207:
	v_mul_u32_u24_e32 v26, 0x208, v15
	ds_read_b64 v[11:12], v1 offset:6256
	ds_read_b64 v[26:27], v26 offset:6240
	v_cmp_gt_u32_e64 s[10:11], 2, v14
	s_waitcnt lgkmcnt(0)
	v_fma_f64 v[11:12], v[11:12], v[26:27], 0
	s_and_saveexec_b64 s[14:15], s[10:11]
	s_cbranch_execz .LBB47_209
; %bb.208:
	v_lshlrev_b32_e32 v26, 3, v0
	v_mov_b32_e32 v28, 0
	ds_read_b64 v[26:27], v26 offset:6768
	ds_read_b64 v[28:29], v28 offset:6248
	s_waitcnt lgkmcnt(0)
	v_fma_f64 v[11:12], v[26:27], v[28:29], v[11:12]
.LBB47_209:
	s_or_b64 exec, exec, s[14:15]
	v_xor_b32_e32 v12, 0x80000000, v12
.LBB47_210:
	s_or_b64 exec, exec, s[0:1]
	s_and_saveexec_b64 s[0:1], s[30:31]
	s_cbranch_execz .LBB47_212
; %bb.211:
	v_mov_b32_e32 v26, 0
	ds_read_b64 v[26:27], v26 offset:7280
	s_waitcnt lgkmcnt(0)
	v_mul_f64 v[11:12], v[11:12], v[26:27]
	ds_write_b64 v13, v[11:12]
.LBB47_212:
	s_or_b64 exec, exec, s[0:1]
	s_waitcnt lgkmcnt(0)
	s_barrier
	s_and_saveexec_b64 s[0:1], s[28:29]
	s_cbranch_execz .LBB47_214
; %bb.213:
	v_mov_b32_e32 v26, 0
	ds_read_b64 v[26:27], v26 offset:7288
	ds_read_b64 v[28:29], v13
	s_waitcnt lgkmcnt(0)
	v_fma_f64 v[11:12], v[26:27], v[28:29], v[11:12]
.LBB47_214:
	s_or_b64 exec, exec, s[0:1]
	s_barrier
	s_and_saveexec_b64 s[0:1], s[28:29]
	s_cbranch_execz .LBB47_216
; %bb.215:
	v_mov_b32_e32 v26, 0
	ds_read_b64 v[26:27], v26 offset:7800
	s_waitcnt lgkmcnt(0)
	v_mul_f64 v[11:12], v[11:12], v[26:27]
	ds_write_b64 v13, v[11:12]
.LBB47_216:
	s_or_b64 exec, exec, s[0:1]
	s_waitcnt lgkmcnt(0)
	s_barrier
	s_barrier
	s_and_saveexec_b64 s[0:1], s[2:3]
; %bb.217:
	v_xor_b32_e32 v12, 0x80000000, v12
	ds_write_b64 v1, v[11:12] offset:6256
; %bb.218:
	s_or_b64 exec, exec, s[0:1]
	s_waitcnt lgkmcnt(0)
	s_barrier
	s_barrier
	s_and_saveexec_b64 s[0:1], s[34:35]
	s_cbranch_execz .LBB47_220
; %bb.219:
	v_lshlrev_b32_e32 v26, 3, v0
	s_movk_i32 s10, 0x1f8
	v_mad_u32_u24 v27, v0, s10, v26
	ds_read_b64 v[11:12], v27 offset:6256
	s_waitcnt lgkmcnt(0)
	ds_write_b64 v26, v[11:12] offset:7264
	ds_read_b64 v[11:12], v27 offset:6264
	s_waitcnt lgkmcnt(0)
	ds_write_b64 v26, v[11:12] offset:7776
.LBB47_220:
	s_or_b64 exec, exec, s[0:1]
	s_waitcnt lgkmcnt(0)
	s_barrier
	s_and_saveexec_b64 s[0:1], vcc
	s_cbranch_execz .LBB47_222
; %bb.221:
	v_mov_b32_e32 v11, 0
	ds_read_b128 v[26:29], v11 offset:7280
	ds_read_b64 v[11:12], v11 offset:7800
	s_movk_i32 s10, 0x1800
	s_waitcnt lgkmcnt(0)
	v_mul_f64 v[11:12], v[26:27], v[11:12]
	v_add_u32_e64 v26, s10, 0
	v_mul_f64 v[11:12], v[28:29], v[11:12]
	ds_write2_b64 v26, v[11:12], v[11:12] offset0:143 offset1:206
.LBB47_222:
	s_or_b64 exec, exec, s[0:1]
	v_lshrrev_b32_e32 v30, 4, v14
	v_and_b32_e32 v27, 15, v0
	s_movk_i32 s0, 0xff
	v_lshlrev_b32_e32 v29, 6, v30
	v_cmp_lt_u32_e64 s[14:15], s0, v14
	s_movk_i32 s0, 0x100
	v_or_b32_e32 v26, v29, v27
	v_mov_b32_e32 v11, 0
	v_cmp_gt_u32_e64 s[10:11], s0, v14
	v_mov_b32_e32 v12, 0
	v_lshlrev_b32_e32 v26, 3, v26
	s_waitcnt lgkmcnt(0)
	s_barrier
	s_and_saveexec_b64 s[0:1], s[10:11]
	s_cbranch_execz .LBB47_250
; %bb.223:
	v_mul_u32_u24_e32 v28, 0x208, v30
	ds_read_b64 v[11:12], v26 offset:128
	ds_read_b64 v[31:32], v28
	s_movk_i32 s16, 0xf0
	v_cmp_gt_u32_e64 s[16:17], s16, v14
	s_waitcnt lgkmcnt(0)
	v_fma_f64 v[11:12], v[11:12], v[31:32], 0
	s_and_saveexec_b64 s[20:21], s[16:17]
	s_cbranch_execz .LBB47_225
; %bb.224:
	v_lshlrev_b32_e32 v31, 3, v30
	v_sub_u32_e32 v31, v28, v31
	v_lshl_add_u32 v31, v27, 3, v31
	ds_read_b64 v[31:32], v31 offset:640
	ds_read_b64 v[33:34], v28 offset:8
	s_waitcnt lgkmcnt(0)
	v_fma_f64 v[11:12], v[31:32], v[33:34], v[11:12]
.LBB47_225:
	s_or_b64 exec, exec, s[20:21]
	s_movk_i32 s16, 0xe0
	v_cmp_gt_u32_e64 s[16:17], s16, v14
	s_and_saveexec_b64 s[20:21], s[16:17]
	s_cbranch_execz .LBB47_227
; %bb.226:
	v_lshlrev_b32_e32 v31, 3, v30
	v_sub_u32_e32 v31, v28, v31
	v_lshl_add_u32 v31, v27, 3, v31
	ds_read_b64 v[31:32], v31 offset:1152
	ds_read_b64 v[33:34], v28 offset:16
	s_waitcnt lgkmcnt(0)
	v_fma_f64 v[11:12], v[31:32], v[33:34], v[11:12]
.LBB47_227:
	s_or_b64 exec, exec, s[20:21]
	s_movk_i32 s16, 0xd0
	v_cmp_gt_u32_e64 s[16:17], s16, v14
	;; [unrolled: 14-line block ×7, first 2 shown]
	s_and_saveexec_b64 s[20:21], s[16:17]
	s_cbranch_execz .LBB47_239
; %bb.238:
	ds_read_b64 v[31:32], v26 offset:4224
	ds_read_b64 v[33:34], v28 offset:64
	s_waitcnt lgkmcnt(0)
	v_fma_f64 v[11:12], v[31:32], v[33:34], v[11:12]
.LBB47_239:
	s_or_b64 exec, exec, s[20:21]
	s_movk_i32 s16, 0x70
	v_cmp_gt_u32_e64 s[16:17], s16, v14
	s_and_saveexec_b64 s[20:21], s[16:17]
	s_cbranch_execz .LBB47_241
; %bb.240:
	v_lshlrev_b32_e32 v31, 3, v30
	v_sub_u32_e32 v31, v28, v31
	v_lshl_add_u32 v31, v27, 3, v31
	ds_read_b64 v[31:32], v31 offset:4736
	ds_read_b64 v[33:34], v28 offset:72
	s_waitcnt lgkmcnt(0)
	v_fma_f64 v[11:12], v[31:32], v[33:34], v[11:12]
.LBB47_241:
	s_or_b64 exec, exec, s[20:21]
	s_movk_i32 s16, 0x60
	v_cmp_gt_u32_e64 s[16:17], s16, v14
	s_and_saveexec_b64 s[20:21], s[16:17]
	s_cbranch_execz .LBB47_243
; %bb.242:
	v_lshlrev_b32_e32 v31, 3, v27
	v_lshl_add_u32 v31, v29, 3, v31
	ds_read_b64 v[31:32], v31 offset:5248
	ds_read_b64 v[33:34], v28 offset:80
	s_waitcnt lgkmcnt(0)
	v_fma_f64 v[11:12], v[31:32], v[33:34], v[11:12]
.LBB47_243:
	s_or_b64 exec, exec, s[20:21]
	s_movk_i32 s16, 0x50
	v_cmp_gt_u32_e64 s[16:17], s16, v14
	s_and_saveexec_b64 s[20:21], s[16:17]
	s_cbranch_execnz .LBB47_1107
; %bb.244:
	s_or_b64 exec, exec, s[20:21]
	v_cmp_gt_u32_e64 s[16:17], 64, v14
	s_and_saveexec_b64 s[20:21], s[16:17]
	s_cbranch_execnz .LBB47_1108
.LBB47_245:
	s_or_b64 exec, exec, s[20:21]
	v_cmp_gt_u32_e64 s[16:17], 48, v14
	s_and_saveexec_b64 s[20:21], s[16:17]
	s_cbranch_execnz .LBB47_1109
.LBB47_246:
	s_or_b64 exec, exec, s[20:21]
	v_cmp_gt_u32_e64 s[16:17], 32, v14
	s_and_saveexec_b64 s[20:21], s[16:17]
	s_cbranch_execnz .LBB47_1110
.LBB47_247:
	s_or_b64 exec, exec, s[20:21]
	v_cmp_gt_u32_e64 s[16:17], 16, v14
	s_and_saveexec_b64 s[20:21], s[16:17]
	s_cbranch_execz .LBB47_249
.LBB47_248:
	v_lshlrev_b32_e32 v28, 3, v0
	v_mov_b32_e32 v33, 0
	ds_read_b64 v[31:32], v28 offset:7808
	ds_read_b64 v[33:34], v33 offset:120
	s_waitcnt lgkmcnt(0)
	v_fma_f64 v[11:12], v[31:32], v[33:34], v[11:12]
.LBB47_249:
	s_or_b64 exec, exec, s[20:21]
	v_xor_b32_e32 v12, 0x80000000, v12
.LBB47_250:
	s_or_b64 exec, exec, s[0:1]
	v_mov_b32_e32 v28, 0x8000
	v_lshl_add_u32 v28, v30, 3, v28
	v_cmp_eq_u32_e64 s[16:17], 0, v27
	s_xor_b64 s[20:21], s[14:15], -1
	s_and_b64 s[14:15], s[16:17], s[20:21]
	s_mov_b64 s[0:1], exec
	v_writelane_b32 v42, s14, 5
	v_writelane_b32 v42, s15, 6
	s_and_b64 s[14:15], s[0:1], s[14:15]
	s_mov_b64 exec, s[14:15]
	s_cbranch_execz .LBB47_252
; %bb.251:
	v_mov_b32_e32 v31, 0
	ds_read_b64 v[31:32], v31 offset:8320
	s_waitcnt lgkmcnt(0)
	v_mul_f64 v[11:12], v[11:12], v[31:32]
	ds_write_b64 v28, v[11:12]
.LBB47_252:
	s_or_b64 exec, exec, s[0:1]
	v_cmp_ne_u32_e64 s[14:15], 0, v27
	s_waitcnt lgkmcnt(0)
	s_barrier
	s_and_b64 s[14:15], s[14:15], s[20:21]
	s_mov_b64 s[0:1], exec
	v_writelane_b32 v42, s14, 7
	v_writelane_b32 v42, s15, 8
	s_and_b64 s[14:15], s[0:1], s[14:15]
	s_mov_b64 exec, s[14:15]
	s_cbranch_execz .LBB47_254
; %bb.253:
	v_lshlrev_b32_e32 v31, 3, v27
	ds_read_b64 v[31:32], v31 offset:8320
	ds_read_b64 v[33:34], v28
	s_waitcnt lgkmcnt(0)
	v_fma_f64 v[11:12], v[31:32], v[33:34], v[11:12]
.LBB47_254:
	s_or_b64 exec, exec, s[0:1]
	v_cmp_eq_u32_e64 s[14:15], 1, v27
	s_barrier
	s_and_b64 s[14:15], s[14:15], s[20:21]
	s_mov_b64 s[0:1], exec
	v_writelane_b32 v42, s14, 9
	v_writelane_b32 v42, s15, 10
	s_and_b64 s[14:15], s[0:1], s[14:15]
	s_mov_b64 exec, s[14:15]
	s_cbranch_execz .LBB47_256
; %bb.255:
	v_mov_b32_e32 v31, 0
	ds_read_b64 v[31:32], v31 offset:8840
	s_waitcnt lgkmcnt(0)
	v_mul_f64 v[11:12], v[11:12], v[31:32]
	ds_write_b64 v28, v[11:12]
.LBB47_256:
	s_or_b64 exec, exec, s[0:1]
	v_cmp_lt_u32_e64 s[14:15], 1, v27
	s_waitcnt lgkmcnt(0)
	s_barrier
	s_and_b64 s[14:15], s[14:15], s[20:21]
	s_mov_b64 s[0:1], exec
	v_writelane_b32 v42, s14, 11
	v_writelane_b32 v42, s15, 12
	s_and_b64 s[14:15], s[0:1], s[14:15]
	s_mov_b64 exec, s[14:15]
	s_cbranch_execz .LBB47_258
; %bb.257:
	v_lshlrev_b32_e32 v31, 3, v27
	ds_read_b64 v[31:32], v31 offset:8832
	ds_read_b64 v[33:34], v28
	s_waitcnt lgkmcnt(0)
	v_fma_f64 v[11:12], v[31:32], v[33:34], v[11:12]
.LBB47_258:
	s_or_b64 exec, exec, s[0:1]
	v_cmp_eq_u32_e64 s[14:15], 2, v27
	s_barrier
	s_and_b64 s[14:15], s[14:15], s[20:21]
	s_mov_b64 s[0:1], exec
	v_writelane_b32 v42, s14, 13
	v_writelane_b32 v42, s15, 14
	s_and_b64 s[14:15], s[0:1], s[14:15]
	s_mov_b64 exec, s[14:15]
	s_cbranch_execz .LBB47_260
; %bb.259:
	v_mov_b32_e32 v31, 0
	ds_read_b64 v[31:32], v31 offset:9360
	s_waitcnt lgkmcnt(0)
	v_mul_f64 v[11:12], v[11:12], v[31:32]
	ds_write_b64 v28, v[11:12]
.LBB47_260:
	s_or_b64 exec, exec, s[0:1]
	v_cmp_lt_u32_e64 s[14:15], 2, v27
	;; [unrolled: 35-line block ×13, first 2 shown]
	s_waitcnt lgkmcnt(0)
	s_barrier
	s_and_b64 s[14:15], s[14:15], s[20:21]
	s_mov_b64 s[0:1], exec
	v_writelane_b32 v42, s14, 59
	v_writelane_b32 v42, s15, 60
	s_and_b64 s[14:15], s[0:1], s[14:15]
	s_mov_b64 exec, s[14:15]
	s_cbranch_execz .LBB47_306
; %bb.305:
	v_lshlrev_b32_e32 v31, 3, v27
	ds_read_b64 v[31:32], v31 offset:14976
	ds_read_b64 v[33:34], v28
	s_waitcnt lgkmcnt(0)
	v_fma_f64 v[11:12], v[31:32], v[33:34], v[11:12]
.LBB47_306:
	s_or_b64 exec, exec, s[0:1]
	v_cmp_eq_u32_e64 s[14:15], 14, v27
	s_barrier
	s_and_b64 s[14:15], s[14:15], s[20:21]
	s_mov_b64 s[0:1], exec
	v_writelane_b32 v42, s14, 61
	v_writelane_b32 v42, s15, 62
	s_and_b64 s[14:15], s[0:1], s[14:15]
	s_mov_b64 exec, s[14:15]
	s_cbranch_execz .LBB47_308
; %bb.307:
	v_mov_b32_e32 v31, 0
	ds_read_b64 v[31:32], v31 offset:15600
	s_waitcnt lgkmcnt(0)
	v_mul_f64 v[11:12], v[11:12], v[31:32]
	ds_write_b64 v28, v[11:12]
.LBB47_308:
	s_or_b64 exec, exec, s[0:1]
	v_cmp_eq_u32_e64 s[14:15], 15, v27
	s_and_b64 s[92:93], s[14:15], s[20:21]
	s_waitcnt lgkmcnt(0)
	s_barrier
	s_and_saveexec_b64 s[0:1], s[92:93]
	s_cbranch_execz .LBB47_310
; %bb.309:
	v_mov_b32_e32 v31, 0
	ds_read_b64 v[31:32], v31 offset:15608
	ds_read_b64 v[33:34], v28
	s_waitcnt lgkmcnt(0)
	v_fma_f64 v[11:12], v[31:32], v[33:34], v[11:12]
.LBB47_310:
	s_or_b64 exec, exec, s[0:1]
	s_barrier
	s_and_saveexec_b64 s[0:1], s[92:93]
	s_cbranch_execz .LBB47_312
; %bb.311:
	v_mov_b32_e32 v31, 0
	ds_read_b64 v[31:32], v31 offset:16120
	s_waitcnt lgkmcnt(0)
	v_mul_f64 v[11:12], v[11:12], v[31:32]
	ds_write_b64 v28, v[11:12]
.LBB47_312:
	s_or_b64 exec, exec, s[0:1]
	s_waitcnt lgkmcnt(0)
	s_barrier
	s_barrier
	s_and_saveexec_b64 s[0:1], s[10:11]
; %bb.313:
	v_xor_b32_e32 v12, 0x80000000, v12
	ds_write_b64 v26, v[11:12] offset:128
; %bb.314:
	s_or_b64 exec, exec, s[0:1]
	v_cmp_gt_u32_e64 s[14:15], 16, v0
	s_waitcnt lgkmcnt(0)
	s_barrier
	s_barrier
	s_and_b64 s[0:1], s[12:13], s[14:15]
	s_mov_b64 s[14:15], exec
                                        ; implicit-def: $vgpr41 : SGPR spill to VGPR lane
	v_writelane_b32 v42, s0, 63
	v_writelane_b32 v41, s1, 0
	s_and_b64 s[0:1], s[14:15], s[0:1]
	s_mov_b64 exec, s[0:1]
	s_cbranch_execz .LBB47_316
; %bb.315:
	v_lshlrev_b32_e32 v31, 9, v0
	ds_read_b64 v[11:12], v31 offset:128
	s_movk_i32 s0, 0xfe08
	v_mad_i32_i24 v32, v0, s0, v31
	s_waitcnt lgkmcnt(0)
	ds_write_b64 v32, v[11:12] offset:8192
	ds_read_b64 v[11:12], v31 offset:136
	s_waitcnt lgkmcnt(0)
	ds_write_b64 v32, v[11:12] offset:8704
	ds_read_b64 v[11:12], v31 offset:144
	;; [unrolled: 3-line block ×15, first 2 shown]
	s_waitcnt lgkmcnt(0)
	ds_write_b64 v32, v[11:12] offset:15872
.LBB47_316:
	s_or_b64 exec, exec, s[14:15]
	s_waitcnt lgkmcnt(0)
	s_barrier
	s_and_saveexec_b64 s[14:15], vcc
	s_cbranch_execz .LBB47_318
; %bb.317:
	v_mov_b32_e32 v11, 0
	ds_read_b128 v[31:34], v11 offset:8320
	ds_read_b64 v[11:12], v11 offset:8840
	s_movk_i32 s0, 0x2000
	s_waitcnt lgkmcnt(0)
	v_mul_f64 v[11:12], v[31:32], v[11:12]
	v_add_u32_e64 v31, s0, 0
	v_mul_f64 v[11:12], v[33:34], v[11:12]
	ds_write2_b64 v31, v[11:12], v[11:12] offset0:17 offset1:80
.LBB47_318:
	s_or_b64 exec, exec, s[14:15]
	v_mov_b32_e32 v11, 0
	v_mov_b32_e32 v12, 0
	s_waitcnt lgkmcnt(0)
	s_barrier
	s_and_saveexec_b64 s[16:17], s[2:3]
	s_cbranch_execz .LBB47_322
; %bb.319:
	v_mul_u32_u24_e32 v31, 0x208, v15
	ds_read_b64 v[11:12], v1 offset:8336
	ds_read_b64 v[31:32], v31 offset:8320
	v_cmp_gt_u32_e64 s[14:15], 2, v14
	s_waitcnt lgkmcnt(0)
	v_fma_f64 v[11:12], v[11:12], v[31:32], 0
	s_and_saveexec_b64 s[20:21], s[14:15]
	s_cbranch_execz .LBB47_321
; %bb.320:
	v_lshlrev_b32_e32 v31, 3, v0
	v_mov_b32_e32 v33, 0
	ds_read_b64 v[31:32], v31 offset:8848
	ds_read_b64 v[33:34], v33 offset:8328
	s_waitcnt lgkmcnt(0)
	v_fma_f64 v[11:12], v[31:32], v[33:34], v[11:12]
.LBB47_321:
	s_or_b64 exec, exec, s[20:21]
	v_xor_b32_e32 v12, 0x80000000, v12
.LBB47_322:
	s_or_b64 exec, exec, s[16:17]
	s_and_saveexec_b64 s[0:1], s[30:31]
	s_cbranch_execz .LBB47_324
; %bb.323:
	v_mov_b32_e32 v31, 0
	ds_read_b64 v[31:32], v31 offset:9360
	s_waitcnt lgkmcnt(0)
	v_mul_f64 v[11:12], v[11:12], v[31:32]
	ds_write_b64 v13, v[11:12]
.LBB47_324:
	s_or_b64 exec, exec, s[0:1]
	s_waitcnt lgkmcnt(0)
	s_barrier
	s_and_saveexec_b64 s[0:1], s[28:29]
	s_cbranch_execz .LBB47_326
; %bb.325:
	v_mov_b32_e32 v31, 0
	ds_read_b64 v[31:32], v31 offset:9368
	ds_read_b64 v[33:34], v13
	s_waitcnt lgkmcnt(0)
	v_fma_f64 v[11:12], v[31:32], v[33:34], v[11:12]
.LBB47_326:
	s_or_b64 exec, exec, s[0:1]
	s_barrier
	s_and_saveexec_b64 s[0:1], s[28:29]
	s_cbranch_execz .LBB47_328
; %bb.327:
	v_mov_b32_e32 v31, 0
	ds_read_b64 v[31:32], v31 offset:9880
	s_waitcnt lgkmcnt(0)
	v_mul_f64 v[11:12], v[11:12], v[31:32]
	ds_write_b64 v13, v[11:12]
.LBB47_328:
	s_or_b64 exec, exec, s[0:1]
	s_waitcnt lgkmcnt(0)
	s_barrier
	s_barrier
	s_and_saveexec_b64 s[0:1], s[2:3]
; %bb.329:
	v_xor_b32_e32 v12, 0x80000000, v12
	ds_write_b64 v1, v[11:12] offset:8336
; %bb.330:
	s_or_b64 exec, exec, s[0:1]
	s_waitcnt lgkmcnt(0)
	s_barrier
	s_barrier
	s_and_saveexec_b64 s[14:15], s[34:35]
	s_cbranch_execz .LBB47_332
; %bb.331:
	v_lshlrev_b32_e32 v31, 3, v0
	s_movk_i32 s0, 0x1f8
	v_mad_u32_u24 v32, v0, s0, v31
	ds_read_b64 v[11:12], v32 offset:8336
	s_waitcnt lgkmcnt(0)
	ds_write_b64 v31, v[11:12] offset:9344
	ds_read_b64 v[11:12], v32 offset:8344
	s_waitcnt lgkmcnt(0)
	ds_write_b64 v31, v[11:12] offset:9856
.LBB47_332:
	s_or_b64 exec, exec, s[14:15]
	s_waitcnt lgkmcnt(0)
	s_barrier
	s_and_saveexec_b64 s[14:15], vcc
	s_cbranch_execz .LBB47_334
; %bb.333:
	v_mov_b32_e32 v11, 0
	ds_read_b128 v[31:34], v11 offset:9360
	ds_read_b64 v[11:12], v11 offset:9880
	s_movk_i32 s0, 0x2000
	s_waitcnt lgkmcnt(0)
	v_mul_f64 v[11:12], v[31:32], v[11:12]
	v_add_u32_e64 v31, s0, 0
	v_mul_f64 v[11:12], v[33:34], v[11:12]
	ds_write2_b64 v31, v[11:12], v[11:12] offset0:147 offset1:210
.LBB47_334:
	s_or_b64 exec, exec, s[14:15]
	v_mov_b32_e32 v11, 0
	v_mov_b32_e32 v12, 0
	s_waitcnt lgkmcnt(0)
	s_barrier
	s_and_saveexec_b64 s[16:17], s[18:19]
	s_cbranch_execz .LBB47_340
; %bb.335:
	v_mul_u32_u24_e32 v31, 0x208, v20
	ds_read_b64 v[11:12], v16 offset:8352
	ds_read_b64 v[32:33], v31 offset:8320
	v_cmp_gt_u32_e64 s[14:15], 12, v14
	s_waitcnt lgkmcnt(0)
	v_fma_f64 v[11:12], v[11:12], v[32:33], 0
	s_and_saveexec_b64 s[20:21], s[14:15]
	s_cbranch_execnz .LBB47_1111
; %bb.336:
	s_or_b64 exec, exec, s[20:21]
	v_cmp_gt_u32_e64 s[14:15], 8, v14
	s_and_saveexec_b64 s[0:1], s[14:15]
	s_cbranch_execnz .LBB47_1112
.LBB47_337:
	s_or_b64 exec, exec, s[0:1]
	v_cmp_gt_u32_e64 s[14:15], 4, v14
	s_and_saveexec_b64 s[20:21], s[14:15]
	s_cbranch_execz .LBB47_339
.LBB47_338:
	v_lshlrev_b32_e32 v31, 3, v0
	v_mov_b32_e32 v33, 0
	ds_read_b64 v[31:32], v31 offset:9888
	ds_read_b64 v[33:34], v33 offset:8344
	s_waitcnt lgkmcnt(0)
	v_fma_f64 v[11:12], v[31:32], v[33:34], v[11:12]
.LBB47_339:
	s_or_b64 exec, exec, s[20:21]
	v_xor_b32_e32 v12, 0x80000000, v12
.LBB47_340:
	s_or_b64 exec, exec, s[16:17]
	s_and_saveexec_b64 s[0:1], s[38:39]
	s_cbranch_execz .LBB47_342
; %bb.341:
	v_mov_b32_e32 v31, 0
	ds_read_b64 v[31:32], v31 offset:10400
	s_waitcnt lgkmcnt(0)
	v_mul_f64 v[11:12], v[11:12], v[31:32]
	ds_write_b64 v18, v[11:12]
.LBB47_342:
	s_or_b64 exec, exec, s[0:1]
	s_waitcnt lgkmcnt(0)
	s_barrier
	s_and_saveexec_b64 s[0:1], s[42:43]
	s_cbranch_execz .LBB47_344
; %bb.343:
	ds_read_b64 v[31:32], v17 offset:10400
	ds_read_b64 v[33:34], v18
	s_waitcnt lgkmcnt(0)
	v_fma_f64 v[11:12], v[31:32], v[33:34], v[11:12]
.LBB47_344:
	s_or_b64 exec, exec, s[0:1]
	s_barrier
	s_and_saveexec_b64 s[0:1], s[52:53]
	s_cbranch_execz .LBB47_346
; %bb.345:
	v_mov_b32_e32 v31, 0
	ds_read_b64 v[31:32], v31 offset:10920
	s_waitcnt lgkmcnt(0)
	v_mul_f64 v[11:12], v[11:12], v[31:32]
	ds_write_b64 v18, v[11:12]
.LBB47_346:
	s_or_b64 exec, exec, s[0:1]
	s_waitcnt lgkmcnt(0)
	s_barrier
	s_and_saveexec_b64 s[0:1], s[54:55]
	s_cbranch_execz .LBB47_348
; %bb.347:
	ds_read_b64 v[31:32], v17 offset:10912
	ds_read_b64 v[33:34], v18
	s_waitcnt lgkmcnt(0)
	v_fma_f64 v[11:12], v[31:32], v[33:34], v[11:12]
.LBB47_348:
	s_or_b64 exec, exec, s[0:1]
	s_barrier
	s_and_saveexec_b64 s[0:1], s[56:57]
	s_cbranch_execz .LBB47_350
; %bb.349:
	v_mov_b32_e32 v31, 0
	ds_read_b64 v[31:32], v31 offset:11440
	s_waitcnt lgkmcnt(0)
	v_mul_f64 v[11:12], v[11:12], v[31:32]
	ds_write_b64 v18, v[11:12]
.LBB47_350:
	s_or_b64 exec, exec, s[0:1]
	s_waitcnt lgkmcnt(0)
	s_barrier
	s_and_saveexec_b64 s[0:1], s[36:37]
	s_cbranch_execz .LBB47_352
; %bb.351:
	v_mov_b32_e32 v31, 0
	ds_read_b64 v[31:32], v31 offset:11448
	ds_read_b64 v[33:34], v18
	s_waitcnt lgkmcnt(0)
	v_fma_f64 v[11:12], v[31:32], v[33:34], v[11:12]
.LBB47_352:
	s_or_b64 exec, exec, s[0:1]
	s_barrier
	s_and_saveexec_b64 s[0:1], s[36:37]
	s_cbranch_execz .LBB47_354
; %bb.353:
	v_mov_b32_e32 v31, 0
	ds_read_b64 v[31:32], v31 offset:11960
	s_waitcnt lgkmcnt(0)
	v_mul_f64 v[11:12], v[11:12], v[31:32]
	ds_write_b64 v18, v[11:12]
.LBB47_354:
	s_or_b64 exec, exec, s[0:1]
	s_waitcnt lgkmcnt(0)
	s_barrier
	s_barrier
	s_and_saveexec_b64 s[0:1], s[18:19]
; %bb.355:
	v_xor_b32_e32 v12, 0x80000000, v12
	ds_write_b64 v16, v[11:12] offset:8352
; %bb.356:
	s_or_b64 exec, exec, s[0:1]
	s_waitcnt lgkmcnt(0)
	s_barrier
	s_barrier
	s_and_saveexec_b64 s[14:15], s[58:59]
	s_cbranch_execz .LBB47_358
; %bb.357:
	v_lshlrev_b32_e32 v31, 9, v0
	ds_read_b64 v[11:12], v31 offset:8352
	s_movk_i32 s0, 0xfe08
	v_mad_i32_i24 v32, v0, s0, v31
	s_waitcnt lgkmcnt(0)
	ds_write_b64 v32, v[11:12] offset:10368
	ds_read_b64 v[11:12], v31 offset:8360
	s_waitcnt lgkmcnt(0)
	ds_write_b64 v32, v[11:12] offset:10880
	ds_read_b64 v[11:12], v31 offset:8368
	;; [unrolled: 3-line block ×3, first 2 shown]
	s_waitcnt lgkmcnt(0)
	ds_write_b64 v32, v[11:12] offset:11904
.LBB47_358:
	s_or_b64 exec, exec, s[14:15]
	s_waitcnt lgkmcnt(0)
	s_barrier
	s_and_saveexec_b64 s[14:15], vcc
	s_cbranch_execz .LBB47_360
; %bb.359:
	v_mov_b32_e32 v11, 0
	ds_read_b128 v[31:34], v11 offset:10400
	ds_read_b64 v[11:12], v11 offset:10920
	s_movk_i32 s0, 0x2800
	s_waitcnt lgkmcnt(0)
	v_mul_f64 v[11:12], v[31:32], v[11:12]
	v_add_u32_e64 v31, s0, 0
	v_mul_f64 v[11:12], v[33:34], v[11:12]
	ds_write2_b64 v31, v[11:12], v[11:12] offset0:21 offset1:84
.LBB47_360:
	s_or_b64 exec, exec, s[14:15]
	v_mov_b32_e32 v11, 0
	v_mov_b32_e32 v12, 0
	s_waitcnt lgkmcnt(0)
	s_barrier
	s_and_saveexec_b64 s[16:17], s[2:3]
	s_cbranch_execz .LBB47_364
; %bb.361:
	v_mul_u32_u24_e32 v31, 0x208, v15
	ds_read_b64 v[11:12], v1 offset:10416
	ds_read_b64 v[31:32], v31 offset:10400
	v_cmp_gt_u32_e64 s[14:15], 2, v14
	s_waitcnt lgkmcnt(0)
	v_fma_f64 v[11:12], v[11:12], v[31:32], 0
	s_and_saveexec_b64 s[20:21], s[14:15]
	s_cbranch_execz .LBB47_363
; %bb.362:
	v_lshlrev_b32_e32 v31, 3, v0
	v_mov_b32_e32 v33, 0
	ds_read_b64 v[31:32], v31 offset:10928
	ds_read_b64 v[33:34], v33 offset:10408
	s_waitcnt lgkmcnt(0)
	v_fma_f64 v[11:12], v[31:32], v[33:34], v[11:12]
.LBB47_363:
	s_or_b64 exec, exec, s[20:21]
	v_xor_b32_e32 v12, 0x80000000, v12
.LBB47_364:
	s_or_b64 exec, exec, s[16:17]
	s_and_saveexec_b64 s[0:1], s[30:31]
	s_cbranch_execz .LBB47_366
; %bb.365:
	v_mov_b32_e32 v31, 0
	ds_read_b64 v[31:32], v31 offset:11440
	s_waitcnt lgkmcnt(0)
	v_mul_f64 v[11:12], v[11:12], v[31:32]
	ds_write_b64 v13, v[11:12]
.LBB47_366:
	s_or_b64 exec, exec, s[0:1]
	s_waitcnt lgkmcnt(0)
	s_barrier
	s_and_saveexec_b64 s[0:1], s[28:29]
	s_cbranch_execz .LBB47_368
; %bb.367:
	v_mov_b32_e32 v31, 0
	ds_read_b64 v[31:32], v31 offset:11448
	ds_read_b64 v[33:34], v13
	s_waitcnt lgkmcnt(0)
	v_fma_f64 v[11:12], v[31:32], v[33:34], v[11:12]
.LBB47_368:
	s_or_b64 exec, exec, s[0:1]
	s_barrier
	s_and_saveexec_b64 s[0:1], s[28:29]
	s_cbranch_execz .LBB47_370
; %bb.369:
	v_mov_b32_e32 v31, 0
	ds_read_b64 v[31:32], v31 offset:11960
	s_waitcnt lgkmcnt(0)
	v_mul_f64 v[11:12], v[11:12], v[31:32]
	ds_write_b64 v13, v[11:12]
.LBB47_370:
	s_or_b64 exec, exec, s[0:1]
	s_waitcnt lgkmcnt(0)
	s_barrier
	s_barrier
	s_and_saveexec_b64 s[0:1], s[2:3]
; %bb.371:
	v_xor_b32_e32 v12, 0x80000000, v12
	ds_write_b64 v1, v[11:12] offset:10416
; %bb.372:
	s_or_b64 exec, exec, s[0:1]
	s_waitcnt lgkmcnt(0)
	s_barrier
	s_barrier
	s_and_saveexec_b64 s[14:15], s[34:35]
	s_cbranch_execz .LBB47_374
; %bb.373:
	v_lshlrev_b32_e32 v31, 3, v0
	s_movk_i32 s0, 0x1f8
	v_mad_u32_u24 v32, v0, s0, v31
	ds_read_b64 v[11:12], v32 offset:10416
	s_waitcnt lgkmcnt(0)
	ds_write_b64 v31, v[11:12] offset:11424
	ds_read_b64 v[11:12], v32 offset:10424
	s_waitcnt lgkmcnt(0)
	ds_write_b64 v31, v[11:12] offset:11936
.LBB47_374:
	s_or_b64 exec, exec, s[14:15]
	s_waitcnt lgkmcnt(0)
	s_barrier
	s_and_saveexec_b64 s[14:15], vcc
	s_cbranch_execz .LBB47_376
; %bb.375:
	v_mov_b32_e32 v11, 0
	ds_read_b128 v[31:34], v11 offset:11440
	ds_read_b64 v[11:12], v11 offset:11960
	s_movk_i32 s0, 0x2800
	s_waitcnt lgkmcnt(0)
	v_mul_f64 v[11:12], v[31:32], v[11:12]
	v_add_u32_e64 v31, s0, 0
	v_mul_f64 v[11:12], v[33:34], v[11:12]
	ds_write2_b64 v31, v[11:12], v[11:12] offset0:151 offset1:214
.LBB47_376:
	s_or_b64 exec, exec, s[14:15]
	v_mov_b32_e32 v11, 0
	v_mov_b32_e32 v12, 0
	s_waitcnt lgkmcnt(0)
	s_barrier
	s_and_saveexec_b64 s[16:17], s[8:9]
	s_cbranch_execz .LBB47_386
; %bb.377:
	v_mul_u32_u24_e32 v31, 0x208, v25
	ds_read_b64 v[11:12], v21 offset:8384
	ds_read_b64 v[32:33], v31 offset:8320
	v_cmp_gt_u32_e64 s[14:15], 56, v14
	s_waitcnt lgkmcnt(0)
	v_fma_f64 v[11:12], v[11:12], v[32:33], 0
	s_and_saveexec_b64 s[20:21], s[14:15]
	s_cbranch_execnz .LBB47_1113
; %bb.378:
	s_or_b64 exec, exec, s[20:21]
	v_cmp_gt_u32_e64 s[14:15], 48, v14
	s_and_saveexec_b64 s[20:21], s[14:15]
	s_cbranch_execnz .LBB47_1114
.LBB47_379:
	s_or_b64 exec, exec, s[20:21]
	v_cmp_gt_u32_e64 s[14:15], 40, v14
	s_and_saveexec_b64 s[20:21], s[14:15]
	s_cbranch_execnz .LBB47_1115
.LBB47_380:
	s_or_b64 exec, exec, s[20:21]
	v_cmp_gt_u32_e64 s[14:15], 32, v14
	s_and_saveexec_b64 s[0:1], s[14:15]
	s_cbranch_execnz .LBB47_1116
.LBB47_381:
	s_or_b64 exec, exec, s[0:1]
	v_cmp_gt_u32_e64 s[14:15], 24, v14
	s_and_saveexec_b64 s[20:21], s[14:15]
	s_cbranch_execnz .LBB47_1117
.LBB47_382:
	s_or_b64 exec, exec, s[20:21]
	v_cmp_gt_u32_e64 s[14:15], 16, v14
	s_and_saveexec_b64 s[0:1], s[14:15]
	s_cbranch_execnz .LBB47_1118
.LBB47_383:
	s_or_b64 exec, exec, s[0:1]
	v_cmp_gt_u32_e64 s[14:15], 8, v14
	s_and_saveexec_b64 s[20:21], s[14:15]
	s_cbranch_execz .LBB47_385
.LBB47_384:
	v_lshlrev_b32_e32 v31, 3, v0
	v_mov_b32_e32 v33, 0
	ds_read_b64 v[31:32], v31 offset:11968
	ds_read_b64 v[33:34], v33 offset:8376
	s_waitcnt lgkmcnt(0)
	v_fma_f64 v[11:12], v[31:32], v[33:34], v[11:12]
.LBB47_385:
	s_or_b64 exec, exec, s[20:21]
	v_xor_b32_e32 v12, 0x80000000, v12
.LBB47_386:
	s_or_b64 exec, exec, s[16:17]
	s_mov_b64 s[0:1], exec
	v_readlane_b32 s14, v42, 3
	v_readlane_b32 s15, v42, 4
	s_and_b64 s[14:15], s[0:1], s[14:15]
	s_mov_b64 exec, s[14:15]
	s_cbranch_execz .LBB47_388
; %bb.387:
	v_mov_b32_e32 v31, 0
	ds_read_b64 v[31:32], v31 offset:12480
	s_waitcnt lgkmcnt(0)
	v_mul_f64 v[11:12], v[11:12], v[31:32]
	ds_write_b64 v23, v[11:12]
.LBB47_388:
	s_or_b64 exec, exec, s[0:1]
	s_waitcnt lgkmcnt(0)
	s_barrier
	s_and_saveexec_b64 s[0:1], s[62:63]
	s_cbranch_execz .LBB47_390
; %bb.389:
	ds_read_b64 v[31:32], v22 offset:12480
	ds_read_b64 v[33:34], v23
	s_waitcnt lgkmcnt(0)
	v_fma_f64 v[11:12], v[31:32], v[33:34], v[11:12]
.LBB47_390:
	s_or_b64 exec, exec, s[0:1]
	s_barrier
	s_and_saveexec_b64 s[0:1], s[64:65]
	s_cbranch_execz .LBB47_392
; %bb.391:
	v_mov_b32_e32 v31, 0
	ds_read_b64 v[31:32], v31 offset:13000
	s_waitcnt lgkmcnt(0)
	v_mul_f64 v[11:12], v[11:12], v[31:32]
	ds_write_b64 v23, v[11:12]
.LBB47_392:
	s_or_b64 exec, exec, s[0:1]
	s_waitcnt lgkmcnt(0)
	s_barrier
	s_and_saveexec_b64 s[0:1], s[66:67]
	s_cbranch_execz .LBB47_394
; %bb.393:
	ds_read_b64 v[31:32], v22 offset:12992
	ds_read_b64 v[33:34], v23
	s_waitcnt lgkmcnt(0)
	v_fma_f64 v[11:12], v[31:32], v[33:34], v[11:12]
.LBB47_394:
	s_or_b64 exec, exec, s[0:1]
	s_barrier
	s_and_saveexec_b64 s[0:1], s[68:69]
	;; [unrolled: 22-line block ×6, first 2 shown]
	s_cbranch_execz .LBB47_412
; %bb.411:
	v_mov_b32_e32 v31, 0
	ds_read_b64 v[31:32], v31 offset:15600
	s_waitcnt lgkmcnt(0)
	v_mul_f64 v[11:12], v[11:12], v[31:32]
	ds_write_b64 v23, v[11:12]
.LBB47_412:
	s_or_b64 exec, exec, s[0:1]
	s_waitcnt lgkmcnt(0)
	s_barrier
	s_and_saveexec_b64 s[0:1], s[70:71]
	s_cbranch_execz .LBB47_414
; %bb.413:
	v_mov_b32_e32 v31, 0
	ds_read_b64 v[31:32], v31 offset:15608
	ds_read_b64 v[33:34], v23
	s_waitcnt lgkmcnt(0)
	v_fma_f64 v[11:12], v[31:32], v[33:34], v[11:12]
.LBB47_414:
	s_or_b64 exec, exec, s[0:1]
	s_barrier
	s_and_saveexec_b64 s[0:1], s[70:71]
	s_cbranch_execz .LBB47_416
; %bb.415:
	v_mov_b32_e32 v31, 0
	ds_read_b64 v[31:32], v31 offset:16120
	s_waitcnt lgkmcnt(0)
	v_mul_f64 v[11:12], v[11:12], v[31:32]
	ds_write_b64 v23, v[11:12]
.LBB47_416:
	s_or_b64 exec, exec, s[0:1]
	s_waitcnt lgkmcnt(0)
	s_barrier
	s_barrier
	s_and_saveexec_b64 s[0:1], s[8:9]
; %bb.417:
	v_xor_b32_e32 v12, 0x80000000, v12
	ds_write_b64 v21, v[11:12] offset:8384
; %bb.418:
	s_or_b64 exec, exec, s[0:1]
	s_waitcnt lgkmcnt(0)
	s_barrier
	s_barrier
	s_and_saveexec_b64 s[14:15], s[88:89]
	s_cbranch_execz .LBB47_420
; %bb.419:
	v_lshlrev_b32_e32 v31, 9, v0
	ds_read_b64 v[11:12], v31 offset:8384
	s_movk_i32 s0, 0xfe08
	v_mad_i32_i24 v32, v0, s0, v31
	s_waitcnt lgkmcnt(0)
	ds_write_b64 v32, v[11:12] offset:12416
	ds_read_b64 v[11:12], v31 offset:8392
	s_waitcnt lgkmcnt(0)
	ds_write_b64 v32, v[11:12] offset:12928
	ds_read_b64 v[11:12], v31 offset:8400
	;; [unrolled: 3-line block ×7, first 2 shown]
	s_waitcnt lgkmcnt(0)
	ds_write_b64 v32, v[11:12] offset:16000
.LBB47_420:
	s_or_b64 exec, exec, s[14:15]
	s_waitcnt lgkmcnt(0)
	s_barrier
	s_and_saveexec_b64 s[14:15], vcc
	s_cbranch_execz .LBB47_422
; %bb.421:
	v_mov_b32_e32 v11, 0
	ds_read_b128 v[31:34], v11 offset:12480
	ds_read_b64 v[11:12], v11 offset:13000
	s_movk_i32 s0, 0x3000
	s_waitcnt lgkmcnt(0)
	v_mul_f64 v[11:12], v[31:32], v[11:12]
	v_add_u32_e64 v31, s0, 0
	v_mul_f64 v[11:12], v[33:34], v[11:12]
	ds_write2_b64 v31, v[11:12], v[11:12] offset0:25 offset1:88
.LBB47_422:
	s_or_b64 exec, exec, s[14:15]
	v_mov_b32_e32 v11, 0
	v_mov_b32_e32 v12, 0
	s_waitcnt lgkmcnt(0)
	s_barrier
	s_and_saveexec_b64 s[16:17], s[2:3]
	s_cbranch_execz .LBB47_426
; %bb.423:
	v_mul_u32_u24_e32 v31, 0x208, v15
	ds_read_b64 v[11:12], v1 offset:12496
	ds_read_b64 v[31:32], v31 offset:12480
	v_cmp_gt_u32_e64 s[14:15], 2, v14
	s_waitcnt lgkmcnt(0)
	v_fma_f64 v[11:12], v[11:12], v[31:32], 0
	s_and_saveexec_b64 s[20:21], s[14:15]
	s_cbranch_execz .LBB47_425
; %bb.424:
	v_lshlrev_b32_e32 v31, 3, v0
	v_mov_b32_e32 v33, 0
	ds_read_b64 v[31:32], v31 offset:13008
	ds_read_b64 v[33:34], v33 offset:12488
	s_waitcnt lgkmcnt(0)
	v_fma_f64 v[11:12], v[31:32], v[33:34], v[11:12]
.LBB47_425:
	s_or_b64 exec, exec, s[20:21]
	v_xor_b32_e32 v12, 0x80000000, v12
.LBB47_426:
	s_or_b64 exec, exec, s[16:17]
	s_and_saveexec_b64 s[0:1], s[30:31]
	s_cbranch_execz .LBB47_428
; %bb.427:
	v_mov_b32_e32 v31, 0
	ds_read_b64 v[31:32], v31 offset:13520
	s_waitcnt lgkmcnt(0)
	v_mul_f64 v[11:12], v[11:12], v[31:32]
	ds_write_b64 v13, v[11:12]
.LBB47_428:
	s_or_b64 exec, exec, s[0:1]
	s_waitcnt lgkmcnt(0)
	s_barrier
	s_and_saveexec_b64 s[0:1], s[28:29]
	s_cbranch_execz .LBB47_430
; %bb.429:
	v_mov_b32_e32 v31, 0
	ds_read_b64 v[31:32], v31 offset:13528
	ds_read_b64 v[33:34], v13
	s_waitcnt lgkmcnt(0)
	v_fma_f64 v[11:12], v[31:32], v[33:34], v[11:12]
.LBB47_430:
	s_or_b64 exec, exec, s[0:1]
	s_barrier
	s_and_saveexec_b64 s[0:1], s[28:29]
	s_cbranch_execz .LBB47_432
; %bb.431:
	v_mov_b32_e32 v31, 0
	ds_read_b64 v[31:32], v31 offset:14040
	s_waitcnt lgkmcnt(0)
	v_mul_f64 v[11:12], v[11:12], v[31:32]
	ds_write_b64 v13, v[11:12]
.LBB47_432:
	s_or_b64 exec, exec, s[0:1]
	s_waitcnt lgkmcnt(0)
	s_barrier
	s_barrier
	s_and_saveexec_b64 s[0:1], s[2:3]
; %bb.433:
	v_xor_b32_e32 v12, 0x80000000, v12
	ds_write_b64 v1, v[11:12] offset:12496
; %bb.434:
	s_or_b64 exec, exec, s[0:1]
	s_waitcnt lgkmcnt(0)
	s_barrier
	s_barrier
	s_and_saveexec_b64 s[14:15], s[34:35]
	s_cbranch_execz .LBB47_436
; %bb.435:
	v_lshlrev_b32_e32 v31, 3, v0
	s_movk_i32 s0, 0x1f8
	v_mad_u32_u24 v32, v0, s0, v31
	ds_read_b64 v[11:12], v32 offset:12496
	s_waitcnt lgkmcnt(0)
	ds_write_b64 v31, v[11:12] offset:13504
	ds_read_b64 v[11:12], v32 offset:12504
	s_waitcnt lgkmcnt(0)
	ds_write_b64 v31, v[11:12] offset:14016
.LBB47_436:
	s_or_b64 exec, exec, s[14:15]
	s_waitcnt lgkmcnt(0)
	s_barrier
	s_and_saveexec_b64 s[14:15], vcc
	s_cbranch_execz .LBB47_438
; %bb.437:
	v_mov_b32_e32 v11, 0
	ds_read_b128 v[31:34], v11 offset:13520
	ds_read_b64 v[11:12], v11 offset:14040
	s_movk_i32 s0, 0x3000
	s_waitcnt lgkmcnt(0)
	v_mul_f64 v[11:12], v[31:32], v[11:12]
	v_add_u32_e64 v31, s0, 0
	v_mul_f64 v[11:12], v[33:34], v[11:12]
	ds_write2_b64 v31, v[11:12], v[11:12] offset0:155 offset1:218
.LBB47_438:
	s_or_b64 exec, exec, s[14:15]
	v_mov_b32_e32 v11, 0
	v_mov_b32_e32 v12, 0
	s_waitcnt lgkmcnt(0)
	s_barrier
	s_and_saveexec_b64 s[16:17], s[18:19]
	s_cbranch_execz .LBB47_444
; %bb.439:
	v_mul_u32_u24_e32 v31, 0x208, v20
	ds_read_b64 v[11:12], v16 offset:12512
	ds_read_b64 v[32:33], v31 offset:12480
	v_cmp_gt_u32_e64 s[14:15], 12, v14
	s_waitcnt lgkmcnt(0)
	v_fma_f64 v[11:12], v[11:12], v[32:33], 0
	s_and_saveexec_b64 s[20:21], s[14:15]
	s_cbranch_execnz .LBB47_1119
; %bb.440:
	s_or_b64 exec, exec, s[20:21]
	v_cmp_gt_u32_e64 s[14:15], 8, v14
	s_and_saveexec_b64 s[0:1], s[14:15]
	s_cbranch_execnz .LBB47_1120
.LBB47_441:
	s_or_b64 exec, exec, s[0:1]
	v_cmp_gt_u32_e64 s[14:15], 4, v14
	s_and_saveexec_b64 s[20:21], s[14:15]
	s_cbranch_execz .LBB47_443
.LBB47_442:
	v_lshlrev_b32_e32 v31, 3, v0
	v_mov_b32_e32 v33, 0
	ds_read_b64 v[31:32], v31 offset:14048
	ds_read_b64 v[33:34], v33 offset:12504
	s_waitcnt lgkmcnt(0)
	v_fma_f64 v[11:12], v[31:32], v[33:34], v[11:12]
.LBB47_443:
	s_or_b64 exec, exec, s[20:21]
	v_xor_b32_e32 v12, 0x80000000, v12
.LBB47_444:
	s_or_b64 exec, exec, s[16:17]
	s_and_saveexec_b64 s[0:1], s[38:39]
	s_cbranch_execz .LBB47_446
; %bb.445:
	v_mov_b32_e32 v31, 0
	ds_read_b64 v[31:32], v31 offset:14560
	s_waitcnt lgkmcnt(0)
	v_mul_f64 v[11:12], v[11:12], v[31:32]
	ds_write_b64 v18, v[11:12]
.LBB47_446:
	s_or_b64 exec, exec, s[0:1]
	s_waitcnt lgkmcnt(0)
	s_barrier
	s_and_saveexec_b64 s[0:1], s[42:43]
	s_cbranch_execz .LBB47_448
; %bb.447:
	ds_read_b64 v[31:32], v17 offset:14560
	ds_read_b64 v[33:34], v18
	s_waitcnt lgkmcnt(0)
	v_fma_f64 v[11:12], v[31:32], v[33:34], v[11:12]
.LBB47_448:
	s_or_b64 exec, exec, s[0:1]
	s_barrier
	s_and_saveexec_b64 s[0:1], s[52:53]
	s_cbranch_execz .LBB47_450
; %bb.449:
	v_mov_b32_e32 v31, 0
	ds_read_b64 v[31:32], v31 offset:15080
	s_waitcnt lgkmcnt(0)
	v_mul_f64 v[11:12], v[11:12], v[31:32]
	ds_write_b64 v18, v[11:12]
.LBB47_450:
	s_or_b64 exec, exec, s[0:1]
	s_waitcnt lgkmcnt(0)
	s_barrier
	s_and_saveexec_b64 s[0:1], s[54:55]
	s_cbranch_execz .LBB47_452
; %bb.451:
	ds_read_b64 v[31:32], v17 offset:15072
	ds_read_b64 v[33:34], v18
	s_waitcnt lgkmcnt(0)
	v_fma_f64 v[11:12], v[31:32], v[33:34], v[11:12]
.LBB47_452:
	s_or_b64 exec, exec, s[0:1]
	s_barrier
	s_and_saveexec_b64 s[0:1], s[56:57]
	s_cbranch_execz .LBB47_454
; %bb.453:
	v_mov_b32_e32 v31, 0
	ds_read_b64 v[31:32], v31 offset:15600
	s_waitcnt lgkmcnt(0)
	v_mul_f64 v[11:12], v[11:12], v[31:32]
	ds_write_b64 v18, v[11:12]
.LBB47_454:
	s_or_b64 exec, exec, s[0:1]
	s_waitcnt lgkmcnt(0)
	s_barrier
	s_and_saveexec_b64 s[0:1], s[36:37]
	s_cbranch_execz .LBB47_456
; %bb.455:
	v_mov_b32_e32 v31, 0
	ds_read_b64 v[31:32], v31 offset:15608
	ds_read_b64 v[33:34], v18
	s_waitcnt lgkmcnt(0)
	v_fma_f64 v[11:12], v[31:32], v[33:34], v[11:12]
.LBB47_456:
	s_or_b64 exec, exec, s[0:1]
	s_barrier
	s_and_saveexec_b64 s[0:1], s[36:37]
	s_cbranch_execz .LBB47_458
; %bb.457:
	v_mov_b32_e32 v31, 0
	ds_read_b64 v[31:32], v31 offset:16120
	s_waitcnt lgkmcnt(0)
	v_mul_f64 v[11:12], v[11:12], v[31:32]
	ds_write_b64 v18, v[11:12]
.LBB47_458:
	s_or_b64 exec, exec, s[0:1]
	s_waitcnt lgkmcnt(0)
	s_barrier
	s_barrier
	s_and_saveexec_b64 s[0:1], s[18:19]
; %bb.459:
	v_xor_b32_e32 v12, 0x80000000, v12
	ds_write_b64 v16, v[11:12] offset:12512
; %bb.460:
	s_or_b64 exec, exec, s[0:1]
	s_waitcnt lgkmcnt(0)
	s_barrier
	s_barrier
	s_and_saveexec_b64 s[14:15], s[58:59]
	s_cbranch_execz .LBB47_462
; %bb.461:
	v_lshlrev_b32_e32 v31, 9, v0
	ds_read_b64 v[11:12], v31 offset:12512
	s_movk_i32 s0, 0xfe08
	v_mad_i32_i24 v32, v0, s0, v31
	s_waitcnt lgkmcnt(0)
	ds_write_b64 v32, v[11:12] offset:14528
	ds_read_b64 v[11:12], v31 offset:12520
	s_waitcnt lgkmcnt(0)
	ds_write_b64 v32, v[11:12] offset:15040
	ds_read_b64 v[11:12], v31 offset:12528
	;; [unrolled: 3-line block ×3, first 2 shown]
	s_waitcnt lgkmcnt(0)
	ds_write_b64 v32, v[11:12] offset:16064
.LBB47_462:
	s_or_b64 exec, exec, s[14:15]
	s_waitcnt lgkmcnt(0)
	s_barrier
	s_and_saveexec_b64 s[14:15], vcc
	s_cbranch_execz .LBB47_464
; %bb.463:
	v_mov_b32_e32 v11, 0
	ds_read_b128 v[31:34], v11 offset:14560
	ds_read_b64 v[11:12], v11 offset:15080
	s_movk_i32 s0, 0x3800
	s_waitcnt lgkmcnt(0)
	v_mul_f64 v[11:12], v[31:32], v[11:12]
	v_add_u32_e64 v31, s0, 0
	v_mul_f64 v[11:12], v[33:34], v[11:12]
	ds_write2_b64 v31, v[11:12], v[11:12] offset0:29 offset1:92
.LBB47_464:
	s_or_b64 exec, exec, s[14:15]
	v_mov_b32_e32 v11, 0
	v_mov_b32_e32 v12, 0
	s_waitcnt lgkmcnt(0)
	s_barrier
	s_and_saveexec_b64 s[16:17], s[2:3]
	s_cbranch_execz .LBB47_468
; %bb.465:
	v_mul_u32_u24_e32 v31, 0x208, v15
	ds_read_b64 v[11:12], v1 offset:14576
	ds_read_b64 v[31:32], v31 offset:14560
	v_cmp_gt_u32_e64 s[14:15], 2, v14
	s_waitcnt lgkmcnt(0)
	v_fma_f64 v[11:12], v[11:12], v[31:32], 0
	s_and_saveexec_b64 s[20:21], s[14:15]
	s_cbranch_execz .LBB47_467
; %bb.466:
	v_lshlrev_b32_e32 v31, 3, v0
	v_mov_b32_e32 v33, 0
	ds_read_b64 v[31:32], v31 offset:15088
	ds_read_b64 v[33:34], v33 offset:14568
	s_waitcnt lgkmcnt(0)
	v_fma_f64 v[11:12], v[31:32], v[33:34], v[11:12]
.LBB47_467:
	s_or_b64 exec, exec, s[20:21]
	v_xor_b32_e32 v12, 0x80000000, v12
.LBB47_468:
	s_or_b64 exec, exec, s[16:17]
	s_and_saveexec_b64 s[0:1], s[30:31]
	s_cbranch_execz .LBB47_470
; %bb.469:
	v_mov_b32_e32 v31, 0
	ds_read_b64 v[31:32], v31 offset:15600
	s_waitcnt lgkmcnt(0)
	v_mul_f64 v[11:12], v[11:12], v[31:32]
	ds_write_b64 v13, v[11:12]
.LBB47_470:
	s_or_b64 exec, exec, s[0:1]
	s_waitcnt lgkmcnt(0)
	s_barrier
	s_and_saveexec_b64 s[0:1], s[28:29]
	s_cbranch_execz .LBB47_472
; %bb.471:
	v_mov_b32_e32 v31, 0
	ds_read_b64 v[31:32], v31 offset:15608
	ds_read_b64 v[33:34], v13
	s_waitcnt lgkmcnt(0)
	v_fma_f64 v[11:12], v[31:32], v[33:34], v[11:12]
.LBB47_472:
	s_or_b64 exec, exec, s[0:1]
	s_barrier
	s_and_saveexec_b64 s[0:1], s[28:29]
	s_cbranch_execz .LBB47_474
; %bb.473:
	v_mov_b32_e32 v31, 0
	ds_read_b64 v[31:32], v31 offset:16120
	s_waitcnt lgkmcnt(0)
	v_mul_f64 v[11:12], v[11:12], v[31:32]
	ds_write_b64 v13, v[11:12]
.LBB47_474:
	s_or_b64 exec, exec, s[0:1]
	s_waitcnt lgkmcnt(0)
	s_barrier
	s_barrier
	s_and_saveexec_b64 s[0:1], s[2:3]
; %bb.475:
	v_xor_b32_e32 v12, 0x80000000, v12
	ds_write_b64 v1, v[11:12] offset:14576
; %bb.476:
	s_or_b64 exec, exec, s[0:1]
	s_waitcnt lgkmcnt(0)
	s_barrier
	s_barrier
	s_and_saveexec_b64 s[14:15], s[34:35]
	s_cbranch_execz .LBB47_478
; %bb.477:
	v_lshlrev_b32_e32 v31, 3, v0
	s_movk_i32 s0, 0x1f8
	v_mad_u32_u24 v32, v0, s0, v31
	ds_read_b64 v[11:12], v32 offset:14576
	s_waitcnt lgkmcnt(0)
	ds_write_b64 v31, v[11:12] offset:15584
	ds_read_b64 v[11:12], v32 offset:14584
	s_waitcnt lgkmcnt(0)
	ds_write_b64 v31, v[11:12] offset:16096
.LBB47_478:
	s_or_b64 exec, exec, s[14:15]
	s_waitcnt lgkmcnt(0)
	s_barrier
	s_and_saveexec_b64 s[14:15], vcc
	s_cbranch_execz .LBB47_480
; %bb.479:
	v_mov_b32_e32 v11, 0
	ds_read_b128 v[31:34], v11 offset:15600
	ds_read_b64 v[11:12], v11 offset:16120
	s_movk_i32 s0, 0x3800
	s_waitcnt lgkmcnt(0)
	v_mul_f64 v[11:12], v[31:32], v[11:12]
	v_add_u32_e64 v31, s0, 0
	v_mul_f64 v[11:12], v[33:34], v[11:12]
	ds_write2_b64 v31, v[11:12], v[11:12] offset0:159 offset1:222
.LBB47_480:
	s_or_b64 exec, exec, s[14:15]
	v_and_b32_e32 v32, 31, v0
	v_lshrrev_b32_e32 v33, 5, v14
	s_movk_i32 s0, 0x3ff
	v_lshlrev_b32_e32 v11, 3, v32
	v_cmp_lt_u32_e64 s[16:17], s0, v14
	s_movk_i32 s0, 0x400
	v_lshl_or_b32 v31, v33, 9, v11
	v_mov_b32_e32 v11, 0
	v_cmp_gt_u32_e64 s[14:15], s0, v14
	v_mov_b32_e32 v12, 0
	s_waitcnt lgkmcnt(0)
	s_barrier
	s_and_saveexec_b64 s[94:95], s[14:15]
	s_cbranch_execz .LBB47_542
; %bb.481:
	v_mul_u32_u24_e32 v34, 0x208, v33
	ds_read_b64 v[11:12], v31 offset:256
	ds_read_b64 v[35:36], v34
	s_movk_i32 s0, 0x3e0
	v_cmp_gt_u32_e64 s[20:21], s0, v14
	s_waitcnt lgkmcnt(0)
	v_fma_f64 v[11:12], v[11:12], v[35:36], 0
	s_and_saveexec_b64 s[0:1], s[20:21]
	s_cbranch_execz .LBB47_483
; %bb.482:
	ds_read_b64 v[35:36], v31 offset:768
	ds_read_b64 v[37:38], v34 offset:8
	s_waitcnt lgkmcnt(0)
	v_fma_f64 v[11:12], v[35:36], v[37:38], v[11:12]
.LBB47_483:
	s_or_b64 exec, exec, s[0:1]
	s_movk_i32 s0, 0x3c0
	v_cmp_gt_u32_e64 s[20:21], s0, v14
	s_and_saveexec_b64 s[0:1], s[20:21]
	s_cbranch_execz .LBB47_485
; %bb.484:
	ds_read_b64 v[35:36], v31 offset:1280
	ds_read_b64 v[37:38], v34 offset:16
	s_waitcnt lgkmcnt(0)
	v_fma_f64 v[11:12], v[35:36], v[37:38], v[11:12]
.LBB47_485:
	s_or_b64 exec, exec, s[0:1]
	s_movk_i32 s0, 0x3a0
	v_cmp_gt_u32_e64 s[20:21], s0, v14
	;; [unrolled: 11-line block ×28, first 2 shown]
	s_and_saveexec_b64 s[0:1], s[20:21]
	s_cbranch_execnz .LBB47_1121
; %bb.538:
	s_or_b64 exec, exec, s[0:1]
	v_cmp_gt_u32_e64 s[20:21], 64, v14
	s_and_saveexec_b64 s[0:1], s[20:21]
	s_cbranch_execnz .LBB47_1122
.LBB47_539:
	s_or_b64 exec, exec, s[0:1]
	v_cmp_gt_u32_e64 s[20:21], 32, v14
	s_and_saveexec_b64 s[0:1], s[20:21]
	s_cbranch_execz .LBB47_541
.LBB47_540:
	v_lshlrev_b32_e32 v34, 3, v0
	v_mov_b32_e32 v36, 0
	ds_read_b64 v[34:35], v34 offset:16128
	ds_read_b64 v[36:37], v36 offset:248
	s_waitcnt lgkmcnt(0)
	v_fma_f64 v[11:12], v[34:35], v[36:37], v[11:12]
.LBB47_541:
	s_or_b64 exec, exec, s[0:1]
	v_xor_b32_e32 v12, 0x80000000, v12
.LBB47_542:
	s_or_b64 exec, exec, s[94:95]
	v_mov_b32_e32 v34, 0x8000
	v_lshl_or_b32 v33, v33, 3, v34
	v_mul_u32_u24_e32 v34, 0x208, v32
	v_lshlrev_b32_e32 v35, 9, v32
	v_sub_u32_e32 v35, v34, v35
	v_add_u32_e32 v35, 0x4100, v35
	s_mov_b32 s94, 0
	s_xor_b64 s[20:21], s[16:17], -1
	v_mov_b32_e32 v36, v32
	s_branch .LBB47_544
.LBB47_543:                             ;   in Loop: Header=BB47_544 Depth=1
	s_or_b64 exec, exec, s[0:1]
	s_add_i32 s94, s94, 4
	v_add_u32_e32 v35, 0x800, v35
	s_cmp_eq_u32 s94, 32
	v_add_u32_e32 v36, -4, v36
	s_barrier
	s_cbranch_scc1 .LBB47_560
.LBB47_544:                             ; =>This Inner Loop Header: Depth=1
	v_cmp_eq_u32_e64 s[16:17], 0, v36
	s_and_b64 s[16:17], s[20:21], s[16:17]
	s_and_saveexec_b64 s[0:1], s[16:17]
	s_cbranch_execz .LBB47_546
; %bb.545:                              ;   in Loop: Header=BB47_544 Depth=1
	ds_read_b64 v[37:38], v34 offset:16640
	s_waitcnt lgkmcnt(0)
	v_mul_f64 v[11:12], v[11:12], v[37:38]
	ds_write_b64 v33, v[11:12]
.LBB47_546:                             ;   in Loop: Header=BB47_544 Depth=1
	s_or_b64 exec, exec, s[0:1]
	v_cmp_lt_u32_e64 s[16:17], s94, v32
	s_and_b64 s[16:17], s[20:21], s[16:17]
	s_waitcnt lgkmcnt(0)
	s_barrier
	s_and_saveexec_b64 s[0:1], s[16:17]
	s_cbranch_execz .LBB47_548
; %bb.547:                              ;   in Loop: Header=BB47_544 Depth=1
	ds_read_b64 v[37:38], v35
	ds_read_b64 v[39:40], v33
	s_waitcnt lgkmcnt(0)
	v_fma_f64 v[11:12], v[37:38], v[39:40], v[11:12]
.LBB47_548:                             ;   in Loop: Header=BB47_544 Depth=1
	s_or_b64 exec, exec, s[0:1]
	s_or_b32 s95, s94, 1
	v_cmp_eq_u32_e64 s[16:17], s95, v32
	s_and_b64 s[16:17], s[20:21], s[16:17]
	s_barrier
	s_and_saveexec_b64 s[0:1], s[16:17]
	s_cbranch_execz .LBB47_550
; %bb.549:                              ;   in Loop: Header=BB47_544 Depth=1
	ds_read_b64 v[37:38], v34 offset:16640
	s_waitcnt lgkmcnt(0)
	v_mul_f64 v[11:12], v[11:12], v[37:38]
	ds_write_b64 v33, v[11:12]
.LBB47_550:                             ;   in Loop: Header=BB47_544 Depth=1
	s_or_b64 exec, exec, s[0:1]
	v_cmp_lt_u32_e64 s[16:17], s95, v32
	s_and_b64 s[16:17], s[20:21], s[16:17]
	s_waitcnt lgkmcnt(0)
	s_barrier
	s_and_saveexec_b64 s[0:1], s[16:17]
	s_cbranch_execz .LBB47_552
; %bb.551:                              ;   in Loop: Header=BB47_544 Depth=1
	ds_read_b64 v[37:38], v35 offset:512
	ds_read_b64 v[39:40], v33
	s_waitcnt lgkmcnt(0)
	v_fma_f64 v[11:12], v[37:38], v[39:40], v[11:12]
.LBB47_552:                             ;   in Loop: Header=BB47_544 Depth=1
	s_or_b64 exec, exec, s[0:1]
	s_or_b32 s95, s94, 2
	v_cmp_eq_u32_e64 s[16:17], s95, v32
	s_and_b64 s[16:17], s[20:21], s[16:17]
	s_barrier
	s_and_saveexec_b64 s[0:1], s[16:17]
	s_cbranch_execz .LBB47_554
; %bb.553:                              ;   in Loop: Header=BB47_544 Depth=1
	ds_read_b64 v[37:38], v34 offset:16640
	s_waitcnt lgkmcnt(0)
	v_mul_f64 v[11:12], v[11:12], v[37:38]
	ds_write_b64 v33, v[11:12]
.LBB47_554:                             ;   in Loop: Header=BB47_544 Depth=1
	s_or_b64 exec, exec, s[0:1]
	v_cmp_lt_u32_e64 s[16:17], s95, v32
	s_and_b64 s[16:17], s[20:21], s[16:17]
	s_waitcnt lgkmcnt(0)
	s_barrier
	s_and_saveexec_b64 s[0:1], s[16:17]
	s_cbranch_execz .LBB47_556
; %bb.555:                              ;   in Loop: Header=BB47_544 Depth=1
	ds_read_b64 v[37:38], v35 offset:1024
	ds_read_b64 v[39:40], v33
	s_waitcnt lgkmcnt(0)
	v_fma_f64 v[11:12], v[37:38], v[39:40], v[11:12]
.LBB47_556:                             ;   in Loop: Header=BB47_544 Depth=1
	s_or_b64 exec, exec, s[0:1]
	s_or_b32 s95, s94, 3
	v_cmp_eq_u32_e64 s[16:17], s95, v32
	s_and_b64 s[16:17], s[20:21], s[16:17]
	s_barrier
	s_and_saveexec_b64 s[0:1], s[16:17]
	s_cbranch_execz .LBB47_558
; %bb.557:                              ;   in Loop: Header=BB47_544 Depth=1
	ds_read_b64 v[37:38], v34 offset:16640
	s_waitcnt lgkmcnt(0)
	v_mul_f64 v[11:12], v[11:12], v[37:38]
	ds_write_b64 v33, v[11:12]
.LBB47_558:                             ;   in Loop: Header=BB47_544 Depth=1
	s_or_b64 exec, exec, s[0:1]
	v_cmp_lt_u32_e64 s[16:17], s95, v32
	s_and_b64 s[16:17], s[20:21], s[16:17]
	s_waitcnt lgkmcnt(0)
	s_barrier
	s_and_saveexec_b64 s[0:1], s[16:17]
	s_cbranch_execz .LBB47_543
; %bb.559:                              ;   in Loop: Header=BB47_544 Depth=1
	ds_read_b64 v[37:38], v35 offset:1536
	ds_read_b64 v[39:40], v33
	s_waitcnt lgkmcnt(0)
	v_fma_f64 v[11:12], v[37:38], v[39:40], v[11:12]
	s_branch .LBB47_543
.LBB47_560:
	s_and_saveexec_b64 s[0:1], s[14:15]
; %bb.561:
	v_xor_b32_e32 v12, 0x80000000, v12
	ds_write_b64 v31, v[11:12] offset:256
; %bb.562:
	s_or_b64 exec, exec, s[0:1]
	v_cmp_gt_u32_e64 s[14:15], 32, v0
	s_and_b64 s[0:1], s[12:13], s[14:15]
	s_waitcnt lgkmcnt(0)
	s_barrier
	s_barrier
	s_and_saveexec_b64 s[12:13], s[0:1]
	s_cbranch_execz .LBB47_564
; %bb.563:
	v_lshlrev_b32_e32 v31, 9, v0
	ds_read_b64 v[11:12], v31 offset:256
	s_movk_i32 s0, 0xfe08
	v_mad_i32_i24 v32, v0, s0, v31
	s_waitcnt lgkmcnt(0)
	ds_write_b64 v32, v[11:12] offset:16384
	ds_read_b64 v[11:12], v31 offset:264
	s_waitcnt lgkmcnt(0)
	ds_write_b64 v32, v[11:12] offset:16896
	ds_read_b64 v[11:12], v31 offset:272
	;; [unrolled: 3-line block ×31, first 2 shown]
	s_waitcnt lgkmcnt(0)
	ds_write_b64 v32, v[11:12] offset:32256
.LBB47_564:
	s_or_b64 exec, exec, s[12:13]
	s_waitcnt lgkmcnt(0)
	s_barrier
	s_and_saveexec_b64 s[12:13], vcc
	s_cbranch_execz .LBB47_566
; %bb.565:
	v_mov_b32_e32 v11, 0
	ds_read_b128 v[31:34], v11 offset:16640
	ds_read_b64 v[11:12], v11 offset:17160
	s_movk_i32 s0, 0x4000
	s_waitcnt lgkmcnt(0)
	v_mul_f64 v[11:12], v[31:32], v[11:12]
	v_add_u32_e64 v31, s0, 0
	v_mul_f64 v[11:12], v[33:34], v[11:12]
	ds_write2_b64 v31, v[11:12], v[11:12] offset0:33 offset1:96
.LBB47_566:
	s_or_b64 exec, exec, s[12:13]
	v_mov_b32_e32 v11, 0
	v_mov_b32_e32 v12, 0
	s_waitcnt lgkmcnt(0)
	s_barrier
	s_and_saveexec_b64 s[14:15], s[2:3]
	s_cbranch_execz .LBB47_570
; %bb.567:
	v_mul_u32_u24_e32 v31, 0x208, v15
	ds_read_b64 v[11:12], v1 offset:16656
	ds_read_b64 v[31:32], v31 offset:16640
	v_cmp_gt_u32_e64 s[12:13], 2, v14
	s_waitcnt lgkmcnt(0)
	v_fma_f64 v[11:12], v[11:12], v[31:32], 0
	s_and_saveexec_b64 s[16:17], s[12:13]
	s_cbranch_execz .LBB47_569
; %bb.568:
	v_lshlrev_b32_e32 v31, 3, v0
	v_mov_b32_e32 v33, 0
	ds_read_b64 v[31:32], v31 offset:17168
	ds_read_b64 v[33:34], v33 offset:16648
	s_waitcnt lgkmcnt(0)
	v_fma_f64 v[11:12], v[31:32], v[33:34], v[11:12]
.LBB47_569:
	s_or_b64 exec, exec, s[16:17]
	v_xor_b32_e32 v12, 0x80000000, v12
.LBB47_570:
	s_or_b64 exec, exec, s[14:15]
	s_and_saveexec_b64 s[0:1], s[30:31]
	s_cbranch_execz .LBB47_572
; %bb.571:
	v_mov_b32_e32 v31, 0
	ds_read_b64 v[31:32], v31 offset:17680
	s_waitcnt lgkmcnt(0)
	v_mul_f64 v[11:12], v[11:12], v[31:32]
	ds_write_b64 v13, v[11:12]
.LBB47_572:
	s_or_b64 exec, exec, s[0:1]
	s_waitcnt lgkmcnt(0)
	s_barrier
	s_and_saveexec_b64 s[0:1], s[28:29]
	s_cbranch_execz .LBB47_574
; %bb.573:
	v_mov_b32_e32 v31, 0
	ds_read_b64 v[31:32], v31 offset:17688
	ds_read_b64 v[33:34], v13
	s_waitcnt lgkmcnt(0)
	v_fma_f64 v[11:12], v[31:32], v[33:34], v[11:12]
.LBB47_574:
	s_or_b64 exec, exec, s[0:1]
	s_barrier
	s_and_saveexec_b64 s[0:1], s[28:29]
	s_cbranch_execz .LBB47_576
; %bb.575:
	v_mov_b32_e32 v31, 0
	ds_read_b64 v[31:32], v31 offset:18200
	s_waitcnt lgkmcnt(0)
	v_mul_f64 v[11:12], v[11:12], v[31:32]
	ds_write_b64 v13, v[11:12]
.LBB47_576:
	s_or_b64 exec, exec, s[0:1]
	s_waitcnt lgkmcnt(0)
	s_barrier
	s_barrier
	s_and_saveexec_b64 s[0:1], s[2:3]
; %bb.577:
	v_xor_b32_e32 v12, 0x80000000, v12
	ds_write_b64 v1, v[11:12] offset:16656
; %bb.578:
	s_or_b64 exec, exec, s[0:1]
	s_waitcnt lgkmcnt(0)
	s_barrier
	s_barrier
	s_and_saveexec_b64 s[0:1], s[34:35]
	s_cbranch_execz .LBB47_580
; %bb.579:
	v_lshlrev_b32_e32 v31, 3, v0
	s_movk_i32 s12, 0x1f8
	v_mad_u32_u24 v32, v0, s12, v31
	ds_read_b64 v[11:12], v32 offset:16656
	s_waitcnt lgkmcnt(0)
	ds_write_b64 v31, v[11:12] offset:17664
	ds_read_b64 v[11:12], v32 offset:16664
	s_waitcnt lgkmcnt(0)
	ds_write_b64 v31, v[11:12] offset:18176
.LBB47_580:
	s_or_b64 exec, exec, s[0:1]
	s_waitcnt lgkmcnt(0)
	s_barrier
	s_and_saveexec_b64 s[12:13], vcc
	s_cbranch_execz .LBB47_582
; %bb.581:
	v_mov_b32_e32 v11, 0
	ds_read_b128 v[31:34], v11 offset:17680
	ds_read_b64 v[11:12], v11 offset:18200
	s_movk_i32 s0, 0x4000
	s_waitcnt lgkmcnt(0)
	v_mul_f64 v[11:12], v[31:32], v[11:12]
	v_add_u32_e64 v31, s0, 0
	v_mul_f64 v[11:12], v[33:34], v[11:12]
	ds_write2_b64 v31, v[11:12], v[11:12] offset0:163 offset1:226
.LBB47_582:
	s_or_b64 exec, exec, s[12:13]
	v_mov_b32_e32 v11, 0
	v_mov_b32_e32 v12, 0
	s_waitcnt lgkmcnt(0)
	s_barrier
	s_and_saveexec_b64 s[14:15], s[18:19]
	s_cbranch_execz .LBB47_588
; %bb.583:
	v_mul_u32_u24_e32 v31, 0x208, v20
	ds_read_b64 v[11:12], v16 offset:16672
	ds_read_b64 v[32:33], v31 offset:16640
	v_cmp_gt_u32_e64 s[12:13], 12, v14
	s_waitcnt lgkmcnt(0)
	v_fma_f64 v[11:12], v[11:12], v[32:33], 0
	s_and_saveexec_b64 s[16:17], s[12:13]
	s_cbranch_execnz .LBB47_1123
; %bb.584:
	s_or_b64 exec, exec, s[16:17]
	v_cmp_gt_u32_e64 s[12:13], 8, v14
	s_and_saveexec_b64 s[0:1], s[12:13]
	s_cbranch_execnz .LBB47_1124
.LBB47_585:
	s_or_b64 exec, exec, s[0:1]
	v_cmp_gt_u32_e64 s[12:13], 4, v14
	s_and_saveexec_b64 s[0:1], s[12:13]
	s_cbranch_execz .LBB47_587
.LBB47_586:
	v_lshlrev_b32_e32 v31, 3, v0
	v_mov_b32_e32 v33, 0
	ds_read_b64 v[31:32], v31 offset:18208
	ds_read_b64 v[33:34], v33 offset:16664
	s_waitcnt lgkmcnt(0)
	v_fma_f64 v[11:12], v[31:32], v[33:34], v[11:12]
.LBB47_587:
	s_or_b64 exec, exec, s[0:1]
	v_xor_b32_e32 v12, 0x80000000, v12
.LBB47_588:
	s_or_b64 exec, exec, s[14:15]
	s_and_saveexec_b64 s[0:1], s[38:39]
	s_cbranch_execz .LBB47_590
; %bb.589:
	v_mov_b32_e32 v31, 0
	ds_read_b64 v[31:32], v31 offset:18720
	s_waitcnt lgkmcnt(0)
	v_mul_f64 v[11:12], v[11:12], v[31:32]
	ds_write_b64 v18, v[11:12]
.LBB47_590:
	s_or_b64 exec, exec, s[0:1]
	s_waitcnt lgkmcnt(0)
	s_barrier
	s_and_saveexec_b64 s[0:1], s[42:43]
	s_cbranch_execz .LBB47_592
; %bb.591:
	ds_read_b64 v[31:32], v17 offset:18720
	ds_read_b64 v[33:34], v18
	s_waitcnt lgkmcnt(0)
	v_fma_f64 v[11:12], v[31:32], v[33:34], v[11:12]
.LBB47_592:
	s_or_b64 exec, exec, s[0:1]
	s_barrier
	s_and_saveexec_b64 s[0:1], s[52:53]
	s_cbranch_execz .LBB47_594
; %bb.593:
	v_mov_b32_e32 v31, 0
	ds_read_b64 v[31:32], v31 offset:19240
	s_waitcnt lgkmcnt(0)
	v_mul_f64 v[11:12], v[11:12], v[31:32]
	ds_write_b64 v18, v[11:12]
.LBB47_594:
	s_or_b64 exec, exec, s[0:1]
	s_waitcnt lgkmcnt(0)
	s_barrier
	s_and_saveexec_b64 s[0:1], s[54:55]
	s_cbranch_execz .LBB47_596
; %bb.595:
	ds_read_b64 v[31:32], v17 offset:19232
	ds_read_b64 v[33:34], v18
	s_waitcnt lgkmcnt(0)
	v_fma_f64 v[11:12], v[31:32], v[33:34], v[11:12]
.LBB47_596:
	s_or_b64 exec, exec, s[0:1]
	s_barrier
	s_and_saveexec_b64 s[0:1], s[56:57]
	s_cbranch_execz .LBB47_598
; %bb.597:
	v_mov_b32_e32 v31, 0
	ds_read_b64 v[31:32], v31 offset:19760
	s_waitcnt lgkmcnt(0)
	v_mul_f64 v[11:12], v[11:12], v[31:32]
	ds_write_b64 v18, v[11:12]
.LBB47_598:
	s_or_b64 exec, exec, s[0:1]
	s_waitcnt lgkmcnt(0)
	s_barrier
	s_and_saveexec_b64 s[0:1], s[36:37]
	s_cbranch_execz .LBB47_600
; %bb.599:
	v_mov_b32_e32 v31, 0
	ds_read_b64 v[31:32], v31 offset:19768
	ds_read_b64 v[33:34], v18
	s_waitcnt lgkmcnt(0)
	v_fma_f64 v[11:12], v[31:32], v[33:34], v[11:12]
.LBB47_600:
	s_or_b64 exec, exec, s[0:1]
	s_barrier
	s_and_saveexec_b64 s[0:1], s[36:37]
	s_cbranch_execz .LBB47_602
; %bb.601:
	v_mov_b32_e32 v31, 0
	ds_read_b64 v[31:32], v31 offset:20280
	s_waitcnt lgkmcnt(0)
	v_mul_f64 v[11:12], v[11:12], v[31:32]
	ds_write_b64 v18, v[11:12]
.LBB47_602:
	s_or_b64 exec, exec, s[0:1]
	s_waitcnt lgkmcnt(0)
	s_barrier
	s_barrier
	s_and_saveexec_b64 s[0:1], s[18:19]
; %bb.603:
	v_xor_b32_e32 v12, 0x80000000, v12
	ds_write_b64 v16, v[11:12] offset:16672
; %bb.604:
	s_or_b64 exec, exec, s[0:1]
	s_waitcnt lgkmcnt(0)
	s_barrier
	s_barrier
	s_and_saveexec_b64 s[12:13], s[58:59]
	s_cbranch_execz .LBB47_606
; %bb.605:
	v_lshlrev_b32_e32 v31, 9, v0
	ds_read_b64 v[11:12], v31 offset:16672
	s_movk_i32 s0, 0xfe08
	v_mad_i32_i24 v32, v0, s0, v31
	s_waitcnt lgkmcnt(0)
	ds_write_b64 v32, v[11:12] offset:18688
	ds_read_b64 v[11:12], v31 offset:16680
	s_waitcnt lgkmcnt(0)
	ds_write_b64 v32, v[11:12] offset:19200
	ds_read_b64 v[11:12], v31 offset:16688
	;; [unrolled: 3-line block ×3, first 2 shown]
	s_waitcnt lgkmcnt(0)
	ds_write_b64 v32, v[11:12] offset:20224
.LBB47_606:
	s_or_b64 exec, exec, s[12:13]
	s_waitcnt lgkmcnt(0)
	s_barrier
	s_and_saveexec_b64 s[12:13], vcc
	s_cbranch_execz .LBB47_608
; %bb.607:
	v_mov_b32_e32 v11, 0
	ds_read_b128 v[31:34], v11 offset:18720
	ds_read_b64 v[11:12], v11 offset:19240
	s_movk_i32 s0, 0x4800
	s_waitcnt lgkmcnt(0)
	v_mul_f64 v[11:12], v[31:32], v[11:12]
	v_add_u32_e64 v31, s0, 0
	v_mul_f64 v[11:12], v[33:34], v[11:12]
	ds_write2_b64 v31, v[11:12], v[11:12] offset0:37 offset1:100
.LBB47_608:
	s_or_b64 exec, exec, s[12:13]
	v_mov_b32_e32 v11, 0
	v_mov_b32_e32 v12, 0
	s_waitcnt lgkmcnt(0)
	s_barrier
	s_and_saveexec_b64 s[14:15], s[2:3]
	s_cbranch_execz .LBB47_612
; %bb.609:
	v_mul_u32_u24_e32 v31, 0x208, v15
	ds_read_b64 v[11:12], v1 offset:18736
	ds_read_b64 v[31:32], v31 offset:18720
	v_cmp_gt_u32_e64 s[12:13], 2, v14
	s_waitcnt lgkmcnt(0)
	v_fma_f64 v[11:12], v[11:12], v[31:32], 0
	s_and_saveexec_b64 s[16:17], s[12:13]
	s_cbranch_execz .LBB47_611
; %bb.610:
	v_lshlrev_b32_e32 v31, 3, v0
	v_mov_b32_e32 v33, 0
	ds_read_b64 v[31:32], v31 offset:19248
	ds_read_b64 v[33:34], v33 offset:18728
	s_waitcnt lgkmcnt(0)
	v_fma_f64 v[11:12], v[31:32], v[33:34], v[11:12]
.LBB47_611:
	s_or_b64 exec, exec, s[16:17]
	v_xor_b32_e32 v12, 0x80000000, v12
.LBB47_612:
	s_or_b64 exec, exec, s[14:15]
	s_and_saveexec_b64 s[0:1], s[30:31]
	s_cbranch_execz .LBB47_614
; %bb.613:
	v_mov_b32_e32 v31, 0
	ds_read_b64 v[31:32], v31 offset:19760
	s_waitcnt lgkmcnt(0)
	v_mul_f64 v[11:12], v[11:12], v[31:32]
	ds_write_b64 v13, v[11:12]
.LBB47_614:
	s_or_b64 exec, exec, s[0:1]
	s_waitcnt lgkmcnt(0)
	s_barrier
	s_and_saveexec_b64 s[0:1], s[28:29]
	s_cbranch_execz .LBB47_616
; %bb.615:
	v_mov_b32_e32 v31, 0
	ds_read_b64 v[31:32], v31 offset:19768
	ds_read_b64 v[33:34], v13
	s_waitcnt lgkmcnt(0)
	v_fma_f64 v[11:12], v[31:32], v[33:34], v[11:12]
.LBB47_616:
	s_or_b64 exec, exec, s[0:1]
	s_barrier
	s_and_saveexec_b64 s[0:1], s[28:29]
	s_cbranch_execz .LBB47_618
; %bb.617:
	v_mov_b32_e32 v31, 0
	ds_read_b64 v[31:32], v31 offset:20280
	s_waitcnt lgkmcnt(0)
	v_mul_f64 v[11:12], v[11:12], v[31:32]
	ds_write_b64 v13, v[11:12]
.LBB47_618:
	s_or_b64 exec, exec, s[0:1]
	s_waitcnt lgkmcnt(0)
	s_barrier
	s_barrier
	s_and_saveexec_b64 s[0:1], s[2:3]
; %bb.619:
	v_xor_b32_e32 v12, 0x80000000, v12
	ds_write_b64 v1, v[11:12] offset:18736
; %bb.620:
	s_or_b64 exec, exec, s[0:1]
	s_waitcnt lgkmcnt(0)
	s_barrier
	s_barrier
	s_and_saveexec_b64 s[0:1], s[34:35]
	s_cbranch_execz .LBB47_622
; %bb.621:
	v_lshlrev_b32_e32 v31, 3, v0
	s_movk_i32 s12, 0x1f8
	v_mad_u32_u24 v32, v0, s12, v31
	ds_read_b64 v[11:12], v32 offset:18736
	s_waitcnt lgkmcnt(0)
	ds_write_b64 v31, v[11:12] offset:19744
	ds_read_b64 v[11:12], v32 offset:18744
	s_waitcnt lgkmcnt(0)
	ds_write_b64 v31, v[11:12] offset:20256
.LBB47_622:
	s_or_b64 exec, exec, s[0:1]
	s_waitcnt lgkmcnt(0)
	s_barrier
	s_and_saveexec_b64 s[12:13], vcc
	s_cbranch_execz .LBB47_624
; %bb.623:
	v_mov_b32_e32 v11, 0
	ds_read_b128 v[31:34], v11 offset:19760
	ds_read_b64 v[11:12], v11 offset:20280
	s_movk_i32 s0, 0x4800
	s_waitcnt lgkmcnt(0)
	v_mul_f64 v[11:12], v[31:32], v[11:12]
	v_add_u32_e64 v31, s0, 0
	v_mul_f64 v[11:12], v[33:34], v[11:12]
	ds_write2_b64 v31, v[11:12], v[11:12] offset0:167 offset1:230
.LBB47_624:
	s_or_b64 exec, exec, s[12:13]
	v_mov_b32_e32 v11, 0
	v_mov_b32_e32 v12, 0
	s_waitcnt lgkmcnt(0)
	s_barrier
	s_and_saveexec_b64 s[14:15], s[8:9]
	s_cbranch_execz .LBB47_634
; %bb.625:
	v_mul_u32_u24_e32 v31, 0x208, v25
	ds_read_b64 v[11:12], v21 offset:16704
	ds_read_b64 v[32:33], v31 offset:16640
	v_cmp_gt_u32_e64 s[12:13], 56, v14
	s_waitcnt lgkmcnt(0)
	v_fma_f64 v[11:12], v[11:12], v[32:33], 0
	s_and_saveexec_b64 s[16:17], s[12:13]
	s_cbranch_execnz .LBB47_1125
; %bb.626:
	s_or_b64 exec, exec, s[16:17]
	v_cmp_gt_u32_e64 s[12:13], 48, v14
	s_and_saveexec_b64 s[0:1], s[12:13]
	s_cbranch_execnz .LBB47_1126
.LBB47_627:
	s_or_b64 exec, exec, s[0:1]
	v_cmp_gt_u32_e64 s[12:13], 40, v14
	s_and_saveexec_b64 s[0:1], s[12:13]
	s_cbranch_execnz .LBB47_1127
.LBB47_628:
	s_or_b64 exec, exec, s[0:1]
	v_cmp_gt_u32_e64 s[12:13], 32, v14
	s_and_saveexec_b64 s[0:1], s[12:13]
	s_cbranch_execnz .LBB47_1128
.LBB47_629:
	s_or_b64 exec, exec, s[0:1]
	v_cmp_gt_u32_e64 s[12:13], 24, v14
	s_and_saveexec_b64 s[0:1], s[12:13]
	s_cbranch_execnz .LBB47_1129
.LBB47_630:
	s_or_b64 exec, exec, s[0:1]
	v_cmp_gt_u32_e64 s[12:13], 16, v14
	s_and_saveexec_b64 s[0:1], s[12:13]
	s_cbranch_execnz .LBB47_1130
.LBB47_631:
	s_or_b64 exec, exec, s[0:1]
	v_cmp_gt_u32_e64 s[12:13], 8, v14
	s_and_saveexec_b64 s[0:1], s[12:13]
	s_cbranch_execz .LBB47_633
.LBB47_632:
	v_lshlrev_b32_e32 v31, 3, v0
	v_mov_b32_e32 v33, 0
	ds_read_b64 v[31:32], v31 offset:20288
	ds_read_b64 v[33:34], v33 offset:16696
	s_waitcnt lgkmcnt(0)
	v_fma_f64 v[11:12], v[31:32], v[33:34], v[11:12]
.LBB47_633:
	s_or_b64 exec, exec, s[0:1]
	v_xor_b32_e32 v12, 0x80000000, v12
.LBB47_634:
	s_or_b64 exec, exec, s[14:15]
	s_mov_b64 s[0:1], exec
	v_readlane_b32 s12, v42, 3
	v_readlane_b32 s13, v42, 4
	s_and_b64 s[12:13], s[0:1], s[12:13]
	s_mov_b64 exec, s[12:13]
	s_cbranch_execz .LBB47_636
; %bb.635:
	v_mov_b32_e32 v31, 0
	ds_read_b64 v[31:32], v31 offset:20800
	s_waitcnt lgkmcnt(0)
	v_mul_f64 v[11:12], v[11:12], v[31:32]
	ds_write_b64 v23, v[11:12]
.LBB47_636:
	s_or_b64 exec, exec, s[0:1]
	s_waitcnt lgkmcnt(0)
	s_barrier
	s_and_saveexec_b64 s[0:1], s[62:63]
	s_cbranch_execz .LBB47_638
; %bb.637:
	ds_read_b64 v[31:32], v22 offset:20800
	ds_read_b64 v[33:34], v23
	s_waitcnt lgkmcnt(0)
	v_fma_f64 v[11:12], v[31:32], v[33:34], v[11:12]
.LBB47_638:
	s_or_b64 exec, exec, s[0:1]
	s_barrier
	s_and_saveexec_b64 s[0:1], s[64:65]
	s_cbranch_execz .LBB47_640
; %bb.639:
	v_mov_b32_e32 v31, 0
	ds_read_b64 v[31:32], v31 offset:21320
	s_waitcnt lgkmcnt(0)
	v_mul_f64 v[11:12], v[11:12], v[31:32]
	ds_write_b64 v23, v[11:12]
.LBB47_640:
	s_or_b64 exec, exec, s[0:1]
	s_waitcnt lgkmcnt(0)
	s_barrier
	s_and_saveexec_b64 s[0:1], s[66:67]
	s_cbranch_execz .LBB47_642
; %bb.641:
	ds_read_b64 v[31:32], v22 offset:21312
	ds_read_b64 v[33:34], v23
	s_waitcnt lgkmcnt(0)
	v_fma_f64 v[11:12], v[31:32], v[33:34], v[11:12]
.LBB47_642:
	s_or_b64 exec, exec, s[0:1]
	s_barrier
	s_and_saveexec_b64 s[0:1], s[68:69]
	;; [unrolled: 22-line block ×6, first 2 shown]
	s_cbranch_execz .LBB47_660
; %bb.659:
	v_mov_b32_e32 v31, 0
	ds_read_b64 v[31:32], v31 offset:23920
	s_waitcnt lgkmcnt(0)
	v_mul_f64 v[11:12], v[11:12], v[31:32]
	ds_write_b64 v23, v[11:12]
.LBB47_660:
	s_or_b64 exec, exec, s[0:1]
	s_waitcnt lgkmcnt(0)
	s_barrier
	s_and_saveexec_b64 s[0:1], s[70:71]
	s_cbranch_execz .LBB47_662
; %bb.661:
	v_mov_b32_e32 v31, 0
	ds_read_b64 v[31:32], v31 offset:23928
	ds_read_b64 v[33:34], v23
	s_waitcnt lgkmcnt(0)
	v_fma_f64 v[11:12], v[31:32], v[33:34], v[11:12]
.LBB47_662:
	s_or_b64 exec, exec, s[0:1]
	s_barrier
	s_and_saveexec_b64 s[0:1], s[70:71]
	s_cbranch_execz .LBB47_664
; %bb.663:
	v_mov_b32_e32 v31, 0
	ds_read_b64 v[31:32], v31 offset:24440
	s_waitcnt lgkmcnt(0)
	v_mul_f64 v[11:12], v[11:12], v[31:32]
	ds_write_b64 v23, v[11:12]
.LBB47_664:
	s_or_b64 exec, exec, s[0:1]
	s_waitcnt lgkmcnt(0)
	s_barrier
	s_barrier
	s_and_saveexec_b64 s[0:1], s[8:9]
; %bb.665:
	v_xor_b32_e32 v12, 0x80000000, v12
	ds_write_b64 v21, v[11:12] offset:16704
; %bb.666:
	s_or_b64 exec, exec, s[0:1]
	s_waitcnt lgkmcnt(0)
	s_barrier
	s_barrier
	s_and_saveexec_b64 s[12:13], s[88:89]
	s_cbranch_execz .LBB47_668
; %bb.667:
	v_lshlrev_b32_e32 v31, 9, v0
	ds_read_b64 v[11:12], v31 offset:16704
	s_movk_i32 s0, 0xfe08
	v_mad_i32_i24 v32, v0, s0, v31
	s_waitcnt lgkmcnt(0)
	ds_write_b64 v32, v[11:12] offset:20736
	ds_read_b64 v[11:12], v31 offset:16712
	s_waitcnt lgkmcnt(0)
	ds_write_b64 v32, v[11:12] offset:21248
	ds_read_b64 v[11:12], v31 offset:16720
	;; [unrolled: 3-line block ×7, first 2 shown]
	s_waitcnt lgkmcnt(0)
	ds_write_b64 v32, v[11:12] offset:24320
.LBB47_668:
	s_or_b64 exec, exec, s[12:13]
	s_waitcnt lgkmcnt(0)
	s_barrier
	s_and_saveexec_b64 s[12:13], vcc
	s_cbranch_execz .LBB47_670
; %bb.669:
	v_mov_b32_e32 v11, 0
	ds_read_b128 v[31:34], v11 offset:20800
	ds_read_b64 v[11:12], v11 offset:21320
	s_movk_i32 s0, 0x5000
	s_waitcnt lgkmcnt(0)
	v_mul_f64 v[11:12], v[31:32], v[11:12]
	v_add_u32_e64 v31, s0, 0
	v_mul_f64 v[11:12], v[33:34], v[11:12]
	ds_write2_b64 v31, v[11:12], v[11:12] offset0:41 offset1:104
.LBB47_670:
	s_or_b64 exec, exec, s[12:13]
	v_mov_b32_e32 v11, 0
	v_mov_b32_e32 v12, 0
	s_waitcnt lgkmcnt(0)
	s_barrier
	s_and_saveexec_b64 s[14:15], s[2:3]
	s_cbranch_execz .LBB47_674
; %bb.671:
	v_mul_u32_u24_e32 v31, 0x208, v15
	ds_read_b64 v[11:12], v1 offset:20816
	ds_read_b64 v[31:32], v31 offset:20800
	v_cmp_gt_u32_e64 s[12:13], 2, v14
	s_waitcnt lgkmcnt(0)
	v_fma_f64 v[11:12], v[11:12], v[31:32], 0
	s_and_saveexec_b64 s[16:17], s[12:13]
	s_cbranch_execz .LBB47_673
; %bb.672:
	v_lshlrev_b32_e32 v31, 3, v0
	v_mov_b32_e32 v33, 0
	ds_read_b64 v[31:32], v31 offset:21328
	ds_read_b64 v[33:34], v33 offset:20808
	s_waitcnt lgkmcnt(0)
	v_fma_f64 v[11:12], v[31:32], v[33:34], v[11:12]
.LBB47_673:
	s_or_b64 exec, exec, s[16:17]
	v_xor_b32_e32 v12, 0x80000000, v12
.LBB47_674:
	s_or_b64 exec, exec, s[14:15]
	s_and_saveexec_b64 s[0:1], s[30:31]
	s_cbranch_execz .LBB47_676
; %bb.675:
	v_mov_b32_e32 v31, 0
	ds_read_b64 v[31:32], v31 offset:21840
	s_waitcnt lgkmcnt(0)
	v_mul_f64 v[11:12], v[11:12], v[31:32]
	ds_write_b64 v13, v[11:12]
.LBB47_676:
	s_or_b64 exec, exec, s[0:1]
	s_waitcnt lgkmcnt(0)
	s_barrier
	s_and_saveexec_b64 s[0:1], s[28:29]
	s_cbranch_execz .LBB47_678
; %bb.677:
	v_mov_b32_e32 v31, 0
	ds_read_b64 v[31:32], v31 offset:21848
	ds_read_b64 v[33:34], v13
	s_waitcnt lgkmcnt(0)
	v_fma_f64 v[11:12], v[31:32], v[33:34], v[11:12]
.LBB47_678:
	s_or_b64 exec, exec, s[0:1]
	s_barrier
	s_and_saveexec_b64 s[0:1], s[28:29]
	s_cbranch_execz .LBB47_680
; %bb.679:
	v_mov_b32_e32 v31, 0
	ds_read_b64 v[31:32], v31 offset:22360
	s_waitcnt lgkmcnt(0)
	v_mul_f64 v[11:12], v[11:12], v[31:32]
	ds_write_b64 v13, v[11:12]
.LBB47_680:
	s_or_b64 exec, exec, s[0:1]
	s_waitcnt lgkmcnt(0)
	s_barrier
	s_barrier
	s_and_saveexec_b64 s[0:1], s[2:3]
; %bb.681:
	v_xor_b32_e32 v12, 0x80000000, v12
	ds_write_b64 v1, v[11:12] offset:20816
; %bb.682:
	s_or_b64 exec, exec, s[0:1]
	s_waitcnt lgkmcnt(0)
	s_barrier
	s_barrier
	s_and_saveexec_b64 s[0:1], s[34:35]
	s_cbranch_execz .LBB47_684
; %bb.683:
	v_lshlrev_b32_e32 v31, 3, v0
	s_movk_i32 s12, 0x1f8
	v_mad_u32_u24 v32, v0, s12, v31
	ds_read_b64 v[11:12], v32 offset:20816
	s_waitcnt lgkmcnt(0)
	ds_write_b64 v31, v[11:12] offset:21824
	ds_read_b64 v[11:12], v32 offset:20824
	s_waitcnt lgkmcnt(0)
	ds_write_b64 v31, v[11:12] offset:22336
.LBB47_684:
	s_or_b64 exec, exec, s[0:1]
	s_waitcnt lgkmcnt(0)
	s_barrier
	s_and_saveexec_b64 s[12:13], vcc
	s_cbranch_execz .LBB47_686
; %bb.685:
	v_mov_b32_e32 v11, 0
	ds_read_b128 v[31:34], v11 offset:21840
	ds_read_b64 v[11:12], v11 offset:22360
	s_movk_i32 s0, 0x5000
	s_waitcnt lgkmcnt(0)
	v_mul_f64 v[11:12], v[31:32], v[11:12]
	v_add_u32_e64 v31, s0, 0
	v_mul_f64 v[11:12], v[33:34], v[11:12]
	ds_write2_b64 v31, v[11:12], v[11:12] offset0:171 offset1:234
.LBB47_686:
	s_or_b64 exec, exec, s[12:13]
	v_mov_b32_e32 v11, 0
	v_mov_b32_e32 v12, 0
	s_waitcnt lgkmcnt(0)
	s_barrier
	s_and_saveexec_b64 s[14:15], s[18:19]
	s_cbranch_execz .LBB47_692
; %bb.687:
	v_mul_u32_u24_e32 v31, 0x208, v20
	ds_read_b64 v[11:12], v16 offset:20832
	ds_read_b64 v[32:33], v31 offset:20800
	v_cmp_gt_u32_e64 s[12:13], 12, v14
	s_waitcnt lgkmcnt(0)
	v_fma_f64 v[11:12], v[11:12], v[32:33], 0
	s_and_saveexec_b64 s[16:17], s[12:13]
	s_cbranch_execnz .LBB47_1131
; %bb.688:
	s_or_b64 exec, exec, s[16:17]
	v_cmp_gt_u32_e64 s[12:13], 8, v14
	s_and_saveexec_b64 s[0:1], s[12:13]
	s_cbranch_execnz .LBB47_1132
.LBB47_689:
	s_or_b64 exec, exec, s[0:1]
	v_cmp_gt_u32_e64 s[12:13], 4, v14
	s_and_saveexec_b64 s[0:1], s[12:13]
	s_cbranch_execz .LBB47_691
.LBB47_690:
	v_lshlrev_b32_e32 v31, 3, v0
	v_mov_b32_e32 v33, 0
	ds_read_b64 v[31:32], v31 offset:22368
	ds_read_b64 v[33:34], v33 offset:20824
	s_waitcnt lgkmcnt(0)
	v_fma_f64 v[11:12], v[31:32], v[33:34], v[11:12]
.LBB47_691:
	s_or_b64 exec, exec, s[0:1]
	v_xor_b32_e32 v12, 0x80000000, v12
.LBB47_692:
	s_or_b64 exec, exec, s[14:15]
	s_and_saveexec_b64 s[0:1], s[38:39]
	s_cbranch_execz .LBB47_694
; %bb.693:
	v_mov_b32_e32 v31, 0
	ds_read_b64 v[31:32], v31 offset:22880
	s_waitcnt lgkmcnt(0)
	v_mul_f64 v[11:12], v[11:12], v[31:32]
	ds_write_b64 v18, v[11:12]
.LBB47_694:
	s_or_b64 exec, exec, s[0:1]
	s_waitcnt lgkmcnt(0)
	s_barrier
	s_and_saveexec_b64 s[0:1], s[42:43]
	s_cbranch_execz .LBB47_696
; %bb.695:
	ds_read_b64 v[31:32], v17 offset:22880
	ds_read_b64 v[33:34], v18
	s_waitcnt lgkmcnt(0)
	v_fma_f64 v[11:12], v[31:32], v[33:34], v[11:12]
.LBB47_696:
	s_or_b64 exec, exec, s[0:1]
	s_barrier
	s_and_saveexec_b64 s[0:1], s[52:53]
	s_cbranch_execz .LBB47_698
; %bb.697:
	v_mov_b32_e32 v31, 0
	ds_read_b64 v[31:32], v31 offset:23400
	s_waitcnt lgkmcnt(0)
	v_mul_f64 v[11:12], v[11:12], v[31:32]
	ds_write_b64 v18, v[11:12]
.LBB47_698:
	s_or_b64 exec, exec, s[0:1]
	s_waitcnt lgkmcnt(0)
	s_barrier
	s_and_saveexec_b64 s[0:1], s[54:55]
	s_cbranch_execz .LBB47_700
; %bb.699:
	ds_read_b64 v[31:32], v17 offset:23392
	ds_read_b64 v[33:34], v18
	s_waitcnt lgkmcnt(0)
	v_fma_f64 v[11:12], v[31:32], v[33:34], v[11:12]
.LBB47_700:
	s_or_b64 exec, exec, s[0:1]
	s_barrier
	s_and_saveexec_b64 s[0:1], s[56:57]
	s_cbranch_execz .LBB47_702
; %bb.701:
	v_mov_b32_e32 v31, 0
	ds_read_b64 v[31:32], v31 offset:23920
	s_waitcnt lgkmcnt(0)
	v_mul_f64 v[11:12], v[11:12], v[31:32]
	ds_write_b64 v18, v[11:12]
.LBB47_702:
	s_or_b64 exec, exec, s[0:1]
	s_waitcnt lgkmcnt(0)
	s_barrier
	s_and_saveexec_b64 s[0:1], s[36:37]
	s_cbranch_execz .LBB47_704
; %bb.703:
	v_mov_b32_e32 v31, 0
	ds_read_b64 v[31:32], v31 offset:23928
	ds_read_b64 v[33:34], v18
	s_waitcnt lgkmcnt(0)
	v_fma_f64 v[11:12], v[31:32], v[33:34], v[11:12]
.LBB47_704:
	s_or_b64 exec, exec, s[0:1]
	s_barrier
	s_and_saveexec_b64 s[0:1], s[36:37]
	s_cbranch_execz .LBB47_706
; %bb.705:
	v_mov_b32_e32 v31, 0
	ds_read_b64 v[31:32], v31 offset:24440
	s_waitcnt lgkmcnt(0)
	v_mul_f64 v[11:12], v[11:12], v[31:32]
	ds_write_b64 v18, v[11:12]
.LBB47_706:
	s_or_b64 exec, exec, s[0:1]
	s_waitcnt lgkmcnt(0)
	s_barrier
	s_barrier
	s_and_saveexec_b64 s[0:1], s[18:19]
; %bb.707:
	v_xor_b32_e32 v12, 0x80000000, v12
	ds_write_b64 v16, v[11:12] offset:20832
; %bb.708:
	s_or_b64 exec, exec, s[0:1]
	s_waitcnt lgkmcnt(0)
	s_barrier
	s_barrier
	s_and_saveexec_b64 s[12:13], s[58:59]
	s_cbranch_execz .LBB47_710
; %bb.709:
	v_lshlrev_b32_e32 v31, 9, v0
	ds_read_b64 v[11:12], v31 offset:20832
	s_movk_i32 s0, 0xfe08
	v_mad_i32_i24 v32, v0, s0, v31
	s_waitcnt lgkmcnt(0)
	ds_write_b64 v32, v[11:12] offset:22848
	ds_read_b64 v[11:12], v31 offset:20840
	s_waitcnt lgkmcnt(0)
	ds_write_b64 v32, v[11:12] offset:23360
	ds_read_b64 v[11:12], v31 offset:20848
	;; [unrolled: 3-line block ×3, first 2 shown]
	s_waitcnt lgkmcnt(0)
	ds_write_b64 v32, v[11:12] offset:24384
.LBB47_710:
	s_or_b64 exec, exec, s[12:13]
	s_waitcnt lgkmcnt(0)
	s_barrier
	s_and_saveexec_b64 s[12:13], vcc
	s_cbranch_execz .LBB47_712
; %bb.711:
	v_mov_b32_e32 v11, 0
	ds_read_b128 v[31:34], v11 offset:22880
	ds_read_b64 v[11:12], v11 offset:23400
	s_movk_i32 s0, 0x5800
	s_waitcnt lgkmcnt(0)
	v_mul_f64 v[11:12], v[31:32], v[11:12]
	v_add_u32_e64 v31, s0, 0
	v_mul_f64 v[11:12], v[33:34], v[11:12]
	ds_write2_b64 v31, v[11:12], v[11:12] offset0:45 offset1:108
.LBB47_712:
	s_or_b64 exec, exec, s[12:13]
	v_mov_b32_e32 v11, 0
	v_mov_b32_e32 v12, 0
	s_waitcnt lgkmcnt(0)
	s_barrier
	s_and_saveexec_b64 s[14:15], s[2:3]
	s_cbranch_execz .LBB47_716
; %bb.713:
	v_mul_u32_u24_e32 v31, 0x208, v15
	ds_read_b64 v[11:12], v1 offset:22896
	ds_read_b64 v[31:32], v31 offset:22880
	v_cmp_gt_u32_e64 s[12:13], 2, v14
	s_waitcnt lgkmcnt(0)
	v_fma_f64 v[11:12], v[11:12], v[31:32], 0
	s_and_saveexec_b64 s[16:17], s[12:13]
	s_cbranch_execz .LBB47_715
; %bb.714:
	v_lshlrev_b32_e32 v31, 3, v0
	v_mov_b32_e32 v33, 0
	ds_read_b64 v[31:32], v31 offset:23408
	ds_read_b64 v[33:34], v33 offset:22888
	s_waitcnt lgkmcnt(0)
	v_fma_f64 v[11:12], v[31:32], v[33:34], v[11:12]
.LBB47_715:
	s_or_b64 exec, exec, s[16:17]
	v_xor_b32_e32 v12, 0x80000000, v12
.LBB47_716:
	s_or_b64 exec, exec, s[14:15]
	s_and_saveexec_b64 s[0:1], s[30:31]
	s_cbranch_execz .LBB47_718
; %bb.717:
	v_mov_b32_e32 v31, 0
	ds_read_b64 v[31:32], v31 offset:23920
	s_waitcnt lgkmcnt(0)
	v_mul_f64 v[11:12], v[11:12], v[31:32]
	ds_write_b64 v13, v[11:12]
.LBB47_718:
	s_or_b64 exec, exec, s[0:1]
	s_waitcnt lgkmcnt(0)
	s_barrier
	s_and_saveexec_b64 s[0:1], s[28:29]
	s_cbranch_execz .LBB47_720
; %bb.719:
	v_mov_b32_e32 v31, 0
	ds_read_b64 v[31:32], v31 offset:23928
	ds_read_b64 v[33:34], v13
	s_waitcnt lgkmcnt(0)
	v_fma_f64 v[11:12], v[31:32], v[33:34], v[11:12]
.LBB47_720:
	s_or_b64 exec, exec, s[0:1]
	s_barrier
	s_and_saveexec_b64 s[0:1], s[28:29]
	s_cbranch_execz .LBB47_722
; %bb.721:
	v_mov_b32_e32 v31, 0
	ds_read_b64 v[31:32], v31 offset:24440
	s_waitcnt lgkmcnt(0)
	v_mul_f64 v[11:12], v[11:12], v[31:32]
	ds_write_b64 v13, v[11:12]
.LBB47_722:
	s_or_b64 exec, exec, s[0:1]
	s_waitcnt lgkmcnt(0)
	s_barrier
	s_barrier
	s_and_saveexec_b64 s[0:1], s[2:3]
; %bb.723:
	v_xor_b32_e32 v12, 0x80000000, v12
	ds_write_b64 v1, v[11:12] offset:22896
; %bb.724:
	s_or_b64 exec, exec, s[0:1]
	s_waitcnt lgkmcnt(0)
	s_barrier
	s_barrier
	s_and_saveexec_b64 s[0:1], s[34:35]
	s_cbranch_execz .LBB47_726
; %bb.725:
	v_lshlrev_b32_e32 v31, 3, v0
	s_movk_i32 s12, 0x1f8
	v_mad_u32_u24 v32, v0, s12, v31
	ds_read_b64 v[11:12], v32 offset:22896
	s_waitcnt lgkmcnt(0)
	ds_write_b64 v31, v[11:12] offset:23904
	ds_read_b64 v[11:12], v32 offset:22904
	s_waitcnt lgkmcnt(0)
	ds_write_b64 v31, v[11:12] offset:24416
.LBB47_726:
	s_or_b64 exec, exec, s[0:1]
	s_waitcnt lgkmcnt(0)
	s_barrier
	s_and_saveexec_b64 s[12:13], vcc
	s_cbranch_execz .LBB47_728
; %bb.727:
	v_mov_b32_e32 v11, 0
	ds_read_b128 v[31:34], v11 offset:23920
	ds_read_b64 v[11:12], v11 offset:24440
	s_movk_i32 s0, 0x5800
	s_waitcnt lgkmcnt(0)
	v_mul_f64 v[11:12], v[31:32], v[11:12]
	v_add_u32_e64 v31, s0, 0
	v_mul_f64 v[11:12], v[33:34], v[11:12]
	ds_write2_b64 v31, v[11:12], v[11:12] offset0:175 offset1:238
.LBB47_728:
	s_or_b64 exec, exec, s[12:13]
	v_mov_b32_e32 v11, 0
	v_mov_b32_e32 v12, 0
	s_waitcnt lgkmcnt(0)
	s_barrier
	s_and_saveexec_b64 s[14:15], s[10:11]
	s_cbranch_execz .LBB47_756
; %bb.729:
	v_mul_u32_u24_e32 v31, 0x208, v30
	ds_read_b64 v[11:12], v26 offset:16768
	ds_read_b64 v[32:33], v31 offset:16640
	s_movk_i32 s0, 0xf0
	v_cmp_gt_u32_e64 s[12:13], s0, v14
	s_waitcnt lgkmcnt(0)
	v_fma_f64 v[11:12], v[11:12], v[32:33], 0
	s_and_saveexec_b64 s[16:17], s[12:13]
	s_cbranch_execz .LBB47_731
; %bb.730:
	v_lshlrev_b32_e32 v32, 3, v30
	v_sub_u32_e32 v32, v31, v32
	v_lshl_add_u32 v32, v27, 3, v32
	ds_read_b64 v[32:33], v32 offset:17280
	ds_read_b64 v[34:35], v31 offset:16648
	s_waitcnt lgkmcnt(0)
	v_fma_f64 v[11:12], v[32:33], v[34:35], v[11:12]
.LBB47_731:
	s_or_b64 exec, exec, s[16:17]
	s_movk_i32 s0, 0xe0
	v_cmp_gt_u32_e64 s[12:13], s0, v14
	s_and_saveexec_b64 s[0:1], s[12:13]
	s_cbranch_execz .LBB47_733
; %bb.732:
	v_lshlrev_b32_e32 v32, 3, v30
	v_sub_u32_e32 v32, v31, v32
	v_lshl_add_u32 v32, v27, 3, v32
	ds_read_b64 v[32:33], v32 offset:17792
	ds_read_b64 v[34:35], v31 offset:16656
	s_waitcnt lgkmcnt(0)
	v_fma_f64 v[11:12], v[32:33], v[34:35], v[11:12]
.LBB47_733:
	s_or_b64 exec, exec, s[0:1]
	s_movk_i32 s0, 0xd0
	v_cmp_gt_u32_e64 s[12:13], s0, v14
	;; [unrolled: 14-line block ×7, first 2 shown]
	s_and_saveexec_b64 s[0:1], s[12:13]
	s_cbranch_execz .LBB47_745
; %bb.744:
	ds_read_b64 v[32:33], v26 offset:20864
	ds_read_b64 v[34:35], v31 offset:16704
	s_waitcnt lgkmcnt(0)
	v_fma_f64 v[11:12], v[32:33], v[34:35], v[11:12]
.LBB47_745:
	s_or_b64 exec, exec, s[0:1]
	s_movk_i32 s0, 0x70
	v_cmp_gt_u32_e64 s[12:13], s0, v14
	s_and_saveexec_b64 s[0:1], s[12:13]
	s_cbranch_execz .LBB47_747
; %bb.746:
	v_lshlrev_b32_e32 v30, 3, v27
	v_lshl_add_u32 v30, v29, 3, v30
	ds_read_b64 v[32:33], v30 offset:21376
	ds_read_b64 v[34:35], v31 offset:16712
	s_waitcnt lgkmcnt(0)
	v_fma_f64 v[11:12], v[32:33], v[34:35], v[11:12]
.LBB47_747:
	s_or_b64 exec, exec, s[0:1]
	s_movk_i32 s0, 0x60
	v_cmp_gt_u32_e64 s[12:13], s0, v14
	s_and_saveexec_b64 s[0:1], s[12:13]
	s_cbranch_execz .LBB47_749
; %bb.748:
	v_lshlrev_b32_e32 v30, 3, v27
	v_lshl_add_u32 v30, v29, 3, v30
	ds_read_b64 v[32:33], v30 offset:21888
	ds_read_b64 v[34:35], v31 offset:16720
	s_waitcnt lgkmcnt(0)
	v_fma_f64 v[11:12], v[32:33], v[34:35], v[11:12]
.LBB47_749:
	s_or_b64 exec, exec, s[0:1]
	s_movk_i32 s0, 0x50
	v_cmp_gt_u32_e64 s[12:13], s0, v14
	s_and_saveexec_b64 s[0:1], s[12:13]
	s_cbranch_execnz .LBB47_1133
; %bb.750:
	s_or_b64 exec, exec, s[0:1]
	v_cmp_gt_u32_e64 s[12:13], 64, v14
	s_and_saveexec_b64 s[0:1], s[12:13]
	s_cbranch_execnz .LBB47_1134
.LBB47_751:
	s_or_b64 exec, exec, s[0:1]
	v_cmp_gt_u32_e64 s[12:13], 48, v14
	s_and_saveexec_b64 s[0:1], s[12:13]
	s_cbranch_execnz .LBB47_1135
.LBB47_752:
	s_or_b64 exec, exec, s[0:1]
	v_cmp_gt_u32_e64 s[12:13], 32, v14
	s_and_saveexec_b64 s[0:1], s[12:13]
	s_cbranch_execnz .LBB47_1136
.LBB47_753:
	s_or_b64 exec, exec, s[0:1]
	v_cmp_gt_u32_e64 s[12:13], 16, v14
	s_and_saveexec_b64 s[0:1], s[12:13]
	s_cbranch_execz .LBB47_755
.LBB47_754:
	v_lshlrev_b32_e32 v29, 3, v0
	v_mov_b32_e32 v31, 0
	ds_read_b64 v[29:30], v29 offset:24448
	ds_read_b64 v[31:32], v31 offset:16760
	s_waitcnt lgkmcnt(0)
	v_fma_f64 v[11:12], v[29:30], v[31:32], v[11:12]
.LBB47_755:
	s_or_b64 exec, exec, s[0:1]
	v_xor_b32_e32 v12, 0x80000000, v12
.LBB47_756:
	s_or_b64 exec, exec, s[14:15]
	s_mov_b64 s[0:1], exec
	v_readlane_b32 s12, v42, 5
	v_readlane_b32 s13, v42, 6
	s_and_b64 s[12:13], s[0:1], s[12:13]
	s_mov_b64 exec, s[12:13]
	s_cbranch_execz .LBB47_758
; %bb.757:
	v_mov_b32_e32 v29, 0
	ds_read_b64 v[29:30], v29 offset:24960
	s_waitcnt lgkmcnt(0)
	v_mul_f64 v[11:12], v[11:12], v[29:30]
	ds_write_b64 v28, v[11:12]
.LBB47_758:
	s_or_b64 exec, exec, s[0:1]
	s_waitcnt lgkmcnt(0)
	s_barrier
	s_mov_b64 s[0:1], exec
	v_readlane_b32 s12, v42, 7
	v_readlane_b32 s13, v42, 8
	s_and_b64 s[12:13], s[0:1], s[12:13]
	s_mov_b64 exec, s[12:13]
	s_cbranch_execz .LBB47_760
; %bb.759:
	v_lshlrev_b32_e32 v29, 3, v27
	ds_read_b64 v[29:30], v29 offset:24960
	ds_read_b64 v[31:32], v28
	s_waitcnt lgkmcnt(0)
	v_fma_f64 v[11:12], v[29:30], v[31:32], v[11:12]
.LBB47_760:
	s_or_b64 exec, exec, s[0:1]
	s_barrier
	s_mov_b64 s[0:1], exec
	v_readlane_b32 s12, v42, 9
	v_readlane_b32 s13, v42, 10
	s_and_b64 s[12:13], s[0:1], s[12:13]
	s_mov_b64 exec, s[12:13]
	s_cbranch_execz .LBB47_762
; %bb.761:
	v_mov_b32_e32 v29, 0
	ds_read_b64 v[29:30], v29 offset:25480
	s_waitcnt lgkmcnt(0)
	v_mul_f64 v[11:12], v[11:12], v[29:30]
	ds_write_b64 v28, v[11:12]
.LBB47_762:
	s_or_b64 exec, exec, s[0:1]
	s_waitcnt lgkmcnt(0)
	s_barrier
	s_mov_b64 s[0:1], exec
	v_readlane_b32 s12, v42, 11
	v_readlane_b32 s13, v42, 12
	s_and_b64 s[12:13], s[0:1], s[12:13]
	s_mov_b64 exec, s[12:13]
	s_cbranch_execz .LBB47_764
; %bb.763:
	v_lshlrev_b32_e32 v29, 3, v27
	ds_read_b64 v[29:30], v29 offset:25472
	ds_read_b64 v[31:32], v28
	s_waitcnt lgkmcnt(0)
	v_fma_f64 v[11:12], v[29:30], v[31:32], v[11:12]
.LBB47_764:
	s_or_b64 exec, exec, s[0:1]
	s_barrier
	;; [unrolled: 31-line block ×14, first 2 shown]
	s_mov_b64 s[0:1], exec
	v_readlane_b32 s12, v42, 61
	v_readlane_b32 s13, v42, 62
	s_and_b64 s[12:13], s[0:1], s[12:13]
	s_mov_b64 exec, s[12:13]
	s_cbranch_execz .LBB47_814
; %bb.813:
	v_mov_b32_e32 v27, 0
	ds_read_b64 v[29:30], v27 offset:32240
	s_waitcnt lgkmcnt(0)
	v_mul_f64 v[11:12], v[11:12], v[29:30]
	ds_write_b64 v28, v[11:12]
.LBB47_814:
	s_or_b64 exec, exec, s[0:1]
	s_waitcnt lgkmcnt(0)
	s_barrier
	s_and_saveexec_b64 s[0:1], s[92:93]
	s_cbranch_execz .LBB47_816
; %bb.815:
	v_mov_b32_e32 v27, 0
	ds_read_b64 v[29:30], v27 offset:32248
	ds_read_b64 v[31:32], v28
	s_waitcnt lgkmcnt(0)
	v_fma_f64 v[11:12], v[29:30], v[31:32], v[11:12]
.LBB47_816:
	s_or_b64 exec, exec, s[0:1]
	s_barrier
	s_and_saveexec_b64 s[0:1], s[92:93]
	s_cbranch_execz .LBB47_818
; %bb.817:
	v_mov_b32_e32 v27, 0
	ds_read_b64 v[29:30], v27 offset:32760
	s_waitcnt lgkmcnt(0)
	v_mul_f64 v[11:12], v[11:12], v[29:30]
	ds_write_b64 v28, v[11:12]
.LBB47_818:
	s_or_b64 exec, exec, s[0:1]
	s_waitcnt lgkmcnt(0)
	s_barrier
	s_barrier
	s_and_saveexec_b64 s[0:1], s[10:11]
; %bb.819:
	v_xor_b32_e32 v12, 0x80000000, v12
	ds_write_b64 v26, v[11:12] offset:16768
; %bb.820:
	s_or_b64 exec, exec, s[0:1]
	s_waitcnt lgkmcnt(0)
	s_barrier
	s_barrier
	s_mov_b64 s[0:1], exec
	v_readlane_b32 s10, v42, 63
	v_readlane_b32 s11, v41, 0
	s_and_b64 s[10:11], s[0:1], s[10:11]
	s_mov_b64 exec, s[10:11]
	s_cbranch_execz .LBB47_822
; %bb.821:
	v_lshlrev_b32_e32 v26, 9, v0
	ds_read_b64 v[11:12], v26 offset:16768
	s_movk_i32 s10, 0xfe08
	v_mad_i32_i24 v27, v0, s10, v26
	s_waitcnt lgkmcnt(0)
	ds_write_b64 v27, v[11:12] offset:24832
	ds_read_b64 v[11:12], v26 offset:16776
	s_waitcnt lgkmcnt(0)
	ds_write_b64 v27, v[11:12] offset:25344
	ds_read_b64 v[11:12], v26 offset:16784
	s_waitcnt lgkmcnt(0)
	ds_write_b64 v27, v[11:12] offset:25856
	ds_read_b64 v[11:12], v26 offset:16792
	s_waitcnt lgkmcnt(0)
	ds_write_b64 v27, v[11:12] offset:26368
	ds_read_b64 v[11:12], v26 offset:16800
	s_waitcnt lgkmcnt(0)
	ds_write_b64 v27, v[11:12] offset:26880
	ds_read_b64 v[11:12], v26 offset:16808
	s_waitcnt lgkmcnt(0)
	ds_write_b64 v27, v[11:12] offset:27392
	ds_read_b64 v[11:12], v26 offset:16816
	s_waitcnt lgkmcnt(0)
	ds_write_b64 v27, v[11:12] offset:27904
	ds_read_b64 v[11:12], v26 offset:16824
	s_waitcnt lgkmcnt(0)
	ds_write_b64 v27, v[11:12] offset:28416
	ds_read_b64 v[11:12], v26 offset:16832
	s_waitcnt lgkmcnt(0)
	ds_write_b64 v27, v[11:12] offset:28928
	ds_read_b64 v[11:12], v26 offset:16840
	s_waitcnt lgkmcnt(0)
	ds_write_b64 v27, v[11:12] offset:29440
	ds_read_b64 v[11:12], v26 offset:16848
	s_waitcnt lgkmcnt(0)
	ds_write_b64 v27, v[11:12] offset:29952
	ds_read_b64 v[11:12], v26 offset:16856
	s_waitcnt lgkmcnt(0)
	ds_write_b64 v27, v[11:12] offset:30464
	ds_read_b64 v[11:12], v26 offset:16864
	s_waitcnt lgkmcnt(0)
	ds_write_b64 v27, v[11:12] offset:30976
	ds_read_b64 v[11:12], v26 offset:16872
	s_waitcnt lgkmcnt(0)
	ds_write_b64 v27, v[11:12] offset:31488
	ds_read_b64 v[11:12], v26 offset:16880
	s_waitcnt lgkmcnt(0)
	ds_write_b64 v27, v[11:12] offset:32000
	ds_read_b64 v[11:12], v26 offset:16888
	s_waitcnt lgkmcnt(0)
	ds_write_b64 v27, v[11:12] offset:32512
.LBB47_822:
	s_or_b64 exec, exec, s[0:1]
	s_waitcnt lgkmcnt(0)
	s_barrier
	s_and_saveexec_b64 s[0:1], vcc
	s_cbranch_execz .LBB47_824
; %bb.823:
	v_mov_b32_e32 v11, 0
	ds_read_b128 v[26:29], v11 offset:24960
	ds_read_b64 v[11:12], v11 offset:25480
	s_movk_i32 s10, 0x6000
	s_waitcnt lgkmcnt(0)
	v_mul_f64 v[11:12], v[26:27], v[11:12]
	v_add_u32_e64 v26, s10, 0
	v_mul_f64 v[11:12], v[28:29], v[11:12]
	ds_write2_b64 v26, v[11:12], v[11:12] offset0:49 offset1:112
.LBB47_824:
	s_or_b64 exec, exec, s[0:1]
	v_mov_b32_e32 v11, 0
	v_mov_b32_e32 v12, 0
	s_waitcnt lgkmcnt(0)
	s_barrier
	s_and_saveexec_b64 s[0:1], s[2:3]
	s_cbranch_execz .LBB47_828
; %bb.825:
	v_mul_u32_u24_e32 v26, 0x208, v15
	ds_read_b64 v[11:12], v1 offset:24976
	ds_read_b64 v[26:27], v26 offset:24960
	v_cmp_gt_u32_e64 s[10:11], 2, v14
	s_waitcnt lgkmcnt(0)
	v_fma_f64 v[11:12], v[11:12], v[26:27], 0
	s_and_saveexec_b64 s[12:13], s[10:11]
	s_cbranch_execz .LBB47_827
; %bb.826:
	v_lshlrev_b32_e32 v26, 3, v0
	v_mov_b32_e32 v28, 0
	ds_read_b64 v[26:27], v26 offset:25488
	ds_read_b64 v[28:29], v28 offset:24968
	s_waitcnt lgkmcnt(0)
	v_fma_f64 v[11:12], v[26:27], v[28:29], v[11:12]
.LBB47_827:
	s_or_b64 exec, exec, s[12:13]
	v_xor_b32_e32 v12, 0x80000000, v12
.LBB47_828:
	s_or_b64 exec, exec, s[0:1]
	s_and_saveexec_b64 s[0:1], s[30:31]
	s_cbranch_execz .LBB47_830
; %bb.829:
	v_mov_b32_e32 v26, 0
	ds_read_b64 v[26:27], v26 offset:26000
	s_waitcnt lgkmcnt(0)
	v_mul_f64 v[11:12], v[11:12], v[26:27]
	ds_write_b64 v13, v[11:12]
.LBB47_830:
	s_or_b64 exec, exec, s[0:1]
	s_waitcnt lgkmcnt(0)
	s_barrier
	s_and_saveexec_b64 s[0:1], s[28:29]
	s_cbranch_execz .LBB47_832
; %bb.831:
	v_mov_b32_e32 v26, 0
	ds_read_b64 v[26:27], v26 offset:26008
	ds_read_b64 v[28:29], v13
	s_waitcnt lgkmcnt(0)
	v_fma_f64 v[11:12], v[26:27], v[28:29], v[11:12]
.LBB47_832:
	s_or_b64 exec, exec, s[0:1]
	s_barrier
	s_and_saveexec_b64 s[0:1], s[28:29]
	s_cbranch_execz .LBB47_834
; %bb.833:
	v_mov_b32_e32 v26, 0
	ds_read_b64 v[26:27], v26 offset:26520
	s_waitcnt lgkmcnt(0)
	v_mul_f64 v[11:12], v[11:12], v[26:27]
	ds_write_b64 v13, v[11:12]
.LBB47_834:
	s_or_b64 exec, exec, s[0:1]
	s_waitcnt lgkmcnt(0)
	s_barrier
	s_barrier
	s_and_saveexec_b64 s[0:1], s[2:3]
; %bb.835:
	v_xor_b32_e32 v12, 0x80000000, v12
	ds_write_b64 v1, v[11:12] offset:24976
; %bb.836:
	s_or_b64 exec, exec, s[0:1]
	s_waitcnt lgkmcnt(0)
	s_barrier
	s_barrier
	s_and_saveexec_b64 s[0:1], s[34:35]
	s_cbranch_execz .LBB47_838
; %bb.837:
	v_lshlrev_b32_e32 v26, 3, v0
	s_movk_i32 s10, 0x1f8
	v_mad_u32_u24 v27, v0, s10, v26
	ds_read_b64 v[11:12], v27 offset:24976
	s_waitcnt lgkmcnt(0)
	ds_write_b64 v26, v[11:12] offset:25984
	ds_read_b64 v[11:12], v27 offset:24984
	s_waitcnt lgkmcnt(0)
	ds_write_b64 v26, v[11:12] offset:26496
.LBB47_838:
	s_or_b64 exec, exec, s[0:1]
	s_waitcnt lgkmcnt(0)
	s_barrier
	s_and_saveexec_b64 s[0:1], vcc
	s_cbranch_execz .LBB47_840
; %bb.839:
	v_mov_b32_e32 v11, 0
	ds_read_b128 v[26:29], v11 offset:26000
	ds_read_b64 v[11:12], v11 offset:26520
	s_movk_i32 s10, 0x6000
	s_waitcnt lgkmcnt(0)
	v_mul_f64 v[11:12], v[26:27], v[11:12]
	v_add_u32_e64 v26, s10, 0
	v_mul_f64 v[11:12], v[28:29], v[11:12]
	ds_write2_b64 v26, v[11:12], v[11:12] offset0:179 offset1:242
.LBB47_840:
	s_or_b64 exec, exec, s[0:1]
	v_mov_b32_e32 v11, 0
	v_mov_b32_e32 v12, 0
	s_waitcnt lgkmcnt(0)
	s_barrier
	s_and_saveexec_b64 s[0:1], s[18:19]
	s_cbranch_execz .LBB47_846
; %bb.841:
	v_mul_u32_u24_e32 v26, 0x208, v20
	ds_read_b64 v[11:12], v16 offset:24992
	ds_read_b64 v[27:28], v26 offset:24960
	v_cmp_gt_u32_e64 s[10:11], 12, v14
	s_waitcnt lgkmcnt(0)
	v_fma_f64 v[11:12], v[11:12], v[27:28], 0
	s_and_saveexec_b64 s[12:13], s[10:11]
	s_cbranch_execnz .LBB47_1137
; %bb.842:
	s_or_b64 exec, exec, s[12:13]
	v_cmp_gt_u32_e64 s[10:11], 8, v14
	s_and_saveexec_b64 s[12:13], s[10:11]
	s_cbranch_execnz .LBB47_1138
.LBB47_843:
	s_or_b64 exec, exec, s[12:13]
	v_cmp_gt_u32_e64 s[10:11], 4, v14
	s_and_saveexec_b64 s[12:13], s[10:11]
	s_cbranch_execz .LBB47_845
.LBB47_844:
	v_lshlrev_b32_e32 v26, 3, v0
	v_mov_b32_e32 v28, 0
	ds_read_b64 v[26:27], v26 offset:26528
	ds_read_b64 v[28:29], v28 offset:24984
	s_waitcnt lgkmcnt(0)
	v_fma_f64 v[11:12], v[26:27], v[28:29], v[11:12]
.LBB47_845:
	s_or_b64 exec, exec, s[12:13]
	v_xor_b32_e32 v12, 0x80000000, v12
.LBB47_846:
	s_or_b64 exec, exec, s[0:1]
	s_and_saveexec_b64 s[0:1], s[38:39]
	s_cbranch_execz .LBB47_848
; %bb.847:
	v_mov_b32_e32 v26, 0
	ds_read_b64 v[26:27], v26 offset:27040
	s_waitcnt lgkmcnt(0)
	v_mul_f64 v[11:12], v[11:12], v[26:27]
	ds_write_b64 v18, v[11:12]
.LBB47_848:
	s_or_b64 exec, exec, s[0:1]
	s_waitcnt lgkmcnt(0)
	s_barrier
	s_and_saveexec_b64 s[0:1], s[42:43]
	s_cbranch_execz .LBB47_850
; %bb.849:
	ds_read_b64 v[26:27], v17 offset:27040
	ds_read_b64 v[28:29], v18
	s_waitcnt lgkmcnt(0)
	v_fma_f64 v[11:12], v[26:27], v[28:29], v[11:12]
.LBB47_850:
	s_or_b64 exec, exec, s[0:1]
	s_barrier
	s_and_saveexec_b64 s[0:1], s[52:53]
	s_cbranch_execz .LBB47_852
; %bb.851:
	v_mov_b32_e32 v26, 0
	ds_read_b64 v[26:27], v26 offset:27560
	s_waitcnt lgkmcnt(0)
	v_mul_f64 v[11:12], v[11:12], v[26:27]
	ds_write_b64 v18, v[11:12]
.LBB47_852:
	s_or_b64 exec, exec, s[0:1]
	s_waitcnt lgkmcnt(0)
	s_barrier
	s_and_saveexec_b64 s[0:1], s[54:55]
	s_cbranch_execz .LBB47_854
; %bb.853:
	ds_read_b64 v[26:27], v17 offset:27552
	ds_read_b64 v[28:29], v18
	s_waitcnt lgkmcnt(0)
	v_fma_f64 v[11:12], v[26:27], v[28:29], v[11:12]
.LBB47_854:
	s_or_b64 exec, exec, s[0:1]
	s_barrier
	s_and_saveexec_b64 s[0:1], s[56:57]
	s_cbranch_execz .LBB47_856
; %bb.855:
	v_mov_b32_e32 v26, 0
	ds_read_b64 v[26:27], v26 offset:28080
	s_waitcnt lgkmcnt(0)
	v_mul_f64 v[11:12], v[11:12], v[26:27]
	ds_write_b64 v18, v[11:12]
.LBB47_856:
	s_or_b64 exec, exec, s[0:1]
	s_waitcnt lgkmcnt(0)
	s_barrier
	s_and_saveexec_b64 s[0:1], s[36:37]
	s_cbranch_execz .LBB47_858
; %bb.857:
	v_mov_b32_e32 v26, 0
	ds_read_b64 v[26:27], v26 offset:28088
	ds_read_b64 v[28:29], v18
	s_waitcnt lgkmcnt(0)
	v_fma_f64 v[11:12], v[26:27], v[28:29], v[11:12]
.LBB47_858:
	s_or_b64 exec, exec, s[0:1]
	s_barrier
	s_and_saveexec_b64 s[0:1], s[36:37]
	s_cbranch_execz .LBB47_860
; %bb.859:
	v_mov_b32_e32 v26, 0
	ds_read_b64 v[26:27], v26 offset:28600
	s_waitcnt lgkmcnt(0)
	v_mul_f64 v[11:12], v[11:12], v[26:27]
	ds_write_b64 v18, v[11:12]
.LBB47_860:
	s_or_b64 exec, exec, s[0:1]
	s_waitcnt lgkmcnt(0)
	s_barrier
	s_barrier
	s_and_saveexec_b64 s[0:1], s[18:19]
; %bb.861:
	v_xor_b32_e32 v12, 0x80000000, v12
	ds_write_b64 v16, v[11:12] offset:24992
; %bb.862:
	s_or_b64 exec, exec, s[0:1]
	s_waitcnt lgkmcnt(0)
	s_barrier
	s_barrier
	s_and_saveexec_b64 s[0:1], s[58:59]
	s_cbranch_execz .LBB47_864
; %bb.863:
	v_lshlrev_b32_e32 v26, 9, v0
	ds_read_b64 v[11:12], v26 offset:24992
	s_movk_i32 s10, 0xfe08
	v_mad_i32_i24 v27, v0, s10, v26
	s_waitcnt lgkmcnt(0)
	ds_write_b64 v27, v[11:12] offset:27008
	ds_read_b64 v[11:12], v26 offset:25000
	s_waitcnt lgkmcnt(0)
	ds_write_b64 v27, v[11:12] offset:27520
	ds_read_b64 v[11:12], v26 offset:25008
	;; [unrolled: 3-line block ×3, first 2 shown]
	s_waitcnt lgkmcnt(0)
	ds_write_b64 v27, v[11:12] offset:28544
.LBB47_864:
	s_or_b64 exec, exec, s[0:1]
	s_waitcnt lgkmcnt(0)
	s_barrier
	s_and_saveexec_b64 s[0:1], vcc
	s_cbranch_execz .LBB47_866
; %bb.865:
	v_mov_b32_e32 v11, 0
	ds_read_b128 v[26:29], v11 offset:27040
	ds_read_b64 v[11:12], v11 offset:27560
	s_movk_i32 s10, 0x6800
	s_waitcnt lgkmcnt(0)
	v_mul_f64 v[11:12], v[26:27], v[11:12]
	v_add_u32_e64 v26, s10, 0
	v_mul_f64 v[11:12], v[28:29], v[11:12]
	ds_write2_b64 v26, v[11:12], v[11:12] offset0:53 offset1:116
.LBB47_866:
	s_or_b64 exec, exec, s[0:1]
	v_mov_b32_e32 v11, 0
	v_mov_b32_e32 v12, 0
	s_waitcnt lgkmcnt(0)
	s_barrier
	s_and_saveexec_b64 s[0:1], s[2:3]
	s_cbranch_execz .LBB47_870
; %bb.867:
	v_mul_u32_u24_e32 v26, 0x208, v15
	ds_read_b64 v[11:12], v1 offset:27056
	ds_read_b64 v[26:27], v26 offset:27040
	v_cmp_gt_u32_e64 s[10:11], 2, v14
	s_waitcnt lgkmcnt(0)
	v_fma_f64 v[11:12], v[11:12], v[26:27], 0
	s_and_saveexec_b64 s[12:13], s[10:11]
	s_cbranch_execz .LBB47_869
; %bb.868:
	v_lshlrev_b32_e32 v26, 3, v0
	v_mov_b32_e32 v28, 0
	ds_read_b64 v[26:27], v26 offset:27568
	ds_read_b64 v[28:29], v28 offset:27048
	s_waitcnt lgkmcnt(0)
	v_fma_f64 v[11:12], v[26:27], v[28:29], v[11:12]
.LBB47_869:
	s_or_b64 exec, exec, s[12:13]
	v_xor_b32_e32 v12, 0x80000000, v12
.LBB47_870:
	s_or_b64 exec, exec, s[0:1]
	s_and_saveexec_b64 s[0:1], s[30:31]
	s_cbranch_execz .LBB47_872
; %bb.871:
	v_mov_b32_e32 v26, 0
	ds_read_b64 v[26:27], v26 offset:28080
	s_waitcnt lgkmcnt(0)
	v_mul_f64 v[11:12], v[11:12], v[26:27]
	ds_write_b64 v13, v[11:12]
.LBB47_872:
	s_or_b64 exec, exec, s[0:1]
	s_waitcnt lgkmcnt(0)
	s_barrier
	s_and_saveexec_b64 s[0:1], s[28:29]
	s_cbranch_execz .LBB47_874
; %bb.873:
	v_mov_b32_e32 v26, 0
	ds_read_b64 v[26:27], v26 offset:28088
	ds_read_b64 v[28:29], v13
	s_waitcnt lgkmcnt(0)
	v_fma_f64 v[11:12], v[26:27], v[28:29], v[11:12]
.LBB47_874:
	s_or_b64 exec, exec, s[0:1]
	s_barrier
	s_and_saveexec_b64 s[0:1], s[28:29]
	s_cbranch_execz .LBB47_876
; %bb.875:
	v_mov_b32_e32 v26, 0
	ds_read_b64 v[26:27], v26 offset:28600
	s_waitcnt lgkmcnt(0)
	v_mul_f64 v[11:12], v[11:12], v[26:27]
	ds_write_b64 v13, v[11:12]
.LBB47_876:
	s_or_b64 exec, exec, s[0:1]
	s_waitcnt lgkmcnt(0)
	s_barrier
	s_barrier
	s_and_saveexec_b64 s[0:1], s[2:3]
; %bb.877:
	v_xor_b32_e32 v12, 0x80000000, v12
	ds_write_b64 v1, v[11:12] offset:27056
; %bb.878:
	s_or_b64 exec, exec, s[0:1]
	s_waitcnt lgkmcnt(0)
	s_barrier
	s_barrier
	s_and_saveexec_b64 s[0:1], s[34:35]
	s_cbranch_execz .LBB47_880
; %bb.879:
	v_lshlrev_b32_e32 v26, 3, v0
	s_movk_i32 s10, 0x1f8
	v_mad_u32_u24 v27, v0, s10, v26
	ds_read_b64 v[11:12], v27 offset:27056
	s_waitcnt lgkmcnt(0)
	ds_write_b64 v26, v[11:12] offset:28064
	ds_read_b64 v[11:12], v27 offset:27064
	s_waitcnt lgkmcnt(0)
	ds_write_b64 v26, v[11:12] offset:28576
.LBB47_880:
	s_or_b64 exec, exec, s[0:1]
	s_waitcnt lgkmcnt(0)
	s_barrier
	s_and_saveexec_b64 s[0:1], vcc
	s_cbranch_execz .LBB47_882
; %bb.881:
	v_mov_b32_e32 v11, 0
	ds_read_b128 v[26:29], v11 offset:28080
	ds_read_b64 v[11:12], v11 offset:28600
	s_movk_i32 s10, 0x6800
	s_waitcnt lgkmcnt(0)
	v_mul_f64 v[11:12], v[26:27], v[11:12]
	v_add_u32_e64 v26, s10, 0
	v_mul_f64 v[11:12], v[28:29], v[11:12]
	ds_write2_b64 v26, v[11:12], v[11:12] offset0:183 offset1:246
.LBB47_882:
	s_or_b64 exec, exec, s[0:1]
	v_mov_b32_e32 v11, 0
	v_mov_b32_e32 v12, 0
	s_waitcnt lgkmcnt(0)
	s_barrier
	s_and_saveexec_b64 s[0:1], s[8:9]
	s_cbranch_execz .LBB47_892
; %bb.883:
	v_mul_u32_u24_e32 v26, 0x208, v25
	ds_read_b64 v[11:12], v21 offset:25024
	ds_read_b64 v[27:28], v26 offset:24960
	v_cmp_gt_u32_e64 s[10:11], 56, v14
	s_waitcnt lgkmcnt(0)
	v_fma_f64 v[11:12], v[11:12], v[27:28], 0
	s_and_saveexec_b64 s[12:13], s[10:11]
	s_cbranch_execnz .LBB47_1139
; %bb.884:
	s_or_b64 exec, exec, s[12:13]
	v_cmp_gt_u32_e64 s[10:11], 48, v14
	s_and_saveexec_b64 s[12:13], s[10:11]
	s_cbranch_execnz .LBB47_1140
.LBB47_885:
	s_or_b64 exec, exec, s[12:13]
	v_cmp_gt_u32_e64 s[10:11], 40, v14
	s_and_saveexec_b64 s[12:13], s[10:11]
	s_cbranch_execnz .LBB47_1141
.LBB47_886:
	s_or_b64 exec, exec, s[12:13]
	v_cmp_gt_u32_e64 s[10:11], 32, v14
	s_and_saveexec_b64 s[12:13], s[10:11]
	s_cbranch_execnz .LBB47_1142
.LBB47_887:
	s_or_b64 exec, exec, s[12:13]
	v_cmp_gt_u32_e64 s[10:11], 24, v14
	s_and_saveexec_b64 s[12:13], s[10:11]
	s_cbranch_execnz .LBB47_1143
.LBB47_888:
	s_or_b64 exec, exec, s[12:13]
	v_cmp_gt_u32_e64 s[10:11], 16, v14
	s_and_saveexec_b64 s[12:13], s[10:11]
	s_cbranch_execnz .LBB47_1144
.LBB47_889:
	s_or_b64 exec, exec, s[12:13]
	v_cmp_gt_u32_e64 s[10:11], 8, v14
	s_and_saveexec_b64 s[12:13], s[10:11]
	s_cbranch_execz .LBB47_891
.LBB47_890:
	v_lshlrev_b32_e32 v24, 3, v0
	v_mov_b32_e32 v26, 0
	ds_read_b64 v[24:25], v24 offset:28608
	ds_read_b64 v[26:27], v26 offset:25016
	s_waitcnt lgkmcnt(0)
	v_fma_f64 v[11:12], v[24:25], v[26:27], v[11:12]
.LBB47_891:
	s_or_b64 exec, exec, s[12:13]
	v_xor_b32_e32 v12, 0x80000000, v12
.LBB47_892:
	s_or_b64 exec, exec, s[0:1]
	s_mov_b64 s[0:1], exec
	v_readlane_b32 s10, v42, 3
	v_readlane_b32 s11, v42, 4
	s_and_b64 s[10:11], s[0:1], s[10:11]
	s_mov_b64 exec, s[10:11]
	s_cbranch_execz .LBB47_894
; %bb.893:
	v_mov_b32_e32 v24, 0
	ds_read_b64 v[24:25], v24 offset:29120
	s_waitcnt lgkmcnt(0)
	v_mul_f64 v[11:12], v[11:12], v[24:25]
	ds_write_b64 v23, v[11:12]
.LBB47_894:
	s_or_b64 exec, exec, s[0:1]
	s_waitcnt lgkmcnt(0)
	s_barrier
	s_and_saveexec_b64 s[0:1], s[62:63]
	s_cbranch_execz .LBB47_896
; %bb.895:
	ds_read_b64 v[24:25], v22 offset:29120
	ds_read_b64 v[26:27], v23
	s_waitcnt lgkmcnt(0)
	v_fma_f64 v[11:12], v[24:25], v[26:27], v[11:12]
.LBB47_896:
	s_or_b64 exec, exec, s[0:1]
	s_barrier
	s_and_saveexec_b64 s[0:1], s[64:65]
	s_cbranch_execz .LBB47_898
; %bb.897:
	v_mov_b32_e32 v24, 0
	ds_read_b64 v[24:25], v24 offset:29640
	s_waitcnt lgkmcnt(0)
	v_mul_f64 v[11:12], v[11:12], v[24:25]
	ds_write_b64 v23, v[11:12]
.LBB47_898:
	s_or_b64 exec, exec, s[0:1]
	s_waitcnt lgkmcnt(0)
	s_barrier
	s_and_saveexec_b64 s[0:1], s[66:67]
	s_cbranch_execz .LBB47_900
; %bb.899:
	ds_read_b64 v[24:25], v22 offset:29632
	ds_read_b64 v[26:27], v23
	s_waitcnt lgkmcnt(0)
	v_fma_f64 v[11:12], v[24:25], v[26:27], v[11:12]
.LBB47_900:
	s_or_b64 exec, exec, s[0:1]
	s_barrier
	s_and_saveexec_b64 s[0:1], s[68:69]
	;; [unrolled: 22-line block ×6, first 2 shown]
	s_cbranch_execz .LBB47_918
; %bb.917:
	v_mov_b32_e32 v22, 0
	ds_read_b64 v[24:25], v22 offset:32240
	s_waitcnt lgkmcnt(0)
	v_mul_f64 v[11:12], v[11:12], v[24:25]
	ds_write_b64 v23, v[11:12]
.LBB47_918:
	s_or_b64 exec, exec, s[0:1]
	s_waitcnt lgkmcnt(0)
	s_barrier
	s_and_saveexec_b64 s[0:1], s[70:71]
	s_cbranch_execz .LBB47_920
; %bb.919:
	v_mov_b32_e32 v22, 0
	ds_read_b64 v[24:25], v22 offset:32248
	ds_read_b64 v[26:27], v23
	s_waitcnt lgkmcnt(0)
	v_fma_f64 v[11:12], v[24:25], v[26:27], v[11:12]
.LBB47_920:
	s_or_b64 exec, exec, s[0:1]
	s_barrier
	s_and_saveexec_b64 s[0:1], s[70:71]
	s_cbranch_execz .LBB47_922
; %bb.921:
	v_mov_b32_e32 v22, 0
	ds_read_b64 v[24:25], v22 offset:32760
	s_waitcnt lgkmcnt(0)
	v_mul_f64 v[11:12], v[11:12], v[24:25]
	ds_write_b64 v23, v[11:12]
.LBB47_922:
	s_or_b64 exec, exec, s[0:1]
	s_waitcnt lgkmcnt(0)
	s_barrier
	s_barrier
	s_and_saveexec_b64 s[0:1], s[8:9]
; %bb.923:
	v_xor_b32_e32 v12, 0x80000000, v12
	ds_write_b64 v21, v[11:12] offset:25024
; %bb.924:
	s_or_b64 exec, exec, s[0:1]
	s_waitcnt lgkmcnt(0)
	s_barrier
	s_barrier
	s_and_saveexec_b64 s[0:1], s[88:89]
	s_cbranch_execz .LBB47_926
; %bb.925:
	v_lshlrev_b32_e32 v21, 9, v0
	ds_read_b64 v[11:12], v21 offset:25024
	s_movk_i32 s8, 0xfe08
	v_mad_i32_i24 v22, v0, s8, v21
	s_waitcnt lgkmcnt(0)
	ds_write_b64 v22, v[11:12] offset:29056
	ds_read_b64 v[11:12], v21 offset:25032
	s_waitcnt lgkmcnt(0)
	ds_write_b64 v22, v[11:12] offset:29568
	ds_read_b64 v[11:12], v21 offset:25040
	;; [unrolled: 3-line block ×7, first 2 shown]
	s_waitcnt lgkmcnt(0)
	ds_write_b64 v22, v[11:12] offset:32640
.LBB47_926:
	s_or_b64 exec, exec, s[0:1]
	s_waitcnt lgkmcnt(0)
	s_barrier
	s_and_saveexec_b64 s[0:1], vcc
	s_cbranch_execz .LBB47_928
; %bb.927:
	v_mov_b32_e32 v11, 0
	ds_read_b128 v[21:24], v11 offset:29120
	ds_read_b64 v[11:12], v11 offset:29640
	s_movk_i32 s8, 0x7000
	s_waitcnt lgkmcnt(0)
	v_mul_f64 v[11:12], v[21:22], v[11:12]
	v_add_u32_e64 v21, s8, 0
	v_mul_f64 v[11:12], v[23:24], v[11:12]
	ds_write2_b64 v21, v[11:12], v[11:12] offset0:57 offset1:120
.LBB47_928:
	s_or_b64 exec, exec, s[0:1]
	v_mov_b32_e32 v11, 0
	v_mov_b32_e32 v12, 0
	s_waitcnt lgkmcnt(0)
	s_barrier
	s_and_saveexec_b64 s[0:1], s[2:3]
	s_cbranch_execz .LBB47_932
; %bb.929:
	v_mul_u32_u24_e32 v21, 0x208, v15
	ds_read_b64 v[11:12], v1 offset:29136
	ds_read_b64 v[21:22], v21 offset:29120
	v_cmp_gt_u32_e64 s[8:9], 2, v14
	s_waitcnt lgkmcnt(0)
	v_fma_f64 v[11:12], v[11:12], v[21:22], 0
	s_and_saveexec_b64 s[10:11], s[8:9]
	s_cbranch_execz .LBB47_931
; %bb.930:
	v_lshlrev_b32_e32 v21, 3, v0
	v_mov_b32_e32 v23, 0
	ds_read_b64 v[21:22], v21 offset:29648
	ds_read_b64 v[23:24], v23 offset:29128
	s_waitcnt lgkmcnt(0)
	v_fma_f64 v[11:12], v[21:22], v[23:24], v[11:12]
.LBB47_931:
	s_or_b64 exec, exec, s[10:11]
	v_xor_b32_e32 v12, 0x80000000, v12
.LBB47_932:
	s_or_b64 exec, exec, s[0:1]
	s_and_saveexec_b64 s[0:1], s[30:31]
	s_cbranch_execz .LBB47_934
; %bb.933:
	v_mov_b32_e32 v21, 0
	ds_read_b64 v[21:22], v21 offset:30160
	s_waitcnt lgkmcnt(0)
	v_mul_f64 v[11:12], v[11:12], v[21:22]
	ds_write_b64 v13, v[11:12]
.LBB47_934:
	s_or_b64 exec, exec, s[0:1]
	s_waitcnt lgkmcnt(0)
	s_barrier
	s_and_saveexec_b64 s[0:1], s[28:29]
	s_cbranch_execz .LBB47_936
; %bb.935:
	v_mov_b32_e32 v21, 0
	ds_read_b64 v[21:22], v21 offset:30168
	ds_read_b64 v[23:24], v13
	s_waitcnt lgkmcnt(0)
	v_fma_f64 v[11:12], v[21:22], v[23:24], v[11:12]
.LBB47_936:
	s_or_b64 exec, exec, s[0:1]
	s_barrier
	s_and_saveexec_b64 s[0:1], s[28:29]
	s_cbranch_execz .LBB47_938
; %bb.937:
	v_mov_b32_e32 v21, 0
	ds_read_b64 v[21:22], v21 offset:30680
	s_waitcnt lgkmcnt(0)
	v_mul_f64 v[11:12], v[11:12], v[21:22]
	ds_write_b64 v13, v[11:12]
.LBB47_938:
	s_or_b64 exec, exec, s[0:1]
	s_waitcnt lgkmcnt(0)
	s_barrier
	s_barrier
	s_and_saveexec_b64 s[0:1], s[2:3]
; %bb.939:
	v_xor_b32_e32 v12, 0x80000000, v12
	ds_write_b64 v1, v[11:12] offset:29136
; %bb.940:
	s_or_b64 exec, exec, s[0:1]
	s_waitcnt lgkmcnt(0)
	s_barrier
	s_barrier
	s_and_saveexec_b64 s[0:1], s[34:35]
	s_cbranch_execz .LBB47_942
; %bb.941:
	v_lshlrev_b32_e32 v21, 3, v0
	s_movk_i32 s8, 0x1f8
	v_mad_u32_u24 v22, v0, s8, v21
	ds_read_b64 v[11:12], v22 offset:29136
	s_waitcnt lgkmcnt(0)
	ds_write_b64 v21, v[11:12] offset:30144
	ds_read_b64 v[11:12], v22 offset:29144
	s_waitcnt lgkmcnt(0)
	ds_write_b64 v21, v[11:12] offset:30656
.LBB47_942:
	s_or_b64 exec, exec, s[0:1]
	s_waitcnt lgkmcnt(0)
	s_barrier
	s_and_saveexec_b64 s[0:1], vcc
	s_cbranch_execz .LBB47_944
; %bb.943:
	v_mov_b32_e32 v11, 0
	ds_read_b128 v[21:24], v11 offset:30160
	ds_read_b64 v[11:12], v11 offset:30680
	s_movk_i32 s8, 0x7000
	s_waitcnt lgkmcnt(0)
	v_mul_f64 v[11:12], v[21:22], v[11:12]
	v_add_u32_e64 v21, s8, 0
	v_mul_f64 v[11:12], v[23:24], v[11:12]
	ds_write2_b64 v21, v[11:12], v[11:12] offset0:187 offset1:250
.LBB47_944:
	s_or_b64 exec, exec, s[0:1]
	v_mov_b32_e32 v11, 0
	v_mov_b32_e32 v12, 0
	s_waitcnt lgkmcnt(0)
	s_barrier
	s_and_saveexec_b64 s[0:1], s[18:19]
	s_cbranch_execz .LBB47_950
; %bb.945:
	v_mul_u32_u24_e32 v21, 0x208, v20
	ds_read_b64 v[11:12], v16 offset:29152
	ds_read_b64 v[22:23], v21 offset:29120
	v_cmp_gt_u32_e64 s[8:9], 12, v14
	s_waitcnt lgkmcnt(0)
	v_fma_f64 v[11:12], v[11:12], v[22:23], 0
	s_and_saveexec_b64 s[10:11], s[8:9]
	s_cbranch_execnz .LBB47_1145
; %bb.946:
	s_or_b64 exec, exec, s[10:11]
	v_cmp_gt_u32_e64 s[8:9], 8, v14
	s_and_saveexec_b64 s[10:11], s[8:9]
	s_cbranch_execnz .LBB47_1146
.LBB47_947:
	s_or_b64 exec, exec, s[10:11]
	v_cmp_gt_u32_e64 s[8:9], 4, v14
	s_and_saveexec_b64 s[10:11], s[8:9]
	s_cbranch_execz .LBB47_949
.LBB47_948:
	v_lshlrev_b32_e32 v19, 3, v0
	v_mov_b32_e32 v21, 0
	ds_read_b64 v[19:20], v19 offset:30688
	ds_read_b64 v[21:22], v21 offset:29144
	s_waitcnt lgkmcnt(0)
	v_fma_f64 v[11:12], v[19:20], v[21:22], v[11:12]
.LBB47_949:
	s_or_b64 exec, exec, s[10:11]
	v_xor_b32_e32 v12, 0x80000000, v12
.LBB47_950:
	s_or_b64 exec, exec, s[0:1]
	s_and_saveexec_b64 s[0:1], s[38:39]
	s_cbranch_execz .LBB47_952
; %bb.951:
	v_mov_b32_e32 v19, 0
	ds_read_b64 v[19:20], v19 offset:31200
	s_waitcnt lgkmcnt(0)
	v_mul_f64 v[11:12], v[11:12], v[19:20]
	ds_write_b64 v18, v[11:12]
.LBB47_952:
	s_or_b64 exec, exec, s[0:1]
	s_waitcnt lgkmcnt(0)
	s_barrier
	s_and_saveexec_b64 s[0:1], s[42:43]
	v_readlane_b32 s38, v42, 2
	s_cbranch_execz .LBB47_954
; %bb.953:
	ds_read_b64 v[19:20], v17 offset:31200
	ds_read_b64 v[21:22], v18
	s_waitcnt lgkmcnt(0)
	v_fma_f64 v[11:12], v[19:20], v[21:22], v[11:12]
.LBB47_954:
	s_or_b64 exec, exec, s[0:1]
	s_barrier
	s_and_saveexec_b64 s[0:1], s[52:53]
	s_cbranch_execz .LBB47_956
; %bb.955:
	v_mov_b32_e32 v19, 0
	ds_read_b64 v[19:20], v19 offset:31720
	s_waitcnt lgkmcnt(0)
	v_mul_f64 v[11:12], v[11:12], v[19:20]
	ds_write_b64 v18, v[11:12]
.LBB47_956:
	s_or_b64 exec, exec, s[0:1]
	s_waitcnt lgkmcnt(0)
	s_barrier
	s_and_saveexec_b64 s[0:1], s[54:55]
	s_cbranch_execz .LBB47_958
; %bb.957:
	ds_read_b64 v[19:20], v17 offset:31712
	ds_read_b64 v[21:22], v18
	s_waitcnt lgkmcnt(0)
	v_fma_f64 v[11:12], v[19:20], v[21:22], v[11:12]
.LBB47_958:
	s_or_b64 exec, exec, s[0:1]
	s_barrier
	s_and_saveexec_b64 s[0:1], s[56:57]
	s_cbranch_execz .LBB47_960
; %bb.959:
	v_mov_b32_e32 v17, 0
	ds_read_b64 v[19:20], v17 offset:32240
	s_waitcnt lgkmcnt(0)
	v_mul_f64 v[11:12], v[11:12], v[19:20]
	ds_write_b64 v18, v[11:12]
.LBB47_960:
	s_or_b64 exec, exec, s[0:1]
	s_waitcnt lgkmcnt(0)
	s_barrier
	s_and_saveexec_b64 s[0:1], s[36:37]
	s_cbranch_execz .LBB47_962
; %bb.961:
	v_mov_b32_e32 v17, 0
	ds_read_b64 v[19:20], v17 offset:32248
	ds_read_b64 v[21:22], v18
	s_waitcnt lgkmcnt(0)
	v_fma_f64 v[11:12], v[19:20], v[21:22], v[11:12]
.LBB47_962:
	s_or_b64 exec, exec, s[0:1]
	s_barrier
	s_and_saveexec_b64 s[0:1], s[36:37]
	s_cbranch_execz .LBB47_964
; %bb.963:
	v_mov_b32_e32 v17, 0
	ds_read_b64 v[19:20], v17 offset:32760
	s_waitcnt lgkmcnt(0)
	v_mul_f64 v[11:12], v[11:12], v[19:20]
	ds_write_b64 v18, v[11:12]
.LBB47_964:
	s_or_b64 exec, exec, s[0:1]
	s_waitcnt lgkmcnt(0)
	s_barrier
	s_barrier
	s_and_saveexec_b64 s[0:1], s[18:19]
; %bb.965:
	v_xor_b32_e32 v12, 0x80000000, v12
	ds_write_b64 v16, v[11:12] offset:29152
; %bb.966:
	s_or_b64 exec, exec, s[0:1]
	s_waitcnt lgkmcnt(0)
	s_barrier
	s_barrier
	s_and_saveexec_b64 s[0:1], s[58:59]
	s_cbranch_execz .LBB47_968
; %bb.967:
	v_lshlrev_b32_e32 v16, 9, v0
	ds_read_b64 v[11:12], v16 offset:29152
	s_movk_i32 s8, 0xfe08
	v_mad_i32_i24 v17, v0, s8, v16
	s_waitcnt lgkmcnt(0)
	ds_write_b64 v17, v[11:12] offset:31168
	ds_read_b64 v[11:12], v16 offset:29160
	s_waitcnt lgkmcnt(0)
	ds_write_b64 v17, v[11:12] offset:31680
	ds_read_b64 v[11:12], v16 offset:29168
	;; [unrolled: 3-line block ×3, first 2 shown]
	s_waitcnt lgkmcnt(0)
	ds_write_b64 v17, v[11:12] offset:32704
.LBB47_968:
	s_or_b64 exec, exec, s[0:1]
	s_waitcnt lgkmcnt(0)
	s_barrier
	s_and_saveexec_b64 s[0:1], vcc
	s_cbranch_execz .LBB47_970
; %bb.969:
	v_mov_b32_e32 v11, 0
	ds_read_b128 v[16:19], v11 offset:31200
	ds_read_b64 v[11:12], v11 offset:31720
	s_movk_i32 s8, 0x7800
	s_waitcnt lgkmcnt(0)
	v_mul_f64 v[11:12], v[16:17], v[11:12]
	v_add_u32_e64 v16, s8, 0
	v_mul_f64 v[11:12], v[18:19], v[11:12]
	ds_write2_b64 v16, v[11:12], v[11:12] offset0:61 offset1:124
.LBB47_970:
	s_or_b64 exec, exec, s[0:1]
	v_mov_b32_e32 v11, 0
	v_mov_b32_e32 v12, 0
	s_waitcnt lgkmcnt(0)
	s_barrier
	s_and_saveexec_b64 s[0:1], s[2:3]
	s_cbranch_execz .LBB47_974
; %bb.971:
	v_mul_u32_u24_e32 v15, 0x208, v15
	ds_read_b64 v[11:12], v1 offset:31216
	ds_read_b64 v[15:16], v15 offset:31200
	v_cmp_gt_u32_e64 s[8:9], 2, v14
	s_waitcnt lgkmcnt(0)
	v_fma_f64 v[11:12], v[11:12], v[15:16], 0
	s_and_saveexec_b64 s[10:11], s[8:9]
	s_cbranch_execz .LBB47_973
; %bb.972:
	v_lshlrev_b32_e32 v14, 3, v0
	v_mov_b32_e32 v16, 0
	ds_read_b64 v[14:15], v14 offset:31728
	ds_read_b64 v[16:17], v16 offset:31208
	s_waitcnt lgkmcnt(0)
	v_fma_f64 v[11:12], v[14:15], v[16:17], v[11:12]
.LBB47_973:
	s_or_b64 exec, exec, s[10:11]
	v_xor_b32_e32 v12, 0x80000000, v12
.LBB47_974:
	s_or_b64 exec, exec, s[0:1]
	s_and_saveexec_b64 s[0:1], s[30:31]
	s_cbranch_execz .LBB47_976
; %bb.975:
	v_mov_b32_e32 v14, 0
	ds_read_b64 v[14:15], v14 offset:32240
	s_waitcnt lgkmcnt(0)
	v_mul_f64 v[11:12], v[11:12], v[14:15]
	ds_write_b64 v13, v[11:12]
.LBB47_976:
	s_or_b64 exec, exec, s[0:1]
	s_waitcnt lgkmcnt(0)
	s_barrier
	s_and_saveexec_b64 s[0:1], s[28:29]
	s_load_dword s30, s[4:5], 0x6c
	s_cbranch_execz .LBB47_978
; %bb.977:
	v_mov_b32_e32 v14, 0
	ds_read_b64 v[14:15], v14 offset:32248
	ds_read_b64 v[16:17], v13
	s_waitcnt lgkmcnt(0)
	v_fma_f64 v[11:12], v[14:15], v[16:17], v[11:12]
.LBB47_978:
	s_or_b64 exec, exec, s[0:1]
	s_waitcnt lgkmcnt(0)
	s_barrier
	s_and_saveexec_b64 s[0:1], s[28:29]
	s_cbranch_execz .LBB47_980
; %bb.979:
	v_mov_b32_e32 v14, 0
	ds_read_b64 v[14:15], v14 offset:32760
	s_waitcnt lgkmcnt(0)
	v_mul_f64 v[11:12], v[11:12], v[14:15]
	ds_write_b64 v13, v[11:12]
.LBB47_980:
	s_or_b64 exec, exec, s[0:1]
	s_waitcnt lgkmcnt(0)
	s_barrier
	s_barrier
	s_and_saveexec_b64 s[0:1], s[2:3]
; %bb.981:
	v_xor_b32_e32 v12, 0x80000000, v12
	ds_write_b64 v1, v[11:12] offset:31216
; %bb.982:
	s_or_b64 exec, exec, s[0:1]
	s_waitcnt lgkmcnt(0)
	s_barrier
	s_barrier
	s_and_saveexec_b64 s[0:1], s[34:35]
	s_cbranch_execz .LBB47_984
; %bb.983:
	v_lshlrev_b32_e32 v1, 3, v0
	s_movk_i32 s2, 0x1f8
	v_mad_u32_u24 v13, v0, s2, v1
	ds_read_b64 v[11:12], v13 offset:31216
	s_waitcnt lgkmcnt(0)
	ds_write_b64 v1, v[11:12] offset:32224
	ds_read_b64 v[11:12], v13 offset:31224
	s_waitcnt lgkmcnt(0)
	ds_write_b64 v1, v[11:12] offset:32736
.LBB47_984:
	s_or_b64 exec, exec, s[0:1]
	s_waitcnt lgkmcnt(0)
	s_barrier
	s_and_saveexec_b64 s[0:1], vcc
	s_cbranch_execz .LBB47_986
; %bb.985:
	v_mov_b32_e32 v1, 0
	ds_read_b128 v[11:14], v1 offset:32240
	ds_read_b64 v[15:16], v1 offset:32760
	s_movk_i32 s2, 0x7800
	v_add_u32_e64 v1, s2, 0
	s_waitcnt lgkmcnt(0)
	v_mul_f64 v[11:12], v[11:12], v[15:16]
	v_mul_f64 v[11:12], v[13:14], v[11:12]
	ds_write2_b64 v1, v[11:12], v[11:12] offset0:191 offset1:254
.LBB47_986:
	s_or_b64 exec, exec, s[0:1]
.LBB47_987:
	s_load_dwordx4 s[12:15], s[4:5], 0x48
	v_cmp_le_i32_e32 vcc, s90, v0
	v_mov_b32_e32 v11, 0
	v_mov_b32_e32 v12, 0
	v_add_u32_e32 v13, s33, v0
	s_waitcnt lgkmcnt(0)
	s_mul_i32 s1, s13, s22
	s_mul_hi_u32 s2, s12, s22
	s_mul_i32 s0, s12, s22
	s_add_i32 s1, s2, s1
	s_lshl_b64 s[0:1], s[0:1], 3
	s_add_u32 s2, s46, s0
	s_addc_u32 s3, s47, s1
	s_lshl_b64 s[0:1], s[48:49], 3
	s_add_u32 s20, s2, s0
	s_addc_u32 s21, s3, s1
	s_and_b64 s[16:17], vcc, s[26:27]
	v_cmp_eq_u32_e64 s[2:3], 0, v2
	s_xor_b64 s[0:1], s[16:17], -1
	s_and_b64 s[4:5], s[2:3], s[0:1]
	s_barrier
	s_and_saveexec_b64 s[0:1], s[4:5]
	s_cbranch_execz .LBB47_989
; %bb.988:
	v_ashrrev_i32_e32 v1, 31, v13
	v_mul_lo_u32 v14, s51, v13
	v_mad_u64_u32 v[11:12], s[4:5], s50, v13, 0
	v_mul_lo_u32 v1, s50, v1
	v_add3_u32 v12, v12, v1, v14
	v_lshlrev_b64 v[11:12], 3, v[11:12]
	v_mov_b32_e32 v1, s21
	v_add_co_u32_e32 v11, vcc, s20, v11
	v_addc_co_u32_e32 v12, vcc, v1, v12, vcc
	global_load_dwordx2 v[11:12], v[11:12], off
	s_waitcnt vmcnt(0)
	v_mul_f64 v[11:12], v[11:12], -s[44:45]
.LBB47_989:
	s_or_b64 exec, exec, s[0:1]
	s_and_b32 s0, 0xffff, s30
	v_mad_u32_u24 v18, v2, s0, v0
	v_mov_b32_e32 v1, 0
	s_cmp_lt_i32 s6, 1
	v_cmp_eq_u32_e64 s[4:5], 0, v18
	s_cbranch_scc1 .LBB47_1015
; %bb.990:
	v_ashrrev_i32_e32 v16, 31, v13
	v_mul_lo_u32 v17, s41, v13
	v_mad_u64_u32 v[14:15], s[0:1], s40, v13, 0
	v_mul_lo_u32 v16, s40, v16
	v_cmp_gt_i32_e64 s[8:9], s24, v13
	s_lshl_b64 s[0:1], s[22:23], 2
	s_add_u32 s0, s14, s0
	v_add3_u32 v15, v15, v16, v17
	v_lshlrev_b64 v[13:14], 3, v[14:15]
	v_mov_b32_e32 v16, 0xa000
	v_mov_b32_e32 v15, s60
	v_add_co_u32_e32 v21, vcc, s91, v13
	s_mov_b32 s28, 0
	s_addc_u32 s1, s15, s1
	v_cmp_gt_u32_e64 s[12:13], 64, v18
	v_lshl_add_u32 v19, v18, 3, v16
	v_lshl_or_b32 v20, v2, 3, v16
	s_add_i32 s61, s61, 1
	v_addc_co_u32_e32 v22, vcc, v15, v14, vcc
	v_mov_b32_e32 v23, -1
	s_branch .LBB47_993
.LBB47_991:                             ;   in Loop: Header=BB47_993 Depth=1
	ds_read_b64 v[13:14], v20 offset:384
	s_waitcnt vmcnt(0) lgkmcnt(0)
	v_fma_f64 v[11:12], v[15:16], v[13:14], v[11:12]
.LBB47_992:                             ;   in Loop: Header=BB47_993 Depth=1
	s_or_b64 exec, exec, s[18:19]
	s_add_i32 s28, s28, 1
	s_cmp_eq_u32 s28, s6
	s_cbranch_scc1 .LBB47_1015
.LBB47_993:                             ; =>This Loop Header: Depth=1
                                        ;     Child Loop BB47_995 Depth 2
	v_cmp_gt_i32_e32 vcc, s28, v23
	s_and_b64 s[18:19], s[4:5], vcc
	s_and_saveexec_b64 s[10:11], s[18:19]
	s_cbranch_execz .LBB47_996
; %bb.994:                              ;   in Loop: Header=BB47_993 Depth=1
	global_load_dword v23, v1, s[0:1]
	s_waitcnt vmcnt(0)
	v_cmp_le_i32_e32 vcc, s28, v23
	s_cbranch_vccnz .LBB47_996
.LBB47_995:                             ;   Parent Loop BB47_993 Depth=1
                                        ; =>  This Inner Loop Header: Depth=2
	buffer_wbinvl1_vol
	global_load_dword v23, v1, s[0:1]
	s_waitcnt vmcnt(0)
	v_cmp_gt_i32_e32 vcc, s28, v23
	s_cbranch_vccnz .LBB47_995
.LBB47_996:                             ;   in Loop: Header=BB47_993 Depth=1
	s_or_b64 exec, exec, s[10:11]
	s_sub_i32 s29, s7, s28
	s_lshl_b32 s30, s29, 6
	buffer_wbinvl1_vol
	s_barrier
	s_and_saveexec_b64 s[10:11], s[12:13]
	s_cbranch_execz .LBB47_1000
; %bb.997:                              ;   in Loop: Header=BB47_993 Depth=1
	s_ashr_i32 s18, s30, 31
	v_mov_b32_e32 v14, s18
	v_or_b32_e32 v13, s30, v18
	v_cmp_gt_i64_e32 vcc, s[24:25], v[13:14]
	v_mov_b32_e32 v15, 0
	v_mov_b32_e32 v16, 0
	s_and_saveexec_b64 s[18:19], vcc
	s_cbranch_execz .LBB47_999
; %bb.998:                              ;   in Loop: Header=BB47_993 Depth=1
	v_mul_lo_u32 v15, v14, s50
	v_mul_lo_u32 v16, v13, s51
	v_mad_u64_u32 v[13:14], s[34:35], v13, s50, 0
	v_add3_u32 v14, v14, v16, v15
	v_lshlrev_b64 v[13:14], 3, v[13:14]
	v_mov_b32_e32 v15, s21
	v_add_co_u32_e32 v13, vcc, s20, v13
	v_addc_co_u32_e32 v14, vcc, v15, v14, vcc
	global_load_dwordx2 v[15:16], v[13:14], off
.LBB47_999:                             ;   in Loop: Header=BB47_993 Depth=1
	s_or_b64 exec, exec, s[18:19]
	s_waitcnt vmcnt(0)
	ds_write_b64 v19, v[15:16]
.LBB47_1000:                            ;   in Loop: Header=BB47_993 Depth=1
	s_or_b64 exec, exec, s[10:11]
	v_add_u32_e32 v15, s30, v2
	v_ashrrev_i32_e32 v16, 31, v15
	v_lshlrev_b64 v[13:14], 3, v[15:16]
	s_cmp_lg_u32 s29, s61
	v_add_co_u32_e32 v13, vcc, v21, v13
	s_cselect_b64 s[10:11], -1, 0
	v_addc_co_u32_e32 v14, vcc, v22, v14, vcc
	v_cmp_gt_i32_e32 vcc, s24, v15
	v_cndmask_b32_e64 v16, 0, 1, s[10:11]
	s_and_b64 s[30:31], vcc, s[8:9]
	v_cmp_ne_u32_e64 s[10:11], 1, v16
	s_waitcnt lgkmcnt(0)
	s_barrier
	s_and_saveexec_b64 s[18:19], s[30:31]
	s_cbranch_execz .LBB47_1004
; %bb.1001:                             ;   in Loop: Header=BB47_993 Depth=1
	v_mov_b32_e32 v17, v6
	s_and_b64 vcc, exec, s[10:11]
	v_mov_b32_e32 v16, v5
	s_cbranch_vccnz .LBB47_1003
; %bb.1002:                             ;   in Loop: Header=BB47_993 Depth=1
	global_load_dwordx2 v[16:17], v[13:14], off
.LBB47_1003:                            ;   in Loop: Header=BB47_993 Depth=1
	ds_read_b64 v[24:25], v20
	s_waitcnt vmcnt(0) lgkmcnt(0)
	v_fma_f64 v[11:12], v[16:17], v[24:25], v[11:12]
.LBB47_1004:                            ;   in Loop: Header=BB47_993 Depth=1
	s_or_b64 exec, exec, s[18:19]
	v_add_u32_e32 v16, 16, v15
	v_cmp_gt_i32_e32 vcc, s24, v16
	s_and_b64 s[30:31], vcc, s[8:9]
	s_and_saveexec_b64 s[18:19], s[30:31]
	s_cbranch_execz .LBB47_1008
; %bb.1005:                             ;   in Loop: Header=BB47_993 Depth=1
	v_mov_b32_e32 v17, v4
	s_and_b64 vcc, exec, s[10:11]
	v_mov_b32_e32 v16, v3
	s_cbranch_vccnz .LBB47_1007
; %bb.1006:                             ;   in Loop: Header=BB47_993 Depth=1
	global_load_dwordx2 v[16:17], v[13:14], off offset:128
.LBB47_1007:                            ;   in Loop: Header=BB47_993 Depth=1
	ds_read_b64 v[24:25], v20 offset:128
	s_waitcnt vmcnt(0) lgkmcnt(0)
	v_fma_f64 v[11:12], v[16:17], v[24:25], v[11:12]
.LBB47_1008:                            ;   in Loop: Header=BB47_993 Depth=1
	s_or_b64 exec, exec, s[18:19]
	v_add_u32_e32 v16, 32, v15
	v_cmp_gt_i32_e32 vcc, s24, v16
	s_and_b64 s[30:31], vcc, s[8:9]
	s_and_saveexec_b64 s[18:19], s[30:31]
	s_cbranch_execz .LBB47_1012
; %bb.1009:                             ;   in Loop: Header=BB47_993 Depth=1
	v_mov_b32_e32 v17, v10
	s_and_b64 vcc, exec, s[10:11]
	v_mov_b32_e32 v16, v9
	s_cbranch_vccnz .LBB47_1011
; %bb.1010:                             ;   in Loop: Header=BB47_993 Depth=1
	global_load_dwordx2 v[16:17], v[13:14], off offset:256
.LBB47_1011:                            ;   in Loop: Header=BB47_993 Depth=1
	ds_read_b64 v[24:25], v20 offset:256
	s_waitcnt vmcnt(0) lgkmcnt(0)
	v_fma_f64 v[11:12], v[16:17], v[24:25], v[11:12]
.LBB47_1012:                            ;   in Loop: Header=BB47_993 Depth=1
	s_or_b64 exec, exec, s[18:19]
	v_add_u32_e32 v15, 48, v15
	v_cmp_gt_i32_e32 vcc, s24, v15
	s_and_b64 s[30:31], vcc, s[8:9]
	s_and_saveexec_b64 s[18:19], s[30:31]
	s_cbranch_execz .LBB47_992
; %bb.1013:                             ;   in Loop: Header=BB47_993 Depth=1
	v_mov_b32_e32 v16, v8
	s_and_b64 vcc, exec, s[10:11]
	v_mov_b32_e32 v15, v7
	s_cbranch_vccnz .LBB47_991
; %bb.1014:                             ;   in Loop: Header=BB47_993 Depth=1
	global_load_dwordx2 v[15:16], v[13:14], off offset:384
	s_branch .LBB47_991
.LBB47_1015:
	v_lshl_add_u32 v1, v2, 6, v0
	s_xor_b64 s[0:1], s[26:27], -1
	v_lshlrev_b32_e32 v1, 3, v1
	ds_write_b64 v1, v[11:12] offset:32768
	s_waitcnt lgkmcnt(0)
	s_barrier
	s_and_saveexec_b64 s[4:5], s[2:3]
	s_cbranch_execz .LBB47_1017
; %bb.1016:
	v_lshlrev_b32_e32 v15, 3, v0
	ds_read2st64_b64 v[3:6], v15 offset0:65 offset1:66
	ds_read_b64 v[13:14], v15 offset:40448
	s_waitcnt lgkmcnt(1)
	v_add_f64 v[3:4], v[11:12], v[3:4]
	v_add_f64 v[11:12], v[3:4], v[5:6]
	ds_read2st64_b64 v[3:6], v15 offset0:67 offset1:68
	ds_read2st64_b64 v[7:10], v15 offset0:69 offset1:70
	s_waitcnt lgkmcnt(1)
	v_add_f64 v[3:4], v[11:12], v[3:4]
	v_add_f64 v[3:4], v[3:4], v[5:6]
	s_waitcnt lgkmcnt(0)
	v_add_f64 v[3:4], v[3:4], v[7:8]
	v_add_f64 v[11:12], v[3:4], v[9:10]
	ds_read2st64_b64 v[3:6], v15 offset0:71 offset1:72
	ds_read2st64_b64 v[7:10], v15 offset0:73 offset1:74
	s_waitcnt lgkmcnt(1)
	v_add_f64 v[3:4], v[11:12], v[3:4]
	v_add_f64 v[3:4], v[3:4], v[5:6]
	;; [unrolled: 8-line block ×3, first 2 shown]
	s_waitcnt lgkmcnt(0)
	v_add_f64 v[3:4], v[3:4], v[7:8]
	v_add_f64 v[3:4], v[3:4], v[9:10]
	;; [unrolled: 1-line block ×3, first 2 shown]
	v_xor_b32_e32 v4, 0x80000000, v4
	v_cndmask_b32_e64 v12, v4, 0, s[16:17]
	v_cndmask_b32_e64 v11, v3, 0, s[16:17]
.LBB47_1017:
	s_or_b64 exec, exec, s[4:5]
	v_readlane_b32 s4, v42, 0
	v_readlane_b32 s5, v42, 1
	s_and_b64 vcc, exec, s[4:5]
	s_cbranch_vccnz .LBB47_1030
; %bb.1018:
	v_mov_b32_e32 v3, 0xa000
	v_lshl_or_b32 v5, v2, 3, v3
	s_and_saveexec_b64 s[4:5], s[2:3]
; %bb.1019:
	v_lshl_add_u32 v3, v0, 3, v5
	ds_write_b64 v3, v[11:12]
; %bb.1020:
	s_or_b64 exec, exec, s[4:5]
	v_mov_b32_e32 v3, 0
	v_mov_b32_e32 v4, 0
	v_cmp_le_u32_e32 vcc, v0, v2
	s_waitcnt lgkmcnt(0)
	s_barrier
	s_and_saveexec_b64 s[4:5], vcc
	s_cbranch_execz .LBB47_1022
; %bb.1021:
	ds_read_b64 v[3:4], v1
	ds_read_b64 v[6:7], v5
	s_waitcnt lgkmcnt(0)
	v_fma_f64 v[3:4], v[3:4], v[6:7], 0
.LBB47_1022:
	s_or_b64 exec, exec, s[4:5]
	v_add_u32_e32 v6, 16, v2
	v_cmp_le_u32_e32 vcc, v0, v6
	s_and_saveexec_b64 s[4:5], vcc
	s_cbranch_execz .LBB47_1024
; %bb.1023:
	ds_read_b64 v[6:7], v1 offset:8192
	ds_read_b64 v[8:9], v5 offset:128
	s_waitcnt lgkmcnt(0)
	v_fma_f64 v[3:4], v[6:7], v[8:9], v[3:4]
.LBB47_1024:
	s_or_b64 exec, exec, s[4:5]
	v_add_u32_e32 v6, 32, v2
	v_cmp_le_u32_e32 vcc, v0, v6
	s_and_saveexec_b64 s[4:5], vcc
	s_cbranch_execz .LBB47_1026
; %bb.1025:
	ds_read_b64 v[6:7], v1 offset:16384
	ds_read_b64 v[8:9], v5 offset:256
	s_waitcnt lgkmcnt(0)
	v_fma_f64 v[3:4], v[6:7], v[8:9], v[3:4]
.LBB47_1026:
	s_or_b64 exec, exec, s[4:5]
	v_add_u32_e32 v2, 48, v2
	v_add_u32_e32 v6, 0x8000, v1
	v_cmp_le_u32_e32 vcc, v0, v2
	s_and_saveexec_b64 s[4:5], vcc
	s_cbranch_execz .LBB47_1028
; %bb.1027:
	ds_read_b64 v[1:2], v1 offset:24576
	ds_read_b64 v[7:8], v5 offset:384
	s_waitcnt lgkmcnt(0)
	v_fma_f64 v[3:4], v[1:2], v[7:8], v[3:4]
.LBB47_1028:
	s_or_b64 exec, exec, s[4:5]
	s_mov_b64 s[6:7], 0
	s_mov_b64 s[4:5], 0
	ds_write_b64 v6, v[3:4]
	s_waitcnt lgkmcnt(0)
	s_barrier
                                        ; implicit-def: $vgpr1_vgpr2
	s_and_saveexec_b64 s[8:9], s[2:3]
	s_cbranch_execz .LBB47_1093
; %bb.1029:
	v_lshlrev_b32_e32 v15, 3, v0
	ds_read2st64_b64 v[5:8], v15 offset0:65 offset1:66
	ds_read_b64 v[9:10], v15 offset:40448
	s_mov_b64 s[4:5], exec
	s_waitcnt lgkmcnt(1)
	v_add_f64 v[1:2], v[3:4], v[5:6]
	v_add_f64 v[13:14], v[7:8], v[1:2]
	ds_read2st64_b64 v[1:4], v15 offset0:67 offset1:68
	ds_read2st64_b64 v[5:8], v15 offset0:69 offset1:70
	s_waitcnt lgkmcnt(1)
	v_add_f64 v[1:2], v[1:2], v[13:14]
	v_add_f64 v[1:2], v[3:4], v[1:2]
	s_waitcnt lgkmcnt(0)
	v_add_f64 v[1:2], v[5:6], v[1:2]
	v_add_f64 v[13:14], v[7:8], v[1:2]
	ds_read2st64_b64 v[1:4], v15 offset0:71 offset1:72
	ds_read2st64_b64 v[5:8], v15 offset0:73 offset1:74
	s_waitcnt lgkmcnt(1)
	v_add_f64 v[1:2], v[1:2], v[13:14]
	v_add_f64 v[1:2], v[3:4], v[1:2]
	;; [unrolled: 8-line block ×3, first 2 shown]
	s_waitcnt lgkmcnt(0)
	v_add_f64 v[1:2], v[5:6], v[1:2]
	v_add_f64 v[1:2], v[7:8], v[1:2]
	;; [unrolled: 1-line block ×3, first 2 shown]
	s_or_b64 exec, exec, s[8:9]
	s_and_b64 vcc, exec, s[6:7]
	s_cbranch_vccnz .LBB47_1031
	s_branch .LBB47_1094
.LBB47_1030:
	s_mov_b64 s[4:5], 0
                                        ; implicit-def: $vgpr1_vgpr2
	s_cbranch_execz .LBB47_1094
.LBB47_1031:
	s_movk_i32 s6, 0x208
	v_lshlrev_b32_e32 v2, 9, v0
	v_mov_b32_e32 v3, 0x7800
	v_mul_u32_u24_e32 v1, 0x208, v0
	v_sub_u32_e32 v2, 0, v2
	v_mad_u32_u24 v3, v0, s6, v3
	s_mov_b32 s8, 63
	s_movk_i32 s9, 0x8200
	v_mov_b32_e32 v4, 0
	s_branch .LBB47_1033
.LBB47_1032:                            ;   in Loop: Header=BB47_1033 Depth=1
	s_or_b64 exec, exec, s[6:7]
	s_add_i32 s8, s8, -4
	s_cmp_lg_u32 s10, 0
	v_add_u32_e32 v2, 0xfffff800, v2
	s_barrier
	s_cbranch_scc0 .LBB47_1049
.LBB47_1033:                            ; =>This Inner Loop Header: Depth=1
	v_cmp_eq_u32_e32 vcc, s9, v2
	s_and_b64 s[10:11], s[2:3], vcc
	s_and_saveexec_b64 s[6:7], s[10:11]
	s_cbranch_execz .LBB47_1035
; %bb.1034:                             ;   in Loop: Header=BB47_1033 Depth=1
	ds_read_b64 v[5:6], v1
	s_waitcnt lgkmcnt(0)
	v_mul_f64 v[11:12], v[11:12], v[5:6]
	ds_write_b64 v4, v[11:12] offset:41472
.LBB47_1035:                            ;   in Loop: Header=BB47_1033 Depth=1
	s_or_b64 exec, exec, s[6:7]
	v_cmp_gt_u32_e32 vcc, s8, v0
	s_and_b64 s[10:11], s[2:3], vcc
	v_add_u32_e32 v5, v3, v2
	s_waitcnt lgkmcnt(0)
	s_barrier
	s_and_saveexec_b64 s[6:7], s[10:11]
	s_cbranch_execz .LBB47_1037
; %bb.1036:                             ;   in Loop: Header=BB47_1033 Depth=1
	ds_read_b64 v[6:7], v5 offset:1536
	ds_read_b64 v[8:9], v4 offset:41472
	s_waitcnt lgkmcnt(0)
	v_fma_f64 v[11:12], v[6:7], v[8:9], v[11:12]
.LBB47_1037:                            ;   in Loop: Header=BB47_1033 Depth=1
	s_or_b64 exec, exec, s[6:7]
	s_add_i32 s10, s8, -1
	v_cmp_eq_u32_e32 vcc, s10, v0
	s_and_b64 s[12:13], s[2:3], vcc
	s_barrier
	s_and_saveexec_b64 s[6:7], s[12:13]
	s_cbranch_execz .LBB47_1039
; %bb.1038:                             ;   in Loop: Header=BB47_1033 Depth=1
	ds_read_b64 v[6:7], v1
	s_waitcnt lgkmcnt(0)
	v_mul_f64 v[11:12], v[11:12], v[6:7]
	ds_write_b64 v4, v[11:12] offset:41472
.LBB47_1039:                            ;   in Loop: Header=BB47_1033 Depth=1
	s_or_b64 exec, exec, s[6:7]
	v_cmp_gt_u32_e32 vcc, s10, v0
	s_and_b64 s[10:11], s[2:3], vcc
	s_waitcnt lgkmcnt(0)
	s_barrier
	s_and_saveexec_b64 s[6:7], s[10:11]
	s_cbranch_execz .LBB47_1041
; %bb.1040:                             ;   in Loop: Header=BB47_1033 Depth=1
	ds_read_b64 v[6:7], v5 offset:1024
	ds_read_b64 v[8:9], v4 offset:41472
	s_waitcnt lgkmcnt(0)
	v_fma_f64 v[11:12], v[6:7], v[8:9], v[11:12]
.LBB47_1041:                            ;   in Loop: Header=BB47_1033 Depth=1
	s_or_b64 exec, exec, s[6:7]
	s_add_i32 s10, s8, -2
	v_cmp_eq_u32_e32 vcc, s10, v0
	s_and_b64 s[12:13], s[2:3], vcc
	s_barrier
	s_and_saveexec_b64 s[6:7], s[12:13]
	s_cbranch_execz .LBB47_1043
; %bb.1042:                             ;   in Loop: Header=BB47_1033 Depth=1
	ds_read_b64 v[6:7], v1
	s_waitcnt lgkmcnt(0)
	v_mul_f64 v[11:12], v[11:12], v[6:7]
	ds_write_b64 v4, v[11:12] offset:41472
.LBB47_1043:                            ;   in Loop: Header=BB47_1033 Depth=1
	s_or_b64 exec, exec, s[6:7]
	v_cmp_gt_u32_e32 vcc, s10, v0
	s_and_b64 s[10:11], s[2:3], vcc
	;; [unrolled: 26-line block ×3, first 2 shown]
	s_waitcnt lgkmcnt(0)
	s_barrier
	s_and_saveexec_b64 s[6:7], s[12:13]
	s_cbranch_execz .LBB47_1032
; %bb.1048:                             ;   in Loop: Header=BB47_1033 Depth=1
	ds_read_b64 v[5:6], v5
	ds_read_b64 v[7:8], v4 offset:41472
	s_waitcnt lgkmcnt(0)
	v_fma_f64 v[11:12], v[5:6], v[7:8], v[11:12]
	s_branch .LBB47_1032
.LBB47_1049:
	s_mov_b64 s[6:7], -1
	s_and_b64 vcc, exec, s[0:1]
	s_cbranch_vccnz .LBB47_1095
; %bb.1050:
	s_andn2_b64 vcc, exec, s[6:7]
	s_cbranch_vccz .LBB47_1096
.LBB47_1051:
	s_and_saveexec_b64 s[0:1], s[4:5]
	s_cbranch_execz .LBB47_1053
.LBB47_1052:
	v_mov_b32_e32 v0, s38
	v_add_co_u32_e32 v1, vcc, s33, v18
	v_addc_co_u32_e32 v0, vcc, 0, v0, vcc
	v_mul_lo_u32 v2, v0, s50
	v_mul_lo_u32 v3, v1, s51
	v_mad_u64_u32 v[0:1], s[2:3], v1, s50, 0
	v_add3_u32 v1, v1, v3, v2
	v_lshlrev_b64 v[0:1], 3, v[0:1]
	v_mov_b32_e32 v2, s21
	v_add_co_u32_e32 v0, vcc, s20, v0
	v_addc_co_u32_e32 v1, vcc, v2, v1, vcc
	global_store_dwordx2 v[0:1], v[11:12], off
.LBB47_1053:
	s_or_b64 exec, exec, s[0:1]
	v_cmp_eq_u32_e32 vcc, 0, v18
	s_waitcnt vmcnt(0)
	buffer_wbinvl1_vol
	s_barrier
	s_and_saveexec_b64 s[0:1], vcc
	s_cbranch_execz .LBB47_1055
; %bb.1054:
	s_lshl_b64 s[2:3], s[22:23], 2
	s_add_u32 s2, s14, s2
	s_addc_u32 s3, s15, s3
	v_mov_b32_e32 v0, 0
	global_load_dword v1, v0, s[2:3]
	s_waitcnt vmcnt(0)
	v_add_u32_e32 v1, 1, v1
	global_store_dword v0, v1, s[2:3]
.LBB47_1055:
	s_or_b64 exec, exec, s[0:1]
	s_waitcnt vmcnt(0)
	buffer_wbinvl1_vol
	s_endpgm
.LBB47_1056:
                                        ; implicit-def: $vgpr7_vgpr8
                                        ; implicit-def: $vgpr9_vgpr10
                                        ; implicit-def: $vgpr3_vgpr4
                                        ; implicit-def: $vgpr5_vgpr6
                                        ; implicit-def: $sgpr33
	s_cbranch_execnz .LBB47_10
	s_branch .LBB47_11
.LBB47_1057:
	v_cmp_ne_u32_e32 vcc, v0, v2
	s_and_saveexec_b64 s[12:13], vcc
	s_xor_b64 s[12:13], exec, s[12:13]
; %bb.1058:
	v_or_b32_e32 v1, v2, v0
	v_cmp_gt_u32_e32 vcc, 64, v1
	s_and_b64 s[10:11], vcc, exec
                                        ; implicit-def: $vgpr15_vgpr16
; %bb.1059:
	s_or_saveexec_b64 s[12:13], s[12:13]
	v_mov_b32_e32 v13, 0
	v_mov_b32_e32 v14, 0
	s_xor_b64 exec, exec, s[12:13]
	s_cbranch_execz .LBB47_1061
; %bb.1060:
	v_lshlrev_b64 v[13:14], 3, v[15:16]
	v_mov_b32_e32 v1, s60
	v_add_co_u32_e32 v13, vcc, s91, v13
	v_addc_co_u32_e32 v14, vcc, v1, v14, vcc
	global_load_dwordx2 v[13:14], v[13:14], off
	s_or_b64 s[10:11], s[10:11], exec
	s_waitcnt vmcnt(0)
	v_div_scale_f64 v[15:16], s[14:15], v[13:14], v[13:14], 1.0
	v_div_scale_f64 v[22:23], vcc, 1.0, v[13:14], 1.0
	v_rcp_f64_e32 v[18:19], v[15:16]
	v_fma_f64 v[20:21], -v[15:16], v[18:19], 1.0
	v_fma_f64 v[18:19], v[18:19], v[20:21], v[18:19]
	v_fma_f64 v[20:21], -v[15:16], v[18:19], 1.0
	v_fma_f64 v[18:19], v[18:19], v[20:21], v[18:19]
	v_mul_f64 v[20:21], v[22:23], v[18:19]
	v_fma_f64 v[15:16], -v[15:16], v[20:21], v[22:23]
	v_div_fmas_f64 v[15:16], v[15:16], v[18:19], v[20:21]
	v_div_fixup_f64 v[13:14], v[15:16], v[13:14], 1.0
.LBB47_1061:
	s_or_b64 exec, exec, s[12:13]
	s_and_b64 s[10:11], s[10:11], exec
                                        ; implicit-def: $vgpr15_vgpr16
	s_andn2_saveexec_b64 s[8:9], s[8:9]
	s_cbranch_execz .LBB47_14
.LBB47_1062:
	v_lshlrev_b64 v[13:14], 3, v[15:16]
	v_mov_b32_e32 v1, s60
	v_add_co_u32_e32 v13, vcc, s91, v13
	v_addc_co_u32_e32 v14, vcc, v1, v14, vcc
	global_load_dwordx2 v[13:14], v[13:14], off
	s_or_b64 s[10:11], s[10:11], exec
	s_waitcnt vmcnt(0)
	v_xor_b32_e32 v14, 0x80000000, v14
	s_or_b64 exec, exec, s[8:9]
	s_and_saveexec_b64 s[8:9], s[10:11]
	s_cbranch_execnz .LBB47_15
	s_branch .LBB47_16
.LBB47_1063:
	v_cmp_ne_u32_e32 vcc, v0, v1
	s_and_saveexec_b64 s[10:11], vcc
	s_xor_b64 s[10:11], exec, s[10:11]
; %bb.1064:
	v_or_b32_e32 v13, v1, v0
	v_cmp_gt_u32_e32 vcc, 64, v13
	s_and_b64 s[8:9], vcc, exec
                                        ; implicit-def: $vgpr15_vgpr16
; %bb.1065:
	s_or_saveexec_b64 s[10:11], s[10:11]
	v_mov_b32_e32 v13, 0
	v_mov_b32_e32 v14, 0
	s_xor_b64 exec, exec, s[10:11]
	s_cbranch_execz .LBB47_1067
; %bb.1066:
	v_lshlrev_b64 v[13:14], 3, v[15:16]
	v_mov_b32_e32 v15, s60
	v_add_co_u32_e32 v13, vcc, s91, v13
	v_addc_co_u32_e32 v14, vcc, v15, v14, vcc
	global_load_dwordx2 v[13:14], v[13:14], off
	s_or_b64 s[8:9], s[8:9], exec
	s_waitcnt vmcnt(0)
	v_div_scale_f64 v[15:16], s[12:13], v[13:14], v[13:14], 1.0
	v_div_scale_f64 v[22:23], vcc, 1.0, v[13:14], 1.0
	v_rcp_f64_e32 v[18:19], v[15:16]
	v_fma_f64 v[20:21], -v[15:16], v[18:19], 1.0
	v_fma_f64 v[18:19], v[18:19], v[20:21], v[18:19]
	v_fma_f64 v[20:21], -v[15:16], v[18:19], 1.0
	v_fma_f64 v[18:19], v[18:19], v[20:21], v[18:19]
	v_mul_f64 v[20:21], v[22:23], v[18:19]
	v_fma_f64 v[15:16], -v[15:16], v[20:21], v[22:23]
	v_div_fmas_f64 v[15:16], v[15:16], v[18:19], v[20:21]
	v_div_fixup_f64 v[13:14], v[15:16], v[13:14], 1.0
.LBB47_1067:
	s_or_b64 exec, exec, s[10:11]
	s_and_b64 s[8:9], s[8:9], exec
                                        ; implicit-def: $vgpr15_vgpr16
	s_andn2_saveexec_b64 s[2:3], s[2:3]
	s_cbranch_execz .LBB47_18
.LBB47_1068:
	v_lshlrev_b64 v[13:14], 3, v[15:16]
	v_mov_b32_e32 v15, s60
	v_add_co_u32_e32 v13, vcc, s91, v13
	v_addc_co_u32_e32 v14, vcc, v15, v14, vcc
	global_load_dwordx2 v[13:14], v[13:14], off
	s_or_b64 s[8:9], s[8:9], exec
	s_waitcnt vmcnt(0)
	v_xor_b32_e32 v14, 0x80000000, v14
	s_or_b64 exec, exec, s[2:3]
	s_and_saveexec_b64 s[2:3], s[8:9]
	s_cbranch_execnz .LBB47_19
	s_branch .LBB47_20
.LBB47_1069:
	v_cmp_ne_u32_e32 vcc, v0, v1
	s_and_saveexec_b64 s[10:11], vcc
	s_xor_b64 s[10:11], exec, s[10:11]
; %bb.1070:
	v_or_b32_e32 v13, v1, v0
	v_cmp_gt_u32_e32 vcc, 64, v13
	s_and_b64 s[8:9], vcc, exec
                                        ; implicit-def: $vgpr15_vgpr16
; %bb.1071:
	s_or_saveexec_b64 s[10:11], s[10:11]
	v_mov_b32_e32 v13, 0
	v_mov_b32_e32 v14, 0
	s_xor_b64 exec, exec, s[10:11]
	s_cbranch_execz .LBB47_1073
; %bb.1072:
	v_lshlrev_b64 v[13:14], 3, v[15:16]
	v_mov_b32_e32 v15, s60
	v_add_co_u32_e32 v13, vcc, s91, v13
	v_addc_co_u32_e32 v14, vcc, v15, v14, vcc
	global_load_dwordx2 v[13:14], v[13:14], off
	s_or_b64 s[8:9], s[8:9], exec
	s_waitcnt vmcnt(0)
	v_div_scale_f64 v[15:16], s[12:13], v[13:14], v[13:14], 1.0
	v_div_scale_f64 v[22:23], vcc, 1.0, v[13:14], 1.0
	v_rcp_f64_e32 v[18:19], v[15:16]
	v_fma_f64 v[20:21], -v[15:16], v[18:19], 1.0
	v_fma_f64 v[18:19], v[18:19], v[20:21], v[18:19]
	v_fma_f64 v[20:21], -v[15:16], v[18:19], 1.0
	v_fma_f64 v[18:19], v[18:19], v[20:21], v[18:19]
	v_mul_f64 v[20:21], v[22:23], v[18:19]
	v_fma_f64 v[15:16], -v[15:16], v[20:21], v[22:23]
	v_div_fmas_f64 v[15:16], v[15:16], v[18:19], v[20:21]
	v_div_fixup_f64 v[13:14], v[15:16], v[13:14], 1.0
.LBB47_1073:
	s_or_b64 exec, exec, s[10:11]
	s_and_b64 s[8:9], s[8:9], exec
                                        ; implicit-def: $vgpr15_vgpr16
	s_andn2_saveexec_b64 s[2:3], s[2:3]
	s_cbranch_execz .LBB47_22
.LBB47_1074:
	v_lshlrev_b64 v[13:14], 3, v[15:16]
	v_mov_b32_e32 v15, s60
	v_add_co_u32_e32 v13, vcc, s91, v13
	v_addc_co_u32_e32 v14, vcc, v15, v14, vcc
	global_load_dwordx2 v[13:14], v[13:14], off
	s_or_b64 s[8:9], s[8:9], exec
	s_waitcnt vmcnt(0)
	v_xor_b32_e32 v14, 0x80000000, v14
	s_or_b64 exec, exec, s[2:3]
	s_and_saveexec_b64 s[2:3], s[8:9]
	s_cbranch_execnz .LBB47_23
	s_branch .LBB47_24
.LBB47_1075:
	v_cmp_ne_u32_e32 vcc, v0, v2
	s_xor_b64 s[12:13], s[2:3], -1
	s_or_b64 s[14:15], s[12:13], vcc
	s_mov_b64 s[12:13], 0
	s_and_saveexec_b64 s[16:17], s[14:15]
	s_xor_b64 s[14:15], exec, s[16:17]
; %bb.1076:
	v_or_b32_e32 v1, v2, v0
	v_cmp_gt_u32_e32 vcc, 64, v1
	s_and_b64 s[12:13], vcc, exec
                                        ; implicit-def: $vgpr13_vgpr14
; %bb.1077:
	s_or_saveexec_b64 s[14:15], s[14:15]
	v_mov_b32_e32 v15, 0
	v_mov_b32_e32 v16, 0
	s_xor_b64 exec, exec, s[14:15]
	s_cbranch_execz .LBB47_1079
; %bb.1078:
	v_lshlrev_b64 v[13:14], 3, v[13:14]
	v_mov_b32_e32 v1, s60
	v_add_co_u32_e32 v13, vcc, s91, v13
	v_addc_co_u32_e32 v14, vcc, v1, v14, vcc
	global_load_dwordx2 v[13:14], v[13:14], off
	s_or_b64 s[12:13], s[12:13], exec
	s_waitcnt vmcnt(0)
	v_div_scale_f64 v[15:16], s[16:17], v[13:14], v[13:14], 1.0
	v_div_scale_f64 v[22:23], vcc, 1.0, v[13:14], 1.0
	v_rcp_f64_e32 v[18:19], v[15:16]
	v_fma_f64 v[20:21], -v[15:16], v[18:19], 1.0
	v_fma_f64 v[18:19], v[18:19], v[20:21], v[18:19]
	v_fma_f64 v[20:21], -v[15:16], v[18:19], 1.0
	v_fma_f64 v[18:19], v[18:19], v[20:21], v[18:19]
	v_mul_f64 v[20:21], v[22:23], v[18:19]
	v_fma_f64 v[15:16], -v[15:16], v[20:21], v[22:23]
	v_div_fmas_f64 v[15:16], v[15:16], v[18:19], v[20:21]
	v_div_fixup_f64 v[15:16], v[15:16], v[13:14], 1.0
.LBB47_1079:
	s_or_b64 exec, exec, s[14:15]
	s_and_b64 s[12:13], s[12:13], exec
                                        ; implicit-def: $vgpr13_vgpr14
	s_andn2_saveexec_b64 s[8:9], s[8:9]
	s_cbranch_execz .LBB47_36
.LBB47_1080:
	v_lshlrev_b64 v[13:14], 3, v[13:14]
	v_mov_b32_e32 v1, s60
	v_add_co_u32_e32 v13, vcc, s91, v13
	v_addc_co_u32_e32 v14, vcc, v1, v14, vcc
	global_load_dwordx2 v[15:16], v[13:14], off
	s_or_b64 s[12:13], s[12:13], exec
	s_waitcnt vmcnt(0)
	v_xor_b32_e32 v16, 0x80000000, v16
	s_or_b64 exec, exec, s[8:9]
	s_and_saveexec_b64 s[8:9], s[12:13]
	s_cbranch_execnz .LBB47_37
	s_branch .LBB47_38
.LBB47_1081:
	v_cmp_ne_u32_e32 vcc, v0, v1
	s_xor_b64 s[12:13], s[2:3], -1
	s_or_b64 s[14:15], s[12:13], vcc
	s_mov_b64 s[12:13], 0
	s_and_saveexec_b64 s[16:17], s[14:15]
	s_xor_b64 s[14:15], exec, s[16:17]
; %bb.1082:
	v_or_b32_e32 v13, v1, v0
	v_cmp_gt_u32_e32 vcc, 64, v13
	s_and_b64 s[12:13], vcc, exec
                                        ; implicit-def: $vgpr13_vgpr14
; %bb.1083:
	s_or_saveexec_b64 s[14:15], s[14:15]
	v_mov_b32_e32 v15, 0
	v_mov_b32_e32 v16, 0
	s_xor_b64 exec, exec, s[14:15]
	s_cbranch_execz .LBB47_1085
; %bb.1084:
	v_lshlrev_b64 v[13:14], 3, v[13:14]
	v_mov_b32_e32 v15, s60
	v_add_co_u32_e32 v13, vcc, s91, v13
	v_addc_co_u32_e32 v14, vcc, v15, v14, vcc
	global_load_dwordx2 v[13:14], v[13:14], off
	s_or_b64 s[12:13], s[12:13], exec
	s_waitcnt vmcnt(0)
	v_div_scale_f64 v[15:16], s[16:17], v[13:14], v[13:14], 1.0
	v_div_scale_f64 v[22:23], vcc, 1.0, v[13:14], 1.0
	v_rcp_f64_e32 v[18:19], v[15:16]
	v_fma_f64 v[20:21], -v[15:16], v[18:19], 1.0
	v_fma_f64 v[18:19], v[18:19], v[20:21], v[18:19]
	v_fma_f64 v[20:21], -v[15:16], v[18:19], 1.0
	v_fma_f64 v[18:19], v[18:19], v[20:21], v[18:19]
	v_mul_f64 v[20:21], v[22:23], v[18:19]
	v_fma_f64 v[15:16], -v[15:16], v[20:21], v[22:23]
	v_div_fmas_f64 v[15:16], v[15:16], v[18:19], v[20:21]
	v_div_fixup_f64 v[15:16], v[15:16], v[13:14], 1.0
.LBB47_1085:
	s_or_b64 exec, exec, s[14:15]
	s_and_b64 s[12:13], s[12:13], exec
                                        ; implicit-def: $vgpr13_vgpr14
	s_andn2_saveexec_b64 s[8:9], s[8:9]
	s_cbranch_execz .LBB47_40
.LBB47_1086:
	v_lshlrev_b64 v[13:14], 3, v[13:14]
	v_mov_b32_e32 v15, s60
	v_add_co_u32_e32 v13, vcc, s91, v13
	v_addc_co_u32_e32 v14, vcc, v15, v14, vcc
	global_load_dwordx2 v[15:16], v[13:14], off
	s_or_b64 s[12:13], s[12:13], exec
	s_waitcnt vmcnt(0)
	v_xor_b32_e32 v16, 0x80000000, v16
	s_or_b64 exec, exec, s[8:9]
	s_and_saveexec_b64 s[8:9], s[12:13]
	s_cbranch_execnz .LBB47_41
	s_branch .LBB47_42
.LBB47_1087:
	v_cmp_ne_u32_e32 vcc, v0, v1
	s_xor_b64 s[12:13], s[2:3], -1
	s_or_b64 s[14:15], s[12:13], vcc
	s_mov_b64 s[12:13], 0
	s_and_saveexec_b64 s[16:17], s[14:15]
	s_xor_b64 s[14:15], exec, s[16:17]
; %bb.1088:
	v_or_b32_e32 v13, v1, v0
	v_cmp_gt_u32_e32 vcc, 64, v13
	s_and_b64 s[12:13], vcc, exec
                                        ; implicit-def: $vgpr13_vgpr14
; %bb.1089:
	s_or_saveexec_b64 s[14:15], s[14:15]
	v_mov_b32_e32 v15, 0
	v_mov_b32_e32 v16, 0
	s_xor_b64 exec, exec, s[14:15]
	s_cbranch_execz .LBB47_1091
; %bb.1090:
	v_lshlrev_b64 v[13:14], 3, v[13:14]
	v_mov_b32_e32 v15, s60
	v_add_co_u32_e32 v13, vcc, s91, v13
	v_addc_co_u32_e32 v14, vcc, v15, v14, vcc
	global_load_dwordx2 v[13:14], v[13:14], off
	s_or_b64 s[12:13], s[12:13], exec
	s_waitcnt vmcnt(0)
	v_div_scale_f64 v[15:16], s[16:17], v[13:14], v[13:14], 1.0
	v_div_scale_f64 v[22:23], vcc, 1.0, v[13:14], 1.0
	v_rcp_f64_e32 v[18:19], v[15:16]
	v_fma_f64 v[20:21], -v[15:16], v[18:19], 1.0
	v_fma_f64 v[18:19], v[18:19], v[20:21], v[18:19]
	v_fma_f64 v[20:21], -v[15:16], v[18:19], 1.0
	v_fma_f64 v[18:19], v[18:19], v[20:21], v[18:19]
	v_mul_f64 v[20:21], v[22:23], v[18:19]
	v_fma_f64 v[15:16], -v[15:16], v[20:21], v[22:23]
	v_div_fmas_f64 v[15:16], v[15:16], v[18:19], v[20:21]
	v_div_fixup_f64 v[15:16], v[15:16], v[13:14], 1.0
.LBB47_1091:
	s_or_b64 exec, exec, s[14:15]
	s_and_b64 s[12:13], s[12:13], exec
                                        ; implicit-def: $vgpr13_vgpr14
	s_andn2_saveexec_b64 s[8:9], s[8:9]
	s_cbranch_execz .LBB47_44
.LBB47_1092:
	v_lshlrev_b64 v[13:14], 3, v[13:14]
	v_mov_b32_e32 v15, s60
	v_add_co_u32_e32 v13, vcc, s91, v13
	v_addc_co_u32_e32 v14, vcc, v15, v14, vcc
	global_load_dwordx2 v[15:16], v[13:14], off
	s_or_b64 s[12:13], s[12:13], exec
	s_waitcnt vmcnt(0)
	v_xor_b32_e32 v16, 0x80000000, v16
	s_or_b64 exec, exec, s[8:9]
	s_and_saveexec_b64 s[8:9], s[12:13]
	s_cbranch_execnz .LBB47_45
	s_branch .LBB47_46
.LBB47_1093:
	s_or_b64 exec, exec, s[8:9]
	s_and_b64 vcc, exec, s[6:7]
	s_cbranch_vccnz .LBB47_1031
.LBB47_1094:
	v_mov_b32_e32 v12, v2
	v_mov_b32_e32 v11, v1
	s_and_saveexec_b64 s[0:1], s[4:5]
	s_cbranch_execnz .LBB47_1052
	s_branch .LBB47_1053
.LBB47_1095:
	s_andn2_b64 s[0:1], s[4:5], exec
	s_and_b64 s[4:5], s[2:3], exec
	s_or_b64 s[4:5], s[0:1], s[4:5]
	s_cbranch_execnz .LBB47_1051
.LBB47_1096:
	v_cmp_gt_i32_e32 vcc, s90, v0
	s_and_b64 s[0:1], s[2:3], vcc
	s_andn2_b64 s[2:3], s[4:5], exec
	s_and_b64 s[0:1], s[0:1], exec
	s_or_b64 s[4:5], s[2:3], s[0:1]
	s_and_saveexec_b64 s[0:1], s[4:5]
	s_cbranch_execnz .LBB47_1052
	s_branch .LBB47_1053
.LBB47_1097:
	v_lshlrev_b32_e32 v21, 3, v20
	v_sub_u32_e32 v21, v18, v21
	v_lshl_add_u32 v21, v19, 3, v21
	ds_read_b64 v[21:22], v21 offset:544
	ds_read_b64 v[23:24], v18 offset:8
	s_waitcnt lgkmcnt(0)
	v_fma_f64 v[11:12], v[21:22], v[23:24], v[11:12]
	s_or_b64 exec, exec, s[14:15]
	v_cmp_gt_u32_e64 s[10:11], 8, v14
	s_and_saveexec_b64 s[14:15], s[10:11]
	s_cbranch_execz .LBB47_79
.LBB47_1098:
	ds_read_b64 v[21:22], v16 offset:1056
	ds_read_b64 v[23:24], v18 offset:16
	s_waitcnt lgkmcnt(0)
	v_fma_f64 v[11:12], v[21:22], v[23:24], v[11:12]
	s_or_b64 exec, exec, s[14:15]
	v_cmp_gt_u32_e64 s[10:11], 4, v14
	s_and_saveexec_b64 s[14:15], s[10:11]
	s_cbranch_execnz .LBB47_80
	s_branch .LBB47_81
.LBB47_1099:
	v_lshlrev_b32_e32 v26, 3, v25
	v_sub_u32_e32 v26, v23, v26
	v_lshl_add_u32 v26, v24, 3, v26
	ds_read_b64 v[26:27], v26 offset:576
	ds_read_b64 v[28:29], v23 offset:8
	s_waitcnt lgkmcnt(0)
	v_fma_f64 v[11:12], v[26:27], v[28:29], v[11:12]
	s_or_b64 exec, exec, s[16:17]
	v_cmp_gt_u32_e64 s[14:15], 48, v14
	s_and_saveexec_b64 s[16:17], s[14:15]
	s_cbranch_execz .LBB47_121
.LBB47_1100:
	v_lshlrev_b32_e32 v26, 3, v25
	v_sub_u32_e32 v26, v23, v26
	v_lshl_add_u32 v26, v24, 3, v26
	ds_read_b64 v[26:27], v26 offset:1088
	ds_read_b64 v[28:29], v23 offset:16
	s_waitcnt lgkmcnt(0)
	v_fma_f64 v[11:12], v[26:27], v[28:29], v[11:12]
	s_or_b64 exec, exec, s[16:17]
	v_cmp_gt_u32_e64 s[14:15], 40, v14
	s_and_saveexec_b64 s[16:17], s[14:15]
	s_cbranch_execz .LBB47_122
.LBB47_1101:
	v_lshlrev_b32_e32 v26, 3, v25
	v_sub_u32_e32 v26, v23, v26
	v_lshl_add_u32 v26, v24, 3, v26
	ds_read_b64 v[26:27], v26 offset:1600
	ds_read_b64 v[28:29], v23 offset:24
	s_waitcnt lgkmcnt(0)
	v_fma_f64 v[11:12], v[26:27], v[28:29], v[11:12]
	s_or_b64 exec, exec, s[16:17]
	v_cmp_gt_u32_e64 s[14:15], 32, v14
	s_and_saveexec_b64 s[16:17], s[14:15]
	s_cbranch_execz .LBB47_123
.LBB47_1102:
	ds_read_b64 v[26:27], v21 offset:2112
	ds_read_b64 v[28:29], v23 offset:32
	s_waitcnt lgkmcnt(0)
	v_fma_f64 v[11:12], v[26:27], v[28:29], v[11:12]
	s_or_b64 exec, exec, s[16:17]
	v_cmp_gt_u32_e64 s[14:15], 24, v14
	s_and_saveexec_b64 s[16:17], s[14:15]
	s_cbranch_execz .LBB47_124
.LBB47_1103:
	v_lshlrev_b32_e32 v26, 3, v25
	v_sub_u32_e32 v26, v23, v26
	v_lshl_add_u32 v26, v24, 3, v26
	ds_read_b64 v[26:27], v26 offset:2624
	ds_read_b64 v[28:29], v23 offset:40
	s_waitcnt lgkmcnt(0)
	v_fma_f64 v[11:12], v[26:27], v[28:29], v[11:12]
	s_or_b64 exec, exec, s[16:17]
	v_cmp_gt_u32_e64 s[14:15], 16, v14
	s_and_saveexec_b64 s[16:17], s[14:15]
	s_cbranch_execz .LBB47_125
.LBB47_1104:
	ds_read_b64 v[26:27], v21 offset:3136
	ds_read_b64 v[28:29], v23 offset:48
	s_waitcnt lgkmcnt(0)
	v_fma_f64 v[11:12], v[26:27], v[28:29], v[11:12]
	s_or_b64 exec, exec, s[16:17]
	v_cmp_gt_u32_e64 s[14:15], 8, v14
	s_and_saveexec_b64 s[16:17], s[14:15]
	s_cbranch_execnz .LBB47_126
	s_branch .LBB47_127
.LBB47_1105:
	v_lshlrev_b32_e32 v27, 3, v20
	v_sub_u32_e32 v27, v26, v27
	v_lshl_add_u32 v27, v19, 3, v27
	ds_read_b64 v[27:28], v27 offset:4704
	ds_read_b64 v[29:30], v26 offset:4168
	s_waitcnt lgkmcnt(0)
	v_fma_f64 v[11:12], v[27:28], v[29:30], v[11:12]
	s_or_b64 exec, exec, s[14:15]
	v_cmp_gt_u32_e64 s[10:11], 8, v14
	s_and_saveexec_b64 s[14:15], s[10:11]
	s_cbranch_execz .LBB47_183
.LBB47_1106:
	ds_read_b64 v[27:28], v16 offset:5216
	ds_read_b64 v[29:30], v26 offset:4176
	s_waitcnt lgkmcnt(0)
	v_fma_f64 v[11:12], v[27:28], v[29:30], v[11:12]
	s_or_b64 exec, exec, s[14:15]
	v_cmp_gt_u32_e64 s[10:11], 4, v14
	s_and_saveexec_b64 s[14:15], s[10:11]
	s_cbranch_execnz .LBB47_184
	s_branch .LBB47_185
.LBB47_1107:
	v_lshlrev_b32_e32 v31, 3, v27
	v_lshl_add_u32 v31, v29, 3, v31
	ds_read_b64 v[31:32], v31 offset:5760
	ds_read_b64 v[33:34], v28 offset:88
	s_waitcnt lgkmcnt(0)
	v_fma_f64 v[11:12], v[31:32], v[33:34], v[11:12]
	s_or_b64 exec, exec, s[20:21]
	v_cmp_gt_u32_e64 s[16:17], 64, v14
	s_and_saveexec_b64 s[20:21], s[16:17]
	s_cbranch_execz .LBB47_245
.LBB47_1108:
	ds_read_b64 v[31:32], v26 offset:6272
	ds_read_b64 v[33:34], v28 offset:96
	s_waitcnt lgkmcnt(0)
	v_fma_f64 v[11:12], v[31:32], v[33:34], v[11:12]
	s_or_b64 exec, exec, s[20:21]
	v_cmp_gt_u32_e64 s[16:17], 48, v14
	s_and_saveexec_b64 s[20:21], s[16:17]
	s_cbranch_execz .LBB47_246
.LBB47_1109:
	v_lshlrev_b32_e32 v31, 3, v27
	v_lshl_add_u32 v31, v29, 3, v31
	ds_read_b64 v[31:32], v31 offset:6784
	ds_read_b64 v[33:34], v28 offset:104
	s_waitcnt lgkmcnt(0)
	v_fma_f64 v[11:12], v[31:32], v[33:34], v[11:12]
	s_or_b64 exec, exec, s[20:21]
	v_cmp_gt_u32_e64 s[16:17], 32, v14
	s_and_saveexec_b64 s[20:21], s[16:17]
	s_cbranch_execz .LBB47_247
.LBB47_1110:
	ds_read_b64 v[31:32], v26 offset:7296
	ds_read_b64 v[33:34], v28 offset:112
	s_waitcnt lgkmcnt(0)
	v_fma_f64 v[11:12], v[31:32], v[33:34], v[11:12]
	s_or_b64 exec, exec, s[20:21]
	v_cmp_gt_u32_e64 s[16:17], 16, v14
	s_and_saveexec_b64 s[20:21], s[16:17]
	s_cbranch_execnz .LBB47_248
	s_branch .LBB47_249
.LBB47_1111:
	v_lshlrev_b32_e32 v32, 3, v20
	v_sub_u32_e32 v32, v31, v32
	v_lshl_add_u32 v32, v19, 3, v32
	ds_read_b64 v[32:33], v32 offset:8864
	ds_read_b64 v[34:35], v31 offset:8328
	s_waitcnt lgkmcnt(0)
	v_fma_f64 v[11:12], v[32:33], v[34:35], v[11:12]
	s_or_b64 exec, exec, s[20:21]
	v_cmp_gt_u32_e64 s[14:15], 8, v14
	s_and_saveexec_b64 s[0:1], s[14:15]
	s_cbranch_execz .LBB47_337
.LBB47_1112:
	ds_read_b64 v[32:33], v16 offset:9376
	ds_read_b64 v[34:35], v31 offset:8336
	s_waitcnt lgkmcnt(0)
	v_fma_f64 v[11:12], v[32:33], v[34:35], v[11:12]
	s_or_b64 exec, exec, s[0:1]
	v_cmp_gt_u32_e64 s[14:15], 4, v14
	s_and_saveexec_b64 s[20:21], s[14:15]
	s_cbranch_execnz .LBB47_338
	s_branch .LBB47_339
.LBB47_1113:
	v_lshlrev_b32_e32 v32, 3, v25
	v_sub_u32_e32 v32, v31, v32
	v_lshl_add_u32 v32, v24, 3, v32
	ds_read_b64 v[32:33], v32 offset:8896
	ds_read_b64 v[34:35], v31 offset:8328
	s_waitcnt lgkmcnt(0)
	v_fma_f64 v[11:12], v[32:33], v[34:35], v[11:12]
	s_or_b64 exec, exec, s[20:21]
	v_cmp_gt_u32_e64 s[14:15], 48, v14
	s_and_saveexec_b64 s[20:21], s[14:15]
	s_cbranch_execz .LBB47_379
.LBB47_1114:
	v_lshlrev_b32_e32 v32, 3, v25
	v_sub_u32_e32 v32, v31, v32
	v_lshl_add_u32 v32, v24, 3, v32
	ds_read_b64 v[32:33], v32 offset:9408
	ds_read_b64 v[34:35], v31 offset:8336
	s_waitcnt lgkmcnt(0)
	v_fma_f64 v[11:12], v[32:33], v[34:35], v[11:12]
	s_or_b64 exec, exec, s[20:21]
	v_cmp_gt_u32_e64 s[14:15], 40, v14
	s_and_saveexec_b64 s[20:21], s[14:15]
	s_cbranch_execz .LBB47_380
.LBB47_1115:
	v_lshlrev_b32_e32 v32, 3, v25
	v_sub_u32_e32 v32, v31, v32
	v_lshl_add_u32 v32, v24, 3, v32
	ds_read_b64 v[32:33], v32 offset:9920
	ds_read_b64 v[34:35], v31 offset:8344
	s_waitcnt lgkmcnt(0)
	v_fma_f64 v[11:12], v[32:33], v[34:35], v[11:12]
	s_or_b64 exec, exec, s[20:21]
	v_cmp_gt_u32_e64 s[14:15], 32, v14
	s_and_saveexec_b64 s[0:1], s[14:15]
	s_cbranch_execz .LBB47_381
.LBB47_1116:
	ds_read_b64 v[32:33], v21 offset:10432
	ds_read_b64 v[34:35], v31 offset:8352
	s_waitcnt lgkmcnt(0)
	v_fma_f64 v[11:12], v[32:33], v[34:35], v[11:12]
	s_or_b64 exec, exec, s[0:1]
	v_cmp_gt_u32_e64 s[14:15], 24, v14
	s_and_saveexec_b64 s[20:21], s[14:15]
	s_cbranch_execz .LBB47_382
.LBB47_1117:
	v_lshlrev_b32_e32 v32, 3, v25
	v_sub_u32_e32 v32, v31, v32
	v_lshl_add_u32 v32, v24, 3, v32
	ds_read_b64 v[32:33], v32 offset:10944
	ds_read_b64 v[34:35], v31 offset:8360
	s_waitcnt lgkmcnt(0)
	v_fma_f64 v[11:12], v[32:33], v[34:35], v[11:12]
	s_or_b64 exec, exec, s[20:21]
	v_cmp_gt_u32_e64 s[14:15], 16, v14
	s_and_saveexec_b64 s[0:1], s[14:15]
	s_cbranch_execz .LBB47_383
.LBB47_1118:
	ds_read_b64 v[32:33], v21 offset:11456
	ds_read_b64 v[34:35], v31 offset:8368
	s_waitcnt lgkmcnt(0)
	v_fma_f64 v[11:12], v[32:33], v[34:35], v[11:12]
	s_or_b64 exec, exec, s[0:1]
	v_cmp_gt_u32_e64 s[14:15], 8, v14
	s_and_saveexec_b64 s[20:21], s[14:15]
	s_cbranch_execnz .LBB47_384
	s_branch .LBB47_385
.LBB47_1119:
	v_lshlrev_b32_e32 v32, 3, v20
	v_sub_u32_e32 v32, v31, v32
	v_lshl_add_u32 v32, v19, 3, v32
	ds_read_b64 v[32:33], v32 offset:13024
	ds_read_b64 v[34:35], v31 offset:12488
	s_waitcnt lgkmcnt(0)
	v_fma_f64 v[11:12], v[32:33], v[34:35], v[11:12]
	s_or_b64 exec, exec, s[20:21]
	v_cmp_gt_u32_e64 s[14:15], 8, v14
	s_and_saveexec_b64 s[0:1], s[14:15]
	s_cbranch_execz .LBB47_441
.LBB47_1120:
	ds_read_b64 v[32:33], v16 offset:13536
	ds_read_b64 v[34:35], v31 offset:12496
	s_waitcnt lgkmcnt(0)
	v_fma_f64 v[11:12], v[32:33], v[34:35], v[11:12]
	s_or_b64 exec, exec, s[0:1]
	v_cmp_gt_u32_e64 s[14:15], 4, v14
	s_and_saveexec_b64 s[20:21], s[14:15]
	s_cbranch_execnz .LBB47_442
	s_branch .LBB47_443
.LBB47_1121:
	ds_read_b64 v[35:36], v31 offset:15104
	ds_read_b64 v[37:38], v34 offset:232
	s_waitcnt lgkmcnt(0)
	v_fma_f64 v[11:12], v[35:36], v[37:38], v[11:12]
	s_or_b64 exec, exec, s[0:1]
	v_cmp_gt_u32_e64 s[20:21], 64, v14
	s_and_saveexec_b64 s[0:1], s[20:21]
	s_cbranch_execz .LBB47_539
.LBB47_1122:
	ds_read_b64 v[35:36], v31 offset:15616
	ds_read_b64 v[37:38], v34 offset:240
	s_waitcnt lgkmcnt(0)
	v_fma_f64 v[11:12], v[35:36], v[37:38], v[11:12]
	s_or_b64 exec, exec, s[0:1]
	v_cmp_gt_u32_e64 s[20:21], 32, v14
	s_and_saveexec_b64 s[0:1], s[20:21]
	s_cbranch_execnz .LBB47_540
	s_branch .LBB47_541
.LBB47_1123:
	v_lshlrev_b32_e32 v32, 3, v20
	v_sub_u32_e32 v32, v31, v32
	v_lshl_add_u32 v32, v19, 3, v32
	ds_read_b64 v[32:33], v32 offset:17184
	ds_read_b64 v[34:35], v31 offset:16648
	s_waitcnt lgkmcnt(0)
	v_fma_f64 v[11:12], v[32:33], v[34:35], v[11:12]
	s_or_b64 exec, exec, s[16:17]
	v_cmp_gt_u32_e64 s[12:13], 8, v14
	s_and_saveexec_b64 s[0:1], s[12:13]
	s_cbranch_execz .LBB47_585
.LBB47_1124:
	ds_read_b64 v[32:33], v16 offset:17696
	ds_read_b64 v[34:35], v31 offset:16656
	s_waitcnt lgkmcnt(0)
	v_fma_f64 v[11:12], v[32:33], v[34:35], v[11:12]
	s_or_b64 exec, exec, s[0:1]
	v_cmp_gt_u32_e64 s[12:13], 4, v14
	s_and_saveexec_b64 s[0:1], s[12:13]
	s_cbranch_execnz .LBB47_586
	s_branch .LBB47_587
.LBB47_1125:
	v_lshlrev_b32_e32 v32, 3, v25
	v_sub_u32_e32 v32, v31, v32
	v_lshl_add_u32 v32, v24, 3, v32
	ds_read_b64 v[32:33], v32 offset:17216
	ds_read_b64 v[34:35], v31 offset:16648
	s_waitcnt lgkmcnt(0)
	v_fma_f64 v[11:12], v[32:33], v[34:35], v[11:12]
	s_or_b64 exec, exec, s[16:17]
	v_cmp_gt_u32_e64 s[12:13], 48, v14
	s_and_saveexec_b64 s[0:1], s[12:13]
	s_cbranch_execz .LBB47_627
.LBB47_1126:
	v_lshlrev_b32_e32 v32, 3, v25
	v_sub_u32_e32 v32, v31, v32
	v_lshl_add_u32 v32, v24, 3, v32
	ds_read_b64 v[32:33], v32 offset:17728
	ds_read_b64 v[34:35], v31 offset:16656
	s_waitcnt lgkmcnt(0)
	v_fma_f64 v[11:12], v[32:33], v[34:35], v[11:12]
	s_or_b64 exec, exec, s[0:1]
	v_cmp_gt_u32_e64 s[12:13], 40, v14
	s_and_saveexec_b64 s[0:1], s[12:13]
	s_cbranch_execz .LBB47_628
.LBB47_1127:
	v_lshlrev_b32_e32 v32, 3, v25
	v_sub_u32_e32 v32, v31, v32
	v_lshl_add_u32 v32, v24, 3, v32
	ds_read_b64 v[32:33], v32 offset:18240
	ds_read_b64 v[34:35], v31 offset:16664
	s_waitcnt lgkmcnt(0)
	v_fma_f64 v[11:12], v[32:33], v[34:35], v[11:12]
	s_or_b64 exec, exec, s[0:1]
	v_cmp_gt_u32_e64 s[12:13], 32, v14
	s_and_saveexec_b64 s[0:1], s[12:13]
	s_cbranch_execz .LBB47_629
.LBB47_1128:
	ds_read_b64 v[32:33], v21 offset:18752
	ds_read_b64 v[34:35], v31 offset:16672
	s_waitcnt lgkmcnt(0)
	v_fma_f64 v[11:12], v[32:33], v[34:35], v[11:12]
	s_or_b64 exec, exec, s[0:1]
	v_cmp_gt_u32_e64 s[12:13], 24, v14
	s_and_saveexec_b64 s[0:1], s[12:13]
	s_cbranch_execz .LBB47_630
.LBB47_1129:
	v_lshlrev_b32_e32 v32, 3, v25
	v_sub_u32_e32 v32, v31, v32
	v_lshl_add_u32 v32, v24, 3, v32
	ds_read_b64 v[32:33], v32 offset:19264
	ds_read_b64 v[34:35], v31 offset:16680
	s_waitcnt lgkmcnt(0)
	v_fma_f64 v[11:12], v[32:33], v[34:35], v[11:12]
	s_or_b64 exec, exec, s[0:1]
	v_cmp_gt_u32_e64 s[12:13], 16, v14
	s_and_saveexec_b64 s[0:1], s[12:13]
	s_cbranch_execz .LBB47_631
.LBB47_1130:
	ds_read_b64 v[32:33], v21 offset:19776
	ds_read_b64 v[34:35], v31 offset:16688
	s_waitcnt lgkmcnt(0)
	v_fma_f64 v[11:12], v[32:33], v[34:35], v[11:12]
	s_or_b64 exec, exec, s[0:1]
	v_cmp_gt_u32_e64 s[12:13], 8, v14
	s_and_saveexec_b64 s[0:1], s[12:13]
	s_cbranch_execnz .LBB47_632
	s_branch .LBB47_633
.LBB47_1131:
	v_lshlrev_b32_e32 v32, 3, v20
	v_sub_u32_e32 v32, v31, v32
	v_lshl_add_u32 v32, v19, 3, v32
	ds_read_b64 v[32:33], v32 offset:21344
	ds_read_b64 v[34:35], v31 offset:20808
	s_waitcnt lgkmcnt(0)
	v_fma_f64 v[11:12], v[32:33], v[34:35], v[11:12]
	s_or_b64 exec, exec, s[16:17]
	v_cmp_gt_u32_e64 s[12:13], 8, v14
	s_and_saveexec_b64 s[0:1], s[12:13]
	s_cbranch_execz .LBB47_689
.LBB47_1132:
	ds_read_b64 v[32:33], v16 offset:21856
	ds_read_b64 v[34:35], v31 offset:20816
	s_waitcnt lgkmcnt(0)
	v_fma_f64 v[11:12], v[32:33], v[34:35], v[11:12]
	s_or_b64 exec, exec, s[0:1]
	v_cmp_gt_u32_e64 s[12:13], 4, v14
	s_and_saveexec_b64 s[0:1], s[12:13]
	s_cbranch_execnz .LBB47_690
	s_branch .LBB47_691
.LBB47_1133:
	v_lshlrev_b32_e32 v30, 3, v27
	v_lshl_add_u32 v30, v29, 3, v30
	ds_read_b64 v[32:33], v30 offset:22400
	ds_read_b64 v[34:35], v31 offset:16728
	s_waitcnt lgkmcnt(0)
	v_fma_f64 v[11:12], v[32:33], v[34:35], v[11:12]
	s_or_b64 exec, exec, s[0:1]
	v_cmp_gt_u32_e64 s[12:13], 64, v14
	s_and_saveexec_b64 s[0:1], s[12:13]
	s_cbranch_execz .LBB47_751
.LBB47_1134:
	ds_read_b64 v[32:33], v26 offset:22912
	ds_read_b64 v[34:35], v31 offset:16736
	s_waitcnt lgkmcnt(0)
	v_fma_f64 v[11:12], v[32:33], v[34:35], v[11:12]
	s_or_b64 exec, exec, s[0:1]
	v_cmp_gt_u32_e64 s[12:13], 48, v14
	s_and_saveexec_b64 s[0:1], s[12:13]
	s_cbranch_execz .LBB47_752
.LBB47_1135:
	v_lshlrev_b32_e32 v30, 3, v27
	v_lshl_add_u32 v29, v29, 3, v30
	ds_read_b64 v[29:30], v29 offset:23424
	ds_read_b64 v[32:33], v31 offset:16744
	s_waitcnt lgkmcnt(0)
	v_fma_f64 v[11:12], v[29:30], v[32:33], v[11:12]
	s_or_b64 exec, exec, s[0:1]
	v_cmp_gt_u32_e64 s[12:13], 32, v14
	s_and_saveexec_b64 s[0:1], s[12:13]
	s_cbranch_execz .LBB47_753
.LBB47_1136:
	ds_read_b64 v[29:30], v26 offset:23936
	ds_read_b64 v[31:32], v31 offset:16752
	s_waitcnt lgkmcnt(0)
	v_fma_f64 v[11:12], v[29:30], v[31:32], v[11:12]
	s_or_b64 exec, exec, s[0:1]
	v_cmp_gt_u32_e64 s[12:13], 16, v14
	s_and_saveexec_b64 s[0:1], s[12:13]
	s_cbranch_execnz .LBB47_754
	s_branch .LBB47_755
.LBB47_1137:
	v_lshlrev_b32_e32 v27, 3, v20
	v_sub_u32_e32 v27, v26, v27
	v_lshl_add_u32 v27, v19, 3, v27
	ds_read_b64 v[27:28], v27 offset:25504
	ds_read_b64 v[29:30], v26 offset:24968
	s_waitcnt lgkmcnt(0)
	v_fma_f64 v[11:12], v[27:28], v[29:30], v[11:12]
	s_or_b64 exec, exec, s[12:13]
	v_cmp_gt_u32_e64 s[10:11], 8, v14
	s_and_saveexec_b64 s[12:13], s[10:11]
	s_cbranch_execz .LBB47_843
.LBB47_1138:
	ds_read_b64 v[27:28], v16 offset:26016
	ds_read_b64 v[29:30], v26 offset:24976
	s_waitcnt lgkmcnt(0)
	v_fma_f64 v[11:12], v[27:28], v[29:30], v[11:12]
	s_or_b64 exec, exec, s[12:13]
	v_cmp_gt_u32_e64 s[10:11], 4, v14
	s_and_saveexec_b64 s[12:13], s[10:11]
	s_cbranch_execnz .LBB47_844
	s_branch .LBB47_845
.LBB47_1139:
	v_lshlrev_b32_e32 v27, 3, v25
	v_sub_u32_e32 v27, v26, v27
	v_lshl_add_u32 v27, v24, 3, v27
	ds_read_b64 v[27:28], v27 offset:25536
	ds_read_b64 v[29:30], v26 offset:24968
	s_waitcnt lgkmcnt(0)
	v_fma_f64 v[11:12], v[27:28], v[29:30], v[11:12]
	s_or_b64 exec, exec, s[12:13]
	v_cmp_gt_u32_e64 s[10:11], 48, v14
	s_and_saveexec_b64 s[12:13], s[10:11]
	s_cbranch_execz .LBB47_885
.LBB47_1140:
	v_lshlrev_b32_e32 v27, 3, v25
	v_sub_u32_e32 v27, v26, v27
	v_lshl_add_u32 v27, v24, 3, v27
	ds_read_b64 v[27:28], v27 offset:26048
	ds_read_b64 v[29:30], v26 offset:24976
	s_waitcnt lgkmcnt(0)
	v_fma_f64 v[11:12], v[27:28], v[29:30], v[11:12]
	s_or_b64 exec, exec, s[12:13]
	v_cmp_gt_u32_e64 s[10:11], 40, v14
	s_and_saveexec_b64 s[12:13], s[10:11]
	s_cbranch_execz .LBB47_886
.LBB47_1141:
	v_lshlrev_b32_e32 v27, 3, v25
	v_sub_u32_e32 v27, v26, v27
	v_lshl_add_u32 v27, v24, 3, v27
	ds_read_b64 v[27:28], v27 offset:26560
	ds_read_b64 v[29:30], v26 offset:24984
	s_waitcnt lgkmcnt(0)
	v_fma_f64 v[11:12], v[27:28], v[29:30], v[11:12]
	s_or_b64 exec, exec, s[12:13]
	v_cmp_gt_u32_e64 s[10:11], 32, v14
	s_and_saveexec_b64 s[12:13], s[10:11]
	s_cbranch_execz .LBB47_887
.LBB47_1142:
	ds_read_b64 v[27:28], v21 offset:27072
	ds_read_b64 v[29:30], v26 offset:24992
	s_waitcnt lgkmcnt(0)
	v_fma_f64 v[11:12], v[27:28], v[29:30], v[11:12]
	s_or_b64 exec, exec, s[12:13]
	v_cmp_gt_u32_e64 s[10:11], 24, v14
	s_and_saveexec_b64 s[12:13], s[10:11]
	s_cbranch_execz .LBB47_888
.LBB47_1143:
	v_lshlrev_b32_e32 v25, 3, v25
	v_sub_u32_e32 v25, v26, v25
	v_lshl_add_u32 v24, v24, 3, v25
	ds_read_b64 v[24:25], v24 offset:27584
	ds_read_b64 v[27:28], v26 offset:25000
	s_waitcnt lgkmcnt(0)
	v_fma_f64 v[11:12], v[24:25], v[27:28], v[11:12]
	s_or_b64 exec, exec, s[12:13]
	v_cmp_gt_u32_e64 s[10:11], 16, v14
	s_and_saveexec_b64 s[12:13], s[10:11]
	s_cbranch_execz .LBB47_889
.LBB47_1144:
	ds_read_b64 v[24:25], v21 offset:28096
	ds_read_b64 v[26:27], v26 offset:25008
	s_waitcnt lgkmcnt(0)
	v_fma_f64 v[11:12], v[24:25], v[26:27], v[11:12]
	s_or_b64 exec, exec, s[12:13]
	v_cmp_gt_u32_e64 s[10:11], 8, v14
	s_and_saveexec_b64 s[12:13], s[10:11]
	s_cbranch_execnz .LBB47_890
	s_branch .LBB47_891
.LBB47_1145:
	v_lshlrev_b32_e32 v20, 3, v20
	v_sub_u32_e32 v20, v21, v20
	v_lshl_add_u32 v19, v19, 3, v20
	ds_read_b64 v[19:20], v19 offset:29664
	ds_read_b64 v[22:23], v21 offset:29128
	s_waitcnt lgkmcnt(0)
	v_fma_f64 v[11:12], v[19:20], v[22:23], v[11:12]
	s_or_b64 exec, exec, s[10:11]
	v_cmp_gt_u32_e64 s[8:9], 8, v14
	s_and_saveexec_b64 s[10:11], s[8:9]
	s_cbranch_execz .LBB47_947
.LBB47_1146:
	ds_read_b64 v[19:20], v16 offset:30176
	ds_read_b64 v[21:22], v21 offset:29136
	s_waitcnt lgkmcnt(0)
	v_fma_f64 v[11:12], v[19:20], v[21:22], v[11:12]
	s_or_b64 exec, exec, s[10:11]
	v_cmp_gt_u32_e64 s[8:9], 4, v14
	s_and_saveexec_b64 s[10:11], s[8:9]
	s_cbranch_execnz .LBB47_948
	s_branch .LBB47_949
	.section	.rodata,"a",@progbits
	.p2align	6, 0x0
	.amdhsa_kernel _ZL19rocblas_trsv_deviceILi64ELi16ELb1ELb1ELb0ELb0EddPKdPdEviT7_lllT6_T8_lllPii
		.amdhsa_group_segment_fixed_size 41480
		.amdhsa_private_segment_fixed_size 0
		.amdhsa_kernarg_size 352
		.amdhsa_user_sgpr_count 6
		.amdhsa_user_sgpr_private_segment_buffer 1
		.amdhsa_user_sgpr_dispatch_ptr 0
		.amdhsa_user_sgpr_queue_ptr 0
		.amdhsa_user_sgpr_kernarg_segment_ptr 1
		.amdhsa_user_sgpr_dispatch_id 0
		.amdhsa_user_sgpr_flat_scratch_init 0
		.amdhsa_user_sgpr_private_segment_size 0
		.amdhsa_uses_dynamic_stack 0
		.amdhsa_system_sgpr_private_segment_wavefront_offset 0
		.amdhsa_system_sgpr_workgroup_id_x 1
		.amdhsa_system_sgpr_workgroup_id_y 0
		.amdhsa_system_sgpr_workgroup_id_z 1
		.amdhsa_system_sgpr_workgroup_info 0
		.amdhsa_system_vgpr_workitem_id 1
		.amdhsa_next_free_vgpr 49
		.amdhsa_next_free_sgpr 98
		.amdhsa_reserve_vcc 1
		.amdhsa_reserve_flat_scratch 0
		.amdhsa_float_round_mode_32 0
		.amdhsa_float_round_mode_16_64 0
		.amdhsa_float_denorm_mode_32 3
		.amdhsa_float_denorm_mode_16_64 3
		.amdhsa_dx10_clamp 1
		.amdhsa_ieee_mode 1
		.amdhsa_fp16_overflow 0
		.amdhsa_exception_fp_ieee_invalid_op 0
		.amdhsa_exception_fp_denorm_src 0
		.amdhsa_exception_fp_ieee_div_zero 0
		.amdhsa_exception_fp_ieee_overflow 0
		.amdhsa_exception_fp_ieee_underflow 0
		.amdhsa_exception_fp_ieee_inexact 0
		.amdhsa_exception_int_div_zero 0
	.end_amdhsa_kernel
	.section	.text._ZL19rocblas_trsv_deviceILi64ELi16ELb1ELb1ELb0ELb0EddPKdPdEviT7_lllT6_T8_lllPii,"axG",@progbits,_ZL19rocblas_trsv_deviceILi64ELi16ELb1ELb1ELb0ELb0EddPKdPdEviT7_lllT6_T8_lllPii,comdat
.Lfunc_end47:
	.size	_ZL19rocblas_trsv_deviceILi64ELi16ELb1ELb1ELb0ELb0EddPKdPdEviT7_lllT6_T8_lllPii, .Lfunc_end47-_ZL19rocblas_trsv_deviceILi64ELi16ELb1ELb1ELb0ELb0EddPKdPdEviT7_lllT6_T8_lllPii
                                        ; -- End function
	.set _ZL19rocblas_trsv_deviceILi64ELi16ELb1ELb1ELb0ELb0EddPKdPdEviT7_lllT6_T8_lllPii.num_vgpr, 43
	.set _ZL19rocblas_trsv_deviceILi64ELi16ELb1ELb1ELb0ELb0EddPKdPdEviT7_lllT6_T8_lllPii.num_agpr, 0
	.set _ZL19rocblas_trsv_deviceILi64ELi16ELb1ELb1ELb0ELb0EddPKdPdEviT7_lllT6_T8_lllPii.numbered_sgpr, 96
	.set _ZL19rocblas_trsv_deviceILi64ELi16ELb1ELb1ELb0ELb0EddPKdPdEviT7_lllT6_T8_lllPii.num_named_barrier, 0
	.set _ZL19rocblas_trsv_deviceILi64ELi16ELb1ELb1ELb0ELb0EddPKdPdEviT7_lllT6_T8_lllPii.private_seg_size, 0
	.set _ZL19rocblas_trsv_deviceILi64ELi16ELb1ELb1ELb0ELb0EddPKdPdEviT7_lllT6_T8_lllPii.uses_vcc, 1
	.set _ZL19rocblas_trsv_deviceILi64ELi16ELb1ELb1ELb0ELb0EddPKdPdEviT7_lllT6_T8_lllPii.uses_flat_scratch, 0
	.set _ZL19rocblas_trsv_deviceILi64ELi16ELb1ELb1ELb0ELb0EddPKdPdEviT7_lllT6_T8_lllPii.has_dyn_sized_stack, 0
	.set _ZL19rocblas_trsv_deviceILi64ELi16ELb1ELb1ELb0ELb0EddPKdPdEviT7_lllT6_T8_lllPii.has_recursion, 0
	.set _ZL19rocblas_trsv_deviceILi64ELi16ELb1ELb1ELb0ELb0EddPKdPdEviT7_lllT6_T8_lllPii.has_indirect_call, 0
	.section	.AMDGPU.csdata,"",@progbits
; Kernel info:
; codeLenInByte = 38704
; TotalNumSgprs: 100
; NumVgprs: 43
; ScratchSize: 0
; MemoryBound: 0
; FloatMode: 240
; IeeeMode: 1
; LDSByteSize: 41480 bytes/workgroup (compile time only)
; SGPRBlocks: 12
; VGPRBlocks: 12
; NumSGPRsForWavesPerEU: 102
; NumVGPRsForWavesPerEU: 49
; Occupancy: 4
; WaveLimiterHint : 0
; COMPUTE_PGM_RSRC2:SCRATCH_EN: 0
; COMPUTE_PGM_RSRC2:USER_SGPR: 6
; COMPUTE_PGM_RSRC2:TRAP_HANDLER: 0
; COMPUTE_PGM_RSRC2:TGID_X_EN: 1
; COMPUTE_PGM_RSRC2:TGID_Y_EN: 0
; COMPUTE_PGM_RSRC2:TGID_Z_EN: 1
; COMPUTE_PGM_RSRC2:TIDIG_COMP_CNT: 1
	.section	.text._ZL19rocblas_trsv_deviceILi64ELi16ELb1ELb1ELb1ELb0EddPKdPdEviT7_lllT6_T8_lllPii,"axG",@progbits,_ZL19rocblas_trsv_deviceILi64ELi16ELb1ELb1ELb1ELb0EddPKdPdEviT7_lllT6_T8_lllPii,comdat
	.globl	_ZL19rocblas_trsv_deviceILi64ELi16ELb1ELb1ELb1ELb0EddPKdPdEviT7_lllT6_T8_lllPii ; -- Begin function _ZL19rocblas_trsv_deviceILi64ELi16ELb1ELb1ELb1ELb0EddPKdPdEviT7_lllT6_T8_lllPii
	.p2align	8
	.type	_ZL19rocblas_trsv_deviceILi64ELi16ELb1ELb1ELb1ELb0EddPKdPdEviT7_lllT6_T8_lllPii,@function
_ZL19rocblas_trsv_deviceILi64ELi16ELb1ELb1ELb1ELb0EddPKdPdEviT7_lllT6_T8_lllPii: ; @_ZL19rocblas_trsv_deviceILi64ELi16ELb1ELb1ELb1ELb0EddPKdPdEviT7_lllT6_T8_lllPii
; %bb.0:
	s_load_dwordx16 s[36:51], s[4:5], 0x8
	s_load_dword s24, s[4:5], 0x0
	s_mov_b32 s22, s7
	v_mov_b32_e32 v2, v1
	s_mov_b32 s23, 0
	s_waitcnt lgkmcnt(0)
	s_mul_i32 s0, s43, s7
	s_mul_hi_u32 s1, s42, s7
	s_add_i32 s1, s1, s0
	s_mul_i32 s0, s42, s7
	s_load_dword s7, s[4:5], 0x60
	s_load_dword s30, s[4:5], 0x6c
	s_lshl_b64 s[0:1], s[0:1], 3
	s_add_u32 s2, s36, s0
	s_addc_u32 s3, s37, s1
	s_lshl_b64 s[0:1], s[38:39], 3
	s_add_u32 s91, s2, s0
	s_addc_u32 s60, s3, s1
	s_waitcnt lgkmcnt(0)
	s_add_i32 s7, s7, -1
	s_sub_i32 s61, s7, s6
	s_cmp_lg_u32 s6, 0
	s_cbranch_scc0 .LBB48_1056
; %bb.1:
	s_lshl_b32 s33, s61, 6
	v_add_u32_e32 v1, s33, v0
	v_ashrrev_i32_e32 v3, 31, v1
	v_mul_lo_u32 v5, s40, v3
	v_mul_lo_u32 v6, s41, v1
	v_mad_u64_u32 v[3:4], s[0:1], s40, v1, 0
	v_add3_u32 v11, v2, s33, 64
	v_ashrrev_i32_e32 v12, 31, v11
	v_add3_u32 v4, v4, v5, v6
	v_lshlrev_b64 v[3:4], 3, v[3:4]
	v_cmp_gt_i32_e32 vcc, s24, v1
	v_mov_b32_e32 v1, s60
	v_add_co_u32_e64 v5, s[0:1], s91, v3
	v_addc_co_u32_e64 v1, s[0:1], v1, v4, s[0:1]
	v_lshlrev_b64 v[3:4], 3, v[11:12]
	v_add_co_u32_e64 v12, s[0:1], v5, v3
	v_addc_co_u32_e64 v13, s[0:1], v1, v4, s[0:1]
	v_cmp_gt_i32_e64 s[0:1], s24, v11
	v_mov_b32_e32 v3, 0
	v_mov_b32_e32 v5, 0
	;; [unrolled: 1-line block ×4, first 2 shown]
	s_and_b64 s[2:3], s[0:1], vcc
	s_barrier
	s_and_saveexec_b64 s[0:1], s[2:3]
	s_cbranch_execz .LBB48_3
; %bb.2:
	global_load_dwordx2 v[5:6], v[12:13], off
.LBB48_3:
	s_or_b64 exec, exec, s[0:1]
	v_add_u32_e32 v1, 16, v11
	v_cmp_gt_i32_e64 s[0:1], s24, v1
	s_and_b64 s[2:3], s[0:1], vcc
	s_waitcnt vmcnt(0)
	s_barrier
	s_and_saveexec_b64 s[0:1], s[2:3]
	s_cbranch_execz .LBB48_5
; %bb.4:
	global_load_dwordx2 v[3:4], v[12:13], off offset:128
.LBB48_5:
	s_or_b64 exec, exec, s[0:1]
	v_add_u32_e32 v1, 32, v11
	v_cmp_gt_i32_e64 s[0:1], s24, v1
	v_mov_b32_e32 v7, 0
	v_mov_b32_e32 v9, 0
	;; [unrolled: 1-line block ×4, first 2 shown]
	s_and_b64 s[2:3], s[0:1], vcc
	s_waitcnt vmcnt(0)
	s_barrier
	s_and_saveexec_b64 s[0:1], s[2:3]
	s_cbranch_execz .LBB48_7
; %bb.6:
	global_load_dwordx2 v[9:10], v[12:13], off offset:256
.LBB48_7:
	s_or_b64 exec, exec, s[0:1]
	v_add_u32_e32 v1, 48, v11
	v_cmp_gt_i32_e64 s[0:1], s24, v1
	s_and_b64 s[2:3], s[0:1], vcc
	s_waitcnt vmcnt(0)
	s_barrier
	s_and_saveexec_b64 s[0:1], s[2:3]
	s_cbranch_execz .LBB48_9
; %bb.8:
	global_load_dwordx2 v[7:8], v[12:13], off offset:384
.LBB48_9:
	s_or_b64 exec, exec, s[0:1]
	s_branch .LBB48_11
.LBB48_10:
	s_lshl_b32 s33, s61, 6
                                        ; implicit-def: $vgpr5_vgpr6
                                        ; implicit-def: $vgpr3_vgpr4
                                        ; implicit-def: $vgpr9_vgpr10
                                        ; implicit-def: $vgpr7_vgpr8
.LBB48_11:
	s_ashr_i32 s25, s24, 31
	s_lshr_b32 s0, s25, 26
	s_add_i32 s0, s24, s0
	s_andn2_b32 s0, s0, 63
	s_sub_i32 s90, s24, s0
	s_add_i32 s0, s24, -1
	s_ashr_i32 s1, s0, 31
	s_lshr_b32 s1, s1, 26
	s_add_i32 s0, s0, s1
	s_ashr_i32 s0, s0, 6
	s_cmp_eq_u32 s0, s61
	s_cselect_b64 s[0:1], -1, 0
	s_cmp_lg_u32 s90, 0
	s_cselect_b64 s[2:3], -1, 0
	s_and_b64 s[26:27], s[2:3], s[0:1]
	s_cmp_lt_i32 s6, 5
	s_cselect_b64 s[2:3], -1, 0
	s_or_b64 s[0:1], s[2:3], s[26:27]
	s_ashr_i32 s38, s33, 31
	s_add_u32 s10, s40, 1
	v_mov_b32_e32 v1, 0
	v_mov_b32_e32 v11, s33
	v_mad_u64_u32 v[11:12], s[8:9], s10, v11, v[0:1]
	s_addc_u32 s11, s41, 0
	s_mul_i32 s8, s10, s38
	s_mul_i32 s11, s11, s33
	s_add_i32 s8, s8, s11
	s_mov_b64 s[12:13], -1
	v_lshlrev_b32_e32 v17, 6, v0
	v_add_u32_e32 v12, s8, v12
	s_and_b64 vcc, exec, s[26:27]
	v_cmp_le_u32_e64 s[8:9], v0, v2
	s_cbranch_vccnz .LBB48_33
; %bb.12:
	v_mad_u64_u32 v[15:16], s[10:11], s40, v2, v[11:12]
	v_mov_b32_e32 v1, v16
	v_mad_u64_u32 v[13:14], s[10:11], s41, v2, v[1:2]
	s_mov_b64 s[10:11], 0
	v_mov_b32_e32 v16, v13
                                        ; implicit-def: $vgpr13_vgpr14
	s_and_saveexec_b64 s[12:13], s[8:9]
	s_xor_b64 s[8:9], exec, s[12:13]
	s_cbranch_execnz .LBB48_1057
; %bb.13:
	s_andn2_saveexec_b64 s[8:9], s[8:9]
	s_cbranch_execnz .LBB48_1062
.LBB48_14:
	s_or_b64 exec, exec, s[8:9]
	s_and_saveexec_b64 s[8:9], s[10:11]
.LBB48_15:
	v_add_u32_e32 v1, v2, v17
	v_lshl_add_u32 v15, v2, 6, v0
	v_cndmask_b32_e64 v1, v15, v1, s[2:3]
	v_lshlrev_b32_e32 v1, 3, v1
	ds_write_b64 v1, v[13:14]
.LBB48_16:
	s_or_b64 exec, exec, s[8:9]
	v_add_u32_e32 v1, 16, v2
	v_mad_u64_u32 v[15:16], s[2:3], s40, v1, v[11:12]
	v_cmp_le_u32_e32 vcc, v0, v1
	s_mov_b64 s[8:9], 0
	v_mov_b32_e32 v13, v16
	v_mad_u64_u32 v[13:14], s[2:3], s41, v1, v[13:14]
	v_mov_b32_e32 v16, v13
                                        ; implicit-def: $vgpr13_vgpr14
	s_and_saveexec_b64 s[2:3], vcc
	s_xor_b64 s[2:3], exec, s[2:3]
	s_cbranch_execnz .LBB48_1063
; %bb.17:
	s_andn2_saveexec_b64 s[2:3], s[2:3]
	s_cbranch_execnz .LBB48_1068
.LBB48_18:
	s_or_b64 exec, exec, s[2:3]
	s_and_saveexec_b64 s[2:3], s[8:9]
.LBB48_19:
	v_add_u32_e32 v15, v1, v17
	v_lshl_add_u32 v1, v1, 6, v0
	v_cndmask_b32_e64 v1, v1, v15, s[0:1]
	v_lshlrev_b32_e32 v1, 3, v1
	ds_write_b64 v1, v[13:14]
.LBB48_20:
	s_or_b64 exec, exec, s[2:3]
	v_add_u32_e32 v1, 32, v2
	v_mad_u64_u32 v[15:16], s[2:3], s40, v1, v[11:12]
	v_cmp_le_u32_e32 vcc, v0, v1
	s_mov_b64 s[8:9], 0
	v_mov_b32_e32 v13, v16
	v_mad_u64_u32 v[13:14], s[2:3], s41, v1, v[13:14]
	v_mov_b32_e32 v16, v13
                                        ; implicit-def: $vgpr13_vgpr14
	s_and_saveexec_b64 s[2:3], vcc
	s_xor_b64 s[2:3], exec, s[2:3]
	s_cbranch_execnz .LBB48_1069
; %bb.21:
	s_andn2_saveexec_b64 s[2:3], s[2:3]
	s_cbranch_execnz .LBB48_1074
.LBB48_22:
	s_or_b64 exec, exec, s[2:3]
	s_and_saveexec_b64 s[2:3], s[8:9]
.LBB48_23:
	v_add_u32_e32 v15, v1, v17
	v_lshl_add_u32 v1, v1, 6, v0
	v_cndmask_b32_e64 v1, v1, v15, s[0:1]
	v_lshlrev_b32_e32 v1, 3, v1
	ds_write_b64 v1, v[13:14]
.LBB48_24:
	s_or_b64 exec, exec, s[2:3]
	v_add_u32_e32 v1, 48, v2
	v_mad_u64_u32 v[15:16], s[2:3], s40, v1, v[11:12]
	v_cmp_le_u32_e32 vcc, v0, v1
	s_mov_b64 s[10:11], 0
	v_mov_b32_e32 v13, v16
	v_mad_u64_u32 v[13:14], s[2:3], s41, v1, v[13:14]
	v_mov_b32_e32 v16, v13
                                        ; implicit-def: $vgpr13_vgpr14
	s_and_saveexec_b64 s[2:3], vcc
	s_xor_b64 s[2:3], exec, s[2:3]
	s_cbranch_execz .LBB48_30
; %bb.25:
	v_cmp_ne_u32_e32 vcc, v0, v1
	s_mov_b64 s[8:9], 0
	s_and_saveexec_b64 s[10:11], vcc
	s_xor_b64 s[10:11], exec, s[10:11]
; %bb.26:
	v_or_b32_e32 v13, v1, v0
	v_cmp_gt_u32_e32 vcc, 64, v13
	s_and_b64 s[8:9], vcc, exec
                                        ; implicit-def: $vgpr15_vgpr16
; %bb.27:
	s_or_saveexec_b64 s[10:11], s[10:11]
	v_mov_b32_e32 v13, 0
	v_mov_b32_e32 v14, 0
	s_xor_b64 exec, exec, s[10:11]
	s_cbranch_execz .LBB48_29
; %bb.28:
	v_lshlrev_b64 v[13:14], 3, v[15:16]
	v_mov_b32_e32 v15, s60
	v_add_co_u32_e32 v13, vcc, s91, v13
	v_addc_co_u32_e32 v14, vcc, v15, v14, vcc
	global_load_dwordx2 v[13:14], v[13:14], off
	s_or_b64 s[8:9], s[8:9], exec
	s_waitcnt vmcnt(0)
	v_div_scale_f64 v[15:16], s[12:13], v[13:14], v[13:14], 1.0
	v_div_scale_f64 v[22:23], vcc, 1.0, v[13:14], 1.0
	v_rcp_f64_e32 v[18:19], v[15:16]
	v_fma_f64 v[20:21], -v[15:16], v[18:19], 1.0
	v_fma_f64 v[18:19], v[18:19], v[20:21], v[18:19]
	v_fma_f64 v[20:21], -v[15:16], v[18:19], 1.0
	v_fma_f64 v[18:19], v[18:19], v[20:21], v[18:19]
	v_mul_f64 v[20:21], v[22:23], v[18:19]
	v_fma_f64 v[15:16], -v[15:16], v[20:21], v[22:23]
	v_div_fmas_f64 v[15:16], v[15:16], v[18:19], v[20:21]
	v_div_fixup_f64 v[13:14], v[15:16], v[13:14], 1.0
.LBB48_29:
	s_or_b64 exec, exec, s[10:11]
	s_and_b64 s[10:11], s[8:9], exec
                                        ; implicit-def: $vgpr15_vgpr16
.LBB48_30:
	s_or_saveexec_b64 s[2:3], s[2:3]
	v_add_u32_e32 v18, v1, v17
	v_lshl_add_u32 v1, v1, 6, v0
	s_xor_b64 exec, exec, s[2:3]
	s_cbranch_execz .LBB48_32
; %bb.31:
	v_lshlrev_b64 v[13:14], 3, v[15:16]
	v_mov_b32_e32 v15, s60
	v_add_co_u32_e32 v13, vcc, s91, v13
	v_addc_co_u32_e32 v14, vcc, v15, v14, vcc
	global_load_dwordx2 v[13:14], v[13:14], off
	s_or_b64 s[10:11], s[10:11], exec
	s_waitcnt vmcnt(0)
	v_xor_b32_e32 v14, 0x80000000, v14
.LBB48_32:
	s_or_b64 exec, exec, s[2:3]
	v_cndmask_b32_e64 v1, v1, v18, s[0:1]
	s_branch .LBB48_55
.LBB48_33:
	s_mov_b64 s[10:11], 0
                                        ; implicit-def: $vgpr13_vgpr14
                                        ; implicit-def: $vgpr1
	s_and_b64 vcc, exec, s[12:13]
	s_cbranch_vccz .LBB48_55
; %bb.34:
	v_mad_u64_u32 v[13:14], s[2:3], s40, v2, v[11:12]
	v_cmp_le_u32_e32 vcc, v0, v2
	v_cmp_gt_i32_e64 s[2:3], s90, v0
	v_mov_b32_e32 v1, v14
	v_mad_u64_u32 v[14:15], s[8:9], s41, v2, v[1:2]
	v_max_i32_e32 v1, v2, v0
	v_cmp_le_i32_e64 s[8:9], s90, v1
	s_or_b64 s[8:9], s[8:9], vcc
	s_mov_b64 s[12:13], 0
                                        ; implicit-def: $vgpr15_vgpr16
	s_and_saveexec_b64 s[14:15], s[8:9]
	s_xor_b64 s[8:9], exec, s[14:15]
	s_cbranch_execnz .LBB48_1075
; %bb.35:
	s_andn2_saveexec_b64 s[8:9], s[8:9]
	s_cbranch_execnz .LBB48_1080
.LBB48_36:
	s_or_b64 exec, exec, s[8:9]
	s_and_saveexec_b64 s[8:9], s[12:13]
.LBB48_37:
	v_lshlrev_b32_e32 v1, 3, v17
	v_lshl_add_u32 v1, v2, 3, v1
	ds_write_b64 v1, v[15:16]
.LBB48_38:
	s_or_b64 exec, exec, s[8:9]
	v_add_u32_e32 v1, 16, v2
	v_mad_u64_u32 v[13:14], s[8:9], s40, v1, v[11:12]
	v_cmp_gt_u32_e32 vcc, v0, v1
	s_mov_b64 s[12:13], 0
	v_mad_u64_u32 v[14:15], s[8:9], s41, v1, v[14:15]
	v_cmp_gt_i32_e64 s[8:9], s90, v1
	s_and_b64 s[8:9], vcc, s[8:9]
	s_and_b64 s[8:9], s[2:3], s[8:9]
	s_xor_b64 s[8:9], s[8:9], -1
                                        ; implicit-def: $vgpr15_vgpr16
	s_and_saveexec_b64 s[14:15], s[8:9]
	s_xor_b64 s[8:9], exec, s[14:15]
	s_cbranch_execnz .LBB48_1081
; %bb.39:
	s_andn2_saveexec_b64 s[8:9], s[8:9]
	s_cbranch_execnz .LBB48_1086
.LBB48_40:
	s_or_b64 exec, exec, s[8:9]
	s_and_saveexec_b64 s[8:9], s[12:13]
.LBB48_41:
	v_add_u32_e32 v13, v1, v17
	v_lshl_add_u32 v1, v1, 6, v0
	v_cndmask_b32_e64 v1, v1, v13, s[0:1]
	v_lshlrev_b32_e32 v1, 3, v1
	ds_write_b64 v1, v[15:16]
.LBB48_42:
	s_or_b64 exec, exec, s[8:9]
	v_add_u32_e32 v1, 32, v2
	v_mad_u64_u32 v[13:14], s[8:9], s40, v1, v[11:12]
	v_cmp_gt_u32_e32 vcc, v0, v1
	s_mov_b64 s[12:13], 0
	v_mad_u64_u32 v[14:15], s[8:9], s41, v1, v[14:15]
	v_cmp_gt_i32_e64 s[8:9], s90, v1
	s_and_b64 s[8:9], vcc, s[8:9]
	s_and_b64 s[8:9], s[2:3], s[8:9]
	s_xor_b64 s[8:9], s[8:9], -1
                                        ; implicit-def: $vgpr15_vgpr16
	s_and_saveexec_b64 s[14:15], s[8:9]
	s_xor_b64 s[8:9], exec, s[14:15]
	s_cbranch_execnz .LBB48_1087
; %bb.43:
	s_andn2_saveexec_b64 s[8:9], s[8:9]
	s_cbranch_execnz .LBB48_1092
.LBB48_44:
	s_or_b64 exec, exec, s[8:9]
	s_and_saveexec_b64 s[8:9], s[12:13]
.LBB48_45:
	v_add_u32_e32 v13, v1, v17
	v_lshl_add_u32 v1, v1, 6, v0
	v_cndmask_b32_e64 v1, v1, v13, s[0:1]
	v_lshlrev_b32_e32 v1, 3, v1
	ds_write_b64 v1, v[15:16]
.LBB48_46:
	s_or_b64 exec, exec, s[8:9]
	v_add_u32_e32 v1, 48, v2
	v_mad_u64_u32 v[11:12], s[8:9], s40, v1, v[11:12]
	v_cmp_gt_u32_e32 vcc, v0, v1
	v_mad_u64_u32 v[12:13], s[8:9], s41, v1, v[12:13]
	v_cmp_gt_i32_e64 s[8:9], s90, v1
	s_and_b64 s[8:9], vcc, s[8:9]
	s_and_b64 s[8:9], s[2:3], s[8:9]
	s_xor_b64 s[8:9], s[8:9], -1
                                        ; implicit-def: $vgpr13_vgpr14
	s_and_saveexec_b64 s[12:13], s[8:9]
	s_xor_b64 s[8:9], exec, s[12:13]
	s_cbranch_execz .LBB48_52
; %bb.47:
	v_cmp_ne_u32_e32 vcc, v0, v1
	s_xor_b64 s[2:3], s[2:3], -1
	s_or_b64 s[12:13], s[2:3], vcc
	s_mov_b64 s[2:3], s[10:11]
	s_and_saveexec_b64 s[14:15], s[12:13]
	s_xor_b64 s[12:13], exec, s[14:15]
; %bb.48:
	v_or_b32_e32 v11, v1, v0
	v_cmp_gt_u32_e32 vcc, 64, v11
	s_andn2_b64 s[2:3], s[10:11], exec
	s_and_b64 s[14:15], vcc, exec
	s_or_b64 s[2:3], s[2:3], s[14:15]
                                        ; implicit-def: $vgpr11_vgpr12
; %bb.49:
	s_or_saveexec_b64 s[12:13], s[12:13]
	v_mov_b32_e32 v13, 0
	v_mov_b32_e32 v14, 0
	s_xor_b64 exec, exec, s[12:13]
	s_cbranch_execz .LBB48_51
; %bb.50:
	v_lshlrev_b64 v[11:12], 3, v[11:12]
	v_mov_b32_e32 v13, s60
	v_add_co_u32_e32 v11, vcc, s91, v11
	v_addc_co_u32_e32 v12, vcc, v13, v12, vcc
	global_load_dwordx2 v[11:12], v[11:12], off
	s_or_b64 s[2:3], s[2:3], exec
	s_waitcnt vmcnt(0)
	v_div_scale_f64 v[13:14], s[14:15], v[11:12], v[11:12], 1.0
	v_div_scale_f64 v[20:21], vcc, 1.0, v[11:12], 1.0
	v_rcp_f64_e32 v[15:16], v[13:14]
	v_fma_f64 v[18:19], -v[13:14], v[15:16], 1.0
	v_fma_f64 v[15:16], v[15:16], v[18:19], v[15:16]
	v_fma_f64 v[18:19], -v[13:14], v[15:16], 1.0
	v_fma_f64 v[15:16], v[15:16], v[18:19], v[15:16]
	v_mul_f64 v[18:19], v[20:21], v[15:16]
	v_fma_f64 v[13:14], -v[13:14], v[18:19], v[20:21]
	v_div_fmas_f64 v[13:14], v[13:14], v[15:16], v[18:19]
	v_div_fixup_f64 v[13:14], v[13:14], v[11:12], 1.0
.LBB48_51:
	s_or_b64 exec, exec, s[12:13]
	s_andn2_b64 s[10:11], s[10:11], exec
	s_and_b64 s[2:3], s[2:3], exec
	s_or_b64 s[10:11], s[10:11], s[2:3]
                                        ; implicit-def: $vgpr11_vgpr12
.LBB48_52:
	s_or_saveexec_b64 s[2:3], s[8:9]
	v_add_u32_e32 v15, v1, v17
	v_lshl_add_u32 v1, v1, 6, v0
	s_xor_b64 exec, exec, s[2:3]
	s_cbranch_execz .LBB48_54
; %bb.53:
	v_lshlrev_b64 v[11:12], 3, v[11:12]
	v_mov_b32_e32 v13, s60
	v_add_co_u32_e32 v11, vcc, s91, v11
	v_addc_co_u32_e32 v12, vcc, v13, v12, vcc
	global_load_dwordx2 v[13:14], v[11:12], off
	s_or_b64 s[10:11], s[10:11], exec
	s_waitcnt vmcnt(0)
	v_xor_b32_e32 v14, 0x80000000, v14
.LBB48_54:
	s_or_b64 exec, exec, s[2:3]
	v_cndmask_b32_e64 v1, v1, v15, s[0:1]
.LBB48_55:
	s_xor_b64 s[0:1], s[0:1], -1
	s_and_saveexec_b64 s[2:3], s[10:11]
; %bb.56:
	v_lshlrev_b32_e32 v1, 3, v1
	ds_write_b64 v1, v[13:14]
; %bb.57:
	s_or_b64 exec, exec, s[2:3]
	v_cndmask_b32_e64 v1, 0, 1, s[0:1]
	v_cmp_ne_u32_e64 s[2:3], 1, v1
                                        ; implicit-def: $vgpr42 : SGPR spill to VGPR lane
	s_andn2_b64 vcc, exec, s[0:1]
	v_writelane_b32 v42, s2, 0
	s_waitcnt vmcnt(0) lgkmcnt(0)
	s_barrier
	v_writelane_b32 v42, s3, 1
	s_cbranch_vccnz .LBB48_987
; %bb.58:
	v_or_b32_e32 v1, v0, v2
	v_cmp_eq_u32_e32 vcc, 0, v1
	s_and_saveexec_b64 s[0:1], vcc
	s_cbranch_execz .LBB48_60
; %bb.59:
	v_mov_b32_e32 v1, 0
	ds_read_b128 v[11:14], v1
	ds_read_b64 v[15:16], v1 offset:520
	s_waitcnt lgkmcnt(0)
	v_mul_f64 v[11:12], v[11:12], v[15:16]
	v_mul_f64 v[11:12], v[13:14], v[11:12]
	ds_write2_b64 v1, v[11:12], v[11:12] offset0:1 offset1:64
.LBB48_60:
	s_or_b64 exec, exec, s[0:1]
	v_lshl_add_u32 v14, v2, 6, v0
	v_and_b32_e32 v16, 1, v0
	v_lshrrev_b32_e32 v15, 1, v14
	v_lshlrev_b32_e32 v1, 3, v16
	v_mov_b32_e32 v11, 0
	v_cmp_lt_u32_e64 s[8:9], 3, v14
	v_cmp_gt_u32_e64 s[2:3], 4, v14
	v_mov_b32_e32 v12, 0
	v_lshl_or_b32 v1, v15, 9, v1
	s_waitcnt lgkmcnt(0)
	s_barrier
	s_and_saveexec_b64 s[0:1], s[2:3]
	s_cbranch_execz .LBB48_64
; %bb.61:
	v_mul_u32_u24_e32 v13, 0x208, v15
	ds_read_b64 v[11:12], v1 offset:16
	ds_read_b64 v[17:18], v13
	v_cmp_gt_u32_e64 s[10:11], 2, v14
	s_waitcnt lgkmcnt(0)
	v_fma_f64 v[11:12], v[11:12], v[17:18], 0
	s_and_saveexec_b64 s[12:13], s[10:11]
	s_cbranch_execz .LBB48_63
; %bb.62:
	v_lshlrev_b32_e32 v13, 3, v0
	v_mov_b32_e32 v19, 0
	ds_read_b64 v[17:18], v13 offset:528
	ds_read_b64 v[19:20], v19 offset:8
	s_waitcnt lgkmcnt(0)
	v_fma_f64 v[11:12], v[17:18], v[19:20], v[11:12]
.LBB48_63:
	s_or_b64 exec, exec, s[12:13]
	v_xor_b32_e32 v12, 0x80000000, v12
.LBB48_64:
	s_or_b64 exec, exec, s[0:1]
	v_mov_b32_e32 v13, 0x8000
	v_cmp_eq_u32_e64 s[10:11], 0, v16
	s_xor_b64 s[0:1], s[8:9], -1
	v_lshl_add_u32 v13, v15, 3, v13
	s_and_b64 s[30:31], s[10:11], s[0:1]
	s_and_saveexec_b64 s[8:9], s[30:31]
	s_cbranch_execz .LBB48_66
; %bb.65:
	v_mov_b32_e32 v17, 0
	ds_read_b64 v[17:18], v17 offset:1040
	s_waitcnt lgkmcnt(0)
	v_mul_f64 v[11:12], v[11:12], v[17:18]
	ds_write_b64 v13, v[11:12]
.LBB48_66:
	s_or_b64 exec, exec, s[8:9]
	v_cmp_ne_u32_e64 s[8:9], 0, v16
	s_and_b64 s[28:29], s[8:9], s[0:1]
	s_waitcnt lgkmcnt(0)
	s_barrier
	s_and_saveexec_b64 s[0:1], s[28:29]
	s_cbranch_execz .LBB48_68
; %bb.67:
	v_mov_b32_e32 v16, 0
	ds_read_b64 v[16:17], v16 offset:1048
	ds_read_b64 v[18:19], v13
	s_waitcnt lgkmcnt(0)
	v_fma_f64 v[11:12], v[16:17], v[18:19], v[11:12]
.LBB48_68:
	s_or_b64 exec, exec, s[0:1]
	s_barrier
	s_and_saveexec_b64 s[0:1], s[28:29]
	s_cbranch_execz .LBB48_70
; %bb.69:
	v_mov_b32_e32 v16, 0
	ds_read_b64 v[16:17], v16 offset:1560
	s_waitcnt lgkmcnt(0)
	v_mul_f64 v[11:12], v[11:12], v[16:17]
	ds_write_b64 v13, v[11:12]
.LBB48_70:
	s_or_b64 exec, exec, s[0:1]
	s_waitcnt lgkmcnt(0)
	s_barrier
	s_barrier
	s_and_saveexec_b64 s[0:1], s[2:3]
; %bb.71:
	v_xor_b32_e32 v12, 0x80000000, v12
	ds_write_b64 v1, v[11:12] offset:16
; %bb.72:
	s_or_b64 exec, exec, s[0:1]
	v_cmp_eq_u32_e64 s[12:13], 0, v2
	v_cmp_gt_u32_e64 s[8:9], 2, v0
	s_and_b64 s[34:35], s[12:13], s[8:9]
	s_waitcnt lgkmcnt(0)
	s_barrier
	s_barrier
	s_and_saveexec_b64 s[0:1], s[34:35]
	s_cbranch_execz .LBB48_74
; %bb.73:
	v_lshlrev_b32_e32 v16, 3, v0
	s_movk_i32 s8, 0x1f8
	v_mad_u32_u24 v17, v0, s8, v16
	ds_read_b64 v[11:12], v17 offset:16
	s_waitcnt lgkmcnt(0)
	ds_write_b64 v16, v[11:12] offset:1024
	ds_read_b64 v[11:12], v17 offset:24
	s_waitcnt lgkmcnt(0)
	ds_write_b64 v16, v[11:12] offset:1536
.LBB48_74:
	s_or_b64 exec, exec, s[0:1]
	s_waitcnt lgkmcnt(0)
	s_barrier
	s_and_saveexec_b64 s[0:1], vcc
	s_cbranch_execz .LBB48_76
; %bb.75:
	v_mov_b32_e32 v20, 0
	ds_read_b128 v[16:19], v20 offset:1040
	ds_read_b64 v[11:12], v20 offset:1560
	s_waitcnt lgkmcnt(0)
	v_mul_f64 v[11:12], v[16:17], v[11:12]
	v_mul_f64 v[11:12], v[18:19], v[11:12]
	ds_write2_b64 v20, v[11:12], v[11:12] offset0:131 offset1:194
.LBB48_76:
	s_or_b64 exec, exec, s[0:1]
	v_and_b32_e32 v19, 3, v0
	v_lshrrev_b32_e32 v20, 2, v14
	v_lshlrev_b32_e32 v17, 3, v19
	v_mov_b32_e32 v11, 0
	v_cmp_lt_u32_e64 s[8:9], 15, v14
	v_cmp_gt_u32_e64 s[18:19], 16, v14
	v_mov_b32_e32 v12, 0
	v_lshl_or_b32 v16, v20, 9, v17
	s_waitcnt lgkmcnt(0)
	s_barrier
	s_and_saveexec_b64 s[0:1], s[18:19]
	s_cbranch_execz .LBB48_82
; %bb.77:
	v_mul_u32_u24_e32 v18, 0x208, v20
	ds_read_b64 v[11:12], v16 offset:32
	ds_read_b64 v[21:22], v18
	v_cmp_gt_u32_e64 s[10:11], 12, v14
	s_waitcnt lgkmcnt(0)
	v_fma_f64 v[11:12], v[11:12], v[21:22], 0
	s_and_saveexec_b64 s[14:15], s[10:11]
	s_cbranch_execnz .LBB48_1097
; %bb.78:
	s_or_b64 exec, exec, s[14:15]
	v_cmp_gt_u32_e64 s[10:11], 8, v14
	s_and_saveexec_b64 s[14:15], s[10:11]
	s_cbranch_execnz .LBB48_1098
.LBB48_79:
	s_or_b64 exec, exec, s[14:15]
	v_cmp_gt_u32_e64 s[10:11], 4, v14
	s_and_saveexec_b64 s[14:15], s[10:11]
	s_cbranch_execz .LBB48_81
.LBB48_80:
	v_lshlrev_b32_e32 v18, 3, v0
	v_mov_b32_e32 v23, 0
	ds_read_b64 v[21:22], v18 offset:1568
	ds_read_b64 v[23:24], v23 offset:24
	s_waitcnt lgkmcnt(0)
	v_fma_f64 v[11:12], v[21:22], v[23:24], v[11:12]
.LBB48_81:
	s_or_b64 exec, exec, s[14:15]
	v_xor_b32_e32 v12, 0x80000000, v12
.LBB48_82:
	v_writelane_b32 v42, s38, 2
	s_or_b64 exec, exec, s[0:1]
	v_mov_b32_e32 v18, 0x8000
	v_cmp_eq_u32_e64 s[10:11], 0, v19
	s_xor_b64 s[0:1], s[8:9], -1
	v_lshl_add_u32 v18, v20, 3, v18
	s_and_b64 s[38:39], s[10:11], s[0:1]
	s_and_saveexec_b64 s[8:9], s[38:39]
	s_cbranch_execz .LBB48_84
; %bb.83:
	v_mov_b32_e32 v21, 0
	ds_read_b64 v[21:22], v21 offset:2080
	s_waitcnt lgkmcnt(0)
	v_mul_f64 v[11:12], v[11:12], v[21:22]
	ds_write_b64 v18, v[11:12]
.LBB48_84:
	s_or_b64 exec, exec, s[8:9]
	v_cmp_ne_u32_e64 s[8:9], 0, v19
	s_and_b64 s[42:43], s[8:9], s[0:1]
	s_waitcnt lgkmcnt(0)
	s_barrier
	s_and_saveexec_b64 s[8:9], s[42:43]
	s_cbranch_execz .LBB48_86
; %bb.85:
	ds_read_b64 v[21:22], v17 offset:2080
	ds_read_b64 v[23:24], v18
	s_waitcnt lgkmcnt(0)
	v_fma_f64 v[11:12], v[21:22], v[23:24], v[11:12]
.LBB48_86:
	s_or_b64 exec, exec, s[8:9]
	v_cmp_eq_u32_e64 s[8:9], 1, v19
	s_and_b64 s[52:53], s[8:9], s[0:1]
	s_barrier
	s_and_saveexec_b64 s[8:9], s[52:53]
	s_cbranch_execz .LBB48_88
; %bb.87:
	v_mov_b32_e32 v21, 0
	ds_read_b64 v[21:22], v21 offset:2600
	s_waitcnt lgkmcnt(0)
	v_mul_f64 v[11:12], v[11:12], v[21:22]
	ds_write_b64 v18, v[11:12]
.LBB48_88:
	s_or_b64 exec, exec, s[8:9]
	v_cmp_lt_u32_e64 s[8:9], 1, v19
	s_and_b64 s[54:55], s[8:9], s[0:1]
	s_waitcnt lgkmcnt(0)
	s_barrier
	s_and_saveexec_b64 s[8:9], s[54:55]
	s_cbranch_execz .LBB48_90
; %bb.89:
	ds_read_b64 v[21:22], v17 offset:2592
	ds_read_b64 v[23:24], v18
	s_waitcnt lgkmcnt(0)
	v_fma_f64 v[11:12], v[21:22], v[23:24], v[11:12]
.LBB48_90:
	s_or_b64 exec, exec, s[8:9]
	v_cmp_eq_u32_e64 s[8:9], 2, v19
	s_and_b64 s[56:57], s[8:9], s[0:1]
	s_barrier
	s_and_saveexec_b64 s[8:9], s[56:57]
	s_cbranch_execz .LBB48_92
; %bb.91:
	v_mov_b32_e32 v21, 0
	ds_read_b64 v[21:22], v21 offset:3120
	s_waitcnt lgkmcnt(0)
	v_mul_f64 v[11:12], v[11:12], v[21:22]
	ds_write_b64 v18, v[11:12]
.LBB48_92:
	s_or_b64 exec, exec, s[8:9]
	v_cmp_eq_u32_e64 s[8:9], 3, v19
	s_and_b64 s[36:37], s[8:9], s[0:1]
	s_waitcnt lgkmcnt(0)
	s_barrier
	s_and_saveexec_b64 s[0:1], s[36:37]
	s_cbranch_execz .LBB48_94
; %bb.93:
	v_mov_b32_e32 v21, 0
	ds_read_b64 v[21:22], v21 offset:3128
	ds_read_b64 v[23:24], v18
	s_waitcnt lgkmcnt(0)
	v_fma_f64 v[11:12], v[21:22], v[23:24], v[11:12]
.LBB48_94:
	s_or_b64 exec, exec, s[0:1]
	s_barrier
	s_and_saveexec_b64 s[0:1], s[36:37]
	s_cbranch_execz .LBB48_96
; %bb.95:
	v_mov_b32_e32 v21, 0
	ds_read_b64 v[21:22], v21 offset:3640
	s_waitcnt lgkmcnt(0)
	v_mul_f64 v[11:12], v[11:12], v[21:22]
	ds_write_b64 v18, v[11:12]
.LBB48_96:
	s_or_b64 exec, exec, s[0:1]
	s_waitcnt lgkmcnt(0)
	s_barrier
	s_barrier
	s_and_saveexec_b64 s[0:1], s[18:19]
; %bb.97:
	v_xor_b32_e32 v12, 0x80000000, v12
	ds_write_b64 v16, v[11:12] offset:32
; %bb.98:
	s_or_b64 exec, exec, s[0:1]
	v_cmp_gt_u32_e64 s[8:9], 4, v0
	s_and_b64 s[58:59], s[12:13], s[8:9]
	s_waitcnt lgkmcnt(0)
	s_barrier
	s_barrier
	s_and_saveexec_b64 s[0:1], s[58:59]
	s_cbranch_execz .LBB48_100
; %bb.99:
	v_lshlrev_b32_e32 v21, 9, v0
	ds_read_b64 v[11:12], v21 offset:32
	s_movk_i32 s8, 0xfe08
	v_mad_i32_i24 v22, v0, s8, v21
	s_waitcnt lgkmcnt(0)
	ds_write_b64 v22, v[11:12] offset:2048
	ds_read_b64 v[11:12], v21 offset:40
	s_waitcnt lgkmcnt(0)
	ds_write_b64 v22, v[11:12] offset:2560
	ds_read_b64 v[11:12], v21 offset:48
	;; [unrolled: 3-line block ×3, first 2 shown]
	s_waitcnt lgkmcnt(0)
	ds_write_b64 v22, v[11:12] offset:3584
.LBB48_100:
	s_or_b64 exec, exec, s[0:1]
	s_waitcnt lgkmcnt(0)
	s_barrier
	s_and_saveexec_b64 s[0:1], vcc
	s_cbranch_execz .LBB48_102
; %bb.101:
	v_mov_b32_e32 v11, 0
	ds_read_b128 v[21:24], v11 offset:2080
	ds_read_b64 v[11:12], v11 offset:2600
	s_movk_i32 s8, 0x800
	s_waitcnt lgkmcnt(0)
	v_mul_f64 v[11:12], v[21:22], v[11:12]
	v_add_u32_e64 v21, s8, 0
	v_mul_f64 v[11:12], v[23:24], v[11:12]
	ds_write2_b64 v21, v[11:12], v[11:12] offset0:5 offset1:68
.LBB48_102:
	s_or_b64 exec, exec, s[0:1]
	v_mov_b32_e32 v11, 0
	v_mov_b32_e32 v12, 0
	s_waitcnt lgkmcnt(0)
	s_barrier
	s_and_saveexec_b64 s[0:1], s[2:3]
	s_cbranch_execz .LBB48_106
; %bb.103:
	v_mul_u32_u24_e32 v21, 0x208, v15
	ds_read_b64 v[11:12], v1 offset:2096
	ds_read_b64 v[21:22], v21 offset:2080
	v_cmp_gt_u32_e64 s[8:9], 2, v14
	s_waitcnt lgkmcnt(0)
	v_fma_f64 v[11:12], v[11:12], v[21:22], 0
	s_and_saveexec_b64 s[10:11], s[8:9]
	s_cbranch_execz .LBB48_105
; %bb.104:
	v_lshlrev_b32_e32 v21, 3, v0
	v_mov_b32_e32 v23, 0
	ds_read_b64 v[21:22], v21 offset:2608
	ds_read_b64 v[23:24], v23 offset:2088
	s_waitcnt lgkmcnt(0)
	v_fma_f64 v[11:12], v[21:22], v[23:24], v[11:12]
.LBB48_105:
	s_or_b64 exec, exec, s[10:11]
	v_xor_b32_e32 v12, 0x80000000, v12
.LBB48_106:
	s_or_b64 exec, exec, s[0:1]
	s_and_saveexec_b64 s[0:1], s[30:31]
	s_cbranch_execz .LBB48_108
; %bb.107:
	v_mov_b32_e32 v21, 0
	ds_read_b64 v[21:22], v21 offset:3120
	s_waitcnt lgkmcnt(0)
	v_mul_f64 v[11:12], v[11:12], v[21:22]
	ds_write_b64 v13, v[11:12]
.LBB48_108:
	s_or_b64 exec, exec, s[0:1]
	s_waitcnt lgkmcnt(0)
	s_barrier
	s_and_saveexec_b64 s[0:1], s[28:29]
	s_cbranch_execz .LBB48_110
; %bb.109:
	v_mov_b32_e32 v21, 0
	ds_read_b64 v[21:22], v21 offset:3128
	ds_read_b64 v[23:24], v13
	s_waitcnt lgkmcnt(0)
	v_fma_f64 v[11:12], v[21:22], v[23:24], v[11:12]
.LBB48_110:
	s_or_b64 exec, exec, s[0:1]
	s_barrier
	s_and_saveexec_b64 s[0:1], s[28:29]
	s_cbranch_execz .LBB48_112
; %bb.111:
	v_mov_b32_e32 v21, 0
	ds_read_b64 v[21:22], v21 offset:3640
	s_waitcnt lgkmcnt(0)
	v_mul_f64 v[11:12], v[11:12], v[21:22]
	ds_write_b64 v13, v[11:12]
.LBB48_112:
	s_or_b64 exec, exec, s[0:1]
	s_waitcnt lgkmcnt(0)
	s_barrier
	s_barrier
	s_and_saveexec_b64 s[0:1], s[2:3]
; %bb.113:
	v_xor_b32_e32 v12, 0x80000000, v12
	ds_write_b64 v1, v[11:12] offset:2096
; %bb.114:
	s_or_b64 exec, exec, s[0:1]
	s_waitcnt lgkmcnt(0)
	s_barrier
	s_barrier
	s_and_saveexec_b64 s[0:1], s[34:35]
	s_cbranch_execz .LBB48_116
; %bb.115:
	v_lshlrev_b32_e32 v21, 3, v0
	s_movk_i32 s8, 0x1f8
	v_mad_u32_u24 v22, v0, s8, v21
	ds_read_b64 v[11:12], v22 offset:2096
	s_waitcnt lgkmcnt(0)
	ds_write_b64 v21, v[11:12] offset:3104
	ds_read_b64 v[11:12], v22 offset:2104
	s_waitcnt lgkmcnt(0)
	ds_write_b64 v21, v[11:12] offset:3616
.LBB48_116:
	s_or_b64 exec, exec, s[0:1]
	s_waitcnt lgkmcnt(0)
	s_barrier
	s_and_saveexec_b64 s[0:1], vcc
	s_cbranch_execz .LBB48_118
; %bb.117:
	v_mov_b32_e32 v11, 0
	ds_read_b128 v[21:24], v11 offset:3120
	ds_read_b64 v[11:12], v11 offset:3640
	s_movk_i32 s8, 0x800
	s_waitcnt lgkmcnt(0)
	v_mul_f64 v[11:12], v[21:22], v[11:12]
	v_add_u32_e64 v21, s8, 0
	v_mul_f64 v[11:12], v[23:24], v[11:12]
	ds_write2_b64 v21, v[11:12], v[11:12] offset0:135 offset1:198
.LBB48_118:
	s_or_b64 exec, exec, s[0:1]
	v_and_b32_e32 v24, 7, v0
	v_lshrrev_b32_e32 v25, 3, v14
	v_lshlrev_b32_e32 v22, 3, v24
	v_mov_b32_e32 v11, 0
	v_cmp_lt_u32_e64 s[10:11], 63, v14
	v_cmp_gt_u32_e64 s[8:9], 64, v14
	v_mov_b32_e32 v12, 0
	v_lshl_or_b32 v21, v25, 9, v22
	s_waitcnt lgkmcnt(0)
	s_barrier
	s_and_saveexec_b64 s[0:1], s[8:9]
	s_cbranch_execz .LBB48_128
; %bb.119:
	v_mul_u32_u24_e32 v23, 0x208, v25
	ds_read_b64 v[11:12], v21 offset:64
	ds_read_b64 v[26:27], v23
	v_cmp_gt_u32_e64 s[14:15], 56, v14
	s_waitcnt lgkmcnt(0)
	v_fma_f64 v[11:12], v[11:12], v[26:27], 0
	s_and_saveexec_b64 s[16:17], s[14:15]
	s_cbranch_execnz .LBB48_1099
; %bb.120:
	s_or_b64 exec, exec, s[16:17]
	v_cmp_gt_u32_e64 s[14:15], 48, v14
	s_and_saveexec_b64 s[16:17], s[14:15]
	s_cbranch_execnz .LBB48_1100
.LBB48_121:
	s_or_b64 exec, exec, s[16:17]
	v_cmp_gt_u32_e64 s[14:15], 40, v14
	s_and_saveexec_b64 s[16:17], s[14:15]
	s_cbranch_execnz .LBB48_1101
.LBB48_122:
	s_or_b64 exec, exec, s[16:17]
	v_cmp_gt_u32_e64 s[14:15], 32, v14
	s_and_saveexec_b64 s[16:17], s[14:15]
	s_cbranch_execnz .LBB48_1102
.LBB48_123:
	s_or_b64 exec, exec, s[16:17]
	v_cmp_gt_u32_e64 s[14:15], 24, v14
	s_and_saveexec_b64 s[16:17], s[14:15]
	s_cbranch_execnz .LBB48_1103
.LBB48_124:
	s_or_b64 exec, exec, s[16:17]
	v_cmp_gt_u32_e64 s[14:15], 16, v14
	s_and_saveexec_b64 s[16:17], s[14:15]
	s_cbranch_execnz .LBB48_1104
.LBB48_125:
	s_or_b64 exec, exec, s[16:17]
	v_cmp_gt_u32_e64 s[14:15], 8, v14
	s_and_saveexec_b64 s[16:17], s[14:15]
	s_cbranch_execz .LBB48_127
.LBB48_126:
	v_lshlrev_b32_e32 v23, 3, v0
	v_mov_b32_e32 v28, 0
	ds_read_b64 v[26:27], v23 offset:3648
	ds_read_b64 v[28:29], v28 offset:56
	s_waitcnt lgkmcnt(0)
	v_fma_f64 v[11:12], v[26:27], v[28:29], v[11:12]
.LBB48_127:
	s_or_b64 exec, exec, s[16:17]
	v_xor_b32_e32 v12, 0x80000000, v12
.LBB48_128:
	s_or_b64 exec, exec, s[0:1]
	v_mov_b32_e32 v23, 0x8000
	v_lshl_add_u32 v23, v25, 3, v23
	v_cmp_eq_u32_e64 s[14:15], 0, v24
	s_xor_b64 s[0:1], s[10:11], -1
	s_and_b64 s[14:15], s[14:15], s[0:1]
	s_mov_b64 s[10:11], exec
	v_writelane_b32 v42, s14, 3
	v_writelane_b32 v42, s15, 4
	s_and_b64 s[14:15], s[10:11], s[14:15]
	s_mov_b64 exec, s[14:15]
	s_cbranch_execz .LBB48_130
; %bb.129:
	v_mov_b32_e32 v26, 0
	ds_read_b64 v[26:27], v26 offset:4160
	s_waitcnt lgkmcnt(0)
	v_mul_f64 v[11:12], v[11:12], v[26:27]
	ds_write_b64 v23, v[11:12]
.LBB48_130:
	s_or_b64 exec, exec, s[10:11]
	v_cmp_ne_u32_e64 s[10:11], 0, v24
	s_and_b64 s[62:63], s[10:11], s[0:1]
	s_waitcnt lgkmcnt(0)
	s_barrier
	s_and_saveexec_b64 s[10:11], s[62:63]
	s_cbranch_execz .LBB48_132
; %bb.131:
	ds_read_b64 v[26:27], v22 offset:4160
	ds_read_b64 v[28:29], v23
	s_waitcnt lgkmcnt(0)
	v_fma_f64 v[11:12], v[26:27], v[28:29], v[11:12]
.LBB48_132:
	s_or_b64 exec, exec, s[10:11]
	v_cmp_eq_u32_e64 s[10:11], 1, v24
	s_and_b64 s[64:65], s[10:11], s[0:1]
	s_barrier
	s_and_saveexec_b64 s[10:11], s[64:65]
	s_cbranch_execz .LBB48_134
; %bb.133:
	v_mov_b32_e32 v26, 0
	ds_read_b64 v[26:27], v26 offset:4680
	s_waitcnt lgkmcnt(0)
	v_mul_f64 v[11:12], v[11:12], v[26:27]
	ds_write_b64 v23, v[11:12]
.LBB48_134:
	s_or_b64 exec, exec, s[10:11]
	v_cmp_lt_u32_e64 s[10:11], 1, v24
	s_and_b64 s[66:67], s[10:11], s[0:1]
	s_waitcnt lgkmcnt(0)
	s_barrier
	s_and_saveexec_b64 s[10:11], s[66:67]
	s_cbranch_execz .LBB48_136
; %bb.135:
	ds_read_b64 v[26:27], v22 offset:4672
	ds_read_b64 v[28:29], v23
	s_waitcnt lgkmcnt(0)
	v_fma_f64 v[11:12], v[26:27], v[28:29], v[11:12]
.LBB48_136:
	s_or_b64 exec, exec, s[10:11]
	v_cmp_eq_u32_e64 s[10:11], 2, v24
	s_and_b64 s[68:69], s[10:11], s[0:1]
	s_barrier
	s_and_saveexec_b64 s[10:11], s[68:69]
	s_cbranch_execz .LBB48_138
; %bb.137:
	v_mov_b32_e32 v26, 0
	ds_read_b64 v[26:27], v26 offset:5200
	s_waitcnt lgkmcnt(0)
	v_mul_f64 v[11:12], v[11:12], v[26:27]
	ds_write_b64 v23, v[11:12]
.LBB48_138:
	s_or_b64 exec, exec, s[10:11]
	v_cmp_lt_u32_e64 s[10:11], 2, v24
	;; [unrolled: 26-line block ×5, first 2 shown]
	s_and_b64 s[84:85], s[10:11], s[0:1]
	s_waitcnt lgkmcnt(0)
	s_barrier
	s_and_saveexec_b64 s[10:11], s[84:85]
	s_cbranch_execz .LBB48_152
; %bb.151:
	ds_read_b64 v[26:27], v22 offset:6720
	ds_read_b64 v[28:29], v23
	s_waitcnt lgkmcnt(0)
	v_fma_f64 v[11:12], v[26:27], v[28:29], v[11:12]
.LBB48_152:
	s_or_b64 exec, exec, s[10:11]
	v_cmp_eq_u32_e64 s[10:11], 6, v24
	s_and_b64 s[86:87], s[10:11], s[0:1]
	s_barrier
	s_and_saveexec_b64 s[10:11], s[86:87]
	s_cbranch_execz .LBB48_154
; %bb.153:
	v_mov_b32_e32 v26, 0
	ds_read_b64 v[26:27], v26 offset:7280
	s_waitcnt lgkmcnt(0)
	v_mul_f64 v[11:12], v[11:12], v[26:27]
	ds_write_b64 v23, v[11:12]
.LBB48_154:
	s_or_b64 exec, exec, s[10:11]
	v_cmp_eq_u32_e64 s[10:11], 7, v24
	s_and_b64 s[70:71], s[10:11], s[0:1]
	s_waitcnt lgkmcnt(0)
	s_barrier
	s_and_saveexec_b64 s[0:1], s[70:71]
	s_cbranch_execz .LBB48_156
; %bb.155:
	v_mov_b32_e32 v26, 0
	ds_read_b64 v[26:27], v26 offset:7288
	ds_read_b64 v[28:29], v23
	s_waitcnt lgkmcnt(0)
	v_fma_f64 v[11:12], v[26:27], v[28:29], v[11:12]
.LBB48_156:
	s_or_b64 exec, exec, s[0:1]
	s_barrier
	s_and_saveexec_b64 s[0:1], s[70:71]
	s_cbranch_execz .LBB48_158
; %bb.157:
	v_mov_b32_e32 v26, 0
	ds_read_b64 v[26:27], v26 offset:7800
	s_waitcnt lgkmcnt(0)
	v_mul_f64 v[11:12], v[11:12], v[26:27]
	ds_write_b64 v23, v[11:12]
.LBB48_158:
	s_or_b64 exec, exec, s[0:1]
	s_waitcnt lgkmcnt(0)
	s_barrier
	s_barrier
	s_and_saveexec_b64 s[0:1], s[8:9]
; %bb.159:
	v_xor_b32_e32 v12, 0x80000000, v12
	ds_write_b64 v21, v[11:12] offset:64
; %bb.160:
	s_or_b64 exec, exec, s[0:1]
	v_cmp_gt_u32_e64 s[10:11], 8, v0
	s_and_b64 s[88:89], s[12:13], s[10:11]
	s_waitcnt lgkmcnt(0)
	s_barrier
	s_barrier
	s_and_saveexec_b64 s[0:1], s[88:89]
	s_cbranch_execz .LBB48_162
; %bb.161:
	v_lshlrev_b32_e32 v26, 9, v0
	ds_read_b64 v[11:12], v26 offset:64
	s_movk_i32 s10, 0xfe08
	v_mad_i32_i24 v27, v0, s10, v26
	s_waitcnt lgkmcnt(0)
	ds_write_b64 v27, v[11:12] offset:4096
	ds_read_b64 v[11:12], v26 offset:72
	s_waitcnt lgkmcnt(0)
	ds_write_b64 v27, v[11:12] offset:4608
	ds_read_b64 v[11:12], v26 offset:80
	;; [unrolled: 3-line block ×7, first 2 shown]
	s_waitcnt lgkmcnt(0)
	ds_write_b64 v27, v[11:12] offset:7680
.LBB48_162:
	s_or_b64 exec, exec, s[0:1]
	s_waitcnt lgkmcnt(0)
	s_barrier
	s_and_saveexec_b64 s[0:1], vcc
	s_cbranch_execz .LBB48_164
; %bb.163:
	v_mov_b32_e32 v11, 0
	ds_read_b128 v[26:29], v11 offset:4160
	ds_read_b64 v[11:12], v11 offset:4680
	s_movk_i32 s10, 0x1000
	s_waitcnt lgkmcnt(0)
	v_mul_f64 v[11:12], v[26:27], v[11:12]
	v_add_u32_e64 v26, s10, 0
	v_mul_f64 v[11:12], v[28:29], v[11:12]
	ds_write2_b64 v26, v[11:12], v[11:12] offset0:9 offset1:72
.LBB48_164:
	s_or_b64 exec, exec, s[0:1]
	v_mov_b32_e32 v11, 0
	v_mov_b32_e32 v12, 0
	s_waitcnt lgkmcnt(0)
	s_barrier
	s_and_saveexec_b64 s[0:1], s[2:3]
	s_cbranch_execz .LBB48_168
; %bb.165:
	v_mul_u32_u24_e32 v26, 0x208, v15
	ds_read_b64 v[11:12], v1 offset:4176
	ds_read_b64 v[26:27], v26 offset:4160
	v_cmp_gt_u32_e64 s[10:11], 2, v14
	s_waitcnt lgkmcnt(0)
	v_fma_f64 v[11:12], v[11:12], v[26:27], 0
	s_and_saveexec_b64 s[14:15], s[10:11]
	s_cbranch_execz .LBB48_167
; %bb.166:
	v_lshlrev_b32_e32 v26, 3, v0
	v_mov_b32_e32 v28, 0
	ds_read_b64 v[26:27], v26 offset:4688
	ds_read_b64 v[28:29], v28 offset:4168
	s_waitcnt lgkmcnt(0)
	v_fma_f64 v[11:12], v[26:27], v[28:29], v[11:12]
.LBB48_167:
	s_or_b64 exec, exec, s[14:15]
	v_xor_b32_e32 v12, 0x80000000, v12
.LBB48_168:
	s_or_b64 exec, exec, s[0:1]
	s_and_saveexec_b64 s[0:1], s[30:31]
	s_cbranch_execz .LBB48_170
; %bb.169:
	v_mov_b32_e32 v26, 0
	ds_read_b64 v[26:27], v26 offset:5200
	s_waitcnt lgkmcnt(0)
	v_mul_f64 v[11:12], v[11:12], v[26:27]
	ds_write_b64 v13, v[11:12]
.LBB48_170:
	s_or_b64 exec, exec, s[0:1]
	s_waitcnt lgkmcnt(0)
	s_barrier
	s_and_saveexec_b64 s[0:1], s[28:29]
	s_cbranch_execz .LBB48_172
; %bb.171:
	v_mov_b32_e32 v26, 0
	ds_read_b64 v[26:27], v26 offset:5208
	ds_read_b64 v[28:29], v13
	s_waitcnt lgkmcnt(0)
	v_fma_f64 v[11:12], v[26:27], v[28:29], v[11:12]
.LBB48_172:
	s_or_b64 exec, exec, s[0:1]
	s_barrier
	s_and_saveexec_b64 s[0:1], s[28:29]
	s_cbranch_execz .LBB48_174
; %bb.173:
	v_mov_b32_e32 v26, 0
	ds_read_b64 v[26:27], v26 offset:5720
	s_waitcnt lgkmcnt(0)
	v_mul_f64 v[11:12], v[11:12], v[26:27]
	ds_write_b64 v13, v[11:12]
.LBB48_174:
	s_or_b64 exec, exec, s[0:1]
	s_waitcnt lgkmcnt(0)
	s_barrier
	s_barrier
	s_and_saveexec_b64 s[0:1], s[2:3]
; %bb.175:
	v_xor_b32_e32 v12, 0x80000000, v12
	ds_write_b64 v1, v[11:12] offset:4176
; %bb.176:
	s_or_b64 exec, exec, s[0:1]
	s_waitcnt lgkmcnt(0)
	s_barrier
	s_barrier
	s_and_saveexec_b64 s[0:1], s[34:35]
	s_cbranch_execz .LBB48_178
; %bb.177:
	v_lshlrev_b32_e32 v26, 3, v0
	s_movk_i32 s10, 0x1f8
	v_mad_u32_u24 v27, v0, s10, v26
	ds_read_b64 v[11:12], v27 offset:4176
	s_waitcnt lgkmcnt(0)
	ds_write_b64 v26, v[11:12] offset:5184
	ds_read_b64 v[11:12], v27 offset:4184
	s_waitcnt lgkmcnt(0)
	ds_write_b64 v26, v[11:12] offset:5696
.LBB48_178:
	s_or_b64 exec, exec, s[0:1]
	s_waitcnt lgkmcnt(0)
	s_barrier
	s_and_saveexec_b64 s[0:1], vcc
	s_cbranch_execz .LBB48_180
; %bb.179:
	v_mov_b32_e32 v11, 0
	ds_read_b128 v[26:29], v11 offset:5200
	ds_read_b64 v[11:12], v11 offset:5720
	s_movk_i32 s10, 0x1000
	s_waitcnt lgkmcnt(0)
	v_mul_f64 v[11:12], v[26:27], v[11:12]
	v_add_u32_e64 v26, s10, 0
	v_mul_f64 v[11:12], v[28:29], v[11:12]
	ds_write2_b64 v26, v[11:12], v[11:12] offset0:139 offset1:202
.LBB48_180:
	s_or_b64 exec, exec, s[0:1]
	v_mov_b32_e32 v11, 0
	v_mov_b32_e32 v12, 0
	s_waitcnt lgkmcnt(0)
	s_barrier
	s_and_saveexec_b64 s[0:1], s[18:19]
	s_cbranch_execz .LBB48_186
; %bb.181:
	v_mul_u32_u24_e32 v26, 0x208, v20
	ds_read_b64 v[11:12], v16 offset:4192
	ds_read_b64 v[27:28], v26 offset:4160
	v_cmp_gt_u32_e64 s[10:11], 12, v14
	s_waitcnt lgkmcnt(0)
	v_fma_f64 v[11:12], v[11:12], v[27:28], 0
	s_and_saveexec_b64 s[14:15], s[10:11]
	s_cbranch_execnz .LBB48_1105
; %bb.182:
	s_or_b64 exec, exec, s[14:15]
	v_cmp_gt_u32_e64 s[10:11], 8, v14
	s_and_saveexec_b64 s[14:15], s[10:11]
	s_cbranch_execnz .LBB48_1106
.LBB48_183:
	s_or_b64 exec, exec, s[14:15]
	v_cmp_gt_u32_e64 s[10:11], 4, v14
	s_and_saveexec_b64 s[14:15], s[10:11]
	s_cbranch_execz .LBB48_185
.LBB48_184:
	v_lshlrev_b32_e32 v26, 3, v0
	v_mov_b32_e32 v28, 0
	ds_read_b64 v[26:27], v26 offset:5728
	ds_read_b64 v[28:29], v28 offset:4184
	s_waitcnt lgkmcnt(0)
	v_fma_f64 v[11:12], v[26:27], v[28:29], v[11:12]
.LBB48_185:
	s_or_b64 exec, exec, s[14:15]
	v_xor_b32_e32 v12, 0x80000000, v12
.LBB48_186:
	s_or_b64 exec, exec, s[0:1]
	s_and_saveexec_b64 s[0:1], s[38:39]
	s_cbranch_execz .LBB48_188
; %bb.187:
	v_mov_b32_e32 v26, 0
	ds_read_b64 v[26:27], v26 offset:6240
	s_waitcnt lgkmcnt(0)
	v_mul_f64 v[11:12], v[11:12], v[26:27]
	ds_write_b64 v18, v[11:12]
.LBB48_188:
	s_or_b64 exec, exec, s[0:1]
	s_waitcnt lgkmcnt(0)
	s_barrier
	s_and_saveexec_b64 s[0:1], s[42:43]
	s_cbranch_execz .LBB48_190
; %bb.189:
	ds_read_b64 v[26:27], v17 offset:6240
	ds_read_b64 v[28:29], v18
	s_waitcnt lgkmcnt(0)
	v_fma_f64 v[11:12], v[26:27], v[28:29], v[11:12]
.LBB48_190:
	s_or_b64 exec, exec, s[0:1]
	s_barrier
	s_and_saveexec_b64 s[0:1], s[52:53]
	s_cbranch_execz .LBB48_192
; %bb.191:
	v_mov_b32_e32 v26, 0
	ds_read_b64 v[26:27], v26 offset:6760
	s_waitcnt lgkmcnt(0)
	v_mul_f64 v[11:12], v[11:12], v[26:27]
	ds_write_b64 v18, v[11:12]
.LBB48_192:
	s_or_b64 exec, exec, s[0:1]
	s_waitcnt lgkmcnt(0)
	s_barrier
	s_and_saveexec_b64 s[0:1], s[54:55]
	s_cbranch_execz .LBB48_194
; %bb.193:
	ds_read_b64 v[26:27], v17 offset:6752
	ds_read_b64 v[28:29], v18
	s_waitcnt lgkmcnt(0)
	v_fma_f64 v[11:12], v[26:27], v[28:29], v[11:12]
.LBB48_194:
	s_or_b64 exec, exec, s[0:1]
	s_barrier
	s_and_saveexec_b64 s[0:1], s[56:57]
	s_cbranch_execz .LBB48_196
; %bb.195:
	v_mov_b32_e32 v26, 0
	ds_read_b64 v[26:27], v26 offset:7280
	s_waitcnt lgkmcnt(0)
	v_mul_f64 v[11:12], v[11:12], v[26:27]
	ds_write_b64 v18, v[11:12]
.LBB48_196:
	s_or_b64 exec, exec, s[0:1]
	s_waitcnt lgkmcnt(0)
	s_barrier
	s_and_saveexec_b64 s[0:1], s[36:37]
	s_cbranch_execz .LBB48_198
; %bb.197:
	v_mov_b32_e32 v26, 0
	ds_read_b64 v[26:27], v26 offset:7288
	ds_read_b64 v[28:29], v18
	s_waitcnt lgkmcnt(0)
	v_fma_f64 v[11:12], v[26:27], v[28:29], v[11:12]
.LBB48_198:
	s_or_b64 exec, exec, s[0:1]
	s_barrier
	s_and_saveexec_b64 s[0:1], s[36:37]
	s_cbranch_execz .LBB48_200
; %bb.199:
	v_mov_b32_e32 v26, 0
	ds_read_b64 v[26:27], v26 offset:7800
	s_waitcnt lgkmcnt(0)
	v_mul_f64 v[11:12], v[11:12], v[26:27]
	ds_write_b64 v18, v[11:12]
.LBB48_200:
	s_or_b64 exec, exec, s[0:1]
	s_waitcnt lgkmcnt(0)
	s_barrier
	s_barrier
	s_and_saveexec_b64 s[0:1], s[18:19]
; %bb.201:
	v_xor_b32_e32 v12, 0x80000000, v12
	ds_write_b64 v16, v[11:12] offset:4192
; %bb.202:
	s_or_b64 exec, exec, s[0:1]
	s_waitcnt lgkmcnt(0)
	s_barrier
	s_barrier
	s_and_saveexec_b64 s[0:1], s[58:59]
	s_cbranch_execz .LBB48_204
; %bb.203:
	v_lshlrev_b32_e32 v26, 9, v0
	ds_read_b64 v[11:12], v26 offset:4192
	s_movk_i32 s10, 0xfe08
	v_mad_i32_i24 v27, v0, s10, v26
	s_waitcnt lgkmcnt(0)
	ds_write_b64 v27, v[11:12] offset:6208
	ds_read_b64 v[11:12], v26 offset:4200
	s_waitcnt lgkmcnt(0)
	ds_write_b64 v27, v[11:12] offset:6720
	ds_read_b64 v[11:12], v26 offset:4208
	;; [unrolled: 3-line block ×3, first 2 shown]
	s_waitcnt lgkmcnt(0)
	ds_write_b64 v27, v[11:12] offset:7744
.LBB48_204:
	s_or_b64 exec, exec, s[0:1]
	s_waitcnt lgkmcnt(0)
	s_barrier
	s_and_saveexec_b64 s[0:1], vcc
	s_cbranch_execz .LBB48_206
; %bb.205:
	v_mov_b32_e32 v11, 0
	ds_read_b128 v[26:29], v11 offset:6240
	ds_read_b64 v[11:12], v11 offset:6760
	s_movk_i32 s10, 0x1800
	s_waitcnt lgkmcnt(0)
	v_mul_f64 v[11:12], v[26:27], v[11:12]
	v_add_u32_e64 v26, s10, 0
	v_mul_f64 v[11:12], v[28:29], v[11:12]
	ds_write2_b64 v26, v[11:12], v[11:12] offset0:13 offset1:76
.LBB48_206:
	s_or_b64 exec, exec, s[0:1]
	v_mov_b32_e32 v11, 0
	v_mov_b32_e32 v12, 0
	s_waitcnt lgkmcnt(0)
	s_barrier
	s_and_saveexec_b64 s[0:1], s[2:3]
	s_cbranch_execz .LBB48_210
; %bb.207:
	v_mul_u32_u24_e32 v26, 0x208, v15
	ds_read_b64 v[11:12], v1 offset:6256
	ds_read_b64 v[26:27], v26 offset:6240
	v_cmp_gt_u32_e64 s[10:11], 2, v14
	s_waitcnt lgkmcnt(0)
	v_fma_f64 v[11:12], v[11:12], v[26:27], 0
	s_and_saveexec_b64 s[14:15], s[10:11]
	s_cbranch_execz .LBB48_209
; %bb.208:
	v_lshlrev_b32_e32 v26, 3, v0
	v_mov_b32_e32 v28, 0
	ds_read_b64 v[26:27], v26 offset:6768
	ds_read_b64 v[28:29], v28 offset:6248
	s_waitcnt lgkmcnt(0)
	v_fma_f64 v[11:12], v[26:27], v[28:29], v[11:12]
.LBB48_209:
	s_or_b64 exec, exec, s[14:15]
	v_xor_b32_e32 v12, 0x80000000, v12
.LBB48_210:
	s_or_b64 exec, exec, s[0:1]
	s_and_saveexec_b64 s[0:1], s[30:31]
	s_cbranch_execz .LBB48_212
; %bb.211:
	v_mov_b32_e32 v26, 0
	ds_read_b64 v[26:27], v26 offset:7280
	s_waitcnt lgkmcnt(0)
	v_mul_f64 v[11:12], v[11:12], v[26:27]
	ds_write_b64 v13, v[11:12]
.LBB48_212:
	s_or_b64 exec, exec, s[0:1]
	s_waitcnt lgkmcnt(0)
	s_barrier
	s_and_saveexec_b64 s[0:1], s[28:29]
	s_cbranch_execz .LBB48_214
; %bb.213:
	v_mov_b32_e32 v26, 0
	ds_read_b64 v[26:27], v26 offset:7288
	ds_read_b64 v[28:29], v13
	s_waitcnt lgkmcnt(0)
	v_fma_f64 v[11:12], v[26:27], v[28:29], v[11:12]
.LBB48_214:
	s_or_b64 exec, exec, s[0:1]
	s_barrier
	s_and_saveexec_b64 s[0:1], s[28:29]
	s_cbranch_execz .LBB48_216
; %bb.215:
	v_mov_b32_e32 v26, 0
	ds_read_b64 v[26:27], v26 offset:7800
	s_waitcnt lgkmcnt(0)
	v_mul_f64 v[11:12], v[11:12], v[26:27]
	ds_write_b64 v13, v[11:12]
.LBB48_216:
	s_or_b64 exec, exec, s[0:1]
	s_waitcnt lgkmcnt(0)
	s_barrier
	s_barrier
	s_and_saveexec_b64 s[0:1], s[2:3]
; %bb.217:
	v_xor_b32_e32 v12, 0x80000000, v12
	ds_write_b64 v1, v[11:12] offset:6256
; %bb.218:
	s_or_b64 exec, exec, s[0:1]
	s_waitcnt lgkmcnt(0)
	s_barrier
	s_barrier
	s_and_saveexec_b64 s[0:1], s[34:35]
	s_cbranch_execz .LBB48_220
; %bb.219:
	v_lshlrev_b32_e32 v26, 3, v0
	s_movk_i32 s10, 0x1f8
	v_mad_u32_u24 v27, v0, s10, v26
	ds_read_b64 v[11:12], v27 offset:6256
	s_waitcnt lgkmcnt(0)
	ds_write_b64 v26, v[11:12] offset:7264
	ds_read_b64 v[11:12], v27 offset:6264
	s_waitcnt lgkmcnt(0)
	ds_write_b64 v26, v[11:12] offset:7776
.LBB48_220:
	s_or_b64 exec, exec, s[0:1]
	s_waitcnt lgkmcnt(0)
	s_barrier
	s_and_saveexec_b64 s[0:1], vcc
	s_cbranch_execz .LBB48_222
; %bb.221:
	v_mov_b32_e32 v11, 0
	ds_read_b128 v[26:29], v11 offset:7280
	ds_read_b64 v[11:12], v11 offset:7800
	s_movk_i32 s10, 0x1800
	s_waitcnt lgkmcnt(0)
	v_mul_f64 v[11:12], v[26:27], v[11:12]
	v_add_u32_e64 v26, s10, 0
	v_mul_f64 v[11:12], v[28:29], v[11:12]
	ds_write2_b64 v26, v[11:12], v[11:12] offset0:143 offset1:206
.LBB48_222:
	s_or_b64 exec, exec, s[0:1]
	v_lshrrev_b32_e32 v30, 4, v14
	v_and_b32_e32 v27, 15, v0
	s_movk_i32 s0, 0xff
	v_lshlrev_b32_e32 v29, 6, v30
	v_cmp_lt_u32_e64 s[14:15], s0, v14
	s_movk_i32 s0, 0x100
	v_or_b32_e32 v26, v29, v27
	v_mov_b32_e32 v11, 0
	v_cmp_gt_u32_e64 s[10:11], s0, v14
	v_mov_b32_e32 v12, 0
	v_lshlrev_b32_e32 v26, 3, v26
	s_waitcnt lgkmcnt(0)
	s_barrier
	s_and_saveexec_b64 s[0:1], s[10:11]
	s_cbranch_execz .LBB48_250
; %bb.223:
	v_mul_u32_u24_e32 v28, 0x208, v30
	ds_read_b64 v[11:12], v26 offset:128
	ds_read_b64 v[31:32], v28
	s_movk_i32 s16, 0xf0
	v_cmp_gt_u32_e64 s[16:17], s16, v14
	s_waitcnt lgkmcnt(0)
	v_fma_f64 v[11:12], v[11:12], v[31:32], 0
	s_and_saveexec_b64 s[20:21], s[16:17]
	s_cbranch_execz .LBB48_225
; %bb.224:
	v_lshlrev_b32_e32 v31, 3, v30
	v_sub_u32_e32 v31, v28, v31
	v_lshl_add_u32 v31, v27, 3, v31
	ds_read_b64 v[31:32], v31 offset:640
	ds_read_b64 v[33:34], v28 offset:8
	s_waitcnt lgkmcnt(0)
	v_fma_f64 v[11:12], v[31:32], v[33:34], v[11:12]
.LBB48_225:
	s_or_b64 exec, exec, s[20:21]
	s_movk_i32 s16, 0xe0
	v_cmp_gt_u32_e64 s[16:17], s16, v14
	s_and_saveexec_b64 s[20:21], s[16:17]
	s_cbranch_execz .LBB48_227
; %bb.226:
	v_lshlrev_b32_e32 v31, 3, v30
	v_sub_u32_e32 v31, v28, v31
	v_lshl_add_u32 v31, v27, 3, v31
	ds_read_b64 v[31:32], v31 offset:1152
	ds_read_b64 v[33:34], v28 offset:16
	s_waitcnt lgkmcnt(0)
	v_fma_f64 v[11:12], v[31:32], v[33:34], v[11:12]
.LBB48_227:
	s_or_b64 exec, exec, s[20:21]
	s_movk_i32 s16, 0xd0
	v_cmp_gt_u32_e64 s[16:17], s16, v14
	;; [unrolled: 14-line block ×7, first 2 shown]
	s_and_saveexec_b64 s[20:21], s[16:17]
	s_cbranch_execz .LBB48_239
; %bb.238:
	ds_read_b64 v[31:32], v26 offset:4224
	ds_read_b64 v[33:34], v28 offset:64
	s_waitcnt lgkmcnt(0)
	v_fma_f64 v[11:12], v[31:32], v[33:34], v[11:12]
.LBB48_239:
	s_or_b64 exec, exec, s[20:21]
	s_movk_i32 s16, 0x70
	v_cmp_gt_u32_e64 s[16:17], s16, v14
	s_and_saveexec_b64 s[20:21], s[16:17]
	s_cbranch_execz .LBB48_241
; %bb.240:
	v_lshlrev_b32_e32 v31, 3, v30
	v_sub_u32_e32 v31, v28, v31
	v_lshl_add_u32 v31, v27, 3, v31
	ds_read_b64 v[31:32], v31 offset:4736
	ds_read_b64 v[33:34], v28 offset:72
	s_waitcnt lgkmcnt(0)
	v_fma_f64 v[11:12], v[31:32], v[33:34], v[11:12]
.LBB48_241:
	s_or_b64 exec, exec, s[20:21]
	s_movk_i32 s16, 0x60
	v_cmp_gt_u32_e64 s[16:17], s16, v14
	s_and_saveexec_b64 s[20:21], s[16:17]
	s_cbranch_execz .LBB48_243
; %bb.242:
	v_lshlrev_b32_e32 v31, 3, v27
	v_lshl_add_u32 v31, v29, 3, v31
	ds_read_b64 v[31:32], v31 offset:5248
	ds_read_b64 v[33:34], v28 offset:80
	s_waitcnt lgkmcnt(0)
	v_fma_f64 v[11:12], v[31:32], v[33:34], v[11:12]
.LBB48_243:
	s_or_b64 exec, exec, s[20:21]
	s_movk_i32 s16, 0x50
	v_cmp_gt_u32_e64 s[16:17], s16, v14
	s_and_saveexec_b64 s[20:21], s[16:17]
	s_cbranch_execnz .LBB48_1107
; %bb.244:
	s_or_b64 exec, exec, s[20:21]
	v_cmp_gt_u32_e64 s[16:17], 64, v14
	s_and_saveexec_b64 s[20:21], s[16:17]
	s_cbranch_execnz .LBB48_1108
.LBB48_245:
	s_or_b64 exec, exec, s[20:21]
	v_cmp_gt_u32_e64 s[16:17], 48, v14
	s_and_saveexec_b64 s[20:21], s[16:17]
	s_cbranch_execnz .LBB48_1109
.LBB48_246:
	s_or_b64 exec, exec, s[20:21]
	v_cmp_gt_u32_e64 s[16:17], 32, v14
	s_and_saveexec_b64 s[20:21], s[16:17]
	s_cbranch_execnz .LBB48_1110
.LBB48_247:
	s_or_b64 exec, exec, s[20:21]
	v_cmp_gt_u32_e64 s[16:17], 16, v14
	s_and_saveexec_b64 s[20:21], s[16:17]
	s_cbranch_execz .LBB48_249
.LBB48_248:
	v_lshlrev_b32_e32 v28, 3, v0
	v_mov_b32_e32 v33, 0
	ds_read_b64 v[31:32], v28 offset:7808
	ds_read_b64 v[33:34], v33 offset:120
	s_waitcnt lgkmcnt(0)
	v_fma_f64 v[11:12], v[31:32], v[33:34], v[11:12]
.LBB48_249:
	s_or_b64 exec, exec, s[20:21]
	v_xor_b32_e32 v12, 0x80000000, v12
.LBB48_250:
	s_or_b64 exec, exec, s[0:1]
	v_mov_b32_e32 v28, 0x8000
	v_lshl_add_u32 v28, v30, 3, v28
	v_cmp_eq_u32_e64 s[16:17], 0, v27
	s_xor_b64 s[20:21], s[14:15], -1
	s_and_b64 s[14:15], s[16:17], s[20:21]
	s_mov_b64 s[0:1], exec
	v_writelane_b32 v42, s14, 5
	v_writelane_b32 v42, s15, 6
	s_and_b64 s[14:15], s[0:1], s[14:15]
	s_mov_b64 exec, s[14:15]
	s_cbranch_execz .LBB48_252
; %bb.251:
	v_mov_b32_e32 v31, 0
	ds_read_b64 v[31:32], v31 offset:8320
	s_waitcnt lgkmcnt(0)
	v_mul_f64 v[11:12], v[11:12], v[31:32]
	ds_write_b64 v28, v[11:12]
.LBB48_252:
	s_or_b64 exec, exec, s[0:1]
	v_cmp_ne_u32_e64 s[14:15], 0, v27
	s_waitcnt lgkmcnt(0)
	s_barrier
	s_and_b64 s[14:15], s[14:15], s[20:21]
	s_mov_b64 s[0:1], exec
	v_writelane_b32 v42, s14, 7
	v_writelane_b32 v42, s15, 8
	s_and_b64 s[14:15], s[0:1], s[14:15]
	s_mov_b64 exec, s[14:15]
	s_cbranch_execz .LBB48_254
; %bb.253:
	v_lshlrev_b32_e32 v31, 3, v27
	ds_read_b64 v[31:32], v31 offset:8320
	ds_read_b64 v[33:34], v28
	s_waitcnt lgkmcnt(0)
	v_fma_f64 v[11:12], v[31:32], v[33:34], v[11:12]
.LBB48_254:
	s_or_b64 exec, exec, s[0:1]
	v_cmp_eq_u32_e64 s[14:15], 1, v27
	s_barrier
	s_and_b64 s[14:15], s[14:15], s[20:21]
	s_mov_b64 s[0:1], exec
	v_writelane_b32 v42, s14, 9
	v_writelane_b32 v42, s15, 10
	s_and_b64 s[14:15], s[0:1], s[14:15]
	s_mov_b64 exec, s[14:15]
	s_cbranch_execz .LBB48_256
; %bb.255:
	v_mov_b32_e32 v31, 0
	ds_read_b64 v[31:32], v31 offset:8840
	s_waitcnt lgkmcnt(0)
	v_mul_f64 v[11:12], v[11:12], v[31:32]
	ds_write_b64 v28, v[11:12]
.LBB48_256:
	s_or_b64 exec, exec, s[0:1]
	v_cmp_lt_u32_e64 s[14:15], 1, v27
	s_waitcnt lgkmcnt(0)
	s_barrier
	s_and_b64 s[14:15], s[14:15], s[20:21]
	s_mov_b64 s[0:1], exec
	v_writelane_b32 v42, s14, 11
	v_writelane_b32 v42, s15, 12
	s_and_b64 s[14:15], s[0:1], s[14:15]
	s_mov_b64 exec, s[14:15]
	s_cbranch_execz .LBB48_258
; %bb.257:
	v_lshlrev_b32_e32 v31, 3, v27
	ds_read_b64 v[31:32], v31 offset:8832
	ds_read_b64 v[33:34], v28
	s_waitcnt lgkmcnt(0)
	v_fma_f64 v[11:12], v[31:32], v[33:34], v[11:12]
.LBB48_258:
	s_or_b64 exec, exec, s[0:1]
	v_cmp_eq_u32_e64 s[14:15], 2, v27
	s_barrier
	s_and_b64 s[14:15], s[14:15], s[20:21]
	s_mov_b64 s[0:1], exec
	v_writelane_b32 v42, s14, 13
	v_writelane_b32 v42, s15, 14
	s_and_b64 s[14:15], s[0:1], s[14:15]
	s_mov_b64 exec, s[14:15]
	s_cbranch_execz .LBB48_260
; %bb.259:
	v_mov_b32_e32 v31, 0
	ds_read_b64 v[31:32], v31 offset:9360
	s_waitcnt lgkmcnt(0)
	v_mul_f64 v[11:12], v[11:12], v[31:32]
	ds_write_b64 v28, v[11:12]
.LBB48_260:
	s_or_b64 exec, exec, s[0:1]
	v_cmp_lt_u32_e64 s[14:15], 2, v27
	s_waitcnt lgkmcnt(0)
	s_barrier
	s_and_b64 s[14:15], s[14:15], s[20:21]
	s_mov_b64 s[0:1], exec
	v_writelane_b32 v42, s14, 15
	v_writelane_b32 v42, s15, 16
	s_and_b64 s[14:15], s[0:1], s[14:15]
	s_mov_b64 exec, s[14:15]
	s_cbranch_execz .LBB48_262
; %bb.261:
	v_lshlrev_b32_e32 v31, 3, v27
	ds_read_b64 v[31:32], v31 offset:9344
	ds_read_b64 v[33:34], v28
	s_waitcnt lgkmcnt(0)
	v_fma_f64 v[11:12], v[31:32], v[33:34], v[11:12]
.LBB48_262:
	s_or_b64 exec, exec, s[0:1]
	v_cmp_eq_u32_e64 s[14:15], 3, v27
	s_barrier
	s_and_b64 s[14:15], s[14:15], s[20:21]
	s_mov_b64 s[0:1], exec
	v_writelane_b32 v42, s14, 17
	v_writelane_b32 v42, s15, 18
	s_and_b64 s[14:15], s[0:1], s[14:15]
	s_mov_b64 exec, s[14:15]
	s_cbranch_execz .LBB48_264
; %bb.263:
	v_mov_b32_e32 v31, 0
	ds_read_b64 v[31:32], v31 offset:9880
	s_waitcnt lgkmcnt(0)
	v_mul_f64 v[11:12], v[11:12], v[31:32]
	ds_write_b64 v28, v[11:12]
.LBB48_264:
	s_or_b64 exec, exec, s[0:1]
	v_cmp_lt_u32_e64 s[14:15], 3, v27
	s_waitcnt lgkmcnt(0)
	s_barrier
	s_and_b64 s[14:15], s[14:15], s[20:21]
	s_mov_b64 s[0:1], exec
	v_writelane_b32 v42, s14, 19
	v_writelane_b32 v42, s15, 20
	s_and_b64 s[14:15], s[0:1], s[14:15]
	s_mov_b64 exec, s[14:15]
	s_cbranch_execz .LBB48_266
; %bb.265:
	v_lshlrev_b32_e32 v31, 3, v27
	ds_read_b64 v[31:32], v31 offset:9856
	ds_read_b64 v[33:34], v28
	s_waitcnt lgkmcnt(0)
	v_fma_f64 v[11:12], v[31:32], v[33:34], v[11:12]
.LBB48_266:
	s_or_b64 exec, exec, s[0:1]
	v_cmp_eq_u32_e64 s[14:15], 4, v27
	s_barrier
	s_and_b64 s[14:15], s[14:15], s[20:21]
	s_mov_b64 s[0:1], exec
	v_writelane_b32 v42, s14, 21
	v_writelane_b32 v42, s15, 22
	s_and_b64 s[14:15], s[0:1], s[14:15]
	s_mov_b64 exec, s[14:15]
	s_cbranch_execz .LBB48_268
; %bb.267:
	v_mov_b32_e32 v31, 0
	ds_read_b64 v[31:32], v31 offset:10400
	s_waitcnt lgkmcnt(0)
	v_mul_f64 v[11:12], v[11:12], v[31:32]
	ds_write_b64 v28, v[11:12]
.LBB48_268:
	s_or_b64 exec, exec, s[0:1]
	v_cmp_lt_u32_e64 s[14:15], 4, v27
	s_waitcnt lgkmcnt(0)
	s_barrier
	s_and_b64 s[14:15], s[14:15], s[20:21]
	s_mov_b64 s[0:1], exec
	v_writelane_b32 v42, s14, 23
	v_writelane_b32 v42, s15, 24
	s_and_b64 s[14:15], s[0:1], s[14:15]
	s_mov_b64 exec, s[14:15]
	s_cbranch_execz .LBB48_270
; %bb.269:
	v_lshlrev_b32_e32 v31, 3, v27
	ds_read_b64 v[31:32], v31 offset:10368
	ds_read_b64 v[33:34], v28
	s_waitcnt lgkmcnt(0)
	v_fma_f64 v[11:12], v[31:32], v[33:34], v[11:12]
.LBB48_270:
	s_or_b64 exec, exec, s[0:1]
	v_cmp_eq_u32_e64 s[14:15], 5, v27
	s_barrier
	s_and_b64 s[14:15], s[14:15], s[20:21]
	s_mov_b64 s[0:1], exec
	v_writelane_b32 v42, s14, 25
	v_writelane_b32 v42, s15, 26
	s_and_b64 s[14:15], s[0:1], s[14:15]
	s_mov_b64 exec, s[14:15]
	s_cbranch_execz .LBB48_272
; %bb.271:
	v_mov_b32_e32 v31, 0
	ds_read_b64 v[31:32], v31 offset:10920
	s_waitcnt lgkmcnt(0)
	v_mul_f64 v[11:12], v[11:12], v[31:32]
	ds_write_b64 v28, v[11:12]
.LBB48_272:
	s_or_b64 exec, exec, s[0:1]
	v_cmp_lt_u32_e64 s[14:15], 5, v27
	s_waitcnt lgkmcnt(0)
	s_barrier
	s_and_b64 s[14:15], s[14:15], s[20:21]
	s_mov_b64 s[0:1], exec
	v_writelane_b32 v42, s14, 27
	v_writelane_b32 v42, s15, 28
	s_and_b64 s[14:15], s[0:1], s[14:15]
	s_mov_b64 exec, s[14:15]
	s_cbranch_execz .LBB48_274
; %bb.273:
	v_lshlrev_b32_e32 v31, 3, v27
	ds_read_b64 v[31:32], v31 offset:10880
	ds_read_b64 v[33:34], v28
	s_waitcnt lgkmcnt(0)
	v_fma_f64 v[11:12], v[31:32], v[33:34], v[11:12]
.LBB48_274:
	s_or_b64 exec, exec, s[0:1]
	v_cmp_eq_u32_e64 s[14:15], 6, v27
	s_barrier
	s_and_b64 s[14:15], s[14:15], s[20:21]
	s_mov_b64 s[0:1], exec
	v_writelane_b32 v42, s14, 29
	v_writelane_b32 v42, s15, 30
	s_and_b64 s[14:15], s[0:1], s[14:15]
	s_mov_b64 exec, s[14:15]
	s_cbranch_execz .LBB48_276
; %bb.275:
	v_mov_b32_e32 v31, 0
	ds_read_b64 v[31:32], v31 offset:11440
	s_waitcnt lgkmcnt(0)
	v_mul_f64 v[11:12], v[11:12], v[31:32]
	ds_write_b64 v28, v[11:12]
.LBB48_276:
	s_or_b64 exec, exec, s[0:1]
	v_cmp_lt_u32_e64 s[14:15], 6, v27
	s_waitcnt lgkmcnt(0)
	s_barrier
	s_and_b64 s[14:15], s[14:15], s[20:21]
	s_mov_b64 s[0:1], exec
	v_writelane_b32 v42, s14, 31
	v_writelane_b32 v42, s15, 32
	s_and_b64 s[14:15], s[0:1], s[14:15]
	s_mov_b64 exec, s[14:15]
	s_cbranch_execz .LBB48_278
; %bb.277:
	v_lshlrev_b32_e32 v31, 3, v27
	ds_read_b64 v[31:32], v31 offset:11392
	ds_read_b64 v[33:34], v28
	s_waitcnt lgkmcnt(0)
	v_fma_f64 v[11:12], v[31:32], v[33:34], v[11:12]
.LBB48_278:
	s_or_b64 exec, exec, s[0:1]
	v_cmp_eq_u32_e64 s[14:15], 7, v27
	s_barrier
	s_and_b64 s[14:15], s[14:15], s[20:21]
	s_mov_b64 s[0:1], exec
	v_writelane_b32 v42, s14, 33
	v_writelane_b32 v42, s15, 34
	s_and_b64 s[14:15], s[0:1], s[14:15]
	s_mov_b64 exec, s[14:15]
	s_cbranch_execz .LBB48_280
; %bb.279:
	v_mov_b32_e32 v31, 0
	ds_read_b64 v[31:32], v31 offset:11960
	s_waitcnt lgkmcnt(0)
	v_mul_f64 v[11:12], v[11:12], v[31:32]
	ds_write_b64 v28, v[11:12]
.LBB48_280:
	s_or_b64 exec, exec, s[0:1]
	v_cmp_lt_u32_e64 s[14:15], 7, v27
	s_waitcnt lgkmcnt(0)
	s_barrier
	s_and_b64 s[14:15], s[14:15], s[20:21]
	s_mov_b64 s[0:1], exec
	v_writelane_b32 v42, s14, 35
	v_writelane_b32 v42, s15, 36
	s_and_b64 s[14:15], s[0:1], s[14:15]
	s_mov_b64 exec, s[14:15]
	s_cbranch_execz .LBB48_282
; %bb.281:
	v_lshlrev_b32_e32 v31, 3, v27
	ds_read_b64 v[31:32], v31 offset:11904
	ds_read_b64 v[33:34], v28
	s_waitcnt lgkmcnt(0)
	v_fma_f64 v[11:12], v[31:32], v[33:34], v[11:12]
.LBB48_282:
	s_or_b64 exec, exec, s[0:1]
	v_cmp_eq_u32_e64 s[14:15], 8, v27
	s_barrier
	s_and_b64 s[14:15], s[14:15], s[20:21]
	s_mov_b64 s[0:1], exec
	v_writelane_b32 v42, s14, 37
	v_writelane_b32 v42, s15, 38
	s_and_b64 s[14:15], s[0:1], s[14:15]
	s_mov_b64 exec, s[14:15]
	s_cbranch_execz .LBB48_284
; %bb.283:
	v_mov_b32_e32 v31, 0
	ds_read_b64 v[31:32], v31 offset:12480
	s_waitcnt lgkmcnt(0)
	v_mul_f64 v[11:12], v[11:12], v[31:32]
	ds_write_b64 v28, v[11:12]
.LBB48_284:
	s_or_b64 exec, exec, s[0:1]
	v_cmp_lt_u32_e64 s[14:15], 8, v27
	s_waitcnt lgkmcnt(0)
	s_barrier
	s_and_b64 s[14:15], s[14:15], s[20:21]
	s_mov_b64 s[0:1], exec
	v_writelane_b32 v42, s14, 39
	v_writelane_b32 v42, s15, 40
	s_and_b64 s[14:15], s[0:1], s[14:15]
	s_mov_b64 exec, s[14:15]
	s_cbranch_execz .LBB48_286
; %bb.285:
	v_lshlrev_b32_e32 v31, 3, v27
	ds_read_b64 v[31:32], v31 offset:12416
	ds_read_b64 v[33:34], v28
	s_waitcnt lgkmcnt(0)
	v_fma_f64 v[11:12], v[31:32], v[33:34], v[11:12]
.LBB48_286:
	s_or_b64 exec, exec, s[0:1]
	v_cmp_eq_u32_e64 s[14:15], 9, v27
	s_barrier
	s_and_b64 s[14:15], s[14:15], s[20:21]
	s_mov_b64 s[0:1], exec
	v_writelane_b32 v42, s14, 41
	v_writelane_b32 v42, s15, 42
	s_and_b64 s[14:15], s[0:1], s[14:15]
	s_mov_b64 exec, s[14:15]
	s_cbranch_execz .LBB48_288
; %bb.287:
	v_mov_b32_e32 v31, 0
	ds_read_b64 v[31:32], v31 offset:13000
	s_waitcnt lgkmcnt(0)
	v_mul_f64 v[11:12], v[11:12], v[31:32]
	ds_write_b64 v28, v[11:12]
.LBB48_288:
	s_or_b64 exec, exec, s[0:1]
	v_cmp_lt_u32_e64 s[14:15], 9, v27
	s_waitcnt lgkmcnt(0)
	s_barrier
	s_and_b64 s[14:15], s[14:15], s[20:21]
	s_mov_b64 s[0:1], exec
	v_writelane_b32 v42, s14, 43
	v_writelane_b32 v42, s15, 44
	s_and_b64 s[14:15], s[0:1], s[14:15]
	s_mov_b64 exec, s[14:15]
	s_cbranch_execz .LBB48_290
; %bb.289:
	v_lshlrev_b32_e32 v31, 3, v27
	ds_read_b64 v[31:32], v31 offset:12928
	ds_read_b64 v[33:34], v28
	s_waitcnt lgkmcnt(0)
	v_fma_f64 v[11:12], v[31:32], v[33:34], v[11:12]
.LBB48_290:
	s_or_b64 exec, exec, s[0:1]
	v_cmp_eq_u32_e64 s[14:15], 10, v27
	s_barrier
	s_and_b64 s[14:15], s[14:15], s[20:21]
	s_mov_b64 s[0:1], exec
	v_writelane_b32 v42, s14, 45
	v_writelane_b32 v42, s15, 46
	s_and_b64 s[14:15], s[0:1], s[14:15]
	s_mov_b64 exec, s[14:15]
	s_cbranch_execz .LBB48_292
; %bb.291:
	v_mov_b32_e32 v31, 0
	ds_read_b64 v[31:32], v31 offset:13520
	s_waitcnt lgkmcnt(0)
	v_mul_f64 v[11:12], v[11:12], v[31:32]
	ds_write_b64 v28, v[11:12]
.LBB48_292:
	s_or_b64 exec, exec, s[0:1]
	v_cmp_lt_u32_e64 s[14:15], 10, v27
	s_waitcnt lgkmcnt(0)
	s_barrier
	s_and_b64 s[14:15], s[14:15], s[20:21]
	s_mov_b64 s[0:1], exec
	v_writelane_b32 v42, s14, 47
	v_writelane_b32 v42, s15, 48
	s_and_b64 s[14:15], s[0:1], s[14:15]
	s_mov_b64 exec, s[14:15]
	s_cbranch_execz .LBB48_294
; %bb.293:
	v_lshlrev_b32_e32 v31, 3, v27
	ds_read_b64 v[31:32], v31 offset:13440
	ds_read_b64 v[33:34], v28
	s_waitcnt lgkmcnt(0)
	v_fma_f64 v[11:12], v[31:32], v[33:34], v[11:12]
.LBB48_294:
	s_or_b64 exec, exec, s[0:1]
	v_cmp_eq_u32_e64 s[14:15], 11, v27
	s_barrier
	s_and_b64 s[14:15], s[14:15], s[20:21]
	s_mov_b64 s[0:1], exec
	v_writelane_b32 v42, s14, 49
	v_writelane_b32 v42, s15, 50
	s_and_b64 s[14:15], s[0:1], s[14:15]
	s_mov_b64 exec, s[14:15]
	s_cbranch_execz .LBB48_296
; %bb.295:
	v_mov_b32_e32 v31, 0
	ds_read_b64 v[31:32], v31 offset:14040
	s_waitcnt lgkmcnt(0)
	v_mul_f64 v[11:12], v[11:12], v[31:32]
	ds_write_b64 v28, v[11:12]
.LBB48_296:
	s_or_b64 exec, exec, s[0:1]
	v_cmp_lt_u32_e64 s[14:15], 11, v27
	s_waitcnt lgkmcnt(0)
	s_barrier
	s_and_b64 s[14:15], s[14:15], s[20:21]
	s_mov_b64 s[0:1], exec
	v_writelane_b32 v42, s14, 51
	v_writelane_b32 v42, s15, 52
	s_and_b64 s[14:15], s[0:1], s[14:15]
	s_mov_b64 exec, s[14:15]
	s_cbranch_execz .LBB48_298
; %bb.297:
	v_lshlrev_b32_e32 v31, 3, v27
	ds_read_b64 v[31:32], v31 offset:13952
	ds_read_b64 v[33:34], v28
	s_waitcnt lgkmcnt(0)
	v_fma_f64 v[11:12], v[31:32], v[33:34], v[11:12]
.LBB48_298:
	s_or_b64 exec, exec, s[0:1]
	v_cmp_eq_u32_e64 s[14:15], 12, v27
	s_barrier
	s_and_b64 s[14:15], s[14:15], s[20:21]
	s_mov_b64 s[0:1], exec
	v_writelane_b32 v42, s14, 53
	v_writelane_b32 v42, s15, 54
	s_and_b64 s[14:15], s[0:1], s[14:15]
	s_mov_b64 exec, s[14:15]
	s_cbranch_execz .LBB48_300
; %bb.299:
	v_mov_b32_e32 v31, 0
	ds_read_b64 v[31:32], v31 offset:14560
	s_waitcnt lgkmcnt(0)
	v_mul_f64 v[11:12], v[11:12], v[31:32]
	ds_write_b64 v28, v[11:12]
.LBB48_300:
	s_or_b64 exec, exec, s[0:1]
	v_cmp_lt_u32_e64 s[14:15], 12, v27
	s_waitcnt lgkmcnt(0)
	s_barrier
	s_and_b64 s[14:15], s[14:15], s[20:21]
	s_mov_b64 s[0:1], exec
	v_writelane_b32 v42, s14, 55
	v_writelane_b32 v42, s15, 56
	s_and_b64 s[14:15], s[0:1], s[14:15]
	s_mov_b64 exec, s[14:15]
	s_cbranch_execz .LBB48_302
; %bb.301:
	v_lshlrev_b32_e32 v31, 3, v27
	ds_read_b64 v[31:32], v31 offset:14464
	ds_read_b64 v[33:34], v28
	s_waitcnt lgkmcnt(0)
	v_fma_f64 v[11:12], v[31:32], v[33:34], v[11:12]
.LBB48_302:
	s_or_b64 exec, exec, s[0:1]
	v_cmp_eq_u32_e64 s[14:15], 13, v27
	s_barrier
	s_and_b64 s[14:15], s[14:15], s[20:21]
	s_mov_b64 s[0:1], exec
	v_writelane_b32 v42, s14, 57
	v_writelane_b32 v42, s15, 58
	s_and_b64 s[14:15], s[0:1], s[14:15]
	s_mov_b64 exec, s[14:15]
	s_cbranch_execz .LBB48_304
; %bb.303:
	v_mov_b32_e32 v31, 0
	ds_read_b64 v[31:32], v31 offset:15080
	s_waitcnt lgkmcnt(0)
	v_mul_f64 v[11:12], v[11:12], v[31:32]
	ds_write_b64 v28, v[11:12]
.LBB48_304:
	s_or_b64 exec, exec, s[0:1]
	v_cmp_lt_u32_e64 s[14:15], 13, v27
	s_waitcnt lgkmcnt(0)
	s_barrier
	s_and_b64 s[14:15], s[14:15], s[20:21]
	s_mov_b64 s[0:1], exec
	v_writelane_b32 v42, s14, 59
	v_writelane_b32 v42, s15, 60
	s_and_b64 s[14:15], s[0:1], s[14:15]
	s_mov_b64 exec, s[14:15]
	s_cbranch_execz .LBB48_306
; %bb.305:
	v_lshlrev_b32_e32 v31, 3, v27
	ds_read_b64 v[31:32], v31 offset:14976
	ds_read_b64 v[33:34], v28
	s_waitcnt lgkmcnt(0)
	v_fma_f64 v[11:12], v[31:32], v[33:34], v[11:12]
.LBB48_306:
	s_or_b64 exec, exec, s[0:1]
	v_cmp_eq_u32_e64 s[14:15], 14, v27
	s_barrier
	s_and_b64 s[14:15], s[14:15], s[20:21]
	s_mov_b64 s[0:1], exec
	v_writelane_b32 v42, s14, 61
	v_writelane_b32 v42, s15, 62
	s_and_b64 s[14:15], s[0:1], s[14:15]
	s_mov_b64 exec, s[14:15]
	s_cbranch_execz .LBB48_308
; %bb.307:
	v_mov_b32_e32 v31, 0
	ds_read_b64 v[31:32], v31 offset:15600
	s_waitcnt lgkmcnt(0)
	v_mul_f64 v[11:12], v[11:12], v[31:32]
	ds_write_b64 v28, v[11:12]
.LBB48_308:
	s_or_b64 exec, exec, s[0:1]
	v_cmp_eq_u32_e64 s[14:15], 15, v27
	s_and_b64 s[92:93], s[14:15], s[20:21]
	s_waitcnt lgkmcnt(0)
	s_barrier
	s_and_saveexec_b64 s[0:1], s[92:93]
	s_cbranch_execz .LBB48_310
; %bb.309:
	v_mov_b32_e32 v31, 0
	ds_read_b64 v[31:32], v31 offset:15608
	ds_read_b64 v[33:34], v28
	s_waitcnt lgkmcnt(0)
	v_fma_f64 v[11:12], v[31:32], v[33:34], v[11:12]
.LBB48_310:
	s_or_b64 exec, exec, s[0:1]
	s_barrier
	s_and_saveexec_b64 s[0:1], s[92:93]
	s_cbranch_execz .LBB48_312
; %bb.311:
	v_mov_b32_e32 v31, 0
	ds_read_b64 v[31:32], v31 offset:16120
	s_waitcnt lgkmcnt(0)
	v_mul_f64 v[11:12], v[11:12], v[31:32]
	ds_write_b64 v28, v[11:12]
.LBB48_312:
	s_or_b64 exec, exec, s[0:1]
	s_waitcnt lgkmcnt(0)
	s_barrier
	s_barrier
	s_and_saveexec_b64 s[0:1], s[10:11]
; %bb.313:
	v_xor_b32_e32 v12, 0x80000000, v12
	ds_write_b64 v26, v[11:12] offset:128
; %bb.314:
	s_or_b64 exec, exec, s[0:1]
	v_cmp_gt_u32_e64 s[14:15], 16, v0
	s_waitcnt lgkmcnt(0)
	s_barrier
	s_barrier
	s_and_b64 s[0:1], s[12:13], s[14:15]
	s_mov_b64 s[14:15], exec
                                        ; implicit-def: $vgpr41 : SGPR spill to VGPR lane
	v_writelane_b32 v42, s0, 63
	v_writelane_b32 v41, s1, 0
	s_and_b64 s[0:1], s[14:15], s[0:1]
	s_mov_b64 exec, s[0:1]
	s_cbranch_execz .LBB48_316
; %bb.315:
	v_lshlrev_b32_e32 v31, 9, v0
	ds_read_b64 v[11:12], v31 offset:128
	s_movk_i32 s0, 0xfe08
	v_mad_i32_i24 v32, v0, s0, v31
	s_waitcnt lgkmcnt(0)
	ds_write_b64 v32, v[11:12] offset:8192
	ds_read_b64 v[11:12], v31 offset:136
	s_waitcnt lgkmcnt(0)
	ds_write_b64 v32, v[11:12] offset:8704
	ds_read_b64 v[11:12], v31 offset:144
	;; [unrolled: 3-line block ×15, first 2 shown]
	s_waitcnt lgkmcnt(0)
	ds_write_b64 v32, v[11:12] offset:15872
.LBB48_316:
	s_or_b64 exec, exec, s[14:15]
	s_waitcnt lgkmcnt(0)
	s_barrier
	s_and_saveexec_b64 s[14:15], vcc
	s_cbranch_execz .LBB48_318
; %bb.317:
	v_mov_b32_e32 v11, 0
	ds_read_b128 v[31:34], v11 offset:8320
	ds_read_b64 v[11:12], v11 offset:8840
	s_movk_i32 s0, 0x2000
	s_waitcnt lgkmcnt(0)
	v_mul_f64 v[11:12], v[31:32], v[11:12]
	v_add_u32_e64 v31, s0, 0
	v_mul_f64 v[11:12], v[33:34], v[11:12]
	ds_write2_b64 v31, v[11:12], v[11:12] offset0:17 offset1:80
.LBB48_318:
	s_or_b64 exec, exec, s[14:15]
	v_mov_b32_e32 v11, 0
	v_mov_b32_e32 v12, 0
	s_waitcnt lgkmcnt(0)
	s_barrier
	s_and_saveexec_b64 s[16:17], s[2:3]
	s_cbranch_execz .LBB48_322
; %bb.319:
	v_mul_u32_u24_e32 v31, 0x208, v15
	ds_read_b64 v[11:12], v1 offset:8336
	ds_read_b64 v[31:32], v31 offset:8320
	v_cmp_gt_u32_e64 s[14:15], 2, v14
	s_waitcnt lgkmcnt(0)
	v_fma_f64 v[11:12], v[11:12], v[31:32], 0
	s_and_saveexec_b64 s[20:21], s[14:15]
	s_cbranch_execz .LBB48_321
; %bb.320:
	v_lshlrev_b32_e32 v31, 3, v0
	v_mov_b32_e32 v33, 0
	ds_read_b64 v[31:32], v31 offset:8848
	ds_read_b64 v[33:34], v33 offset:8328
	s_waitcnt lgkmcnt(0)
	v_fma_f64 v[11:12], v[31:32], v[33:34], v[11:12]
.LBB48_321:
	s_or_b64 exec, exec, s[20:21]
	v_xor_b32_e32 v12, 0x80000000, v12
.LBB48_322:
	s_or_b64 exec, exec, s[16:17]
	s_and_saveexec_b64 s[0:1], s[30:31]
	s_cbranch_execz .LBB48_324
; %bb.323:
	v_mov_b32_e32 v31, 0
	ds_read_b64 v[31:32], v31 offset:9360
	s_waitcnt lgkmcnt(0)
	v_mul_f64 v[11:12], v[11:12], v[31:32]
	ds_write_b64 v13, v[11:12]
.LBB48_324:
	s_or_b64 exec, exec, s[0:1]
	s_waitcnt lgkmcnt(0)
	s_barrier
	s_and_saveexec_b64 s[0:1], s[28:29]
	s_cbranch_execz .LBB48_326
; %bb.325:
	v_mov_b32_e32 v31, 0
	ds_read_b64 v[31:32], v31 offset:9368
	ds_read_b64 v[33:34], v13
	s_waitcnt lgkmcnt(0)
	v_fma_f64 v[11:12], v[31:32], v[33:34], v[11:12]
.LBB48_326:
	s_or_b64 exec, exec, s[0:1]
	s_barrier
	s_and_saveexec_b64 s[0:1], s[28:29]
	s_cbranch_execz .LBB48_328
; %bb.327:
	v_mov_b32_e32 v31, 0
	ds_read_b64 v[31:32], v31 offset:9880
	s_waitcnt lgkmcnt(0)
	v_mul_f64 v[11:12], v[11:12], v[31:32]
	ds_write_b64 v13, v[11:12]
.LBB48_328:
	s_or_b64 exec, exec, s[0:1]
	s_waitcnt lgkmcnt(0)
	s_barrier
	s_barrier
	s_and_saveexec_b64 s[0:1], s[2:3]
; %bb.329:
	v_xor_b32_e32 v12, 0x80000000, v12
	ds_write_b64 v1, v[11:12] offset:8336
; %bb.330:
	s_or_b64 exec, exec, s[0:1]
	s_waitcnt lgkmcnt(0)
	s_barrier
	s_barrier
	s_and_saveexec_b64 s[14:15], s[34:35]
	s_cbranch_execz .LBB48_332
; %bb.331:
	v_lshlrev_b32_e32 v31, 3, v0
	s_movk_i32 s0, 0x1f8
	v_mad_u32_u24 v32, v0, s0, v31
	ds_read_b64 v[11:12], v32 offset:8336
	s_waitcnt lgkmcnt(0)
	ds_write_b64 v31, v[11:12] offset:9344
	ds_read_b64 v[11:12], v32 offset:8344
	s_waitcnt lgkmcnt(0)
	ds_write_b64 v31, v[11:12] offset:9856
.LBB48_332:
	s_or_b64 exec, exec, s[14:15]
	s_waitcnt lgkmcnt(0)
	s_barrier
	s_and_saveexec_b64 s[14:15], vcc
	s_cbranch_execz .LBB48_334
; %bb.333:
	v_mov_b32_e32 v11, 0
	ds_read_b128 v[31:34], v11 offset:9360
	ds_read_b64 v[11:12], v11 offset:9880
	s_movk_i32 s0, 0x2000
	s_waitcnt lgkmcnt(0)
	v_mul_f64 v[11:12], v[31:32], v[11:12]
	v_add_u32_e64 v31, s0, 0
	v_mul_f64 v[11:12], v[33:34], v[11:12]
	ds_write2_b64 v31, v[11:12], v[11:12] offset0:147 offset1:210
.LBB48_334:
	s_or_b64 exec, exec, s[14:15]
	v_mov_b32_e32 v11, 0
	v_mov_b32_e32 v12, 0
	s_waitcnt lgkmcnt(0)
	s_barrier
	s_and_saveexec_b64 s[16:17], s[18:19]
	s_cbranch_execz .LBB48_340
; %bb.335:
	v_mul_u32_u24_e32 v31, 0x208, v20
	ds_read_b64 v[11:12], v16 offset:8352
	ds_read_b64 v[32:33], v31 offset:8320
	v_cmp_gt_u32_e64 s[14:15], 12, v14
	s_waitcnt lgkmcnt(0)
	v_fma_f64 v[11:12], v[11:12], v[32:33], 0
	s_and_saveexec_b64 s[20:21], s[14:15]
	s_cbranch_execnz .LBB48_1111
; %bb.336:
	s_or_b64 exec, exec, s[20:21]
	v_cmp_gt_u32_e64 s[14:15], 8, v14
	s_and_saveexec_b64 s[0:1], s[14:15]
	s_cbranch_execnz .LBB48_1112
.LBB48_337:
	s_or_b64 exec, exec, s[0:1]
	v_cmp_gt_u32_e64 s[14:15], 4, v14
	s_and_saveexec_b64 s[20:21], s[14:15]
	s_cbranch_execz .LBB48_339
.LBB48_338:
	v_lshlrev_b32_e32 v31, 3, v0
	v_mov_b32_e32 v33, 0
	ds_read_b64 v[31:32], v31 offset:9888
	ds_read_b64 v[33:34], v33 offset:8344
	s_waitcnt lgkmcnt(0)
	v_fma_f64 v[11:12], v[31:32], v[33:34], v[11:12]
.LBB48_339:
	s_or_b64 exec, exec, s[20:21]
	v_xor_b32_e32 v12, 0x80000000, v12
.LBB48_340:
	s_or_b64 exec, exec, s[16:17]
	s_and_saveexec_b64 s[0:1], s[38:39]
	s_cbranch_execz .LBB48_342
; %bb.341:
	v_mov_b32_e32 v31, 0
	ds_read_b64 v[31:32], v31 offset:10400
	s_waitcnt lgkmcnt(0)
	v_mul_f64 v[11:12], v[11:12], v[31:32]
	ds_write_b64 v18, v[11:12]
.LBB48_342:
	s_or_b64 exec, exec, s[0:1]
	s_waitcnt lgkmcnt(0)
	s_barrier
	s_and_saveexec_b64 s[0:1], s[42:43]
	s_cbranch_execz .LBB48_344
; %bb.343:
	ds_read_b64 v[31:32], v17 offset:10400
	ds_read_b64 v[33:34], v18
	s_waitcnt lgkmcnt(0)
	v_fma_f64 v[11:12], v[31:32], v[33:34], v[11:12]
.LBB48_344:
	s_or_b64 exec, exec, s[0:1]
	s_barrier
	s_and_saveexec_b64 s[0:1], s[52:53]
	s_cbranch_execz .LBB48_346
; %bb.345:
	v_mov_b32_e32 v31, 0
	ds_read_b64 v[31:32], v31 offset:10920
	s_waitcnt lgkmcnt(0)
	v_mul_f64 v[11:12], v[11:12], v[31:32]
	ds_write_b64 v18, v[11:12]
.LBB48_346:
	s_or_b64 exec, exec, s[0:1]
	s_waitcnt lgkmcnt(0)
	s_barrier
	s_and_saveexec_b64 s[0:1], s[54:55]
	s_cbranch_execz .LBB48_348
; %bb.347:
	ds_read_b64 v[31:32], v17 offset:10912
	ds_read_b64 v[33:34], v18
	s_waitcnt lgkmcnt(0)
	v_fma_f64 v[11:12], v[31:32], v[33:34], v[11:12]
.LBB48_348:
	s_or_b64 exec, exec, s[0:1]
	s_barrier
	s_and_saveexec_b64 s[0:1], s[56:57]
	s_cbranch_execz .LBB48_350
; %bb.349:
	v_mov_b32_e32 v31, 0
	ds_read_b64 v[31:32], v31 offset:11440
	s_waitcnt lgkmcnt(0)
	v_mul_f64 v[11:12], v[11:12], v[31:32]
	ds_write_b64 v18, v[11:12]
.LBB48_350:
	s_or_b64 exec, exec, s[0:1]
	s_waitcnt lgkmcnt(0)
	s_barrier
	s_and_saveexec_b64 s[0:1], s[36:37]
	s_cbranch_execz .LBB48_352
; %bb.351:
	v_mov_b32_e32 v31, 0
	ds_read_b64 v[31:32], v31 offset:11448
	ds_read_b64 v[33:34], v18
	s_waitcnt lgkmcnt(0)
	v_fma_f64 v[11:12], v[31:32], v[33:34], v[11:12]
.LBB48_352:
	s_or_b64 exec, exec, s[0:1]
	s_barrier
	s_and_saveexec_b64 s[0:1], s[36:37]
	s_cbranch_execz .LBB48_354
; %bb.353:
	v_mov_b32_e32 v31, 0
	ds_read_b64 v[31:32], v31 offset:11960
	s_waitcnt lgkmcnt(0)
	v_mul_f64 v[11:12], v[11:12], v[31:32]
	ds_write_b64 v18, v[11:12]
.LBB48_354:
	s_or_b64 exec, exec, s[0:1]
	s_waitcnt lgkmcnt(0)
	s_barrier
	s_barrier
	s_and_saveexec_b64 s[0:1], s[18:19]
; %bb.355:
	v_xor_b32_e32 v12, 0x80000000, v12
	ds_write_b64 v16, v[11:12] offset:8352
; %bb.356:
	s_or_b64 exec, exec, s[0:1]
	s_waitcnt lgkmcnt(0)
	s_barrier
	s_barrier
	s_and_saveexec_b64 s[14:15], s[58:59]
	s_cbranch_execz .LBB48_358
; %bb.357:
	v_lshlrev_b32_e32 v31, 9, v0
	ds_read_b64 v[11:12], v31 offset:8352
	s_movk_i32 s0, 0xfe08
	v_mad_i32_i24 v32, v0, s0, v31
	s_waitcnt lgkmcnt(0)
	ds_write_b64 v32, v[11:12] offset:10368
	ds_read_b64 v[11:12], v31 offset:8360
	s_waitcnt lgkmcnt(0)
	ds_write_b64 v32, v[11:12] offset:10880
	ds_read_b64 v[11:12], v31 offset:8368
	;; [unrolled: 3-line block ×3, first 2 shown]
	s_waitcnt lgkmcnt(0)
	ds_write_b64 v32, v[11:12] offset:11904
.LBB48_358:
	s_or_b64 exec, exec, s[14:15]
	s_waitcnt lgkmcnt(0)
	s_barrier
	s_and_saveexec_b64 s[14:15], vcc
	s_cbranch_execz .LBB48_360
; %bb.359:
	v_mov_b32_e32 v11, 0
	ds_read_b128 v[31:34], v11 offset:10400
	ds_read_b64 v[11:12], v11 offset:10920
	s_movk_i32 s0, 0x2800
	s_waitcnt lgkmcnt(0)
	v_mul_f64 v[11:12], v[31:32], v[11:12]
	v_add_u32_e64 v31, s0, 0
	v_mul_f64 v[11:12], v[33:34], v[11:12]
	ds_write2_b64 v31, v[11:12], v[11:12] offset0:21 offset1:84
.LBB48_360:
	s_or_b64 exec, exec, s[14:15]
	v_mov_b32_e32 v11, 0
	v_mov_b32_e32 v12, 0
	s_waitcnt lgkmcnt(0)
	s_barrier
	s_and_saveexec_b64 s[16:17], s[2:3]
	s_cbranch_execz .LBB48_364
; %bb.361:
	v_mul_u32_u24_e32 v31, 0x208, v15
	ds_read_b64 v[11:12], v1 offset:10416
	ds_read_b64 v[31:32], v31 offset:10400
	v_cmp_gt_u32_e64 s[14:15], 2, v14
	s_waitcnt lgkmcnt(0)
	v_fma_f64 v[11:12], v[11:12], v[31:32], 0
	s_and_saveexec_b64 s[20:21], s[14:15]
	s_cbranch_execz .LBB48_363
; %bb.362:
	v_lshlrev_b32_e32 v31, 3, v0
	v_mov_b32_e32 v33, 0
	ds_read_b64 v[31:32], v31 offset:10928
	ds_read_b64 v[33:34], v33 offset:10408
	s_waitcnt lgkmcnt(0)
	v_fma_f64 v[11:12], v[31:32], v[33:34], v[11:12]
.LBB48_363:
	s_or_b64 exec, exec, s[20:21]
	v_xor_b32_e32 v12, 0x80000000, v12
.LBB48_364:
	s_or_b64 exec, exec, s[16:17]
	s_and_saveexec_b64 s[0:1], s[30:31]
	s_cbranch_execz .LBB48_366
; %bb.365:
	v_mov_b32_e32 v31, 0
	ds_read_b64 v[31:32], v31 offset:11440
	s_waitcnt lgkmcnt(0)
	v_mul_f64 v[11:12], v[11:12], v[31:32]
	ds_write_b64 v13, v[11:12]
.LBB48_366:
	s_or_b64 exec, exec, s[0:1]
	s_waitcnt lgkmcnt(0)
	s_barrier
	s_and_saveexec_b64 s[0:1], s[28:29]
	s_cbranch_execz .LBB48_368
; %bb.367:
	v_mov_b32_e32 v31, 0
	ds_read_b64 v[31:32], v31 offset:11448
	ds_read_b64 v[33:34], v13
	s_waitcnt lgkmcnt(0)
	v_fma_f64 v[11:12], v[31:32], v[33:34], v[11:12]
.LBB48_368:
	s_or_b64 exec, exec, s[0:1]
	s_barrier
	s_and_saveexec_b64 s[0:1], s[28:29]
	s_cbranch_execz .LBB48_370
; %bb.369:
	v_mov_b32_e32 v31, 0
	ds_read_b64 v[31:32], v31 offset:11960
	s_waitcnt lgkmcnt(0)
	v_mul_f64 v[11:12], v[11:12], v[31:32]
	ds_write_b64 v13, v[11:12]
.LBB48_370:
	s_or_b64 exec, exec, s[0:1]
	s_waitcnt lgkmcnt(0)
	s_barrier
	s_barrier
	s_and_saveexec_b64 s[0:1], s[2:3]
; %bb.371:
	v_xor_b32_e32 v12, 0x80000000, v12
	ds_write_b64 v1, v[11:12] offset:10416
; %bb.372:
	s_or_b64 exec, exec, s[0:1]
	s_waitcnt lgkmcnt(0)
	s_barrier
	s_barrier
	s_and_saveexec_b64 s[14:15], s[34:35]
	s_cbranch_execz .LBB48_374
; %bb.373:
	v_lshlrev_b32_e32 v31, 3, v0
	s_movk_i32 s0, 0x1f8
	v_mad_u32_u24 v32, v0, s0, v31
	ds_read_b64 v[11:12], v32 offset:10416
	s_waitcnt lgkmcnt(0)
	ds_write_b64 v31, v[11:12] offset:11424
	ds_read_b64 v[11:12], v32 offset:10424
	s_waitcnt lgkmcnt(0)
	ds_write_b64 v31, v[11:12] offset:11936
.LBB48_374:
	s_or_b64 exec, exec, s[14:15]
	s_waitcnt lgkmcnt(0)
	s_barrier
	s_and_saveexec_b64 s[14:15], vcc
	s_cbranch_execz .LBB48_376
; %bb.375:
	v_mov_b32_e32 v11, 0
	ds_read_b128 v[31:34], v11 offset:11440
	ds_read_b64 v[11:12], v11 offset:11960
	s_movk_i32 s0, 0x2800
	s_waitcnt lgkmcnt(0)
	v_mul_f64 v[11:12], v[31:32], v[11:12]
	v_add_u32_e64 v31, s0, 0
	v_mul_f64 v[11:12], v[33:34], v[11:12]
	ds_write2_b64 v31, v[11:12], v[11:12] offset0:151 offset1:214
.LBB48_376:
	s_or_b64 exec, exec, s[14:15]
	v_mov_b32_e32 v11, 0
	v_mov_b32_e32 v12, 0
	s_waitcnt lgkmcnt(0)
	s_barrier
	s_and_saveexec_b64 s[16:17], s[8:9]
	s_cbranch_execz .LBB48_386
; %bb.377:
	v_mul_u32_u24_e32 v31, 0x208, v25
	ds_read_b64 v[11:12], v21 offset:8384
	ds_read_b64 v[32:33], v31 offset:8320
	v_cmp_gt_u32_e64 s[14:15], 56, v14
	s_waitcnt lgkmcnt(0)
	v_fma_f64 v[11:12], v[11:12], v[32:33], 0
	s_and_saveexec_b64 s[20:21], s[14:15]
	s_cbranch_execnz .LBB48_1113
; %bb.378:
	s_or_b64 exec, exec, s[20:21]
	v_cmp_gt_u32_e64 s[14:15], 48, v14
	s_and_saveexec_b64 s[20:21], s[14:15]
	s_cbranch_execnz .LBB48_1114
.LBB48_379:
	s_or_b64 exec, exec, s[20:21]
	v_cmp_gt_u32_e64 s[14:15], 40, v14
	s_and_saveexec_b64 s[20:21], s[14:15]
	s_cbranch_execnz .LBB48_1115
.LBB48_380:
	s_or_b64 exec, exec, s[20:21]
	v_cmp_gt_u32_e64 s[14:15], 32, v14
	s_and_saveexec_b64 s[0:1], s[14:15]
	s_cbranch_execnz .LBB48_1116
.LBB48_381:
	s_or_b64 exec, exec, s[0:1]
	v_cmp_gt_u32_e64 s[14:15], 24, v14
	s_and_saveexec_b64 s[20:21], s[14:15]
	s_cbranch_execnz .LBB48_1117
.LBB48_382:
	s_or_b64 exec, exec, s[20:21]
	v_cmp_gt_u32_e64 s[14:15], 16, v14
	s_and_saveexec_b64 s[0:1], s[14:15]
	s_cbranch_execnz .LBB48_1118
.LBB48_383:
	s_or_b64 exec, exec, s[0:1]
	v_cmp_gt_u32_e64 s[14:15], 8, v14
	s_and_saveexec_b64 s[20:21], s[14:15]
	s_cbranch_execz .LBB48_385
.LBB48_384:
	v_lshlrev_b32_e32 v31, 3, v0
	v_mov_b32_e32 v33, 0
	ds_read_b64 v[31:32], v31 offset:11968
	ds_read_b64 v[33:34], v33 offset:8376
	s_waitcnt lgkmcnt(0)
	v_fma_f64 v[11:12], v[31:32], v[33:34], v[11:12]
.LBB48_385:
	s_or_b64 exec, exec, s[20:21]
	v_xor_b32_e32 v12, 0x80000000, v12
.LBB48_386:
	s_or_b64 exec, exec, s[16:17]
	s_mov_b64 s[0:1], exec
	v_readlane_b32 s14, v42, 3
	v_readlane_b32 s15, v42, 4
	s_and_b64 s[14:15], s[0:1], s[14:15]
	s_mov_b64 exec, s[14:15]
	s_cbranch_execz .LBB48_388
; %bb.387:
	v_mov_b32_e32 v31, 0
	ds_read_b64 v[31:32], v31 offset:12480
	s_waitcnt lgkmcnt(0)
	v_mul_f64 v[11:12], v[11:12], v[31:32]
	ds_write_b64 v23, v[11:12]
.LBB48_388:
	s_or_b64 exec, exec, s[0:1]
	s_waitcnt lgkmcnt(0)
	s_barrier
	s_and_saveexec_b64 s[0:1], s[62:63]
	s_cbranch_execz .LBB48_390
; %bb.389:
	ds_read_b64 v[31:32], v22 offset:12480
	ds_read_b64 v[33:34], v23
	s_waitcnt lgkmcnt(0)
	v_fma_f64 v[11:12], v[31:32], v[33:34], v[11:12]
.LBB48_390:
	s_or_b64 exec, exec, s[0:1]
	s_barrier
	s_and_saveexec_b64 s[0:1], s[64:65]
	s_cbranch_execz .LBB48_392
; %bb.391:
	v_mov_b32_e32 v31, 0
	ds_read_b64 v[31:32], v31 offset:13000
	s_waitcnt lgkmcnt(0)
	v_mul_f64 v[11:12], v[11:12], v[31:32]
	ds_write_b64 v23, v[11:12]
.LBB48_392:
	s_or_b64 exec, exec, s[0:1]
	s_waitcnt lgkmcnt(0)
	s_barrier
	s_and_saveexec_b64 s[0:1], s[66:67]
	s_cbranch_execz .LBB48_394
; %bb.393:
	ds_read_b64 v[31:32], v22 offset:12992
	ds_read_b64 v[33:34], v23
	s_waitcnt lgkmcnt(0)
	v_fma_f64 v[11:12], v[31:32], v[33:34], v[11:12]
.LBB48_394:
	s_or_b64 exec, exec, s[0:1]
	s_barrier
	s_and_saveexec_b64 s[0:1], s[68:69]
	;; [unrolled: 22-line block ×6, first 2 shown]
	s_cbranch_execz .LBB48_412
; %bb.411:
	v_mov_b32_e32 v31, 0
	ds_read_b64 v[31:32], v31 offset:15600
	s_waitcnt lgkmcnt(0)
	v_mul_f64 v[11:12], v[11:12], v[31:32]
	ds_write_b64 v23, v[11:12]
.LBB48_412:
	s_or_b64 exec, exec, s[0:1]
	s_waitcnt lgkmcnt(0)
	s_barrier
	s_and_saveexec_b64 s[0:1], s[70:71]
	s_cbranch_execz .LBB48_414
; %bb.413:
	v_mov_b32_e32 v31, 0
	ds_read_b64 v[31:32], v31 offset:15608
	ds_read_b64 v[33:34], v23
	s_waitcnt lgkmcnt(0)
	v_fma_f64 v[11:12], v[31:32], v[33:34], v[11:12]
.LBB48_414:
	s_or_b64 exec, exec, s[0:1]
	s_barrier
	s_and_saveexec_b64 s[0:1], s[70:71]
	s_cbranch_execz .LBB48_416
; %bb.415:
	v_mov_b32_e32 v31, 0
	ds_read_b64 v[31:32], v31 offset:16120
	s_waitcnt lgkmcnt(0)
	v_mul_f64 v[11:12], v[11:12], v[31:32]
	ds_write_b64 v23, v[11:12]
.LBB48_416:
	s_or_b64 exec, exec, s[0:1]
	s_waitcnt lgkmcnt(0)
	s_barrier
	s_barrier
	s_and_saveexec_b64 s[0:1], s[8:9]
; %bb.417:
	v_xor_b32_e32 v12, 0x80000000, v12
	ds_write_b64 v21, v[11:12] offset:8384
; %bb.418:
	s_or_b64 exec, exec, s[0:1]
	s_waitcnt lgkmcnt(0)
	s_barrier
	s_barrier
	s_and_saveexec_b64 s[14:15], s[88:89]
	s_cbranch_execz .LBB48_420
; %bb.419:
	v_lshlrev_b32_e32 v31, 9, v0
	ds_read_b64 v[11:12], v31 offset:8384
	s_movk_i32 s0, 0xfe08
	v_mad_i32_i24 v32, v0, s0, v31
	s_waitcnt lgkmcnt(0)
	ds_write_b64 v32, v[11:12] offset:12416
	ds_read_b64 v[11:12], v31 offset:8392
	s_waitcnt lgkmcnt(0)
	ds_write_b64 v32, v[11:12] offset:12928
	ds_read_b64 v[11:12], v31 offset:8400
	;; [unrolled: 3-line block ×7, first 2 shown]
	s_waitcnt lgkmcnt(0)
	ds_write_b64 v32, v[11:12] offset:16000
.LBB48_420:
	s_or_b64 exec, exec, s[14:15]
	s_waitcnt lgkmcnt(0)
	s_barrier
	s_and_saveexec_b64 s[14:15], vcc
	s_cbranch_execz .LBB48_422
; %bb.421:
	v_mov_b32_e32 v11, 0
	ds_read_b128 v[31:34], v11 offset:12480
	ds_read_b64 v[11:12], v11 offset:13000
	s_movk_i32 s0, 0x3000
	s_waitcnt lgkmcnt(0)
	v_mul_f64 v[11:12], v[31:32], v[11:12]
	v_add_u32_e64 v31, s0, 0
	v_mul_f64 v[11:12], v[33:34], v[11:12]
	ds_write2_b64 v31, v[11:12], v[11:12] offset0:25 offset1:88
.LBB48_422:
	s_or_b64 exec, exec, s[14:15]
	v_mov_b32_e32 v11, 0
	v_mov_b32_e32 v12, 0
	s_waitcnt lgkmcnt(0)
	s_barrier
	s_and_saveexec_b64 s[16:17], s[2:3]
	s_cbranch_execz .LBB48_426
; %bb.423:
	v_mul_u32_u24_e32 v31, 0x208, v15
	ds_read_b64 v[11:12], v1 offset:12496
	ds_read_b64 v[31:32], v31 offset:12480
	v_cmp_gt_u32_e64 s[14:15], 2, v14
	s_waitcnt lgkmcnt(0)
	v_fma_f64 v[11:12], v[11:12], v[31:32], 0
	s_and_saveexec_b64 s[20:21], s[14:15]
	s_cbranch_execz .LBB48_425
; %bb.424:
	v_lshlrev_b32_e32 v31, 3, v0
	v_mov_b32_e32 v33, 0
	ds_read_b64 v[31:32], v31 offset:13008
	ds_read_b64 v[33:34], v33 offset:12488
	s_waitcnt lgkmcnt(0)
	v_fma_f64 v[11:12], v[31:32], v[33:34], v[11:12]
.LBB48_425:
	s_or_b64 exec, exec, s[20:21]
	v_xor_b32_e32 v12, 0x80000000, v12
.LBB48_426:
	s_or_b64 exec, exec, s[16:17]
	s_and_saveexec_b64 s[0:1], s[30:31]
	s_cbranch_execz .LBB48_428
; %bb.427:
	v_mov_b32_e32 v31, 0
	ds_read_b64 v[31:32], v31 offset:13520
	s_waitcnt lgkmcnt(0)
	v_mul_f64 v[11:12], v[11:12], v[31:32]
	ds_write_b64 v13, v[11:12]
.LBB48_428:
	s_or_b64 exec, exec, s[0:1]
	s_waitcnt lgkmcnt(0)
	s_barrier
	s_and_saveexec_b64 s[0:1], s[28:29]
	s_cbranch_execz .LBB48_430
; %bb.429:
	v_mov_b32_e32 v31, 0
	ds_read_b64 v[31:32], v31 offset:13528
	ds_read_b64 v[33:34], v13
	s_waitcnt lgkmcnt(0)
	v_fma_f64 v[11:12], v[31:32], v[33:34], v[11:12]
.LBB48_430:
	s_or_b64 exec, exec, s[0:1]
	s_barrier
	s_and_saveexec_b64 s[0:1], s[28:29]
	s_cbranch_execz .LBB48_432
; %bb.431:
	v_mov_b32_e32 v31, 0
	ds_read_b64 v[31:32], v31 offset:14040
	s_waitcnt lgkmcnt(0)
	v_mul_f64 v[11:12], v[11:12], v[31:32]
	ds_write_b64 v13, v[11:12]
.LBB48_432:
	s_or_b64 exec, exec, s[0:1]
	s_waitcnt lgkmcnt(0)
	s_barrier
	s_barrier
	s_and_saveexec_b64 s[0:1], s[2:3]
; %bb.433:
	v_xor_b32_e32 v12, 0x80000000, v12
	ds_write_b64 v1, v[11:12] offset:12496
; %bb.434:
	s_or_b64 exec, exec, s[0:1]
	s_waitcnt lgkmcnt(0)
	s_barrier
	s_barrier
	s_and_saveexec_b64 s[14:15], s[34:35]
	s_cbranch_execz .LBB48_436
; %bb.435:
	v_lshlrev_b32_e32 v31, 3, v0
	s_movk_i32 s0, 0x1f8
	v_mad_u32_u24 v32, v0, s0, v31
	ds_read_b64 v[11:12], v32 offset:12496
	s_waitcnt lgkmcnt(0)
	ds_write_b64 v31, v[11:12] offset:13504
	ds_read_b64 v[11:12], v32 offset:12504
	s_waitcnt lgkmcnt(0)
	ds_write_b64 v31, v[11:12] offset:14016
.LBB48_436:
	s_or_b64 exec, exec, s[14:15]
	s_waitcnt lgkmcnt(0)
	s_barrier
	s_and_saveexec_b64 s[14:15], vcc
	s_cbranch_execz .LBB48_438
; %bb.437:
	v_mov_b32_e32 v11, 0
	ds_read_b128 v[31:34], v11 offset:13520
	ds_read_b64 v[11:12], v11 offset:14040
	s_movk_i32 s0, 0x3000
	s_waitcnt lgkmcnt(0)
	v_mul_f64 v[11:12], v[31:32], v[11:12]
	v_add_u32_e64 v31, s0, 0
	v_mul_f64 v[11:12], v[33:34], v[11:12]
	ds_write2_b64 v31, v[11:12], v[11:12] offset0:155 offset1:218
.LBB48_438:
	s_or_b64 exec, exec, s[14:15]
	v_mov_b32_e32 v11, 0
	v_mov_b32_e32 v12, 0
	s_waitcnt lgkmcnt(0)
	s_barrier
	s_and_saveexec_b64 s[16:17], s[18:19]
	s_cbranch_execz .LBB48_444
; %bb.439:
	v_mul_u32_u24_e32 v31, 0x208, v20
	ds_read_b64 v[11:12], v16 offset:12512
	ds_read_b64 v[32:33], v31 offset:12480
	v_cmp_gt_u32_e64 s[14:15], 12, v14
	s_waitcnt lgkmcnt(0)
	v_fma_f64 v[11:12], v[11:12], v[32:33], 0
	s_and_saveexec_b64 s[20:21], s[14:15]
	s_cbranch_execnz .LBB48_1119
; %bb.440:
	s_or_b64 exec, exec, s[20:21]
	v_cmp_gt_u32_e64 s[14:15], 8, v14
	s_and_saveexec_b64 s[0:1], s[14:15]
	s_cbranch_execnz .LBB48_1120
.LBB48_441:
	s_or_b64 exec, exec, s[0:1]
	v_cmp_gt_u32_e64 s[14:15], 4, v14
	s_and_saveexec_b64 s[20:21], s[14:15]
	s_cbranch_execz .LBB48_443
.LBB48_442:
	v_lshlrev_b32_e32 v31, 3, v0
	v_mov_b32_e32 v33, 0
	ds_read_b64 v[31:32], v31 offset:14048
	ds_read_b64 v[33:34], v33 offset:12504
	s_waitcnt lgkmcnt(0)
	v_fma_f64 v[11:12], v[31:32], v[33:34], v[11:12]
.LBB48_443:
	s_or_b64 exec, exec, s[20:21]
	v_xor_b32_e32 v12, 0x80000000, v12
.LBB48_444:
	s_or_b64 exec, exec, s[16:17]
	s_and_saveexec_b64 s[0:1], s[38:39]
	s_cbranch_execz .LBB48_446
; %bb.445:
	v_mov_b32_e32 v31, 0
	ds_read_b64 v[31:32], v31 offset:14560
	s_waitcnt lgkmcnt(0)
	v_mul_f64 v[11:12], v[11:12], v[31:32]
	ds_write_b64 v18, v[11:12]
.LBB48_446:
	s_or_b64 exec, exec, s[0:1]
	s_waitcnt lgkmcnt(0)
	s_barrier
	s_and_saveexec_b64 s[0:1], s[42:43]
	s_cbranch_execz .LBB48_448
; %bb.447:
	ds_read_b64 v[31:32], v17 offset:14560
	ds_read_b64 v[33:34], v18
	s_waitcnt lgkmcnt(0)
	v_fma_f64 v[11:12], v[31:32], v[33:34], v[11:12]
.LBB48_448:
	s_or_b64 exec, exec, s[0:1]
	s_barrier
	s_and_saveexec_b64 s[0:1], s[52:53]
	s_cbranch_execz .LBB48_450
; %bb.449:
	v_mov_b32_e32 v31, 0
	ds_read_b64 v[31:32], v31 offset:15080
	s_waitcnt lgkmcnt(0)
	v_mul_f64 v[11:12], v[11:12], v[31:32]
	ds_write_b64 v18, v[11:12]
.LBB48_450:
	s_or_b64 exec, exec, s[0:1]
	s_waitcnt lgkmcnt(0)
	s_barrier
	s_and_saveexec_b64 s[0:1], s[54:55]
	s_cbranch_execz .LBB48_452
; %bb.451:
	ds_read_b64 v[31:32], v17 offset:15072
	ds_read_b64 v[33:34], v18
	s_waitcnt lgkmcnt(0)
	v_fma_f64 v[11:12], v[31:32], v[33:34], v[11:12]
.LBB48_452:
	s_or_b64 exec, exec, s[0:1]
	s_barrier
	s_and_saveexec_b64 s[0:1], s[56:57]
	s_cbranch_execz .LBB48_454
; %bb.453:
	v_mov_b32_e32 v31, 0
	ds_read_b64 v[31:32], v31 offset:15600
	s_waitcnt lgkmcnt(0)
	v_mul_f64 v[11:12], v[11:12], v[31:32]
	ds_write_b64 v18, v[11:12]
.LBB48_454:
	s_or_b64 exec, exec, s[0:1]
	s_waitcnt lgkmcnt(0)
	s_barrier
	s_and_saveexec_b64 s[0:1], s[36:37]
	s_cbranch_execz .LBB48_456
; %bb.455:
	v_mov_b32_e32 v31, 0
	ds_read_b64 v[31:32], v31 offset:15608
	ds_read_b64 v[33:34], v18
	s_waitcnt lgkmcnt(0)
	v_fma_f64 v[11:12], v[31:32], v[33:34], v[11:12]
.LBB48_456:
	s_or_b64 exec, exec, s[0:1]
	s_barrier
	s_and_saveexec_b64 s[0:1], s[36:37]
	s_cbranch_execz .LBB48_458
; %bb.457:
	v_mov_b32_e32 v31, 0
	ds_read_b64 v[31:32], v31 offset:16120
	s_waitcnt lgkmcnt(0)
	v_mul_f64 v[11:12], v[11:12], v[31:32]
	ds_write_b64 v18, v[11:12]
.LBB48_458:
	s_or_b64 exec, exec, s[0:1]
	s_waitcnt lgkmcnt(0)
	s_barrier
	s_barrier
	s_and_saveexec_b64 s[0:1], s[18:19]
; %bb.459:
	v_xor_b32_e32 v12, 0x80000000, v12
	ds_write_b64 v16, v[11:12] offset:12512
; %bb.460:
	s_or_b64 exec, exec, s[0:1]
	s_waitcnt lgkmcnt(0)
	s_barrier
	s_barrier
	s_and_saveexec_b64 s[14:15], s[58:59]
	s_cbranch_execz .LBB48_462
; %bb.461:
	v_lshlrev_b32_e32 v31, 9, v0
	ds_read_b64 v[11:12], v31 offset:12512
	s_movk_i32 s0, 0xfe08
	v_mad_i32_i24 v32, v0, s0, v31
	s_waitcnt lgkmcnt(0)
	ds_write_b64 v32, v[11:12] offset:14528
	ds_read_b64 v[11:12], v31 offset:12520
	s_waitcnt lgkmcnt(0)
	ds_write_b64 v32, v[11:12] offset:15040
	ds_read_b64 v[11:12], v31 offset:12528
	s_waitcnt lgkmcnt(0)
	ds_write_b64 v32, v[11:12] offset:15552
	ds_read_b64 v[11:12], v31 offset:12536
	s_waitcnt lgkmcnt(0)
	ds_write_b64 v32, v[11:12] offset:16064
.LBB48_462:
	s_or_b64 exec, exec, s[14:15]
	s_waitcnt lgkmcnt(0)
	s_barrier
	s_and_saveexec_b64 s[14:15], vcc
	s_cbranch_execz .LBB48_464
; %bb.463:
	v_mov_b32_e32 v11, 0
	ds_read_b128 v[31:34], v11 offset:14560
	ds_read_b64 v[11:12], v11 offset:15080
	s_movk_i32 s0, 0x3800
	s_waitcnt lgkmcnt(0)
	v_mul_f64 v[11:12], v[31:32], v[11:12]
	v_add_u32_e64 v31, s0, 0
	v_mul_f64 v[11:12], v[33:34], v[11:12]
	ds_write2_b64 v31, v[11:12], v[11:12] offset0:29 offset1:92
.LBB48_464:
	s_or_b64 exec, exec, s[14:15]
	v_mov_b32_e32 v11, 0
	v_mov_b32_e32 v12, 0
	s_waitcnt lgkmcnt(0)
	s_barrier
	s_and_saveexec_b64 s[16:17], s[2:3]
	s_cbranch_execz .LBB48_468
; %bb.465:
	v_mul_u32_u24_e32 v31, 0x208, v15
	ds_read_b64 v[11:12], v1 offset:14576
	ds_read_b64 v[31:32], v31 offset:14560
	v_cmp_gt_u32_e64 s[14:15], 2, v14
	s_waitcnt lgkmcnt(0)
	v_fma_f64 v[11:12], v[11:12], v[31:32], 0
	s_and_saveexec_b64 s[20:21], s[14:15]
	s_cbranch_execz .LBB48_467
; %bb.466:
	v_lshlrev_b32_e32 v31, 3, v0
	v_mov_b32_e32 v33, 0
	ds_read_b64 v[31:32], v31 offset:15088
	ds_read_b64 v[33:34], v33 offset:14568
	s_waitcnt lgkmcnt(0)
	v_fma_f64 v[11:12], v[31:32], v[33:34], v[11:12]
.LBB48_467:
	s_or_b64 exec, exec, s[20:21]
	v_xor_b32_e32 v12, 0x80000000, v12
.LBB48_468:
	s_or_b64 exec, exec, s[16:17]
	s_and_saveexec_b64 s[0:1], s[30:31]
	s_cbranch_execz .LBB48_470
; %bb.469:
	v_mov_b32_e32 v31, 0
	ds_read_b64 v[31:32], v31 offset:15600
	s_waitcnt lgkmcnt(0)
	v_mul_f64 v[11:12], v[11:12], v[31:32]
	ds_write_b64 v13, v[11:12]
.LBB48_470:
	s_or_b64 exec, exec, s[0:1]
	s_waitcnt lgkmcnt(0)
	s_barrier
	s_and_saveexec_b64 s[0:1], s[28:29]
	s_cbranch_execz .LBB48_472
; %bb.471:
	v_mov_b32_e32 v31, 0
	ds_read_b64 v[31:32], v31 offset:15608
	ds_read_b64 v[33:34], v13
	s_waitcnt lgkmcnt(0)
	v_fma_f64 v[11:12], v[31:32], v[33:34], v[11:12]
.LBB48_472:
	s_or_b64 exec, exec, s[0:1]
	s_barrier
	s_and_saveexec_b64 s[0:1], s[28:29]
	s_cbranch_execz .LBB48_474
; %bb.473:
	v_mov_b32_e32 v31, 0
	ds_read_b64 v[31:32], v31 offset:16120
	s_waitcnt lgkmcnt(0)
	v_mul_f64 v[11:12], v[11:12], v[31:32]
	ds_write_b64 v13, v[11:12]
.LBB48_474:
	s_or_b64 exec, exec, s[0:1]
	s_waitcnt lgkmcnt(0)
	s_barrier
	s_barrier
	s_and_saveexec_b64 s[0:1], s[2:3]
; %bb.475:
	v_xor_b32_e32 v12, 0x80000000, v12
	ds_write_b64 v1, v[11:12] offset:14576
; %bb.476:
	s_or_b64 exec, exec, s[0:1]
	s_waitcnt lgkmcnt(0)
	s_barrier
	s_barrier
	s_and_saveexec_b64 s[14:15], s[34:35]
	s_cbranch_execz .LBB48_478
; %bb.477:
	v_lshlrev_b32_e32 v31, 3, v0
	s_movk_i32 s0, 0x1f8
	v_mad_u32_u24 v32, v0, s0, v31
	ds_read_b64 v[11:12], v32 offset:14576
	s_waitcnt lgkmcnt(0)
	ds_write_b64 v31, v[11:12] offset:15584
	ds_read_b64 v[11:12], v32 offset:14584
	s_waitcnt lgkmcnt(0)
	ds_write_b64 v31, v[11:12] offset:16096
.LBB48_478:
	s_or_b64 exec, exec, s[14:15]
	s_waitcnt lgkmcnt(0)
	s_barrier
	s_and_saveexec_b64 s[14:15], vcc
	s_cbranch_execz .LBB48_480
; %bb.479:
	v_mov_b32_e32 v11, 0
	ds_read_b128 v[31:34], v11 offset:15600
	ds_read_b64 v[11:12], v11 offset:16120
	s_movk_i32 s0, 0x3800
	s_waitcnt lgkmcnt(0)
	v_mul_f64 v[11:12], v[31:32], v[11:12]
	v_add_u32_e64 v31, s0, 0
	v_mul_f64 v[11:12], v[33:34], v[11:12]
	ds_write2_b64 v31, v[11:12], v[11:12] offset0:159 offset1:222
.LBB48_480:
	s_or_b64 exec, exec, s[14:15]
	v_and_b32_e32 v32, 31, v0
	v_lshrrev_b32_e32 v33, 5, v14
	s_movk_i32 s0, 0x3ff
	v_lshlrev_b32_e32 v11, 3, v32
	v_cmp_lt_u32_e64 s[16:17], s0, v14
	s_movk_i32 s0, 0x400
	v_lshl_or_b32 v31, v33, 9, v11
	v_mov_b32_e32 v11, 0
	v_cmp_gt_u32_e64 s[14:15], s0, v14
	v_mov_b32_e32 v12, 0
	s_waitcnt lgkmcnt(0)
	s_barrier
	s_and_saveexec_b64 s[94:95], s[14:15]
	s_cbranch_execz .LBB48_542
; %bb.481:
	v_mul_u32_u24_e32 v34, 0x208, v33
	ds_read_b64 v[11:12], v31 offset:256
	ds_read_b64 v[35:36], v34
	s_movk_i32 s0, 0x3e0
	v_cmp_gt_u32_e64 s[20:21], s0, v14
	s_waitcnt lgkmcnt(0)
	v_fma_f64 v[11:12], v[11:12], v[35:36], 0
	s_and_saveexec_b64 s[0:1], s[20:21]
	s_cbranch_execz .LBB48_483
; %bb.482:
	ds_read_b64 v[35:36], v31 offset:768
	ds_read_b64 v[37:38], v34 offset:8
	s_waitcnt lgkmcnt(0)
	v_fma_f64 v[11:12], v[35:36], v[37:38], v[11:12]
.LBB48_483:
	s_or_b64 exec, exec, s[0:1]
	s_movk_i32 s0, 0x3c0
	v_cmp_gt_u32_e64 s[20:21], s0, v14
	s_and_saveexec_b64 s[0:1], s[20:21]
	s_cbranch_execz .LBB48_485
; %bb.484:
	ds_read_b64 v[35:36], v31 offset:1280
	ds_read_b64 v[37:38], v34 offset:16
	s_waitcnt lgkmcnt(0)
	v_fma_f64 v[11:12], v[35:36], v[37:38], v[11:12]
.LBB48_485:
	s_or_b64 exec, exec, s[0:1]
	s_movk_i32 s0, 0x3a0
	v_cmp_gt_u32_e64 s[20:21], s0, v14
	;; [unrolled: 11-line block ×28, first 2 shown]
	s_and_saveexec_b64 s[0:1], s[20:21]
	s_cbranch_execnz .LBB48_1121
; %bb.538:
	s_or_b64 exec, exec, s[0:1]
	v_cmp_gt_u32_e64 s[20:21], 64, v14
	s_and_saveexec_b64 s[0:1], s[20:21]
	s_cbranch_execnz .LBB48_1122
.LBB48_539:
	s_or_b64 exec, exec, s[0:1]
	v_cmp_gt_u32_e64 s[20:21], 32, v14
	s_and_saveexec_b64 s[0:1], s[20:21]
	s_cbranch_execz .LBB48_541
.LBB48_540:
	v_lshlrev_b32_e32 v34, 3, v0
	v_mov_b32_e32 v36, 0
	ds_read_b64 v[34:35], v34 offset:16128
	ds_read_b64 v[36:37], v36 offset:248
	s_waitcnt lgkmcnt(0)
	v_fma_f64 v[11:12], v[34:35], v[36:37], v[11:12]
.LBB48_541:
	s_or_b64 exec, exec, s[0:1]
	v_xor_b32_e32 v12, 0x80000000, v12
.LBB48_542:
	s_or_b64 exec, exec, s[94:95]
	v_mov_b32_e32 v34, 0x8000
	v_lshl_or_b32 v33, v33, 3, v34
	v_mul_u32_u24_e32 v34, 0x208, v32
	v_lshlrev_b32_e32 v35, 9, v32
	v_sub_u32_e32 v35, v34, v35
	v_add_u32_e32 v35, 0x4100, v35
	s_mov_b32 s94, 0
	s_xor_b64 s[20:21], s[16:17], -1
	v_mov_b32_e32 v36, v32
	s_branch .LBB48_544
.LBB48_543:                             ;   in Loop: Header=BB48_544 Depth=1
	s_or_b64 exec, exec, s[0:1]
	s_add_i32 s94, s94, 4
	v_add_u32_e32 v35, 0x800, v35
	s_cmp_eq_u32 s94, 32
	v_add_u32_e32 v36, -4, v36
	s_barrier
	s_cbranch_scc1 .LBB48_560
.LBB48_544:                             ; =>This Inner Loop Header: Depth=1
	v_cmp_eq_u32_e64 s[16:17], 0, v36
	s_and_b64 s[16:17], s[20:21], s[16:17]
	s_and_saveexec_b64 s[0:1], s[16:17]
	s_cbranch_execz .LBB48_546
; %bb.545:                              ;   in Loop: Header=BB48_544 Depth=1
	ds_read_b64 v[37:38], v34 offset:16640
	s_waitcnt lgkmcnt(0)
	v_mul_f64 v[11:12], v[11:12], v[37:38]
	ds_write_b64 v33, v[11:12]
.LBB48_546:                             ;   in Loop: Header=BB48_544 Depth=1
	s_or_b64 exec, exec, s[0:1]
	v_cmp_lt_u32_e64 s[16:17], s94, v32
	s_and_b64 s[16:17], s[20:21], s[16:17]
	s_waitcnt lgkmcnt(0)
	s_barrier
	s_and_saveexec_b64 s[0:1], s[16:17]
	s_cbranch_execz .LBB48_548
; %bb.547:                              ;   in Loop: Header=BB48_544 Depth=1
	ds_read_b64 v[37:38], v35
	ds_read_b64 v[39:40], v33
	s_waitcnt lgkmcnt(0)
	v_fma_f64 v[11:12], v[37:38], v[39:40], v[11:12]
.LBB48_548:                             ;   in Loop: Header=BB48_544 Depth=1
	s_or_b64 exec, exec, s[0:1]
	s_or_b32 s95, s94, 1
	v_cmp_eq_u32_e64 s[16:17], s95, v32
	s_and_b64 s[16:17], s[20:21], s[16:17]
	s_barrier
	s_and_saveexec_b64 s[0:1], s[16:17]
	s_cbranch_execz .LBB48_550
; %bb.549:                              ;   in Loop: Header=BB48_544 Depth=1
	ds_read_b64 v[37:38], v34 offset:16640
	s_waitcnt lgkmcnt(0)
	v_mul_f64 v[11:12], v[11:12], v[37:38]
	ds_write_b64 v33, v[11:12]
.LBB48_550:                             ;   in Loop: Header=BB48_544 Depth=1
	s_or_b64 exec, exec, s[0:1]
	v_cmp_lt_u32_e64 s[16:17], s95, v32
	s_and_b64 s[16:17], s[20:21], s[16:17]
	s_waitcnt lgkmcnt(0)
	s_barrier
	s_and_saveexec_b64 s[0:1], s[16:17]
	s_cbranch_execz .LBB48_552
; %bb.551:                              ;   in Loop: Header=BB48_544 Depth=1
	ds_read_b64 v[37:38], v35 offset:512
	ds_read_b64 v[39:40], v33
	s_waitcnt lgkmcnt(0)
	v_fma_f64 v[11:12], v[37:38], v[39:40], v[11:12]
.LBB48_552:                             ;   in Loop: Header=BB48_544 Depth=1
	s_or_b64 exec, exec, s[0:1]
	s_or_b32 s95, s94, 2
	v_cmp_eq_u32_e64 s[16:17], s95, v32
	s_and_b64 s[16:17], s[20:21], s[16:17]
	s_barrier
	s_and_saveexec_b64 s[0:1], s[16:17]
	s_cbranch_execz .LBB48_554
; %bb.553:                              ;   in Loop: Header=BB48_544 Depth=1
	ds_read_b64 v[37:38], v34 offset:16640
	s_waitcnt lgkmcnt(0)
	v_mul_f64 v[11:12], v[11:12], v[37:38]
	ds_write_b64 v33, v[11:12]
.LBB48_554:                             ;   in Loop: Header=BB48_544 Depth=1
	s_or_b64 exec, exec, s[0:1]
	v_cmp_lt_u32_e64 s[16:17], s95, v32
	s_and_b64 s[16:17], s[20:21], s[16:17]
	s_waitcnt lgkmcnt(0)
	s_barrier
	s_and_saveexec_b64 s[0:1], s[16:17]
	s_cbranch_execz .LBB48_556
; %bb.555:                              ;   in Loop: Header=BB48_544 Depth=1
	ds_read_b64 v[37:38], v35 offset:1024
	ds_read_b64 v[39:40], v33
	s_waitcnt lgkmcnt(0)
	v_fma_f64 v[11:12], v[37:38], v[39:40], v[11:12]
.LBB48_556:                             ;   in Loop: Header=BB48_544 Depth=1
	s_or_b64 exec, exec, s[0:1]
	s_or_b32 s95, s94, 3
	v_cmp_eq_u32_e64 s[16:17], s95, v32
	s_and_b64 s[16:17], s[20:21], s[16:17]
	s_barrier
	s_and_saveexec_b64 s[0:1], s[16:17]
	s_cbranch_execz .LBB48_558
; %bb.557:                              ;   in Loop: Header=BB48_544 Depth=1
	ds_read_b64 v[37:38], v34 offset:16640
	s_waitcnt lgkmcnt(0)
	v_mul_f64 v[11:12], v[11:12], v[37:38]
	ds_write_b64 v33, v[11:12]
.LBB48_558:                             ;   in Loop: Header=BB48_544 Depth=1
	s_or_b64 exec, exec, s[0:1]
	v_cmp_lt_u32_e64 s[16:17], s95, v32
	s_and_b64 s[16:17], s[20:21], s[16:17]
	s_waitcnt lgkmcnt(0)
	s_barrier
	s_and_saveexec_b64 s[0:1], s[16:17]
	s_cbranch_execz .LBB48_543
; %bb.559:                              ;   in Loop: Header=BB48_544 Depth=1
	ds_read_b64 v[37:38], v35 offset:1536
	ds_read_b64 v[39:40], v33
	s_waitcnt lgkmcnt(0)
	v_fma_f64 v[11:12], v[37:38], v[39:40], v[11:12]
	s_branch .LBB48_543
.LBB48_560:
	s_and_saveexec_b64 s[0:1], s[14:15]
; %bb.561:
	v_xor_b32_e32 v12, 0x80000000, v12
	ds_write_b64 v31, v[11:12] offset:256
; %bb.562:
	s_or_b64 exec, exec, s[0:1]
	v_cmp_gt_u32_e64 s[14:15], 32, v0
	s_and_b64 s[0:1], s[12:13], s[14:15]
	s_waitcnt lgkmcnt(0)
	s_barrier
	s_barrier
	s_and_saveexec_b64 s[12:13], s[0:1]
	s_cbranch_execz .LBB48_564
; %bb.563:
	v_lshlrev_b32_e32 v31, 9, v0
	ds_read_b64 v[11:12], v31 offset:256
	s_movk_i32 s0, 0xfe08
	v_mad_i32_i24 v32, v0, s0, v31
	s_waitcnt lgkmcnt(0)
	ds_write_b64 v32, v[11:12] offset:16384
	ds_read_b64 v[11:12], v31 offset:264
	s_waitcnt lgkmcnt(0)
	ds_write_b64 v32, v[11:12] offset:16896
	ds_read_b64 v[11:12], v31 offset:272
	;; [unrolled: 3-line block ×31, first 2 shown]
	s_waitcnt lgkmcnt(0)
	ds_write_b64 v32, v[11:12] offset:32256
.LBB48_564:
	s_or_b64 exec, exec, s[12:13]
	s_waitcnt lgkmcnt(0)
	s_barrier
	s_and_saveexec_b64 s[12:13], vcc
	s_cbranch_execz .LBB48_566
; %bb.565:
	v_mov_b32_e32 v11, 0
	ds_read_b128 v[31:34], v11 offset:16640
	ds_read_b64 v[11:12], v11 offset:17160
	s_movk_i32 s0, 0x4000
	s_waitcnt lgkmcnt(0)
	v_mul_f64 v[11:12], v[31:32], v[11:12]
	v_add_u32_e64 v31, s0, 0
	v_mul_f64 v[11:12], v[33:34], v[11:12]
	ds_write2_b64 v31, v[11:12], v[11:12] offset0:33 offset1:96
.LBB48_566:
	s_or_b64 exec, exec, s[12:13]
	v_mov_b32_e32 v11, 0
	v_mov_b32_e32 v12, 0
	s_waitcnt lgkmcnt(0)
	s_barrier
	s_and_saveexec_b64 s[14:15], s[2:3]
	s_cbranch_execz .LBB48_570
; %bb.567:
	v_mul_u32_u24_e32 v31, 0x208, v15
	ds_read_b64 v[11:12], v1 offset:16656
	ds_read_b64 v[31:32], v31 offset:16640
	v_cmp_gt_u32_e64 s[12:13], 2, v14
	s_waitcnt lgkmcnt(0)
	v_fma_f64 v[11:12], v[11:12], v[31:32], 0
	s_and_saveexec_b64 s[16:17], s[12:13]
	s_cbranch_execz .LBB48_569
; %bb.568:
	v_lshlrev_b32_e32 v31, 3, v0
	v_mov_b32_e32 v33, 0
	ds_read_b64 v[31:32], v31 offset:17168
	ds_read_b64 v[33:34], v33 offset:16648
	s_waitcnt lgkmcnt(0)
	v_fma_f64 v[11:12], v[31:32], v[33:34], v[11:12]
.LBB48_569:
	s_or_b64 exec, exec, s[16:17]
	v_xor_b32_e32 v12, 0x80000000, v12
.LBB48_570:
	s_or_b64 exec, exec, s[14:15]
	s_and_saveexec_b64 s[0:1], s[30:31]
	s_cbranch_execz .LBB48_572
; %bb.571:
	v_mov_b32_e32 v31, 0
	ds_read_b64 v[31:32], v31 offset:17680
	s_waitcnt lgkmcnt(0)
	v_mul_f64 v[11:12], v[11:12], v[31:32]
	ds_write_b64 v13, v[11:12]
.LBB48_572:
	s_or_b64 exec, exec, s[0:1]
	s_waitcnt lgkmcnt(0)
	s_barrier
	s_and_saveexec_b64 s[0:1], s[28:29]
	s_cbranch_execz .LBB48_574
; %bb.573:
	v_mov_b32_e32 v31, 0
	ds_read_b64 v[31:32], v31 offset:17688
	ds_read_b64 v[33:34], v13
	s_waitcnt lgkmcnt(0)
	v_fma_f64 v[11:12], v[31:32], v[33:34], v[11:12]
.LBB48_574:
	s_or_b64 exec, exec, s[0:1]
	s_barrier
	s_and_saveexec_b64 s[0:1], s[28:29]
	s_cbranch_execz .LBB48_576
; %bb.575:
	v_mov_b32_e32 v31, 0
	ds_read_b64 v[31:32], v31 offset:18200
	s_waitcnt lgkmcnt(0)
	v_mul_f64 v[11:12], v[11:12], v[31:32]
	ds_write_b64 v13, v[11:12]
.LBB48_576:
	s_or_b64 exec, exec, s[0:1]
	s_waitcnt lgkmcnt(0)
	s_barrier
	s_barrier
	s_and_saveexec_b64 s[0:1], s[2:3]
; %bb.577:
	v_xor_b32_e32 v12, 0x80000000, v12
	ds_write_b64 v1, v[11:12] offset:16656
; %bb.578:
	s_or_b64 exec, exec, s[0:1]
	s_waitcnt lgkmcnt(0)
	s_barrier
	s_barrier
	s_and_saveexec_b64 s[0:1], s[34:35]
	s_cbranch_execz .LBB48_580
; %bb.579:
	v_lshlrev_b32_e32 v31, 3, v0
	s_movk_i32 s12, 0x1f8
	v_mad_u32_u24 v32, v0, s12, v31
	ds_read_b64 v[11:12], v32 offset:16656
	s_waitcnt lgkmcnt(0)
	ds_write_b64 v31, v[11:12] offset:17664
	ds_read_b64 v[11:12], v32 offset:16664
	s_waitcnt lgkmcnt(0)
	ds_write_b64 v31, v[11:12] offset:18176
.LBB48_580:
	s_or_b64 exec, exec, s[0:1]
	s_waitcnt lgkmcnt(0)
	s_barrier
	s_and_saveexec_b64 s[12:13], vcc
	s_cbranch_execz .LBB48_582
; %bb.581:
	v_mov_b32_e32 v11, 0
	ds_read_b128 v[31:34], v11 offset:17680
	ds_read_b64 v[11:12], v11 offset:18200
	s_movk_i32 s0, 0x4000
	s_waitcnt lgkmcnt(0)
	v_mul_f64 v[11:12], v[31:32], v[11:12]
	v_add_u32_e64 v31, s0, 0
	v_mul_f64 v[11:12], v[33:34], v[11:12]
	ds_write2_b64 v31, v[11:12], v[11:12] offset0:163 offset1:226
.LBB48_582:
	s_or_b64 exec, exec, s[12:13]
	v_mov_b32_e32 v11, 0
	v_mov_b32_e32 v12, 0
	s_waitcnt lgkmcnt(0)
	s_barrier
	s_and_saveexec_b64 s[14:15], s[18:19]
	s_cbranch_execz .LBB48_588
; %bb.583:
	v_mul_u32_u24_e32 v31, 0x208, v20
	ds_read_b64 v[11:12], v16 offset:16672
	ds_read_b64 v[32:33], v31 offset:16640
	v_cmp_gt_u32_e64 s[12:13], 12, v14
	s_waitcnt lgkmcnt(0)
	v_fma_f64 v[11:12], v[11:12], v[32:33], 0
	s_and_saveexec_b64 s[16:17], s[12:13]
	s_cbranch_execnz .LBB48_1123
; %bb.584:
	s_or_b64 exec, exec, s[16:17]
	v_cmp_gt_u32_e64 s[12:13], 8, v14
	s_and_saveexec_b64 s[0:1], s[12:13]
	s_cbranch_execnz .LBB48_1124
.LBB48_585:
	s_or_b64 exec, exec, s[0:1]
	v_cmp_gt_u32_e64 s[12:13], 4, v14
	s_and_saveexec_b64 s[0:1], s[12:13]
	s_cbranch_execz .LBB48_587
.LBB48_586:
	v_lshlrev_b32_e32 v31, 3, v0
	v_mov_b32_e32 v33, 0
	ds_read_b64 v[31:32], v31 offset:18208
	ds_read_b64 v[33:34], v33 offset:16664
	s_waitcnt lgkmcnt(0)
	v_fma_f64 v[11:12], v[31:32], v[33:34], v[11:12]
.LBB48_587:
	s_or_b64 exec, exec, s[0:1]
	v_xor_b32_e32 v12, 0x80000000, v12
.LBB48_588:
	s_or_b64 exec, exec, s[14:15]
	s_and_saveexec_b64 s[0:1], s[38:39]
	s_cbranch_execz .LBB48_590
; %bb.589:
	v_mov_b32_e32 v31, 0
	ds_read_b64 v[31:32], v31 offset:18720
	s_waitcnt lgkmcnt(0)
	v_mul_f64 v[11:12], v[11:12], v[31:32]
	ds_write_b64 v18, v[11:12]
.LBB48_590:
	s_or_b64 exec, exec, s[0:1]
	s_waitcnt lgkmcnt(0)
	s_barrier
	s_and_saveexec_b64 s[0:1], s[42:43]
	s_cbranch_execz .LBB48_592
; %bb.591:
	ds_read_b64 v[31:32], v17 offset:18720
	ds_read_b64 v[33:34], v18
	s_waitcnt lgkmcnt(0)
	v_fma_f64 v[11:12], v[31:32], v[33:34], v[11:12]
.LBB48_592:
	s_or_b64 exec, exec, s[0:1]
	s_barrier
	s_and_saveexec_b64 s[0:1], s[52:53]
	s_cbranch_execz .LBB48_594
; %bb.593:
	v_mov_b32_e32 v31, 0
	ds_read_b64 v[31:32], v31 offset:19240
	s_waitcnt lgkmcnt(0)
	v_mul_f64 v[11:12], v[11:12], v[31:32]
	ds_write_b64 v18, v[11:12]
.LBB48_594:
	s_or_b64 exec, exec, s[0:1]
	s_waitcnt lgkmcnt(0)
	s_barrier
	s_and_saveexec_b64 s[0:1], s[54:55]
	s_cbranch_execz .LBB48_596
; %bb.595:
	ds_read_b64 v[31:32], v17 offset:19232
	ds_read_b64 v[33:34], v18
	s_waitcnt lgkmcnt(0)
	v_fma_f64 v[11:12], v[31:32], v[33:34], v[11:12]
.LBB48_596:
	s_or_b64 exec, exec, s[0:1]
	s_barrier
	s_and_saveexec_b64 s[0:1], s[56:57]
	s_cbranch_execz .LBB48_598
; %bb.597:
	v_mov_b32_e32 v31, 0
	ds_read_b64 v[31:32], v31 offset:19760
	s_waitcnt lgkmcnt(0)
	v_mul_f64 v[11:12], v[11:12], v[31:32]
	ds_write_b64 v18, v[11:12]
.LBB48_598:
	s_or_b64 exec, exec, s[0:1]
	s_waitcnt lgkmcnt(0)
	s_barrier
	s_and_saveexec_b64 s[0:1], s[36:37]
	s_cbranch_execz .LBB48_600
; %bb.599:
	v_mov_b32_e32 v31, 0
	ds_read_b64 v[31:32], v31 offset:19768
	ds_read_b64 v[33:34], v18
	s_waitcnt lgkmcnt(0)
	v_fma_f64 v[11:12], v[31:32], v[33:34], v[11:12]
.LBB48_600:
	s_or_b64 exec, exec, s[0:1]
	s_barrier
	s_and_saveexec_b64 s[0:1], s[36:37]
	s_cbranch_execz .LBB48_602
; %bb.601:
	v_mov_b32_e32 v31, 0
	ds_read_b64 v[31:32], v31 offset:20280
	s_waitcnt lgkmcnt(0)
	v_mul_f64 v[11:12], v[11:12], v[31:32]
	ds_write_b64 v18, v[11:12]
.LBB48_602:
	s_or_b64 exec, exec, s[0:1]
	s_waitcnt lgkmcnt(0)
	s_barrier
	s_barrier
	s_and_saveexec_b64 s[0:1], s[18:19]
; %bb.603:
	v_xor_b32_e32 v12, 0x80000000, v12
	ds_write_b64 v16, v[11:12] offset:16672
; %bb.604:
	s_or_b64 exec, exec, s[0:1]
	s_waitcnt lgkmcnt(0)
	s_barrier
	s_barrier
	s_and_saveexec_b64 s[12:13], s[58:59]
	s_cbranch_execz .LBB48_606
; %bb.605:
	v_lshlrev_b32_e32 v31, 9, v0
	ds_read_b64 v[11:12], v31 offset:16672
	s_movk_i32 s0, 0xfe08
	v_mad_i32_i24 v32, v0, s0, v31
	s_waitcnt lgkmcnt(0)
	ds_write_b64 v32, v[11:12] offset:18688
	ds_read_b64 v[11:12], v31 offset:16680
	s_waitcnt lgkmcnt(0)
	ds_write_b64 v32, v[11:12] offset:19200
	ds_read_b64 v[11:12], v31 offset:16688
	s_waitcnt lgkmcnt(0)
	ds_write_b64 v32, v[11:12] offset:19712
	ds_read_b64 v[11:12], v31 offset:16696
	s_waitcnt lgkmcnt(0)
	ds_write_b64 v32, v[11:12] offset:20224
.LBB48_606:
	s_or_b64 exec, exec, s[12:13]
	s_waitcnt lgkmcnt(0)
	s_barrier
	s_and_saveexec_b64 s[12:13], vcc
	s_cbranch_execz .LBB48_608
; %bb.607:
	v_mov_b32_e32 v11, 0
	ds_read_b128 v[31:34], v11 offset:18720
	ds_read_b64 v[11:12], v11 offset:19240
	s_movk_i32 s0, 0x4800
	s_waitcnt lgkmcnt(0)
	v_mul_f64 v[11:12], v[31:32], v[11:12]
	v_add_u32_e64 v31, s0, 0
	v_mul_f64 v[11:12], v[33:34], v[11:12]
	ds_write2_b64 v31, v[11:12], v[11:12] offset0:37 offset1:100
.LBB48_608:
	s_or_b64 exec, exec, s[12:13]
	v_mov_b32_e32 v11, 0
	v_mov_b32_e32 v12, 0
	s_waitcnt lgkmcnt(0)
	s_barrier
	s_and_saveexec_b64 s[14:15], s[2:3]
	s_cbranch_execz .LBB48_612
; %bb.609:
	v_mul_u32_u24_e32 v31, 0x208, v15
	ds_read_b64 v[11:12], v1 offset:18736
	ds_read_b64 v[31:32], v31 offset:18720
	v_cmp_gt_u32_e64 s[12:13], 2, v14
	s_waitcnt lgkmcnt(0)
	v_fma_f64 v[11:12], v[11:12], v[31:32], 0
	s_and_saveexec_b64 s[16:17], s[12:13]
	s_cbranch_execz .LBB48_611
; %bb.610:
	v_lshlrev_b32_e32 v31, 3, v0
	v_mov_b32_e32 v33, 0
	ds_read_b64 v[31:32], v31 offset:19248
	ds_read_b64 v[33:34], v33 offset:18728
	s_waitcnt lgkmcnt(0)
	v_fma_f64 v[11:12], v[31:32], v[33:34], v[11:12]
.LBB48_611:
	s_or_b64 exec, exec, s[16:17]
	v_xor_b32_e32 v12, 0x80000000, v12
.LBB48_612:
	s_or_b64 exec, exec, s[14:15]
	s_and_saveexec_b64 s[0:1], s[30:31]
	s_cbranch_execz .LBB48_614
; %bb.613:
	v_mov_b32_e32 v31, 0
	ds_read_b64 v[31:32], v31 offset:19760
	s_waitcnt lgkmcnt(0)
	v_mul_f64 v[11:12], v[11:12], v[31:32]
	ds_write_b64 v13, v[11:12]
.LBB48_614:
	s_or_b64 exec, exec, s[0:1]
	s_waitcnt lgkmcnt(0)
	s_barrier
	s_and_saveexec_b64 s[0:1], s[28:29]
	s_cbranch_execz .LBB48_616
; %bb.615:
	v_mov_b32_e32 v31, 0
	ds_read_b64 v[31:32], v31 offset:19768
	ds_read_b64 v[33:34], v13
	s_waitcnt lgkmcnt(0)
	v_fma_f64 v[11:12], v[31:32], v[33:34], v[11:12]
.LBB48_616:
	s_or_b64 exec, exec, s[0:1]
	s_barrier
	s_and_saveexec_b64 s[0:1], s[28:29]
	s_cbranch_execz .LBB48_618
; %bb.617:
	v_mov_b32_e32 v31, 0
	ds_read_b64 v[31:32], v31 offset:20280
	s_waitcnt lgkmcnt(0)
	v_mul_f64 v[11:12], v[11:12], v[31:32]
	ds_write_b64 v13, v[11:12]
.LBB48_618:
	s_or_b64 exec, exec, s[0:1]
	s_waitcnt lgkmcnt(0)
	s_barrier
	s_barrier
	s_and_saveexec_b64 s[0:1], s[2:3]
; %bb.619:
	v_xor_b32_e32 v12, 0x80000000, v12
	ds_write_b64 v1, v[11:12] offset:18736
; %bb.620:
	s_or_b64 exec, exec, s[0:1]
	s_waitcnt lgkmcnt(0)
	s_barrier
	s_barrier
	s_and_saveexec_b64 s[0:1], s[34:35]
	s_cbranch_execz .LBB48_622
; %bb.621:
	v_lshlrev_b32_e32 v31, 3, v0
	s_movk_i32 s12, 0x1f8
	v_mad_u32_u24 v32, v0, s12, v31
	ds_read_b64 v[11:12], v32 offset:18736
	s_waitcnt lgkmcnt(0)
	ds_write_b64 v31, v[11:12] offset:19744
	ds_read_b64 v[11:12], v32 offset:18744
	s_waitcnt lgkmcnt(0)
	ds_write_b64 v31, v[11:12] offset:20256
.LBB48_622:
	s_or_b64 exec, exec, s[0:1]
	s_waitcnt lgkmcnt(0)
	s_barrier
	s_and_saveexec_b64 s[12:13], vcc
	s_cbranch_execz .LBB48_624
; %bb.623:
	v_mov_b32_e32 v11, 0
	ds_read_b128 v[31:34], v11 offset:19760
	ds_read_b64 v[11:12], v11 offset:20280
	s_movk_i32 s0, 0x4800
	s_waitcnt lgkmcnt(0)
	v_mul_f64 v[11:12], v[31:32], v[11:12]
	v_add_u32_e64 v31, s0, 0
	v_mul_f64 v[11:12], v[33:34], v[11:12]
	ds_write2_b64 v31, v[11:12], v[11:12] offset0:167 offset1:230
.LBB48_624:
	s_or_b64 exec, exec, s[12:13]
	v_mov_b32_e32 v11, 0
	v_mov_b32_e32 v12, 0
	s_waitcnt lgkmcnt(0)
	s_barrier
	s_and_saveexec_b64 s[14:15], s[8:9]
	s_cbranch_execz .LBB48_634
; %bb.625:
	v_mul_u32_u24_e32 v31, 0x208, v25
	ds_read_b64 v[11:12], v21 offset:16704
	ds_read_b64 v[32:33], v31 offset:16640
	v_cmp_gt_u32_e64 s[12:13], 56, v14
	s_waitcnt lgkmcnt(0)
	v_fma_f64 v[11:12], v[11:12], v[32:33], 0
	s_and_saveexec_b64 s[16:17], s[12:13]
	s_cbranch_execnz .LBB48_1125
; %bb.626:
	s_or_b64 exec, exec, s[16:17]
	v_cmp_gt_u32_e64 s[12:13], 48, v14
	s_and_saveexec_b64 s[0:1], s[12:13]
	s_cbranch_execnz .LBB48_1126
.LBB48_627:
	s_or_b64 exec, exec, s[0:1]
	v_cmp_gt_u32_e64 s[12:13], 40, v14
	s_and_saveexec_b64 s[0:1], s[12:13]
	s_cbranch_execnz .LBB48_1127
.LBB48_628:
	s_or_b64 exec, exec, s[0:1]
	v_cmp_gt_u32_e64 s[12:13], 32, v14
	s_and_saveexec_b64 s[0:1], s[12:13]
	s_cbranch_execnz .LBB48_1128
.LBB48_629:
	s_or_b64 exec, exec, s[0:1]
	v_cmp_gt_u32_e64 s[12:13], 24, v14
	s_and_saveexec_b64 s[0:1], s[12:13]
	s_cbranch_execnz .LBB48_1129
.LBB48_630:
	s_or_b64 exec, exec, s[0:1]
	v_cmp_gt_u32_e64 s[12:13], 16, v14
	s_and_saveexec_b64 s[0:1], s[12:13]
	s_cbranch_execnz .LBB48_1130
.LBB48_631:
	s_or_b64 exec, exec, s[0:1]
	v_cmp_gt_u32_e64 s[12:13], 8, v14
	s_and_saveexec_b64 s[0:1], s[12:13]
	s_cbranch_execz .LBB48_633
.LBB48_632:
	v_lshlrev_b32_e32 v31, 3, v0
	v_mov_b32_e32 v33, 0
	ds_read_b64 v[31:32], v31 offset:20288
	ds_read_b64 v[33:34], v33 offset:16696
	s_waitcnt lgkmcnt(0)
	v_fma_f64 v[11:12], v[31:32], v[33:34], v[11:12]
.LBB48_633:
	s_or_b64 exec, exec, s[0:1]
	v_xor_b32_e32 v12, 0x80000000, v12
.LBB48_634:
	s_or_b64 exec, exec, s[14:15]
	s_mov_b64 s[0:1], exec
	v_readlane_b32 s12, v42, 3
	v_readlane_b32 s13, v42, 4
	s_and_b64 s[12:13], s[0:1], s[12:13]
	s_mov_b64 exec, s[12:13]
	s_cbranch_execz .LBB48_636
; %bb.635:
	v_mov_b32_e32 v31, 0
	ds_read_b64 v[31:32], v31 offset:20800
	s_waitcnt lgkmcnt(0)
	v_mul_f64 v[11:12], v[11:12], v[31:32]
	ds_write_b64 v23, v[11:12]
.LBB48_636:
	s_or_b64 exec, exec, s[0:1]
	s_waitcnt lgkmcnt(0)
	s_barrier
	s_and_saveexec_b64 s[0:1], s[62:63]
	s_cbranch_execz .LBB48_638
; %bb.637:
	ds_read_b64 v[31:32], v22 offset:20800
	ds_read_b64 v[33:34], v23
	s_waitcnt lgkmcnt(0)
	v_fma_f64 v[11:12], v[31:32], v[33:34], v[11:12]
.LBB48_638:
	s_or_b64 exec, exec, s[0:1]
	s_barrier
	s_and_saveexec_b64 s[0:1], s[64:65]
	s_cbranch_execz .LBB48_640
; %bb.639:
	v_mov_b32_e32 v31, 0
	ds_read_b64 v[31:32], v31 offset:21320
	s_waitcnt lgkmcnt(0)
	v_mul_f64 v[11:12], v[11:12], v[31:32]
	ds_write_b64 v23, v[11:12]
.LBB48_640:
	s_or_b64 exec, exec, s[0:1]
	s_waitcnt lgkmcnt(0)
	s_barrier
	s_and_saveexec_b64 s[0:1], s[66:67]
	s_cbranch_execz .LBB48_642
; %bb.641:
	ds_read_b64 v[31:32], v22 offset:21312
	ds_read_b64 v[33:34], v23
	s_waitcnt lgkmcnt(0)
	v_fma_f64 v[11:12], v[31:32], v[33:34], v[11:12]
.LBB48_642:
	s_or_b64 exec, exec, s[0:1]
	s_barrier
	s_and_saveexec_b64 s[0:1], s[68:69]
	;; [unrolled: 22-line block ×6, first 2 shown]
	s_cbranch_execz .LBB48_660
; %bb.659:
	v_mov_b32_e32 v31, 0
	ds_read_b64 v[31:32], v31 offset:23920
	s_waitcnt lgkmcnt(0)
	v_mul_f64 v[11:12], v[11:12], v[31:32]
	ds_write_b64 v23, v[11:12]
.LBB48_660:
	s_or_b64 exec, exec, s[0:1]
	s_waitcnt lgkmcnt(0)
	s_barrier
	s_and_saveexec_b64 s[0:1], s[70:71]
	s_cbranch_execz .LBB48_662
; %bb.661:
	v_mov_b32_e32 v31, 0
	ds_read_b64 v[31:32], v31 offset:23928
	ds_read_b64 v[33:34], v23
	s_waitcnt lgkmcnt(0)
	v_fma_f64 v[11:12], v[31:32], v[33:34], v[11:12]
.LBB48_662:
	s_or_b64 exec, exec, s[0:1]
	s_barrier
	s_and_saveexec_b64 s[0:1], s[70:71]
	s_cbranch_execz .LBB48_664
; %bb.663:
	v_mov_b32_e32 v31, 0
	ds_read_b64 v[31:32], v31 offset:24440
	s_waitcnt lgkmcnt(0)
	v_mul_f64 v[11:12], v[11:12], v[31:32]
	ds_write_b64 v23, v[11:12]
.LBB48_664:
	s_or_b64 exec, exec, s[0:1]
	s_waitcnt lgkmcnt(0)
	s_barrier
	s_barrier
	s_and_saveexec_b64 s[0:1], s[8:9]
; %bb.665:
	v_xor_b32_e32 v12, 0x80000000, v12
	ds_write_b64 v21, v[11:12] offset:16704
; %bb.666:
	s_or_b64 exec, exec, s[0:1]
	s_waitcnt lgkmcnt(0)
	s_barrier
	s_barrier
	s_and_saveexec_b64 s[12:13], s[88:89]
	s_cbranch_execz .LBB48_668
; %bb.667:
	v_lshlrev_b32_e32 v31, 9, v0
	ds_read_b64 v[11:12], v31 offset:16704
	s_movk_i32 s0, 0xfe08
	v_mad_i32_i24 v32, v0, s0, v31
	s_waitcnt lgkmcnt(0)
	ds_write_b64 v32, v[11:12] offset:20736
	ds_read_b64 v[11:12], v31 offset:16712
	s_waitcnt lgkmcnt(0)
	ds_write_b64 v32, v[11:12] offset:21248
	ds_read_b64 v[11:12], v31 offset:16720
	s_waitcnt lgkmcnt(0)
	ds_write_b64 v32, v[11:12] offset:21760
	ds_read_b64 v[11:12], v31 offset:16728
	s_waitcnt lgkmcnt(0)
	ds_write_b64 v32, v[11:12] offset:22272
	ds_read_b64 v[11:12], v31 offset:16736
	s_waitcnt lgkmcnt(0)
	ds_write_b64 v32, v[11:12] offset:22784
	ds_read_b64 v[11:12], v31 offset:16744
	s_waitcnt lgkmcnt(0)
	ds_write_b64 v32, v[11:12] offset:23296
	ds_read_b64 v[11:12], v31 offset:16752
	s_waitcnt lgkmcnt(0)
	ds_write_b64 v32, v[11:12] offset:23808
	ds_read_b64 v[11:12], v31 offset:16760
	s_waitcnt lgkmcnt(0)
	ds_write_b64 v32, v[11:12] offset:24320
.LBB48_668:
	s_or_b64 exec, exec, s[12:13]
	s_waitcnt lgkmcnt(0)
	s_barrier
	s_and_saveexec_b64 s[12:13], vcc
	s_cbranch_execz .LBB48_670
; %bb.669:
	v_mov_b32_e32 v11, 0
	ds_read_b128 v[31:34], v11 offset:20800
	ds_read_b64 v[11:12], v11 offset:21320
	s_movk_i32 s0, 0x5000
	s_waitcnt lgkmcnt(0)
	v_mul_f64 v[11:12], v[31:32], v[11:12]
	v_add_u32_e64 v31, s0, 0
	v_mul_f64 v[11:12], v[33:34], v[11:12]
	ds_write2_b64 v31, v[11:12], v[11:12] offset0:41 offset1:104
.LBB48_670:
	s_or_b64 exec, exec, s[12:13]
	v_mov_b32_e32 v11, 0
	v_mov_b32_e32 v12, 0
	s_waitcnt lgkmcnt(0)
	s_barrier
	s_and_saveexec_b64 s[14:15], s[2:3]
	s_cbranch_execz .LBB48_674
; %bb.671:
	v_mul_u32_u24_e32 v31, 0x208, v15
	ds_read_b64 v[11:12], v1 offset:20816
	ds_read_b64 v[31:32], v31 offset:20800
	v_cmp_gt_u32_e64 s[12:13], 2, v14
	s_waitcnt lgkmcnt(0)
	v_fma_f64 v[11:12], v[11:12], v[31:32], 0
	s_and_saveexec_b64 s[16:17], s[12:13]
	s_cbranch_execz .LBB48_673
; %bb.672:
	v_lshlrev_b32_e32 v31, 3, v0
	v_mov_b32_e32 v33, 0
	ds_read_b64 v[31:32], v31 offset:21328
	ds_read_b64 v[33:34], v33 offset:20808
	s_waitcnt lgkmcnt(0)
	v_fma_f64 v[11:12], v[31:32], v[33:34], v[11:12]
.LBB48_673:
	s_or_b64 exec, exec, s[16:17]
	v_xor_b32_e32 v12, 0x80000000, v12
.LBB48_674:
	s_or_b64 exec, exec, s[14:15]
	s_and_saveexec_b64 s[0:1], s[30:31]
	s_cbranch_execz .LBB48_676
; %bb.675:
	v_mov_b32_e32 v31, 0
	ds_read_b64 v[31:32], v31 offset:21840
	s_waitcnt lgkmcnt(0)
	v_mul_f64 v[11:12], v[11:12], v[31:32]
	ds_write_b64 v13, v[11:12]
.LBB48_676:
	s_or_b64 exec, exec, s[0:1]
	s_waitcnt lgkmcnt(0)
	s_barrier
	s_and_saveexec_b64 s[0:1], s[28:29]
	s_cbranch_execz .LBB48_678
; %bb.677:
	v_mov_b32_e32 v31, 0
	ds_read_b64 v[31:32], v31 offset:21848
	ds_read_b64 v[33:34], v13
	s_waitcnt lgkmcnt(0)
	v_fma_f64 v[11:12], v[31:32], v[33:34], v[11:12]
.LBB48_678:
	s_or_b64 exec, exec, s[0:1]
	s_barrier
	s_and_saveexec_b64 s[0:1], s[28:29]
	s_cbranch_execz .LBB48_680
; %bb.679:
	v_mov_b32_e32 v31, 0
	ds_read_b64 v[31:32], v31 offset:22360
	s_waitcnt lgkmcnt(0)
	v_mul_f64 v[11:12], v[11:12], v[31:32]
	ds_write_b64 v13, v[11:12]
.LBB48_680:
	s_or_b64 exec, exec, s[0:1]
	s_waitcnt lgkmcnt(0)
	s_barrier
	s_barrier
	s_and_saveexec_b64 s[0:1], s[2:3]
; %bb.681:
	v_xor_b32_e32 v12, 0x80000000, v12
	ds_write_b64 v1, v[11:12] offset:20816
; %bb.682:
	s_or_b64 exec, exec, s[0:1]
	s_waitcnt lgkmcnt(0)
	s_barrier
	s_barrier
	s_and_saveexec_b64 s[0:1], s[34:35]
	s_cbranch_execz .LBB48_684
; %bb.683:
	v_lshlrev_b32_e32 v31, 3, v0
	s_movk_i32 s12, 0x1f8
	v_mad_u32_u24 v32, v0, s12, v31
	ds_read_b64 v[11:12], v32 offset:20816
	s_waitcnt lgkmcnt(0)
	ds_write_b64 v31, v[11:12] offset:21824
	ds_read_b64 v[11:12], v32 offset:20824
	s_waitcnt lgkmcnt(0)
	ds_write_b64 v31, v[11:12] offset:22336
.LBB48_684:
	s_or_b64 exec, exec, s[0:1]
	s_waitcnt lgkmcnt(0)
	s_barrier
	s_and_saveexec_b64 s[12:13], vcc
	s_cbranch_execz .LBB48_686
; %bb.685:
	v_mov_b32_e32 v11, 0
	ds_read_b128 v[31:34], v11 offset:21840
	ds_read_b64 v[11:12], v11 offset:22360
	s_movk_i32 s0, 0x5000
	s_waitcnt lgkmcnt(0)
	v_mul_f64 v[11:12], v[31:32], v[11:12]
	v_add_u32_e64 v31, s0, 0
	v_mul_f64 v[11:12], v[33:34], v[11:12]
	ds_write2_b64 v31, v[11:12], v[11:12] offset0:171 offset1:234
.LBB48_686:
	s_or_b64 exec, exec, s[12:13]
	v_mov_b32_e32 v11, 0
	v_mov_b32_e32 v12, 0
	s_waitcnt lgkmcnt(0)
	s_barrier
	s_and_saveexec_b64 s[14:15], s[18:19]
	s_cbranch_execz .LBB48_692
; %bb.687:
	v_mul_u32_u24_e32 v31, 0x208, v20
	ds_read_b64 v[11:12], v16 offset:20832
	ds_read_b64 v[32:33], v31 offset:20800
	v_cmp_gt_u32_e64 s[12:13], 12, v14
	s_waitcnt lgkmcnt(0)
	v_fma_f64 v[11:12], v[11:12], v[32:33], 0
	s_and_saveexec_b64 s[16:17], s[12:13]
	s_cbranch_execnz .LBB48_1131
; %bb.688:
	s_or_b64 exec, exec, s[16:17]
	v_cmp_gt_u32_e64 s[12:13], 8, v14
	s_and_saveexec_b64 s[0:1], s[12:13]
	s_cbranch_execnz .LBB48_1132
.LBB48_689:
	s_or_b64 exec, exec, s[0:1]
	v_cmp_gt_u32_e64 s[12:13], 4, v14
	s_and_saveexec_b64 s[0:1], s[12:13]
	s_cbranch_execz .LBB48_691
.LBB48_690:
	v_lshlrev_b32_e32 v31, 3, v0
	v_mov_b32_e32 v33, 0
	ds_read_b64 v[31:32], v31 offset:22368
	ds_read_b64 v[33:34], v33 offset:20824
	s_waitcnt lgkmcnt(0)
	v_fma_f64 v[11:12], v[31:32], v[33:34], v[11:12]
.LBB48_691:
	s_or_b64 exec, exec, s[0:1]
	v_xor_b32_e32 v12, 0x80000000, v12
.LBB48_692:
	s_or_b64 exec, exec, s[14:15]
	s_and_saveexec_b64 s[0:1], s[38:39]
	s_cbranch_execz .LBB48_694
; %bb.693:
	v_mov_b32_e32 v31, 0
	ds_read_b64 v[31:32], v31 offset:22880
	s_waitcnt lgkmcnt(0)
	v_mul_f64 v[11:12], v[11:12], v[31:32]
	ds_write_b64 v18, v[11:12]
.LBB48_694:
	s_or_b64 exec, exec, s[0:1]
	s_waitcnt lgkmcnt(0)
	s_barrier
	s_and_saveexec_b64 s[0:1], s[42:43]
	s_cbranch_execz .LBB48_696
; %bb.695:
	ds_read_b64 v[31:32], v17 offset:22880
	ds_read_b64 v[33:34], v18
	s_waitcnt lgkmcnt(0)
	v_fma_f64 v[11:12], v[31:32], v[33:34], v[11:12]
.LBB48_696:
	s_or_b64 exec, exec, s[0:1]
	s_barrier
	s_and_saveexec_b64 s[0:1], s[52:53]
	s_cbranch_execz .LBB48_698
; %bb.697:
	v_mov_b32_e32 v31, 0
	ds_read_b64 v[31:32], v31 offset:23400
	s_waitcnt lgkmcnt(0)
	v_mul_f64 v[11:12], v[11:12], v[31:32]
	ds_write_b64 v18, v[11:12]
.LBB48_698:
	s_or_b64 exec, exec, s[0:1]
	s_waitcnt lgkmcnt(0)
	s_barrier
	s_and_saveexec_b64 s[0:1], s[54:55]
	s_cbranch_execz .LBB48_700
; %bb.699:
	ds_read_b64 v[31:32], v17 offset:23392
	ds_read_b64 v[33:34], v18
	s_waitcnt lgkmcnt(0)
	v_fma_f64 v[11:12], v[31:32], v[33:34], v[11:12]
.LBB48_700:
	s_or_b64 exec, exec, s[0:1]
	s_barrier
	s_and_saveexec_b64 s[0:1], s[56:57]
	s_cbranch_execz .LBB48_702
; %bb.701:
	v_mov_b32_e32 v31, 0
	ds_read_b64 v[31:32], v31 offset:23920
	s_waitcnt lgkmcnt(0)
	v_mul_f64 v[11:12], v[11:12], v[31:32]
	ds_write_b64 v18, v[11:12]
.LBB48_702:
	s_or_b64 exec, exec, s[0:1]
	s_waitcnt lgkmcnt(0)
	s_barrier
	s_and_saveexec_b64 s[0:1], s[36:37]
	s_cbranch_execz .LBB48_704
; %bb.703:
	v_mov_b32_e32 v31, 0
	ds_read_b64 v[31:32], v31 offset:23928
	ds_read_b64 v[33:34], v18
	s_waitcnt lgkmcnt(0)
	v_fma_f64 v[11:12], v[31:32], v[33:34], v[11:12]
.LBB48_704:
	s_or_b64 exec, exec, s[0:1]
	s_barrier
	s_and_saveexec_b64 s[0:1], s[36:37]
	s_cbranch_execz .LBB48_706
; %bb.705:
	v_mov_b32_e32 v31, 0
	ds_read_b64 v[31:32], v31 offset:24440
	s_waitcnt lgkmcnt(0)
	v_mul_f64 v[11:12], v[11:12], v[31:32]
	ds_write_b64 v18, v[11:12]
.LBB48_706:
	s_or_b64 exec, exec, s[0:1]
	s_waitcnt lgkmcnt(0)
	s_barrier
	s_barrier
	s_and_saveexec_b64 s[0:1], s[18:19]
; %bb.707:
	v_xor_b32_e32 v12, 0x80000000, v12
	ds_write_b64 v16, v[11:12] offset:20832
; %bb.708:
	s_or_b64 exec, exec, s[0:1]
	s_waitcnt lgkmcnt(0)
	s_barrier
	s_barrier
	s_and_saveexec_b64 s[12:13], s[58:59]
	s_cbranch_execz .LBB48_710
; %bb.709:
	v_lshlrev_b32_e32 v31, 9, v0
	ds_read_b64 v[11:12], v31 offset:20832
	s_movk_i32 s0, 0xfe08
	v_mad_i32_i24 v32, v0, s0, v31
	s_waitcnt lgkmcnt(0)
	ds_write_b64 v32, v[11:12] offset:22848
	ds_read_b64 v[11:12], v31 offset:20840
	s_waitcnt lgkmcnt(0)
	ds_write_b64 v32, v[11:12] offset:23360
	ds_read_b64 v[11:12], v31 offset:20848
	;; [unrolled: 3-line block ×3, first 2 shown]
	s_waitcnt lgkmcnt(0)
	ds_write_b64 v32, v[11:12] offset:24384
.LBB48_710:
	s_or_b64 exec, exec, s[12:13]
	s_waitcnt lgkmcnt(0)
	s_barrier
	s_and_saveexec_b64 s[12:13], vcc
	s_cbranch_execz .LBB48_712
; %bb.711:
	v_mov_b32_e32 v11, 0
	ds_read_b128 v[31:34], v11 offset:22880
	ds_read_b64 v[11:12], v11 offset:23400
	s_movk_i32 s0, 0x5800
	s_waitcnt lgkmcnt(0)
	v_mul_f64 v[11:12], v[31:32], v[11:12]
	v_add_u32_e64 v31, s0, 0
	v_mul_f64 v[11:12], v[33:34], v[11:12]
	ds_write2_b64 v31, v[11:12], v[11:12] offset0:45 offset1:108
.LBB48_712:
	s_or_b64 exec, exec, s[12:13]
	v_mov_b32_e32 v11, 0
	v_mov_b32_e32 v12, 0
	s_waitcnt lgkmcnt(0)
	s_barrier
	s_and_saveexec_b64 s[14:15], s[2:3]
	s_cbranch_execz .LBB48_716
; %bb.713:
	v_mul_u32_u24_e32 v31, 0x208, v15
	ds_read_b64 v[11:12], v1 offset:22896
	ds_read_b64 v[31:32], v31 offset:22880
	v_cmp_gt_u32_e64 s[12:13], 2, v14
	s_waitcnt lgkmcnt(0)
	v_fma_f64 v[11:12], v[11:12], v[31:32], 0
	s_and_saveexec_b64 s[16:17], s[12:13]
	s_cbranch_execz .LBB48_715
; %bb.714:
	v_lshlrev_b32_e32 v31, 3, v0
	v_mov_b32_e32 v33, 0
	ds_read_b64 v[31:32], v31 offset:23408
	ds_read_b64 v[33:34], v33 offset:22888
	s_waitcnt lgkmcnt(0)
	v_fma_f64 v[11:12], v[31:32], v[33:34], v[11:12]
.LBB48_715:
	s_or_b64 exec, exec, s[16:17]
	v_xor_b32_e32 v12, 0x80000000, v12
.LBB48_716:
	s_or_b64 exec, exec, s[14:15]
	s_and_saveexec_b64 s[0:1], s[30:31]
	s_cbranch_execz .LBB48_718
; %bb.717:
	v_mov_b32_e32 v31, 0
	ds_read_b64 v[31:32], v31 offset:23920
	s_waitcnt lgkmcnt(0)
	v_mul_f64 v[11:12], v[11:12], v[31:32]
	ds_write_b64 v13, v[11:12]
.LBB48_718:
	s_or_b64 exec, exec, s[0:1]
	s_waitcnt lgkmcnt(0)
	s_barrier
	s_and_saveexec_b64 s[0:1], s[28:29]
	s_cbranch_execz .LBB48_720
; %bb.719:
	v_mov_b32_e32 v31, 0
	ds_read_b64 v[31:32], v31 offset:23928
	ds_read_b64 v[33:34], v13
	s_waitcnt lgkmcnt(0)
	v_fma_f64 v[11:12], v[31:32], v[33:34], v[11:12]
.LBB48_720:
	s_or_b64 exec, exec, s[0:1]
	s_barrier
	s_and_saveexec_b64 s[0:1], s[28:29]
	s_cbranch_execz .LBB48_722
; %bb.721:
	v_mov_b32_e32 v31, 0
	ds_read_b64 v[31:32], v31 offset:24440
	s_waitcnt lgkmcnt(0)
	v_mul_f64 v[11:12], v[11:12], v[31:32]
	ds_write_b64 v13, v[11:12]
.LBB48_722:
	s_or_b64 exec, exec, s[0:1]
	s_waitcnt lgkmcnt(0)
	s_barrier
	s_barrier
	s_and_saveexec_b64 s[0:1], s[2:3]
; %bb.723:
	v_xor_b32_e32 v12, 0x80000000, v12
	ds_write_b64 v1, v[11:12] offset:22896
; %bb.724:
	s_or_b64 exec, exec, s[0:1]
	s_waitcnt lgkmcnt(0)
	s_barrier
	s_barrier
	s_and_saveexec_b64 s[0:1], s[34:35]
	s_cbranch_execz .LBB48_726
; %bb.725:
	v_lshlrev_b32_e32 v31, 3, v0
	s_movk_i32 s12, 0x1f8
	v_mad_u32_u24 v32, v0, s12, v31
	ds_read_b64 v[11:12], v32 offset:22896
	s_waitcnt lgkmcnt(0)
	ds_write_b64 v31, v[11:12] offset:23904
	ds_read_b64 v[11:12], v32 offset:22904
	s_waitcnt lgkmcnt(0)
	ds_write_b64 v31, v[11:12] offset:24416
.LBB48_726:
	s_or_b64 exec, exec, s[0:1]
	s_waitcnt lgkmcnt(0)
	s_barrier
	s_and_saveexec_b64 s[12:13], vcc
	s_cbranch_execz .LBB48_728
; %bb.727:
	v_mov_b32_e32 v11, 0
	ds_read_b128 v[31:34], v11 offset:23920
	ds_read_b64 v[11:12], v11 offset:24440
	s_movk_i32 s0, 0x5800
	s_waitcnt lgkmcnt(0)
	v_mul_f64 v[11:12], v[31:32], v[11:12]
	v_add_u32_e64 v31, s0, 0
	v_mul_f64 v[11:12], v[33:34], v[11:12]
	ds_write2_b64 v31, v[11:12], v[11:12] offset0:175 offset1:238
.LBB48_728:
	s_or_b64 exec, exec, s[12:13]
	v_mov_b32_e32 v11, 0
	v_mov_b32_e32 v12, 0
	s_waitcnt lgkmcnt(0)
	s_barrier
	s_and_saveexec_b64 s[14:15], s[10:11]
	s_cbranch_execz .LBB48_756
; %bb.729:
	v_mul_u32_u24_e32 v31, 0x208, v30
	ds_read_b64 v[11:12], v26 offset:16768
	ds_read_b64 v[32:33], v31 offset:16640
	s_movk_i32 s0, 0xf0
	v_cmp_gt_u32_e64 s[12:13], s0, v14
	s_waitcnt lgkmcnt(0)
	v_fma_f64 v[11:12], v[11:12], v[32:33], 0
	s_and_saveexec_b64 s[16:17], s[12:13]
	s_cbranch_execz .LBB48_731
; %bb.730:
	v_lshlrev_b32_e32 v32, 3, v30
	v_sub_u32_e32 v32, v31, v32
	v_lshl_add_u32 v32, v27, 3, v32
	ds_read_b64 v[32:33], v32 offset:17280
	ds_read_b64 v[34:35], v31 offset:16648
	s_waitcnt lgkmcnt(0)
	v_fma_f64 v[11:12], v[32:33], v[34:35], v[11:12]
.LBB48_731:
	s_or_b64 exec, exec, s[16:17]
	s_movk_i32 s0, 0xe0
	v_cmp_gt_u32_e64 s[12:13], s0, v14
	s_and_saveexec_b64 s[0:1], s[12:13]
	s_cbranch_execz .LBB48_733
; %bb.732:
	v_lshlrev_b32_e32 v32, 3, v30
	v_sub_u32_e32 v32, v31, v32
	v_lshl_add_u32 v32, v27, 3, v32
	ds_read_b64 v[32:33], v32 offset:17792
	ds_read_b64 v[34:35], v31 offset:16656
	s_waitcnt lgkmcnt(0)
	v_fma_f64 v[11:12], v[32:33], v[34:35], v[11:12]
.LBB48_733:
	s_or_b64 exec, exec, s[0:1]
	s_movk_i32 s0, 0xd0
	v_cmp_gt_u32_e64 s[12:13], s0, v14
	s_and_saveexec_b64 s[0:1], s[12:13]
	s_cbranch_execz .LBB48_735
; %bb.734:
	v_lshlrev_b32_e32 v32, 3, v30
	v_sub_u32_e32 v32, v31, v32
	v_lshl_add_u32 v32, v27, 3, v32
	ds_read_b64 v[32:33], v32 offset:18304
	ds_read_b64 v[34:35], v31 offset:16664
	s_waitcnt lgkmcnt(0)
	v_fma_f64 v[11:12], v[32:33], v[34:35], v[11:12]
.LBB48_735:
	s_or_b64 exec, exec, s[0:1]
	s_movk_i32 s0, 0xc0
	v_cmp_gt_u32_e64 s[12:13], s0, v14
	s_and_saveexec_b64 s[0:1], s[12:13]
	s_cbranch_execz .LBB48_737
; %bb.736:
	v_lshlrev_b32_e32 v32, 3, v30
	v_sub_u32_e32 v32, v31, v32
	v_lshl_add_u32 v32, v27, 3, v32
	ds_read_b64 v[32:33], v32 offset:18816
	ds_read_b64 v[34:35], v31 offset:16672
	s_waitcnt lgkmcnt(0)
	v_fma_f64 v[11:12], v[32:33], v[34:35], v[11:12]
.LBB48_737:
	s_or_b64 exec, exec, s[0:1]
	s_movk_i32 s0, 0xb0
	v_cmp_gt_u32_e64 s[12:13], s0, v14
	s_and_saveexec_b64 s[0:1], s[12:13]
	s_cbranch_execz .LBB48_739
; %bb.738:
	v_lshlrev_b32_e32 v32, 3, v30
	v_sub_u32_e32 v32, v31, v32
	v_lshl_add_u32 v32, v27, 3, v32
	ds_read_b64 v[32:33], v32 offset:19328
	ds_read_b64 v[34:35], v31 offset:16680
	s_waitcnt lgkmcnt(0)
	v_fma_f64 v[11:12], v[32:33], v[34:35], v[11:12]
.LBB48_739:
	s_or_b64 exec, exec, s[0:1]
	s_movk_i32 s0, 0xa0
	v_cmp_gt_u32_e64 s[12:13], s0, v14
	s_and_saveexec_b64 s[0:1], s[12:13]
	s_cbranch_execz .LBB48_741
; %bb.740:
	v_lshlrev_b32_e32 v32, 3, v30
	v_sub_u32_e32 v32, v31, v32
	v_lshl_add_u32 v32, v27, 3, v32
	ds_read_b64 v[32:33], v32 offset:19840
	ds_read_b64 v[34:35], v31 offset:16688
	s_waitcnt lgkmcnt(0)
	v_fma_f64 v[11:12], v[32:33], v[34:35], v[11:12]
.LBB48_741:
	s_or_b64 exec, exec, s[0:1]
	s_movk_i32 s0, 0x90
	v_cmp_gt_u32_e64 s[12:13], s0, v14
	s_and_saveexec_b64 s[0:1], s[12:13]
	s_cbranch_execz .LBB48_743
; %bb.742:
	v_lshlrev_b32_e32 v30, 3, v30
	v_sub_u32_e32 v30, v31, v30
	v_lshl_add_u32 v30, v27, 3, v30
	ds_read_b64 v[32:33], v30 offset:20352
	ds_read_b64 v[34:35], v31 offset:16696
	s_waitcnt lgkmcnt(0)
	v_fma_f64 v[11:12], v[32:33], v[34:35], v[11:12]
.LBB48_743:
	s_or_b64 exec, exec, s[0:1]
	s_movk_i32 s0, 0x80
	v_cmp_gt_u32_e64 s[12:13], s0, v14
	s_and_saveexec_b64 s[0:1], s[12:13]
	s_cbranch_execz .LBB48_745
; %bb.744:
	ds_read_b64 v[32:33], v26 offset:20864
	ds_read_b64 v[34:35], v31 offset:16704
	s_waitcnt lgkmcnt(0)
	v_fma_f64 v[11:12], v[32:33], v[34:35], v[11:12]
.LBB48_745:
	s_or_b64 exec, exec, s[0:1]
	s_movk_i32 s0, 0x70
	v_cmp_gt_u32_e64 s[12:13], s0, v14
	s_and_saveexec_b64 s[0:1], s[12:13]
	s_cbranch_execz .LBB48_747
; %bb.746:
	v_lshlrev_b32_e32 v30, 3, v27
	v_lshl_add_u32 v30, v29, 3, v30
	ds_read_b64 v[32:33], v30 offset:21376
	ds_read_b64 v[34:35], v31 offset:16712
	s_waitcnt lgkmcnt(0)
	v_fma_f64 v[11:12], v[32:33], v[34:35], v[11:12]
.LBB48_747:
	s_or_b64 exec, exec, s[0:1]
	s_movk_i32 s0, 0x60
	v_cmp_gt_u32_e64 s[12:13], s0, v14
	s_and_saveexec_b64 s[0:1], s[12:13]
	s_cbranch_execz .LBB48_749
; %bb.748:
	v_lshlrev_b32_e32 v30, 3, v27
	v_lshl_add_u32 v30, v29, 3, v30
	ds_read_b64 v[32:33], v30 offset:21888
	ds_read_b64 v[34:35], v31 offset:16720
	s_waitcnt lgkmcnt(0)
	v_fma_f64 v[11:12], v[32:33], v[34:35], v[11:12]
.LBB48_749:
	s_or_b64 exec, exec, s[0:1]
	s_movk_i32 s0, 0x50
	v_cmp_gt_u32_e64 s[12:13], s0, v14
	s_and_saveexec_b64 s[0:1], s[12:13]
	s_cbranch_execnz .LBB48_1133
; %bb.750:
	s_or_b64 exec, exec, s[0:1]
	v_cmp_gt_u32_e64 s[12:13], 64, v14
	s_and_saveexec_b64 s[0:1], s[12:13]
	s_cbranch_execnz .LBB48_1134
.LBB48_751:
	s_or_b64 exec, exec, s[0:1]
	v_cmp_gt_u32_e64 s[12:13], 48, v14
	s_and_saveexec_b64 s[0:1], s[12:13]
	s_cbranch_execnz .LBB48_1135
.LBB48_752:
	s_or_b64 exec, exec, s[0:1]
	v_cmp_gt_u32_e64 s[12:13], 32, v14
	s_and_saveexec_b64 s[0:1], s[12:13]
	s_cbranch_execnz .LBB48_1136
.LBB48_753:
	s_or_b64 exec, exec, s[0:1]
	v_cmp_gt_u32_e64 s[12:13], 16, v14
	s_and_saveexec_b64 s[0:1], s[12:13]
	s_cbranch_execz .LBB48_755
.LBB48_754:
	v_lshlrev_b32_e32 v29, 3, v0
	v_mov_b32_e32 v31, 0
	ds_read_b64 v[29:30], v29 offset:24448
	ds_read_b64 v[31:32], v31 offset:16760
	s_waitcnt lgkmcnt(0)
	v_fma_f64 v[11:12], v[29:30], v[31:32], v[11:12]
.LBB48_755:
	s_or_b64 exec, exec, s[0:1]
	v_xor_b32_e32 v12, 0x80000000, v12
.LBB48_756:
	s_or_b64 exec, exec, s[14:15]
	s_mov_b64 s[0:1], exec
	v_readlane_b32 s12, v42, 5
	v_readlane_b32 s13, v42, 6
	s_and_b64 s[12:13], s[0:1], s[12:13]
	s_mov_b64 exec, s[12:13]
	s_cbranch_execz .LBB48_758
; %bb.757:
	v_mov_b32_e32 v29, 0
	ds_read_b64 v[29:30], v29 offset:24960
	s_waitcnt lgkmcnt(0)
	v_mul_f64 v[11:12], v[11:12], v[29:30]
	ds_write_b64 v28, v[11:12]
.LBB48_758:
	s_or_b64 exec, exec, s[0:1]
	s_waitcnt lgkmcnt(0)
	s_barrier
	s_mov_b64 s[0:1], exec
	v_readlane_b32 s12, v42, 7
	v_readlane_b32 s13, v42, 8
	s_and_b64 s[12:13], s[0:1], s[12:13]
	s_mov_b64 exec, s[12:13]
	s_cbranch_execz .LBB48_760
; %bb.759:
	v_lshlrev_b32_e32 v29, 3, v27
	ds_read_b64 v[29:30], v29 offset:24960
	ds_read_b64 v[31:32], v28
	s_waitcnt lgkmcnt(0)
	v_fma_f64 v[11:12], v[29:30], v[31:32], v[11:12]
.LBB48_760:
	s_or_b64 exec, exec, s[0:1]
	s_barrier
	s_mov_b64 s[0:1], exec
	v_readlane_b32 s12, v42, 9
	v_readlane_b32 s13, v42, 10
	s_and_b64 s[12:13], s[0:1], s[12:13]
	s_mov_b64 exec, s[12:13]
	s_cbranch_execz .LBB48_762
; %bb.761:
	v_mov_b32_e32 v29, 0
	ds_read_b64 v[29:30], v29 offset:25480
	s_waitcnt lgkmcnt(0)
	v_mul_f64 v[11:12], v[11:12], v[29:30]
	ds_write_b64 v28, v[11:12]
.LBB48_762:
	s_or_b64 exec, exec, s[0:1]
	s_waitcnt lgkmcnt(0)
	s_barrier
	s_mov_b64 s[0:1], exec
	v_readlane_b32 s12, v42, 11
	v_readlane_b32 s13, v42, 12
	s_and_b64 s[12:13], s[0:1], s[12:13]
	s_mov_b64 exec, s[12:13]
	s_cbranch_execz .LBB48_764
; %bb.763:
	v_lshlrev_b32_e32 v29, 3, v27
	ds_read_b64 v[29:30], v29 offset:25472
	ds_read_b64 v[31:32], v28
	s_waitcnt lgkmcnt(0)
	v_fma_f64 v[11:12], v[29:30], v[31:32], v[11:12]
.LBB48_764:
	s_or_b64 exec, exec, s[0:1]
	s_barrier
	;; [unrolled: 31-line block ×14, first 2 shown]
	s_mov_b64 s[0:1], exec
	v_readlane_b32 s12, v42, 61
	v_readlane_b32 s13, v42, 62
	s_and_b64 s[12:13], s[0:1], s[12:13]
	s_mov_b64 exec, s[12:13]
	s_cbranch_execz .LBB48_814
; %bb.813:
	v_mov_b32_e32 v27, 0
	ds_read_b64 v[29:30], v27 offset:32240
	s_waitcnt lgkmcnt(0)
	v_mul_f64 v[11:12], v[11:12], v[29:30]
	ds_write_b64 v28, v[11:12]
.LBB48_814:
	s_or_b64 exec, exec, s[0:1]
	s_waitcnt lgkmcnt(0)
	s_barrier
	s_and_saveexec_b64 s[0:1], s[92:93]
	s_cbranch_execz .LBB48_816
; %bb.815:
	v_mov_b32_e32 v27, 0
	ds_read_b64 v[29:30], v27 offset:32248
	ds_read_b64 v[31:32], v28
	s_waitcnt lgkmcnt(0)
	v_fma_f64 v[11:12], v[29:30], v[31:32], v[11:12]
.LBB48_816:
	s_or_b64 exec, exec, s[0:1]
	s_barrier
	s_and_saveexec_b64 s[0:1], s[92:93]
	s_cbranch_execz .LBB48_818
; %bb.817:
	v_mov_b32_e32 v27, 0
	ds_read_b64 v[29:30], v27 offset:32760
	s_waitcnt lgkmcnt(0)
	v_mul_f64 v[11:12], v[11:12], v[29:30]
	ds_write_b64 v28, v[11:12]
.LBB48_818:
	s_or_b64 exec, exec, s[0:1]
	s_waitcnt lgkmcnt(0)
	s_barrier
	s_barrier
	s_and_saveexec_b64 s[0:1], s[10:11]
; %bb.819:
	v_xor_b32_e32 v12, 0x80000000, v12
	ds_write_b64 v26, v[11:12] offset:16768
; %bb.820:
	s_or_b64 exec, exec, s[0:1]
	s_waitcnt lgkmcnt(0)
	s_barrier
	s_barrier
	s_mov_b64 s[0:1], exec
	v_readlane_b32 s10, v42, 63
	v_readlane_b32 s11, v41, 0
	s_and_b64 s[10:11], s[0:1], s[10:11]
	s_mov_b64 exec, s[10:11]
	s_cbranch_execz .LBB48_822
; %bb.821:
	v_lshlrev_b32_e32 v26, 9, v0
	ds_read_b64 v[11:12], v26 offset:16768
	s_movk_i32 s10, 0xfe08
	v_mad_i32_i24 v27, v0, s10, v26
	s_waitcnt lgkmcnt(0)
	ds_write_b64 v27, v[11:12] offset:24832
	ds_read_b64 v[11:12], v26 offset:16776
	s_waitcnt lgkmcnt(0)
	ds_write_b64 v27, v[11:12] offset:25344
	ds_read_b64 v[11:12], v26 offset:16784
	;; [unrolled: 3-line block ×15, first 2 shown]
	s_waitcnt lgkmcnt(0)
	ds_write_b64 v27, v[11:12] offset:32512
.LBB48_822:
	s_or_b64 exec, exec, s[0:1]
	s_waitcnt lgkmcnt(0)
	s_barrier
	s_and_saveexec_b64 s[0:1], vcc
	s_cbranch_execz .LBB48_824
; %bb.823:
	v_mov_b32_e32 v11, 0
	ds_read_b128 v[26:29], v11 offset:24960
	ds_read_b64 v[11:12], v11 offset:25480
	s_movk_i32 s10, 0x6000
	s_waitcnt lgkmcnt(0)
	v_mul_f64 v[11:12], v[26:27], v[11:12]
	v_add_u32_e64 v26, s10, 0
	v_mul_f64 v[11:12], v[28:29], v[11:12]
	ds_write2_b64 v26, v[11:12], v[11:12] offset0:49 offset1:112
.LBB48_824:
	s_or_b64 exec, exec, s[0:1]
	v_mov_b32_e32 v11, 0
	v_mov_b32_e32 v12, 0
	s_waitcnt lgkmcnt(0)
	s_barrier
	s_and_saveexec_b64 s[0:1], s[2:3]
	s_cbranch_execz .LBB48_828
; %bb.825:
	v_mul_u32_u24_e32 v26, 0x208, v15
	ds_read_b64 v[11:12], v1 offset:24976
	ds_read_b64 v[26:27], v26 offset:24960
	v_cmp_gt_u32_e64 s[10:11], 2, v14
	s_waitcnt lgkmcnt(0)
	v_fma_f64 v[11:12], v[11:12], v[26:27], 0
	s_and_saveexec_b64 s[12:13], s[10:11]
	s_cbranch_execz .LBB48_827
; %bb.826:
	v_lshlrev_b32_e32 v26, 3, v0
	v_mov_b32_e32 v28, 0
	ds_read_b64 v[26:27], v26 offset:25488
	ds_read_b64 v[28:29], v28 offset:24968
	s_waitcnt lgkmcnt(0)
	v_fma_f64 v[11:12], v[26:27], v[28:29], v[11:12]
.LBB48_827:
	s_or_b64 exec, exec, s[12:13]
	v_xor_b32_e32 v12, 0x80000000, v12
.LBB48_828:
	s_or_b64 exec, exec, s[0:1]
	s_and_saveexec_b64 s[0:1], s[30:31]
	s_cbranch_execz .LBB48_830
; %bb.829:
	v_mov_b32_e32 v26, 0
	ds_read_b64 v[26:27], v26 offset:26000
	s_waitcnt lgkmcnt(0)
	v_mul_f64 v[11:12], v[11:12], v[26:27]
	ds_write_b64 v13, v[11:12]
.LBB48_830:
	s_or_b64 exec, exec, s[0:1]
	s_waitcnt lgkmcnt(0)
	s_barrier
	s_and_saveexec_b64 s[0:1], s[28:29]
	s_cbranch_execz .LBB48_832
; %bb.831:
	v_mov_b32_e32 v26, 0
	ds_read_b64 v[26:27], v26 offset:26008
	ds_read_b64 v[28:29], v13
	s_waitcnt lgkmcnt(0)
	v_fma_f64 v[11:12], v[26:27], v[28:29], v[11:12]
.LBB48_832:
	s_or_b64 exec, exec, s[0:1]
	s_barrier
	s_and_saveexec_b64 s[0:1], s[28:29]
	s_cbranch_execz .LBB48_834
; %bb.833:
	v_mov_b32_e32 v26, 0
	ds_read_b64 v[26:27], v26 offset:26520
	s_waitcnt lgkmcnt(0)
	v_mul_f64 v[11:12], v[11:12], v[26:27]
	ds_write_b64 v13, v[11:12]
.LBB48_834:
	s_or_b64 exec, exec, s[0:1]
	s_waitcnt lgkmcnt(0)
	s_barrier
	s_barrier
	s_and_saveexec_b64 s[0:1], s[2:3]
; %bb.835:
	v_xor_b32_e32 v12, 0x80000000, v12
	ds_write_b64 v1, v[11:12] offset:24976
; %bb.836:
	s_or_b64 exec, exec, s[0:1]
	s_waitcnt lgkmcnt(0)
	s_barrier
	s_barrier
	s_and_saveexec_b64 s[0:1], s[34:35]
	s_cbranch_execz .LBB48_838
; %bb.837:
	v_lshlrev_b32_e32 v26, 3, v0
	s_movk_i32 s10, 0x1f8
	v_mad_u32_u24 v27, v0, s10, v26
	ds_read_b64 v[11:12], v27 offset:24976
	s_waitcnt lgkmcnt(0)
	ds_write_b64 v26, v[11:12] offset:25984
	ds_read_b64 v[11:12], v27 offset:24984
	s_waitcnt lgkmcnt(0)
	ds_write_b64 v26, v[11:12] offset:26496
.LBB48_838:
	s_or_b64 exec, exec, s[0:1]
	s_waitcnt lgkmcnt(0)
	s_barrier
	s_and_saveexec_b64 s[0:1], vcc
	s_cbranch_execz .LBB48_840
; %bb.839:
	v_mov_b32_e32 v11, 0
	ds_read_b128 v[26:29], v11 offset:26000
	ds_read_b64 v[11:12], v11 offset:26520
	s_movk_i32 s10, 0x6000
	s_waitcnt lgkmcnt(0)
	v_mul_f64 v[11:12], v[26:27], v[11:12]
	v_add_u32_e64 v26, s10, 0
	v_mul_f64 v[11:12], v[28:29], v[11:12]
	ds_write2_b64 v26, v[11:12], v[11:12] offset0:179 offset1:242
.LBB48_840:
	s_or_b64 exec, exec, s[0:1]
	v_mov_b32_e32 v11, 0
	v_mov_b32_e32 v12, 0
	s_waitcnt lgkmcnt(0)
	s_barrier
	s_and_saveexec_b64 s[0:1], s[18:19]
	s_cbranch_execz .LBB48_846
; %bb.841:
	v_mul_u32_u24_e32 v26, 0x208, v20
	ds_read_b64 v[11:12], v16 offset:24992
	ds_read_b64 v[27:28], v26 offset:24960
	v_cmp_gt_u32_e64 s[10:11], 12, v14
	s_waitcnt lgkmcnt(0)
	v_fma_f64 v[11:12], v[11:12], v[27:28], 0
	s_and_saveexec_b64 s[12:13], s[10:11]
	s_cbranch_execnz .LBB48_1137
; %bb.842:
	s_or_b64 exec, exec, s[12:13]
	v_cmp_gt_u32_e64 s[10:11], 8, v14
	s_and_saveexec_b64 s[12:13], s[10:11]
	s_cbranch_execnz .LBB48_1138
.LBB48_843:
	s_or_b64 exec, exec, s[12:13]
	v_cmp_gt_u32_e64 s[10:11], 4, v14
	s_and_saveexec_b64 s[12:13], s[10:11]
	s_cbranch_execz .LBB48_845
.LBB48_844:
	v_lshlrev_b32_e32 v26, 3, v0
	v_mov_b32_e32 v28, 0
	ds_read_b64 v[26:27], v26 offset:26528
	ds_read_b64 v[28:29], v28 offset:24984
	s_waitcnt lgkmcnt(0)
	v_fma_f64 v[11:12], v[26:27], v[28:29], v[11:12]
.LBB48_845:
	s_or_b64 exec, exec, s[12:13]
	v_xor_b32_e32 v12, 0x80000000, v12
.LBB48_846:
	s_or_b64 exec, exec, s[0:1]
	s_and_saveexec_b64 s[0:1], s[38:39]
	s_cbranch_execz .LBB48_848
; %bb.847:
	v_mov_b32_e32 v26, 0
	ds_read_b64 v[26:27], v26 offset:27040
	s_waitcnt lgkmcnt(0)
	v_mul_f64 v[11:12], v[11:12], v[26:27]
	ds_write_b64 v18, v[11:12]
.LBB48_848:
	s_or_b64 exec, exec, s[0:1]
	s_waitcnt lgkmcnt(0)
	s_barrier
	s_and_saveexec_b64 s[0:1], s[42:43]
	s_cbranch_execz .LBB48_850
; %bb.849:
	ds_read_b64 v[26:27], v17 offset:27040
	ds_read_b64 v[28:29], v18
	s_waitcnt lgkmcnt(0)
	v_fma_f64 v[11:12], v[26:27], v[28:29], v[11:12]
.LBB48_850:
	s_or_b64 exec, exec, s[0:1]
	s_barrier
	s_and_saveexec_b64 s[0:1], s[52:53]
	s_cbranch_execz .LBB48_852
; %bb.851:
	v_mov_b32_e32 v26, 0
	ds_read_b64 v[26:27], v26 offset:27560
	s_waitcnt lgkmcnt(0)
	v_mul_f64 v[11:12], v[11:12], v[26:27]
	ds_write_b64 v18, v[11:12]
.LBB48_852:
	s_or_b64 exec, exec, s[0:1]
	s_waitcnt lgkmcnt(0)
	s_barrier
	s_and_saveexec_b64 s[0:1], s[54:55]
	s_cbranch_execz .LBB48_854
; %bb.853:
	ds_read_b64 v[26:27], v17 offset:27552
	ds_read_b64 v[28:29], v18
	s_waitcnt lgkmcnt(0)
	v_fma_f64 v[11:12], v[26:27], v[28:29], v[11:12]
.LBB48_854:
	s_or_b64 exec, exec, s[0:1]
	s_barrier
	s_and_saveexec_b64 s[0:1], s[56:57]
	s_cbranch_execz .LBB48_856
; %bb.855:
	v_mov_b32_e32 v26, 0
	ds_read_b64 v[26:27], v26 offset:28080
	s_waitcnt lgkmcnt(0)
	v_mul_f64 v[11:12], v[11:12], v[26:27]
	ds_write_b64 v18, v[11:12]
.LBB48_856:
	s_or_b64 exec, exec, s[0:1]
	s_waitcnt lgkmcnt(0)
	s_barrier
	s_and_saveexec_b64 s[0:1], s[36:37]
	s_cbranch_execz .LBB48_858
; %bb.857:
	v_mov_b32_e32 v26, 0
	ds_read_b64 v[26:27], v26 offset:28088
	ds_read_b64 v[28:29], v18
	s_waitcnt lgkmcnt(0)
	v_fma_f64 v[11:12], v[26:27], v[28:29], v[11:12]
.LBB48_858:
	s_or_b64 exec, exec, s[0:1]
	s_barrier
	s_and_saveexec_b64 s[0:1], s[36:37]
	s_cbranch_execz .LBB48_860
; %bb.859:
	v_mov_b32_e32 v26, 0
	ds_read_b64 v[26:27], v26 offset:28600
	s_waitcnt lgkmcnt(0)
	v_mul_f64 v[11:12], v[11:12], v[26:27]
	ds_write_b64 v18, v[11:12]
.LBB48_860:
	s_or_b64 exec, exec, s[0:1]
	s_waitcnt lgkmcnt(0)
	s_barrier
	s_barrier
	s_and_saveexec_b64 s[0:1], s[18:19]
; %bb.861:
	v_xor_b32_e32 v12, 0x80000000, v12
	ds_write_b64 v16, v[11:12] offset:24992
; %bb.862:
	s_or_b64 exec, exec, s[0:1]
	s_waitcnt lgkmcnt(0)
	s_barrier
	s_barrier
	s_and_saveexec_b64 s[0:1], s[58:59]
	s_cbranch_execz .LBB48_864
; %bb.863:
	v_lshlrev_b32_e32 v26, 9, v0
	ds_read_b64 v[11:12], v26 offset:24992
	s_movk_i32 s10, 0xfe08
	v_mad_i32_i24 v27, v0, s10, v26
	s_waitcnt lgkmcnt(0)
	ds_write_b64 v27, v[11:12] offset:27008
	ds_read_b64 v[11:12], v26 offset:25000
	s_waitcnt lgkmcnt(0)
	ds_write_b64 v27, v[11:12] offset:27520
	ds_read_b64 v[11:12], v26 offset:25008
	;; [unrolled: 3-line block ×3, first 2 shown]
	s_waitcnt lgkmcnt(0)
	ds_write_b64 v27, v[11:12] offset:28544
.LBB48_864:
	s_or_b64 exec, exec, s[0:1]
	s_waitcnt lgkmcnt(0)
	s_barrier
	s_and_saveexec_b64 s[0:1], vcc
	s_cbranch_execz .LBB48_866
; %bb.865:
	v_mov_b32_e32 v11, 0
	ds_read_b128 v[26:29], v11 offset:27040
	ds_read_b64 v[11:12], v11 offset:27560
	s_movk_i32 s10, 0x6800
	s_waitcnt lgkmcnt(0)
	v_mul_f64 v[11:12], v[26:27], v[11:12]
	v_add_u32_e64 v26, s10, 0
	v_mul_f64 v[11:12], v[28:29], v[11:12]
	ds_write2_b64 v26, v[11:12], v[11:12] offset0:53 offset1:116
.LBB48_866:
	s_or_b64 exec, exec, s[0:1]
	v_mov_b32_e32 v11, 0
	v_mov_b32_e32 v12, 0
	s_waitcnt lgkmcnt(0)
	s_barrier
	s_and_saveexec_b64 s[0:1], s[2:3]
	s_cbranch_execz .LBB48_870
; %bb.867:
	v_mul_u32_u24_e32 v26, 0x208, v15
	ds_read_b64 v[11:12], v1 offset:27056
	ds_read_b64 v[26:27], v26 offset:27040
	v_cmp_gt_u32_e64 s[10:11], 2, v14
	s_waitcnt lgkmcnt(0)
	v_fma_f64 v[11:12], v[11:12], v[26:27], 0
	s_and_saveexec_b64 s[12:13], s[10:11]
	s_cbranch_execz .LBB48_869
; %bb.868:
	v_lshlrev_b32_e32 v26, 3, v0
	v_mov_b32_e32 v28, 0
	ds_read_b64 v[26:27], v26 offset:27568
	ds_read_b64 v[28:29], v28 offset:27048
	s_waitcnt lgkmcnt(0)
	v_fma_f64 v[11:12], v[26:27], v[28:29], v[11:12]
.LBB48_869:
	s_or_b64 exec, exec, s[12:13]
	v_xor_b32_e32 v12, 0x80000000, v12
.LBB48_870:
	s_or_b64 exec, exec, s[0:1]
	s_and_saveexec_b64 s[0:1], s[30:31]
	s_cbranch_execz .LBB48_872
; %bb.871:
	v_mov_b32_e32 v26, 0
	ds_read_b64 v[26:27], v26 offset:28080
	s_waitcnt lgkmcnt(0)
	v_mul_f64 v[11:12], v[11:12], v[26:27]
	ds_write_b64 v13, v[11:12]
.LBB48_872:
	s_or_b64 exec, exec, s[0:1]
	s_waitcnt lgkmcnt(0)
	s_barrier
	s_and_saveexec_b64 s[0:1], s[28:29]
	s_cbranch_execz .LBB48_874
; %bb.873:
	v_mov_b32_e32 v26, 0
	ds_read_b64 v[26:27], v26 offset:28088
	ds_read_b64 v[28:29], v13
	s_waitcnt lgkmcnt(0)
	v_fma_f64 v[11:12], v[26:27], v[28:29], v[11:12]
.LBB48_874:
	s_or_b64 exec, exec, s[0:1]
	s_barrier
	s_and_saveexec_b64 s[0:1], s[28:29]
	s_cbranch_execz .LBB48_876
; %bb.875:
	v_mov_b32_e32 v26, 0
	ds_read_b64 v[26:27], v26 offset:28600
	s_waitcnt lgkmcnt(0)
	v_mul_f64 v[11:12], v[11:12], v[26:27]
	ds_write_b64 v13, v[11:12]
.LBB48_876:
	s_or_b64 exec, exec, s[0:1]
	s_waitcnt lgkmcnt(0)
	s_barrier
	s_barrier
	s_and_saveexec_b64 s[0:1], s[2:3]
; %bb.877:
	v_xor_b32_e32 v12, 0x80000000, v12
	ds_write_b64 v1, v[11:12] offset:27056
; %bb.878:
	s_or_b64 exec, exec, s[0:1]
	s_waitcnt lgkmcnt(0)
	s_barrier
	s_barrier
	s_and_saveexec_b64 s[0:1], s[34:35]
	s_cbranch_execz .LBB48_880
; %bb.879:
	v_lshlrev_b32_e32 v26, 3, v0
	s_movk_i32 s10, 0x1f8
	v_mad_u32_u24 v27, v0, s10, v26
	ds_read_b64 v[11:12], v27 offset:27056
	s_waitcnt lgkmcnt(0)
	ds_write_b64 v26, v[11:12] offset:28064
	ds_read_b64 v[11:12], v27 offset:27064
	s_waitcnt lgkmcnt(0)
	ds_write_b64 v26, v[11:12] offset:28576
.LBB48_880:
	s_or_b64 exec, exec, s[0:1]
	s_waitcnt lgkmcnt(0)
	s_barrier
	s_and_saveexec_b64 s[0:1], vcc
	s_cbranch_execz .LBB48_882
; %bb.881:
	v_mov_b32_e32 v11, 0
	ds_read_b128 v[26:29], v11 offset:28080
	ds_read_b64 v[11:12], v11 offset:28600
	s_movk_i32 s10, 0x6800
	s_waitcnt lgkmcnt(0)
	v_mul_f64 v[11:12], v[26:27], v[11:12]
	v_add_u32_e64 v26, s10, 0
	v_mul_f64 v[11:12], v[28:29], v[11:12]
	ds_write2_b64 v26, v[11:12], v[11:12] offset0:183 offset1:246
.LBB48_882:
	s_or_b64 exec, exec, s[0:1]
	v_mov_b32_e32 v11, 0
	v_mov_b32_e32 v12, 0
	s_waitcnt lgkmcnt(0)
	s_barrier
	s_and_saveexec_b64 s[0:1], s[8:9]
	s_cbranch_execz .LBB48_892
; %bb.883:
	v_mul_u32_u24_e32 v26, 0x208, v25
	ds_read_b64 v[11:12], v21 offset:25024
	ds_read_b64 v[27:28], v26 offset:24960
	v_cmp_gt_u32_e64 s[10:11], 56, v14
	s_waitcnt lgkmcnt(0)
	v_fma_f64 v[11:12], v[11:12], v[27:28], 0
	s_and_saveexec_b64 s[12:13], s[10:11]
	s_cbranch_execnz .LBB48_1139
; %bb.884:
	s_or_b64 exec, exec, s[12:13]
	v_cmp_gt_u32_e64 s[10:11], 48, v14
	s_and_saveexec_b64 s[12:13], s[10:11]
	s_cbranch_execnz .LBB48_1140
.LBB48_885:
	s_or_b64 exec, exec, s[12:13]
	v_cmp_gt_u32_e64 s[10:11], 40, v14
	s_and_saveexec_b64 s[12:13], s[10:11]
	s_cbranch_execnz .LBB48_1141
.LBB48_886:
	s_or_b64 exec, exec, s[12:13]
	v_cmp_gt_u32_e64 s[10:11], 32, v14
	s_and_saveexec_b64 s[12:13], s[10:11]
	s_cbranch_execnz .LBB48_1142
.LBB48_887:
	s_or_b64 exec, exec, s[12:13]
	v_cmp_gt_u32_e64 s[10:11], 24, v14
	s_and_saveexec_b64 s[12:13], s[10:11]
	s_cbranch_execnz .LBB48_1143
.LBB48_888:
	s_or_b64 exec, exec, s[12:13]
	v_cmp_gt_u32_e64 s[10:11], 16, v14
	s_and_saveexec_b64 s[12:13], s[10:11]
	s_cbranch_execnz .LBB48_1144
.LBB48_889:
	s_or_b64 exec, exec, s[12:13]
	v_cmp_gt_u32_e64 s[10:11], 8, v14
	s_and_saveexec_b64 s[12:13], s[10:11]
	s_cbranch_execz .LBB48_891
.LBB48_890:
	v_lshlrev_b32_e32 v24, 3, v0
	v_mov_b32_e32 v26, 0
	ds_read_b64 v[24:25], v24 offset:28608
	ds_read_b64 v[26:27], v26 offset:25016
	s_waitcnt lgkmcnt(0)
	v_fma_f64 v[11:12], v[24:25], v[26:27], v[11:12]
.LBB48_891:
	s_or_b64 exec, exec, s[12:13]
	v_xor_b32_e32 v12, 0x80000000, v12
.LBB48_892:
	s_or_b64 exec, exec, s[0:1]
	s_mov_b64 s[0:1], exec
	v_readlane_b32 s10, v42, 3
	v_readlane_b32 s11, v42, 4
	s_and_b64 s[10:11], s[0:1], s[10:11]
	s_mov_b64 exec, s[10:11]
	s_cbranch_execz .LBB48_894
; %bb.893:
	v_mov_b32_e32 v24, 0
	ds_read_b64 v[24:25], v24 offset:29120
	s_waitcnt lgkmcnt(0)
	v_mul_f64 v[11:12], v[11:12], v[24:25]
	ds_write_b64 v23, v[11:12]
.LBB48_894:
	s_or_b64 exec, exec, s[0:1]
	s_waitcnt lgkmcnt(0)
	s_barrier
	s_and_saveexec_b64 s[0:1], s[62:63]
	s_cbranch_execz .LBB48_896
; %bb.895:
	ds_read_b64 v[24:25], v22 offset:29120
	ds_read_b64 v[26:27], v23
	s_waitcnt lgkmcnt(0)
	v_fma_f64 v[11:12], v[24:25], v[26:27], v[11:12]
.LBB48_896:
	s_or_b64 exec, exec, s[0:1]
	s_barrier
	s_and_saveexec_b64 s[0:1], s[64:65]
	s_cbranch_execz .LBB48_898
; %bb.897:
	v_mov_b32_e32 v24, 0
	ds_read_b64 v[24:25], v24 offset:29640
	s_waitcnt lgkmcnt(0)
	v_mul_f64 v[11:12], v[11:12], v[24:25]
	ds_write_b64 v23, v[11:12]
.LBB48_898:
	s_or_b64 exec, exec, s[0:1]
	s_waitcnt lgkmcnt(0)
	s_barrier
	s_and_saveexec_b64 s[0:1], s[66:67]
	s_cbranch_execz .LBB48_900
; %bb.899:
	ds_read_b64 v[24:25], v22 offset:29632
	ds_read_b64 v[26:27], v23
	s_waitcnt lgkmcnt(0)
	v_fma_f64 v[11:12], v[24:25], v[26:27], v[11:12]
.LBB48_900:
	s_or_b64 exec, exec, s[0:1]
	s_barrier
	s_and_saveexec_b64 s[0:1], s[68:69]
	;; [unrolled: 22-line block ×6, first 2 shown]
	s_cbranch_execz .LBB48_918
; %bb.917:
	v_mov_b32_e32 v22, 0
	ds_read_b64 v[24:25], v22 offset:32240
	s_waitcnt lgkmcnt(0)
	v_mul_f64 v[11:12], v[11:12], v[24:25]
	ds_write_b64 v23, v[11:12]
.LBB48_918:
	s_or_b64 exec, exec, s[0:1]
	s_waitcnt lgkmcnt(0)
	s_barrier
	s_and_saveexec_b64 s[0:1], s[70:71]
	s_cbranch_execz .LBB48_920
; %bb.919:
	v_mov_b32_e32 v22, 0
	ds_read_b64 v[24:25], v22 offset:32248
	ds_read_b64 v[26:27], v23
	s_waitcnt lgkmcnt(0)
	v_fma_f64 v[11:12], v[24:25], v[26:27], v[11:12]
.LBB48_920:
	s_or_b64 exec, exec, s[0:1]
	s_barrier
	s_and_saveexec_b64 s[0:1], s[70:71]
	s_cbranch_execz .LBB48_922
; %bb.921:
	v_mov_b32_e32 v22, 0
	ds_read_b64 v[24:25], v22 offset:32760
	s_waitcnt lgkmcnt(0)
	v_mul_f64 v[11:12], v[11:12], v[24:25]
	ds_write_b64 v23, v[11:12]
.LBB48_922:
	s_or_b64 exec, exec, s[0:1]
	s_waitcnt lgkmcnt(0)
	s_barrier
	s_barrier
	s_and_saveexec_b64 s[0:1], s[8:9]
; %bb.923:
	v_xor_b32_e32 v12, 0x80000000, v12
	ds_write_b64 v21, v[11:12] offset:25024
; %bb.924:
	s_or_b64 exec, exec, s[0:1]
	s_waitcnt lgkmcnt(0)
	s_barrier
	s_barrier
	s_and_saveexec_b64 s[0:1], s[88:89]
	s_cbranch_execz .LBB48_926
; %bb.925:
	v_lshlrev_b32_e32 v21, 9, v0
	ds_read_b64 v[11:12], v21 offset:25024
	s_movk_i32 s8, 0xfe08
	v_mad_i32_i24 v22, v0, s8, v21
	s_waitcnt lgkmcnt(0)
	ds_write_b64 v22, v[11:12] offset:29056
	ds_read_b64 v[11:12], v21 offset:25032
	s_waitcnt lgkmcnt(0)
	ds_write_b64 v22, v[11:12] offset:29568
	ds_read_b64 v[11:12], v21 offset:25040
	;; [unrolled: 3-line block ×7, first 2 shown]
	s_waitcnt lgkmcnt(0)
	ds_write_b64 v22, v[11:12] offset:32640
.LBB48_926:
	s_or_b64 exec, exec, s[0:1]
	s_waitcnt lgkmcnt(0)
	s_barrier
	s_and_saveexec_b64 s[0:1], vcc
	s_cbranch_execz .LBB48_928
; %bb.927:
	v_mov_b32_e32 v11, 0
	ds_read_b128 v[21:24], v11 offset:29120
	ds_read_b64 v[11:12], v11 offset:29640
	s_movk_i32 s8, 0x7000
	s_waitcnt lgkmcnt(0)
	v_mul_f64 v[11:12], v[21:22], v[11:12]
	v_add_u32_e64 v21, s8, 0
	v_mul_f64 v[11:12], v[23:24], v[11:12]
	ds_write2_b64 v21, v[11:12], v[11:12] offset0:57 offset1:120
.LBB48_928:
	s_or_b64 exec, exec, s[0:1]
	v_mov_b32_e32 v11, 0
	v_mov_b32_e32 v12, 0
	s_waitcnt lgkmcnt(0)
	s_barrier
	s_and_saveexec_b64 s[0:1], s[2:3]
	s_cbranch_execz .LBB48_932
; %bb.929:
	v_mul_u32_u24_e32 v21, 0x208, v15
	ds_read_b64 v[11:12], v1 offset:29136
	ds_read_b64 v[21:22], v21 offset:29120
	v_cmp_gt_u32_e64 s[8:9], 2, v14
	s_waitcnt lgkmcnt(0)
	v_fma_f64 v[11:12], v[11:12], v[21:22], 0
	s_and_saveexec_b64 s[10:11], s[8:9]
	s_cbranch_execz .LBB48_931
; %bb.930:
	v_lshlrev_b32_e32 v21, 3, v0
	v_mov_b32_e32 v23, 0
	ds_read_b64 v[21:22], v21 offset:29648
	ds_read_b64 v[23:24], v23 offset:29128
	s_waitcnt lgkmcnt(0)
	v_fma_f64 v[11:12], v[21:22], v[23:24], v[11:12]
.LBB48_931:
	s_or_b64 exec, exec, s[10:11]
	v_xor_b32_e32 v12, 0x80000000, v12
.LBB48_932:
	s_or_b64 exec, exec, s[0:1]
	s_and_saveexec_b64 s[0:1], s[30:31]
	s_cbranch_execz .LBB48_934
; %bb.933:
	v_mov_b32_e32 v21, 0
	ds_read_b64 v[21:22], v21 offset:30160
	s_waitcnt lgkmcnt(0)
	v_mul_f64 v[11:12], v[11:12], v[21:22]
	ds_write_b64 v13, v[11:12]
.LBB48_934:
	s_or_b64 exec, exec, s[0:1]
	s_waitcnt lgkmcnt(0)
	s_barrier
	s_and_saveexec_b64 s[0:1], s[28:29]
	s_cbranch_execz .LBB48_936
; %bb.935:
	v_mov_b32_e32 v21, 0
	ds_read_b64 v[21:22], v21 offset:30168
	ds_read_b64 v[23:24], v13
	s_waitcnt lgkmcnt(0)
	v_fma_f64 v[11:12], v[21:22], v[23:24], v[11:12]
.LBB48_936:
	s_or_b64 exec, exec, s[0:1]
	s_barrier
	s_and_saveexec_b64 s[0:1], s[28:29]
	s_cbranch_execz .LBB48_938
; %bb.937:
	v_mov_b32_e32 v21, 0
	ds_read_b64 v[21:22], v21 offset:30680
	s_waitcnt lgkmcnt(0)
	v_mul_f64 v[11:12], v[11:12], v[21:22]
	ds_write_b64 v13, v[11:12]
.LBB48_938:
	s_or_b64 exec, exec, s[0:1]
	s_waitcnt lgkmcnt(0)
	s_barrier
	s_barrier
	s_and_saveexec_b64 s[0:1], s[2:3]
; %bb.939:
	v_xor_b32_e32 v12, 0x80000000, v12
	ds_write_b64 v1, v[11:12] offset:29136
; %bb.940:
	s_or_b64 exec, exec, s[0:1]
	s_waitcnt lgkmcnt(0)
	s_barrier
	s_barrier
	s_and_saveexec_b64 s[0:1], s[34:35]
	s_cbranch_execz .LBB48_942
; %bb.941:
	v_lshlrev_b32_e32 v21, 3, v0
	s_movk_i32 s8, 0x1f8
	v_mad_u32_u24 v22, v0, s8, v21
	ds_read_b64 v[11:12], v22 offset:29136
	s_waitcnt lgkmcnt(0)
	ds_write_b64 v21, v[11:12] offset:30144
	ds_read_b64 v[11:12], v22 offset:29144
	s_waitcnt lgkmcnt(0)
	ds_write_b64 v21, v[11:12] offset:30656
.LBB48_942:
	s_or_b64 exec, exec, s[0:1]
	s_waitcnt lgkmcnt(0)
	s_barrier
	s_and_saveexec_b64 s[0:1], vcc
	s_cbranch_execz .LBB48_944
; %bb.943:
	v_mov_b32_e32 v11, 0
	ds_read_b128 v[21:24], v11 offset:30160
	ds_read_b64 v[11:12], v11 offset:30680
	s_movk_i32 s8, 0x7000
	s_waitcnt lgkmcnt(0)
	v_mul_f64 v[11:12], v[21:22], v[11:12]
	v_add_u32_e64 v21, s8, 0
	v_mul_f64 v[11:12], v[23:24], v[11:12]
	ds_write2_b64 v21, v[11:12], v[11:12] offset0:187 offset1:250
.LBB48_944:
	s_or_b64 exec, exec, s[0:1]
	v_mov_b32_e32 v11, 0
	v_mov_b32_e32 v12, 0
	s_waitcnt lgkmcnt(0)
	s_barrier
	s_and_saveexec_b64 s[0:1], s[18:19]
	s_cbranch_execz .LBB48_950
; %bb.945:
	v_mul_u32_u24_e32 v21, 0x208, v20
	ds_read_b64 v[11:12], v16 offset:29152
	ds_read_b64 v[22:23], v21 offset:29120
	v_cmp_gt_u32_e64 s[8:9], 12, v14
	s_waitcnt lgkmcnt(0)
	v_fma_f64 v[11:12], v[11:12], v[22:23], 0
	s_and_saveexec_b64 s[10:11], s[8:9]
	s_cbranch_execnz .LBB48_1145
; %bb.946:
	s_or_b64 exec, exec, s[10:11]
	v_cmp_gt_u32_e64 s[8:9], 8, v14
	s_and_saveexec_b64 s[10:11], s[8:9]
	s_cbranch_execnz .LBB48_1146
.LBB48_947:
	s_or_b64 exec, exec, s[10:11]
	v_cmp_gt_u32_e64 s[8:9], 4, v14
	s_and_saveexec_b64 s[10:11], s[8:9]
	s_cbranch_execz .LBB48_949
.LBB48_948:
	v_lshlrev_b32_e32 v19, 3, v0
	v_mov_b32_e32 v21, 0
	ds_read_b64 v[19:20], v19 offset:30688
	ds_read_b64 v[21:22], v21 offset:29144
	s_waitcnt lgkmcnt(0)
	v_fma_f64 v[11:12], v[19:20], v[21:22], v[11:12]
.LBB48_949:
	s_or_b64 exec, exec, s[10:11]
	v_xor_b32_e32 v12, 0x80000000, v12
.LBB48_950:
	s_or_b64 exec, exec, s[0:1]
	s_and_saveexec_b64 s[0:1], s[38:39]
	s_cbranch_execz .LBB48_952
; %bb.951:
	v_mov_b32_e32 v19, 0
	ds_read_b64 v[19:20], v19 offset:31200
	s_waitcnt lgkmcnt(0)
	v_mul_f64 v[11:12], v[11:12], v[19:20]
	ds_write_b64 v18, v[11:12]
.LBB48_952:
	s_or_b64 exec, exec, s[0:1]
	s_waitcnt lgkmcnt(0)
	s_barrier
	s_and_saveexec_b64 s[0:1], s[42:43]
	v_readlane_b32 s38, v42, 2
	s_cbranch_execz .LBB48_954
; %bb.953:
	ds_read_b64 v[19:20], v17 offset:31200
	ds_read_b64 v[21:22], v18
	s_waitcnt lgkmcnt(0)
	v_fma_f64 v[11:12], v[19:20], v[21:22], v[11:12]
.LBB48_954:
	s_or_b64 exec, exec, s[0:1]
	s_barrier
	s_and_saveexec_b64 s[0:1], s[52:53]
	s_cbranch_execz .LBB48_956
; %bb.955:
	v_mov_b32_e32 v19, 0
	ds_read_b64 v[19:20], v19 offset:31720
	s_waitcnt lgkmcnt(0)
	v_mul_f64 v[11:12], v[11:12], v[19:20]
	ds_write_b64 v18, v[11:12]
.LBB48_956:
	s_or_b64 exec, exec, s[0:1]
	s_waitcnt lgkmcnt(0)
	s_barrier
	s_and_saveexec_b64 s[0:1], s[54:55]
	s_cbranch_execz .LBB48_958
; %bb.957:
	ds_read_b64 v[19:20], v17 offset:31712
	ds_read_b64 v[21:22], v18
	s_waitcnt lgkmcnt(0)
	v_fma_f64 v[11:12], v[19:20], v[21:22], v[11:12]
.LBB48_958:
	s_or_b64 exec, exec, s[0:1]
	s_barrier
	s_and_saveexec_b64 s[0:1], s[56:57]
	s_cbranch_execz .LBB48_960
; %bb.959:
	v_mov_b32_e32 v17, 0
	ds_read_b64 v[19:20], v17 offset:32240
	s_waitcnt lgkmcnt(0)
	v_mul_f64 v[11:12], v[11:12], v[19:20]
	ds_write_b64 v18, v[11:12]
.LBB48_960:
	s_or_b64 exec, exec, s[0:1]
	s_waitcnt lgkmcnt(0)
	s_barrier
	s_and_saveexec_b64 s[0:1], s[36:37]
	s_cbranch_execz .LBB48_962
; %bb.961:
	v_mov_b32_e32 v17, 0
	ds_read_b64 v[19:20], v17 offset:32248
	ds_read_b64 v[21:22], v18
	s_waitcnt lgkmcnt(0)
	v_fma_f64 v[11:12], v[19:20], v[21:22], v[11:12]
.LBB48_962:
	s_or_b64 exec, exec, s[0:1]
	s_barrier
	s_and_saveexec_b64 s[0:1], s[36:37]
	s_cbranch_execz .LBB48_964
; %bb.963:
	v_mov_b32_e32 v17, 0
	ds_read_b64 v[19:20], v17 offset:32760
	s_waitcnt lgkmcnt(0)
	v_mul_f64 v[11:12], v[11:12], v[19:20]
	ds_write_b64 v18, v[11:12]
.LBB48_964:
	s_or_b64 exec, exec, s[0:1]
	s_waitcnt lgkmcnt(0)
	s_barrier
	s_barrier
	s_and_saveexec_b64 s[0:1], s[18:19]
; %bb.965:
	v_xor_b32_e32 v12, 0x80000000, v12
	ds_write_b64 v16, v[11:12] offset:29152
; %bb.966:
	s_or_b64 exec, exec, s[0:1]
	s_waitcnt lgkmcnt(0)
	s_barrier
	s_barrier
	s_and_saveexec_b64 s[0:1], s[58:59]
	s_cbranch_execz .LBB48_968
; %bb.967:
	v_lshlrev_b32_e32 v16, 9, v0
	ds_read_b64 v[11:12], v16 offset:29152
	s_movk_i32 s8, 0xfe08
	v_mad_i32_i24 v17, v0, s8, v16
	s_waitcnt lgkmcnt(0)
	ds_write_b64 v17, v[11:12] offset:31168
	ds_read_b64 v[11:12], v16 offset:29160
	s_waitcnt lgkmcnt(0)
	ds_write_b64 v17, v[11:12] offset:31680
	ds_read_b64 v[11:12], v16 offset:29168
	;; [unrolled: 3-line block ×3, first 2 shown]
	s_waitcnt lgkmcnt(0)
	ds_write_b64 v17, v[11:12] offset:32704
.LBB48_968:
	s_or_b64 exec, exec, s[0:1]
	s_waitcnt lgkmcnt(0)
	s_barrier
	s_and_saveexec_b64 s[0:1], vcc
	s_cbranch_execz .LBB48_970
; %bb.969:
	v_mov_b32_e32 v11, 0
	ds_read_b128 v[16:19], v11 offset:31200
	ds_read_b64 v[11:12], v11 offset:31720
	s_movk_i32 s8, 0x7800
	s_waitcnt lgkmcnt(0)
	v_mul_f64 v[11:12], v[16:17], v[11:12]
	v_add_u32_e64 v16, s8, 0
	v_mul_f64 v[11:12], v[18:19], v[11:12]
	ds_write2_b64 v16, v[11:12], v[11:12] offset0:61 offset1:124
.LBB48_970:
	s_or_b64 exec, exec, s[0:1]
	v_mov_b32_e32 v11, 0
	v_mov_b32_e32 v12, 0
	s_waitcnt lgkmcnt(0)
	s_barrier
	s_and_saveexec_b64 s[0:1], s[2:3]
	s_cbranch_execz .LBB48_974
; %bb.971:
	v_mul_u32_u24_e32 v15, 0x208, v15
	ds_read_b64 v[11:12], v1 offset:31216
	ds_read_b64 v[15:16], v15 offset:31200
	v_cmp_gt_u32_e64 s[8:9], 2, v14
	s_waitcnt lgkmcnt(0)
	v_fma_f64 v[11:12], v[11:12], v[15:16], 0
	s_and_saveexec_b64 s[10:11], s[8:9]
	s_cbranch_execz .LBB48_973
; %bb.972:
	v_lshlrev_b32_e32 v14, 3, v0
	v_mov_b32_e32 v16, 0
	ds_read_b64 v[14:15], v14 offset:31728
	ds_read_b64 v[16:17], v16 offset:31208
	s_waitcnt lgkmcnt(0)
	v_fma_f64 v[11:12], v[14:15], v[16:17], v[11:12]
.LBB48_973:
	s_or_b64 exec, exec, s[10:11]
	v_xor_b32_e32 v12, 0x80000000, v12
.LBB48_974:
	s_or_b64 exec, exec, s[0:1]
	s_and_saveexec_b64 s[0:1], s[30:31]
	s_cbranch_execz .LBB48_976
; %bb.975:
	v_mov_b32_e32 v14, 0
	ds_read_b64 v[14:15], v14 offset:32240
	s_waitcnt lgkmcnt(0)
	v_mul_f64 v[11:12], v[11:12], v[14:15]
	ds_write_b64 v13, v[11:12]
.LBB48_976:
	s_or_b64 exec, exec, s[0:1]
	s_waitcnt lgkmcnt(0)
	s_barrier
	s_and_saveexec_b64 s[0:1], s[28:29]
	s_load_dword s30, s[4:5], 0x6c
	s_cbranch_execz .LBB48_978
; %bb.977:
	v_mov_b32_e32 v14, 0
	ds_read_b64 v[14:15], v14 offset:32248
	ds_read_b64 v[16:17], v13
	s_waitcnt lgkmcnt(0)
	v_fma_f64 v[11:12], v[14:15], v[16:17], v[11:12]
.LBB48_978:
	s_or_b64 exec, exec, s[0:1]
	s_waitcnt lgkmcnt(0)
	s_barrier
	s_and_saveexec_b64 s[0:1], s[28:29]
	s_cbranch_execz .LBB48_980
; %bb.979:
	v_mov_b32_e32 v14, 0
	ds_read_b64 v[14:15], v14 offset:32760
	s_waitcnt lgkmcnt(0)
	v_mul_f64 v[11:12], v[11:12], v[14:15]
	ds_write_b64 v13, v[11:12]
.LBB48_980:
	s_or_b64 exec, exec, s[0:1]
	s_waitcnt lgkmcnt(0)
	s_barrier
	s_barrier
	s_and_saveexec_b64 s[0:1], s[2:3]
; %bb.981:
	v_xor_b32_e32 v12, 0x80000000, v12
	ds_write_b64 v1, v[11:12] offset:31216
; %bb.982:
	s_or_b64 exec, exec, s[0:1]
	s_waitcnt lgkmcnt(0)
	s_barrier
	s_barrier
	s_and_saveexec_b64 s[0:1], s[34:35]
	s_cbranch_execz .LBB48_984
; %bb.983:
	v_lshlrev_b32_e32 v1, 3, v0
	s_movk_i32 s2, 0x1f8
	v_mad_u32_u24 v13, v0, s2, v1
	ds_read_b64 v[11:12], v13 offset:31216
	s_waitcnt lgkmcnt(0)
	ds_write_b64 v1, v[11:12] offset:32224
	ds_read_b64 v[11:12], v13 offset:31224
	s_waitcnt lgkmcnt(0)
	ds_write_b64 v1, v[11:12] offset:32736
.LBB48_984:
	s_or_b64 exec, exec, s[0:1]
	s_waitcnt lgkmcnt(0)
	s_barrier
	s_and_saveexec_b64 s[0:1], vcc
	s_cbranch_execz .LBB48_986
; %bb.985:
	v_mov_b32_e32 v1, 0
	ds_read_b128 v[11:14], v1 offset:32240
	ds_read_b64 v[15:16], v1 offset:32760
	s_movk_i32 s2, 0x7800
	v_add_u32_e64 v1, s2, 0
	s_waitcnt lgkmcnt(0)
	v_mul_f64 v[11:12], v[11:12], v[15:16]
	v_mul_f64 v[11:12], v[13:14], v[11:12]
	ds_write2_b64 v1, v[11:12], v[11:12] offset0:191 offset1:254
.LBB48_986:
	s_or_b64 exec, exec, s[0:1]
.LBB48_987:
	s_load_dwordx4 s[12:15], s[4:5], 0x48
	v_cmp_le_i32_e32 vcc, s90, v0
	v_mov_b32_e32 v11, 0
	v_mov_b32_e32 v12, 0
	v_add_u32_e32 v13, s33, v0
	s_waitcnt lgkmcnt(0)
	s_mul_i32 s1, s13, s22
	s_mul_hi_u32 s2, s12, s22
	s_mul_i32 s0, s12, s22
	s_add_i32 s1, s2, s1
	s_lshl_b64 s[0:1], s[0:1], 3
	s_add_u32 s2, s46, s0
	s_addc_u32 s3, s47, s1
	s_lshl_b64 s[0:1], s[48:49], 3
	s_add_u32 s20, s2, s0
	s_addc_u32 s21, s3, s1
	s_and_b64 s[16:17], vcc, s[26:27]
	v_cmp_eq_u32_e64 s[2:3], 0, v2
	s_xor_b64 s[0:1], s[16:17], -1
	s_and_b64 s[4:5], s[2:3], s[0:1]
	s_barrier
	s_and_saveexec_b64 s[0:1], s[4:5]
	s_cbranch_execz .LBB48_989
; %bb.988:
	v_ashrrev_i32_e32 v1, 31, v13
	v_mul_lo_u32 v14, s51, v13
	v_mad_u64_u32 v[11:12], s[4:5], s50, v13, 0
	v_mul_lo_u32 v1, s50, v1
	v_add3_u32 v12, v12, v1, v14
	v_lshlrev_b64 v[11:12], 3, v[11:12]
	v_mov_b32_e32 v1, s21
	v_add_co_u32_e32 v11, vcc, s20, v11
	v_addc_co_u32_e32 v12, vcc, v1, v12, vcc
	global_load_dwordx2 v[11:12], v[11:12], off
	s_waitcnt vmcnt(0)
	v_mul_f64 v[11:12], v[11:12], -s[44:45]
.LBB48_989:
	s_or_b64 exec, exec, s[0:1]
	s_and_b32 s0, 0xffff, s30
	v_mad_u32_u24 v18, v2, s0, v0
	v_mov_b32_e32 v1, 0
	s_cmp_lt_i32 s6, 1
	v_cmp_eq_u32_e64 s[4:5], 0, v18
	s_cbranch_scc1 .LBB48_1015
; %bb.990:
	v_ashrrev_i32_e32 v16, 31, v13
	v_mul_lo_u32 v17, s41, v13
	v_mad_u64_u32 v[14:15], s[0:1], s40, v13, 0
	v_mul_lo_u32 v16, s40, v16
	v_cmp_gt_i32_e64 s[8:9], s24, v13
	s_lshl_b64 s[0:1], s[22:23], 2
	s_add_u32 s0, s14, s0
	v_add3_u32 v15, v15, v16, v17
	v_lshlrev_b64 v[13:14], 3, v[14:15]
	v_mov_b32_e32 v16, 0xa000
	v_mov_b32_e32 v15, s60
	v_add_co_u32_e32 v21, vcc, s91, v13
	s_mov_b32 s28, 0
	s_addc_u32 s1, s15, s1
	v_cmp_gt_u32_e64 s[12:13], 64, v18
	v_lshl_add_u32 v19, v18, 3, v16
	v_lshl_or_b32 v20, v2, 3, v16
	s_add_i32 s61, s61, 1
	v_addc_co_u32_e32 v22, vcc, v15, v14, vcc
	v_mov_b32_e32 v23, -1
	s_branch .LBB48_993
.LBB48_991:                             ;   in Loop: Header=BB48_993 Depth=1
	ds_read_b64 v[13:14], v20 offset:384
	s_waitcnt vmcnt(0) lgkmcnt(0)
	v_fma_f64 v[11:12], v[15:16], v[13:14], v[11:12]
.LBB48_992:                             ;   in Loop: Header=BB48_993 Depth=1
	s_or_b64 exec, exec, s[18:19]
	s_add_i32 s28, s28, 1
	s_cmp_eq_u32 s28, s6
	s_cbranch_scc1 .LBB48_1015
.LBB48_993:                             ; =>This Loop Header: Depth=1
                                        ;     Child Loop BB48_995 Depth 2
	v_cmp_gt_i32_e32 vcc, s28, v23
	s_and_b64 s[18:19], s[4:5], vcc
	s_and_saveexec_b64 s[10:11], s[18:19]
	s_cbranch_execz .LBB48_996
; %bb.994:                              ;   in Loop: Header=BB48_993 Depth=1
	global_load_dword v23, v1, s[0:1]
	s_waitcnt vmcnt(0)
	v_cmp_le_i32_e32 vcc, s28, v23
	s_cbranch_vccnz .LBB48_996
.LBB48_995:                             ;   Parent Loop BB48_993 Depth=1
                                        ; =>  This Inner Loop Header: Depth=2
	buffer_wbinvl1_vol
	global_load_dword v23, v1, s[0:1]
	s_waitcnt vmcnt(0)
	v_cmp_gt_i32_e32 vcc, s28, v23
	s_cbranch_vccnz .LBB48_995
.LBB48_996:                             ;   in Loop: Header=BB48_993 Depth=1
	s_or_b64 exec, exec, s[10:11]
	s_sub_i32 s29, s7, s28
	s_lshl_b32 s30, s29, 6
	buffer_wbinvl1_vol
	s_barrier
	s_and_saveexec_b64 s[10:11], s[12:13]
	s_cbranch_execz .LBB48_1000
; %bb.997:                              ;   in Loop: Header=BB48_993 Depth=1
	s_ashr_i32 s18, s30, 31
	v_mov_b32_e32 v14, s18
	v_or_b32_e32 v13, s30, v18
	v_cmp_gt_i64_e32 vcc, s[24:25], v[13:14]
	v_mov_b32_e32 v15, 0
	v_mov_b32_e32 v16, 0
	s_and_saveexec_b64 s[18:19], vcc
	s_cbranch_execz .LBB48_999
; %bb.998:                              ;   in Loop: Header=BB48_993 Depth=1
	v_mul_lo_u32 v15, v14, s50
	v_mul_lo_u32 v16, v13, s51
	v_mad_u64_u32 v[13:14], s[34:35], v13, s50, 0
	v_add3_u32 v14, v14, v16, v15
	v_lshlrev_b64 v[13:14], 3, v[13:14]
	v_mov_b32_e32 v15, s21
	v_add_co_u32_e32 v13, vcc, s20, v13
	v_addc_co_u32_e32 v14, vcc, v15, v14, vcc
	global_load_dwordx2 v[15:16], v[13:14], off
.LBB48_999:                             ;   in Loop: Header=BB48_993 Depth=1
	s_or_b64 exec, exec, s[18:19]
	s_waitcnt vmcnt(0)
	ds_write_b64 v19, v[15:16]
.LBB48_1000:                            ;   in Loop: Header=BB48_993 Depth=1
	s_or_b64 exec, exec, s[10:11]
	v_add_u32_e32 v15, s30, v2
	v_ashrrev_i32_e32 v16, 31, v15
	v_lshlrev_b64 v[13:14], 3, v[15:16]
	s_cmp_lg_u32 s29, s61
	v_add_co_u32_e32 v13, vcc, v21, v13
	s_cselect_b64 s[10:11], -1, 0
	v_addc_co_u32_e32 v14, vcc, v22, v14, vcc
	v_cmp_gt_i32_e32 vcc, s24, v15
	v_cndmask_b32_e64 v16, 0, 1, s[10:11]
	s_and_b64 s[30:31], vcc, s[8:9]
	v_cmp_ne_u32_e64 s[10:11], 1, v16
	s_waitcnt lgkmcnt(0)
	s_barrier
	s_and_saveexec_b64 s[18:19], s[30:31]
	s_cbranch_execz .LBB48_1004
; %bb.1001:                             ;   in Loop: Header=BB48_993 Depth=1
	v_mov_b32_e32 v17, v6
	s_and_b64 vcc, exec, s[10:11]
	v_mov_b32_e32 v16, v5
	s_cbranch_vccnz .LBB48_1003
; %bb.1002:                             ;   in Loop: Header=BB48_993 Depth=1
	global_load_dwordx2 v[16:17], v[13:14], off
.LBB48_1003:                            ;   in Loop: Header=BB48_993 Depth=1
	ds_read_b64 v[24:25], v20
	s_waitcnt vmcnt(0) lgkmcnt(0)
	v_fma_f64 v[11:12], v[16:17], v[24:25], v[11:12]
.LBB48_1004:                            ;   in Loop: Header=BB48_993 Depth=1
	s_or_b64 exec, exec, s[18:19]
	v_add_u32_e32 v16, 16, v15
	v_cmp_gt_i32_e32 vcc, s24, v16
	s_and_b64 s[30:31], vcc, s[8:9]
	s_and_saveexec_b64 s[18:19], s[30:31]
	s_cbranch_execz .LBB48_1008
; %bb.1005:                             ;   in Loop: Header=BB48_993 Depth=1
	v_mov_b32_e32 v17, v4
	s_and_b64 vcc, exec, s[10:11]
	v_mov_b32_e32 v16, v3
	s_cbranch_vccnz .LBB48_1007
; %bb.1006:                             ;   in Loop: Header=BB48_993 Depth=1
	global_load_dwordx2 v[16:17], v[13:14], off offset:128
.LBB48_1007:                            ;   in Loop: Header=BB48_993 Depth=1
	ds_read_b64 v[24:25], v20 offset:128
	s_waitcnt vmcnt(0) lgkmcnt(0)
	v_fma_f64 v[11:12], v[16:17], v[24:25], v[11:12]
.LBB48_1008:                            ;   in Loop: Header=BB48_993 Depth=1
	s_or_b64 exec, exec, s[18:19]
	v_add_u32_e32 v16, 32, v15
	v_cmp_gt_i32_e32 vcc, s24, v16
	s_and_b64 s[30:31], vcc, s[8:9]
	s_and_saveexec_b64 s[18:19], s[30:31]
	s_cbranch_execz .LBB48_1012
; %bb.1009:                             ;   in Loop: Header=BB48_993 Depth=1
	v_mov_b32_e32 v17, v10
	s_and_b64 vcc, exec, s[10:11]
	v_mov_b32_e32 v16, v9
	s_cbranch_vccnz .LBB48_1011
; %bb.1010:                             ;   in Loop: Header=BB48_993 Depth=1
	global_load_dwordx2 v[16:17], v[13:14], off offset:256
.LBB48_1011:                            ;   in Loop: Header=BB48_993 Depth=1
	ds_read_b64 v[24:25], v20 offset:256
	s_waitcnt vmcnt(0) lgkmcnt(0)
	v_fma_f64 v[11:12], v[16:17], v[24:25], v[11:12]
.LBB48_1012:                            ;   in Loop: Header=BB48_993 Depth=1
	s_or_b64 exec, exec, s[18:19]
	v_add_u32_e32 v15, 48, v15
	v_cmp_gt_i32_e32 vcc, s24, v15
	s_and_b64 s[30:31], vcc, s[8:9]
	s_and_saveexec_b64 s[18:19], s[30:31]
	s_cbranch_execz .LBB48_992
; %bb.1013:                             ;   in Loop: Header=BB48_993 Depth=1
	v_mov_b32_e32 v16, v8
	s_and_b64 vcc, exec, s[10:11]
	v_mov_b32_e32 v15, v7
	s_cbranch_vccnz .LBB48_991
; %bb.1014:                             ;   in Loop: Header=BB48_993 Depth=1
	global_load_dwordx2 v[15:16], v[13:14], off offset:384
	s_branch .LBB48_991
.LBB48_1015:
	v_lshl_add_u32 v1, v2, 6, v0
	s_xor_b64 s[0:1], s[26:27], -1
	v_lshlrev_b32_e32 v1, 3, v1
	ds_write_b64 v1, v[11:12] offset:32768
	s_waitcnt lgkmcnt(0)
	s_barrier
	s_and_saveexec_b64 s[4:5], s[2:3]
	s_cbranch_execz .LBB48_1017
; %bb.1016:
	v_lshlrev_b32_e32 v15, 3, v0
	ds_read2st64_b64 v[3:6], v15 offset0:65 offset1:66
	ds_read_b64 v[13:14], v15 offset:40448
	s_waitcnt lgkmcnt(1)
	v_add_f64 v[3:4], v[11:12], v[3:4]
	v_add_f64 v[11:12], v[3:4], v[5:6]
	ds_read2st64_b64 v[3:6], v15 offset0:67 offset1:68
	ds_read2st64_b64 v[7:10], v15 offset0:69 offset1:70
	s_waitcnt lgkmcnt(1)
	v_add_f64 v[3:4], v[11:12], v[3:4]
	v_add_f64 v[3:4], v[3:4], v[5:6]
	s_waitcnt lgkmcnt(0)
	v_add_f64 v[3:4], v[3:4], v[7:8]
	v_add_f64 v[11:12], v[3:4], v[9:10]
	ds_read2st64_b64 v[3:6], v15 offset0:71 offset1:72
	ds_read2st64_b64 v[7:10], v15 offset0:73 offset1:74
	s_waitcnt lgkmcnt(1)
	v_add_f64 v[3:4], v[11:12], v[3:4]
	v_add_f64 v[3:4], v[3:4], v[5:6]
	;; [unrolled: 8-line block ×3, first 2 shown]
	s_waitcnt lgkmcnt(0)
	v_add_f64 v[3:4], v[3:4], v[7:8]
	v_add_f64 v[3:4], v[3:4], v[9:10]
	;; [unrolled: 1-line block ×3, first 2 shown]
	v_xor_b32_e32 v4, 0x80000000, v4
	v_cndmask_b32_e64 v12, v4, 0, s[16:17]
	v_cndmask_b32_e64 v11, v3, 0, s[16:17]
.LBB48_1017:
	s_or_b64 exec, exec, s[4:5]
	v_readlane_b32 s4, v42, 0
	v_readlane_b32 s5, v42, 1
	s_and_b64 vcc, exec, s[4:5]
	s_cbranch_vccnz .LBB48_1030
; %bb.1018:
	v_mov_b32_e32 v3, 0xa000
	v_lshl_or_b32 v5, v2, 3, v3
	s_and_saveexec_b64 s[4:5], s[2:3]
; %bb.1019:
	v_lshl_add_u32 v3, v0, 3, v5
	ds_write_b64 v3, v[11:12]
; %bb.1020:
	s_or_b64 exec, exec, s[4:5]
	v_mov_b32_e32 v3, 0
	v_mov_b32_e32 v4, 0
	v_cmp_le_u32_e32 vcc, v0, v2
	s_waitcnt lgkmcnt(0)
	s_barrier
	s_and_saveexec_b64 s[4:5], vcc
	s_cbranch_execz .LBB48_1022
; %bb.1021:
	ds_read_b64 v[3:4], v1
	ds_read_b64 v[6:7], v5
	s_waitcnt lgkmcnt(0)
	v_fma_f64 v[3:4], v[3:4], v[6:7], 0
.LBB48_1022:
	s_or_b64 exec, exec, s[4:5]
	v_add_u32_e32 v6, 16, v2
	v_cmp_le_u32_e32 vcc, v0, v6
	s_and_saveexec_b64 s[4:5], vcc
	s_cbranch_execz .LBB48_1024
; %bb.1023:
	ds_read_b64 v[6:7], v1 offset:8192
	ds_read_b64 v[8:9], v5 offset:128
	s_waitcnt lgkmcnt(0)
	v_fma_f64 v[3:4], v[6:7], v[8:9], v[3:4]
.LBB48_1024:
	s_or_b64 exec, exec, s[4:5]
	v_add_u32_e32 v6, 32, v2
	v_cmp_le_u32_e32 vcc, v0, v6
	s_and_saveexec_b64 s[4:5], vcc
	s_cbranch_execz .LBB48_1026
; %bb.1025:
	ds_read_b64 v[6:7], v1 offset:16384
	ds_read_b64 v[8:9], v5 offset:256
	s_waitcnt lgkmcnt(0)
	v_fma_f64 v[3:4], v[6:7], v[8:9], v[3:4]
.LBB48_1026:
	s_or_b64 exec, exec, s[4:5]
	v_add_u32_e32 v2, 48, v2
	v_add_u32_e32 v6, 0x8000, v1
	v_cmp_le_u32_e32 vcc, v0, v2
	s_and_saveexec_b64 s[4:5], vcc
	s_cbranch_execz .LBB48_1028
; %bb.1027:
	ds_read_b64 v[1:2], v1 offset:24576
	ds_read_b64 v[7:8], v5 offset:384
	s_waitcnt lgkmcnt(0)
	v_fma_f64 v[3:4], v[1:2], v[7:8], v[3:4]
.LBB48_1028:
	s_or_b64 exec, exec, s[4:5]
	s_mov_b64 s[6:7], 0
	s_mov_b64 s[4:5], 0
	ds_write_b64 v6, v[3:4]
	s_waitcnt lgkmcnt(0)
	s_barrier
                                        ; implicit-def: $vgpr1_vgpr2
	s_and_saveexec_b64 s[8:9], s[2:3]
	s_cbranch_execz .LBB48_1093
; %bb.1029:
	v_lshlrev_b32_e32 v15, 3, v0
	ds_read2st64_b64 v[5:8], v15 offset0:65 offset1:66
	ds_read_b64 v[9:10], v15 offset:40448
	s_mov_b64 s[4:5], exec
	s_waitcnt lgkmcnt(1)
	v_add_f64 v[1:2], v[3:4], v[5:6]
	v_add_f64 v[13:14], v[7:8], v[1:2]
	ds_read2st64_b64 v[1:4], v15 offset0:67 offset1:68
	ds_read2st64_b64 v[5:8], v15 offset0:69 offset1:70
	s_waitcnt lgkmcnt(1)
	v_add_f64 v[1:2], v[1:2], v[13:14]
	v_add_f64 v[1:2], v[3:4], v[1:2]
	s_waitcnt lgkmcnt(0)
	v_add_f64 v[1:2], v[5:6], v[1:2]
	v_add_f64 v[13:14], v[7:8], v[1:2]
	ds_read2st64_b64 v[1:4], v15 offset0:71 offset1:72
	ds_read2st64_b64 v[5:8], v15 offset0:73 offset1:74
	s_waitcnt lgkmcnt(1)
	v_add_f64 v[1:2], v[1:2], v[13:14]
	v_add_f64 v[1:2], v[3:4], v[1:2]
	;; [unrolled: 8-line block ×3, first 2 shown]
	s_waitcnt lgkmcnt(0)
	v_add_f64 v[1:2], v[5:6], v[1:2]
	v_add_f64 v[1:2], v[7:8], v[1:2]
	;; [unrolled: 1-line block ×3, first 2 shown]
	s_or_b64 exec, exec, s[8:9]
	s_and_b64 vcc, exec, s[6:7]
	s_cbranch_vccnz .LBB48_1031
	s_branch .LBB48_1094
.LBB48_1030:
	s_mov_b64 s[4:5], 0
                                        ; implicit-def: $vgpr1_vgpr2
	s_cbranch_execz .LBB48_1094
.LBB48_1031:
	s_movk_i32 s6, 0x208
	v_lshlrev_b32_e32 v2, 9, v0
	v_mov_b32_e32 v3, 0x7800
	v_mul_u32_u24_e32 v1, 0x208, v0
	v_sub_u32_e32 v2, 0, v2
	v_mad_u32_u24 v3, v0, s6, v3
	s_mov_b32 s8, 63
	s_movk_i32 s9, 0x8200
	v_mov_b32_e32 v4, 0
	s_branch .LBB48_1033
.LBB48_1032:                            ;   in Loop: Header=BB48_1033 Depth=1
	s_or_b64 exec, exec, s[6:7]
	s_add_i32 s8, s8, -4
	s_cmp_lg_u32 s10, 0
	v_add_u32_e32 v2, 0xfffff800, v2
	s_barrier
	s_cbranch_scc0 .LBB48_1049
.LBB48_1033:                            ; =>This Inner Loop Header: Depth=1
	v_cmp_eq_u32_e32 vcc, s9, v2
	s_and_b64 s[10:11], s[2:3], vcc
	s_and_saveexec_b64 s[6:7], s[10:11]
	s_cbranch_execz .LBB48_1035
; %bb.1034:                             ;   in Loop: Header=BB48_1033 Depth=1
	ds_read_b64 v[5:6], v1
	s_waitcnt lgkmcnt(0)
	v_mul_f64 v[11:12], v[11:12], v[5:6]
	ds_write_b64 v4, v[11:12] offset:41472
.LBB48_1035:                            ;   in Loop: Header=BB48_1033 Depth=1
	s_or_b64 exec, exec, s[6:7]
	v_cmp_gt_u32_e32 vcc, s8, v0
	s_and_b64 s[10:11], s[2:3], vcc
	v_add_u32_e32 v5, v3, v2
	s_waitcnt lgkmcnt(0)
	s_barrier
	s_and_saveexec_b64 s[6:7], s[10:11]
	s_cbranch_execz .LBB48_1037
; %bb.1036:                             ;   in Loop: Header=BB48_1033 Depth=1
	ds_read_b64 v[6:7], v5 offset:1536
	ds_read_b64 v[8:9], v4 offset:41472
	s_waitcnt lgkmcnt(0)
	v_fma_f64 v[11:12], v[6:7], v[8:9], v[11:12]
.LBB48_1037:                            ;   in Loop: Header=BB48_1033 Depth=1
	s_or_b64 exec, exec, s[6:7]
	s_add_i32 s10, s8, -1
	v_cmp_eq_u32_e32 vcc, s10, v0
	s_and_b64 s[12:13], s[2:3], vcc
	s_barrier
	s_and_saveexec_b64 s[6:7], s[12:13]
	s_cbranch_execz .LBB48_1039
; %bb.1038:                             ;   in Loop: Header=BB48_1033 Depth=1
	ds_read_b64 v[6:7], v1
	s_waitcnt lgkmcnt(0)
	v_mul_f64 v[11:12], v[11:12], v[6:7]
	ds_write_b64 v4, v[11:12] offset:41472
.LBB48_1039:                            ;   in Loop: Header=BB48_1033 Depth=1
	s_or_b64 exec, exec, s[6:7]
	v_cmp_gt_u32_e32 vcc, s10, v0
	s_and_b64 s[10:11], s[2:3], vcc
	s_waitcnt lgkmcnt(0)
	s_barrier
	s_and_saveexec_b64 s[6:7], s[10:11]
	s_cbranch_execz .LBB48_1041
; %bb.1040:                             ;   in Loop: Header=BB48_1033 Depth=1
	ds_read_b64 v[6:7], v5 offset:1024
	ds_read_b64 v[8:9], v4 offset:41472
	s_waitcnt lgkmcnt(0)
	v_fma_f64 v[11:12], v[6:7], v[8:9], v[11:12]
.LBB48_1041:                            ;   in Loop: Header=BB48_1033 Depth=1
	s_or_b64 exec, exec, s[6:7]
	s_add_i32 s10, s8, -2
	v_cmp_eq_u32_e32 vcc, s10, v0
	s_and_b64 s[12:13], s[2:3], vcc
	s_barrier
	s_and_saveexec_b64 s[6:7], s[12:13]
	s_cbranch_execz .LBB48_1043
; %bb.1042:                             ;   in Loop: Header=BB48_1033 Depth=1
	ds_read_b64 v[6:7], v1
	s_waitcnt lgkmcnt(0)
	v_mul_f64 v[11:12], v[11:12], v[6:7]
	ds_write_b64 v4, v[11:12] offset:41472
.LBB48_1043:                            ;   in Loop: Header=BB48_1033 Depth=1
	s_or_b64 exec, exec, s[6:7]
	v_cmp_gt_u32_e32 vcc, s10, v0
	s_and_b64 s[10:11], s[2:3], vcc
	;; [unrolled: 26-line block ×3, first 2 shown]
	s_waitcnt lgkmcnt(0)
	s_barrier
	s_and_saveexec_b64 s[6:7], s[12:13]
	s_cbranch_execz .LBB48_1032
; %bb.1048:                             ;   in Loop: Header=BB48_1033 Depth=1
	ds_read_b64 v[5:6], v5
	ds_read_b64 v[7:8], v4 offset:41472
	s_waitcnt lgkmcnt(0)
	v_fma_f64 v[11:12], v[5:6], v[7:8], v[11:12]
	s_branch .LBB48_1032
.LBB48_1049:
	s_mov_b64 s[6:7], -1
	s_and_b64 vcc, exec, s[0:1]
	s_cbranch_vccnz .LBB48_1095
; %bb.1050:
	s_andn2_b64 vcc, exec, s[6:7]
	s_cbranch_vccz .LBB48_1096
.LBB48_1051:
	s_and_saveexec_b64 s[0:1], s[4:5]
	s_cbranch_execz .LBB48_1053
.LBB48_1052:
	v_mov_b32_e32 v0, s38
	v_add_co_u32_e32 v1, vcc, s33, v18
	v_addc_co_u32_e32 v0, vcc, 0, v0, vcc
	v_mul_lo_u32 v2, v0, s50
	v_mul_lo_u32 v3, v1, s51
	v_mad_u64_u32 v[0:1], s[2:3], v1, s50, 0
	v_add3_u32 v1, v1, v3, v2
	v_lshlrev_b64 v[0:1], 3, v[0:1]
	v_mov_b32_e32 v2, s21
	v_add_co_u32_e32 v0, vcc, s20, v0
	v_addc_co_u32_e32 v1, vcc, v2, v1, vcc
	global_store_dwordx2 v[0:1], v[11:12], off
.LBB48_1053:
	s_or_b64 exec, exec, s[0:1]
	v_cmp_eq_u32_e32 vcc, 0, v18
	s_waitcnt vmcnt(0)
	buffer_wbinvl1_vol
	s_barrier
	s_and_saveexec_b64 s[0:1], vcc
	s_cbranch_execz .LBB48_1055
; %bb.1054:
	s_lshl_b64 s[2:3], s[22:23], 2
	s_add_u32 s2, s14, s2
	s_addc_u32 s3, s15, s3
	v_mov_b32_e32 v0, 0
	global_load_dword v1, v0, s[2:3]
	s_waitcnt vmcnt(0)
	v_add_u32_e32 v1, 1, v1
	global_store_dword v0, v1, s[2:3]
.LBB48_1055:
	s_or_b64 exec, exec, s[0:1]
	s_waitcnt vmcnt(0)
	buffer_wbinvl1_vol
	s_endpgm
.LBB48_1056:
                                        ; implicit-def: $vgpr7_vgpr8
                                        ; implicit-def: $vgpr9_vgpr10
                                        ; implicit-def: $vgpr3_vgpr4
                                        ; implicit-def: $vgpr5_vgpr6
                                        ; implicit-def: $sgpr33
	s_cbranch_execnz .LBB48_10
	s_branch .LBB48_11
.LBB48_1057:
	v_cmp_ne_u32_e32 vcc, v0, v2
	s_and_saveexec_b64 s[12:13], vcc
	s_xor_b64 s[12:13], exec, s[12:13]
; %bb.1058:
	v_or_b32_e32 v1, v2, v0
	v_cmp_gt_u32_e32 vcc, 64, v1
	s_and_b64 s[10:11], vcc, exec
                                        ; implicit-def: $vgpr15_vgpr16
; %bb.1059:
	s_or_saveexec_b64 s[12:13], s[12:13]
	v_mov_b32_e32 v13, 0
	v_mov_b32_e32 v14, 0
	s_xor_b64 exec, exec, s[12:13]
	s_cbranch_execz .LBB48_1061
; %bb.1060:
	v_lshlrev_b64 v[13:14], 3, v[15:16]
	v_mov_b32_e32 v1, s60
	v_add_co_u32_e32 v13, vcc, s91, v13
	v_addc_co_u32_e32 v14, vcc, v1, v14, vcc
	global_load_dwordx2 v[13:14], v[13:14], off
	s_or_b64 s[10:11], s[10:11], exec
	s_waitcnt vmcnt(0)
	v_div_scale_f64 v[15:16], s[14:15], v[13:14], v[13:14], 1.0
	v_div_scale_f64 v[22:23], vcc, 1.0, v[13:14], 1.0
	v_rcp_f64_e32 v[18:19], v[15:16]
	v_fma_f64 v[20:21], -v[15:16], v[18:19], 1.0
	v_fma_f64 v[18:19], v[18:19], v[20:21], v[18:19]
	v_fma_f64 v[20:21], -v[15:16], v[18:19], 1.0
	v_fma_f64 v[18:19], v[18:19], v[20:21], v[18:19]
	v_mul_f64 v[20:21], v[22:23], v[18:19]
	v_fma_f64 v[15:16], -v[15:16], v[20:21], v[22:23]
	v_div_fmas_f64 v[15:16], v[15:16], v[18:19], v[20:21]
	v_div_fixup_f64 v[13:14], v[15:16], v[13:14], 1.0
.LBB48_1061:
	s_or_b64 exec, exec, s[12:13]
	s_and_b64 s[10:11], s[10:11], exec
                                        ; implicit-def: $vgpr15_vgpr16
	s_andn2_saveexec_b64 s[8:9], s[8:9]
	s_cbranch_execz .LBB48_14
.LBB48_1062:
	v_lshlrev_b64 v[13:14], 3, v[15:16]
	v_mov_b32_e32 v1, s60
	v_add_co_u32_e32 v13, vcc, s91, v13
	v_addc_co_u32_e32 v14, vcc, v1, v14, vcc
	global_load_dwordx2 v[13:14], v[13:14], off
	s_or_b64 s[10:11], s[10:11], exec
	s_waitcnt vmcnt(0)
	v_xor_b32_e32 v14, 0x80000000, v14
	s_or_b64 exec, exec, s[8:9]
	s_and_saveexec_b64 s[8:9], s[10:11]
	s_cbranch_execnz .LBB48_15
	s_branch .LBB48_16
.LBB48_1063:
	v_cmp_ne_u32_e32 vcc, v0, v1
	s_and_saveexec_b64 s[10:11], vcc
	s_xor_b64 s[10:11], exec, s[10:11]
; %bb.1064:
	v_or_b32_e32 v13, v1, v0
	v_cmp_gt_u32_e32 vcc, 64, v13
	s_and_b64 s[8:9], vcc, exec
                                        ; implicit-def: $vgpr15_vgpr16
; %bb.1065:
	s_or_saveexec_b64 s[10:11], s[10:11]
	v_mov_b32_e32 v13, 0
	v_mov_b32_e32 v14, 0
	s_xor_b64 exec, exec, s[10:11]
	s_cbranch_execz .LBB48_1067
; %bb.1066:
	v_lshlrev_b64 v[13:14], 3, v[15:16]
	v_mov_b32_e32 v15, s60
	v_add_co_u32_e32 v13, vcc, s91, v13
	v_addc_co_u32_e32 v14, vcc, v15, v14, vcc
	global_load_dwordx2 v[13:14], v[13:14], off
	s_or_b64 s[8:9], s[8:9], exec
	s_waitcnt vmcnt(0)
	v_div_scale_f64 v[15:16], s[12:13], v[13:14], v[13:14], 1.0
	v_div_scale_f64 v[22:23], vcc, 1.0, v[13:14], 1.0
	v_rcp_f64_e32 v[18:19], v[15:16]
	v_fma_f64 v[20:21], -v[15:16], v[18:19], 1.0
	v_fma_f64 v[18:19], v[18:19], v[20:21], v[18:19]
	v_fma_f64 v[20:21], -v[15:16], v[18:19], 1.0
	v_fma_f64 v[18:19], v[18:19], v[20:21], v[18:19]
	v_mul_f64 v[20:21], v[22:23], v[18:19]
	v_fma_f64 v[15:16], -v[15:16], v[20:21], v[22:23]
	v_div_fmas_f64 v[15:16], v[15:16], v[18:19], v[20:21]
	v_div_fixup_f64 v[13:14], v[15:16], v[13:14], 1.0
.LBB48_1067:
	s_or_b64 exec, exec, s[10:11]
	s_and_b64 s[8:9], s[8:9], exec
                                        ; implicit-def: $vgpr15_vgpr16
	s_andn2_saveexec_b64 s[2:3], s[2:3]
	s_cbranch_execz .LBB48_18
.LBB48_1068:
	v_lshlrev_b64 v[13:14], 3, v[15:16]
	v_mov_b32_e32 v15, s60
	v_add_co_u32_e32 v13, vcc, s91, v13
	v_addc_co_u32_e32 v14, vcc, v15, v14, vcc
	global_load_dwordx2 v[13:14], v[13:14], off
	s_or_b64 s[8:9], s[8:9], exec
	s_waitcnt vmcnt(0)
	v_xor_b32_e32 v14, 0x80000000, v14
	s_or_b64 exec, exec, s[2:3]
	s_and_saveexec_b64 s[2:3], s[8:9]
	s_cbranch_execnz .LBB48_19
	s_branch .LBB48_20
.LBB48_1069:
	v_cmp_ne_u32_e32 vcc, v0, v1
	s_and_saveexec_b64 s[10:11], vcc
	s_xor_b64 s[10:11], exec, s[10:11]
; %bb.1070:
	v_or_b32_e32 v13, v1, v0
	v_cmp_gt_u32_e32 vcc, 64, v13
	s_and_b64 s[8:9], vcc, exec
                                        ; implicit-def: $vgpr15_vgpr16
; %bb.1071:
	s_or_saveexec_b64 s[10:11], s[10:11]
	v_mov_b32_e32 v13, 0
	v_mov_b32_e32 v14, 0
	s_xor_b64 exec, exec, s[10:11]
	s_cbranch_execz .LBB48_1073
; %bb.1072:
	v_lshlrev_b64 v[13:14], 3, v[15:16]
	v_mov_b32_e32 v15, s60
	v_add_co_u32_e32 v13, vcc, s91, v13
	v_addc_co_u32_e32 v14, vcc, v15, v14, vcc
	global_load_dwordx2 v[13:14], v[13:14], off
	s_or_b64 s[8:9], s[8:9], exec
	s_waitcnt vmcnt(0)
	v_div_scale_f64 v[15:16], s[12:13], v[13:14], v[13:14], 1.0
	v_div_scale_f64 v[22:23], vcc, 1.0, v[13:14], 1.0
	v_rcp_f64_e32 v[18:19], v[15:16]
	v_fma_f64 v[20:21], -v[15:16], v[18:19], 1.0
	v_fma_f64 v[18:19], v[18:19], v[20:21], v[18:19]
	v_fma_f64 v[20:21], -v[15:16], v[18:19], 1.0
	v_fma_f64 v[18:19], v[18:19], v[20:21], v[18:19]
	v_mul_f64 v[20:21], v[22:23], v[18:19]
	v_fma_f64 v[15:16], -v[15:16], v[20:21], v[22:23]
	v_div_fmas_f64 v[15:16], v[15:16], v[18:19], v[20:21]
	v_div_fixup_f64 v[13:14], v[15:16], v[13:14], 1.0
.LBB48_1073:
	s_or_b64 exec, exec, s[10:11]
	s_and_b64 s[8:9], s[8:9], exec
                                        ; implicit-def: $vgpr15_vgpr16
	s_andn2_saveexec_b64 s[2:3], s[2:3]
	s_cbranch_execz .LBB48_22
.LBB48_1074:
	v_lshlrev_b64 v[13:14], 3, v[15:16]
	v_mov_b32_e32 v15, s60
	v_add_co_u32_e32 v13, vcc, s91, v13
	v_addc_co_u32_e32 v14, vcc, v15, v14, vcc
	global_load_dwordx2 v[13:14], v[13:14], off
	s_or_b64 s[8:9], s[8:9], exec
	s_waitcnt vmcnt(0)
	v_xor_b32_e32 v14, 0x80000000, v14
	s_or_b64 exec, exec, s[2:3]
	s_and_saveexec_b64 s[2:3], s[8:9]
	s_cbranch_execnz .LBB48_23
	s_branch .LBB48_24
.LBB48_1075:
	v_cmp_ne_u32_e32 vcc, v0, v2
	s_xor_b64 s[12:13], s[2:3], -1
	s_or_b64 s[14:15], s[12:13], vcc
	s_mov_b64 s[12:13], 0
	s_and_saveexec_b64 s[16:17], s[14:15]
	s_xor_b64 s[14:15], exec, s[16:17]
; %bb.1076:
	v_or_b32_e32 v1, v2, v0
	v_cmp_gt_u32_e32 vcc, 64, v1
	s_and_b64 s[12:13], vcc, exec
                                        ; implicit-def: $vgpr13_vgpr14
; %bb.1077:
	s_or_saveexec_b64 s[14:15], s[14:15]
	v_mov_b32_e32 v15, 0
	v_mov_b32_e32 v16, 0
	s_xor_b64 exec, exec, s[14:15]
	s_cbranch_execz .LBB48_1079
; %bb.1078:
	v_lshlrev_b64 v[13:14], 3, v[13:14]
	v_mov_b32_e32 v1, s60
	v_add_co_u32_e32 v13, vcc, s91, v13
	v_addc_co_u32_e32 v14, vcc, v1, v14, vcc
	global_load_dwordx2 v[13:14], v[13:14], off
	s_or_b64 s[12:13], s[12:13], exec
	s_waitcnt vmcnt(0)
	v_div_scale_f64 v[15:16], s[16:17], v[13:14], v[13:14], 1.0
	v_div_scale_f64 v[22:23], vcc, 1.0, v[13:14], 1.0
	v_rcp_f64_e32 v[18:19], v[15:16]
	v_fma_f64 v[20:21], -v[15:16], v[18:19], 1.0
	v_fma_f64 v[18:19], v[18:19], v[20:21], v[18:19]
	v_fma_f64 v[20:21], -v[15:16], v[18:19], 1.0
	v_fma_f64 v[18:19], v[18:19], v[20:21], v[18:19]
	v_mul_f64 v[20:21], v[22:23], v[18:19]
	v_fma_f64 v[15:16], -v[15:16], v[20:21], v[22:23]
	v_div_fmas_f64 v[15:16], v[15:16], v[18:19], v[20:21]
	v_div_fixup_f64 v[15:16], v[15:16], v[13:14], 1.0
.LBB48_1079:
	s_or_b64 exec, exec, s[14:15]
	s_and_b64 s[12:13], s[12:13], exec
                                        ; implicit-def: $vgpr13_vgpr14
	s_andn2_saveexec_b64 s[8:9], s[8:9]
	s_cbranch_execz .LBB48_36
.LBB48_1080:
	v_lshlrev_b64 v[13:14], 3, v[13:14]
	v_mov_b32_e32 v1, s60
	v_add_co_u32_e32 v13, vcc, s91, v13
	v_addc_co_u32_e32 v14, vcc, v1, v14, vcc
	global_load_dwordx2 v[15:16], v[13:14], off
	s_or_b64 s[12:13], s[12:13], exec
	s_waitcnt vmcnt(0)
	v_xor_b32_e32 v16, 0x80000000, v16
	s_or_b64 exec, exec, s[8:9]
	s_and_saveexec_b64 s[8:9], s[12:13]
	s_cbranch_execnz .LBB48_37
	s_branch .LBB48_38
.LBB48_1081:
	v_cmp_ne_u32_e32 vcc, v0, v1
	s_xor_b64 s[12:13], s[2:3], -1
	s_or_b64 s[14:15], s[12:13], vcc
	s_mov_b64 s[12:13], 0
	s_and_saveexec_b64 s[16:17], s[14:15]
	s_xor_b64 s[14:15], exec, s[16:17]
; %bb.1082:
	v_or_b32_e32 v13, v1, v0
	v_cmp_gt_u32_e32 vcc, 64, v13
	s_and_b64 s[12:13], vcc, exec
                                        ; implicit-def: $vgpr13_vgpr14
; %bb.1083:
	s_or_saveexec_b64 s[14:15], s[14:15]
	v_mov_b32_e32 v15, 0
	v_mov_b32_e32 v16, 0
	s_xor_b64 exec, exec, s[14:15]
	s_cbranch_execz .LBB48_1085
; %bb.1084:
	v_lshlrev_b64 v[13:14], 3, v[13:14]
	v_mov_b32_e32 v15, s60
	v_add_co_u32_e32 v13, vcc, s91, v13
	v_addc_co_u32_e32 v14, vcc, v15, v14, vcc
	global_load_dwordx2 v[13:14], v[13:14], off
	s_or_b64 s[12:13], s[12:13], exec
	s_waitcnt vmcnt(0)
	v_div_scale_f64 v[15:16], s[16:17], v[13:14], v[13:14], 1.0
	v_div_scale_f64 v[22:23], vcc, 1.0, v[13:14], 1.0
	v_rcp_f64_e32 v[18:19], v[15:16]
	v_fma_f64 v[20:21], -v[15:16], v[18:19], 1.0
	v_fma_f64 v[18:19], v[18:19], v[20:21], v[18:19]
	v_fma_f64 v[20:21], -v[15:16], v[18:19], 1.0
	v_fma_f64 v[18:19], v[18:19], v[20:21], v[18:19]
	v_mul_f64 v[20:21], v[22:23], v[18:19]
	v_fma_f64 v[15:16], -v[15:16], v[20:21], v[22:23]
	v_div_fmas_f64 v[15:16], v[15:16], v[18:19], v[20:21]
	v_div_fixup_f64 v[15:16], v[15:16], v[13:14], 1.0
.LBB48_1085:
	s_or_b64 exec, exec, s[14:15]
	s_and_b64 s[12:13], s[12:13], exec
                                        ; implicit-def: $vgpr13_vgpr14
	s_andn2_saveexec_b64 s[8:9], s[8:9]
	s_cbranch_execz .LBB48_40
.LBB48_1086:
	v_lshlrev_b64 v[13:14], 3, v[13:14]
	v_mov_b32_e32 v15, s60
	v_add_co_u32_e32 v13, vcc, s91, v13
	v_addc_co_u32_e32 v14, vcc, v15, v14, vcc
	global_load_dwordx2 v[15:16], v[13:14], off
	s_or_b64 s[12:13], s[12:13], exec
	s_waitcnt vmcnt(0)
	v_xor_b32_e32 v16, 0x80000000, v16
	s_or_b64 exec, exec, s[8:9]
	s_and_saveexec_b64 s[8:9], s[12:13]
	s_cbranch_execnz .LBB48_41
	s_branch .LBB48_42
.LBB48_1087:
	v_cmp_ne_u32_e32 vcc, v0, v1
	s_xor_b64 s[12:13], s[2:3], -1
	s_or_b64 s[14:15], s[12:13], vcc
	s_mov_b64 s[12:13], 0
	s_and_saveexec_b64 s[16:17], s[14:15]
	s_xor_b64 s[14:15], exec, s[16:17]
; %bb.1088:
	v_or_b32_e32 v13, v1, v0
	v_cmp_gt_u32_e32 vcc, 64, v13
	s_and_b64 s[12:13], vcc, exec
                                        ; implicit-def: $vgpr13_vgpr14
; %bb.1089:
	s_or_saveexec_b64 s[14:15], s[14:15]
	v_mov_b32_e32 v15, 0
	v_mov_b32_e32 v16, 0
	s_xor_b64 exec, exec, s[14:15]
	s_cbranch_execz .LBB48_1091
; %bb.1090:
	v_lshlrev_b64 v[13:14], 3, v[13:14]
	v_mov_b32_e32 v15, s60
	v_add_co_u32_e32 v13, vcc, s91, v13
	v_addc_co_u32_e32 v14, vcc, v15, v14, vcc
	global_load_dwordx2 v[13:14], v[13:14], off
	s_or_b64 s[12:13], s[12:13], exec
	s_waitcnt vmcnt(0)
	v_div_scale_f64 v[15:16], s[16:17], v[13:14], v[13:14], 1.0
	v_div_scale_f64 v[22:23], vcc, 1.0, v[13:14], 1.0
	v_rcp_f64_e32 v[18:19], v[15:16]
	v_fma_f64 v[20:21], -v[15:16], v[18:19], 1.0
	v_fma_f64 v[18:19], v[18:19], v[20:21], v[18:19]
	v_fma_f64 v[20:21], -v[15:16], v[18:19], 1.0
	v_fma_f64 v[18:19], v[18:19], v[20:21], v[18:19]
	v_mul_f64 v[20:21], v[22:23], v[18:19]
	v_fma_f64 v[15:16], -v[15:16], v[20:21], v[22:23]
	v_div_fmas_f64 v[15:16], v[15:16], v[18:19], v[20:21]
	v_div_fixup_f64 v[15:16], v[15:16], v[13:14], 1.0
.LBB48_1091:
	s_or_b64 exec, exec, s[14:15]
	s_and_b64 s[12:13], s[12:13], exec
                                        ; implicit-def: $vgpr13_vgpr14
	s_andn2_saveexec_b64 s[8:9], s[8:9]
	s_cbranch_execz .LBB48_44
.LBB48_1092:
	v_lshlrev_b64 v[13:14], 3, v[13:14]
	v_mov_b32_e32 v15, s60
	v_add_co_u32_e32 v13, vcc, s91, v13
	v_addc_co_u32_e32 v14, vcc, v15, v14, vcc
	global_load_dwordx2 v[15:16], v[13:14], off
	s_or_b64 s[12:13], s[12:13], exec
	s_waitcnt vmcnt(0)
	v_xor_b32_e32 v16, 0x80000000, v16
	s_or_b64 exec, exec, s[8:9]
	s_and_saveexec_b64 s[8:9], s[12:13]
	s_cbranch_execnz .LBB48_45
	s_branch .LBB48_46
.LBB48_1093:
	s_or_b64 exec, exec, s[8:9]
	s_and_b64 vcc, exec, s[6:7]
	s_cbranch_vccnz .LBB48_1031
.LBB48_1094:
	v_mov_b32_e32 v12, v2
	v_mov_b32_e32 v11, v1
	s_and_saveexec_b64 s[0:1], s[4:5]
	s_cbranch_execnz .LBB48_1052
	s_branch .LBB48_1053
.LBB48_1095:
	s_andn2_b64 s[0:1], s[4:5], exec
	s_and_b64 s[4:5], s[2:3], exec
	s_or_b64 s[4:5], s[0:1], s[4:5]
	s_cbranch_execnz .LBB48_1051
.LBB48_1096:
	v_cmp_gt_i32_e32 vcc, s90, v0
	s_and_b64 s[0:1], s[2:3], vcc
	s_andn2_b64 s[2:3], s[4:5], exec
	s_and_b64 s[0:1], s[0:1], exec
	s_or_b64 s[4:5], s[2:3], s[0:1]
	s_and_saveexec_b64 s[0:1], s[4:5]
	s_cbranch_execnz .LBB48_1052
	s_branch .LBB48_1053
.LBB48_1097:
	v_lshlrev_b32_e32 v21, 3, v20
	v_sub_u32_e32 v21, v18, v21
	v_lshl_add_u32 v21, v19, 3, v21
	ds_read_b64 v[21:22], v21 offset:544
	ds_read_b64 v[23:24], v18 offset:8
	s_waitcnt lgkmcnt(0)
	v_fma_f64 v[11:12], v[21:22], v[23:24], v[11:12]
	s_or_b64 exec, exec, s[14:15]
	v_cmp_gt_u32_e64 s[10:11], 8, v14
	s_and_saveexec_b64 s[14:15], s[10:11]
	s_cbranch_execz .LBB48_79
.LBB48_1098:
	ds_read_b64 v[21:22], v16 offset:1056
	ds_read_b64 v[23:24], v18 offset:16
	s_waitcnt lgkmcnt(0)
	v_fma_f64 v[11:12], v[21:22], v[23:24], v[11:12]
	s_or_b64 exec, exec, s[14:15]
	v_cmp_gt_u32_e64 s[10:11], 4, v14
	s_and_saveexec_b64 s[14:15], s[10:11]
	s_cbranch_execnz .LBB48_80
	s_branch .LBB48_81
.LBB48_1099:
	v_lshlrev_b32_e32 v26, 3, v25
	v_sub_u32_e32 v26, v23, v26
	v_lshl_add_u32 v26, v24, 3, v26
	ds_read_b64 v[26:27], v26 offset:576
	ds_read_b64 v[28:29], v23 offset:8
	s_waitcnt lgkmcnt(0)
	v_fma_f64 v[11:12], v[26:27], v[28:29], v[11:12]
	s_or_b64 exec, exec, s[16:17]
	v_cmp_gt_u32_e64 s[14:15], 48, v14
	s_and_saveexec_b64 s[16:17], s[14:15]
	s_cbranch_execz .LBB48_121
.LBB48_1100:
	v_lshlrev_b32_e32 v26, 3, v25
	v_sub_u32_e32 v26, v23, v26
	v_lshl_add_u32 v26, v24, 3, v26
	ds_read_b64 v[26:27], v26 offset:1088
	ds_read_b64 v[28:29], v23 offset:16
	s_waitcnt lgkmcnt(0)
	v_fma_f64 v[11:12], v[26:27], v[28:29], v[11:12]
	s_or_b64 exec, exec, s[16:17]
	v_cmp_gt_u32_e64 s[14:15], 40, v14
	s_and_saveexec_b64 s[16:17], s[14:15]
	s_cbranch_execz .LBB48_122
.LBB48_1101:
	v_lshlrev_b32_e32 v26, 3, v25
	v_sub_u32_e32 v26, v23, v26
	v_lshl_add_u32 v26, v24, 3, v26
	ds_read_b64 v[26:27], v26 offset:1600
	ds_read_b64 v[28:29], v23 offset:24
	s_waitcnt lgkmcnt(0)
	v_fma_f64 v[11:12], v[26:27], v[28:29], v[11:12]
	s_or_b64 exec, exec, s[16:17]
	v_cmp_gt_u32_e64 s[14:15], 32, v14
	s_and_saveexec_b64 s[16:17], s[14:15]
	s_cbranch_execz .LBB48_123
.LBB48_1102:
	ds_read_b64 v[26:27], v21 offset:2112
	ds_read_b64 v[28:29], v23 offset:32
	s_waitcnt lgkmcnt(0)
	v_fma_f64 v[11:12], v[26:27], v[28:29], v[11:12]
	s_or_b64 exec, exec, s[16:17]
	v_cmp_gt_u32_e64 s[14:15], 24, v14
	s_and_saveexec_b64 s[16:17], s[14:15]
	s_cbranch_execz .LBB48_124
.LBB48_1103:
	v_lshlrev_b32_e32 v26, 3, v25
	v_sub_u32_e32 v26, v23, v26
	v_lshl_add_u32 v26, v24, 3, v26
	ds_read_b64 v[26:27], v26 offset:2624
	ds_read_b64 v[28:29], v23 offset:40
	s_waitcnt lgkmcnt(0)
	v_fma_f64 v[11:12], v[26:27], v[28:29], v[11:12]
	s_or_b64 exec, exec, s[16:17]
	v_cmp_gt_u32_e64 s[14:15], 16, v14
	s_and_saveexec_b64 s[16:17], s[14:15]
	s_cbranch_execz .LBB48_125
.LBB48_1104:
	ds_read_b64 v[26:27], v21 offset:3136
	ds_read_b64 v[28:29], v23 offset:48
	s_waitcnt lgkmcnt(0)
	v_fma_f64 v[11:12], v[26:27], v[28:29], v[11:12]
	s_or_b64 exec, exec, s[16:17]
	v_cmp_gt_u32_e64 s[14:15], 8, v14
	s_and_saveexec_b64 s[16:17], s[14:15]
	s_cbranch_execnz .LBB48_126
	s_branch .LBB48_127
.LBB48_1105:
	v_lshlrev_b32_e32 v27, 3, v20
	v_sub_u32_e32 v27, v26, v27
	v_lshl_add_u32 v27, v19, 3, v27
	ds_read_b64 v[27:28], v27 offset:4704
	ds_read_b64 v[29:30], v26 offset:4168
	s_waitcnt lgkmcnt(0)
	v_fma_f64 v[11:12], v[27:28], v[29:30], v[11:12]
	s_or_b64 exec, exec, s[14:15]
	v_cmp_gt_u32_e64 s[10:11], 8, v14
	s_and_saveexec_b64 s[14:15], s[10:11]
	s_cbranch_execz .LBB48_183
.LBB48_1106:
	ds_read_b64 v[27:28], v16 offset:5216
	ds_read_b64 v[29:30], v26 offset:4176
	s_waitcnt lgkmcnt(0)
	v_fma_f64 v[11:12], v[27:28], v[29:30], v[11:12]
	s_or_b64 exec, exec, s[14:15]
	v_cmp_gt_u32_e64 s[10:11], 4, v14
	s_and_saveexec_b64 s[14:15], s[10:11]
	s_cbranch_execnz .LBB48_184
	s_branch .LBB48_185
.LBB48_1107:
	v_lshlrev_b32_e32 v31, 3, v27
	v_lshl_add_u32 v31, v29, 3, v31
	ds_read_b64 v[31:32], v31 offset:5760
	ds_read_b64 v[33:34], v28 offset:88
	s_waitcnt lgkmcnt(0)
	v_fma_f64 v[11:12], v[31:32], v[33:34], v[11:12]
	s_or_b64 exec, exec, s[20:21]
	v_cmp_gt_u32_e64 s[16:17], 64, v14
	s_and_saveexec_b64 s[20:21], s[16:17]
	s_cbranch_execz .LBB48_245
.LBB48_1108:
	ds_read_b64 v[31:32], v26 offset:6272
	ds_read_b64 v[33:34], v28 offset:96
	s_waitcnt lgkmcnt(0)
	v_fma_f64 v[11:12], v[31:32], v[33:34], v[11:12]
	s_or_b64 exec, exec, s[20:21]
	v_cmp_gt_u32_e64 s[16:17], 48, v14
	s_and_saveexec_b64 s[20:21], s[16:17]
	s_cbranch_execz .LBB48_246
.LBB48_1109:
	v_lshlrev_b32_e32 v31, 3, v27
	v_lshl_add_u32 v31, v29, 3, v31
	ds_read_b64 v[31:32], v31 offset:6784
	ds_read_b64 v[33:34], v28 offset:104
	s_waitcnt lgkmcnt(0)
	v_fma_f64 v[11:12], v[31:32], v[33:34], v[11:12]
	s_or_b64 exec, exec, s[20:21]
	v_cmp_gt_u32_e64 s[16:17], 32, v14
	s_and_saveexec_b64 s[20:21], s[16:17]
	s_cbranch_execz .LBB48_247
.LBB48_1110:
	ds_read_b64 v[31:32], v26 offset:7296
	ds_read_b64 v[33:34], v28 offset:112
	s_waitcnt lgkmcnt(0)
	v_fma_f64 v[11:12], v[31:32], v[33:34], v[11:12]
	s_or_b64 exec, exec, s[20:21]
	v_cmp_gt_u32_e64 s[16:17], 16, v14
	s_and_saveexec_b64 s[20:21], s[16:17]
	s_cbranch_execnz .LBB48_248
	s_branch .LBB48_249
.LBB48_1111:
	v_lshlrev_b32_e32 v32, 3, v20
	v_sub_u32_e32 v32, v31, v32
	v_lshl_add_u32 v32, v19, 3, v32
	ds_read_b64 v[32:33], v32 offset:8864
	ds_read_b64 v[34:35], v31 offset:8328
	s_waitcnt lgkmcnt(0)
	v_fma_f64 v[11:12], v[32:33], v[34:35], v[11:12]
	s_or_b64 exec, exec, s[20:21]
	v_cmp_gt_u32_e64 s[14:15], 8, v14
	s_and_saveexec_b64 s[0:1], s[14:15]
	s_cbranch_execz .LBB48_337
.LBB48_1112:
	ds_read_b64 v[32:33], v16 offset:9376
	ds_read_b64 v[34:35], v31 offset:8336
	s_waitcnt lgkmcnt(0)
	v_fma_f64 v[11:12], v[32:33], v[34:35], v[11:12]
	s_or_b64 exec, exec, s[0:1]
	v_cmp_gt_u32_e64 s[14:15], 4, v14
	s_and_saveexec_b64 s[20:21], s[14:15]
	s_cbranch_execnz .LBB48_338
	s_branch .LBB48_339
.LBB48_1113:
	v_lshlrev_b32_e32 v32, 3, v25
	v_sub_u32_e32 v32, v31, v32
	v_lshl_add_u32 v32, v24, 3, v32
	ds_read_b64 v[32:33], v32 offset:8896
	ds_read_b64 v[34:35], v31 offset:8328
	s_waitcnt lgkmcnt(0)
	v_fma_f64 v[11:12], v[32:33], v[34:35], v[11:12]
	s_or_b64 exec, exec, s[20:21]
	v_cmp_gt_u32_e64 s[14:15], 48, v14
	s_and_saveexec_b64 s[20:21], s[14:15]
	s_cbranch_execz .LBB48_379
.LBB48_1114:
	v_lshlrev_b32_e32 v32, 3, v25
	v_sub_u32_e32 v32, v31, v32
	v_lshl_add_u32 v32, v24, 3, v32
	ds_read_b64 v[32:33], v32 offset:9408
	ds_read_b64 v[34:35], v31 offset:8336
	s_waitcnt lgkmcnt(0)
	v_fma_f64 v[11:12], v[32:33], v[34:35], v[11:12]
	s_or_b64 exec, exec, s[20:21]
	v_cmp_gt_u32_e64 s[14:15], 40, v14
	s_and_saveexec_b64 s[20:21], s[14:15]
	s_cbranch_execz .LBB48_380
.LBB48_1115:
	v_lshlrev_b32_e32 v32, 3, v25
	v_sub_u32_e32 v32, v31, v32
	v_lshl_add_u32 v32, v24, 3, v32
	ds_read_b64 v[32:33], v32 offset:9920
	ds_read_b64 v[34:35], v31 offset:8344
	s_waitcnt lgkmcnt(0)
	v_fma_f64 v[11:12], v[32:33], v[34:35], v[11:12]
	s_or_b64 exec, exec, s[20:21]
	v_cmp_gt_u32_e64 s[14:15], 32, v14
	s_and_saveexec_b64 s[0:1], s[14:15]
	s_cbranch_execz .LBB48_381
.LBB48_1116:
	ds_read_b64 v[32:33], v21 offset:10432
	ds_read_b64 v[34:35], v31 offset:8352
	s_waitcnt lgkmcnt(0)
	v_fma_f64 v[11:12], v[32:33], v[34:35], v[11:12]
	s_or_b64 exec, exec, s[0:1]
	v_cmp_gt_u32_e64 s[14:15], 24, v14
	s_and_saveexec_b64 s[20:21], s[14:15]
	s_cbranch_execz .LBB48_382
.LBB48_1117:
	v_lshlrev_b32_e32 v32, 3, v25
	v_sub_u32_e32 v32, v31, v32
	v_lshl_add_u32 v32, v24, 3, v32
	ds_read_b64 v[32:33], v32 offset:10944
	ds_read_b64 v[34:35], v31 offset:8360
	s_waitcnt lgkmcnt(0)
	v_fma_f64 v[11:12], v[32:33], v[34:35], v[11:12]
	s_or_b64 exec, exec, s[20:21]
	v_cmp_gt_u32_e64 s[14:15], 16, v14
	s_and_saveexec_b64 s[0:1], s[14:15]
	s_cbranch_execz .LBB48_383
.LBB48_1118:
	ds_read_b64 v[32:33], v21 offset:11456
	ds_read_b64 v[34:35], v31 offset:8368
	s_waitcnt lgkmcnt(0)
	v_fma_f64 v[11:12], v[32:33], v[34:35], v[11:12]
	s_or_b64 exec, exec, s[0:1]
	v_cmp_gt_u32_e64 s[14:15], 8, v14
	s_and_saveexec_b64 s[20:21], s[14:15]
	s_cbranch_execnz .LBB48_384
	s_branch .LBB48_385
.LBB48_1119:
	v_lshlrev_b32_e32 v32, 3, v20
	v_sub_u32_e32 v32, v31, v32
	v_lshl_add_u32 v32, v19, 3, v32
	ds_read_b64 v[32:33], v32 offset:13024
	ds_read_b64 v[34:35], v31 offset:12488
	s_waitcnt lgkmcnt(0)
	v_fma_f64 v[11:12], v[32:33], v[34:35], v[11:12]
	s_or_b64 exec, exec, s[20:21]
	v_cmp_gt_u32_e64 s[14:15], 8, v14
	s_and_saveexec_b64 s[0:1], s[14:15]
	s_cbranch_execz .LBB48_441
.LBB48_1120:
	ds_read_b64 v[32:33], v16 offset:13536
	ds_read_b64 v[34:35], v31 offset:12496
	s_waitcnt lgkmcnt(0)
	v_fma_f64 v[11:12], v[32:33], v[34:35], v[11:12]
	s_or_b64 exec, exec, s[0:1]
	v_cmp_gt_u32_e64 s[14:15], 4, v14
	s_and_saveexec_b64 s[20:21], s[14:15]
	s_cbranch_execnz .LBB48_442
	s_branch .LBB48_443
.LBB48_1121:
	ds_read_b64 v[35:36], v31 offset:15104
	ds_read_b64 v[37:38], v34 offset:232
	s_waitcnt lgkmcnt(0)
	v_fma_f64 v[11:12], v[35:36], v[37:38], v[11:12]
	s_or_b64 exec, exec, s[0:1]
	v_cmp_gt_u32_e64 s[20:21], 64, v14
	s_and_saveexec_b64 s[0:1], s[20:21]
	s_cbranch_execz .LBB48_539
.LBB48_1122:
	ds_read_b64 v[35:36], v31 offset:15616
	ds_read_b64 v[37:38], v34 offset:240
	s_waitcnt lgkmcnt(0)
	v_fma_f64 v[11:12], v[35:36], v[37:38], v[11:12]
	s_or_b64 exec, exec, s[0:1]
	v_cmp_gt_u32_e64 s[20:21], 32, v14
	s_and_saveexec_b64 s[0:1], s[20:21]
	s_cbranch_execnz .LBB48_540
	s_branch .LBB48_541
.LBB48_1123:
	v_lshlrev_b32_e32 v32, 3, v20
	v_sub_u32_e32 v32, v31, v32
	v_lshl_add_u32 v32, v19, 3, v32
	ds_read_b64 v[32:33], v32 offset:17184
	ds_read_b64 v[34:35], v31 offset:16648
	s_waitcnt lgkmcnt(0)
	v_fma_f64 v[11:12], v[32:33], v[34:35], v[11:12]
	s_or_b64 exec, exec, s[16:17]
	v_cmp_gt_u32_e64 s[12:13], 8, v14
	s_and_saveexec_b64 s[0:1], s[12:13]
	s_cbranch_execz .LBB48_585
.LBB48_1124:
	ds_read_b64 v[32:33], v16 offset:17696
	ds_read_b64 v[34:35], v31 offset:16656
	s_waitcnt lgkmcnt(0)
	v_fma_f64 v[11:12], v[32:33], v[34:35], v[11:12]
	s_or_b64 exec, exec, s[0:1]
	v_cmp_gt_u32_e64 s[12:13], 4, v14
	s_and_saveexec_b64 s[0:1], s[12:13]
	s_cbranch_execnz .LBB48_586
	s_branch .LBB48_587
.LBB48_1125:
	v_lshlrev_b32_e32 v32, 3, v25
	v_sub_u32_e32 v32, v31, v32
	v_lshl_add_u32 v32, v24, 3, v32
	ds_read_b64 v[32:33], v32 offset:17216
	ds_read_b64 v[34:35], v31 offset:16648
	s_waitcnt lgkmcnt(0)
	v_fma_f64 v[11:12], v[32:33], v[34:35], v[11:12]
	s_or_b64 exec, exec, s[16:17]
	v_cmp_gt_u32_e64 s[12:13], 48, v14
	s_and_saveexec_b64 s[0:1], s[12:13]
	s_cbranch_execz .LBB48_627
.LBB48_1126:
	v_lshlrev_b32_e32 v32, 3, v25
	v_sub_u32_e32 v32, v31, v32
	v_lshl_add_u32 v32, v24, 3, v32
	ds_read_b64 v[32:33], v32 offset:17728
	ds_read_b64 v[34:35], v31 offset:16656
	s_waitcnt lgkmcnt(0)
	v_fma_f64 v[11:12], v[32:33], v[34:35], v[11:12]
	s_or_b64 exec, exec, s[0:1]
	v_cmp_gt_u32_e64 s[12:13], 40, v14
	s_and_saveexec_b64 s[0:1], s[12:13]
	s_cbranch_execz .LBB48_628
.LBB48_1127:
	v_lshlrev_b32_e32 v32, 3, v25
	v_sub_u32_e32 v32, v31, v32
	v_lshl_add_u32 v32, v24, 3, v32
	ds_read_b64 v[32:33], v32 offset:18240
	ds_read_b64 v[34:35], v31 offset:16664
	s_waitcnt lgkmcnt(0)
	v_fma_f64 v[11:12], v[32:33], v[34:35], v[11:12]
	s_or_b64 exec, exec, s[0:1]
	v_cmp_gt_u32_e64 s[12:13], 32, v14
	s_and_saveexec_b64 s[0:1], s[12:13]
	s_cbranch_execz .LBB48_629
.LBB48_1128:
	ds_read_b64 v[32:33], v21 offset:18752
	ds_read_b64 v[34:35], v31 offset:16672
	s_waitcnt lgkmcnt(0)
	v_fma_f64 v[11:12], v[32:33], v[34:35], v[11:12]
	s_or_b64 exec, exec, s[0:1]
	v_cmp_gt_u32_e64 s[12:13], 24, v14
	s_and_saveexec_b64 s[0:1], s[12:13]
	s_cbranch_execz .LBB48_630
.LBB48_1129:
	v_lshlrev_b32_e32 v32, 3, v25
	v_sub_u32_e32 v32, v31, v32
	v_lshl_add_u32 v32, v24, 3, v32
	ds_read_b64 v[32:33], v32 offset:19264
	ds_read_b64 v[34:35], v31 offset:16680
	s_waitcnt lgkmcnt(0)
	v_fma_f64 v[11:12], v[32:33], v[34:35], v[11:12]
	s_or_b64 exec, exec, s[0:1]
	v_cmp_gt_u32_e64 s[12:13], 16, v14
	s_and_saveexec_b64 s[0:1], s[12:13]
	s_cbranch_execz .LBB48_631
.LBB48_1130:
	ds_read_b64 v[32:33], v21 offset:19776
	ds_read_b64 v[34:35], v31 offset:16688
	s_waitcnt lgkmcnt(0)
	v_fma_f64 v[11:12], v[32:33], v[34:35], v[11:12]
	s_or_b64 exec, exec, s[0:1]
	v_cmp_gt_u32_e64 s[12:13], 8, v14
	s_and_saveexec_b64 s[0:1], s[12:13]
	s_cbranch_execnz .LBB48_632
	s_branch .LBB48_633
.LBB48_1131:
	v_lshlrev_b32_e32 v32, 3, v20
	v_sub_u32_e32 v32, v31, v32
	v_lshl_add_u32 v32, v19, 3, v32
	ds_read_b64 v[32:33], v32 offset:21344
	ds_read_b64 v[34:35], v31 offset:20808
	s_waitcnt lgkmcnt(0)
	v_fma_f64 v[11:12], v[32:33], v[34:35], v[11:12]
	s_or_b64 exec, exec, s[16:17]
	v_cmp_gt_u32_e64 s[12:13], 8, v14
	s_and_saveexec_b64 s[0:1], s[12:13]
	s_cbranch_execz .LBB48_689
.LBB48_1132:
	ds_read_b64 v[32:33], v16 offset:21856
	ds_read_b64 v[34:35], v31 offset:20816
	s_waitcnt lgkmcnt(0)
	v_fma_f64 v[11:12], v[32:33], v[34:35], v[11:12]
	s_or_b64 exec, exec, s[0:1]
	v_cmp_gt_u32_e64 s[12:13], 4, v14
	s_and_saveexec_b64 s[0:1], s[12:13]
	s_cbranch_execnz .LBB48_690
	s_branch .LBB48_691
.LBB48_1133:
	v_lshlrev_b32_e32 v30, 3, v27
	v_lshl_add_u32 v30, v29, 3, v30
	ds_read_b64 v[32:33], v30 offset:22400
	ds_read_b64 v[34:35], v31 offset:16728
	s_waitcnt lgkmcnt(0)
	v_fma_f64 v[11:12], v[32:33], v[34:35], v[11:12]
	s_or_b64 exec, exec, s[0:1]
	v_cmp_gt_u32_e64 s[12:13], 64, v14
	s_and_saveexec_b64 s[0:1], s[12:13]
	s_cbranch_execz .LBB48_751
.LBB48_1134:
	ds_read_b64 v[32:33], v26 offset:22912
	ds_read_b64 v[34:35], v31 offset:16736
	s_waitcnt lgkmcnt(0)
	v_fma_f64 v[11:12], v[32:33], v[34:35], v[11:12]
	s_or_b64 exec, exec, s[0:1]
	v_cmp_gt_u32_e64 s[12:13], 48, v14
	s_and_saveexec_b64 s[0:1], s[12:13]
	s_cbranch_execz .LBB48_752
.LBB48_1135:
	v_lshlrev_b32_e32 v30, 3, v27
	v_lshl_add_u32 v29, v29, 3, v30
	ds_read_b64 v[29:30], v29 offset:23424
	ds_read_b64 v[32:33], v31 offset:16744
	s_waitcnt lgkmcnt(0)
	v_fma_f64 v[11:12], v[29:30], v[32:33], v[11:12]
	s_or_b64 exec, exec, s[0:1]
	v_cmp_gt_u32_e64 s[12:13], 32, v14
	s_and_saveexec_b64 s[0:1], s[12:13]
	s_cbranch_execz .LBB48_753
.LBB48_1136:
	ds_read_b64 v[29:30], v26 offset:23936
	ds_read_b64 v[31:32], v31 offset:16752
	s_waitcnt lgkmcnt(0)
	v_fma_f64 v[11:12], v[29:30], v[31:32], v[11:12]
	s_or_b64 exec, exec, s[0:1]
	v_cmp_gt_u32_e64 s[12:13], 16, v14
	s_and_saveexec_b64 s[0:1], s[12:13]
	s_cbranch_execnz .LBB48_754
	s_branch .LBB48_755
.LBB48_1137:
	v_lshlrev_b32_e32 v27, 3, v20
	v_sub_u32_e32 v27, v26, v27
	v_lshl_add_u32 v27, v19, 3, v27
	ds_read_b64 v[27:28], v27 offset:25504
	ds_read_b64 v[29:30], v26 offset:24968
	s_waitcnt lgkmcnt(0)
	v_fma_f64 v[11:12], v[27:28], v[29:30], v[11:12]
	s_or_b64 exec, exec, s[12:13]
	v_cmp_gt_u32_e64 s[10:11], 8, v14
	s_and_saveexec_b64 s[12:13], s[10:11]
	s_cbranch_execz .LBB48_843
.LBB48_1138:
	ds_read_b64 v[27:28], v16 offset:26016
	ds_read_b64 v[29:30], v26 offset:24976
	s_waitcnt lgkmcnt(0)
	v_fma_f64 v[11:12], v[27:28], v[29:30], v[11:12]
	s_or_b64 exec, exec, s[12:13]
	v_cmp_gt_u32_e64 s[10:11], 4, v14
	s_and_saveexec_b64 s[12:13], s[10:11]
	s_cbranch_execnz .LBB48_844
	s_branch .LBB48_845
.LBB48_1139:
	v_lshlrev_b32_e32 v27, 3, v25
	v_sub_u32_e32 v27, v26, v27
	v_lshl_add_u32 v27, v24, 3, v27
	ds_read_b64 v[27:28], v27 offset:25536
	ds_read_b64 v[29:30], v26 offset:24968
	s_waitcnt lgkmcnt(0)
	v_fma_f64 v[11:12], v[27:28], v[29:30], v[11:12]
	s_or_b64 exec, exec, s[12:13]
	v_cmp_gt_u32_e64 s[10:11], 48, v14
	s_and_saveexec_b64 s[12:13], s[10:11]
	s_cbranch_execz .LBB48_885
.LBB48_1140:
	v_lshlrev_b32_e32 v27, 3, v25
	v_sub_u32_e32 v27, v26, v27
	v_lshl_add_u32 v27, v24, 3, v27
	ds_read_b64 v[27:28], v27 offset:26048
	ds_read_b64 v[29:30], v26 offset:24976
	s_waitcnt lgkmcnt(0)
	v_fma_f64 v[11:12], v[27:28], v[29:30], v[11:12]
	s_or_b64 exec, exec, s[12:13]
	v_cmp_gt_u32_e64 s[10:11], 40, v14
	s_and_saveexec_b64 s[12:13], s[10:11]
	s_cbranch_execz .LBB48_886
.LBB48_1141:
	v_lshlrev_b32_e32 v27, 3, v25
	v_sub_u32_e32 v27, v26, v27
	v_lshl_add_u32 v27, v24, 3, v27
	ds_read_b64 v[27:28], v27 offset:26560
	ds_read_b64 v[29:30], v26 offset:24984
	s_waitcnt lgkmcnt(0)
	v_fma_f64 v[11:12], v[27:28], v[29:30], v[11:12]
	s_or_b64 exec, exec, s[12:13]
	v_cmp_gt_u32_e64 s[10:11], 32, v14
	s_and_saveexec_b64 s[12:13], s[10:11]
	s_cbranch_execz .LBB48_887
.LBB48_1142:
	ds_read_b64 v[27:28], v21 offset:27072
	ds_read_b64 v[29:30], v26 offset:24992
	s_waitcnt lgkmcnt(0)
	v_fma_f64 v[11:12], v[27:28], v[29:30], v[11:12]
	s_or_b64 exec, exec, s[12:13]
	v_cmp_gt_u32_e64 s[10:11], 24, v14
	s_and_saveexec_b64 s[12:13], s[10:11]
	s_cbranch_execz .LBB48_888
.LBB48_1143:
	v_lshlrev_b32_e32 v25, 3, v25
	v_sub_u32_e32 v25, v26, v25
	v_lshl_add_u32 v24, v24, 3, v25
	ds_read_b64 v[24:25], v24 offset:27584
	ds_read_b64 v[27:28], v26 offset:25000
	s_waitcnt lgkmcnt(0)
	v_fma_f64 v[11:12], v[24:25], v[27:28], v[11:12]
	s_or_b64 exec, exec, s[12:13]
	v_cmp_gt_u32_e64 s[10:11], 16, v14
	s_and_saveexec_b64 s[12:13], s[10:11]
	s_cbranch_execz .LBB48_889
.LBB48_1144:
	ds_read_b64 v[24:25], v21 offset:28096
	ds_read_b64 v[26:27], v26 offset:25008
	s_waitcnt lgkmcnt(0)
	v_fma_f64 v[11:12], v[24:25], v[26:27], v[11:12]
	s_or_b64 exec, exec, s[12:13]
	v_cmp_gt_u32_e64 s[10:11], 8, v14
	s_and_saveexec_b64 s[12:13], s[10:11]
	s_cbranch_execnz .LBB48_890
	s_branch .LBB48_891
.LBB48_1145:
	v_lshlrev_b32_e32 v20, 3, v20
	v_sub_u32_e32 v20, v21, v20
	v_lshl_add_u32 v19, v19, 3, v20
	ds_read_b64 v[19:20], v19 offset:29664
	ds_read_b64 v[22:23], v21 offset:29128
	s_waitcnt lgkmcnt(0)
	v_fma_f64 v[11:12], v[19:20], v[22:23], v[11:12]
	s_or_b64 exec, exec, s[10:11]
	v_cmp_gt_u32_e64 s[8:9], 8, v14
	s_and_saveexec_b64 s[10:11], s[8:9]
	s_cbranch_execz .LBB48_947
.LBB48_1146:
	ds_read_b64 v[19:20], v16 offset:30176
	ds_read_b64 v[21:22], v21 offset:29136
	s_waitcnt lgkmcnt(0)
	v_fma_f64 v[11:12], v[19:20], v[21:22], v[11:12]
	s_or_b64 exec, exec, s[10:11]
	v_cmp_gt_u32_e64 s[8:9], 4, v14
	s_and_saveexec_b64 s[10:11], s[8:9]
	s_cbranch_execnz .LBB48_948
	s_branch .LBB48_949
	.section	.rodata,"a",@progbits
	.p2align	6, 0x0
	.amdhsa_kernel _ZL19rocblas_trsv_deviceILi64ELi16ELb1ELb1ELb1ELb0EddPKdPdEviT7_lllT6_T8_lllPii
		.amdhsa_group_segment_fixed_size 41480
		.amdhsa_private_segment_fixed_size 0
		.amdhsa_kernarg_size 352
		.amdhsa_user_sgpr_count 6
		.amdhsa_user_sgpr_private_segment_buffer 1
		.amdhsa_user_sgpr_dispatch_ptr 0
		.amdhsa_user_sgpr_queue_ptr 0
		.amdhsa_user_sgpr_kernarg_segment_ptr 1
		.amdhsa_user_sgpr_dispatch_id 0
		.amdhsa_user_sgpr_flat_scratch_init 0
		.amdhsa_user_sgpr_private_segment_size 0
		.amdhsa_uses_dynamic_stack 0
		.amdhsa_system_sgpr_private_segment_wavefront_offset 0
		.amdhsa_system_sgpr_workgroup_id_x 1
		.amdhsa_system_sgpr_workgroup_id_y 0
		.amdhsa_system_sgpr_workgroup_id_z 1
		.amdhsa_system_sgpr_workgroup_info 0
		.amdhsa_system_vgpr_workitem_id 1
		.amdhsa_next_free_vgpr 49
		.amdhsa_next_free_sgpr 98
		.amdhsa_reserve_vcc 1
		.amdhsa_reserve_flat_scratch 0
		.amdhsa_float_round_mode_32 0
		.amdhsa_float_round_mode_16_64 0
		.amdhsa_float_denorm_mode_32 3
		.amdhsa_float_denorm_mode_16_64 3
		.amdhsa_dx10_clamp 1
		.amdhsa_ieee_mode 1
		.amdhsa_fp16_overflow 0
		.amdhsa_exception_fp_ieee_invalid_op 0
		.amdhsa_exception_fp_denorm_src 0
		.amdhsa_exception_fp_ieee_div_zero 0
		.amdhsa_exception_fp_ieee_overflow 0
		.amdhsa_exception_fp_ieee_underflow 0
		.amdhsa_exception_fp_ieee_inexact 0
		.amdhsa_exception_int_div_zero 0
	.end_amdhsa_kernel
	.section	.text._ZL19rocblas_trsv_deviceILi64ELi16ELb1ELb1ELb1ELb0EddPKdPdEviT7_lllT6_T8_lllPii,"axG",@progbits,_ZL19rocblas_trsv_deviceILi64ELi16ELb1ELb1ELb1ELb0EddPKdPdEviT7_lllT6_T8_lllPii,comdat
.Lfunc_end48:
	.size	_ZL19rocblas_trsv_deviceILi64ELi16ELb1ELb1ELb1ELb0EddPKdPdEviT7_lllT6_T8_lllPii, .Lfunc_end48-_ZL19rocblas_trsv_deviceILi64ELi16ELb1ELb1ELb1ELb0EddPKdPdEviT7_lllT6_T8_lllPii
                                        ; -- End function
	.set _ZL19rocblas_trsv_deviceILi64ELi16ELb1ELb1ELb1ELb0EddPKdPdEviT7_lllT6_T8_lllPii.num_vgpr, 43
	.set _ZL19rocblas_trsv_deviceILi64ELi16ELb1ELb1ELb1ELb0EddPKdPdEviT7_lllT6_T8_lllPii.num_agpr, 0
	.set _ZL19rocblas_trsv_deviceILi64ELi16ELb1ELb1ELb1ELb0EddPKdPdEviT7_lllT6_T8_lllPii.numbered_sgpr, 96
	.set _ZL19rocblas_trsv_deviceILi64ELi16ELb1ELb1ELb1ELb0EddPKdPdEviT7_lllT6_T8_lllPii.num_named_barrier, 0
	.set _ZL19rocblas_trsv_deviceILi64ELi16ELb1ELb1ELb1ELb0EddPKdPdEviT7_lllT6_T8_lllPii.private_seg_size, 0
	.set _ZL19rocblas_trsv_deviceILi64ELi16ELb1ELb1ELb1ELb0EddPKdPdEviT7_lllT6_T8_lllPii.uses_vcc, 1
	.set _ZL19rocblas_trsv_deviceILi64ELi16ELb1ELb1ELb1ELb0EddPKdPdEviT7_lllT6_T8_lllPii.uses_flat_scratch, 0
	.set _ZL19rocblas_trsv_deviceILi64ELi16ELb1ELb1ELb1ELb0EddPKdPdEviT7_lllT6_T8_lllPii.has_dyn_sized_stack, 0
	.set _ZL19rocblas_trsv_deviceILi64ELi16ELb1ELb1ELb1ELb0EddPKdPdEviT7_lllT6_T8_lllPii.has_recursion, 0
	.set _ZL19rocblas_trsv_deviceILi64ELi16ELb1ELb1ELb1ELb0EddPKdPdEviT7_lllT6_T8_lllPii.has_indirect_call, 0
	.section	.AMDGPU.csdata,"",@progbits
; Kernel info:
; codeLenInByte = 38704
; TotalNumSgprs: 100
; NumVgprs: 43
; ScratchSize: 0
; MemoryBound: 0
; FloatMode: 240
; IeeeMode: 1
; LDSByteSize: 41480 bytes/workgroup (compile time only)
; SGPRBlocks: 12
; VGPRBlocks: 12
; NumSGPRsForWavesPerEU: 102
; NumVGPRsForWavesPerEU: 49
; Occupancy: 4
; WaveLimiterHint : 0
; COMPUTE_PGM_RSRC2:SCRATCH_EN: 0
; COMPUTE_PGM_RSRC2:USER_SGPR: 6
; COMPUTE_PGM_RSRC2:TRAP_HANDLER: 0
; COMPUTE_PGM_RSRC2:TGID_X_EN: 1
; COMPUTE_PGM_RSRC2:TGID_Y_EN: 0
; COMPUTE_PGM_RSRC2:TGID_Z_EN: 1
; COMPUTE_PGM_RSRC2:TIDIG_COMP_CNT: 1
	.section	.text._ZL19rocblas_trsv_deviceILi64ELi16ELb0ELb0ELb0ELb1E19rocblas_complex_numIfEPKS1_S3_PS1_EviT7_lllT6_T8_lllPii,"axG",@progbits,_ZL19rocblas_trsv_deviceILi64ELi16ELb0ELb0ELb0ELb1E19rocblas_complex_numIfEPKS1_S3_PS1_EviT7_lllT6_T8_lllPii,comdat
	.globl	_ZL19rocblas_trsv_deviceILi64ELi16ELb0ELb0ELb0ELb1E19rocblas_complex_numIfEPKS1_S3_PS1_EviT7_lllT6_T8_lllPii ; -- Begin function _ZL19rocblas_trsv_deviceILi64ELi16ELb0ELb0ELb0ELb1E19rocblas_complex_numIfEPKS1_S3_PS1_EviT7_lllT6_T8_lllPii
	.p2align	8
	.type	_ZL19rocblas_trsv_deviceILi64ELi16ELb0ELb0ELb0ELb1E19rocblas_complex_numIfEPKS1_S3_PS1_EviT7_lllT6_T8_lllPii,@function
_ZL19rocblas_trsv_deviceILi64ELi16ELb0ELb0ELb0ELb1E19rocblas_complex_numIfEPKS1_S3_PS1_EviT7_lllT6_T8_lllPii: ; @_ZL19rocblas_trsv_deviceILi64ELi16ELb0ELb0ELb0ELb1E19rocblas_complex_numIfEPKS1_S3_PS1_EviT7_lllT6_T8_lllPii
; %bb.0:
	s_load_dwordx16 s[36:51], s[4:5], 0x8
	s_load_dword s24, s[4:5], 0x0
	s_add_u32 flat_scratch_lo, s6, s10
	s_addc_u32 flat_scratch_hi, s7, 0
	s_add_u32 s0, s0, s10
	s_waitcnt lgkmcnt(0)
	s_mul_i32 s6, s43, s9
	s_mul_hi_u32 s7, s42, s9
	s_addc_u32 s1, s1, 0
	s_add_i32 s7, s7, s6
	s_mul_i32 s6, s42, s9
	s_load_dword s11, s[4:5], 0x60
	s_lshl_b64 s[6:7], s[6:7], 3
	s_mov_b32 s22, s9
	s_add_u32 s9, s36, s6
	s_addc_u32 s10, s37, s7
	s_lshl_b64 s[6:7], s[38:39], 3
	s_load_dwordx2 s[28:29], s[44:45], 0x0
	s_load_dword s89, s[4:5], 0x6c
	s_add_u32 s95, s9, s6
	s_addc_u32 s88, s10, s7
	s_waitcnt lgkmcnt(0)
	s_add_i32 s9, s11, -1
	s_sub_i32 s33, s9, s8
	s_cmp_eq_u32 s8, 0
	s_mov_b32 s23, 0
	s_cbranch_scc1 .LBB49_18
; %bb.1:
	s_lshl_b32 s10, s33, 6
	v_add3_u32 v4, v1, s10, 64
	v_ashrrev_i32_e32 v2, 31, v4
	v_mul_lo_u32 v7, s40, v2
	v_mul_lo_u32 v8, s41, v4
	v_mad_u64_u32 v[2:3], s[6:7], s40, v4, 0
	v_add_u32_e32 v5, s10, v0
	v_ashrrev_i32_e32 v6, 31, v5
	v_add3_u32 v3, v3, v7, v8
	v_lshlrev_b64 v[2:3], 3, v[2:3]
	v_mov_b32_e32 v7, s88
	v_add_co_u32_e64 v8, s[6:7], s95, v2
	v_addc_co_u32_e64 v7, s[6:7], v7, v3, s[6:7]
	v_lshlrev_b64 v[2:3], 3, v[5:6]
	v_cmp_gt_i32_e32 vcc, s24, v5
	v_add_co_u32_e64 v2, s[6:7], v8, v2
	v_addc_co_u32_e64 v3, s[6:7], v7, v3, s[6:7]
	v_max_i32_e32 v5, v5, v4
	v_cmp_le_i32_e64 s[6:7], s24, v5
	s_barrier
	s_and_saveexec_b64 s[10:11], s[6:7]
	s_xor_b64 s[6:7], exec, s[10:11]
	s_cbranch_execz .LBB49_3
; %bb.2:
	v_mov_b32_e32 v5, 0
	buffer_store_dword v5, off, s[0:3], 0
	buffer_store_dword v5, off, s[0:3], 0 offset:4
.LBB49_3:
	s_andn2_saveexec_b64 s[6:7], s[6:7]
	s_cbranch_execz .LBB49_5
; %bb.4:
	global_load_dwordx2 v[5:6], v[2:3], off
	s_waitcnt vmcnt(0)
	buffer_store_dword v6, off, s[0:3], 0 offset:4
	buffer_store_dword v5, off, s[0:3], 0
.LBB49_5:
	s_or_b64 exec, exec, s[6:7]
	v_add_u32_e32 v5, 16, v4
	v_cmp_le_i32_e64 s[6:7], s24, v5
	s_xor_b64 s[10:11], vcc, -1
	s_or_b64 s[6:7], s[10:11], s[6:7]
	s_waitcnt vmcnt(0)
	s_barrier
	s_and_saveexec_b64 s[12:13], s[6:7]
	s_xor_b64 s[6:7], exec, s[12:13]
	s_cbranch_execz .LBB49_7
; %bb.6:
	v_mov_b32_e32 v5, 0
	buffer_store_dword v5, off, s[0:3], 0 offset:8
	buffer_store_dword v5, off, s[0:3], 0 offset:12
.LBB49_7:
	s_andn2_saveexec_b64 s[6:7], s[6:7]
	s_cbranch_execz .LBB49_9
; %bb.8:
	s_lshl_b64 s[12:13], s[40:41], 7
	v_mov_b32_e32 v6, s13
	v_add_co_u32_e32 v5, vcc, s12, v2
	v_addc_co_u32_e32 v6, vcc, v3, v6, vcc
	global_load_dwordx2 v[5:6], v[5:6], off
	s_waitcnt vmcnt(0)
	buffer_store_dword v6, off, s[0:3], 0 offset:12
	buffer_store_dword v5, off, s[0:3], 0 offset:8
.LBB49_9:
	s_or_b64 exec, exec, s[6:7]
	v_add_u32_e32 v5, 32, v4
	v_cmp_le_i32_e32 vcc, s24, v5
	s_or_b64 s[6:7], s[10:11], vcc
	s_waitcnt vmcnt(0)
	s_barrier
	s_and_saveexec_b64 s[12:13], s[6:7]
	s_xor_b64 s[6:7], exec, s[12:13]
	s_cbranch_execz .LBB49_11
; %bb.10:
	v_mov_b32_e32 v5, 0
	buffer_store_dword v5, off, s[0:3], 0 offset:16
	buffer_store_dword v5, off, s[0:3], 0 offset:20
.LBB49_11:
	s_andn2_saveexec_b64 s[6:7], s[6:7]
	s_cbranch_execz .LBB49_13
; %bb.12:
	s_lshl_b64 s[12:13], s[40:41], 8
	v_mov_b32_e32 v6, s13
	v_add_co_u32_e32 v5, vcc, s12, v2
	v_addc_co_u32_e32 v6, vcc, v3, v6, vcc
	global_load_dwordx2 v[5:6], v[5:6], off
	s_waitcnt vmcnt(0)
	buffer_store_dword v6, off, s[0:3], 0 offset:20
	buffer_store_dword v5, off, s[0:3], 0 offset:16
.LBB49_13:
	s_or_b64 exec, exec, s[6:7]
	v_add_u32_e32 v4, 48, v4
	v_cmp_le_i32_e32 vcc, s24, v4
	s_or_b64 s[6:7], s[10:11], vcc
	s_waitcnt vmcnt(0)
	s_barrier
	s_and_saveexec_b64 s[10:11], s[6:7]
	s_xor_b64 s[6:7], exec, s[10:11]
	s_cbranch_execz .LBB49_15
; %bb.14:
	v_mov_b32_e32 v2, 0
	buffer_store_dword v2, off, s[0:3], 0 offset:24
	buffer_store_dword v2, off, s[0:3], 0 offset:28
                                        ; implicit-def: $vgpr2_vgpr3
.LBB49_15:
	s_andn2_saveexec_b64 s[6:7], s[6:7]
	s_cbranch_execz .LBB49_17
; %bb.16:
	v_mov_b32_e32 v4, 0x180
	v_mad_u64_u32 v[2:3], s[10:11], s40, v4, v[2:3]
	s_mul_i32 s10, s41, 0x180
	v_add_u32_e32 v3, s10, v3
	global_load_dwordx2 v[2:3], v[2:3], off
	s_waitcnt vmcnt(0)
	buffer_store_dword v3, off, s[0:3], 0 offset:28
	buffer_store_dword v2, off, s[0:3], 0 offset:24
.LBB49_17:
	s_or_b64 exec, exec, s[6:7]
.LBB49_18:
	s_ashr_i32 s25, s24, 31
	s_lshr_b32 s6, s25, 26
	s_add_i32 s6, s24, s6
	s_andn2_b32 s6, s6, 63
	s_sub_i32 s94, s24, s6
	s_add_i32 s6, s24, -1
	s_ashr_i32 s7, s6, 31
	s_lshr_b32 s7, s7, 26
	s_add_i32 s6, s6, s7
	s_ashr_i32 s6, s6, 6
	s_cmp_eq_u32 s6, s33
	s_cselect_b64 s[6:7], -1, 0
	s_cmp_lg_u32 s94, 0
	s_cselect_b64 s[10:11], -1, 0
	s_and_b64 s[26:27], s[10:11], s[6:7]
	s_mov_b64 s[10:11], -1
	s_and_b64 vcc, exec, s[26:27]
	v_cmp_le_u32_e64 s[6:7], v1, v0
	v_lshl_add_u32 v7, v1, 6, v0
	s_cbranch_vccnz .LBB49_44
; %bb.19:
	s_add_u32 s10, s40, 1
	s_addc_u32 s11, s41, 0
	s_lshl_b32 s12, s33, 6
	s_ashr_i32 s13, s12, 31
	s_mul_hi_u32 s14, s10, s12
	s_mul_i32 s13, s10, s13
	s_add_i32 s13, s14, s13
	s_mul_i32 s11, s11, s12
	s_add_i32 s11, s13, s11
	s_mul_i32 s10, s10, s12
	s_lshl_b64 s[10:11], s[10:11], 3
	s_add_u32 s10, s95, s10
	s_addc_u32 s11, s88, s11
	v_lshlrev_b32_e32 v2, 3, v0
	v_mov_b32_e32 v3, s11
	v_add_co_u32_e32 v2, vcc, s10, v2
	v_addc_co_u32_e32 v3, vcc, 0, v3, vcc
	s_and_saveexec_b64 s[10:11], s[6:7]
	s_xor_b64 s[6:7], exec, s[10:11]
	s_cbranch_execz .LBB49_23
; %bb.20:
	v_or_b32_e32 v4, v1, v0
	v_cmp_gt_u32_e32 vcc, 64, v4
	s_and_saveexec_b64 s[10:11], vcc
; %bb.21:
	v_mov_b32_e32 v4, 0
	v_lshlrev_b32_e32 v6, 3, v7
	v_mov_b32_e32 v5, v4
	ds_write_b64 v6, v[4:5]
; %bb.22:
	s_or_b64 exec, exec, s[10:11]
.LBB49_23:
	s_andn2_saveexec_b64 s[6:7], s[6:7]
	s_cbranch_execz .LBB49_25
; %bb.24:
	v_mad_u64_u32 v[4:5], s[10:11], s40, v1, 0
	v_mad_u64_u32 v[5:6], s[10:11], s41, v1, v[5:6]
	v_lshlrev_b32_e32 v6, 3, v7
	v_lshlrev_b64 v[4:5], 3, v[4:5]
	v_add_co_u32_e32 v4, vcc, v2, v4
	v_addc_co_u32_e32 v5, vcc, v3, v5, vcc
	global_load_dwordx2 v[4:5], v[4:5], off
	s_waitcnt vmcnt(0)
	v_xor_b32_e32 v4, 0x80000000, v4
	v_xor_b32_e32 v5, 0x80000000, v5
	ds_write_b64 v6, v[4:5]
.LBB49_25:
	s_or_b64 exec, exec, s[6:7]
	v_add_u32_e32 v5, 16, v1
	v_lshl_add_u32 v4, v5, 6, v0
	v_cmp_le_u32_e32 vcc, v5, v0
	s_and_saveexec_b64 s[6:7], vcc
	s_xor_b64 s[6:7], exec, s[6:7]
	s_cbranch_execz .LBB49_29
; %bb.26:
	v_or_b32_e32 v5, v5, v0
	v_cmp_gt_u32_e32 vcc, 64, v5
	s_and_saveexec_b64 s[10:11], vcc
; %bb.27:
	v_lshlrev_b32_e32 v6, 3, v4
	v_mov_b32_e32 v4, 0
	v_mov_b32_e32 v5, v4
	ds_write_b64 v6, v[4:5]
; %bb.28:
	s_or_b64 exec, exec, s[10:11]
                                        ; implicit-def: $vgpr5
                                        ; implicit-def: $vgpr4
.LBB49_29:
	s_andn2_saveexec_b64 s[6:7], s[6:7]
	s_cbranch_execz .LBB49_31
; %bb.30:
	v_mad_u64_u32 v[8:9], s[10:11], s40, v5, 0
	v_lshlrev_b32_e32 v4, 3, v4
	v_mov_b32_e32 v6, v9
	v_mad_u64_u32 v[5:6], s[10:11], s41, v5, v[6:7]
	v_mov_b32_e32 v9, v5
	v_lshlrev_b64 v[5:6], 3, v[8:9]
	v_add_co_u32_e32 v5, vcc, v2, v5
	v_addc_co_u32_e32 v6, vcc, v3, v6, vcc
	global_load_dwordx2 v[5:6], v[5:6], off
	s_waitcnt vmcnt(0)
	v_xor_b32_e32 v5, 0x80000000, v5
	v_xor_b32_e32 v6, 0x80000000, v6
	ds_write_b64 v4, v[5:6]
.LBB49_31:
	s_or_b64 exec, exec, s[6:7]
	v_add_u32_e32 v5, 32, v1
	v_lshl_add_u32 v4, v5, 6, v0
	v_cmp_le_u32_e32 vcc, v5, v0
	s_and_saveexec_b64 s[6:7], vcc
	s_xor_b64 s[6:7], exec, s[6:7]
	s_cbranch_execz .LBB49_35
; %bb.32:
	v_or_b32_e32 v5, v5, v0
	v_cmp_gt_u32_e32 vcc, 64, v5
	s_and_saveexec_b64 s[10:11], vcc
; %bb.33:
	v_lshlrev_b32_e32 v6, 3, v4
	v_mov_b32_e32 v4, 0
	v_mov_b32_e32 v5, v4
	ds_write_b64 v6, v[4:5]
; %bb.34:
	s_or_b64 exec, exec, s[10:11]
                                        ; implicit-def: $vgpr5
                                        ; implicit-def: $vgpr4
.LBB49_35:
	s_andn2_saveexec_b64 s[6:7], s[6:7]
	s_cbranch_execz .LBB49_37
; %bb.36:
	v_mad_u64_u32 v[8:9], s[10:11], s40, v5, 0
	v_lshlrev_b32_e32 v4, 3, v4
	v_mov_b32_e32 v6, v9
	v_mad_u64_u32 v[5:6], s[10:11], s41, v5, v[6:7]
	v_mov_b32_e32 v9, v5
	v_lshlrev_b64 v[5:6], 3, v[8:9]
	v_add_co_u32_e32 v5, vcc, v2, v5
	v_addc_co_u32_e32 v6, vcc, v3, v6, vcc
	global_load_dwordx2 v[5:6], v[5:6], off
	s_waitcnt vmcnt(0)
	v_xor_b32_e32 v5, 0x80000000, v5
	v_xor_b32_e32 v6, 0x80000000, v6
	ds_write_b64 v4, v[5:6]
.LBB49_37:
	s_or_b64 exec, exec, s[6:7]
	v_add_u32_e32 v5, 48, v1
	v_lshl_add_u32 v4, v5, 6, v0
	v_cmp_le_u32_e32 vcc, v5, v0
	s_and_saveexec_b64 s[6:7], vcc
	s_xor_b64 s[6:7], exec, s[6:7]
	s_cbranch_execz .LBB49_41
; %bb.38:
	v_or_b32_e32 v2, v5, v0
	v_cmp_gt_u32_e32 vcc, 64, v2
	s_and_saveexec_b64 s[10:11], vcc
; %bb.39:
	v_mov_b32_e32 v2, 0
	v_lshlrev_b32_e32 v4, 3, v4
	v_mov_b32_e32 v3, v2
	ds_write_b64 v4, v[2:3]
; %bb.40:
	s_or_b64 exec, exec, s[10:11]
                                        ; implicit-def: $vgpr5
                                        ; implicit-def: $vgpr2
                                        ; implicit-def: $vgpr3
                                        ; implicit-def: $vgpr4
.LBB49_41:
	s_andn2_saveexec_b64 s[6:7], s[6:7]
	s_cbranch_execz .LBB49_43
; %bb.42:
	v_mad_u64_u32 v[8:9], s[10:11], s40, v5, 0
	v_lshlrev_b32_e32 v4, 3, v4
	v_mov_b32_e32 v6, v9
	v_mad_u64_u32 v[5:6], s[10:11], s41, v5, v[6:7]
	v_mov_b32_e32 v9, v5
	v_lshlrev_b64 v[5:6], 3, v[8:9]
	v_add_co_u32_e32 v2, vcc, v2, v5
	v_addc_co_u32_e32 v3, vcc, v3, v6, vcc
	global_load_dwordx2 v[2:3], v[2:3], off
	s_waitcnt vmcnt(0)
	v_xor_b32_e32 v2, 0x80000000, v2
	v_xor_b32_e32 v3, 0x80000000, v3
	ds_write_b64 v4, v[2:3]
.LBB49_43:
	s_or_b64 exec, exec, s[6:7]
	s_mov_b64 s[10:11], 0
.LBB49_44:
	s_and_b64 vcc, exec, s[10:11]
	s_cbranch_vccz .LBB49_70
; %bb.45:
	s_add_u32 s6, s40, 1
	s_addc_u32 s7, s41, 0
	s_lshl_b32 s10, s33, 6
	s_ashr_i32 s11, s10, 31
	s_mul_hi_u32 s12, s6, s10
	s_mul_i32 s11, s6, s11
	s_add_i32 s11, s12, s11
	s_mul_i32 s7, s7, s10
	s_add_i32 s7, s11, s7
	s_mul_i32 s6, s6, s10
	s_lshl_b64 s[6:7], s[6:7], 3
	s_add_u32 s6, s95, s6
	s_addc_u32 s7, s88, s7
	v_lshlrev_b32_e32 v2, 3, v0
	v_mov_b32_e32 v3, s7
	v_add_co_u32_e64 v2, s[6:7], s6, v2
	v_addc_co_u32_e64 v3, s[6:7], 0, v3, s[6:7]
	v_max_i32_e32 v4, v1, v0
	v_cmp_le_u32_e64 s[6:7], v1, v0
	v_cmp_le_i32_e64 s[10:11], s94, v4
	v_cmp_gt_i32_e32 vcc, s94, v0
	s_or_b64 s[6:7], s[10:11], s[6:7]
	s_and_saveexec_b64 s[10:11], s[6:7]
	s_xor_b64 s[10:11], exec, s[10:11]
	s_cbranch_execz .LBB49_49
; %bb.46:
	v_or_b32_e32 v4, v1, v0
	v_cmp_gt_u32_e64 s[6:7], 64, v4
	s_and_saveexec_b64 s[12:13], s[6:7]
; %bb.47:
	v_mov_b32_e32 v4, 0
	v_lshlrev_b32_e32 v6, 3, v7
	v_mov_b32_e32 v5, v4
	ds_write_b64 v6, v[4:5]
; %bb.48:
	s_or_b64 exec, exec, s[12:13]
.LBB49_49:
	s_andn2_saveexec_b64 s[10:11], s[10:11]
	s_cbranch_execz .LBB49_51
; %bb.50:
	v_mad_u64_u32 v[4:5], s[6:7], s40, v1, 0
	v_mad_u64_u32 v[5:6], s[6:7], s41, v1, v[5:6]
	v_lshlrev_b32_e32 v6, 3, v7
	v_lshlrev_b64 v[4:5], 3, v[4:5]
	v_add_co_u32_e64 v4, s[6:7], v2, v4
	v_addc_co_u32_e64 v5, s[6:7], v3, v5, s[6:7]
	global_load_dwordx2 v[4:5], v[4:5], off
	s_waitcnt vmcnt(0)
	v_xor_b32_e32 v4, 0x80000000, v4
	v_xor_b32_e32 v5, 0x80000000, v5
	ds_write_b64 v6, v[4:5]
.LBB49_51:
	s_or_b64 exec, exec, s[10:11]
	v_add_u32_e32 v5, 16, v1
	v_cmp_gt_u32_e64 s[6:7], v5, v0
	v_cmp_gt_i32_e64 s[10:11], s94, v5
	s_and_b64 s[6:7], s[6:7], s[10:11]
	s_and_b64 s[6:7], s[6:7], vcc
	v_lshl_add_u32 v4, v5, 6, v0
	s_xor_b64 s[6:7], s[6:7], -1
	s_and_saveexec_b64 s[10:11], s[6:7]
	s_xor_b64 s[10:11], exec, s[10:11]
	s_cbranch_execz .LBB49_55
; %bb.52:
	v_or_b32_e32 v5, v5, v0
	v_cmp_gt_u32_e64 s[6:7], 64, v5
	s_and_saveexec_b64 s[12:13], s[6:7]
; %bb.53:
	v_lshlrev_b32_e32 v6, 3, v4
	v_mov_b32_e32 v4, 0
	v_mov_b32_e32 v5, v4
	ds_write_b64 v6, v[4:5]
; %bb.54:
	s_or_b64 exec, exec, s[12:13]
                                        ; implicit-def: $vgpr5
                                        ; implicit-def: $vgpr4
.LBB49_55:
	s_andn2_saveexec_b64 s[10:11], s[10:11]
	s_cbranch_execz .LBB49_57
; %bb.56:
	v_mad_u64_u32 v[8:9], s[6:7], s40, v5, 0
	v_lshlrev_b32_e32 v4, 3, v4
	v_mov_b32_e32 v6, v9
	v_mad_u64_u32 v[5:6], s[6:7], s41, v5, v[6:7]
	v_mov_b32_e32 v9, v5
	v_lshlrev_b64 v[5:6], 3, v[8:9]
	v_add_co_u32_e64 v5, s[6:7], v2, v5
	v_addc_co_u32_e64 v6, s[6:7], v3, v6, s[6:7]
	global_load_dwordx2 v[5:6], v[5:6], off
	s_waitcnt vmcnt(0)
	v_xor_b32_e32 v5, 0x80000000, v5
	v_xor_b32_e32 v6, 0x80000000, v6
	ds_write_b64 v4, v[5:6]
.LBB49_57:
	s_or_b64 exec, exec, s[10:11]
	v_add_u32_e32 v5, 32, v1
	v_cmp_gt_u32_e64 s[6:7], v5, v0
	v_cmp_gt_i32_e64 s[10:11], s94, v5
	s_and_b64 s[6:7], s[6:7], s[10:11]
	s_and_b64 s[6:7], s[6:7], vcc
	v_lshl_add_u32 v4, v5, 6, v0
	s_xor_b64 s[6:7], s[6:7], -1
	s_and_saveexec_b64 s[10:11], s[6:7]
	s_xor_b64 s[10:11], exec, s[10:11]
	s_cbranch_execz .LBB49_61
; %bb.58:
	v_or_b32_e32 v5, v5, v0
	v_cmp_gt_u32_e64 s[6:7], 64, v5
	s_and_saveexec_b64 s[12:13], s[6:7]
; %bb.59:
	v_lshlrev_b32_e32 v6, 3, v4
	v_mov_b32_e32 v4, 0
	v_mov_b32_e32 v5, v4
	ds_write_b64 v6, v[4:5]
; %bb.60:
	s_or_b64 exec, exec, s[12:13]
                                        ; implicit-def: $vgpr5
                                        ; implicit-def: $vgpr4
.LBB49_61:
	s_andn2_saveexec_b64 s[10:11], s[10:11]
	s_cbranch_execz .LBB49_63
; %bb.62:
	v_mad_u64_u32 v[8:9], s[6:7], s40, v5, 0
	v_lshlrev_b32_e32 v4, 3, v4
	v_mov_b32_e32 v6, v9
	v_mad_u64_u32 v[5:6], s[6:7], s41, v5, v[6:7]
	v_mov_b32_e32 v9, v5
	v_lshlrev_b64 v[5:6], 3, v[8:9]
	v_add_co_u32_e64 v5, s[6:7], v2, v5
	v_addc_co_u32_e64 v6, s[6:7], v3, v6, s[6:7]
	global_load_dwordx2 v[5:6], v[5:6], off
	s_waitcnt vmcnt(0)
	v_xor_b32_e32 v5, 0x80000000, v5
	v_xor_b32_e32 v6, 0x80000000, v6
	ds_write_b64 v4, v[5:6]
.LBB49_63:
	s_or_b64 exec, exec, s[10:11]
	v_add_u32_e32 v5, 48, v1
	v_cmp_gt_u32_e64 s[6:7], v5, v0
	v_cmp_gt_i32_e64 s[10:11], s94, v5
	s_and_b64 s[6:7], s[6:7], s[10:11]
	s_and_b64 s[6:7], s[6:7], vcc
	v_lshl_add_u32 v4, v5, 6, v0
	s_xor_b64 s[6:7], s[6:7], -1
	s_and_saveexec_b64 s[10:11], s[6:7]
	s_xor_b64 s[6:7], exec, s[10:11]
	s_cbranch_execz .LBB49_67
; %bb.64:
	v_or_b32_e32 v2, v5, v0
	v_cmp_gt_u32_e32 vcc, 64, v2
	s_and_saveexec_b64 s[10:11], vcc
; %bb.65:
	v_mov_b32_e32 v2, 0
	v_lshlrev_b32_e32 v4, 3, v4
	v_mov_b32_e32 v3, v2
	ds_write_b64 v4, v[2:3]
; %bb.66:
	s_or_b64 exec, exec, s[10:11]
                                        ; implicit-def: $vgpr5
                                        ; implicit-def: $vgpr2
                                        ; implicit-def: $vgpr3
                                        ; implicit-def: $vgpr4
.LBB49_67:
	s_andn2_saveexec_b64 s[6:7], s[6:7]
	s_cbranch_execz .LBB49_69
; %bb.68:
	v_mad_u64_u32 v[8:9], s[10:11], s40, v5, 0
	v_lshlrev_b32_e32 v4, 3, v4
	v_mov_b32_e32 v6, v9
	v_mad_u64_u32 v[5:6], s[10:11], s41, v5, v[6:7]
	v_mov_b32_e32 v9, v5
	v_lshlrev_b64 v[5:6], 3, v[8:9]
	v_add_co_u32_e32 v2, vcc, v2, v5
	v_addc_co_u32_e32 v3, vcc, v3, v6, vcc
	global_load_dwordx2 v[2:3], v[2:3], off
	s_waitcnt vmcnt(0)
	v_xor_b32_e32 v2, 0x80000000, v2
	v_xor_b32_e32 v3, 0x80000000, v3
	ds_write_b64 v4, v[2:3]
.LBB49_69:
	s_or_b64 exec, exec, s[6:7]
.LBB49_70:
	s_cmp_lt_i32 s8, 5
	s_cselect_b64 s[6:7], -1, 0
	s_or_b64 s[30:31], s[6:7], s[26:27]
	s_and_b64 vcc, exec, s[30:31]
	s_waitcnt vmcnt(0) lgkmcnt(0)
	s_barrier
	s_cbranch_vccnz .LBB49_930
; %bb.71:
	v_or_b32_e32 v2, v0, v1
	s_mov_b32 s11, 0
	v_cmp_eq_u32_e32 vcc, 0, v2
	s_and_saveexec_b64 s[6:7], vcc
	s_cbranch_execz .LBB49_73
; %bb.72:
	s_mov_b32 s10, 1.0
	v_mov_b32_e32 v2, s10
	v_mov_b32_e32 v3, s11
	s_movk_i32 s10, 0x7800
	v_add_u32_e64 v4, s10, 0
	ds_write2_b64 v4, v[2:3], v[2:3] offset0:190 offset1:255
.LBB49_73:
	s_or_b64 exec, exec, s[6:7]
	v_lshlrev_b32_e32 v2, 6, v1
	v_add_u32_e32 v8, v2, v0
	v_and_b32_e32 v3, v2, v0
	v_xor_b32_e32 v2, v2, v0
	v_lshrrev_b16_e32 v2, 1, v2
	v_add_u16_e32 v6, v3, v2
	v_and_b32_e32 v4, 1, v0
	v_sub_u32_e32 v5, 1, v6
	v_cmp_lt_u32_e64 s[10:11], 3, v8
	v_cmp_gt_u32_e64 s[6:7], 4, v8
	v_mov_b32_e32 v2, 0
	v_mov_b32_e32 v3, 0
	s_waitcnt lgkmcnt(0)
	s_barrier
	buffer_wbinvl1_vol
	s_and_saveexec_b64 s[14:15], s[6:7]
	s_cbranch_execz .LBB49_77
; %bb.74:
	v_lshlrev_b32_e32 v2, 3, v4
	v_lshlrev_b32_e32 v9, 9, v5
	ds_read_b64 v[2:3], v2 offset:32224
	ds_read_b64 v[9:10], v9 offset:32240
	v_cmp_gt_u32_e64 s[12:13], 2, v8
	s_waitcnt lgkmcnt(0)
	v_mul_f32_e32 v11, v10, v3
	v_mul_f32_e32 v3, v9, v3
	v_fma_f32 v9, v9, v2, -v11
	v_fmac_f32_e32 v3, v10, v2
	v_add_f32_e32 v2, 0, v9
	v_add_f32_e32 v3, 0, v3
	s_and_saveexec_b64 s[16:17], s[12:13]
	s_cbranch_execz .LBB49_76
; %bb.75:
	v_lshlrev_b32_e32 v9, 3, v0
	v_mov_b32_e32 v11, 0
	ds_read_b64 v[9:10], v9 offset:32736
	ds_read_b64 v[11:12], v11 offset:32760
	s_waitcnt lgkmcnt(0)
	v_mul_f32_e32 v13, v12, v10
	v_mul_f32_e32 v10, v11, v10
	v_fma_f32 v11, v11, v9, -v13
	v_fmac_f32_e32 v10, v12, v9
	v_add_f32_e32 v2, v2, v11
	v_add_f32_e32 v3, v3, v10
.LBB49_76:
	s_or_b64 exec, exec, s[16:17]
.LBB49_77:
	s_or_b64 exec, exec, s[14:15]
	v_mov_b32_e32 v9, 0x8000
	v_cmp_ne_u32_e64 s[12:13], 0, v4
	s_xor_b64 s[14:15], s[10:11], -1
	v_lshl_add_u32 v6, v6, 3, v9
	s_and_b64 s[36:37], s[12:13], s[14:15]
	s_and_saveexec_b64 s[10:11], s[36:37]
; %bb.78:
	v_xor_b32_e32 v10, 0x80000000, v3
	v_xor_b32_e32 v9, 0x80000000, v2
	ds_write_b64 v6, v[9:10]
; %bb.79:
	s_or_b64 exec, exec, s[10:11]
	v_cmp_eq_u32_e64 s[10:11], 0, v4
	s_and_b64 s[34:35], s[10:11], s[14:15]
	s_waitcnt lgkmcnt(0)
	s_barrier
	s_and_saveexec_b64 s[10:11], s[34:35]
	s_cbranch_execz .LBB49_81
; %bb.80:
	v_mov_b32_e32 v9, 0
	ds_read_b64 v[9:10], v9 offset:31712
	ds_read_b64 v[11:12], v6
	s_waitcnt lgkmcnt(0)
	v_mul_f32_e32 v13, v11, v9
	v_mul_f32_e32 v11, v11, v10
	v_fmac_f32_e32 v11, v12, v9
	v_fma_f32 v9, v12, v10, -v13
	v_add_f32_e32 v2, v2, v9
	v_sub_f32_e32 v3, v3, v11
.LBB49_81:
	s_or_b64 exec, exec, s[10:11]
	s_barrier
	s_and_saveexec_b64 s[10:11], s[34:35]
; %bb.82:
	v_xor_b32_e32 v10, 0x80000000, v3
	v_xor_b32_e32 v9, 0x80000000, v2
	ds_write_b64 v6, v[9:10]
; %bb.83:
	s_or_b64 exec, exec, s[10:11]
	s_waitcnt lgkmcnt(0)
	s_barrier
	s_barrier
	s_and_saveexec_b64 s[10:11], s[6:7]
; %bb.84:
	v_lshlrev_b32_e32 v9, 3, v4
	v_lshl_or_b32 v9, v5, 9, v9
	ds_write_b64 v9, v[2:3] offset:32224
; %bb.85:
	s_or_b64 exec, exec, s[10:11]
	s_waitcnt lgkmcnt(0)
	s_barrier
	s_barrier
	s_and_saveexec_b64 s[10:11], vcc
	s_cbranch_execz .LBB49_87
; %bb.86:
	s_mov_b64 s[12:13], 0x3f800000
	v_mov_b32_e32 v2, s12
	v_mov_b32_e32 v3, s13
	s_movk_i32 s12, 0x7800
	v_add_u32_e64 v9, s12, 0
	ds_write2_b64 v9, v[2:3], v[2:3] offset0:60 offset1:125
.LBB49_87:
	s_or_b64 exec, exec, s[10:11]
	v_lshrrev_b32_e32 v11, 2, v8
	v_and_b32_e32 v9, 3, v0
	v_sub_u32_e32 v10, 3, v11
	v_cmp_lt_u32_e64 s[10:11], 15, v8
	v_cmp_gt_u32_e64 s[18:19], 16, v8
	v_mov_b32_e32 v3, 0
	v_mov_b32_e32 v2, 0
	s_waitcnt lgkmcnt(0)
	s_barrier
	buffer_wbinvl1_vol
	s_and_saveexec_b64 s[14:15], s[18:19]
	s_cbranch_execz .LBB49_93
; %bb.88:
	v_lshlrev_b32_e32 v12, 3, v9
	v_lshlrev_b32_e32 v13, 9, v10
	ds_read_b64 v[2:3], v12 offset:31168
	ds_read_b64 v[14:15], v13 offset:31200
	v_cmp_gt_u32_e64 s[12:13], 12, v8
	s_waitcnt lgkmcnt(0)
	v_mul_f32_e32 v16, v15, v3
	v_mul_f32_e32 v3, v14, v3
	v_fma_f32 v14, v14, v2, -v16
	v_fmac_f32_e32 v3, v15, v2
	v_add_f32_e32 v2, 0, v14
	v_add_f32_e32 v3, 0, v3
	s_and_saveexec_b64 s[16:17], s[12:13]
	s_cbranch_execnz .LBB49_988
; %bb.89:
	s_or_b64 exec, exec, s[16:17]
	v_cmp_gt_u32_e64 s[12:13], 8, v8
	s_and_saveexec_b64 s[16:17], s[12:13]
	s_cbranch_execnz .LBB49_989
.LBB49_90:
	s_or_b64 exec, exec, s[16:17]
	v_cmp_gt_u32_e64 s[12:13], 4, v8
	s_and_saveexec_b64 s[16:17], s[12:13]
	s_cbranch_execz .LBB49_92
.LBB49_91:
	v_lshlrev_b32_e32 v12, 3, v0
	v_mov_b32_e32 v14, 0
	ds_read_b64 v[12:13], v12 offset:32704
	ds_read_b64 v[14:15], v14 offset:32760
	s_waitcnt lgkmcnt(0)
	v_mul_f32_e32 v16, v15, v13
	v_mul_f32_e32 v13, v14, v13
	v_fma_f32 v14, v14, v12, -v16
	v_fmac_f32_e32 v13, v15, v12
	v_add_f32_e32 v2, v2, v14
	v_add_f32_e32 v3, v3, v13
.LBB49_92:
	s_or_b64 exec, exec, s[16:17]
.LBB49_93:
	s_or_b64 exec, exec, s[14:15]
	v_mov_b32_e32 v12, 0x8000
	v_cmp_eq_u32_e64 s[12:13], 3, v9
	s_xor_b64 s[14:15], s[10:11], -1
	v_lshl_add_u32 v11, v11, 3, v12
	s_and_b64 s[42:43], s[12:13], s[14:15]
	s_and_saveexec_b64 s[10:11], s[42:43]
; %bb.94:
	v_xor_b32_e32 v12, 0x80000000, v2
	v_xor_b32_e32 v13, 0x80000000, v3
	ds_write_b64 v11, v[12:13]
; %bb.95:
	s_or_b64 exec, exec, s[10:11]
	v_cmp_ne_u32_e64 s[10:11], 3, v9
	s_and_b64 s[44:45], s[10:11], s[14:15]
	s_waitcnt lgkmcnt(0)
	s_barrier
	s_and_saveexec_b64 s[10:11], s[44:45]
	s_cbranch_execz .LBB49_97
; %bb.96:
	v_lshlrev_b32_e32 v12, 3, v9
	ds_read_b64 v[12:13], v12 offset:30656
	ds_read_b64 v[14:15], v11
	s_waitcnt lgkmcnt(0)
	v_mul_f32_e32 v16, v15, v13
	v_mul_f32_e32 v13, v14, v13
	v_fma_f32 v14, v14, v12, -v16
	v_fmac_f32_e32 v13, v15, v12
	v_sub_f32_e32 v2, v2, v14
	v_sub_f32_e32 v3, v3, v13
.LBB49_97:
	s_or_b64 exec, exec, s[10:11]
	v_cmp_eq_u32_e64 s[10:11], 2, v9
	s_and_b64 s[52:53], s[10:11], s[14:15]
	s_barrier
	s_and_saveexec_b64 s[10:11], s[52:53]
; %bb.98:
	v_xor_b32_e32 v12, 0x80000000, v2
	v_xor_b32_e32 v13, 0x80000000, v3
	ds_write_b64 v11, v[12:13]
; %bb.99:
	s_or_b64 exec, exec, s[10:11]
	v_cmp_gt_u32_e64 s[10:11], 2, v9
	s_and_b64 s[54:55], s[10:11], s[14:15]
	s_waitcnt lgkmcnt(0)
	s_barrier
	s_and_saveexec_b64 s[10:11], s[54:55]
	s_cbranch_execz .LBB49_101
; %bb.100:
	v_lshlrev_b32_e32 v12, 3, v9
	ds_read_b64 v[12:13], v12 offset:30144
	ds_read_b64 v[14:15], v11
	s_waitcnt lgkmcnt(0)
	v_mul_f32_e32 v16, v15, v13
	v_mul_f32_e32 v13, v14, v13
	v_fma_f32 v14, v14, v12, -v16
	v_fmac_f32_e32 v13, v15, v12
	v_sub_f32_e32 v2, v2, v14
	v_sub_f32_e32 v3, v3, v13
.LBB49_101:
	s_or_b64 exec, exec, s[10:11]
	v_cmp_eq_u32_e64 s[10:11], 1, v9
	s_and_b64 s[56:57], s[10:11], s[14:15]
	s_barrier
	s_and_saveexec_b64 s[10:11], s[56:57]
; %bb.102:
	v_xor_b32_e32 v12, 0x80000000, v2
	v_xor_b32_e32 v13, 0x80000000, v3
	ds_write_b64 v11, v[12:13]
; %bb.103:
	s_or_b64 exec, exec, s[10:11]
	v_cmp_eq_u32_e64 s[10:11], 0, v9
	s_and_b64 s[38:39], s[10:11], s[14:15]
	s_waitcnt lgkmcnt(0)
	s_barrier
	s_and_saveexec_b64 s[10:11], s[38:39]
	s_cbranch_execz .LBB49_105
; %bb.104:
	v_mov_b32_e32 v12, 0
	ds_read_b64 v[12:13], v12 offset:29632
	ds_read_b64 v[14:15], v11
	s_waitcnt lgkmcnt(0)
	v_mul_f32_e32 v16, v15, v13
	v_mul_f32_e32 v13, v14, v13
	v_fma_f32 v14, v14, v12, -v16
	v_fmac_f32_e32 v13, v15, v12
	v_sub_f32_e32 v2, v2, v14
	v_sub_f32_e32 v3, v3, v13
.LBB49_105:
	s_or_b64 exec, exec, s[10:11]
	s_barrier
	s_and_saveexec_b64 s[10:11], s[38:39]
; %bb.106:
	v_xor_b32_e32 v12, 0x80000000, v2
	v_xor_b32_e32 v13, 0x80000000, v3
	ds_write_b64 v11, v[12:13]
; %bb.107:
	s_or_b64 exec, exec, s[10:11]
	s_waitcnt lgkmcnt(0)
	s_barrier
	s_barrier
	s_and_saveexec_b64 s[10:11], s[18:19]
; %bb.108:
	v_lshlrev_b32_e32 v12, 3, v9
	v_lshl_or_b32 v12, v10, 9, v12
	ds_write_b64 v12, v[2:3] offset:31168
; %bb.109:
	s_or_b64 exec, exec, s[10:11]
	s_waitcnt lgkmcnt(0)
	s_barrier
	s_barrier
	s_and_saveexec_b64 s[10:11], vcc
	s_cbranch_execz .LBB49_111
; %bb.110:
	s_mov_b64 s[12:13], 0x3f800000
	v_mov_b32_e32 v2, s12
	v_mov_b32_e32 v3, s13
	s_movk_i32 s12, 0x7000
	v_add_u32_e64 v12, s12, 0
	ds_write2_b64 v12, v[2:3], v[2:3] offset0:186 offset1:251
.LBB49_111:
	s_or_b64 exec, exec, s[10:11]
	v_mov_b32_e32 v2, 0
	v_mov_b32_e32 v3, 0
	s_waitcnt lgkmcnt(0)
	s_barrier
	buffer_wbinvl1_vol
	s_and_saveexec_b64 s[12:13], s[6:7]
	s_cbranch_execz .LBB49_115
; %bb.112:
	v_lshlrev_b32_e32 v2, 3, v4
	v_lshlrev_b32_e32 v12, 9, v5
	ds_read_b64 v[2:3], v2 offset:30144
	ds_read_b64 v[12:13], v12 offset:30160
	v_cmp_gt_u32_e64 s[10:11], 2, v8
	s_waitcnt lgkmcnt(0)
	v_mul_f32_e32 v14, v13, v3
	v_mul_f32_e32 v3, v12, v3
	v_fma_f32 v12, v12, v2, -v14
	v_fmac_f32_e32 v3, v13, v2
	v_add_f32_e32 v2, 0, v12
	v_add_f32_e32 v3, 0, v3
	s_and_saveexec_b64 s[14:15], s[10:11]
	s_cbranch_execz .LBB49_114
; %bb.113:
	v_lshlrev_b32_e32 v12, 3, v0
	v_mov_b32_e32 v14, 0
	ds_read_b64 v[12:13], v12 offset:30656
	ds_read_b64 v[14:15], v14 offset:30680
	s_waitcnt lgkmcnt(0)
	v_mul_f32_e32 v16, v15, v13
	v_mul_f32_e32 v13, v14, v13
	v_fma_f32 v14, v14, v12, -v16
	v_fmac_f32_e32 v13, v15, v12
	v_add_f32_e32 v2, v2, v14
	v_add_f32_e32 v3, v3, v13
.LBB49_114:
	s_or_b64 exec, exec, s[14:15]
.LBB49_115:
	s_or_b64 exec, exec, s[12:13]
	s_and_saveexec_b64 s[10:11], s[36:37]
; %bb.116:
	v_xor_b32_e32 v13, 0x80000000, v3
	v_xor_b32_e32 v12, 0x80000000, v2
	ds_write_b64 v6, v[12:13]
; %bb.117:
	s_or_b64 exec, exec, s[10:11]
	s_waitcnt lgkmcnt(0)
	s_barrier
	s_and_saveexec_b64 s[10:11], s[34:35]
	s_cbranch_execz .LBB49_119
; %bb.118:
	v_mov_b32_e32 v12, 0
	ds_read_b64 v[12:13], v12 offset:29632
	ds_read_b64 v[14:15], v6
	s_waitcnt lgkmcnt(0)
	v_mul_f32_e32 v16, v14, v12
	v_mul_f32_e32 v14, v14, v13
	v_fmac_f32_e32 v14, v15, v12
	v_fma_f32 v12, v15, v13, -v16
	v_add_f32_e32 v2, v2, v12
	v_sub_f32_e32 v3, v3, v14
.LBB49_119:
	s_or_b64 exec, exec, s[10:11]
	s_barrier
	s_and_saveexec_b64 s[10:11], s[34:35]
; %bb.120:
	v_xor_b32_e32 v13, 0x80000000, v3
	v_xor_b32_e32 v12, 0x80000000, v2
	ds_write_b64 v6, v[12:13]
; %bb.121:
	s_or_b64 exec, exec, s[10:11]
	s_waitcnt lgkmcnt(0)
	s_barrier
	s_barrier
	s_and_saveexec_b64 s[10:11], s[6:7]
; %bb.122:
	v_lshlrev_b32_e32 v12, 3, v4
	v_lshl_or_b32 v12, v5, 9, v12
	ds_write_b64 v12, v[2:3] offset:30144
; %bb.123:
	s_or_b64 exec, exec, s[10:11]
	s_waitcnt lgkmcnt(0)
	s_barrier
	s_barrier
	s_and_saveexec_b64 s[10:11], vcc
	s_cbranch_execz .LBB49_125
; %bb.124:
	s_mov_b64 s[12:13], 0x3f800000
	v_mov_b32_e32 v2, s12
	v_mov_b32_e32 v3, s13
	s_movk_i32 s12, 0x7000
	v_add_u32_e64 v12, s12, 0
	ds_write2_b64 v12, v[2:3], v[2:3] offset0:56 offset1:121
.LBB49_125:
	s_or_b64 exec, exec, s[10:11]
	v_lshrrev_b32_e32 v14, 3, v8
	v_and_b32_e32 v12, 7, v0
	v_sub_u32_e32 v13, 7, v14
	v_cmp_lt_u32_e64 s[12:13], 63, v8
	v_cmp_gt_u32_e64 s[10:11], 64, v8
	v_mov_b32_e32 v3, 0
	v_mov_b32_e32 v2, 0
	s_waitcnt lgkmcnt(0)
	s_barrier
	buffer_wbinvl1_vol
	s_and_saveexec_b64 s[16:17], s[10:11]
	s_cbranch_execz .LBB49_135
; %bb.126:
	v_lshlrev_b32_e32 v15, 3, v12
	v_lshlrev_b32_e32 v16, 9, v13
	ds_read_b64 v[2:3], v15 offset:29056
	ds_read_b64 v[17:18], v16 offset:29120
	v_cmp_gt_u32_e64 s[14:15], 56, v8
	s_waitcnt lgkmcnt(0)
	v_mul_f32_e32 v19, v18, v3
	v_mul_f32_e32 v3, v17, v3
	v_fma_f32 v17, v17, v2, -v19
	v_fmac_f32_e32 v3, v18, v2
	v_add_f32_e32 v2, 0, v17
	v_add_f32_e32 v3, 0, v3
	s_and_saveexec_b64 s[20:21], s[14:15]
	s_cbranch_execnz .LBB49_990
; %bb.127:
	s_or_b64 exec, exec, s[20:21]
	v_cmp_gt_u32_e64 s[14:15], 48, v8
	s_and_saveexec_b64 s[20:21], s[14:15]
	s_cbranch_execnz .LBB49_991
.LBB49_128:
	s_or_b64 exec, exec, s[20:21]
	v_cmp_gt_u32_e64 s[14:15], 40, v8
	s_and_saveexec_b64 s[20:21], s[14:15]
	s_cbranch_execnz .LBB49_992
.LBB49_129:
	s_or_b64 exec, exec, s[20:21]
	v_cmp_gt_u32_e64 s[14:15], 32, v8
	s_and_saveexec_b64 s[20:21], s[14:15]
	s_cbranch_execnz .LBB49_993
.LBB49_130:
	s_or_b64 exec, exec, s[20:21]
	v_cmp_gt_u32_e64 s[14:15], 24, v8
	s_and_saveexec_b64 s[20:21], s[14:15]
	s_cbranch_execnz .LBB49_994
.LBB49_131:
	s_or_b64 exec, exec, s[20:21]
	s_and_saveexec_b64 s[14:15], s[18:19]
	s_cbranch_execnz .LBB49_995
.LBB49_132:
	s_or_b64 exec, exec, s[14:15]
	v_cmp_gt_u32_e64 s[14:15], 8, v8
	s_and_saveexec_b64 s[20:21], s[14:15]
	s_cbranch_execz .LBB49_134
.LBB49_133:
	v_lshlrev_b32_e32 v15, 3, v0
	v_mov_b32_e32 v17, 0
	ds_read_b64 v[15:16], v15 offset:32640
	ds_read_b64 v[17:18], v17 offset:32760
	s_waitcnt lgkmcnt(0)
	v_mul_f32_e32 v19, v18, v16
	v_mul_f32_e32 v16, v17, v16
	v_fma_f32 v17, v17, v15, -v19
	v_fmac_f32_e32 v16, v18, v15
	v_add_f32_e32 v2, v2, v17
	v_add_f32_e32 v3, v3, v16
.LBB49_134:
	s_or_b64 exec, exec, s[20:21]
.LBB49_135:
	s_or_b64 exec, exec, s[16:17]
	v_mov_b32_e32 v15, 0x8000
	v_cmp_eq_u32_e64 s[14:15], 7, v12
	s_xor_b64 s[16:17], s[12:13], -1
	v_lshl_add_u32 v14, v14, 3, v15
	s_and_b64 s[60:61], s[14:15], s[16:17]
	s_and_saveexec_b64 s[12:13], s[60:61]
; %bb.136:
	v_xor_b32_e32 v16, 0x80000000, v3
	v_xor_b32_e32 v15, 0x80000000, v2
	ds_write_b64 v14, v[15:16]
; %bb.137:
	s_or_b64 exec, exec, s[12:13]
	v_cmp_ne_u32_e64 s[12:13], 7, v12
	s_and_b64 s[62:63], s[12:13], s[16:17]
	s_waitcnt lgkmcnt(0)
	s_barrier
	s_and_saveexec_b64 s[12:13], s[62:63]
	s_cbranch_execz .LBB49_139
; %bb.138:
	v_lshlrev_b32_e32 v15, 3, v12
	ds_read_b64 v[15:16], v15 offset:28544
	ds_read_b64 v[17:18], v14
	s_waitcnt lgkmcnt(0)
	v_mul_f32_e32 v19, v18, v16
	v_mul_f32_e32 v16, v17, v16
	v_fma_f32 v17, v17, v15, -v19
	v_fmac_f32_e32 v16, v18, v15
	v_sub_f32_e32 v2, v2, v17
	v_sub_f32_e32 v3, v3, v16
.LBB49_139:
	s_or_b64 exec, exec, s[12:13]
	v_cmp_eq_u32_e64 s[12:13], 6, v12
	s_and_b64 s[64:65], s[12:13], s[16:17]
	s_barrier
	s_and_saveexec_b64 s[12:13], s[64:65]
; %bb.140:
	v_xor_b32_e32 v16, 0x80000000, v3
	v_xor_b32_e32 v15, 0x80000000, v2
	ds_write_b64 v14, v[15:16]
; %bb.141:
	s_or_b64 exec, exec, s[12:13]
	v_cmp_gt_u32_e64 s[12:13], 6, v12
	s_and_b64 s[66:67], s[12:13], s[16:17]
	s_waitcnt lgkmcnt(0)
	s_barrier
	s_and_saveexec_b64 s[12:13], s[66:67]
	s_cbranch_execz .LBB49_143
; %bb.142:
	v_lshlrev_b32_e32 v15, 3, v12
	ds_read_b64 v[15:16], v15 offset:28032
	ds_read_b64 v[17:18], v14
	s_waitcnt lgkmcnt(0)
	v_mul_f32_e32 v19, v18, v16
	v_mul_f32_e32 v16, v17, v16
	v_fma_f32 v17, v17, v15, -v19
	v_fmac_f32_e32 v16, v18, v15
	v_sub_f32_e32 v2, v2, v17
	v_sub_f32_e32 v3, v3, v16
.LBB49_143:
	s_or_b64 exec, exec, s[12:13]
	v_cmp_eq_u32_e64 s[12:13], 5, v12
	s_and_b64 s[68:69], s[12:13], s[16:17]
	s_barrier
	s_and_saveexec_b64 s[12:13], s[68:69]
; %bb.144:
	v_xor_b32_e32 v16, 0x80000000, v3
	v_xor_b32_e32 v15, 0x80000000, v2
	ds_write_b64 v14, v[15:16]
; %bb.145:
	s_or_b64 exec, exec, s[12:13]
	v_cmp_gt_u32_e64 s[12:13], 5, v12
	;; [unrolled: 29-line block ×5, first 2 shown]
	s_and_b64 s[82:83], s[12:13], s[16:17]
	s_waitcnt lgkmcnt(0)
	s_barrier
	s_and_saveexec_b64 s[12:13], s[82:83]
	s_cbranch_execz .LBB49_159
; %bb.158:
	v_lshlrev_b32_e32 v15, 3, v12
	ds_read_b64 v[15:16], v15 offset:25984
	ds_read_b64 v[17:18], v14
	s_waitcnt lgkmcnt(0)
	v_mul_f32_e32 v19, v18, v16
	v_mul_f32_e32 v16, v17, v16
	v_fma_f32 v17, v17, v15, -v19
	v_fmac_f32_e32 v16, v18, v15
	v_sub_f32_e32 v2, v2, v17
	v_sub_f32_e32 v3, v3, v16
.LBB49_159:
	s_or_b64 exec, exec, s[12:13]
	v_cmp_eq_u32_e64 s[12:13], 1, v12
	s_and_b64 s[84:85], s[12:13], s[16:17]
	s_barrier
	s_and_saveexec_b64 s[12:13], s[84:85]
; %bb.160:
	v_xor_b32_e32 v16, 0x80000000, v3
	v_xor_b32_e32 v15, 0x80000000, v2
	ds_write_b64 v14, v[15:16]
; %bb.161:
	s_or_b64 exec, exec, s[12:13]
	v_cmp_eq_u32_e64 s[12:13], 0, v12
	s_and_b64 s[58:59], s[12:13], s[16:17]
	s_waitcnt lgkmcnt(0)
	s_barrier
	s_and_saveexec_b64 s[12:13], s[58:59]
	s_cbranch_execz .LBB49_163
; %bb.162:
	v_mov_b32_e32 v15, 0
	ds_read_b64 v[15:16], v15 offset:25472
	ds_read_b64 v[17:18], v14
	s_waitcnt lgkmcnt(0)
	v_mul_f32_e32 v19, v18, v16
	v_mul_f32_e32 v16, v17, v16
	v_fma_f32 v17, v17, v15, -v19
	v_fmac_f32_e32 v16, v18, v15
	v_sub_f32_e32 v2, v2, v17
	v_sub_f32_e32 v3, v3, v16
.LBB49_163:
	s_or_b64 exec, exec, s[12:13]
	s_barrier
	s_and_saveexec_b64 s[12:13], s[58:59]
; %bb.164:
	v_xor_b32_e32 v16, 0x80000000, v3
	v_xor_b32_e32 v15, 0x80000000, v2
	ds_write_b64 v14, v[15:16]
; %bb.165:
	s_or_b64 exec, exec, s[12:13]
	s_waitcnt lgkmcnt(0)
	s_barrier
	s_barrier
	s_and_saveexec_b64 s[12:13], s[10:11]
; %bb.166:
	v_lshlrev_b32_e32 v15, 3, v12
	v_lshl_or_b32 v15, v13, 9, v15
	ds_write_b64 v15, v[2:3] offset:29056
; %bb.167:
	s_or_b64 exec, exec, s[12:13]
	s_waitcnt lgkmcnt(0)
	s_barrier
	s_barrier
	s_and_saveexec_b64 s[12:13], vcc
	s_cbranch_execz .LBB49_169
; %bb.168:
	s_mov_b64 s[14:15], 0x3f800000
	v_mov_b32_e32 v2, s14
	v_mov_b32_e32 v3, s15
	s_movk_i32 s14, 0x6800
	v_add_u32_e64 v15, s14, 0
	ds_write2_b64 v15, v[2:3], v[2:3] offset0:182 offset1:247
.LBB49_169:
	s_or_b64 exec, exec, s[12:13]
	v_mov_b32_e32 v2, 0
	v_mov_b32_e32 v3, 0
	s_waitcnt lgkmcnt(0)
	s_barrier
	buffer_wbinvl1_vol
	s_and_saveexec_b64 s[14:15], s[6:7]
	s_cbranch_execz .LBB49_173
; %bb.170:
	v_lshlrev_b32_e32 v2, 3, v4
	v_lshlrev_b32_e32 v15, 9, v5
	ds_read_b64 v[2:3], v2 offset:28064
	ds_read_b64 v[15:16], v15 offset:28080
	v_cmp_gt_u32_e64 s[12:13], 2, v8
	s_waitcnt lgkmcnt(0)
	v_mul_f32_e32 v17, v16, v3
	v_mul_f32_e32 v3, v15, v3
	v_fma_f32 v15, v15, v2, -v17
	v_fmac_f32_e32 v3, v16, v2
	v_add_f32_e32 v2, 0, v15
	v_add_f32_e32 v3, 0, v3
	s_and_saveexec_b64 s[16:17], s[12:13]
	s_cbranch_execz .LBB49_172
; %bb.171:
	v_lshlrev_b32_e32 v15, 3, v0
	v_mov_b32_e32 v17, 0
	ds_read_b64 v[15:16], v15 offset:28576
	ds_read_b64 v[17:18], v17 offset:28600
	s_waitcnt lgkmcnt(0)
	v_mul_f32_e32 v19, v18, v16
	v_mul_f32_e32 v16, v17, v16
	v_fma_f32 v17, v17, v15, -v19
	v_fmac_f32_e32 v16, v18, v15
	v_add_f32_e32 v2, v2, v17
	v_add_f32_e32 v3, v3, v16
.LBB49_172:
	s_or_b64 exec, exec, s[16:17]
.LBB49_173:
	s_or_b64 exec, exec, s[14:15]
	s_and_saveexec_b64 s[12:13], s[36:37]
; %bb.174:
	v_xor_b32_e32 v16, 0x80000000, v3
	v_xor_b32_e32 v15, 0x80000000, v2
	ds_write_b64 v6, v[15:16]
; %bb.175:
	s_or_b64 exec, exec, s[12:13]
	s_waitcnt lgkmcnt(0)
	s_barrier
	s_and_saveexec_b64 s[12:13], s[34:35]
	s_cbranch_execz .LBB49_177
; %bb.176:
	v_mov_b32_e32 v15, 0
	ds_read_b64 v[15:16], v15 offset:27552
	ds_read_b64 v[17:18], v6
	s_waitcnt lgkmcnt(0)
	v_mul_f32_e32 v19, v17, v15
	v_mul_f32_e32 v17, v17, v16
	v_fmac_f32_e32 v17, v18, v15
	v_fma_f32 v15, v18, v16, -v19
	v_add_f32_e32 v2, v2, v15
	v_sub_f32_e32 v3, v3, v17
.LBB49_177:
	s_or_b64 exec, exec, s[12:13]
	s_barrier
	s_and_saveexec_b64 s[12:13], s[34:35]
; %bb.178:
	v_xor_b32_e32 v16, 0x80000000, v3
	v_xor_b32_e32 v15, 0x80000000, v2
	ds_write_b64 v6, v[15:16]
; %bb.179:
	s_or_b64 exec, exec, s[12:13]
	s_waitcnt lgkmcnt(0)
	s_barrier
	s_barrier
	s_and_saveexec_b64 s[12:13], s[6:7]
; %bb.180:
	v_lshlrev_b32_e32 v15, 3, v4
	v_lshl_or_b32 v15, v5, 9, v15
	ds_write_b64 v15, v[2:3] offset:28064
; %bb.181:
	s_or_b64 exec, exec, s[12:13]
	s_waitcnt lgkmcnt(0)
	s_barrier
	s_barrier
	s_and_saveexec_b64 s[12:13], vcc
	s_cbranch_execz .LBB49_183
; %bb.182:
	s_mov_b64 s[14:15], 0x3f800000
	v_mov_b32_e32 v2, s14
	v_mov_b32_e32 v3, s15
	s_movk_i32 s14, 0x6800
	v_add_u32_e64 v15, s14, 0
	ds_write2_b64 v15, v[2:3], v[2:3] offset0:52 offset1:117
.LBB49_183:
	s_or_b64 exec, exec, s[12:13]
	v_mov_b32_e32 v3, 0
	v_mov_b32_e32 v2, 0
	s_waitcnt lgkmcnt(0)
	s_barrier
	buffer_wbinvl1_vol
	s_and_saveexec_b64 s[14:15], s[18:19]
	s_cbranch_execz .LBB49_189
; %bb.184:
	v_lshlrev_b32_e32 v15, 3, v9
	v_lshlrev_b32_e32 v16, 9, v10
	ds_read_b64 v[2:3], v15 offset:27008
	ds_read_b64 v[17:18], v16 offset:27040
	v_cmp_gt_u32_e64 s[12:13], 12, v8
	s_waitcnt lgkmcnt(0)
	v_mul_f32_e32 v19, v18, v3
	v_mul_f32_e32 v3, v17, v3
	v_fma_f32 v17, v17, v2, -v19
	v_fmac_f32_e32 v3, v18, v2
	v_add_f32_e32 v2, 0, v17
	v_add_f32_e32 v3, 0, v3
	s_and_saveexec_b64 s[16:17], s[12:13]
	s_cbranch_execnz .LBB49_996
; %bb.185:
	s_or_b64 exec, exec, s[16:17]
	v_cmp_gt_u32_e64 s[12:13], 8, v8
	s_and_saveexec_b64 s[16:17], s[12:13]
	s_cbranch_execnz .LBB49_997
.LBB49_186:
	s_or_b64 exec, exec, s[16:17]
	v_cmp_gt_u32_e64 s[12:13], 4, v8
	s_and_saveexec_b64 s[16:17], s[12:13]
	s_cbranch_execz .LBB49_188
.LBB49_187:
	v_lshlrev_b32_e32 v15, 3, v0
	v_mov_b32_e32 v17, 0
	ds_read_b64 v[15:16], v15 offset:28544
	ds_read_b64 v[17:18], v17 offset:28600
	s_waitcnt lgkmcnt(0)
	v_mul_f32_e32 v19, v18, v16
	v_mul_f32_e32 v16, v17, v16
	v_fma_f32 v17, v17, v15, -v19
	v_fmac_f32_e32 v16, v18, v15
	v_add_f32_e32 v2, v2, v17
	v_add_f32_e32 v3, v3, v16
.LBB49_188:
	s_or_b64 exec, exec, s[16:17]
.LBB49_189:
	s_or_b64 exec, exec, s[14:15]
	s_and_saveexec_b64 s[12:13], s[42:43]
; %bb.190:
	v_xor_b32_e32 v15, 0x80000000, v2
	v_xor_b32_e32 v16, 0x80000000, v3
	ds_write_b64 v11, v[15:16]
; %bb.191:
	s_or_b64 exec, exec, s[12:13]
	s_waitcnt lgkmcnt(0)
	s_barrier
	s_and_saveexec_b64 s[12:13], s[44:45]
	s_cbranch_execz .LBB49_193
; %bb.192:
	v_lshlrev_b32_e32 v15, 3, v9
	ds_read_b64 v[15:16], v15 offset:26496
	ds_read_b64 v[17:18], v11
	s_waitcnt lgkmcnt(0)
	v_mul_f32_e32 v19, v18, v16
	v_mul_f32_e32 v16, v17, v16
	v_fma_f32 v17, v17, v15, -v19
	v_fmac_f32_e32 v16, v18, v15
	v_sub_f32_e32 v2, v2, v17
	v_sub_f32_e32 v3, v3, v16
.LBB49_193:
	s_or_b64 exec, exec, s[12:13]
	s_barrier
	s_and_saveexec_b64 s[12:13], s[52:53]
; %bb.194:
	v_xor_b32_e32 v15, 0x80000000, v2
	v_xor_b32_e32 v16, 0x80000000, v3
	ds_write_b64 v11, v[15:16]
; %bb.195:
	s_or_b64 exec, exec, s[12:13]
	s_waitcnt lgkmcnt(0)
	s_barrier
	s_and_saveexec_b64 s[12:13], s[54:55]
	s_cbranch_execz .LBB49_197
; %bb.196:
	v_lshlrev_b32_e32 v15, 3, v9
	ds_read_b64 v[15:16], v15 offset:25984
	ds_read_b64 v[17:18], v11
	s_waitcnt lgkmcnt(0)
	v_mul_f32_e32 v19, v18, v16
	v_mul_f32_e32 v16, v17, v16
	v_fma_f32 v17, v17, v15, -v19
	v_fmac_f32_e32 v16, v18, v15
	v_sub_f32_e32 v2, v2, v17
	v_sub_f32_e32 v3, v3, v16
.LBB49_197:
	s_or_b64 exec, exec, s[12:13]
	s_barrier
	s_and_saveexec_b64 s[12:13], s[56:57]
; %bb.198:
	v_xor_b32_e32 v15, 0x80000000, v2
	v_xor_b32_e32 v16, 0x80000000, v3
	ds_write_b64 v11, v[15:16]
; %bb.199:
	s_or_b64 exec, exec, s[12:13]
	s_waitcnt lgkmcnt(0)
	s_barrier
	s_and_saveexec_b64 s[12:13], s[38:39]
	s_cbranch_execz .LBB49_201
; %bb.200:
	v_mov_b32_e32 v15, 0
	ds_read_b64 v[15:16], v15 offset:25472
	ds_read_b64 v[17:18], v11
	s_waitcnt lgkmcnt(0)
	v_mul_f32_e32 v19, v18, v16
	v_mul_f32_e32 v16, v17, v16
	v_fma_f32 v17, v17, v15, -v19
	v_fmac_f32_e32 v16, v18, v15
	v_sub_f32_e32 v2, v2, v17
	v_sub_f32_e32 v3, v3, v16
.LBB49_201:
	s_or_b64 exec, exec, s[12:13]
	s_barrier
	s_and_saveexec_b64 s[12:13], s[38:39]
; %bb.202:
	v_xor_b32_e32 v15, 0x80000000, v2
	v_xor_b32_e32 v16, 0x80000000, v3
	ds_write_b64 v11, v[15:16]
; %bb.203:
	s_or_b64 exec, exec, s[12:13]
	s_waitcnt lgkmcnt(0)
	s_barrier
	s_barrier
	s_and_saveexec_b64 s[12:13], s[18:19]
; %bb.204:
	v_lshlrev_b32_e32 v15, 3, v9
	v_lshl_or_b32 v15, v10, 9, v15
	ds_write_b64 v15, v[2:3] offset:27008
; %bb.205:
	s_or_b64 exec, exec, s[12:13]
	s_waitcnt lgkmcnt(0)
	s_barrier
	s_barrier
	s_and_saveexec_b64 s[12:13], vcc
	s_cbranch_execz .LBB49_207
; %bb.206:
	s_mov_b64 s[14:15], 0x3f800000
	v_mov_b32_e32 v2, s14
	v_mov_b32_e32 v3, s15
	s_movk_i32 s14, 0x6000
	v_add_u32_e64 v15, s14, 0
	ds_write2_b64 v15, v[2:3], v[2:3] offset0:178 offset1:243
.LBB49_207:
	s_or_b64 exec, exec, s[12:13]
	v_mov_b32_e32 v2, 0
	v_mov_b32_e32 v3, 0
	s_waitcnt lgkmcnt(0)
	s_barrier
	buffer_wbinvl1_vol
	s_and_saveexec_b64 s[14:15], s[6:7]
	s_cbranch_execz .LBB49_211
; %bb.208:
	v_lshlrev_b32_e32 v2, 3, v4
	v_lshlrev_b32_e32 v15, 9, v5
	ds_read_b64 v[2:3], v2 offset:25984
	ds_read_b64 v[15:16], v15 offset:26000
	v_cmp_gt_u32_e64 s[12:13], 2, v8
	s_waitcnt lgkmcnt(0)
	v_mul_f32_e32 v17, v16, v3
	v_mul_f32_e32 v3, v15, v3
	v_fma_f32 v15, v15, v2, -v17
	v_fmac_f32_e32 v3, v16, v2
	v_add_f32_e32 v2, 0, v15
	v_add_f32_e32 v3, 0, v3
	s_and_saveexec_b64 s[16:17], s[12:13]
	s_cbranch_execz .LBB49_210
; %bb.209:
	v_lshlrev_b32_e32 v15, 3, v0
	v_mov_b32_e32 v17, 0
	ds_read_b64 v[15:16], v15 offset:26496
	ds_read_b64 v[17:18], v17 offset:26520
	s_waitcnt lgkmcnt(0)
	v_mul_f32_e32 v19, v18, v16
	v_mul_f32_e32 v16, v17, v16
	v_fma_f32 v17, v17, v15, -v19
	v_fmac_f32_e32 v16, v18, v15
	v_add_f32_e32 v2, v2, v17
	v_add_f32_e32 v3, v3, v16
.LBB49_210:
	s_or_b64 exec, exec, s[16:17]
.LBB49_211:
	s_or_b64 exec, exec, s[14:15]
	s_and_saveexec_b64 s[12:13], s[36:37]
; %bb.212:
	v_xor_b32_e32 v16, 0x80000000, v3
	v_xor_b32_e32 v15, 0x80000000, v2
	ds_write_b64 v6, v[15:16]
; %bb.213:
	s_or_b64 exec, exec, s[12:13]
	s_waitcnt lgkmcnt(0)
	s_barrier
	s_and_saveexec_b64 s[12:13], s[34:35]
	s_cbranch_execz .LBB49_215
; %bb.214:
	v_mov_b32_e32 v15, 0
	ds_read_b64 v[15:16], v15 offset:25472
	ds_read_b64 v[17:18], v6
	s_waitcnt lgkmcnt(0)
	v_mul_f32_e32 v19, v17, v15
	v_mul_f32_e32 v17, v17, v16
	v_fmac_f32_e32 v17, v18, v15
	v_fma_f32 v15, v18, v16, -v19
	v_add_f32_e32 v2, v2, v15
	v_sub_f32_e32 v3, v3, v17
.LBB49_215:
	s_or_b64 exec, exec, s[12:13]
	s_barrier
	s_and_saveexec_b64 s[12:13], s[34:35]
; %bb.216:
	v_xor_b32_e32 v16, 0x80000000, v3
	v_xor_b32_e32 v15, 0x80000000, v2
	ds_write_b64 v6, v[15:16]
; %bb.217:
	s_or_b64 exec, exec, s[12:13]
	s_waitcnt lgkmcnt(0)
	s_barrier
	s_barrier
	s_and_saveexec_b64 s[12:13], s[6:7]
; %bb.218:
	v_lshlrev_b32_e32 v15, 3, v4
	v_lshl_or_b32 v15, v5, 9, v15
	ds_write_b64 v15, v[2:3] offset:25984
; %bb.219:
	s_or_b64 exec, exec, s[12:13]
	s_waitcnt lgkmcnt(0)
	s_barrier
	s_barrier
	s_and_saveexec_b64 s[12:13], vcc
	s_cbranch_execz .LBB49_221
; %bb.220:
	s_mov_b64 s[14:15], 0x3f800000
	v_mov_b32_e32 v2, s14
	v_mov_b32_e32 v3, s15
	s_movk_i32 s14, 0x6000
	v_add_u32_e64 v15, s14, 0
	ds_write2_b64 v15, v[2:3], v[2:3] offset0:48 offset1:113
.LBB49_221:
	s_or_b64 exec, exec, s[12:13]
	s_movk_i32 s12, 0xff
	v_lshrrev_b32_e32 v17, 4, v8
	v_cmp_lt_u32_e64 s[14:15], s12, v8
	s_movk_i32 s12, 0x100
	v_and_b32_e32 v15, 15, v0
	v_sub_u32_e32 v16, 15, v17
	v_cmp_gt_u32_e64 s[12:13], s12, v8
	v_mov_b32_e32 v3, 0
	v_mov_b32_e32 v2, 0
	s_waitcnt lgkmcnt(0)
	s_barrier
	buffer_wbinvl1_vol
	s_and_saveexec_b64 s[20:21], s[12:13]
	s_cbranch_execz .LBB49_249
; %bb.222:
	v_lshlrev_b32_e32 v18, 3, v15
	v_lshlrev_b32_e32 v19, 9, v16
	ds_read_b64 v[2:3], v18 offset:24832
	ds_read_b64 v[20:21], v19 offset:24960
	s_movk_i32 s16, 0xf0
	v_cmp_gt_u32_e64 s[16:17], s16, v8
	s_waitcnt lgkmcnt(0)
	v_mul_f32_e32 v22, v21, v3
	v_mul_f32_e32 v3, v20, v3
	v_fma_f32 v20, v20, v2, -v22
	v_fmac_f32_e32 v3, v21, v2
	v_add_f32_e32 v2, 0, v20
	v_add_f32_e32 v3, 0, v3
	s_and_saveexec_b64 s[86:87], s[16:17]
	s_cbranch_execz .LBB49_224
; %bb.223:
	ds_read_b64 v[20:21], v18 offset:25344
	ds_read_b64 v[22:23], v19 offset:24968
	s_waitcnt lgkmcnt(0)
	v_mul_f32_e32 v24, v23, v21
	v_mul_f32_e32 v21, v22, v21
	v_fma_f32 v22, v22, v20, -v24
	v_fmac_f32_e32 v21, v23, v20
	v_add_f32_e32 v2, v2, v22
	v_add_f32_e32 v3, v3, v21
.LBB49_224:
	s_or_b64 exec, exec, s[86:87]
	s_movk_i32 s16, 0xe0
	v_cmp_gt_u32_e64 s[16:17], s16, v8
	s_and_saveexec_b64 s[86:87], s[16:17]
	s_cbranch_execz .LBB49_226
; %bb.225:
	ds_read_b64 v[20:21], v18 offset:25856
	ds_read_b64 v[22:23], v19 offset:24976
	s_waitcnt lgkmcnt(0)
	v_mul_f32_e32 v24, v23, v21
	v_mul_f32_e32 v21, v22, v21
	v_fma_f32 v22, v22, v20, -v24
	v_fmac_f32_e32 v21, v23, v20
	v_add_f32_e32 v2, v2, v22
	v_add_f32_e32 v3, v3, v21
.LBB49_226:
	s_or_b64 exec, exec, s[86:87]
	s_movk_i32 s16, 0xd0
	v_cmp_gt_u32_e64 s[16:17], s16, v8
	s_and_saveexec_b64 s[86:87], s[16:17]
	s_cbranch_execz .LBB49_228
; %bb.227:
	ds_read_b64 v[20:21], v18 offset:26368
	ds_read_b64 v[22:23], v19 offset:24984
	s_waitcnt lgkmcnt(0)
	v_mul_f32_e32 v24, v23, v21
	v_mul_f32_e32 v21, v22, v21
	v_fma_f32 v22, v22, v20, -v24
	v_fmac_f32_e32 v21, v23, v20
	v_add_f32_e32 v2, v2, v22
	v_add_f32_e32 v3, v3, v21
.LBB49_228:
	s_or_b64 exec, exec, s[86:87]
	s_movk_i32 s16, 0xc0
	v_cmp_gt_u32_e64 s[16:17], s16, v8
	s_and_saveexec_b64 s[86:87], s[16:17]
	s_cbranch_execz .LBB49_230
; %bb.229:
	ds_read_b64 v[20:21], v18 offset:26880
	ds_read_b64 v[22:23], v19 offset:24992
	s_waitcnt lgkmcnt(0)
	v_mul_f32_e32 v24, v23, v21
	v_mul_f32_e32 v21, v22, v21
	v_fma_f32 v22, v22, v20, -v24
	v_fmac_f32_e32 v21, v23, v20
	v_add_f32_e32 v2, v2, v22
	v_add_f32_e32 v3, v3, v21
.LBB49_230:
	s_or_b64 exec, exec, s[86:87]
	s_movk_i32 s16, 0xb0
	v_cmp_gt_u32_e64 s[16:17], s16, v8
	s_and_saveexec_b64 s[86:87], s[16:17]
	s_cbranch_execz .LBB49_232
; %bb.231:
	ds_read_b64 v[20:21], v18 offset:27392
	ds_read_b64 v[22:23], v19 offset:25000
	s_waitcnt lgkmcnt(0)
	v_mul_f32_e32 v24, v23, v21
	v_mul_f32_e32 v21, v22, v21
	v_fma_f32 v22, v22, v20, -v24
	v_fmac_f32_e32 v21, v23, v20
	v_add_f32_e32 v2, v2, v22
	v_add_f32_e32 v3, v3, v21
.LBB49_232:
	s_or_b64 exec, exec, s[86:87]
	s_movk_i32 s16, 0xa0
	v_cmp_gt_u32_e64 s[16:17], s16, v8
	s_and_saveexec_b64 s[86:87], s[16:17]
	s_cbranch_execz .LBB49_234
; %bb.233:
	ds_read_b64 v[20:21], v18 offset:27904
	ds_read_b64 v[22:23], v19 offset:25008
	s_waitcnt lgkmcnt(0)
	v_mul_f32_e32 v24, v23, v21
	v_mul_f32_e32 v21, v22, v21
	v_fma_f32 v22, v22, v20, -v24
	v_fmac_f32_e32 v21, v23, v20
	v_add_f32_e32 v2, v2, v22
	v_add_f32_e32 v3, v3, v21
.LBB49_234:
	s_or_b64 exec, exec, s[86:87]
	s_movk_i32 s16, 0x90
	v_cmp_gt_u32_e64 s[16:17], s16, v8
	s_and_saveexec_b64 s[86:87], s[16:17]
	s_cbranch_execz .LBB49_236
; %bb.235:
	ds_read_b64 v[20:21], v18 offset:28416
	ds_read_b64 v[22:23], v19 offset:25016
	s_waitcnt lgkmcnt(0)
	v_mul_f32_e32 v24, v23, v21
	v_mul_f32_e32 v21, v22, v21
	v_fma_f32 v22, v22, v20, -v24
	v_fmac_f32_e32 v21, v23, v20
	v_add_f32_e32 v2, v2, v22
	v_add_f32_e32 v3, v3, v21
.LBB49_236:
	s_or_b64 exec, exec, s[86:87]
	s_movk_i32 s16, 0x80
	v_cmp_gt_u32_e64 s[16:17], s16, v8
	s_and_saveexec_b64 s[86:87], s[16:17]
	s_cbranch_execz .LBB49_238
; %bb.237:
	ds_read_b64 v[20:21], v18 offset:28928
	ds_read_b64 v[22:23], v19 offset:25024
	s_waitcnt lgkmcnt(0)
	v_mul_f32_e32 v24, v23, v21
	v_mul_f32_e32 v21, v22, v21
	v_fma_f32 v22, v22, v20, -v24
	v_fmac_f32_e32 v21, v23, v20
	v_add_f32_e32 v2, v2, v22
	v_add_f32_e32 v3, v3, v21
.LBB49_238:
	s_or_b64 exec, exec, s[86:87]
	s_movk_i32 s16, 0x70
	v_cmp_gt_u32_e64 s[16:17], s16, v8
	s_and_saveexec_b64 s[86:87], s[16:17]
	s_cbranch_execz .LBB49_240
; %bb.239:
	ds_read_b64 v[20:21], v18 offset:29440
	ds_read_b64 v[22:23], v19 offset:25032
	s_waitcnt lgkmcnt(0)
	v_mul_f32_e32 v24, v23, v21
	v_mul_f32_e32 v21, v22, v21
	v_fma_f32 v22, v22, v20, -v24
	v_fmac_f32_e32 v21, v23, v20
	v_add_f32_e32 v2, v2, v22
	v_add_f32_e32 v3, v3, v21
.LBB49_240:
	s_or_b64 exec, exec, s[86:87]
	s_movk_i32 s16, 0x60
	v_cmp_gt_u32_e64 s[16:17], s16, v8
	s_and_saveexec_b64 s[86:87], s[16:17]
	s_cbranch_execz .LBB49_242
; %bb.241:
	ds_read_b64 v[20:21], v18 offset:29952
	ds_read_b64 v[22:23], v19 offset:25040
	s_waitcnt lgkmcnt(0)
	v_mul_f32_e32 v24, v23, v21
	v_mul_f32_e32 v21, v22, v21
	v_fma_f32 v22, v22, v20, -v24
	v_fmac_f32_e32 v21, v23, v20
	v_add_f32_e32 v2, v2, v22
	v_add_f32_e32 v3, v3, v21
.LBB49_242:
	s_or_b64 exec, exec, s[86:87]
	s_movk_i32 s16, 0x50
	v_cmp_gt_u32_e64 s[16:17], s16, v8
	s_and_saveexec_b64 s[86:87], s[16:17]
	s_cbranch_execnz .LBB49_998
; %bb.243:
	s_or_b64 exec, exec, s[86:87]
	s_and_saveexec_b64 s[16:17], s[10:11]
	s_cbranch_execnz .LBB49_999
.LBB49_244:
	s_or_b64 exec, exec, s[16:17]
	v_cmp_gt_u32_e64 s[16:17], 48, v8
	s_and_saveexec_b64 s[86:87], s[16:17]
	s_cbranch_execnz .LBB49_1000
.LBB49_245:
	s_or_b64 exec, exec, s[86:87]
	v_cmp_gt_u32_e64 s[16:17], 32, v8
	s_and_saveexec_b64 s[86:87], s[16:17]
	s_cbranch_execnz .LBB49_1001
.LBB49_246:
	s_or_b64 exec, exec, s[86:87]
	v_cmp_gt_u32_e64 s[16:17], 16, v8
	s_and_saveexec_b64 s[86:87], s[16:17]
	s_cbranch_execz .LBB49_248
.LBB49_247:
	v_lshlrev_b32_e32 v18, 3, v0
	v_mov_b32_e32 v20, 0
	ds_read_b64 v[18:19], v18 offset:32512
	ds_read_b64 v[20:21], v20 offset:32760
	s_waitcnt lgkmcnt(0)
	v_mul_f32_e32 v22, v21, v19
	v_mul_f32_e32 v19, v20, v19
	v_fma_f32 v20, v20, v18, -v22
	v_fmac_f32_e32 v19, v21, v18
	v_add_f32_e32 v2, v2, v20
	v_add_f32_e32 v3, v3, v19
.LBB49_248:
	s_or_b64 exec, exec, s[86:87]
.LBB49_249:
	s_or_b64 exec, exec, s[20:21]
	v_mov_b32_e32 v18, 0x8000
	v_lshl_add_u32 v17, v17, 3, v18
	v_cmp_eq_u32_e64 s[16:17], 15, v15
	s_xor_b64 s[20:21], s[14:15], -1
	s_and_b64 s[16:17], s[16:17], s[20:21]
	s_mov_b64 s[14:15], exec
                                        ; implicit-def: $vgpr28 : SGPR spill to VGPR lane
	v_writelane_b32 v28, s16, 0
	v_writelane_b32 v28, s17, 1
	s_and_b64 s[16:17], s[14:15], s[16:17]
	s_mov_b64 exec, s[16:17]
; %bb.250:
	v_xor_b32_e32 v18, 0x80000000, v2
	v_xor_b32_e32 v19, 0x80000000, v3
	ds_write_b64 v17, v[18:19]
; %bb.251:
	s_or_b64 exec, exec, s[14:15]
	v_cmp_ne_u32_e64 s[14:15], 15, v15
	s_waitcnt lgkmcnt(0)
	s_barrier
	s_and_b64 s[16:17], s[14:15], s[20:21]
	s_mov_b64 s[14:15], exec
	v_writelane_b32 v28, s16, 2
	v_writelane_b32 v28, s17, 3
	s_and_b64 s[16:17], s[14:15], s[16:17]
	s_mov_b64 exec, s[16:17]
	s_cbranch_execz .LBB49_253
; %bb.252:
	v_lshlrev_b32_e32 v18, 3, v15
	ds_read_b64 v[18:19], v18 offset:24320
	ds_read_b64 v[20:21], v17
	s_waitcnt lgkmcnt(0)
	v_mul_f32_e32 v22, v21, v19
	v_mul_f32_e32 v19, v20, v19
	v_fma_f32 v20, v20, v18, -v22
	v_fmac_f32_e32 v19, v21, v18
	v_sub_f32_e32 v2, v2, v20
	v_sub_f32_e32 v3, v3, v19
.LBB49_253:
	s_or_b64 exec, exec, s[14:15]
	v_cmp_eq_u32_e64 s[14:15], 14, v15
	s_barrier
	s_and_b64 s[16:17], s[14:15], s[20:21]
	s_mov_b64 s[14:15], exec
	v_writelane_b32 v28, s16, 4
	v_writelane_b32 v28, s17, 5
	s_and_b64 s[16:17], s[14:15], s[16:17]
	s_mov_b64 exec, s[16:17]
; %bb.254:
	v_xor_b32_e32 v18, 0x80000000, v2
	v_xor_b32_e32 v19, 0x80000000, v3
	ds_write_b64 v17, v[18:19]
; %bb.255:
	s_or_b64 exec, exec, s[14:15]
	v_cmp_gt_u32_e64 s[14:15], 14, v15
	s_waitcnt lgkmcnt(0)
	s_barrier
	s_and_b64 s[16:17], s[14:15], s[20:21]
	s_mov_b64 s[14:15], exec
	v_writelane_b32 v28, s16, 6
	v_writelane_b32 v28, s17, 7
	s_and_b64 s[16:17], s[14:15], s[16:17]
	s_mov_b64 exec, s[16:17]
	s_cbranch_execz .LBB49_257
; %bb.256:
	v_lshlrev_b32_e32 v18, 3, v15
	ds_read_b64 v[18:19], v18 offset:23808
	ds_read_b64 v[20:21], v17
	s_waitcnt lgkmcnt(0)
	v_mul_f32_e32 v22, v21, v19
	v_mul_f32_e32 v19, v20, v19
	v_fma_f32 v20, v20, v18, -v22
	v_fmac_f32_e32 v19, v21, v18
	v_sub_f32_e32 v2, v2, v20
	v_sub_f32_e32 v3, v3, v19
.LBB49_257:
	s_or_b64 exec, exec, s[14:15]
	v_cmp_eq_u32_e64 s[14:15], 13, v15
	s_barrier
	s_and_b64 s[16:17], s[14:15], s[20:21]
	s_mov_b64 s[14:15], exec
	v_writelane_b32 v28, s16, 8
	v_writelane_b32 v28, s17, 9
	s_and_b64 s[16:17], s[14:15], s[16:17]
	s_mov_b64 exec, s[16:17]
; %bb.258:
	v_xor_b32_e32 v18, 0x80000000, v2
	v_xor_b32_e32 v19, 0x80000000, v3
	ds_write_b64 v17, v[18:19]
; %bb.259:
	s_or_b64 exec, exec, s[14:15]
	v_cmp_gt_u32_e64 s[14:15], 13, v15
	;; [unrolled: 37-line block ×13, first 2 shown]
	s_and_b64 s[98:99], s[14:15], s[20:21]
	s_waitcnt lgkmcnt(0)
	s_barrier
	s_and_saveexec_b64 s[14:15], s[98:99]
	s_cbranch_execz .LBB49_305
; %bb.304:
	v_lshlrev_b32_e32 v18, 3, v15
	ds_read_b64 v[18:19], v18 offset:17664
	ds_read_b64 v[20:21], v17
	s_waitcnt lgkmcnt(0)
	v_mul_f32_e32 v22, v21, v19
	v_mul_f32_e32 v19, v20, v19
	v_fma_f32 v20, v20, v18, -v22
	v_fmac_f32_e32 v19, v21, v18
	v_sub_f32_e32 v2, v2, v20
	v_sub_f32_e32 v3, v3, v19
.LBB49_305:
	s_or_b64 exec, exec, s[14:15]
	v_cmp_eq_u32_e64 s[14:15], 1, v15
	s_and_b64 s[90:91], s[14:15], s[20:21]
	s_barrier
	s_and_saveexec_b64 s[14:15], s[90:91]
; %bb.306:
	v_xor_b32_e32 v18, 0x80000000, v2
	v_xor_b32_e32 v19, 0x80000000, v3
	ds_write_b64 v17, v[18:19]
; %bb.307:
	s_or_b64 exec, exec, s[14:15]
	v_cmp_eq_u32_e64 s[14:15], 0, v15
	s_and_b64 s[96:97], s[14:15], s[20:21]
	s_waitcnt lgkmcnt(0)
	s_barrier
	s_and_saveexec_b64 s[14:15], s[96:97]
	s_cbranch_execz .LBB49_309
; %bb.308:
	v_mov_b32_e32 v18, 0
	ds_read_b64 v[18:19], v18 offset:17152
	ds_read_b64 v[20:21], v17
	s_waitcnt lgkmcnt(0)
	v_mul_f32_e32 v22, v21, v19
	v_mul_f32_e32 v19, v20, v19
	v_fma_f32 v20, v20, v18, -v22
	v_fmac_f32_e32 v19, v21, v18
	v_sub_f32_e32 v2, v2, v20
	v_sub_f32_e32 v3, v3, v19
.LBB49_309:
	s_or_b64 exec, exec, s[14:15]
	s_barrier
	s_and_saveexec_b64 s[14:15], s[96:97]
; %bb.310:
	v_xor_b32_e32 v18, 0x80000000, v2
	v_xor_b32_e32 v19, 0x80000000, v3
	ds_write_b64 v17, v[18:19]
; %bb.311:
	s_or_b64 exec, exec, s[14:15]
	s_waitcnt lgkmcnt(0)
	s_barrier
	s_barrier
	s_and_saveexec_b64 s[14:15], s[12:13]
; %bb.312:
	v_lshlrev_b32_e32 v18, 3, v15
	v_lshl_or_b32 v18, v16, 9, v18
	ds_write_b64 v18, v[2:3] offset:24832
; %bb.313:
	s_or_b64 exec, exec, s[14:15]
	s_waitcnt lgkmcnt(0)
	s_barrier
	s_barrier
	s_and_saveexec_b64 s[14:15], vcc
	s_cbranch_execz .LBB49_315
; %bb.314:
	s_mov_b64 s[16:17], 0x3f800000
	v_mov_b32_e32 v2, s16
	v_mov_b32_e32 v3, s17
	s_movk_i32 s16, 0x5800
	v_add_u32_e64 v18, s16, 0
	ds_write2_b64 v18, v[2:3], v[2:3] offset0:174 offset1:239
.LBB49_315:
	s_or_b64 exec, exec, s[14:15]
	v_mov_b32_e32 v2, 0
	v_mov_b32_e32 v3, 0
	s_waitcnt lgkmcnt(0)
	s_barrier
	buffer_wbinvl1_vol
	s_and_saveexec_b64 s[16:17], s[6:7]
	s_cbranch_execz .LBB49_319
; %bb.316:
	v_lshlrev_b32_e32 v2, 3, v4
	v_lshlrev_b32_e32 v18, 9, v5
	ds_read_b64 v[2:3], v2 offset:23904
	ds_read_b64 v[18:19], v18 offset:23920
	v_cmp_gt_u32_e64 s[14:15], 2, v8
	s_waitcnt lgkmcnt(0)
	v_mul_f32_e32 v20, v19, v3
	v_mul_f32_e32 v3, v18, v3
	v_fma_f32 v18, v18, v2, -v20
	v_fmac_f32_e32 v3, v19, v2
	v_add_f32_e32 v2, 0, v18
	v_add_f32_e32 v3, 0, v3
	s_and_saveexec_b64 s[20:21], s[14:15]
	s_cbranch_execz .LBB49_318
; %bb.317:
	v_lshlrev_b32_e32 v18, 3, v0
	v_mov_b32_e32 v20, 0
	ds_read_b64 v[18:19], v18 offset:24416
	ds_read_b64 v[20:21], v20 offset:24440
	s_waitcnt lgkmcnt(0)
	v_mul_f32_e32 v22, v21, v19
	v_mul_f32_e32 v19, v20, v19
	v_fma_f32 v20, v20, v18, -v22
	v_fmac_f32_e32 v19, v21, v18
	v_add_f32_e32 v2, v2, v20
	v_add_f32_e32 v3, v3, v19
.LBB49_318:
	s_or_b64 exec, exec, s[20:21]
.LBB49_319:
	s_or_b64 exec, exec, s[16:17]
	s_and_saveexec_b64 s[14:15], s[36:37]
; %bb.320:
	v_xor_b32_e32 v19, 0x80000000, v3
	v_xor_b32_e32 v18, 0x80000000, v2
	ds_write_b64 v6, v[18:19]
; %bb.321:
	s_or_b64 exec, exec, s[14:15]
	s_waitcnt lgkmcnt(0)
	s_barrier
	s_and_saveexec_b64 s[14:15], s[34:35]
	s_cbranch_execz .LBB49_323
; %bb.322:
	v_mov_b32_e32 v18, 0
	ds_read_b64 v[18:19], v18 offset:23392
	ds_read_b64 v[20:21], v6
	s_waitcnt lgkmcnt(0)
	v_mul_f32_e32 v22, v20, v18
	v_mul_f32_e32 v20, v20, v19
	v_fmac_f32_e32 v20, v21, v18
	v_fma_f32 v18, v21, v19, -v22
	v_add_f32_e32 v2, v2, v18
	v_sub_f32_e32 v3, v3, v20
.LBB49_323:
	s_or_b64 exec, exec, s[14:15]
	s_barrier
	s_and_saveexec_b64 s[14:15], s[34:35]
; %bb.324:
	v_xor_b32_e32 v19, 0x80000000, v3
	v_xor_b32_e32 v18, 0x80000000, v2
	ds_write_b64 v6, v[18:19]
; %bb.325:
	s_or_b64 exec, exec, s[14:15]
	s_waitcnt lgkmcnt(0)
	s_barrier
	s_barrier
	s_and_saveexec_b64 s[14:15], s[6:7]
; %bb.326:
	v_lshlrev_b32_e32 v18, 3, v4
	v_lshl_or_b32 v18, v5, 9, v18
	ds_write_b64 v18, v[2:3] offset:23904
; %bb.327:
	s_or_b64 exec, exec, s[14:15]
	s_waitcnt lgkmcnt(0)
	s_barrier
	s_barrier
	s_and_saveexec_b64 s[14:15], vcc
	s_cbranch_execz .LBB49_329
; %bb.328:
	s_mov_b64 s[16:17], 0x3f800000
	v_mov_b32_e32 v2, s16
	v_mov_b32_e32 v3, s17
	s_movk_i32 s16, 0x5800
	v_add_u32_e64 v18, s16, 0
	ds_write2_b64 v18, v[2:3], v[2:3] offset0:44 offset1:109
.LBB49_329:
	s_or_b64 exec, exec, s[14:15]
	v_mov_b32_e32 v3, 0
	v_mov_b32_e32 v2, 0
	s_waitcnt lgkmcnt(0)
	s_barrier
	buffer_wbinvl1_vol
	s_and_saveexec_b64 s[16:17], s[18:19]
	s_cbranch_execz .LBB49_335
; %bb.330:
	v_lshlrev_b32_e32 v18, 3, v9
	v_lshlrev_b32_e32 v19, 9, v10
	ds_read_b64 v[2:3], v18 offset:22848
	ds_read_b64 v[20:21], v19 offset:22880
	v_cmp_gt_u32_e64 s[14:15], 12, v8
	s_waitcnt lgkmcnt(0)
	v_mul_f32_e32 v22, v21, v3
	v_mul_f32_e32 v3, v20, v3
	v_fma_f32 v20, v20, v2, -v22
	v_fmac_f32_e32 v3, v21, v2
	v_add_f32_e32 v2, 0, v20
	v_add_f32_e32 v3, 0, v3
	s_and_saveexec_b64 s[20:21], s[14:15]
	s_cbranch_execnz .LBB49_1002
; %bb.331:
	s_or_b64 exec, exec, s[20:21]
	v_cmp_gt_u32_e64 s[14:15], 8, v8
	s_and_saveexec_b64 s[20:21], s[14:15]
	s_cbranch_execnz .LBB49_1003
.LBB49_332:
	s_or_b64 exec, exec, s[20:21]
	v_cmp_gt_u32_e64 s[14:15], 4, v8
	s_and_saveexec_b64 s[20:21], s[14:15]
	s_cbranch_execz .LBB49_334
.LBB49_333:
	v_lshlrev_b32_e32 v18, 3, v0
	v_mov_b32_e32 v20, 0
	ds_read_b64 v[18:19], v18 offset:24384
	ds_read_b64 v[20:21], v20 offset:24440
	s_waitcnt lgkmcnt(0)
	v_mul_f32_e32 v22, v21, v19
	v_mul_f32_e32 v19, v20, v19
	v_fma_f32 v20, v20, v18, -v22
	v_fmac_f32_e32 v19, v21, v18
	v_add_f32_e32 v2, v2, v20
	v_add_f32_e32 v3, v3, v19
.LBB49_334:
	s_or_b64 exec, exec, s[20:21]
.LBB49_335:
	s_or_b64 exec, exec, s[16:17]
	s_and_saveexec_b64 s[14:15], s[42:43]
; %bb.336:
	v_xor_b32_e32 v18, 0x80000000, v2
	v_xor_b32_e32 v19, 0x80000000, v3
	ds_write_b64 v11, v[18:19]
; %bb.337:
	s_or_b64 exec, exec, s[14:15]
	s_waitcnt lgkmcnt(0)
	s_barrier
	s_and_saveexec_b64 s[14:15], s[44:45]
	s_cbranch_execz .LBB49_339
; %bb.338:
	v_lshlrev_b32_e32 v18, 3, v9
	ds_read_b64 v[18:19], v18 offset:22336
	ds_read_b64 v[20:21], v11
	s_waitcnt lgkmcnt(0)
	v_mul_f32_e32 v22, v21, v19
	v_mul_f32_e32 v19, v20, v19
	v_fma_f32 v20, v20, v18, -v22
	v_fmac_f32_e32 v19, v21, v18
	v_sub_f32_e32 v2, v2, v20
	v_sub_f32_e32 v3, v3, v19
.LBB49_339:
	s_or_b64 exec, exec, s[14:15]
	s_barrier
	s_and_saveexec_b64 s[14:15], s[52:53]
; %bb.340:
	v_xor_b32_e32 v18, 0x80000000, v2
	v_xor_b32_e32 v19, 0x80000000, v3
	ds_write_b64 v11, v[18:19]
; %bb.341:
	s_or_b64 exec, exec, s[14:15]
	s_waitcnt lgkmcnt(0)
	s_barrier
	s_and_saveexec_b64 s[14:15], s[54:55]
	s_cbranch_execz .LBB49_343
; %bb.342:
	v_lshlrev_b32_e32 v18, 3, v9
	ds_read_b64 v[18:19], v18 offset:21824
	ds_read_b64 v[20:21], v11
	s_waitcnt lgkmcnt(0)
	v_mul_f32_e32 v22, v21, v19
	v_mul_f32_e32 v19, v20, v19
	v_fma_f32 v20, v20, v18, -v22
	v_fmac_f32_e32 v19, v21, v18
	v_sub_f32_e32 v2, v2, v20
	v_sub_f32_e32 v3, v3, v19
.LBB49_343:
	s_or_b64 exec, exec, s[14:15]
	s_barrier
	s_and_saveexec_b64 s[14:15], s[56:57]
; %bb.344:
	v_xor_b32_e32 v18, 0x80000000, v2
	v_xor_b32_e32 v19, 0x80000000, v3
	ds_write_b64 v11, v[18:19]
; %bb.345:
	s_or_b64 exec, exec, s[14:15]
	s_waitcnt lgkmcnt(0)
	s_barrier
	s_and_saveexec_b64 s[14:15], s[38:39]
	s_cbranch_execz .LBB49_347
; %bb.346:
	v_mov_b32_e32 v18, 0
	ds_read_b64 v[18:19], v18 offset:21312
	ds_read_b64 v[20:21], v11
	s_waitcnt lgkmcnt(0)
	v_mul_f32_e32 v22, v21, v19
	v_mul_f32_e32 v19, v20, v19
	v_fma_f32 v20, v20, v18, -v22
	v_fmac_f32_e32 v19, v21, v18
	v_sub_f32_e32 v2, v2, v20
	v_sub_f32_e32 v3, v3, v19
.LBB49_347:
	s_or_b64 exec, exec, s[14:15]
	s_barrier
	s_and_saveexec_b64 s[14:15], s[38:39]
; %bb.348:
	v_xor_b32_e32 v18, 0x80000000, v2
	v_xor_b32_e32 v19, 0x80000000, v3
	ds_write_b64 v11, v[18:19]
; %bb.349:
	s_or_b64 exec, exec, s[14:15]
	s_waitcnt lgkmcnt(0)
	s_barrier
	s_barrier
	s_and_saveexec_b64 s[14:15], s[18:19]
; %bb.350:
	v_lshlrev_b32_e32 v18, 3, v9
	v_lshl_or_b32 v18, v10, 9, v18
	ds_write_b64 v18, v[2:3] offset:22848
; %bb.351:
	s_or_b64 exec, exec, s[14:15]
	s_waitcnt lgkmcnt(0)
	s_barrier
	s_barrier
	s_and_saveexec_b64 s[14:15], vcc
	s_cbranch_execz .LBB49_353
; %bb.352:
	s_mov_b64 s[16:17], 0x3f800000
	v_mov_b32_e32 v2, s16
	v_mov_b32_e32 v3, s17
	s_movk_i32 s16, 0x5000
	v_add_u32_e64 v18, s16, 0
	ds_write2_b64 v18, v[2:3], v[2:3] offset0:170 offset1:235
.LBB49_353:
	s_or_b64 exec, exec, s[14:15]
	v_mov_b32_e32 v2, 0
	v_mov_b32_e32 v3, 0
	s_waitcnt lgkmcnt(0)
	s_barrier
	buffer_wbinvl1_vol
	s_and_saveexec_b64 s[16:17], s[6:7]
	s_cbranch_execz .LBB49_357
; %bb.354:
	v_lshlrev_b32_e32 v2, 3, v4
	v_lshlrev_b32_e32 v18, 9, v5
	ds_read_b64 v[2:3], v2 offset:21824
	ds_read_b64 v[18:19], v18 offset:21840
	v_cmp_gt_u32_e64 s[14:15], 2, v8
	s_waitcnt lgkmcnt(0)
	v_mul_f32_e32 v20, v19, v3
	v_mul_f32_e32 v3, v18, v3
	v_fma_f32 v18, v18, v2, -v20
	v_fmac_f32_e32 v3, v19, v2
	v_add_f32_e32 v2, 0, v18
	v_add_f32_e32 v3, 0, v3
	s_and_saveexec_b64 s[20:21], s[14:15]
	s_cbranch_execz .LBB49_356
; %bb.355:
	v_lshlrev_b32_e32 v18, 3, v0
	v_mov_b32_e32 v20, 0
	ds_read_b64 v[18:19], v18 offset:22336
	ds_read_b64 v[20:21], v20 offset:22360
	s_waitcnt lgkmcnt(0)
	v_mul_f32_e32 v22, v21, v19
	v_mul_f32_e32 v19, v20, v19
	v_fma_f32 v20, v20, v18, -v22
	v_fmac_f32_e32 v19, v21, v18
	v_add_f32_e32 v2, v2, v20
	v_add_f32_e32 v3, v3, v19
.LBB49_356:
	s_or_b64 exec, exec, s[20:21]
.LBB49_357:
	s_or_b64 exec, exec, s[16:17]
	s_and_saveexec_b64 s[14:15], s[36:37]
; %bb.358:
	v_xor_b32_e32 v19, 0x80000000, v3
	v_xor_b32_e32 v18, 0x80000000, v2
	ds_write_b64 v6, v[18:19]
; %bb.359:
	s_or_b64 exec, exec, s[14:15]
	s_waitcnt lgkmcnt(0)
	s_barrier
	s_and_saveexec_b64 s[14:15], s[34:35]
	s_cbranch_execz .LBB49_361
; %bb.360:
	v_mov_b32_e32 v18, 0
	ds_read_b64 v[18:19], v18 offset:21312
	ds_read_b64 v[20:21], v6
	s_waitcnt lgkmcnt(0)
	v_mul_f32_e32 v22, v20, v18
	v_mul_f32_e32 v20, v20, v19
	v_fmac_f32_e32 v20, v21, v18
	v_fma_f32 v18, v21, v19, -v22
	v_add_f32_e32 v2, v2, v18
	v_sub_f32_e32 v3, v3, v20
.LBB49_361:
	s_or_b64 exec, exec, s[14:15]
	s_barrier
	s_and_saveexec_b64 s[14:15], s[34:35]
; %bb.362:
	v_xor_b32_e32 v19, 0x80000000, v3
	v_xor_b32_e32 v18, 0x80000000, v2
	ds_write_b64 v6, v[18:19]
; %bb.363:
	s_or_b64 exec, exec, s[14:15]
	s_waitcnt lgkmcnt(0)
	s_barrier
	s_barrier
	s_and_saveexec_b64 s[14:15], s[6:7]
; %bb.364:
	v_lshlrev_b32_e32 v18, 3, v4
	v_lshl_or_b32 v18, v5, 9, v18
	ds_write_b64 v18, v[2:3] offset:21824
; %bb.365:
	s_or_b64 exec, exec, s[14:15]
	s_waitcnt lgkmcnt(0)
	s_barrier
	s_barrier
	s_and_saveexec_b64 s[14:15], vcc
	s_cbranch_execz .LBB49_367
; %bb.366:
	s_mov_b64 s[16:17], 0x3f800000
	v_mov_b32_e32 v2, s16
	v_mov_b32_e32 v3, s17
	s_movk_i32 s16, 0x5000
	v_add_u32_e64 v18, s16, 0
	ds_write2_b64 v18, v[2:3], v[2:3] offset0:40 offset1:105
.LBB49_367:
	s_or_b64 exec, exec, s[14:15]
	v_mov_b32_e32 v3, 0
	v_mov_b32_e32 v2, 0
	s_waitcnt lgkmcnt(0)
	s_barrier
	buffer_wbinvl1_vol
	s_and_saveexec_b64 s[16:17], s[10:11]
	s_cbranch_execz .LBB49_377
; %bb.368:
	v_lshlrev_b32_e32 v18, 3, v12
	v_lshlrev_b32_e32 v19, 9, v13
	ds_read_b64 v[2:3], v18 offset:20736
	ds_read_b64 v[20:21], v19 offset:20800
	v_cmp_gt_u32_e64 s[14:15], 56, v8
	s_waitcnt lgkmcnt(0)
	v_mul_f32_e32 v22, v21, v3
	v_mul_f32_e32 v3, v20, v3
	v_fma_f32 v20, v20, v2, -v22
	v_fmac_f32_e32 v3, v21, v2
	v_add_f32_e32 v2, 0, v20
	v_add_f32_e32 v3, 0, v3
	s_and_saveexec_b64 s[20:21], s[14:15]
	s_cbranch_execnz .LBB49_1004
; %bb.369:
	s_or_b64 exec, exec, s[20:21]
	v_cmp_gt_u32_e64 s[14:15], 48, v8
	s_and_saveexec_b64 s[20:21], s[14:15]
	s_cbranch_execnz .LBB49_1005
.LBB49_370:
	s_or_b64 exec, exec, s[20:21]
	v_cmp_gt_u32_e64 s[14:15], 40, v8
	s_and_saveexec_b64 s[20:21], s[14:15]
	s_cbranch_execnz .LBB49_1006
.LBB49_371:
	s_or_b64 exec, exec, s[20:21]
	v_cmp_gt_u32_e64 s[14:15], 32, v8
	s_and_saveexec_b64 s[20:21], s[14:15]
	s_cbranch_execnz .LBB49_1007
.LBB49_372:
	s_or_b64 exec, exec, s[20:21]
	v_cmp_gt_u32_e64 s[14:15], 24, v8
	s_and_saveexec_b64 s[20:21], s[14:15]
	s_cbranch_execnz .LBB49_1008
.LBB49_373:
	s_or_b64 exec, exec, s[20:21]
	s_and_saveexec_b64 s[14:15], s[18:19]
	s_cbranch_execnz .LBB49_1009
.LBB49_374:
	s_or_b64 exec, exec, s[14:15]
	v_cmp_gt_u32_e64 s[14:15], 8, v8
	s_and_saveexec_b64 s[20:21], s[14:15]
	s_cbranch_execz .LBB49_376
.LBB49_375:
	v_lshlrev_b32_e32 v18, 3, v0
	v_mov_b32_e32 v20, 0
	ds_read_b64 v[18:19], v18 offset:24320
	ds_read_b64 v[20:21], v20 offset:24440
	s_waitcnt lgkmcnt(0)
	v_mul_f32_e32 v22, v21, v19
	v_mul_f32_e32 v19, v20, v19
	v_fma_f32 v20, v20, v18, -v22
	v_fmac_f32_e32 v19, v21, v18
	v_add_f32_e32 v2, v2, v20
	v_add_f32_e32 v3, v3, v19
.LBB49_376:
	s_or_b64 exec, exec, s[20:21]
.LBB49_377:
	s_or_b64 exec, exec, s[16:17]
	s_and_saveexec_b64 s[14:15], s[60:61]
; %bb.378:
	v_xor_b32_e32 v19, 0x80000000, v3
	v_xor_b32_e32 v18, 0x80000000, v2
	ds_write_b64 v14, v[18:19]
; %bb.379:
	s_or_b64 exec, exec, s[14:15]
	s_waitcnt lgkmcnt(0)
	s_barrier
	s_and_saveexec_b64 s[14:15], s[62:63]
	s_cbranch_execz .LBB49_381
; %bb.380:
	v_lshlrev_b32_e32 v18, 3, v12
	ds_read_b64 v[18:19], v18 offset:20224
	ds_read_b64 v[20:21], v14
	s_waitcnt lgkmcnt(0)
	v_mul_f32_e32 v22, v21, v19
	v_mul_f32_e32 v19, v20, v19
	v_fma_f32 v20, v20, v18, -v22
	v_fmac_f32_e32 v19, v21, v18
	v_sub_f32_e32 v2, v2, v20
	v_sub_f32_e32 v3, v3, v19
.LBB49_381:
	s_or_b64 exec, exec, s[14:15]
	s_barrier
	s_and_saveexec_b64 s[14:15], s[64:65]
; %bb.382:
	v_xor_b32_e32 v19, 0x80000000, v3
	v_xor_b32_e32 v18, 0x80000000, v2
	ds_write_b64 v14, v[18:19]
; %bb.383:
	s_or_b64 exec, exec, s[14:15]
	s_waitcnt lgkmcnt(0)
	s_barrier
	s_and_saveexec_b64 s[14:15], s[66:67]
	s_cbranch_execz .LBB49_385
; %bb.384:
	v_lshlrev_b32_e32 v18, 3, v12
	ds_read_b64 v[18:19], v18 offset:19712
	ds_read_b64 v[20:21], v14
	s_waitcnt lgkmcnt(0)
	v_mul_f32_e32 v22, v21, v19
	v_mul_f32_e32 v19, v20, v19
	v_fma_f32 v20, v20, v18, -v22
	v_fmac_f32_e32 v19, v21, v18
	v_sub_f32_e32 v2, v2, v20
	v_sub_f32_e32 v3, v3, v19
.LBB49_385:
	s_or_b64 exec, exec, s[14:15]
	s_barrier
	;; [unrolled: 25-line block ×6, first 2 shown]
	s_and_saveexec_b64 s[14:15], s[84:85]
; %bb.402:
	v_xor_b32_e32 v19, 0x80000000, v3
	v_xor_b32_e32 v18, 0x80000000, v2
	ds_write_b64 v14, v[18:19]
; %bb.403:
	s_or_b64 exec, exec, s[14:15]
	s_waitcnt lgkmcnt(0)
	s_barrier
	s_and_saveexec_b64 s[14:15], s[58:59]
	s_cbranch_execz .LBB49_405
; %bb.404:
	v_mov_b32_e32 v18, 0
	ds_read_b64 v[18:19], v18 offset:17152
	ds_read_b64 v[20:21], v14
	s_waitcnt lgkmcnt(0)
	v_mul_f32_e32 v22, v21, v19
	v_mul_f32_e32 v19, v20, v19
	v_fma_f32 v20, v20, v18, -v22
	v_fmac_f32_e32 v19, v21, v18
	v_sub_f32_e32 v2, v2, v20
	v_sub_f32_e32 v3, v3, v19
.LBB49_405:
	s_or_b64 exec, exec, s[14:15]
	s_barrier
	s_and_saveexec_b64 s[14:15], s[58:59]
; %bb.406:
	v_xor_b32_e32 v19, 0x80000000, v3
	v_xor_b32_e32 v18, 0x80000000, v2
	ds_write_b64 v14, v[18:19]
; %bb.407:
	s_or_b64 exec, exec, s[14:15]
	s_waitcnt lgkmcnt(0)
	s_barrier
	s_barrier
	s_and_saveexec_b64 s[14:15], s[10:11]
; %bb.408:
	v_lshlrev_b32_e32 v18, 3, v12
	v_lshl_or_b32 v18, v13, 9, v18
	ds_write_b64 v18, v[2:3] offset:20736
; %bb.409:
	s_or_b64 exec, exec, s[14:15]
	s_waitcnt lgkmcnt(0)
	s_barrier
	s_barrier
	s_and_saveexec_b64 s[14:15], vcc
	s_cbranch_execz .LBB49_411
; %bb.410:
	s_mov_b64 s[16:17], 0x3f800000
	v_mov_b32_e32 v2, s16
	v_mov_b32_e32 v3, s17
	s_movk_i32 s16, 0x4800
	v_add_u32_e64 v18, s16, 0
	ds_write2_b64 v18, v[2:3], v[2:3] offset0:166 offset1:231
.LBB49_411:
	s_or_b64 exec, exec, s[14:15]
	v_mov_b32_e32 v2, 0
	v_mov_b32_e32 v3, 0
	s_waitcnt lgkmcnt(0)
	s_barrier
	buffer_wbinvl1_vol
	s_and_saveexec_b64 s[16:17], s[6:7]
	s_cbranch_execz .LBB49_415
; %bb.412:
	v_lshlrev_b32_e32 v2, 3, v4
	v_lshlrev_b32_e32 v18, 9, v5
	ds_read_b64 v[2:3], v2 offset:19744
	ds_read_b64 v[18:19], v18 offset:19760
	v_cmp_gt_u32_e64 s[14:15], 2, v8
	s_waitcnt lgkmcnt(0)
	v_mul_f32_e32 v20, v19, v3
	v_mul_f32_e32 v3, v18, v3
	v_fma_f32 v18, v18, v2, -v20
	v_fmac_f32_e32 v3, v19, v2
	v_add_f32_e32 v2, 0, v18
	v_add_f32_e32 v3, 0, v3
	s_and_saveexec_b64 s[20:21], s[14:15]
	s_cbranch_execz .LBB49_414
; %bb.413:
	v_lshlrev_b32_e32 v18, 3, v0
	v_mov_b32_e32 v20, 0
	ds_read_b64 v[18:19], v18 offset:20256
	ds_read_b64 v[20:21], v20 offset:20280
	s_waitcnt lgkmcnt(0)
	v_mul_f32_e32 v22, v21, v19
	v_mul_f32_e32 v19, v20, v19
	v_fma_f32 v20, v20, v18, -v22
	v_fmac_f32_e32 v19, v21, v18
	v_add_f32_e32 v2, v2, v20
	v_add_f32_e32 v3, v3, v19
.LBB49_414:
	s_or_b64 exec, exec, s[20:21]
.LBB49_415:
	s_or_b64 exec, exec, s[16:17]
	s_and_saveexec_b64 s[14:15], s[36:37]
; %bb.416:
	v_xor_b32_e32 v19, 0x80000000, v3
	v_xor_b32_e32 v18, 0x80000000, v2
	ds_write_b64 v6, v[18:19]
; %bb.417:
	s_or_b64 exec, exec, s[14:15]
	s_waitcnt lgkmcnt(0)
	s_barrier
	s_and_saveexec_b64 s[14:15], s[34:35]
	s_cbranch_execz .LBB49_419
; %bb.418:
	v_mov_b32_e32 v18, 0
	ds_read_b64 v[18:19], v18 offset:19232
	ds_read_b64 v[20:21], v6
	s_waitcnt lgkmcnt(0)
	v_mul_f32_e32 v22, v20, v18
	v_mul_f32_e32 v20, v20, v19
	v_fmac_f32_e32 v20, v21, v18
	v_fma_f32 v18, v21, v19, -v22
	v_add_f32_e32 v2, v2, v18
	v_sub_f32_e32 v3, v3, v20
.LBB49_419:
	s_or_b64 exec, exec, s[14:15]
	s_barrier
	s_and_saveexec_b64 s[14:15], s[34:35]
; %bb.420:
	v_xor_b32_e32 v19, 0x80000000, v3
	v_xor_b32_e32 v18, 0x80000000, v2
	ds_write_b64 v6, v[18:19]
; %bb.421:
	s_or_b64 exec, exec, s[14:15]
	s_waitcnt lgkmcnt(0)
	s_barrier
	s_barrier
	s_and_saveexec_b64 s[14:15], s[6:7]
; %bb.422:
	v_lshlrev_b32_e32 v18, 3, v4
	v_lshl_or_b32 v18, v5, 9, v18
	ds_write_b64 v18, v[2:3] offset:19744
; %bb.423:
	s_or_b64 exec, exec, s[14:15]
	s_waitcnt lgkmcnt(0)
	s_barrier
	s_barrier
	s_and_saveexec_b64 s[14:15], vcc
	s_cbranch_execz .LBB49_425
; %bb.424:
	s_mov_b64 s[16:17], 0x3f800000
	v_mov_b32_e32 v2, s16
	v_mov_b32_e32 v3, s17
	s_movk_i32 s16, 0x4800
	v_add_u32_e64 v18, s16, 0
	ds_write2_b64 v18, v[2:3], v[2:3] offset0:36 offset1:101
.LBB49_425:
	s_or_b64 exec, exec, s[14:15]
	v_mov_b32_e32 v3, 0
	v_mov_b32_e32 v2, 0
	s_waitcnt lgkmcnt(0)
	s_barrier
	buffer_wbinvl1_vol
	s_and_saveexec_b64 s[16:17], s[18:19]
	s_cbranch_execz .LBB49_431
; %bb.426:
	v_lshlrev_b32_e32 v18, 3, v9
	v_lshlrev_b32_e32 v19, 9, v10
	ds_read_b64 v[2:3], v18 offset:18688
	ds_read_b64 v[20:21], v19 offset:18720
	v_cmp_gt_u32_e64 s[14:15], 12, v8
	s_waitcnt lgkmcnt(0)
	v_mul_f32_e32 v22, v21, v3
	v_mul_f32_e32 v3, v20, v3
	v_fma_f32 v20, v20, v2, -v22
	v_fmac_f32_e32 v3, v21, v2
	v_add_f32_e32 v2, 0, v20
	v_add_f32_e32 v3, 0, v3
	s_and_saveexec_b64 s[20:21], s[14:15]
	s_cbranch_execnz .LBB49_1010
; %bb.427:
	s_or_b64 exec, exec, s[20:21]
	v_cmp_gt_u32_e64 s[14:15], 8, v8
	s_and_saveexec_b64 s[20:21], s[14:15]
	s_cbranch_execnz .LBB49_1011
.LBB49_428:
	s_or_b64 exec, exec, s[20:21]
	v_cmp_gt_u32_e64 s[14:15], 4, v8
	s_and_saveexec_b64 s[20:21], s[14:15]
	s_cbranch_execz .LBB49_430
.LBB49_429:
	v_lshlrev_b32_e32 v18, 3, v0
	v_mov_b32_e32 v20, 0
	ds_read_b64 v[18:19], v18 offset:20224
	ds_read_b64 v[20:21], v20 offset:20280
	s_waitcnt lgkmcnt(0)
	v_mul_f32_e32 v22, v21, v19
	v_mul_f32_e32 v19, v20, v19
	v_fma_f32 v20, v20, v18, -v22
	v_fmac_f32_e32 v19, v21, v18
	v_add_f32_e32 v2, v2, v20
	v_add_f32_e32 v3, v3, v19
.LBB49_430:
	s_or_b64 exec, exec, s[20:21]
.LBB49_431:
	s_or_b64 exec, exec, s[16:17]
	s_and_saveexec_b64 s[14:15], s[42:43]
; %bb.432:
	v_xor_b32_e32 v18, 0x80000000, v2
	v_xor_b32_e32 v19, 0x80000000, v3
	ds_write_b64 v11, v[18:19]
; %bb.433:
	s_or_b64 exec, exec, s[14:15]
	s_waitcnt lgkmcnt(0)
	s_barrier
	s_and_saveexec_b64 s[14:15], s[44:45]
	s_cbranch_execz .LBB49_435
; %bb.434:
	v_lshlrev_b32_e32 v18, 3, v9
	ds_read_b64 v[18:19], v18 offset:18176
	ds_read_b64 v[20:21], v11
	s_waitcnt lgkmcnt(0)
	v_mul_f32_e32 v22, v21, v19
	v_mul_f32_e32 v19, v20, v19
	v_fma_f32 v20, v20, v18, -v22
	v_fmac_f32_e32 v19, v21, v18
	v_sub_f32_e32 v2, v2, v20
	v_sub_f32_e32 v3, v3, v19
.LBB49_435:
	s_or_b64 exec, exec, s[14:15]
	s_barrier
	s_and_saveexec_b64 s[14:15], s[52:53]
; %bb.436:
	v_xor_b32_e32 v18, 0x80000000, v2
	v_xor_b32_e32 v19, 0x80000000, v3
	ds_write_b64 v11, v[18:19]
; %bb.437:
	s_or_b64 exec, exec, s[14:15]
	s_waitcnt lgkmcnt(0)
	s_barrier
	s_and_saveexec_b64 s[14:15], s[54:55]
	s_cbranch_execz .LBB49_439
; %bb.438:
	v_lshlrev_b32_e32 v18, 3, v9
	ds_read_b64 v[18:19], v18 offset:17664
	ds_read_b64 v[20:21], v11
	s_waitcnt lgkmcnt(0)
	v_mul_f32_e32 v22, v21, v19
	v_mul_f32_e32 v19, v20, v19
	v_fma_f32 v20, v20, v18, -v22
	v_fmac_f32_e32 v19, v21, v18
	v_sub_f32_e32 v2, v2, v20
	v_sub_f32_e32 v3, v3, v19
.LBB49_439:
	s_or_b64 exec, exec, s[14:15]
	s_barrier
	s_and_saveexec_b64 s[14:15], s[56:57]
; %bb.440:
	v_xor_b32_e32 v18, 0x80000000, v2
	v_xor_b32_e32 v19, 0x80000000, v3
	ds_write_b64 v11, v[18:19]
; %bb.441:
	s_or_b64 exec, exec, s[14:15]
	s_waitcnt lgkmcnt(0)
	s_barrier
	s_and_saveexec_b64 s[14:15], s[38:39]
	s_cbranch_execz .LBB49_443
; %bb.442:
	v_mov_b32_e32 v18, 0
	ds_read_b64 v[18:19], v18 offset:17152
	ds_read_b64 v[20:21], v11
	s_waitcnt lgkmcnt(0)
	v_mul_f32_e32 v22, v21, v19
	v_mul_f32_e32 v19, v20, v19
	v_fma_f32 v20, v20, v18, -v22
	v_fmac_f32_e32 v19, v21, v18
	v_sub_f32_e32 v2, v2, v20
	v_sub_f32_e32 v3, v3, v19
.LBB49_443:
	s_or_b64 exec, exec, s[14:15]
	s_barrier
	s_and_saveexec_b64 s[14:15], s[38:39]
; %bb.444:
	v_xor_b32_e32 v18, 0x80000000, v2
	v_xor_b32_e32 v19, 0x80000000, v3
	ds_write_b64 v11, v[18:19]
; %bb.445:
	s_or_b64 exec, exec, s[14:15]
	s_waitcnt lgkmcnt(0)
	s_barrier
	s_barrier
	s_and_saveexec_b64 s[14:15], s[18:19]
; %bb.446:
	v_lshlrev_b32_e32 v18, 3, v9
	v_lshl_or_b32 v18, v10, 9, v18
	ds_write_b64 v18, v[2:3] offset:18688
; %bb.447:
	s_or_b64 exec, exec, s[14:15]
	s_waitcnt lgkmcnt(0)
	s_barrier
	s_barrier
	s_and_saveexec_b64 s[14:15], vcc
	s_cbranch_execz .LBB49_449
; %bb.448:
	s_mov_b64 s[16:17], 0x3f800000
	v_mov_b32_e32 v2, s16
	v_mov_b32_e32 v3, s17
	s_movk_i32 s16, 0x4000
	v_add_u32_e64 v18, s16, 0
	ds_write2_b64 v18, v[2:3], v[2:3] offset0:162 offset1:227
.LBB49_449:
	s_or_b64 exec, exec, s[14:15]
	v_mov_b32_e32 v2, 0
	v_mov_b32_e32 v3, 0
	s_waitcnt lgkmcnt(0)
	s_barrier
	buffer_wbinvl1_vol
	s_and_saveexec_b64 s[16:17], s[6:7]
	s_cbranch_execz .LBB49_453
; %bb.450:
	v_lshlrev_b32_e32 v2, 3, v4
	v_lshlrev_b32_e32 v18, 9, v5
	ds_read_b64 v[2:3], v2 offset:17664
	ds_read_b64 v[18:19], v18 offset:17680
	v_cmp_gt_u32_e64 s[14:15], 2, v8
	s_waitcnt lgkmcnt(0)
	v_mul_f32_e32 v20, v19, v3
	v_mul_f32_e32 v3, v18, v3
	v_fma_f32 v18, v18, v2, -v20
	v_fmac_f32_e32 v3, v19, v2
	v_add_f32_e32 v2, 0, v18
	v_add_f32_e32 v3, 0, v3
	s_and_saveexec_b64 s[20:21], s[14:15]
	s_cbranch_execz .LBB49_452
; %bb.451:
	v_lshlrev_b32_e32 v18, 3, v0
	v_mov_b32_e32 v20, 0
	ds_read_b64 v[18:19], v18 offset:18176
	ds_read_b64 v[20:21], v20 offset:18200
	s_waitcnt lgkmcnt(0)
	v_mul_f32_e32 v22, v21, v19
	v_mul_f32_e32 v19, v20, v19
	v_fma_f32 v20, v20, v18, -v22
	v_fmac_f32_e32 v19, v21, v18
	v_add_f32_e32 v2, v2, v20
	v_add_f32_e32 v3, v3, v19
.LBB49_452:
	s_or_b64 exec, exec, s[20:21]
.LBB49_453:
	s_or_b64 exec, exec, s[16:17]
	s_and_saveexec_b64 s[14:15], s[36:37]
; %bb.454:
	v_xor_b32_e32 v19, 0x80000000, v3
	v_xor_b32_e32 v18, 0x80000000, v2
	ds_write_b64 v6, v[18:19]
; %bb.455:
	s_or_b64 exec, exec, s[14:15]
	s_waitcnt lgkmcnt(0)
	s_barrier
	s_and_saveexec_b64 s[14:15], s[34:35]
	s_cbranch_execz .LBB49_457
; %bb.456:
	v_mov_b32_e32 v18, 0
	ds_read_b64 v[18:19], v18 offset:17152
	ds_read_b64 v[20:21], v6
	s_waitcnt lgkmcnt(0)
	v_mul_f32_e32 v22, v20, v18
	v_mul_f32_e32 v20, v20, v19
	v_fmac_f32_e32 v20, v21, v18
	v_fma_f32 v18, v21, v19, -v22
	v_add_f32_e32 v2, v2, v18
	v_sub_f32_e32 v3, v3, v20
.LBB49_457:
	s_or_b64 exec, exec, s[14:15]
	s_barrier
	s_and_saveexec_b64 s[14:15], s[34:35]
; %bb.458:
	v_xor_b32_e32 v19, 0x80000000, v3
	v_xor_b32_e32 v18, 0x80000000, v2
	ds_write_b64 v6, v[18:19]
; %bb.459:
	s_or_b64 exec, exec, s[14:15]
	s_waitcnt lgkmcnt(0)
	s_barrier
	s_barrier
	s_and_saveexec_b64 s[14:15], s[6:7]
; %bb.460:
	v_lshlrev_b32_e32 v18, 3, v4
	v_lshl_or_b32 v18, v5, 9, v18
	ds_write_b64 v18, v[2:3] offset:17664
; %bb.461:
	s_or_b64 exec, exec, s[14:15]
	s_waitcnt lgkmcnt(0)
	s_barrier
	s_barrier
	s_and_saveexec_b64 s[14:15], vcc
	s_cbranch_execz .LBB49_463
; %bb.462:
	s_mov_b64 s[16:17], 0x3f800000
	v_mov_b32_e32 v2, s16
	v_mov_b32_e32 v3, s17
	s_movk_i32 s16, 0x4000
	v_add_u32_e64 v18, s16, 0
	ds_write2_b64 v18, v[2:3], v[2:3] offset0:32 offset1:97
.LBB49_463:
	s_or_b64 exec, exec, s[14:15]
	s_movk_i32 s14, 0x3ff
	v_lshrrev_b32_e32 v20, 5, v8
	v_cmp_lt_u32_e64 s[16:17], s14, v8
	s_movk_i32 s14, 0x400
	v_and_b32_e32 v18, 31, v0
	v_sub_u32_e32 v19, 31, v20
	v_cmp_gt_u32_e64 s[14:15], s14, v8
	v_mov_b32_e32 v3, 0
	v_mov_b32_e32 v2, 0
	s_waitcnt lgkmcnt(0)
	s_barrier
	buffer_wbinvl1_vol
	s_and_saveexec_b64 s[92:93], s[14:15]
	s_cbranch_execz .LBB49_525
; %bb.464:
	v_lshlrev_b32_e32 v21, 3, v18
	v_lshlrev_b32_e32 v22, 9, v19
	ds_read_b64 v[2:3], v21 offset:16384
	ds_read_b64 v[23:24], v22 offset:16640
	s_movk_i32 s20, 0x3e0
	v_cmp_gt_u32_e64 s[20:21], s20, v8
	s_waitcnt lgkmcnt(0)
	v_mul_f32_e32 v25, v24, v3
	v_mul_f32_e32 v3, v23, v3
	v_fma_f32 v23, v23, v2, -v25
	v_fmac_f32_e32 v3, v24, v2
	v_add_f32_e32 v2, 0, v23
	v_add_f32_e32 v3, 0, v3
	s_and_saveexec_b64 s[86:87], s[20:21]
	s_cbranch_execz .LBB49_466
; %bb.465:
	ds_read_b64 v[23:24], v21 offset:16896
	ds_read_b64 v[25:26], v22 offset:16648
	s_waitcnt lgkmcnt(0)
	v_mul_f32_e32 v27, v26, v24
	v_mul_f32_e32 v24, v25, v24
	v_fma_f32 v25, v25, v23, -v27
	v_fmac_f32_e32 v24, v26, v23
	v_add_f32_e32 v2, v2, v25
	v_add_f32_e32 v3, v3, v24
.LBB49_466:
	s_or_b64 exec, exec, s[86:87]
	s_movk_i32 s20, 0x3c0
	v_cmp_gt_u32_e64 s[20:21], s20, v8
	s_and_saveexec_b64 s[86:87], s[20:21]
	s_cbranch_execz .LBB49_468
; %bb.467:
	ds_read_b64 v[23:24], v21 offset:17408
	ds_read_b64 v[25:26], v22 offset:16656
	s_waitcnt lgkmcnt(0)
	v_mul_f32_e32 v27, v26, v24
	v_mul_f32_e32 v24, v25, v24
	v_fma_f32 v25, v25, v23, -v27
	v_fmac_f32_e32 v24, v26, v23
	v_add_f32_e32 v2, v2, v25
	v_add_f32_e32 v3, v3, v24
.LBB49_468:
	s_or_b64 exec, exec, s[86:87]
	s_movk_i32 s20, 0x3a0
	v_cmp_gt_u32_e64 s[20:21], s20, v8
	;; [unrolled: 16-line block ×22, first 2 shown]
	s_and_saveexec_b64 s[86:87], s[20:21]
	s_cbranch_execz .LBB49_510
; %bb.509:
	ds_read_b64 v[23:24], v21 offset:28160
	ds_read_b64 v[25:26], v22 offset:16824
	s_waitcnt lgkmcnt(0)
	v_mul_f32_e32 v27, v26, v24
	v_mul_f32_e32 v24, v25, v24
	v_fma_f32 v25, v25, v23, -v27
	v_fmac_f32_e32 v24, v26, v23
	v_add_f32_e32 v2, v2, v25
	v_add_f32_e32 v3, v3, v24
.LBB49_510:
	s_or_b64 exec, exec, s[86:87]
	s_and_saveexec_b64 s[20:21], s[12:13]
	s_cbranch_execz .LBB49_512
; %bb.511:
	ds_read_b64 v[23:24], v21 offset:28672
	ds_read_b64 v[25:26], v22 offset:16832
	s_waitcnt lgkmcnt(0)
	v_mul_f32_e32 v27, v26, v24
	v_mul_f32_e32 v24, v25, v24
	v_fma_f32 v25, v25, v23, -v27
	v_fmac_f32_e32 v24, v26, v23
	v_add_f32_e32 v2, v2, v25
	v_add_f32_e32 v3, v3, v24
.LBB49_512:
	s_or_b64 exec, exec, s[20:21]
	s_movk_i32 s20, 0xe0
	v_cmp_gt_u32_e64 s[20:21], s20, v8
	s_and_saveexec_b64 s[86:87], s[20:21]
	s_cbranch_execz .LBB49_514
; %bb.513:
	ds_read_b64 v[23:24], v21 offset:29184
	ds_read_b64 v[25:26], v22 offset:16840
	s_waitcnt lgkmcnt(0)
	v_mul_f32_e32 v27, v26, v24
	v_mul_f32_e32 v24, v25, v24
	v_fma_f32 v25, v25, v23, -v27
	v_fmac_f32_e32 v24, v26, v23
	v_add_f32_e32 v2, v2, v25
	v_add_f32_e32 v3, v3, v24
.LBB49_514:
	s_or_b64 exec, exec, s[86:87]
	s_movk_i32 s20, 0xc0
	v_cmp_gt_u32_e64 s[20:21], s20, v8
	;; [unrolled: 16-line block ×5, first 2 shown]
	s_and_saveexec_b64 s[86:87], s[20:21]
	s_cbranch_execnz .LBB49_1012
; %bb.521:
	s_or_b64 exec, exec, s[86:87]
	s_and_saveexec_b64 s[20:21], s[10:11]
	s_cbranch_execnz .LBB49_1013
.LBB49_522:
	s_or_b64 exec, exec, s[20:21]
	v_cmp_gt_u32_e64 s[20:21], 32, v8
	s_and_saveexec_b64 s[86:87], s[20:21]
	s_cbranch_execz .LBB49_524
.LBB49_523:
	ds_read_b64 v[23:24], v21 offset:32256
	ds_read_b64 v[21:22], v22 offset:16888
	s_waitcnt lgkmcnt(0)
	v_mul_f32_e32 v25, v22, v24
	v_mul_f32_e32 v24, v21, v24
	v_fma_f32 v21, v21, v23, -v25
	v_fmac_f32_e32 v24, v22, v23
	v_add_f32_e32 v2, v2, v21
	v_add_f32_e32 v3, v3, v24
.LBB49_524:
	s_or_b64 exec, exec, s[86:87]
.LBB49_525:
	s_or_b64 exec, exec, s[92:93]
	v_mov_b32_e32 v21, 0x8000
	v_lshl_add_u32 v20, v20, 3, v21
	v_mov_b32_e32 v21, 0x3c00
	v_lshl_or_b32 v21, v18, 3, v21
	s_mov_b32 s86, 31
	v_subrev_u32_e32 v22, 31, v18
	s_xor_b64 s[20:21], s[16:17], -1
	s_branch .LBB49_527
.LBB49_526:                             ;   in Loop: Header=BB49_527 Depth=1
	s_or_b64 exec, exec, s[16:17]
	s_add_i32 s86, s86, -2
	v_add_u32_e32 v21, 0xfffffc00, v21
	s_cmp_eq_u32 s87, 0
	v_add_u32_e32 v22, 2, v22
	s_barrier
	s_cbranch_scc1 .LBB49_535
.LBB49_527:                             ; =>This Inner Loop Header: Depth=1
	v_cmp_eq_u32_e64 s[16:17], 0, v22
	s_and_b64 s[92:93], s[20:21], s[16:17]
	s_and_saveexec_b64 s[16:17], s[92:93]
; %bb.528:                              ;   in Loop: Header=BB49_527 Depth=1
	v_xor_b32_e32 v24, 0x80000000, v3
	v_xor_b32_e32 v23, 0x80000000, v2
	ds_write_b64 v20, v[23:24]
; %bb.529:                              ;   in Loop: Header=BB49_527 Depth=1
	s_or_b64 exec, exec, s[16:17]
	v_cmp_gt_u32_e64 s[16:17], s86, v18
	s_and_b64 s[92:93], s[20:21], s[16:17]
	s_waitcnt lgkmcnt(0)
	s_barrier
	s_and_saveexec_b64 s[16:17], s[92:93]
	s_cbranch_execz .LBB49_531
; %bb.530:                              ;   in Loop: Header=BB49_527 Depth=1
	ds_read_b64 v[23:24], v21 offset:512
	ds_read_b64 v[25:26], v20
	s_waitcnt lgkmcnt(0)
	v_mul_f32_e32 v27, v26, v24
	v_mul_f32_e32 v24, v25, v24
	v_fma_f32 v25, v25, v23, -v27
	v_fmac_f32_e32 v24, v26, v23
	v_sub_f32_e32 v2, v2, v25
	v_sub_f32_e32 v3, v3, v24
.LBB49_531:                             ;   in Loop: Header=BB49_527 Depth=1
	s_or_b64 exec, exec, s[16:17]
	s_add_i32 s87, s86, -1
	v_cmp_eq_u32_e64 s[16:17], s87, v18
	s_and_b64 s[92:93], s[20:21], s[16:17]
	s_barrier
	s_and_saveexec_b64 s[16:17], s[92:93]
; %bb.532:                              ;   in Loop: Header=BB49_527 Depth=1
	v_xor_b32_e32 v24, 0x80000000, v3
	v_xor_b32_e32 v23, 0x80000000, v2
	ds_write_b64 v20, v[23:24]
; %bb.533:                              ;   in Loop: Header=BB49_527 Depth=1
	s_or_b64 exec, exec, s[16:17]
	v_cmp_gt_u32_e64 s[16:17], s87, v18
	s_and_b64 s[92:93], s[20:21], s[16:17]
	s_waitcnt lgkmcnt(0)
	s_barrier
	s_and_saveexec_b64 s[16:17], s[92:93]
	s_cbranch_execz .LBB49_526
; %bb.534:                              ;   in Loop: Header=BB49_527 Depth=1
	ds_read_b64 v[23:24], v21
	ds_read_b64 v[25:26], v20
	s_waitcnt lgkmcnt(0)
	v_mul_f32_e32 v27, v26, v24
	v_mul_f32_e32 v24, v25, v24
	v_fma_f32 v25, v25, v23, -v27
	v_fmac_f32_e32 v24, v26, v23
	v_sub_f32_e32 v2, v2, v25
	v_sub_f32_e32 v3, v3, v24
	s_branch .LBB49_526
.LBB49_535:
	s_and_saveexec_b64 s[16:17], s[14:15]
; %bb.536:
	v_lshlrev_b32_e32 v18, 3, v18
	v_lshl_or_b32 v18, v19, 9, v18
	ds_write_b64 v18, v[2:3] offset:16384
; %bb.537:
	s_or_b64 exec, exec, s[16:17]
	s_waitcnt lgkmcnt(0)
	s_barrier
	s_barrier
	s_and_saveexec_b64 s[14:15], vcc
	s_cbranch_execz .LBB49_539
; %bb.538:
	s_mov_b64 s[16:17], 0x3f800000
	v_mov_b32_e32 v2, s16
	v_mov_b32_e32 v3, s17
	s_movk_i32 s16, 0x3800
	v_add_u32_e64 v18, s16, 0
	ds_write2_b64 v18, v[2:3], v[2:3] offset0:158 offset1:223
.LBB49_539:
	s_or_b64 exec, exec, s[14:15]
	v_mov_b32_e32 v2, 0
	v_mov_b32_e32 v3, 0
	s_waitcnt lgkmcnt(0)
	s_barrier
	buffer_wbinvl1_vol
	s_and_saveexec_b64 s[16:17], s[6:7]
	s_cbranch_execz .LBB49_543
; %bb.540:
	v_lshlrev_b32_e32 v2, 3, v4
	v_lshlrev_b32_e32 v18, 9, v5
	ds_read_b64 v[2:3], v2 offset:15584
	ds_read_b64 v[18:19], v18 offset:15600
	v_cmp_gt_u32_e64 s[14:15], 2, v8
	s_waitcnt lgkmcnt(0)
	v_mul_f32_e32 v20, v19, v3
	v_mul_f32_e32 v3, v18, v3
	v_fma_f32 v18, v18, v2, -v20
	v_fmac_f32_e32 v3, v19, v2
	v_add_f32_e32 v2, 0, v18
	v_add_f32_e32 v3, 0, v3
	s_and_saveexec_b64 s[20:21], s[14:15]
	s_cbranch_execz .LBB49_542
; %bb.541:
	v_lshlrev_b32_e32 v18, 3, v0
	v_mov_b32_e32 v20, 0
	ds_read_b64 v[18:19], v18 offset:16096
	ds_read_b64 v[20:21], v20 offset:16120
	s_waitcnt lgkmcnt(0)
	v_mul_f32_e32 v22, v21, v19
	v_mul_f32_e32 v19, v20, v19
	v_fma_f32 v20, v20, v18, -v22
	v_fmac_f32_e32 v19, v21, v18
	v_add_f32_e32 v2, v2, v20
	v_add_f32_e32 v3, v3, v19
.LBB49_542:
	s_or_b64 exec, exec, s[20:21]
.LBB49_543:
	s_or_b64 exec, exec, s[16:17]
	s_and_saveexec_b64 s[14:15], s[36:37]
; %bb.544:
	v_xor_b32_e32 v19, 0x80000000, v3
	v_xor_b32_e32 v18, 0x80000000, v2
	ds_write_b64 v6, v[18:19]
; %bb.545:
	s_or_b64 exec, exec, s[14:15]
	s_waitcnt lgkmcnt(0)
	s_barrier
	s_and_saveexec_b64 s[14:15], s[34:35]
	s_cbranch_execz .LBB49_547
; %bb.546:
	v_mov_b32_e32 v18, 0
	ds_read_b64 v[18:19], v18 offset:15072
	ds_read_b64 v[20:21], v6
	s_waitcnt lgkmcnt(0)
	v_mul_f32_e32 v22, v20, v18
	v_mul_f32_e32 v20, v20, v19
	v_fmac_f32_e32 v20, v21, v18
	v_fma_f32 v18, v21, v19, -v22
	v_add_f32_e32 v2, v2, v18
	v_sub_f32_e32 v3, v3, v20
.LBB49_547:
	s_or_b64 exec, exec, s[14:15]
	s_barrier
	s_and_saveexec_b64 s[14:15], s[34:35]
; %bb.548:
	v_xor_b32_e32 v19, 0x80000000, v3
	v_xor_b32_e32 v18, 0x80000000, v2
	ds_write_b64 v6, v[18:19]
; %bb.549:
	s_or_b64 exec, exec, s[14:15]
	s_waitcnt lgkmcnt(0)
	s_barrier
	s_barrier
	s_and_saveexec_b64 s[14:15], s[6:7]
; %bb.550:
	v_lshlrev_b32_e32 v18, 3, v4
	v_lshl_or_b32 v18, v5, 9, v18
	ds_write_b64 v18, v[2:3] offset:15584
; %bb.551:
	s_or_b64 exec, exec, s[14:15]
	s_waitcnt lgkmcnt(0)
	s_barrier
	s_barrier
	s_and_saveexec_b64 s[14:15], vcc
	s_cbranch_execz .LBB49_553
; %bb.552:
	s_mov_b64 s[16:17], 0x3f800000
	v_mov_b32_e32 v2, s16
	v_mov_b32_e32 v3, s17
	s_movk_i32 s16, 0x3800
	v_add_u32_e64 v18, s16, 0
	ds_write2_b64 v18, v[2:3], v[2:3] offset0:28 offset1:93
.LBB49_553:
	s_or_b64 exec, exec, s[14:15]
	v_mov_b32_e32 v3, 0
	v_mov_b32_e32 v2, 0
	s_waitcnt lgkmcnt(0)
	s_barrier
	buffer_wbinvl1_vol
	s_and_saveexec_b64 s[16:17], s[18:19]
	s_cbranch_execz .LBB49_559
; %bb.554:
	v_lshlrev_b32_e32 v18, 3, v9
	v_lshlrev_b32_e32 v19, 9, v10
	ds_read_b64 v[2:3], v18 offset:14528
	ds_read_b64 v[20:21], v19 offset:14560
	v_cmp_gt_u32_e64 s[14:15], 12, v8
	s_waitcnt lgkmcnt(0)
	v_mul_f32_e32 v22, v21, v3
	v_mul_f32_e32 v3, v20, v3
	v_fma_f32 v20, v20, v2, -v22
	v_fmac_f32_e32 v3, v21, v2
	v_add_f32_e32 v2, 0, v20
	v_add_f32_e32 v3, 0, v3
	s_and_saveexec_b64 s[20:21], s[14:15]
	s_cbranch_execnz .LBB49_1014
; %bb.555:
	s_or_b64 exec, exec, s[20:21]
	v_cmp_gt_u32_e64 s[14:15], 8, v8
	s_and_saveexec_b64 s[20:21], s[14:15]
	s_cbranch_execnz .LBB49_1015
.LBB49_556:
	s_or_b64 exec, exec, s[20:21]
	v_cmp_gt_u32_e64 s[14:15], 4, v8
	s_and_saveexec_b64 s[20:21], s[14:15]
	s_cbranch_execz .LBB49_558
.LBB49_557:
	v_lshlrev_b32_e32 v18, 3, v0
	v_mov_b32_e32 v20, 0
	ds_read_b64 v[18:19], v18 offset:16064
	ds_read_b64 v[20:21], v20 offset:16120
	s_waitcnt lgkmcnt(0)
	v_mul_f32_e32 v22, v21, v19
	v_mul_f32_e32 v19, v20, v19
	v_fma_f32 v20, v20, v18, -v22
	v_fmac_f32_e32 v19, v21, v18
	v_add_f32_e32 v2, v2, v20
	v_add_f32_e32 v3, v3, v19
.LBB49_558:
	s_or_b64 exec, exec, s[20:21]
.LBB49_559:
	s_or_b64 exec, exec, s[16:17]
	s_and_saveexec_b64 s[14:15], s[42:43]
; %bb.560:
	v_xor_b32_e32 v18, 0x80000000, v2
	v_xor_b32_e32 v19, 0x80000000, v3
	ds_write_b64 v11, v[18:19]
; %bb.561:
	s_or_b64 exec, exec, s[14:15]
	s_waitcnt lgkmcnt(0)
	s_barrier
	s_and_saveexec_b64 s[14:15], s[44:45]
	s_cbranch_execz .LBB49_563
; %bb.562:
	v_lshlrev_b32_e32 v18, 3, v9
	ds_read_b64 v[18:19], v18 offset:14016
	ds_read_b64 v[20:21], v11
	s_waitcnt lgkmcnt(0)
	v_mul_f32_e32 v22, v21, v19
	v_mul_f32_e32 v19, v20, v19
	v_fma_f32 v20, v20, v18, -v22
	v_fmac_f32_e32 v19, v21, v18
	v_sub_f32_e32 v2, v2, v20
	v_sub_f32_e32 v3, v3, v19
.LBB49_563:
	s_or_b64 exec, exec, s[14:15]
	s_barrier
	s_and_saveexec_b64 s[14:15], s[52:53]
; %bb.564:
	v_xor_b32_e32 v18, 0x80000000, v2
	v_xor_b32_e32 v19, 0x80000000, v3
	ds_write_b64 v11, v[18:19]
; %bb.565:
	s_or_b64 exec, exec, s[14:15]
	s_waitcnt lgkmcnt(0)
	s_barrier
	s_and_saveexec_b64 s[14:15], s[54:55]
	s_cbranch_execz .LBB49_567
; %bb.566:
	v_lshlrev_b32_e32 v18, 3, v9
	ds_read_b64 v[18:19], v18 offset:13504
	ds_read_b64 v[20:21], v11
	s_waitcnt lgkmcnt(0)
	v_mul_f32_e32 v22, v21, v19
	v_mul_f32_e32 v19, v20, v19
	v_fma_f32 v20, v20, v18, -v22
	v_fmac_f32_e32 v19, v21, v18
	v_sub_f32_e32 v2, v2, v20
	v_sub_f32_e32 v3, v3, v19
.LBB49_567:
	s_or_b64 exec, exec, s[14:15]
	s_barrier
	s_and_saveexec_b64 s[14:15], s[56:57]
; %bb.568:
	v_xor_b32_e32 v18, 0x80000000, v2
	v_xor_b32_e32 v19, 0x80000000, v3
	ds_write_b64 v11, v[18:19]
; %bb.569:
	s_or_b64 exec, exec, s[14:15]
	s_waitcnt lgkmcnt(0)
	s_barrier
	s_and_saveexec_b64 s[14:15], s[38:39]
	s_cbranch_execz .LBB49_571
; %bb.570:
	v_mov_b32_e32 v18, 0
	ds_read_b64 v[18:19], v18 offset:12992
	ds_read_b64 v[20:21], v11
	s_waitcnt lgkmcnt(0)
	v_mul_f32_e32 v22, v21, v19
	v_mul_f32_e32 v19, v20, v19
	v_fma_f32 v20, v20, v18, -v22
	v_fmac_f32_e32 v19, v21, v18
	v_sub_f32_e32 v2, v2, v20
	v_sub_f32_e32 v3, v3, v19
.LBB49_571:
	s_or_b64 exec, exec, s[14:15]
	s_barrier
	s_and_saveexec_b64 s[14:15], s[38:39]
; %bb.572:
	v_xor_b32_e32 v18, 0x80000000, v2
	v_xor_b32_e32 v19, 0x80000000, v3
	ds_write_b64 v11, v[18:19]
; %bb.573:
	s_or_b64 exec, exec, s[14:15]
	s_waitcnt lgkmcnt(0)
	s_barrier
	s_barrier
	s_and_saveexec_b64 s[14:15], s[18:19]
; %bb.574:
	v_lshlrev_b32_e32 v18, 3, v9
	v_lshl_or_b32 v18, v10, 9, v18
	ds_write_b64 v18, v[2:3] offset:14528
; %bb.575:
	s_or_b64 exec, exec, s[14:15]
	s_waitcnt lgkmcnt(0)
	s_barrier
	s_barrier
	s_and_saveexec_b64 s[14:15], vcc
	s_cbranch_execz .LBB49_577
; %bb.576:
	s_mov_b64 s[16:17], 0x3f800000
	v_mov_b32_e32 v2, s16
	v_mov_b32_e32 v3, s17
	s_movk_i32 s16, 0x3000
	v_add_u32_e64 v18, s16, 0
	ds_write2_b64 v18, v[2:3], v[2:3] offset0:154 offset1:219
.LBB49_577:
	s_or_b64 exec, exec, s[14:15]
	v_mov_b32_e32 v2, 0
	v_mov_b32_e32 v3, 0
	s_waitcnt lgkmcnt(0)
	s_barrier
	buffer_wbinvl1_vol
	s_and_saveexec_b64 s[16:17], s[6:7]
	s_cbranch_execz .LBB49_581
; %bb.578:
	v_lshlrev_b32_e32 v2, 3, v4
	v_lshlrev_b32_e32 v18, 9, v5
	ds_read_b64 v[2:3], v2 offset:13504
	ds_read_b64 v[18:19], v18 offset:13520
	v_cmp_gt_u32_e64 s[14:15], 2, v8
	s_waitcnt lgkmcnt(0)
	v_mul_f32_e32 v20, v19, v3
	v_mul_f32_e32 v3, v18, v3
	v_fma_f32 v18, v18, v2, -v20
	v_fmac_f32_e32 v3, v19, v2
	v_add_f32_e32 v2, 0, v18
	v_add_f32_e32 v3, 0, v3
	s_and_saveexec_b64 s[20:21], s[14:15]
	s_cbranch_execz .LBB49_580
; %bb.579:
	v_lshlrev_b32_e32 v18, 3, v0
	v_mov_b32_e32 v20, 0
	ds_read_b64 v[18:19], v18 offset:14016
	ds_read_b64 v[20:21], v20 offset:14040
	s_waitcnt lgkmcnt(0)
	v_mul_f32_e32 v22, v21, v19
	v_mul_f32_e32 v19, v20, v19
	v_fma_f32 v20, v20, v18, -v22
	v_fmac_f32_e32 v19, v21, v18
	v_add_f32_e32 v2, v2, v20
	v_add_f32_e32 v3, v3, v19
.LBB49_580:
	s_or_b64 exec, exec, s[20:21]
.LBB49_581:
	s_or_b64 exec, exec, s[16:17]
	s_and_saveexec_b64 s[14:15], s[36:37]
; %bb.582:
	v_xor_b32_e32 v19, 0x80000000, v3
	v_xor_b32_e32 v18, 0x80000000, v2
	ds_write_b64 v6, v[18:19]
; %bb.583:
	s_or_b64 exec, exec, s[14:15]
	s_waitcnt lgkmcnt(0)
	s_barrier
	s_and_saveexec_b64 s[14:15], s[34:35]
	s_cbranch_execz .LBB49_585
; %bb.584:
	v_mov_b32_e32 v18, 0
	ds_read_b64 v[18:19], v18 offset:12992
	ds_read_b64 v[20:21], v6
	s_waitcnt lgkmcnt(0)
	v_mul_f32_e32 v22, v20, v18
	v_mul_f32_e32 v20, v20, v19
	v_fmac_f32_e32 v20, v21, v18
	v_fma_f32 v18, v21, v19, -v22
	v_add_f32_e32 v2, v2, v18
	v_sub_f32_e32 v3, v3, v20
.LBB49_585:
	s_or_b64 exec, exec, s[14:15]
	s_barrier
	s_and_saveexec_b64 s[14:15], s[34:35]
; %bb.586:
	v_xor_b32_e32 v19, 0x80000000, v3
	v_xor_b32_e32 v18, 0x80000000, v2
	ds_write_b64 v6, v[18:19]
; %bb.587:
	s_or_b64 exec, exec, s[14:15]
	s_waitcnt lgkmcnt(0)
	s_barrier
	s_barrier
	s_and_saveexec_b64 s[14:15], s[6:7]
; %bb.588:
	v_lshlrev_b32_e32 v18, 3, v4
	v_lshl_or_b32 v18, v5, 9, v18
	ds_write_b64 v18, v[2:3] offset:13504
; %bb.589:
	s_or_b64 exec, exec, s[14:15]
	s_waitcnt lgkmcnt(0)
	s_barrier
	s_barrier
	s_and_saveexec_b64 s[14:15], vcc
	s_cbranch_execz .LBB49_591
; %bb.590:
	s_mov_b64 s[16:17], 0x3f800000
	v_mov_b32_e32 v2, s16
	v_mov_b32_e32 v3, s17
	s_movk_i32 s16, 0x3000
	v_add_u32_e64 v18, s16, 0
	ds_write2_b64 v18, v[2:3], v[2:3] offset0:24 offset1:89
.LBB49_591:
	s_or_b64 exec, exec, s[14:15]
	v_mov_b32_e32 v3, 0
	v_mov_b32_e32 v2, 0
	s_waitcnt lgkmcnt(0)
	s_barrier
	buffer_wbinvl1_vol
	s_and_saveexec_b64 s[16:17], s[10:11]
	s_cbranch_execz .LBB49_601
; %bb.592:
	v_lshlrev_b32_e32 v18, 3, v12
	v_lshlrev_b32_e32 v19, 9, v13
	ds_read_b64 v[2:3], v18 offset:12416
	ds_read_b64 v[20:21], v19 offset:12480
	v_cmp_gt_u32_e64 s[14:15], 56, v8
	s_waitcnt lgkmcnt(0)
	v_mul_f32_e32 v22, v21, v3
	v_mul_f32_e32 v3, v20, v3
	v_fma_f32 v20, v20, v2, -v22
	v_fmac_f32_e32 v3, v21, v2
	v_add_f32_e32 v2, 0, v20
	v_add_f32_e32 v3, 0, v3
	s_and_saveexec_b64 s[20:21], s[14:15]
	s_cbranch_execnz .LBB49_1016
; %bb.593:
	s_or_b64 exec, exec, s[20:21]
	v_cmp_gt_u32_e64 s[14:15], 48, v8
	s_and_saveexec_b64 s[20:21], s[14:15]
	s_cbranch_execnz .LBB49_1017
.LBB49_594:
	s_or_b64 exec, exec, s[20:21]
	v_cmp_gt_u32_e64 s[14:15], 40, v8
	s_and_saveexec_b64 s[20:21], s[14:15]
	s_cbranch_execnz .LBB49_1018
.LBB49_595:
	s_or_b64 exec, exec, s[20:21]
	v_cmp_gt_u32_e64 s[14:15], 32, v8
	s_and_saveexec_b64 s[20:21], s[14:15]
	s_cbranch_execnz .LBB49_1019
.LBB49_596:
	s_or_b64 exec, exec, s[20:21]
	v_cmp_gt_u32_e64 s[14:15], 24, v8
	s_and_saveexec_b64 s[20:21], s[14:15]
	s_cbranch_execnz .LBB49_1020
.LBB49_597:
	s_or_b64 exec, exec, s[20:21]
	s_and_saveexec_b64 s[14:15], s[18:19]
	s_cbranch_execnz .LBB49_1021
.LBB49_598:
	s_or_b64 exec, exec, s[14:15]
	v_cmp_gt_u32_e64 s[14:15], 8, v8
	s_and_saveexec_b64 s[20:21], s[14:15]
	s_cbranch_execz .LBB49_600
.LBB49_599:
	v_lshlrev_b32_e32 v18, 3, v0
	v_mov_b32_e32 v20, 0
	ds_read_b64 v[18:19], v18 offset:16000
	ds_read_b64 v[20:21], v20 offset:16120
	s_waitcnt lgkmcnt(0)
	v_mul_f32_e32 v22, v21, v19
	v_mul_f32_e32 v19, v20, v19
	v_fma_f32 v20, v20, v18, -v22
	v_fmac_f32_e32 v19, v21, v18
	v_add_f32_e32 v2, v2, v20
	v_add_f32_e32 v3, v3, v19
.LBB49_600:
	s_or_b64 exec, exec, s[20:21]
.LBB49_601:
	s_or_b64 exec, exec, s[16:17]
	s_and_saveexec_b64 s[14:15], s[60:61]
; %bb.602:
	v_xor_b32_e32 v19, 0x80000000, v3
	v_xor_b32_e32 v18, 0x80000000, v2
	ds_write_b64 v14, v[18:19]
; %bb.603:
	s_or_b64 exec, exec, s[14:15]
	s_waitcnt lgkmcnt(0)
	s_barrier
	s_and_saveexec_b64 s[14:15], s[62:63]
	s_cbranch_execz .LBB49_605
; %bb.604:
	v_lshlrev_b32_e32 v18, 3, v12
	ds_read_b64 v[18:19], v18 offset:11904
	ds_read_b64 v[20:21], v14
	s_waitcnt lgkmcnt(0)
	v_mul_f32_e32 v22, v21, v19
	v_mul_f32_e32 v19, v20, v19
	v_fma_f32 v20, v20, v18, -v22
	v_fmac_f32_e32 v19, v21, v18
	v_sub_f32_e32 v2, v2, v20
	v_sub_f32_e32 v3, v3, v19
.LBB49_605:
	s_or_b64 exec, exec, s[14:15]
	s_barrier
	s_and_saveexec_b64 s[14:15], s[64:65]
; %bb.606:
	v_xor_b32_e32 v19, 0x80000000, v3
	v_xor_b32_e32 v18, 0x80000000, v2
	ds_write_b64 v14, v[18:19]
; %bb.607:
	s_or_b64 exec, exec, s[14:15]
	s_waitcnt lgkmcnt(0)
	s_barrier
	s_and_saveexec_b64 s[14:15], s[66:67]
	s_cbranch_execz .LBB49_609
; %bb.608:
	v_lshlrev_b32_e32 v18, 3, v12
	ds_read_b64 v[18:19], v18 offset:11392
	ds_read_b64 v[20:21], v14
	s_waitcnt lgkmcnt(0)
	v_mul_f32_e32 v22, v21, v19
	v_mul_f32_e32 v19, v20, v19
	v_fma_f32 v20, v20, v18, -v22
	v_fmac_f32_e32 v19, v21, v18
	v_sub_f32_e32 v2, v2, v20
	v_sub_f32_e32 v3, v3, v19
.LBB49_609:
	s_or_b64 exec, exec, s[14:15]
	s_barrier
	;; [unrolled: 25-line block ×6, first 2 shown]
	s_and_saveexec_b64 s[14:15], s[84:85]
; %bb.626:
	v_xor_b32_e32 v19, 0x80000000, v3
	v_xor_b32_e32 v18, 0x80000000, v2
	ds_write_b64 v14, v[18:19]
; %bb.627:
	s_or_b64 exec, exec, s[14:15]
	s_waitcnt lgkmcnt(0)
	s_barrier
	s_and_saveexec_b64 s[14:15], s[58:59]
	s_cbranch_execz .LBB49_629
; %bb.628:
	v_mov_b32_e32 v18, 0
	ds_read_b64 v[18:19], v18 offset:8832
	ds_read_b64 v[20:21], v14
	s_waitcnt lgkmcnt(0)
	v_mul_f32_e32 v22, v21, v19
	v_mul_f32_e32 v19, v20, v19
	v_fma_f32 v20, v20, v18, -v22
	v_fmac_f32_e32 v19, v21, v18
	v_sub_f32_e32 v2, v2, v20
	v_sub_f32_e32 v3, v3, v19
.LBB49_629:
	s_or_b64 exec, exec, s[14:15]
	s_barrier
	s_and_saveexec_b64 s[14:15], s[58:59]
; %bb.630:
	v_xor_b32_e32 v19, 0x80000000, v3
	v_xor_b32_e32 v18, 0x80000000, v2
	ds_write_b64 v14, v[18:19]
; %bb.631:
	s_or_b64 exec, exec, s[14:15]
	s_waitcnt lgkmcnt(0)
	s_barrier
	s_barrier
	s_and_saveexec_b64 s[14:15], s[10:11]
; %bb.632:
	v_lshlrev_b32_e32 v18, 3, v12
	v_lshl_or_b32 v18, v13, 9, v18
	ds_write_b64 v18, v[2:3] offset:12416
; %bb.633:
	s_or_b64 exec, exec, s[14:15]
	s_waitcnt lgkmcnt(0)
	s_barrier
	s_barrier
	s_and_saveexec_b64 s[14:15], vcc
	s_cbranch_execz .LBB49_635
; %bb.634:
	s_mov_b64 s[16:17], 0x3f800000
	v_mov_b32_e32 v2, s16
	v_mov_b32_e32 v3, s17
	s_movk_i32 s16, 0x2800
	v_add_u32_e64 v18, s16, 0
	ds_write2_b64 v18, v[2:3], v[2:3] offset0:150 offset1:215
.LBB49_635:
	s_or_b64 exec, exec, s[14:15]
	v_mov_b32_e32 v2, 0
	v_mov_b32_e32 v3, 0
	s_waitcnt lgkmcnt(0)
	s_barrier
	buffer_wbinvl1_vol
	s_and_saveexec_b64 s[16:17], s[6:7]
	s_cbranch_execz .LBB49_639
; %bb.636:
	v_lshlrev_b32_e32 v2, 3, v4
	v_lshlrev_b32_e32 v18, 9, v5
	ds_read_b64 v[2:3], v2 offset:11424
	ds_read_b64 v[18:19], v18 offset:11440
	v_cmp_gt_u32_e64 s[14:15], 2, v8
	s_waitcnt lgkmcnt(0)
	v_mul_f32_e32 v20, v19, v3
	v_mul_f32_e32 v3, v18, v3
	v_fma_f32 v18, v18, v2, -v20
	v_fmac_f32_e32 v3, v19, v2
	v_add_f32_e32 v2, 0, v18
	v_add_f32_e32 v3, 0, v3
	s_and_saveexec_b64 s[20:21], s[14:15]
	s_cbranch_execz .LBB49_638
; %bb.637:
	v_lshlrev_b32_e32 v18, 3, v0
	v_mov_b32_e32 v20, 0
	ds_read_b64 v[18:19], v18 offset:11936
	ds_read_b64 v[20:21], v20 offset:11960
	s_waitcnt lgkmcnt(0)
	v_mul_f32_e32 v22, v21, v19
	v_mul_f32_e32 v19, v20, v19
	v_fma_f32 v20, v20, v18, -v22
	v_fmac_f32_e32 v19, v21, v18
	v_add_f32_e32 v2, v2, v20
	v_add_f32_e32 v3, v3, v19
.LBB49_638:
	s_or_b64 exec, exec, s[20:21]
.LBB49_639:
	s_or_b64 exec, exec, s[16:17]
	s_and_saveexec_b64 s[14:15], s[36:37]
; %bb.640:
	v_xor_b32_e32 v19, 0x80000000, v3
	v_xor_b32_e32 v18, 0x80000000, v2
	ds_write_b64 v6, v[18:19]
; %bb.641:
	s_or_b64 exec, exec, s[14:15]
	s_waitcnt lgkmcnt(0)
	s_barrier
	s_and_saveexec_b64 s[14:15], s[34:35]
	s_cbranch_execz .LBB49_643
; %bb.642:
	v_mov_b32_e32 v18, 0
	ds_read_b64 v[18:19], v18 offset:10912
	ds_read_b64 v[20:21], v6
	s_waitcnt lgkmcnt(0)
	v_mul_f32_e32 v22, v20, v18
	v_mul_f32_e32 v20, v20, v19
	v_fmac_f32_e32 v20, v21, v18
	v_fma_f32 v18, v21, v19, -v22
	v_add_f32_e32 v2, v2, v18
	v_sub_f32_e32 v3, v3, v20
.LBB49_643:
	s_or_b64 exec, exec, s[14:15]
	s_barrier
	s_and_saveexec_b64 s[14:15], s[34:35]
; %bb.644:
	v_xor_b32_e32 v19, 0x80000000, v3
	v_xor_b32_e32 v18, 0x80000000, v2
	ds_write_b64 v6, v[18:19]
; %bb.645:
	s_or_b64 exec, exec, s[14:15]
	s_waitcnt lgkmcnt(0)
	s_barrier
	s_barrier
	s_and_saveexec_b64 s[14:15], s[6:7]
; %bb.646:
	v_lshlrev_b32_e32 v18, 3, v4
	v_lshl_or_b32 v18, v5, 9, v18
	ds_write_b64 v18, v[2:3] offset:11424
; %bb.647:
	s_or_b64 exec, exec, s[14:15]
	s_waitcnt lgkmcnt(0)
	s_barrier
	s_barrier
	s_and_saveexec_b64 s[14:15], vcc
	s_cbranch_execz .LBB49_649
; %bb.648:
	s_mov_b64 s[16:17], 0x3f800000
	v_mov_b32_e32 v2, s16
	v_mov_b32_e32 v3, s17
	s_movk_i32 s16, 0x2800
	v_add_u32_e64 v18, s16, 0
	ds_write2_b64 v18, v[2:3], v[2:3] offset0:20 offset1:85
.LBB49_649:
	s_or_b64 exec, exec, s[14:15]
	v_mov_b32_e32 v3, 0
	v_mov_b32_e32 v2, 0
	s_waitcnt lgkmcnt(0)
	s_barrier
	buffer_wbinvl1_vol
	s_and_saveexec_b64 s[16:17], s[18:19]
	s_cbranch_execz .LBB49_655
; %bb.650:
	v_lshlrev_b32_e32 v18, 3, v9
	v_lshlrev_b32_e32 v19, 9, v10
	ds_read_b64 v[2:3], v18 offset:10368
	ds_read_b64 v[20:21], v19 offset:10400
	v_cmp_gt_u32_e64 s[14:15], 12, v8
	s_waitcnt lgkmcnt(0)
	v_mul_f32_e32 v22, v21, v3
	v_mul_f32_e32 v3, v20, v3
	v_fma_f32 v20, v20, v2, -v22
	v_fmac_f32_e32 v3, v21, v2
	v_add_f32_e32 v2, 0, v20
	v_add_f32_e32 v3, 0, v3
	s_and_saveexec_b64 s[20:21], s[14:15]
	s_cbranch_execnz .LBB49_1022
; %bb.651:
	s_or_b64 exec, exec, s[20:21]
	v_cmp_gt_u32_e64 s[14:15], 8, v8
	s_and_saveexec_b64 s[20:21], s[14:15]
	s_cbranch_execnz .LBB49_1023
.LBB49_652:
	s_or_b64 exec, exec, s[20:21]
	v_cmp_gt_u32_e64 s[14:15], 4, v8
	s_and_saveexec_b64 s[20:21], s[14:15]
	s_cbranch_execz .LBB49_654
.LBB49_653:
	v_lshlrev_b32_e32 v18, 3, v0
	v_mov_b32_e32 v20, 0
	ds_read_b64 v[18:19], v18 offset:11904
	ds_read_b64 v[20:21], v20 offset:11960
	s_waitcnt lgkmcnt(0)
	v_mul_f32_e32 v22, v21, v19
	v_mul_f32_e32 v19, v20, v19
	v_fma_f32 v20, v20, v18, -v22
	v_fmac_f32_e32 v19, v21, v18
	v_add_f32_e32 v2, v2, v20
	v_add_f32_e32 v3, v3, v19
.LBB49_654:
	s_or_b64 exec, exec, s[20:21]
.LBB49_655:
	s_or_b64 exec, exec, s[16:17]
	s_and_saveexec_b64 s[14:15], s[42:43]
; %bb.656:
	v_xor_b32_e32 v18, 0x80000000, v2
	v_xor_b32_e32 v19, 0x80000000, v3
	ds_write_b64 v11, v[18:19]
; %bb.657:
	s_or_b64 exec, exec, s[14:15]
	s_waitcnt lgkmcnt(0)
	s_barrier
	s_and_saveexec_b64 s[14:15], s[44:45]
	s_cbranch_execz .LBB49_659
; %bb.658:
	v_lshlrev_b32_e32 v18, 3, v9
	ds_read_b64 v[18:19], v18 offset:9856
	ds_read_b64 v[20:21], v11
	s_waitcnt lgkmcnt(0)
	v_mul_f32_e32 v22, v21, v19
	v_mul_f32_e32 v19, v20, v19
	v_fma_f32 v20, v20, v18, -v22
	v_fmac_f32_e32 v19, v21, v18
	v_sub_f32_e32 v2, v2, v20
	v_sub_f32_e32 v3, v3, v19
.LBB49_659:
	s_or_b64 exec, exec, s[14:15]
	s_barrier
	s_and_saveexec_b64 s[14:15], s[52:53]
; %bb.660:
	v_xor_b32_e32 v18, 0x80000000, v2
	v_xor_b32_e32 v19, 0x80000000, v3
	ds_write_b64 v11, v[18:19]
; %bb.661:
	s_or_b64 exec, exec, s[14:15]
	s_waitcnt lgkmcnt(0)
	s_barrier
	s_and_saveexec_b64 s[14:15], s[54:55]
	s_cbranch_execz .LBB49_663
; %bb.662:
	v_lshlrev_b32_e32 v18, 3, v9
	ds_read_b64 v[18:19], v18 offset:9344
	ds_read_b64 v[20:21], v11
	s_waitcnt lgkmcnt(0)
	v_mul_f32_e32 v22, v21, v19
	v_mul_f32_e32 v19, v20, v19
	v_fma_f32 v20, v20, v18, -v22
	v_fmac_f32_e32 v19, v21, v18
	v_sub_f32_e32 v2, v2, v20
	v_sub_f32_e32 v3, v3, v19
.LBB49_663:
	s_or_b64 exec, exec, s[14:15]
	s_barrier
	s_and_saveexec_b64 s[14:15], s[56:57]
; %bb.664:
	v_xor_b32_e32 v18, 0x80000000, v2
	v_xor_b32_e32 v19, 0x80000000, v3
	ds_write_b64 v11, v[18:19]
; %bb.665:
	s_or_b64 exec, exec, s[14:15]
	s_waitcnt lgkmcnt(0)
	s_barrier
	s_and_saveexec_b64 s[14:15], s[38:39]
	s_cbranch_execz .LBB49_667
; %bb.666:
	v_mov_b32_e32 v18, 0
	ds_read_b64 v[18:19], v18 offset:8832
	ds_read_b64 v[20:21], v11
	s_waitcnt lgkmcnt(0)
	v_mul_f32_e32 v22, v21, v19
	v_mul_f32_e32 v19, v20, v19
	v_fma_f32 v20, v20, v18, -v22
	v_fmac_f32_e32 v19, v21, v18
	v_sub_f32_e32 v2, v2, v20
	v_sub_f32_e32 v3, v3, v19
.LBB49_667:
	s_or_b64 exec, exec, s[14:15]
	s_barrier
	s_and_saveexec_b64 s[14:15], s[38:39]
; %bb.668:
	v_xor_b32_e32 v18, 0x80000000, v2
	v_xor_b32_e32 v19, 0x80000000, v3
	ds_write_b64 v11, v[18:19]
; %bb.669:
	s_or_b64 exec, exec, s[14:15]
	s_waitcnt lgkmcnt(0)
	s_barrier
	s_barrier
	s_and_saveexec_b64 s[14:15], s[18:19]
; %bb.670:
	v_lshlrev_b32_e32 v18, 3, v9
	v_lshl_or_b32 v18, v10, 9, v18
	ds_write_b64 v18, v[2:3] offset:10368
; %bb.671:
	s_or_b64 exec, exec, s[14:15]
	s_waitcnt lgkmcnt(0)
	s_barrier
	s_barrier
	s_and_saveexec_b64 s[14:15], vcc
	s_cbranch_execz .LBB49_673
; %bb.672:
	s_mov_b64 s[16:17], 0x3f800000
	v_mov_b32_e32 v2, s16
	v_mov_b32_e32 v3, s17
	s_movk_i32 s16, 0x2000
	v_add_u32_e64 v18, s16, 0
	ds_write2_b64 v18, v[2:3], v[2:3] offset0:146 offset1:211
.LBB49_673:
	s_or_b64 exec, exec, s[14:15]
	v_mov_b32_e32 v2, 0
	v_mov_b32_e32 v3, 0
	s_waitcnt lgkmcnt(0)
	s_barrier
	buffer_wbinvl1_vol
	s_and_saveexec_b64 s[16:17], s[6:7]
	s_cbranch_execz .LBB49_677
; %bb.674:
	v_lshlrev_b32_e32 v2, 3, v4
	v_lshlrev_b32_e32 v18, 9, v5
	ds_read_b64 v[2:3], v2 offset:9344
	ds_read_b64 v[18:19], v18 offset:9360
	v_cmp_gt_u32_e64 s[14:15], 2, v8
	s_waitcnt lgkmcnt(0)
	v_mul_f32_e32 v20, v19, v3
	v_mul_f32_e32 v3, v18, v3
	v_fma_f32 v18, v18, v2, -v20
	v_fmac_f32_e32 v3, v19, v2
	v_add_f32_e32 v2, 0, v18
	v_add_f32_e32 v3, 0, v3
	s_and_saveexec_b64 s[20:21], s[14:15]
	s_cbranch_execz .LBB49_676
; %bb.675:
	v_lshlrev_b32_e32 v18, 3, v0
	v_mov_b32_e32 v20, 0
	ds_read_b64 v[18:19], v18 offset:9856
	ds_read_b64 v[20:21], v20 offset:9880
	s_waitcnt lgkmcnt(0)
	v_mul_f32_e32 v22, v21, v19
	v_mul_f32_e32 v19, v20, v19
	v_fma_f32 v20, v20, v18, -v22
	v_fmac_f32_e32 v19, v21, v18
	v_add_f32_e32 v2, v2, v20
	v_add_f32_e32 v3, v3, v19
.LBB49_676:
	s_or_b64 exec, exec, s[20:21]
.LBB49_677:
	s_or_b64 exec, exec, s[16:17]
	s_and_saveexec_b64 s[14:15], s[36:37]
; %bb.678:
	v_xor_b32_e32 v19, 0x80000000, v3
	v_xor_b32_e32 v18, 0x80000000, v2
	ds_write_b64 v6, v[18:19]
; %bb.679:
	s_or_b64 exec, exec, s[14:15]
	s_waitcnt lgkmcnt(0)
	s_barrier
	s_and_saveexec_b64 s[14:15], s[34:35]
	s_cbranch_execz .LBB49_681
; %bb.680:
	v_mov_b32_e32 v18, 0
	ds_read_b64 v[18:19], v18 offset:8832
	ds_read_b64 v[20:21], v6
	s_waitcnt lgkmcnt(0)
	v_mul_f32_e32 v22, v20, v18
	v_mul_f32_e32 v20, v20, v19
	v_fmac_f32_e32 v20, v21, v18
	v_fma_f32 v18, v21, v19, -v22
	v_add_f32_e32 v2, v2, v18
	v_sub_f32_e32 v3, v3, v20
.LBB49_681:
	s_or_b64 exec, exec, s[14:15]
	s_barrier
	s_and_saveexec_b64 s[14:15], s[34:35]
; %bb.682:
	v_xor_b32_e32 v19, 0x80000000, v3
	v_xor_b32_e32 v18, 0x80000000, v2
	ds_write_b64 v6, v[18:19]
; %bb.683:
	s_or_b64 exec, exec, s[14:15]
	s_waitcnt lgkmcnt(0)
	s_barrier
	s_barrier
	s_and_saveexec_b64 s[14:15], s[6:7]
; %bb.684:
	v_lshlrev_b32_e32 v18, 3, v4
	v_lshl_or_b32 v18, v5, 9, v18
	ds_write_b64 v18, v[2:3] offset:9344
; %bb.685:
	s_or_b64 exec, exec, s[14:15]
	s_waitcnt lgkmcnt(0)
	s_barrier
	s_barrier
	s_and_saveexec_b64 s[14:15], vcc
	s_cbranch_execz .LBB49_687
; %bb.686:
	s_mov_b64 s[16:17], 0x3f800000
	v_mov_b32_e32 v2, s16
	v_mov_b32_e32 v3, s17
	s_movk_i32 s16, 0x2000
	v_add_u32_e64 v18, s16, 0
	ds_write2_b64 v18, v[2:3], v[2:3] offset0:16 offset1:81
.LBB49_687:
	s_or_b64 exec, exec, s[14:15]
	v_mov_b32_e32 v3, 0
	v_mov_b32_e32 v2, 0
	s_waitcnt lgkmcnt(0)
	s_barrier
	buffer_wbinvl1_vol
	s_and_saveexec_b64 s[16:17], s[12:13]
	s_cbranch_execz .LBB49_715
; %bb.688:
	v_lshlrev_b32_e32 v18, 3, v15
	v_lshlrev_b32_e32 v19, 9, v16
	ds_read_b64 v[2:3], v18 offset:8192
	ds_read_b64 v[20:21], v19 offset:8320
	s_movk_i32 s14, 0xf0
	v_cmp_gt_u32_e64 s[14:15], s14, v8
	s_waitcnt lgkmcnt(0)
	v_mul_f32_e32 v22, v21, v3
	v_mul_f32_e32 v3, v20, v3
	v_fma_f32 v20, v20, v2, -v22
	v_fmac_f32_e32 v3, v21, v2
	v_add_f32_e32 v2, 0, v20
	v_add_f32_e32 v3, 0, v3
	s_and_saveexec_b64 s[20:21], s[14:15]
	s_cbranch_execz .LBB49_690
; %bb.689:
	ds_read_b64 v[20:21], v18 offset:8704
	ds_read_b64 v[22:23], v19 offset:8328
	s_waitcnt lgkmcnt(0)
	v_mul_f32_e32 v24, v23, v21
	v_mul_f32_e32 v21, v22, v21
	v_fma_f32 v22, v22, v20, -v24
	v_fmac_f32_e32 v21, v23, v20
	v_add_f32_e32 v2, v2, v22
	v_add_f32_e32 v3, v3, v21
.LBB49_690:
	s_or_b64 exec, exec, s[20:21]
	s_movk_i32 s14, 0xe0
	v_cmp_gt_u32_e64 s[14:15], s14, v8
	s_and_saveexec_b64 s[20:21], s[14:15]
	s_cbranch_execz .LBB49_692
; %bb.691:
	ds_read_b64 v[20:21], v18 offset:9216
	ds_read_b64 v[22:23], v19 offset:8336
	s_waitcnt lgkmcnt(0)
	v_mul_f32_e32 v24, v23, v21
	v_mul_f32_e32 v21, v22, v21
	v_fma_f32 v22, v22, v20, -v24
	v_fmac_f32_e32 v21, v23, v20
	v_add_f32_e32 v2, v2, v22
	v_add_f32_e32 v3, v3, v21
.LBB49_692:
	s_or_b64 exec, exec, s[20:21]
	s_movk_i32 s14, 0xd0
	v_cmp_gt_u32_e64 s[14:15], s14, v8
	;; [unrolled: 16-line block ×10, first 2 shown]
	s_and_saveexec_b64 s[20:21], s[14:15]
	s_cbranch_execnz .LBB49_1024
; %bb.709:
	s_or_b64 exec, exec, s[20:21]
	s_and_saveexec_b64 s[14:15], s[10:11]
	s_cbranch_execnz .LBB49_1025
.LBB49_710:
	s_or_b64 exec, exec, s[14:15]
	v_cmp_gt_u32_e64 s[14:15], 48, v8
	s_and_saveexec_b64 s[20:21], s[14:15]
	s_cbranch_execnz .LBB49_1026
.LBB49_711:
	s_or_b64 exec, exec, s[20:21]
	v_cmp_gt_u32_e64 s[14:15], 32, v8
	s_and_saveexec_b64 s[20:21], s[14:15]
	s_cbranch_execnz .LBB49_1027
.LBB49_712:
	s_or_b64 exec, exec, s[20:21]
	v_cmp_gt_u32_e64 s[14:15], 16, v8
	s_and_saveexec_b64 s[20:21], s[14:15]
	s_cbranch_execz .LBB49_714
.LBB49_713:
	v_lshlrev_b32_e32 v18, 3, v0
	v_mov_b32_e32 v20, 0
	ds_read_b64 v[18:19], v18 offset:15872
	ds_read_b64 v[20:21], v20 offset:16120
	s_waitcnt lgkmcnt(0)
	v_mul_f32_e32 v22, v21, v19
	v_mul_f32_e32 v19, v20, v19
	v_fma_f32 v20, v20, v18, -v22
	v_fmac_f32_e32 v19, v21, v18
	v_add_f32_e32 v2, v2, v20
	v_add_f32_e32 v3, v3, v19
.LBB49_714:
	s_or_b64 exec, exec, s[20:21]
.LBB49_715:
	s_or_b64 exec, exec, s[16:17]
	s_mov_b64 s[14:15], exec
	v_readlane_b32 s16, v28, 0
	v_readlane_b32 s17, v28, 1
	s_and_b64 s[16:17], s[14:15], s[16:17]
	s_mov_b64 exec, s[16:17]
; %bb.716:
	v_xor_b32_e32 v18, 0x80000000, v2
	v_xor_b32_e32 v19, 0x80000000, v3
	ds_write_b64 v17, v[18:19]
; %bb.717:
	s_or_b64 exec, exec, s[14:15]
	s_waitcnt lgkmcnt(0)
	s_barrier
	s_mov_b64 s[14:15], exec
	v_readlane_b32 s16, v28, 2
	v_readlane_b32 s17, v28, 3
	s_and_b64 s[16:17], s[14:15], s[16:17]
	s_mov_b64 exec, s[16:17]
	s_cbranch_execz .LBB49_719
; %bb.718:
	v_lshlrev_b32_e32 v18, 3, v15
	ds_read_b64 v[18:19], v18 offset:7680
	ds_read_b64 v[20:21], v17
	s_waitcnt lgkmcnt(0)
	v_mul_f32_e32 v22, v21, v19
	v_mul_f32_e32 v19, v20, v19
	v_fma_f32 v20, v20, v18, -v22
	v_fmac_f32_e32 v19, v21, v18
	v_sub_f32_e32 v2, v2, v20
	v_sub_f32_e32 v3, v3, v19
.LBB49_719:
	s_or_b64 exec, exec, s[14:15]
	s_barrier
	s_mov_b64 s[14:15], exec
	v_readlane_b32 s16, v28, 4
	v_readlane_b32 s17, v28, 5
	s_and_b64 s[16:17], s[14:15], s[16:17]
	s_mov_b64 exec, s[16:17]
; %bb.720:
	v_xor_b32_e32 v18, 0x80000000, v2
	v_xor_b32_e32 v19, 0x80000000, v3
	ds_write_b64 v17, v[18:19]
; %bb.721:
	s_or_b64 exec, exec, s[14:15]
	s_waitcnt lgkmcnt(0)
	s_barrier
	s_mov_b64 s[14:15], exec
	v_readlane_b32 s16, v28, 6
	v_readlane_b32 s17, v28, 7
	s_and_b64 s[16:17], s[14:15], s[16:17]
	s_mov_b64 exec, s[16:17]
	s_cbranch_execz .LBB49_723
; %bb.722:
	v_lshlrev_b32_e32 v18, 3, v15
	ds_read_b64 v[18:19], v18 offset:7168
	ds_read_b64 v[20:21], v17
	s_waitcnt lgkmcnt(0)
	v_mul_f32_e32 v22, v21, v19
	v_mul_f32_e32 v19, v20, v19
	v_fma_f32 v20, v20, v18, -v22
	v_fmac_f32_e32 v19, v21, v18
	v_sub_f32_e32 v2, v2, v20
	v_sub_f32_e32 v3, v3, v19
.LBB49_723:
	s_or_b64 exec, exec, s[14:15]
	s_barrier
	;; [unrolled: 33-line block ×13, first 2 shown]
	s_mov_b64 s[14:15], exec
	v_readlane_b32 s16, v28, 52
	v_readlane_b32 s17, v28, 53
	s_and_b64 s[16:17], s[14:15], s[16:17]
	s_mov_b64 exec, s[16:17]
; %bb.768:
	v_xor_b32_e32 v18, 0x80000000, v2
	v_xor_b32_e32 v19, 0x80000000, v3
	ds_write_b64 v17, v[18:19]
; %bb.769:
	s_or_b64 exec, exec, s[14:15]
	s_waitcnt lgkmcnt(0)
	s_barrier
	s_and_saveexec_b64 s[14:15], s[98:99]
	s_cbranch_execz .LBB49_771
; %bb.770:
	v_lshlrev_b32_e32 v18, 3, v15
	ds_read_b64 v[18:19], v18 offset:1024
	ds_read_b64 v[20:21], v17
	s_waitcnt lgkmcnt(0)
	v_mul_f32_e32 v22, v21, v19
	v_mul_f32_e32 v19, v20, v19
	v_fma_f32 v20, v20, v18, -v22
	v_fmac_f32_e32 v19, v21, v18
	v_sub_f32_e32 v2, v2, v20
	v_sub_f32_e32 v3, v3, v19
.LBB49_771:
	s_or_b64 exec, exec, s[14:15]
	s_barrier
	s_and_saveexec_b64 s[14:15], s[90:91]
; %bb.772:
	v_xor_b32_e32 v18, 0x80000000, v2
	v_xor_b32_e32 v19, 0x80000000, v3
	ds_write_b64 v17, v[18:19]
; %bb.773:
	s_or_b64 exec, exec, s[14:15]
	s_waitcnt lgkmcnt(0)
	s_barrier
	s_and_saveexec_b64 s[14:15], s[96:97]
	s_cbranch_execz .LBB49_775
; %bb.774:
	v_mov_b32_e32 v18, 0
	ds_read_b64 v[18:19], v18 offset:512
	ds_read_b64 v[20:21], v17
	s_waitcnt lgkmcnt(0)
	v_mul_f32_e32 v22, v21, v19
	v_mul_f32_e32 v19, v20, v19
	v_fma_f32 v20, v20, v18, -v22
	v_fmac_f32_e32 v19, v21, v18
	v_sub_f32_e32 v2, v2, v20
	v_sub_f32_e32 v3, v3, v19
.LBB49_775:
	s_or_b64 exec, exec, s[14:15]
	s_barrier
	s_and_saveexec_b64 s[14:15], s[96:97]
; %bb.776:
	v_xor_b32_e32 v18, 0x80000000, v2
	v_xor_b32_e32 v19, 0x80000000, v3
	ds_write_b64 v17, v[18:19]
; %bb.777:
	s_or_b64 exec, exec, s[14:15]
	s_waitcnt lgkmcnt(0)
	s_barrier
	s_barrier
	s_and_saveexec_b64 s[14:15], s[12:13]
; %bb.778:
	v_lshlrev_b32_e32 v15, 3, v15
	v_lshl_or_b32 v15, v16, 9, v15
	ds_write_b64 v15, v[2:3] offset:8192
; %bb.779:
	s_or_b64 exec, exec, s[14:15]
	s_waitcnt lgkmcnt(0)
	s_barrier
	s_barrier
	s_and_saveexec_b64 s[12:13], vcc
	s_cbranch_execz .LBB49_781
; %bb.780:
	s_mov_b64 s[14:15], 0x3f800000
	v_mov_b32_e32 v2, s14
	v_mov_b32_e32 v3, s15
	s_movk_i32 s14, 0x1800
	v_add_u32_e64 v15, s14, 0
	ds_write2_b64 v15, v[2:3], v[2:3] offset0:142 offset1:207
.LBB49_781:
	s_or_b64 exec, exec, s[12:13]
	v_mov_b32_e32 v2, 0
	v_mov_b32_e32 v3, 0
	s_waitcnt lgkmcnt(0)
	s_barrier
	buffer_wbinvl1_vol
	s_and_saveexec_b64 s[14:15], s[6:7]
	s_cbranch_execz .LBB49_785
; %bb.782:
	v_lshlrev_b32_e32 v2, 3, v4
	v_lshlrev_b32_e32 v15, 9, v5
	ds_read_b64 v[2:3], v2 offset:7264
	ds_read_b64 v[15:16], v15 offset:7280
	v_cmp_gt_u32_e64 s[12:13], 2, v8
	s_waitcnt lgkmcnt(0)
	v_mul_f32_e32 v17, v16, v3
	v_mul_f32_e32 v3, v15, v3
	v_fma_f32 v15, v15, v2, -v17
	v_fmac_f32_e32 v3, v16, v2
	v_add_f32_e32 v2, 0, v15
	v_add_f32_e32 v3, 0, v3
	s_and_saveexec_b64 s[16:17], s[12:13]
	s_cbranch_execz .LBB49_784
; %bb.783:
	v_lshlrev_b32_e32 v15, 3, v0
	v_mov_b32_e32 v17, 0
	ds_read_b64 v[15:16], v15 offset:7776
	ds_read_b64 v[17:18], v17 offset:7800
	s_waitcnt lgkmcnt(0)
	v_mul_f32_e32 v19, v18, v16
	v_mul_f32_e32 v16, v17, v16
	v_fma_f32 v17, v17, v15, -v19
	v_fmac_f32_e32 v16, v18, v15
	v_add_f32_e32 v2, v2, v17
	v_add_f32_e32 v3, v3, v16
.LBB49_784:
	s_or_b64 exec, exec, s[16:17]
.LBB49_785:
	s_or_b64 exec, exec, s[14:15]
	s_and_saveexec_b64 s[12:13], s[36:37]
; %bb.786:
	v_xor_b32_e32 v16, 0x80000000, v3
	v_xor_b32_e32 v15, 0x80000000, v2
	ds_write_b64 v6, v[15:16]
; %bb.787:
	s_or_b64 exec, exec, s[12:13]
	s_waitcnt lgkmcnt(0)
	s_barrier
	s_and_saveexec_b64 s[12:13], s[34:35]
	s_cbranch_execz .LBB49_789
; %bb.788:
	v_mov_b32_e32 v15, 0
	ds_read_b64 v[15:16], v15 offset:6752
	ds_read_b64 v[17:18], v6
	s_waitcnt lgkmcnt(0)
	v_mul_f32_e32 v19, v17, v15
	v_mul_f32_e32 v17, v17, v16
	v_fmac_f32_e32 v17, v18, v15
	v_fma_f32 v15, v18, v16, -v19
	v_add_f32_e32 v2, v2, v15
	v_sub_f32_e32 v3, v3, v17
.LBB49_789:
	s_or_b64 exec, exec, s[12:13]
	s_barrier
	s_and_saveexec_b64 s[12:13], s[34:35]
; %bb.790:
	v_xor_b32_e32 v16, 0x80000000, v3
	v_xor_b32_e32 v15, 0x80000000, v2
	ds_write_b64 v6, v[15:16]
; %bb.791:
	s_or_b64 exec, exec, s[12:13]
	s_waitcnt lgkmcnt(0)
	s_barrier
	s_barrier
	s_and_saveexec_b64 s[12:13], s[6:7]
; %bb.792:
	v_lshlrev_b32_e32 v15, 3, v4
	v_lshl_or_b32 v15, v5, 9, v15
	ds_write_b64 v15, v[2:3] offset:7264
; %bb.793:
	s_or_b64 exec, exec, s[12:13]
	s_waitcnt lgkmcnt(0)
	s_barrier
	s_barrier
	s_and_saveexec_b64 s[12:13], vcc
	s_cbranch_execz .LBB49_795
; %bb.794:
	s_mov_b64 s[14:15], 0x3f800000
	v_mov_b32_e32 v2, s14
	v_mov_b32_e32 v3, s15
	s_movk_i32 s14, 0x1800
	v_add_u32_e64 v15, s14, 0
	ds_write2_b64 v15, v[2:3], v[2:3] offset0:12 offset1:77
.LBB49_795:
	s_or_b64 exec, exec, s[12:13]
	v_mov_b32_e32 v3, 0
	v_mov_b32_e32 v2, 0
	s_waitcnt lgkmcnt(0)
	s_barrier
	buffer_wbinvl1_vol
	s_and_saveexec_b64 s[14:15], s[18:19]
	s_cbranch_execz .LBB49_801
; %bb.796:
	v_lshlrev_b32_e32 v15, 3, v9
	v_lshlrev_b32_e32 v16, 9, v10
	ds_read_b64 v[2:3], v15 offset:6208
	ds_read_b64 v[17:18], v16 offset:6240
	v_cmp_gt_u32_e64 s[12:13], 12, v8
	s_waitcnt lgkmcnt(0)
	v_mul_f32_e32 v19, v18, v3
	v_mul_f32_e32 v3, v17, v3
	v_fma_f32 v17, v17, v2, -v19
	v_fmac_f32_e32 v3, v18, v2
	v_add_f32_e32 v2, 0, v17
	v_add_f32_e32 v3, 0, v3
	s_and_saveexec_b64 s[16:17], s[12:13]
	s_cbranch_execnz .LBB49_1028
; %bb.797:
	s_or_b64 exec, exec, s[16:17]
	v_cmp_gt_u32_e64 s[12:13], 8, v8
	s_and_saveexec_b64 s[16:17], s[12:13]
	s_cbranch_execnz .LBB49_1029
.LBB49_798:
	s_or_b64 exec, exec, s[16:17]
	v_cmp_gt_u32_e64 s[12:13], 4, v8
	s_and_saveexec_b64 s[16:17], s[12:13]
	s_cbranch_execz .LBB49_800
.LBB49_799:
	v_lshlrev_b32_e32 v15, 3, v0
	v_mov_b32_e32 v17, 0
	ds_read_b64 v[15:16], v15 offset:7744
	ds_read_b64 v[17:18], v17 offset:7800
	s_waitcnt lgkmcnt(0)
	v_mul_f32_e32 v19, v18, v16
	v_mul_f32_e32 v16, v17, v16
	v_fma_f32 v17, v17, v15, -v19
	v_fmac_f32_e32 v16, v18, v15
	v_add_f32_e32 v2, v2, v17
	v_add_f32_e32 v3, v3, v16
.LBB49_800:
	s_or_b64 exec, exec, s[16:17]
.LBB49_801:
	s_or_b64 exec, exec, s[14:15]
	s_and_saveexec_b64 s[12:13], s[42:43]
; %bb.802:
	v_xor_b32_e32 v15, 0x80000000, v2
	v_xor_b32_e32 v16, 0x80000000, v3
	ds_write_b64 v11, v[15:16]
; %bb.803:
	s_or_b64 exec, exec, s[12:13]
	s_waitcnt lgkmcnt(0)
	s_barrier
	s_and_saveexec_b64 s[12:13], s[44:45]
	s_cbranch_execz .LBB49_805
; %bb.804:
	v_lshlrev_b32_e32 v15, 3, v9
	ds_read_b64 v[15:16], v15 offset:5696
	ds_read_b64 v[17:18], v11
	s_waitcnt lgkmcnt(0)
	v_mul_f32_e32 v19, v18, v16
	v_mul_f32_e32 v16, v17, v16
	v_fma_f32 v17, v17, v15, -v19
	v_fmac_f32_e32 v16, v18, v15
	v_sub_f32_e32 v2, v2, v17
	v_sub_f32_e32 v3, v3, v16
.LBB49_805:
	s_or_b64 exec, exec, s[12:13]
	s_barrier
	s_and_saveexec_b64 s[12:13], s[52:53]
; %bb.806:
	v_xor_b32_e32 v15, 0x80000000, v2
	v_xor_b32_e32 v16, 0x80000000, v3
	ds_write_b64 v11, v[15:16]
; %bb.807:
	s_or_b64 exec, exec, s[12:13]
	s_waitcnt lgkmcnt(0)
	s_barrier
	s_and_saveexec_b64 s[12:13], s[54:55]
	s_cbranch_execz .LBB49_809
; %bb.808:
	v_lshlrev_b32_e32 v15, 3, v9
	ds_read_b64 v[15:16], v15 offset:5184
	ds_read_b64 v[17:18], v11
	s_waitcnt lgkmcnt(0)
	v_mul_f32_e32 v19, v18, v16
	v_mul_f32_e32 v16, v17, v16
	v_fma_f32 v17, v17, v15, -v19
	v_fmac_f32_e32 v16, v18, v15
	v_sub_f32_e32 v2, v2, v17
	v_sub_f32_e32 v3, v3, v16
.LBB49_809:
	s_or_b64 exec, exec, s[12:13]
	s_barrier
	s_and_saveexec_b64 s[12:13], s[56:57]
; %bb.810:
	v_xor_b32_e32 v15, 0x80000000, v2
	v_xor_b32_e32 v16, 0x80000000, v3
	ds_write_b64 v11, v[15:16]
; %bb.811:
	s_or_b64 exec, exec, s[12:13]
	s_waitcnt lgkmcnt(0)
	s_barrier
	s_and_saveexec_b64 s[12:13], s[38:39]
	s_cbranch_execz .LBB49_813
; %bb.812:
	v_mov_b32_e32 v15, 0
	ds_read_b64 v[15:16], v15 offset:4672
	ds_read_b64 v[17:18], v11
	s_waitcnt lgkmcnt(0)
	v_mul_f32_e32 v19, v18, v16
	v_mul_f32_e32 v16, v17, v16
	v_fma_f32 v17, v17, v15, -v19
	v_fmac_f32_e32 v16, v18, v15
	v_sub_f32_e32 v2, v2, v17
	v_sub_f32_e32 v3, v3, v16
.LBB49_813:
	s_or_b64 exec, exec, s[12:13]
	s_barrier
	s_and_saveexec_b64 s[12:13], s[38:39]
; %bb.814:
	v_xor_b32_e32 v15, 0x80000000, v2
	v_xor_b32_e32 v16, 0x80000000, v3
	ds_write_b64 v11, v[15:16]
; %bb.815:
	s_or_b64 exec, exec, s[12:13]
	s_waitcnt lgkmcnt(0)
	s_barrier
	s_barrier
	s_and_saveexec_b64 s[12:13], s[18:19]
; %bb.816:
	v_lshlrev_b32_e32 v15, 3, v9
	v_lshl_or_b32 v15, v10, 9, v15
	ds_write_b64 v15, v[2:3] offset:6208
; %bb.817:
	s_or_b64 exec, exec, s[12:13]
	s_waitcnt lgkmcnt(0)
	s_barrier
	s_barrier
	s_and_saveexec_b64 s[12:13], vcc
	s_cbranch_execz .LBB49_819
; %bb.818:
	s_mov_b64 s[14:15], 0x3f800000
	v_mov_b32_e32 v2, s14
	v_mov_b32_e32 v3, s15
	s_movk_i32 s14, 0x1000
	v_add_u32_e64 v15, s14, 0
	ds_write2_b64 v15, v[2:3], v[2:3] offset0:138 offset1:203
.LBB49_819:
	s_or_b64 exec, exec, s[12:13]
	v_mov_b32_e32 v2, 0
	v_mov_b32_e32 v3, 0
	s_waitcnt lgkmcnt(0)
	s_barrier
	buffer_wbinvl1_vol
	s_and_saveexec_b64 s[14:15], s[6:7]
	s_cbranch_execz .LBB49_823
; %bb.820:
	v_lshlrev_b32_e32 v2, 3, v4
	v_lshlrev_b32_e32 v15, 9, v5
	ds_read_b64 v[2:3], v2 offset:5184
	ds_read_b64 v[15:16], v15 offset:5200
	v_cmp_gt_u32_e64 s[12:13], 2, v8
	s_waitcnt lgkmcnt(0)
	v_mul_f32_e32 v17, v16, v3
	v_mul_f32_e32 v3, v15, v3
	v_fma_f32 v15, v15, v2, -v17
	v_fmac_f32_e32 v3, v16, v2
	v_add_f32_e32 v2, 0, v15
	v_add_f32_e32 v3, 0, v3
	s_and_saveexec_b64 s[16:17], s[12:13]
	s_cbranch_execz .LBB49_822
; %bb.821:
	v_lshlrev_b32_e32 v15, 3, v0
	v_mov_b32_e32 v17, 0
	ds_read_b64 v[15:16], v15 offset:5696
	ds_read_b64 v[17:18], v17 offset:5720
	s_waitcnt lgkmcnt(0)
	v_mul_f32_e32 v19, v18, v16
	v_mul_f32_e32 v16, v17, v16
	v_fma_f32 v17, v17, v15, -v19
	v_fmac_f32_e32 v16, v18, v15
	v_add_f32_e32 v2, v2, v17
	v_add_f32_e32 v3, v3, v16
.LBB49_822:
	s_or_b64 exec, exec, s[16:17]
.LBB49_823:
	s_or_b64 exec, exec, s[14:15]
	s_and_saveexec_b64 s[12:13], s[36:37]
; %bb.824:
	v_xor_b32_e32 v16, 0x80000000, v3
	v_xor_b32_e32 v15, 0x80000000, v2
	ds_write_b64 v6, v[15:16]
; %bb.825:
	s_or_b64 exec, exec, s[12:13]
	s_waitcnt lgkmcnt(0)
	s_barrier
	s_and_saveexec_b64 s[12:13], s[34:35]
	s_cbranch_execz .LBB49_827
; %bb.826:
	v_mov_b32_e32 v15, 0
	ds_read_b64 v[15:16], v15 offset:4672
	ds_read_b64 v[17:18], v6
	s_waitcnt lgkmcnt(0)
	v_mul_f32_e32 v19, v17, v15
	v_mul_f32_e32 v17, v17, v16
	v_fmac_f32_e32 v17, v18, v15
	v_fma_f32 v15, v18, v16, -v19
	v_add_f32_e32 v2, v2, v15
	v_sub_f32_e32 v3, v3, v17
.LBB49_827:
	s_or_b64 exec, exec, s[12:13]
	s_barrier
	s_and_saveexec_b64 s[12:13], s[34:35]
; %bb.828:
	v_xor_b32_e32 v16, 0x80000000, v3
	v_xor_b32_e32 v15, 0x80000000, v2
	ds_write_b64 v6, v[15:16]
; %bb.829:
	s_or_b64 exec, exec, s[12:13]
	s_waitcnt lgkmcnt(0)
	s_barrier
	s_barrier
	s_and_saveexec_b64 s[12:13], s[6:7]
; %bb.830:
	v_lshlrev_b32_e32 v15, 3, v4
	v_lshl_or_b32 v15, v5, 9, v15
	ds_write_b64 v15, v[2:3] offset:5184
; %bb.831:
	s_or_b64 exec, exec, s[12:13]
	s_waitcnt lgkmcnt(0)
	s_barrier
	s_barrier
	s_and_saveexec_b64 s[12:13], vcc
	s_cbranch_execz .LBB49_833
; %bb.832:
	s_mov_b64 s[14:15], 0x3f800000
	v_mov_b32_e32 v2, s14
	v_mov_b32_e32 v3, s15
	s_movk_i32 s14, 0x1000
	v_add_u32_e64 v15, s14, 0
	ds_write2_b64 v15, v[2:3], v[2:3] offset0:8 offset1:73
.LBB49_833:
	s_or_b64 exec, exec, s[12:13]
	v_mov_b32_e32 v3, 0
	v_mov_b32_e32 v2, 0
	s_waitcnt lgkmcnt(0)
	s_barrier
	buffer_wbinvl1_vol
	s_and_saveexec_b64 s[14:15], s[10:11]
	s_cbranch_execz .LBB49_843
; %bb.834:
	v_lshlrev_b32_e32 v15, 3, v12
	v_lshlrev_b32_e32 v16, 9, v13
	ds_read_b64 v[2:3], v15 offset:4096
	ds_read_b64 v[17:18], v16 offset:4160
	v_cmp_gt_u32_e64 s[12:13], 56, v8
	s_waitcnt lgkmcnt(0)
	v_mul_f32_e32 v19, v18, v3
	v_mul_f32_e32 v3, v17, v3
	v_fma_f32 v17, v17, v2, -v19
	v_fmac_f32_e32 v3, v18, v2
	v_add_f32_e32 v2, 0, v17
	v_add_f32_e32 v3, 0, v3
	s_and_saveexec_b64 s[16:17], s[12:13]
	s_cbranch_execnz .LBB49_1030
; %bb.835:
	s_or_b64 exec, exec, s[16:17]
	v_cmp_gt_u32_e64 s[12:13], 48, v8
	s_and_saveexec_b64 s[16:17], s[12:13]
	s_cbranch_execnz .LBB49_1031
.LBB49_836:
	s_or_b64 exec, exec, s[16:17]
	v_cmp_gt_u32_e64 s[12:13], 40, v8
	s_and_saveexec_b64 s[16:17], s[12:13]
	s_cbranch_execnz .LBB49_1032
.LBB49_837:
	s_or_b64 exec, exec, s[16:17]
	v_cmp_gt_u32_e64 s[12:13], 32, v8
	s_and_saveexec_b64 s[16:17], s[12:13]
	s_cbranch_execnz .LBB49_1033
.LBB49_838:
	s_or_b64 exec, exec, s[16:17]
	v_cmp_gt_u32_e64 s[12:13], 24, v8
	s_and_saveexec_b64 s[16:17], s[12:13]
	s_cbranch_execnz .LBB49_1034
.LBB49_839:
	s_or_b64 exec, exec, s[16:17]
	s_and_saveexec_b64 s[12:13], s[18:19]
	s_cbranch_execnz .LBB49_1035
.LBB49_840:
	s_or_b64 exec, exec, s[12:13]
	v_cmp_gt_u32_e64 s[12:13], 8, v8
	s_and_saveexec_b64 s[16:17], s[12:13]
	s_cbranch_execz .LBB49_842
.LBB49_841:
	v_lshlrev_b32_e32 v15, 3, v0
	v_mov_b32_e32 v17, 0
	ds_read_b64 v[15:16], v15 offset:7680
	ds_read_b64 v[17:18], v17 offset:7800
	s_waitcnt lgkmcnt(0)
	v_mul_f32_e32 v19, v18, v16
	v_mul_f32_e32 v16, v17, v16
	v_fma_f32 v17, v17, v15, -v19
	v_fmac_f32_e32 v16, v18, v15
	v_add_f32_e32 v2, v2, v17
	v_add_f32_e32 v3, v3, v16
.LBB49_842:
	s_or_b64 exec, exec, s[16:17]
.LBB49_843:
	s_or_b64 exec, exec, s[14:15]
	s_and_saveexec_b64 s[12:13], s[60:61]
; %bb.844:
	v_xor_b32_e32 v16, 0x80000000, v3
	v_xor_b32_e32 v15, 0x80000000, v2
	ds_write_b64 v14, v[15:16]
; %bb.845:
	s_or_b64 exec, exec, s[12:13]
	s_waitcnt lgkmcnt(0)
	s_barrier
	s_and_saveexec_b64 s[12:13], s[62:63]
	s_cbranch_execz .LBB49_847
; %bb.846:
	v_lshlrev_b32_e32 v15, 3, v12
	ds_read_b64 v[15:16], v15 offset:3584
	ds_read_b64 v[17:18], v14
	s_waitcnt lgkmcnt(0)
	v_mul_f32_e32 v19, v18, v16
	v_mul_f32_e32 v16, v17, v16
	v_fma_f32 v17, v17, v15, -v19
	v_fmac_f32_e32 v16, v18, v15
	v_sub_f32_e32 v2, v2, v17
	v_sub_f32_e32 v3, v3, v16
.LBB49_847:
	s_or_b64 exec, exec, s[12:13]
	s_barrier
	s_and_saveexec_b64 s[12:13], s[64:65]
; %bb.848:
	v_xor_b32_e32 v16, 0x80000000, v3
	v_xor_b32_e32 v15, 0x80000000, v2
	ds_write_b64 v14, v[15:16]
; %bb.849:
	s_or_b64 exec, exec, s[12:13]
	s_waitcnt lgkmcnt(0)
	s_barrier
	s_and_saveexec_b64 s[12:13], s[66:67]
	s_cbranch_execz .LBB49_851
; %bb.850:
	v_lshlrev_b32_e32 v15, 3, v12
	ds_read_b64 v[15:16], v15 offset:3072
	ds_read_b64 v[17:18], v14
	s_waitcnt lgkmcnt(0)
	v_mul_f32_e32 v19, v18, v16
	v_mul_f32_e32 v16, v17, v16
	v_fma_f32 v17, v17, v15, -v19
	v_fmac_f32_e32 v16, v18, v15
	v_sub_f32_e32 v2, v2, v17
	v_sub_f32_e32 v3, v3, v16
.LBB49_851:
	s_or_b64 exec, exec, s[12:13]
	s_barrier
	;; [unrolled: 25-line block ×6, first 2 shown]
	s_and_saveexec_b64 s[12:13], s[84:85]
; %bb.868:
	v_xor_b32_e32 v16, 0x80000000, v3
	v_xor_b32_e32 v15, 0x80000000, v2
	ds_write_b64 v14, v[15:16]
; %bb.869:
	s_or_b64 exec, exec, s[12:13]
	s_waitcnt lgkmcnt(0)
	s_barrier
	s_and_saveexec_b64 s[12:13], s[58:59]
	s_cbranch_execz .LBB49_871
; %bb.870:
	v_mov_b32_e32 v15, 0
	ds_read_b64 v[15:16], v15 offset:512
	ds_read_b64 v[17:18], v14
	s_waitcnt lgkmcnt(0)
	v_mul_f32_e32 v19, v18, v16
	v_mul_f32_e32 v16, v17, v16
	v_fma_f32 v17, v17, v15, -v19
	v_fmac_f32_e32 v16, v18, v15
	v_sub_f32_e32 v2, v2, v17
	v_sub_f32_e32 v3, v3, v16
.LBB49_871:
	s_or_b64 exec, exec, s[12:13]
	s_barrier
	s_and_saveexec_b64 s[12:13], s[58:59]
; %bb.872:
	v_xor_b32_e32 v16, 0x80000000, v3
	v_xor_b32_e32 v15, 0x80000000, v2
	ds_write_b64 v14, v[15:16]
; %bb.873:
	s_or_b64 exec, exec, s[12:13]
	s_waitcnt lgkmcnt(0)
	s_barrier
	s_barrier
	s_and_saveexec_b64 s[12:13], s[10:11]
; %bb.874:
	v_lshlrev_b32_e32 v12, 3, v12
	v_lshl_or_b32 v12, v13, 9, v12
	ds_write_b64 v12, v[2:3] offset:4096
; %bb.875:
	s_or_b64 exec, exec, s[12:13]
	s_waitcnt lgkmcnt(0)
	s_barrier
	s_barrier
	s_and_saveexec_b64 s[10:11], vcc
	s_cbranch_execz .LBB49_877
; %bb.876:
	s_mov_b64 s[12:13], 0x3f800000
	v_mov_b32_e32 v2, s12
	v_mov_b32_e32 v3, s13
	s_movk_i32 s12, 0x800
	v_add_u32_e64 v12, s12, 0
	ds_write2_b64 v12, v[2:3], v[2:3] offset0:134 offset1:199
.LBB49_877:
	s_or_b64 exec, exec, s[10:11]
	v_mov_b32_e32 v2, 0
	v_mov_b32_e32 v3, 0
	s_waitcnt lgkmcnt(0)
	s_barrier
	buffer_wbinvl1_vol
	s_and_saveexec_b64 s[12:13], s[6:7]
	s_cbranch_execz .LBB49_881
; %bb.878:
	v_lshlrev_b32_e32 v2, 3, v4
	v_lshlrev_b32_e32 v12, 9, v5
	ds_read_b64 v[2:3], v2 offset:3104
	ds_read_b64 v[12:13], v12 offset:3120
	v_cmp_gt_u32_e64 s[10:11], 2, v8
	s_waitcnt lgkmcnt(0)
	v_mul_f32_e32 v14, v13, v3
	v_mul_f32_e32 v3, v12, v3
	v_fma_f32 v12, v12, v2, -v14
	v_fmac_f32_e32 v3, v13, v2
	v_add_f32_e32 v2, 0, v12
	v_add_f32_e32 v3, 0, v3
	s_and_saveexec_b64 s[14:15], s[10:11]
	s_cbranch_execz .LBB49_880
; %bb.879:
	v_lshlrev_b32_e32 v12, 3, v0
	v_mov_b32_e32 v14, 0
	ds_read_b64 v[12:13], v12 offset:3616
	ds_read_b64 v[14:15], v14 offset:3640
	s_waitcnt lgkmcnt(0)
	v_mul_f32_e32 v16, v15, v13
	v_mul_f32_e32 v13, v14, v13
	v_fma_f32 v14, v14, v12, -v16
	v_fmac_f32_e32 v13, v15, v12
	v_add_f32_e32 v2, v2, v14
	v_add_f32_e32 v3, v3, v13
.LBB49_880:
	s_or_b64 exec, exec, s[14:15]
.LBB49_881:
	s_or_b64 exec, exec, s[12:13]
	s_and_saveexec_b64 s[10:11], s[36:37]
; %bb.882:
	v_xor_b32_e32 v13, 0x80000000, v3
	v_xor_b32_e32 v12, 0x80000000, v2
	ds_write_b64 v6, v[12:13]
; %bb.883:
	s_or_b64 exec, exec, s[10:11]
	s_waitcnt lgkmcnt(0)
	s_barrier
	s_and_saveexec_b64 s[10:11], s[34:35]
	s_cbranch_execz .LBB49_885
; %bb.884:
	v_mov_b32_e32 v12, 0
	ds_read_b64 v[12:13], v12 offset:2592
	ds_read_b64 v[14:15], v6
	s_waitcnt lgkmcnt(0)
	v_mul_f32_e32 v16, v14, v12
	v_mul_f32_e32 v14, v14, v13
	v_fmac_f32_e32 v14, v15, v12
	v_fma_f32 v12, v15, v13, -v16
	v_add_f32_e32 v2, v2, v12
	v_sub_f32_e32 v3, v3, v14
.LBB49_885:
	s_or_b64 exec, exec, s[10:11]
	s_barrier
	s_and_saveexec_b64 s[10:11], s[34:35]
; %bb.886:
	v_xor_b32_e32 v13, 0x80000000, v3
	v_xor_b32_e32 v12, 0x80000000, v2
	ds_write_b64 v6, v[12:13]
; %bb.887:
	s_or_b64 exec, exec, s[10:11]
	s_waitcnt lgkmcnt(0)
	s_barrier
	s_barrier
	s_and_saveexec_b64 s[10:11], s[6:7]
; %bb.888:
	v_lshlrev_b32_e32 v12, 3, v4
	v_lshl_or_b32 v12, v5, 9, v12
	ds_write_b64 v12, v[2:3] offset:3104
; %bb.889:
	s_or_b64 exec, exec, s[10:11]
	s_waitcnt lgkmcnt(0)
	s_barrier
	s_barrier
	s_and_saveexec_b64 s[10:11], vcc
	s_cbranch_execz .LBB49_891
; %bb.890:
	s_mov_b64 s[12:13], 0x3f800000
	v_mov_b32_e32 v2, s12
	v_mov_b32_e32 v3, s13
	s_movk_i32 s12, 0x800
	v_add_u32_e64 v12, s12, 0
	ds_write2_b64 v12, v[2:3], v[2:3] offset0:4 offset1:69
.LBB49_891:
	s_or_b64 exec, exec, s[10:11]
	v_mov_b32_e32 v3, 0
	v_mov_b32_e32 v2, 0
	s_waitcnt lgkmcnt(0)
	s_barrier
	buffer_wbinvl1_vol
	s_and_saveexec_b64 s[12:13], s[18:19]
	s_cbranch_execz .LBB49_897
; %bb.892:
	v_lshlrev_b32_e32 v12, 3, v9
	v_lshlrev_b32_e32 v13, 9, v10
	ds_read_b64 v[2:3], v12 offset:2048
	ds_read_b64 v[14:15], v13 offset:2080
	v_cmp_gt_u32_e64 s[10:11], 12, v8
	s_waitcnt lgkmcnt(0)
	v_mul_f32_e32 v16, v15, v3
	v_mul_f32_e32 v3, v14, v3
	v_fma_f32 v14, v14, v2, -v16
	v_fmac_f32_e32 v3, v15, v2
	v_add_f32_e32 v2, 0, v14
	v_add_f32_e32 v3, 0, v3
	s_and_saveexec_b64 s[14:15], s[10:11]
	s_cbranch_execnz .LBB49_1036
; %bb.893:
	s_or_b64 exec, exec, s[14:15]
	v_cmp_gt_u32_e64 s[10:11], 8, v8
	s_and_saveexec_b64 s[14:15], s[10:11]
	s_cbranch_execnz .LBB49_1037
.LBB49_894:
	s_or_b64 exec, exec, s[14:15]
	v_cmp_gt_u32_e64 s[10:11], 4, v8
	s_and_saveexec_b64 s[14:15], s[10:11]
	s_cbranch_execz .LBB49_896
.LBB49_895:
	v_lshlrev_b32_e32 v12, 3, v0
	v_mov_b32_e32 v14, 0
	ds_read_b64 v[12:13], v12 offset:3584
	ds_read_b64 v[14:15], v14 offset:3640
	s_waitcnt lgkmcnt(0)
	v_mul_f32_e32 v16, v15, v13
	v_mul_f32_e32 v13, v14, v13
	v_fma_f32 v14, v14, v12, -v16
	v_fmac_f32_e32 v13, v15, v12
	v_add_f32_e32 v2, v2, v14
	v_add_f32_e32 v3, v3, v13
.LBB49_896:
	s_or_b64 exec, exec, s[14:15]
.LBB49_897:
	s_or_b64 exec, exec, s[12:13]
	s_and_saveexec_b64 s[10:11], s[42:43]
; %bb.898:
	v_xor_b32_e32 v12, 0x80000000, v2
	v_xor_b32_e32 v13, 0x80000000, v3
	ds_write_b64 v11, v[12:13]
; %bb.899:
	s_or_b64 exec, exec, s[10:11]
	s_waitcnt lgkmcnt(0)
	s_barrier
	s_and_saveexec_b64 s[10:11], s[44:45]
	s_cbranch_execz .LBB49_901
; %bb.900:
	v_lshlrev_b32_e32 v12, 3, v9
	ds_read_b64 v[12:13], v12 offset:1536
	ds_read_b64 v[14:15], v11
	s_waitcnt lgkmcnt(0)
	v_mul_f32_e32 v16, v15, v13
	v_mul_f32_e32 v13, v14, v13
	v_fma_f32 v14, v14, v12, -v16
	v_fmac_f32_e32 v13, v15, v12
	v_sub_f32_e32 v2, v2, v14
	v_sub_f32_e32 v3, v3, v13
.LBB49_901:
	s_or_b64 exec, exec, s[10:11]
	s_barrier
	s_and_saveexec_b64 s[10:11], s[52:53]
; %bb.902:
	v_xor_b32_e32 v12, 0x80000000, v2
	v_xor_b32_e32 v13, 0x80000000, v3
	ds_write_b64 v11, v[12:13]
; %bb.903:
	s_or_b64 exec, exec, s[10:11]
	s_waitcnt lgkmcnt(0)
	s_barrier
	s_and_saveexec_b64 s[10:11], s[54:55]
	s_cbranch_execz .LBB49_905
; %bb.904:
	v_lshlrev_b32_e32 v12, 3, v9
	ds_read_b64 v[12:13], v12 offset:1024
	ds_read_b64 v[14:15], v11
	s_waitcnt lgkmcnt(0)
	v_mul_f32_e32 v16, v15, v13
	v_mul_f32_e32 v13, v14, v13
	v_fma_f32 v14, v14, v12, -v16
	v_fmac_f32_e32 v13, v15, v12
	v_sub_f32_e32 v2, v2, v14
	v_sub_f32_e32 v3, v3, v13
.LBB49_905:
	s_or_b64 exec, exec, s[10:11]
	s_barrier
	s_and_saveexec_b64 s[10:11], s[56:57]
; %bb.906:
	v_xor_b32_e32 v12, 0x80000000, v2
	v_xor_b32_e32 v13, 0x80000000, v3
	ds_write_b64 v11, v[12:13]
; %bb.907:
	s_or_b64 exec, exec, s[10:11]
	s_waitcnt lgkmcnt(0)
	s_barrier
	s_and_saveexec_b64 s[10:11], s[38:39]
	s_cbranch_execz .LBB49_909
; %bb.908:
	v_mov_b32_e32 v12, 0
	ds_read_b64 v[12:13], v12 offset:512
	ds_read_b64 v[14:15], v11
	s_waitcnt lgkmcnt(0)
	v_mul_f32_e32 v16, v15, v13
	v_mul_f32_e32 v13, v14, v13
	v_fma_f32 v14, v14, v12, -v16
	v_fmac_f32_e32 v13, v15, v12
	v_sub_f32_e32 v2, v2, v14
	v_sub_f32_e32 v3, v3, v13
.LBB49_909:
	s_or_b64 exec, exec, s[10:11]
	s_barrier
	s_and_saveexec_b64 s[10:11], s[38:39]
; %bb.910:
	v_xor_b32_e32 v12, 0x80000000, v2
	v_xor_b32_e32 v13, 0x80000000, v3
	ds_write_b64 v11, v[12:13]
; %bb.911:
	s_or_b64 exec, exec, s[10:11]
	s_waitcnt lgkmcnt(0)
	s_barrier
	s_barrier
	s_and_saveexec_b64 s[10:11], s[18:19]
; %bb.912:
	v_lshlrev_b32_e32 v9, 3, v9
	v_lshl_or_b32 v9, v10, 9, v9
	ds_write_b64 v9, v[2:3] offset:2048
; %bb.913:
	s_or_b64 exec, exec, s[10:11]
	s_waitcnt lgkmcnt(0)
	s_barrier
	s_barrier
	s_and_saveexec_b64 s[10:11], vcc
; %bb.914:
	s_mov_b64 s[12:13], 0x3f800000
	v_mov_b32_e32 v2, s12
	v_mov_b32_e32 v9, 0
	;; [unrolled: 1-line block ×3, first 2 shown]
	ds_write2_b64 v9, v[2:3], v[2:3] offset0:130 offset1:195
; %bb.915:
	s_or_b64 exec, exec, s[10:11]
	v_mov_b32_e32 v2, 0
	v_mov_b32_e32 v3, 0
	s_waitcnt lgkmcnt(0)
	s_barrier
	buffer_wbinvl1_vol
	s_and_saveexec_b64 s[12:13], s[6:7]
	s_cbranch_execz .LBB49_919
; %bb.916:
	v_lshlrev_b32_e32 v2, 3, v4
	v_lshlrev_b32_e32 v9, 9, v5
	ds_read_b64 v[2:3], v2 offset:1024
	ds_read_b64 v[9:10], v9 offset:1040
	v_cmp_gt_u32_e64 s[10:11], 2, v8
	s_waitcnt lgkmcnt(0)
	v_mul_f32_e32 v11, v10, v3
	v_mul_f32_e32 v3, v9, v3
	v_fma_f32 v9, v9, v2, -v11
	v_fmac_f32_e32 v3, v10, v2
	v_add_f32_e32 v2, 0, v9
	v_add_f32_e32 v3, 0, v3
	s_and_saveexec_b64 s[14:15], s[10:11]
	s_cbranch_execz .LBB49_918
; %bb.917:
	v_lshlrev_b32_e32 v8, 3, v0
	v_mov_b32_e32 v10, 0
	ds_read_b64 v[8:9], v8 offset:1536
	ds_read_b64 v[10:11], v10 offset:1560
	s_waitcnt lgkmcnt(0)
	v_mul_f32_e32 v12, v11, v9
	v_mul_f32_e32 v9, v10, v9
	v_fma_f32 v10, v10, v8, -v12
	v_fmac_f32_e32 v9, v11, v8
	v_add_f32_e32 v2, v2, v10
	v_add_f32_e32 v3, v3, v9
.LBB49_918:
	s_or_b64 exec, exec, s[14:15]
.LBB49_919:
	s_or_b64 exec, exec, s[12:13]
	s_and_saveexec_b64 s[10:11], s[36:37]
; %bb.920:
	v_xor_b32_e32 v9, 0x80000000, v3
	v_xor_b32_e32 v8, 0x80000000, v2
	ds_write_b64 v6, v[8:9]
; %bb.921:
	s_or_b64 exec, exec, s[10:11]
	s_waitcnt lgkmcnt(0)
	s_barrier
	s_and_saveexec_b64 s[10:11], s[34:35]
	s_cbranch_execz .LBB49_923
; %bb.922:
	v_mov_b32_e32 v8, 0
	ds_read_b64 v[8:9], v8 offset:512
	ds_read_b64 v[10:11], v6
	s_waitcnt lgkmcnt(0)
	v_mul_f32_e32 v12, v10, v8
	v_mul_f32_e32 v10, v10, v9
	v_fmac_f32_e32 v10, v11, v8
	v_fma_f32 v8, v11, v9, -v12
	v_add_f32_e32 v2, v2, v8
	v_sub_f32_e32 v3, v3, v10
.LBB49_923:
	s_or_b64 exec, exec, s[10:11]
	s_barrier
	s_and_saveexec_b64 s[10:11], s[34:35]
; %bb.924:
	v_xor_b32_e32 v9, 0x80000000, v3
	v_xor_b32_e32 v8, 0x80000000, v2
	ds_write_b64 v6, v[8:9]
; %bb.925:
	s_or_b64 exec, exec, s[10:11]
	s_waitcnt lgkmcnt(0)
	s_barrier
	s_barrier
	s_and_saveexec_b64 s[10:11], s[6:7]
; %bb.926:
	v_lshlrev_b32_e32 v4, 3, v4
	v_lshl_or_b32 v4, v5, 9, v4
	ds_write_b64 v4, v[2:3] offset:1024
; %bb.927:
	s_or_b64 exec, exec, s[10:11]
	s_waitcnt lgkmcnt(0)
	s_barrier
	s_barrier
	s_and_saveexec_b64 s[6:7], vcc
; %bb.928:
	s_mov_b64 s[10:11], 0x3f800000
	v_mov_b32_e32 v2, s10
	v_mov_b32_e32 v4, 0
	;; [unrolled: 1-line block ×3, first 2 shown]
	ds_write2_b64 v4, v[2:3], v[2:3] offset1:65
; %bb.929:
	s_or_b64 exec, exec, s[6:7]
.LBB49_930:
	s_load_dwordx4 s[16:19], s[4:5], 0x48
	v_cmp_le_i32_e32 vcc, s94, v0
	v_mov_b32_e32 v2, 0
	v_lshl_add_u32 v4, s33, 6, v0
	v_mov_b32_e32 v3, v2
	s_waitcnt lgkmcnt(0)
	s_mul_i32 s5, s17, s22
	s_mul_hi_u32 s6, s16, s22
	s_mul_i32 s4, s16, s22
	s_add_i32 s5, s6, s5
	s_lshl_b64 s[4:5], s[4:5], 3
	s_add_u32 s6, s46, s4
	s_addc_u32 s7, s47, s5
	s_lshl_b64 s[4:5], s[48:49], 3
	s_add_u32 s42, s6, s4
	s_addc_u32 s43, s7, s5
	s_and_b64 s[16:17], vcc, s[26:27]
	v_cmp_eq_u32_e64 s[4:5], 0, v1
	s_xor_b64 s[6:7], s[16:17], -1
	s_and_b64 s[10:11], s[4:5], s[6:7]
	s_barrier
	s_and_saveexec_b64 s[6:7], s[10:11]
	s_cbranch_execz .LBB49_932
; %bb.931:
	v_ashrrev_i32_e32 v5, 31, v4
	v_mul_lo_u32 v6, s51, v4
	v_mad_u64_u32 v[2:3], s[10:11], s50, v4, 0
	v_mul_lo_u32 v5, s50, v5
	v_add3_u32 v3, v3, v5, v6
	v_lshlrev_b64 v[2:3], 3, v[2:3]
	v_mov_b32_e32 v5, s43
	v_add_co_u32_e32 v2, vcc, s42, v2
	v_addc_co_u32_e32 v3, vcc, v5, v3, vcc
	global_load_dwordx2 v[5:6], v[2:3], off
	s_waitcnt vmcnt(0)
	v_mul_f32_e32 v2, s28, v5
	v_mul_f32_e32 v3, s28, v6
	v_fma_f32 v2, s29, v6, -v2
	v_fma_f32 v3, v5, -s29, -v3
.LBB49_932:
	s_or_b64 exec, exec, s[6:7]
	s_and_b32 s6, 0xffff, s89
	v_mad_u32_u24 v8, v1, s6, v0
	s_cmp_lt_i32 s8, 1
	v_cmp_eq_u32_e64 s[6:7], 0, v8
	s_cbranch_scc1 .LBB49_951
; %bb.933:
	s_lshl_b64 s[10:11], s[22:23], 2
	v_ashrrev_i32_e32 v5, 31, v4
	s_add_u32 s28, s18, s10
	s_addc_u32 s29, s19, s11
	v_cmp_gt_i32_e64 s[10:11], s24, v4
	v_lshlrev_b64 v[4:5], 3, v[4:5]
	v_mov_b32_e32 v6, 0xa000
	s_mov_b64 s[20:21], src_private_base
	v_lshl_add_u32 v9, v8, 3, v6
	v_lshl_or_b32 v10, v1, 3, v6
	v_mov_b32_e32 v6, s88
	v_add_co_u32_e32 v11, vcc, s95, v4
	s_mul_i32 s14, s41, 0x180
	s_mul_hi_u32 s15, s40, 0x180
	s_mov_b32 s20, 0
	v_cmp_gt_u32_e64 s[12:13], 64, v8
	s_add_i32 s44, s33, 1
	v_addc_co_u32_e32 v12, vcc, v6, v5, vcc
	s_lshl_b64 s[34:35], s[40:41], 7
	s_lshl_b64 s[36:37], s[40:41], 8
	s_add_i32 s45, s15, s14
	s_mul_i32 s46, s40, 0x180
	v_mov_b32_e32 v15, -1
	v_mov_b32_e32 v4, 0
	v_mov_b32_e32 v13, 0
	;; [unrolled: 1-line block ×5, first 2 shown]
	s_branch .LBB49_935
.LBB49_934:                             ;   in Loop: Header=BB49_935 Depth=1
	s_or_b64 exec, exec, s[38:39]
	s_add_i32 s20, s20, 1
	s_cmp_eq_u32 s20, s8
	s_cbranch_scc1 .LBB49_951
.LBB49_935:                             ; =>This Loop Header: Depth=1
                                        ;     Child Loop BB49_937 Depth 2
	v_cmp_gt_i32_e32 vcc, s20, v15
	s_and_b64 s[38:39], s[6:7], vcc
	s_and_saveexec_b64 s[14:15], s[38:39]
	s_cbranch_execz .LBB49_938
; %bb.936:                              ;   in Loop: Header=BB49_935 Depth=1
	global_load_dword v15, v4, s[28:29]
	s_waitcnt vmcnt(0)
	v_cmp_le_i32_e32 vcc, s20, v15
	s_cbranch_vccnz .LBB49_938
.LBB49_937:                             ;   Parent Loop BB49_935 Depth=1
                                        ; =>  This Inner Loop Header: Depth=2
	buffer_wbinvl1_vol
	global_load_dword v15, v4, s[28:29]
	s_waitcnt vmcnt(0)
	v_cmp_gt_i32_e32 vcc, s20, v15
	s_cbranch_vccnz .LBB49_937
.LBB49_938:                             ;   in Loop: Header=BB49_935 Depth=1
	s_or_b64 exec, exec, s[14:15]
	s_sub_i32 s47, s9, s20
	s_lshl_b32 s48, s47, 6
	buffer_wbinvl1_vol
	s_barrier
	s_and_saveexec_b64 s[14:15], s[12:13]
	s_cbranch_execz .LBB49_943
; %bb.939:                              ;   in Loop: Header=BB49_935 Depth=1
	s_ashr_i32 s38, s48, 31
	v_mov_b32_e32 v6, s38
	v_or_b32_e32 v5, s48, v8
	v_cmp_le_i64_e32 vcc, s[24:25], v[5:6]
	s_and_saveexec_b64 s[38:39], vcc
	s_xor_b64 s[38:39], exec, s[38:39]
; %bb.940:                              ;   in Loop: Header=BB49_935 Depth=1
	v_mov_b32_e32 v5, v4
	ds_write_b64 v9, v[4:5]
                                        ; implicit-def: $vgpr5_vgpr6
; %bb.941:                              ;   in Loop: Header=BB49_935 Depth=1
	s_andn2_saveexec_b64 s[38:39], s[38:39]
	s_cbranch_execz .LBB49_943
; %bb.942:                              ;   in Loop: Header=BB49_935 Depth=1
	v_mul_lo_u32 v18, v6, s50
	v_mul_lo_u32 v19, v5, s51
	v_mad_u64_u32 v[5:6], s[38:39], v5, s50, 0
	v_add3_u32 v6, v6, v19, v18
	v_lshlrev_b64 v[5:6], 3, v[5:6]
	v_mov_b32_e32 v18, s43
	v_add_co_u32_e32 v5, vcc, s42, v5
	v_addc_co_u32_e32 v6, vcc, v18, v6, vcc
	global_load_dwordx2 v[5:6], v[5:6], off
	s_waitcnt vmcnt(0)
	ds_write_b64 v9, v[5:6]
.LBB49_943:                             ;   in Loop: Header=BB49_935 Depth=1
	s_or_b64 exec, exec, s[14:15]
	v_add_u32_e32 v5, s48, v1
	v_ashrrev_i32_e32 v6, 31, v5
	v_mul_lo_u32 v20, s41, v5
	v_mad_u64_u32 v[18:19], s[14:15], s40, v5, 0
	v_mul_lo_u32 v6, s40, v6
	s_cmp_eq_u32 s47, s44
	s_cselect_b64 vcc, -1, 0
	s_waitcnt lgkmcnt(0)
	v_add3_u32 v19, v19, v6, v20
	v_lshlrev_b64 v[18:19], 3, v[18:19]
	s_barrier
	v_add_co_u32_e64 v6, s[14:15], v11, v18
	v_addc_co_u32_e64 v18, s[14:15], v12, v19, s[14:15]
	v_cmp_gt_i32_e64 s[14:15], s24, v5
	s_and_b64 s[38:39], s[10:11], s[14:15]
	s_and_saveexec_b64 s[14:15], s[38:39]
	s_cbranch_execz .LBB49_945
; %bb.944:                              ;   in Loop: Header=BB49_935 Depth=1
	v_mov_b32_e32 v19, s21
	v_cndmask_b32_e32 v20, v18, v19, vcc
	v_cndmask_b32_e32 v19, v6, v13, vcc
	flat_load_dwordx2 v[19:20], v[19:20]
	ds_read_b64 v[21:22], v10
	s_waitcnt vmcnt(0) lgkmcnt(0)
	v_mul_f32_e32 v23, v22, v20
	v_mul_f32_e32 v20, v21, v20
	v_fma_f32 v21, v21, v19, -v23
	v_fmac_f32_e32 v20, v22, v19
	v_add_f32_e32 v2, v2, v21
	v_add_f32_e32 v3, v3, v20
.LBB49_945:                             ;   in Loop: Header=BB49_935 Depth=1
	s_or_b64 exec, exec, s[14:15]
	v_add_u32_e32 v19, 16, v5
	v_cmp_gt_i32_e64 s[14:15], s24, v19
	s_and_b64 s[14:15], s[10:11], s[14:15]
	s_and_saveexec_b64 s[38:39], s[14:15]
	s_cbranch_execz .LBB49_947
; %bb.946:                              ;   in Loop: Header=BB49_935 Depth=1
	v_mov_b32_e32 v19, s35
	v_add_co_u32_e64 v21, s[14:15], s34, v6
	v_addc_co_u32_e64 v19, s[14:15], v18, v19, s[14:15]
	v_mov_b32_e32 v20, s21
	v_cndmask_b32_e32 v20, v19, v20, vcc
	v_cndmask_b32_e32 v19, v21, v14, vcc
	flat_load_dwordx2 v[19:20], v[19:20]
	ds_read_b64 v[21:22], v10 offset:128
	s_waitcnt vmcnt(0) lgkmcnt(0)
	v_mul_f32_e32 v23, v22, v20
	v_mul_f32_e32 v20, v21, v20
	v_fma_f32 v21, v21, v19, -v23
	v_fmac_f32_e32 v20, v22, v19
	v_add_f32_e32 v2, v2, v21
	v_add_f32_e32 v3, v3, v20
.LBB49_947:                             ;   in Loop: Header=BB49_935 Depth=1
	s_or_b64 exec, exec, s[38:39]
	v_add_u32_e32 v19, 32, v5
	v_cmp_gt_i32_e64 s[14:15], s24, v19
	s_and_b64 s[14:15], s[10:11], s[14:15]
	s_and_saveexec_b64 s[38:39], s[14:15]
	s_cbranch_execz .LBB49_949
; %bb.948:                              ;   in Loop: Header=BB49_935 Depth=1
	v_mov_b32_e32 v19, s37
	v_add_co_u32_e64 v21, s[14:15], s36, v6
	v_addc_co_u32_e64 v19, s[14:15], v18, v19, s[14:15]
	v_mov_b32_e32 v20, s21
	v_cndmask_b32_e32 v20, v19, v20, vcc
	v_cndmask_b32_e32 v19, v21, v16, vcc
	flat_load_dwordx2 v[19:20], v[19:20]
	ds_read_b64 v[21:22], v10 offset:256
	s_waitcnt vmcnt(0) lgkmcnt(0)
	v_mul_f32_e32 v23, v22, v20
	v_mul_f32_e32 v20, v21, v20
	v_fma_f32 v21, v21, v19, -v23
	v_fmac_f32_e32 v20, v22, v19
	v_add_f32_e32 v2, v2, v21
	v_add_f32_e32 v3, v3, v20
.LBB49_949:                             ;   in Loop: Header=BB49_935 Depth=1
	s_or_b64 exec, exec, s[38:39]
	v_add_u32_e32 v5, 48, v5
	v_cmp_gt_i32_e64 s[14:15], s24, v5
	s_and_b64 s[14:15], s[10:11], s[14:15]
	s_and_saveexec_b64 s[38:39], s[14:15]
	s_cbranch_execz .LBB49_934
; %bb.950:                              ;   in Loop: Header=BB49_935 Depth=1
	v_mov_b32_e32 v5, s45
	v_add_co_u32_e64 v19, s[14:15], s46, v6
	v_addc_co_u32_e64 v5, s[14:15], v18, v5, s[14:15]
	v_mov_b32_e32 v6, s21
	v_cndmask_b32_e32 v6, v5, v6, vcc
	v_cndmask_b32_e32 v5, v19, v17, vcc
	flat_load_dwordx2 v[5:6], v[5:6]
	ds_read_b64 v[18:19], v10 offset:384
	s_waitcnt vmcnt(0) lgkmcnt(0)
	v_mul_f32_e32 v20, v19, v6
	v_mul_f32_e32 v6, v18, v6
	v_fma_f32 v18, v18, v5, -v20
	v_fmac_f32_e32 v6, v19, v5
	v_add_f32_e32 v2, v2, v18
	v_add_f32_e32 v3, v3, v6
	s_branch .LBB49_934
.LBB49_951:
	s_xor_b64 s[6:7], s[26:27], -1
	s_xor_b64 s[8:9], s[30:31], -1
	v_lshlrev_b32_e32 v6, 3, v7
	ds_write_b64 v6, v[2:3] offset:32768
	s_waitcnt lgkmcnt(0)
	s_barrier
	s_and_saveexec_b64 s[10:11], s[4:5]
	s_cbranch_execz .LBB49_953
; %bb.952:
	v_lshlrev_b32_e32 v7, 3, v0
	ds_read2st64_b64 v[9:12], v7 offset0:65 offset1:66
	ds_read2st64_b64 v[13:16], v7 offset0:67 offset1:68
	ds_read_b64 v[17:18], v7 offset:40448
	s_waitcnt lgkmcnt(2)
	v_add_f32_e32 v2, v2, v9
	v_add_f32_e32 v3, v3, v10
	;; [unrolled: 1-line block ×4, first 2 shown]
	ds_read2st64_b64 v[2:5], v7 offset0:69 offset1:70
	s_waitcnt lgkmcnt(2)
	v_add_f32_e32 v9, v9, v13
	v_add_f32_e32 v10, v10, v14
	;; [unrolled: 1-line block ×4, first 2 shown]
	s_waitcnt lgkmcnt(0)
	v_add_f32_e32 v2, v9, v2
	ds_read2st64_b64 v[9:12], v7 offset0:71 offset1:72
	v_add_f32_e32 v3, v13, v3
	v_add_f32_e32 v13, v2, v4
	;; [unrolled: 1-line block ×3, first 2 shown]
	ds_read2st64_b64 v[2:5], v7 offset0:73 offset1:74
	s_waitcnt lgkmcnt(1)
	v_add_f32_e32 v9, v13, v9
	v_add_f32_e32 v10, v14, v10
	;; [unrolled: 1-line block ×4, first 2 shown]
	s_waitcnt lgkmcnt(0)
	v_add_f32_e32 v2, v9, v2
	ds_read2st64_b64 v[9:12], v7 offset0:75 offset1:76
	v_add_f32_e32 v3, v13, v3
	v_add_f32_e32 v13, v2, v4
	;; [unrolled: 1-line block ×3, first 2 shown]
	ds_read2st64_b64 v[2:5], v7 offset0:77 offset1:78
	s_waitcnt lgkmcnt(1)
	v_add_f32_e32 v7, v13, v9
	v_add_f32_e32 v9, v14, v10
	;; [unrolled: 1-line block ×4, first 2 shown]
	s_waitcnt lgkmcnt(0)
	v_add_f32_e32 v2, v7, v2
	v_add_f32_e32 v3, v9, v3
	v_add_f32_e32 v2, v2, v4
	v_add_f32_e32 v3, v3, v5
	v_add_f32_e32 v2, v2, v17
	v_add_f32_e32 v3, v3, v18
	v_cndmask_b32_e64 v2, -v2, 0, s[16:17]
	v_cndmask_b32_e64 v3, -v3, 0, s[16:17]
.LBB49_953:
	s_or_b64 exec, exec, s[10:11]
	s_andn2_b64 vcc, exec, s[8:9]
	s_cbranch_vccnz .LBB49_966
; %bb.954:
	v_mov_b32_e32 v4, 0xa000
	v_lshl_or_b32 v7, v1, 3, v4
	s_and_saveexec_b64 s[8:9], s[4:5]
; %bb.955:
	v_lshl_add_u32 v4, v0, 3, v7
	ds_write_b64 v4, v[2:3]
; %bb.956:
	s_or_b64 exec, exec, s[8:9]
	v_cmp_le_u32_e32 vcc, v0, v1
	v_mov_b32_e32 v4, 0
	v_mov_b32_e32 v5, 0
	s_waitcnt lgkmcnt(0)
	s_barrier
	s_and_saveexec_b64 s[8:9], vcc
	s_cbranch_execz .LBB49_958
; %bb.957:
	ds_read_b64 v[4:5], v6
	ds_read_b64 v[9:10], v7
	s_waitcnt lgkmcnt(0)
	v_mul_f32_e32 v11, v10, v5
	v_mul_f32_e32 v5, v9, v5
	v_fma_f32 v9, v9, v4, -v11
	v_fmac_f32_e32 v5, v10, v4
	v_add_f32_e32 v4, 0, v9
	v_add_f32_e32 v5, 0, v5
.LBB49_958:
	s_or_b64 exec, exec, s[8:9]
	v_add_u32_e32 v9, 16, v1
	v_cmp_le_u32_e32 vcc, v0, v9
	s_and_saveexec_b64 s[8:9], vcc
	s_cbranch_execz .LBB49_960
; %bb.959:
	ds_read_b64 v[9:10], v6 offset:8192
	ds_read_b64 v[11:12], v7 offset:128
	s_waitcnt lgkmcnt(0)
	v_mul_f32_e32 v13, v12, v10
	v_mul_f32_e32 v10, v11, v10
	v_fma_f32 v11, v11, v9, -v13
	v_fmac_f32_e32 v10, v12, v9
	v_add_f32_e32 v4, v4, v11
	v_add_f32_e32 v5, v5, v10
.LBB49_960:
	s_or_b64 exec, exec, s[8:9]
	v_add_u32_e32 v9, 32, v1
	v_cmp_le_u32_e32 vcc, v0, v9
	s_and_saveexec_b64 s[8:9], vcc
	s_cbranch_execz .LBB49_962
; %bb.961:
	ds_read_b64 v[9:10], v6 offset:16384
	ds_read_b64 v[11:12], v7 offset:256
	s_waitcnt lgkmcnt(0)
	v_mul_f32_e32 v13, v12, v10
	v_mul_f32_e32 v10, v11, v10
	v_fma_f32 v11, v11, v9, -v13
	v_fmac_f32_e32 v10, v12, v9
	v_add_f32_e32 v4, v4, v11
	v_add_f32_e32 v5, v5, v10
.LBB49_962:
	s_or_b64 exec, exec, s[8:9]
	v_add_u32_e32 v1, 48, v1
	v_add_u32_e32 v9, 0x8000, v6
	v_cmp_le_u32_e32 vcc, v0, v1
	s_and_saveexec_b64 s[8:9], vcc
	s_cbranch_execz .LBB49_964
; %bb.963:
	ds_read_b64 v[10:11], v6 offset:24576
	ds_read_b64 v[6:7], v7 offset:384
	s_waitcnt lgkmcnt(0)
	v_mul_f32_e32 v1, v7, v11
	v_mul_f32_e32 v11, v6, v11
	v_fma_f32 v1, v6, v10, -v1
	v_fmac_f32_e32 v11, v7, v10
	v_add_f32_e32 v4, v4, v1
	v_add_f32_e32 v5, v5, v11
.LBB49_964:
	s_or_b64 exec, exec, s[8:9]
	s_mov_b64 s[10:11], 0
	s_mov_b64 s[8:9], 0
	ds_write_b64 v9, v[4:5]
	s_waitcnt lgkmcnt(0)
	s_barrier
                                        ; implicit-def: $vgpr1
                                        ; implicit-def: $vgpr6
	s_and_saveexec_b64 s[12:13], s[4:5]
	s_cbranch_execz .LBB49_984
; %bb.965:
	v_lshlrev_b32_e32 v1, 3, v0
	ds_read2st64_b64 v[9:12], v1 offset0:65 offset1:66
	ds_read2st64_b64 v[13:16], v1 offset0:67 offset1:68
	ds_read_b64 v[17:18], v1 offset:40448
	s_mov_b64 s[8:9], exec
	s_waitcnt lgkmcnt(2)
	v_add_f32_e32 v4, v4, v9
	v_add_f32_e32 v5, v5, v10
	;; [unrolled: 1-line block ×4, first 2 shown]
	ds_read2st64_b64 v[4:7], v1 offset0:69 offset1:70
	s_waitcnt lgkmcnt(2)
	v_add_f32_e32 v9, v9, v13
	v_add_f32_e32 v10, v10, v14
	;; [unrolled: 1-line block ×4, first 2 shown]
	s_waitcnt lgkmcnt(0)
	v_add_f32_e32 v4, v9, v4
	ds_read2st64_b64 v[9:12], v1 offset0:71 offset1:72
	v_add_f32_e32 v5, v13, v5
	v_add_f32_e32 v13, v4, v6
	;; [unrolled: 1-line block ×3, first 2 shown]
	ds_read2st64_b64 v[4:7], v1 offset0:73 offset1:74
	s_waitcnt lgkmcnt(1)
	v_add_f32_e32 v9, v13, v9
	v_add_f32_e32 v10, v14, v10
	;; [unrolled: 1-line block ×4, first 2 shown]
	s_waitcnt lgkmcnt(0)
	v_add_f32_e32 v4, v9, v4
	ds_read2st64_b64 v[9:12], v1 offset0:75 offset1:76
	v_add_f32_e32 v5, v13, v5
	v_add_f32_e32 v13, v4, v6
	;; [unrolled: 1-line block ×3, first 2 shown]
	ds_read2st64_b64 v[4:7], v1 offset0:77 offset1:78
	s_waitcnt lgkmcnt(1)
	v_add_f32_e32 v1, v13, v9
	v_add_f32_e32 v9, v14, v10
	;; [unrolled: 1-line block ×4, first 2 shown]
	s_waitcnt lgkmcnt(0)
	v_add_f32_e32 v1, v1, v4
	v_add_f32_e32 v4, v9, v5
	;; [unrolled: 1-line block ×6, first 2 shown]
	s_or_b64 exec, exec, s[12:13]
	s_and_b64 vcc, exec, s[10:11]
	s_cbranch_vccnz .LBB49_967
	s_branch .LBB49_985
.LBB49_966:
	s_mov_b64 s[8:9], 0
                                        ; implicit-def: $vgpr1
                                        ; implicit-def: $vgpr6
	s_cbranch_execz .LBB49_985
.LBB49_967:
	v_mov_b32_e32 v1, 0x7c00
	v_lshl_add_u32 v1, v0, 3, v1
	v_mov_b32_e32 v5, 63
	v_mov_b32_e32 v4, 0
	s_branch .LBB49_969
.LBB49_968:                             ;   in Loop: Header=BB49_969 Depth=1
	s_or_b64 exec, exec, s[10:11]
	v_subrev_co_u32_e32 v5, vcc, 1, v5
	s_andn2_b64 vcc, exec, vcc
	v_add_u32_e32 v1, 0xfffffc00, v1
	s_barrier
	s_cbranch_vccz .LBB49_977
.LBB49_969:                             ; =>This Inner Loop Header: Depth=1
	v_cmp_eq_u32_e32 vcc, v0, v5
	s_and_b64 s[12:13], s[4:5], vcc
	s_and_saveexec_b64 s[10:11], s[12:13]
; %bb.970:                              ;   in Loop: Header=BB49_969 Depth=1
	ds_write_b64 v4, v[2:3] offset:41472
; %bb.971:                              ;   in Loop: Header=BB49_969 Depth=1
	s_or_b64 exec, exec, s[10:11]
	v_cmp_lt_u32_e32 vcc, v0, v5
	s_and_b64 s[12:13], s[4:5], vcc
	s_waitcnt lgkmcnt(0)
	s_barrier
	s_and_saveexec_b64 s[10:11], s[12:13]
	s_cbranch_execz .LBB49_973
; %bb.972:                              ;   in Loop: Header=BB49_969 Depth=1
	ds_read_b64 v[6:7], v1 offset:512
	ds_read_b64 v[9:10], v4 offset:41472
	s_waitcnt lgkmcnt(0)
	v_mul_f32_e32 v11, v10, v7
	v_mul_f32_e32 v7, v9, v7
	v_fma_f32 v9, v9, v6, -v11
	v_fmac_f32_e32 v7, v10, v6
	v_add_f32_e32 v2, v2, v9
	v_add_f32_e32 v3, v3, v7
.LBB49_973:                             ;   in Loop: Header=BB49_969 Depth=1
	s_or_b64 exec, exec, s[10:11]
	v_add_u32_e32 v5, -1, v5
	v_cmp_eq_u32_e32 vcc, v0, v5
	s_and_b64 s[12:13], s[4:5], vcc
	s_barrier
	s_and_saveexec_b64 s[10:11], s[12:13]
; %bb.974:                              ;   in Loop: Header=BB49_969 Depth=1
	ds_write_b64 v4, v[2:3] offset:41472
; %bb.975:                              ;   in Loop: Header=BB49_969 Depth=1
	s_or_b64 exec, exec, s[10:11]
	v_cmp_lt_u32_e32 vcc, v0, v5
	s_and_b64 s[12:13], s[4:5], vcc
	s_waitcnt lgkmcnt(0)
	s_barrier
	s_and_saveexec_b64 s[10:11], s[12:13]
	s_cbranch_execz .LBB49_968
; %bb.976:                              ;   in Loop: Header=BB49_969 Depth=1
	ds_read_b64 v[6:7], v1
	ds_read_b64 v[9:10], v4 offset:41472
	s_waitcnt lgkmcnt(0)
	v_mul_f32_e32 v11, v10, v7
	v_mul_f32_e32 v7, v9, v7
	v_fma_f32 v9, v9, v6, -v11
	v_fmac_f32_e32 v7, v10, v6
	v_add_f32_e32 v2, v2, v9
	v_add_f32_e32 v3, v3, v7
	s_branch .LBB49_968
.LBB49_977:
	s_mov_b64 s[10:11], -1
	s_and_b64 vcc, exec, s[6:7]
	s_cbranch_vccnz .LBB49_986
; %bb.978:
	s_andn2_b64 vcc, exec, s[10:11]
	s_cbranch_vccz .LBB49_987
.LBB49_979:
	s_and_saveexec_b64 s[4:5], s[8:9]
	s_cbranch_execz .LBB49_981
.LBB49_980:
	s_lshl_b32 s6, s33, 6
	s_ashr_i32 s7, s6, 31
	v_mov_b32_e32 v0, s7
	v_add_co_u32_e32 v1, vcc, s6, v8
	v_addc_co_u32_e32 v0, vcc, 0, v0, vcc
	v_mul_lo_u32 v4, v0, s50
	v_mul_lo_u32 v5, v1, s51
	v_mad_u64_u32 v[0:1], s[6:7], v1, s50, 0
	v_add3_u32 v1, v1, v5, v4
	v_lshlrev_b64 v[0:1], 3, v[0:1]
	v_mov_b32_e32 v4, s43
	v_add_co_u32_e32 v0, vcc, s42, v0
	v_addc_co_u32_e32 v1, vcc, v4, v1, vcc
	global_store_dwordx2 v[0:1], v[2:3], off
.LBB49_981:
	s_or_b64 exec, exec, s[4:5]
	v_cmp_eq_u32_e32 vcc, 0, v8
	s_waitcnt vmcnt(0)
	buffer_wbinvl1_vol
	s_barrier
	s_and_saveexec_b64 s[4:5], vcc
	s_cbranch_execz .LBB49_983
; %bb.982:
	s_lshl_b64 s[6:7], s[22:23], 2
	s_add_u32 s6, s18, s6
	s_addc_u32 s7, s19, s7
	v_mov_b32_e32 v0, 0
	global_load_dword v1, v0, s[6:7]
	s_waitcnt vmcnt(0)
	v_add_u32_e32 v1, 1, v1
	global_store_dword v0, v1, s[6:7]
.LBB49_983:
	s_or_b64 exec, exec, s[4:5]
	s_waitcnt vmcnt(0)
	buffer_wbinvl1_vol
	s_endpgm
.LBB49_984:
	s_or_b64 exec, exec, s[12:13]
	s_and_b64 vcc, exec, s[10:11]
	s_cbranch_vccnz .LBB49_967
.LBB49_985:
	v_mov_b32_e32 v3, v1
	v_mov_b32_e32 v2, v6
	s_and_saveexec_b64 s[4:5], s[8:9]
	s_cbranch_execnz .LBB49_980
	s_branch .LBB49_981
.LBB49_986:
	s_andn2_b64 s[6:7], s[8:9], exec
	s_and_b64 s[8:9], s[4:5], exec
	s_or_b64 s[8:9], s[6:7], s[8:9]
	s_cbranch_execnz .LBB49_979
.LBB49_987:
	v_cmp_gt_i32_e32 vcc, s94, v0
	s_and_b64 s[4:5], s[4:5], vcc
	s_andn2_b64 s[6:7], s[8:9], exec
	s_and_b64 s[4:5], s[4:5], exec
	s_or_b64 s[8:9], s[6:7], s[4:5]
	s_and_saveexec_b64 s[4:5], s[8:9]
	s_cbranch_execnz .LBB49_980
	s_branch .LBB49_981
.LBB49_988:
	ds_read_b64 v[14:15], v12 offset:31680
	ds_read_b64 v[16:17], v13 offset:31208
	s_waitcnt lgkmcnt(0)
	v_mul_f32_e32 v18, v17, v15
	v_mul_f32_e32 v15, v16, v15
	v_fma_f32 v16, v16, v14, -v18
	v_fmac_f32_e32 v15, v17, v14
	v_add_f32_e32 v2, v2, v16
	v_add_f32_e32 v3, v3, v15
	s_or_b64 exec, exec, s[16:17]
	v_cmp_gt_u32_e64 s[12:13], 8, v8
	s_and_saveexec_b64 s[16:17], s[12:13]
	s_cbranch_execz .LBB49_90
.LBB49_989:
	ds_read_b64 v[14:15], v12 offset:32192
	ds_read_b64 v[12:13], v13 offset:31216
	s_waitcnt lgkmcnt(0)
	v_mul_f32_e32 v16, v13, v15
	v_mul_f32_e32 v15, v12, v15
	v_fma_f32 v12, v12, v14, -v16
	v_fmac_f32_e32 v15, v13, v14
	v_add_f32_e32 v2, v2, v12
	v_add_f32_e32 v3, v3, v15
	s_or_b64 exec, exec, s[16:17]
	v_cmp_gt_u32_e64 s[12:13], 4, v8
	s_and_saveexec_b64 s[16:17], s[12:13]
	s_cbranch_execnz .LBB49_91
	s_branch .LBB49_92
.LBB49_990:
	ds_read_b64 v[17:18], v15 offset:29568
	ds_read_b64 v[19:20], v16 offset:29128
	s_waitcnt lgkmcnt(0)
	v_mul_f32_e32 v21, v20, v18
	v_mul_f32_e32 v18, v19, v18
	v_fma_f32 v19, v19, v17, -v21
	v_fmac_f32_e32 v18, v20, v17
	v_add_f32_e32 v2, v2, v19
	v_add_f32_e32 v3, v3, v18
	s_or_b64 exec, exec, s[20:21]
	v_cmp_gt_u32_e64 s[14:15], 48, v8
	s_and_saveexec_b64 s[20:21], s[14:15]
	s_cbranch_execz .LBB49_128
.LBB49_991:
	ds_read_b64 v[17:18], v15 offset:30080
	ds_read_b64 v[19:20], v16 offset:29136
	s_waitcnt lgkmcnt(0)
	v_mul_f32_e32 v21, v20, v18
	v_mul_f32_e32 v18, v19, v18
	v_fma_f32 v19, v19, v17, -v21
	v_fmac_f32_e32 v18, v20, v17
	v_add_f32_e32 v2, v2, v19
	v_add_f32_e32 v3, v3, v18
	s_or_b64 exec, exec, s[20:21]
	v_cmp_gt_u32_e64 s[14:15], 40, v8
	s_and_saveexec_b64 s[20:21], s[14:15]
	s_cbranch_execz .LBB49_129
.LBB49_992:
	ds_read_b64 v[17:18], v15 offset:30592
	ds_read_b64 v[19:20], v16 offset:29144
	s_waitcnt lgkmcnt(0)
	v_mul_f32_e32 v21, v20, v18
	v_mul_f32_e32 v18, v19, v18
	v_fma_f32 v19, v19, v17, -v21
	v_fmac_f32_e32 v18, v20, v17
	v_add_f32_e32 v2, v2, v19
	v_add_f32_e32 v3, v3, v18
	s_or_b64 exec, exec, s[20:21]
	v_cmp_gt_u32_e64 s[14:15], 32, v8
	s_and_saveexec_b64 s[20:21], s[14:15]
	s_cbranch_execz .LBB49_130
.LBB49_993:
	ds_read_b64 v[17:18], v15 offset:31104
	ds_read_b64 v[19:20], v16 offset:29152
	s_waitcnt lgkmcnt(0)
	v_mul_f32_e32 v21, v20, v18
	v_mul_f32_e32 v18, v19, v18
	v_fma_f32 v19, v19, v17, -v21
	v_fmac_f32_e32 v18, v20, v17
	v_add_f32_e32 v2, v2, v19
	v_add_f32_e32 v3, v3, v18
	s_or_b64 exec, exec, s[20:21]
	v_cmp_gt_u32_e64 s[14:15], 24, v8
	s_and_saveexec_b64 s[20:21], s[14:15]
	s_cbranch_execz .LBB49_131
.LBB49_994:
	ds_read_b64 v[17:18], v15 offset:31616
	ds_read_b64 v[19:20], v16 offset:29160
	s_waitcnt lgkmcnt(0)
	v_mul_f32_e32 v21, v20, v18
	v_mul_f32_e32 v18, v19, v18
	v_fma_f32 v19, v19, v17, -v21
	v_fmac_f32_e32 v18, v20, v17
	v_add_f32_e32 v2, v2, v19
	v_add_f32_e32 v3, v3, v18
	s_or_b64 exec, exec, s[20:21]
	s_and_saveexec_b64 s[14:15], s[18:19]
	s_cbranch_execz .LBB49_132
.LBB49_995:
	ds_read_b64 v[17:18], v15 offset:32128
	ds_read_b64 v[15:16], v16 offset:29168
	s_waitcnt lgkmcnt(0)
	v_mul_f32_e32 v19, v16, v18
	v_mul_f32_e32 v18, v15, v18
	v_fma_f32 v15, v15, v17, -v19
	v_fmac_f32_e32 v18, v16, v17
	v_add_f32_e32 v2, v2, v15
	v_add_f32_e32 v3, v3, v18
	s_or_b64 exec, exec, s[14:15]
	v_cmp_gt_u32_e64 s[14:15], 8, v8
	s_and_saveexec_b64 s[20:21], s[14:15]
	s_cbranch_execnz .LBB49_133
	s_branch .LBB49_134
.LBB49_996:
	ds_read_b64 v[17:18], v15 offset:27520
	ds_read_b64 v[19:20], v16 offset:27048
	s_waitcnt lgkmcnt(0)
	v_mul_f32_e32 v21, v20, v18
	v_mul_f32_e32 v18, v19, v18
	v_fma_f32 v19, v19, v17, -v21
	v_fmac_f32_e32 v18, v20, v17
	v_add_f32_e32 v2, v2, v19
	v_add_f32_e32 v3, v3, v18
	s_or_b64 exec, exec, s[16:17]
	v_cmp_gt_u32_e64 s[12:13], 8, v8
	s_and_saveexec_b64 s[16:17], s[12:13]
	s_cbranch_execz .LBB49_186
.LBB49_997:
	ds_read_b64 v[17:18], v15 offset:28032
	ds_read_b64 v[15:16], v16 offset:27056
	s_waitcnt lgkmcnt(0)
	v_mul_f32_e32 v19, v16, v18
	v_mul_f32_e32 v18, v15, v18
	v_fma_f32 v15, v15, v17, -v19
	v_fmac_f32_e32 v18, v16, v17
	v_add_f32_e32 v2, v2, v15
	v_add_f32_e32 v3, v3, v18
	s_or_b64 exec, exec, s[16:17]
	v_cmp_gt_u32_e64 s[12:13], 4, v8
	s_and_saveexec_b64 s[16:17], s[12:13]
	s_cbranch_execnz .LBB49_187
	s_branch .LBB49_188
.LBB49_998:
	ds_read_b64 v[20:21], v18 offset:30464
	ds_read_b64 v[22:23], v19 offset:25048
	s_waitcnt lgkmcnt(0)
	v_mul_f32_e32 v24, v23, v21
	v_mul_f32_e32 v21, v22, v21
	v_fma_f32 v22, v22, v20, -v24
	v_fmac_f32_e32 v21, v23, v20
	v_add_f32_e32 v2, v2, v22
	v_add_f32_e32 v3, v3, v21
	s_or_b64 exec, exec, s[86:87]
	s_and_saveexec_b64 s[16:17], s[10:11]
	s_cbranch_execz .LBB49_244
.LBB49_999:
	ds_read_b64 v[20:21], v18 offset:30976
	ds_read_b64 v[22:23], v19 offset:25056
	s_waitcnt lgkmcnt(0)
	v_mul_f32_e32 v24, v23, v21
	v_mul_f32_e32 v21, v22, v21
	v_fma_f32 v22, v22, v20, -v24
	v_fmac_f32_e32 v21, v23, v20
	v_add_f32_e32 v2, v2, v22
	v_add_f32_e32 v3, v3, v21
	s_or_b64 exec, exec, s[16:17]
	v_cmp_gt_u32_e64 s[16:17], 48, v8
	s_and_saveexec_b64 s[86:87], s[16:17]
	s_cbranch_execz .LBB49_245
.LBB49_1000:
	ds_read_b64 v[20:21], v18 offset:31488
	ds_read_b64 v[22:23], v19 offset:25064
	s_waitcnt lgkmcnt(0)
	v_mul_f32_e32 v24, v23, v21
	v_mul_f32_e32 v21, v22, v21
	v_fma_f32 v22, v22, v20, -v24
	v_fmac_f32_e32 v21, v23, v20
	v_add_f32_e32 v2, v2, v22
	v_add_f32_e32 v3, v3, v21
	s_or_b64 exec, exec, s[86:87]
	v_cmp_gt_u32_e64 s[16:17], 32, v8
	s_and_saveexec_b64 s[86:87], s[16:17]
	s_cbranch_execz .LBB49_246
.LBB49_1001:
	ds_read_b64 v[20:21], v18 offset:32000
	ds_read_b64 v[18:19], v19 offset:25072
	s_waitcnt lgkmcnt(0)
	v_mul_f32_e32 v22, v19, v21
	v_mul_f32_e32 v21, v18, v21
	v_fma_f32 v18, v18, v20, -v22
	v_fmac_f32_e32 v21, v19, v20
	v_add_f32_e32 v2, v2, v18
	v_add_f32_e32 v3, v3, v21
	s_or_b64 exec, exec, s[86:87]
	v_cmp_gt_u32_e64 s[16:17], 16, v8
	s_and_saveexec_b64 s[86:87], s[16:17]
	s_cbranch_execnz .LBB49_247
	s_branch .LBB49_248
.LBB49_1002:
	ds_read_b64 v[20:21], v18 offset:23360
	ds_read_b64 v[22:23], v19 offset:22888
	s_waitcnt lgkmcnt(0)
	v_mul_f32_e32 v24, v23, v21
	v_mul_f32_e32 v21, v22, v21
	v_fma_f32 v22, v22, v20, -v24
	v_fmac_f32_e32 v21, v23, v20
	v_add_f32_e32 v2, v2, v22
	v_add_f32_e32 v3, v3, v21
	s_or_b64 exec, exec, s[20:21]
	v_cmp_gt_u32_e64 s[14:15], 8, v8
	s_and_saveexec_b64 s[20:21], s[14:15]
	s_cbranch_execz .LBB49_332
.LBB49_1003:
	ds_read_b64 v[20:21], v18 offset:23872
	ds_read_b64 v[18:19], v19 offset:22896
	s_waitcnt lgkmcnt(0)
	v_mul_f32_e32 v22, v19, v21
	v_mul_f32_e32 v21, v18, v21
	v_fma_f32 v18, v18, v20, -v22
	v_fmac_f32_e32 v21, v19, v20
	v_add_f32_e32 v2, v2, v18
	v_add_f32_e32 v3, v3, v21
	s_or_b64 exec, exec, s[20:21]
	v_cmp_gt_u32_e64 s[14:15], 4, v8
	s_and_saveexec_b64 s[20:21], s[14:15]
	s_cbranch_execnz .LBB49_333
	s_branch .LBB49_334
.LBB49_1004:
	ds_read_b64 v[20:21], v18 offset:21248
	ds_read_b64 v[22:23], v19 offset:20808
	s_waitcnt lgkmcnt(0)
	v_mul_f32_e32 v24, v23, v21
	v_mul_f32_e32 v21, v22, v21
	v_fma_f32 v22, v22, v20, -v24
	v_fmac_f32_e32 v21, v23, v20
	v_add_f32_e32 v2, v2, v22
	v_add_f32_e32 v3, v3, v21
	s_or_b64 exec, exec, s[20:21]
	v_cmp_gt_u32_e64 s[14:15], 48, v8
	s_and_saveexec_b64 s[20:21], s[14:15]
	s_cbranch_execz .LBB49_370
.LBB49_1005:
	ds_read_b64 v[20:21], v18 offset:21760
	ds_read_b64 v[22:23], v19 offset:20816
	s_waitcnt lgkmcnt(0)
	v_mul_f32_e32 v24, v23, v21
	v_mul_f32_e32 v21, v22, v21
	v_fma_f32 v22, v22, v20, -v24
	v_fmac_f32_e32 v21, v23, v20
	v_add_f32_e32 v2, v2, v22
	v_add_f32_e32 v3, v3, v21
	s_or_b64 exec, exec, s[20:21]
	v_cmp_gt_u32_e64 s[14:15], 40, v8
	s_and_saveexec_b64 s[20:21], s[14:15]
	s_cbranch_execz .LBB49_371
.LBB49_1006:
	ds_read_b64 v[20:21], v18 offset:22272
	ds_read_b64 v[22:23], v19 offset:20824
	s_waitcnt lgkmcnt(0)
	v_mul_f32_e32 v24, v23, v21
	v_mul_f32_e32 v21, v22, v21
	v_fma_f32 v22, v22, v20, -v24
	v_fmac_f32_e32 v21, v23, v20
	v_add_f32_e32 v2, v2, v22
	v_add_f32_e32 v3, v3, v21
	s_or_b64 exec, exec, s[20:21]
	v_cmp_gt_u32_e64 s[14:15], 32, v8
	s_and_saveexec_b64 s[20:21], s[14:15]
	s_cbranch_execz .LBB49_372
.LBB49_1007:
	ds_read_b64 v[20:21], v18 offset:22784
	ds_read_b64 v[22:23], v19 offset:20832
	s_waitcnt lgkmcnt(0)
	v_mul_f32_e32 v24, v23, v21
	v_mul_f32_e32 v21, v22, v21
	v_fma_f32 v22, v22, v20, -v24
	v_fmac_f32_e32 v21, v23, v20
	v_add_f32_e32 v2, v2, v22
	v_add_f32_e32 v3, v3, v21
	s_or_b64 exec, exec, s[20:21]
	v_cmp_gt_u32_e64 s[14:15], 24, v8
	s_and_saveexec_b64 s[20:21], s[14:15]
	s_cbranch_execz .LBB49_373
.LBB49_1008:
	ds_read_b64 v[20:21], v18 offset:23296
	ds_read_b64 v[22:23], v19 offset:20840
	s_waitcnt lgkmcnt(0)
	v_mul_f32_e32 v24, v23, v21
	v_mul_f32_e32 v21, v22, v21
	v_fma_f32 v22, v22, v20, -v24
	v_fmac_f32_e32 v21, v23, v20
	v_add_f32_e32 v2, v2, v22
	v_add_f32_e32 v3, v3, v21
	s_or_b64 exec, exec, s[20:21]
	s_and_saveexec_b64 s[14:15], s[18:19]
	s_cbranch_execz .LBB49_374
.LBB49_1009:
	ds_read_b64 v[20:21], v18 offset:23808
	ds_read_b64 v[18:19], v19 offset:20848
	s_waitcnt lgkmcnt(0)
	v_mul_f32_e32 v22, v19, v21
	v_mul_f32_e32 v21, v18, v21
	v_fma_f32 v18, v18, v20, -v22
	v_fmac_f32_e32 v21, v19, v20
	v_add_f32_e32 v2, v2, v18
	v_add_f32_e32 v3, v3, v21
	s_or_b64 exec, exec, s[14:15]
	v_cmp_gt_u32_e64 s[14:15], 8, v8
	s_and_saveexec_b64 s[20:21], s[14:15]
	s_cbranch_execnz .LBB49_375
	s_branch .LBB49_376
.LBB49_1010:
	ds_read_b64 v[20:21], v18 offset:19200
	ds_read_b64 v[22:23], v19 offset:18728
	s_waitcnt lgkmcnt(0)
	v_mul_f32_e32 v24, v23, v21
	v_mul_f32_e32 v21, v22, v21
	v_fma_f32 v22, v22, v20, -v24
	v_fmac_f32_e32 v21, v23, v20
	v_add_f32_e32 v2, v2, v22
	v_add_f32_e32 v3, v3, v21
	s_or_b64 exec, exec, s[20:21]
	v_cmp_gt_u32_e64 s[14:15], 8, v8
	s_and_saveexec_b64 s[20:21], s[14:15]
	s_cbranch_execz .LBB49_428
.LBB49_1011:
	ds_read_b64 v[20:21], v18 offset:19712
	ds_read_b64 v[18:19], v19 offset:18736
	s_waitcnt lgkmcnt(0)
	v_mul_f32_e32 v22, v19, v21
	v_mul_f32_e32 v21, v18, v21
	v_fma_f32 v18, v18, v20, -v22
	v_fmac_f32_e32 v21, v19, v20
	v_add_f32_e32 v2, v2, v18
	v_add_f32_e32 v3, v3, v21
	s_or_b64 exec, exec, s[20:21]
	v_cmp_gt_u32_e64 s[14:15], 4, v8
	s_and_saveexec_b64 s[20:21], s[14:15]
	s_cbranch_execnz .LBB49_429
	s_branch .LBB49_430
.LBB49_1012:
	ds_read_b64 v[23:24], v21 offset:31232
	ds_read_b64 v[25:26], v22 offset:16872
	s_waitcnt lgkmcnt(0)
	v_mul_f32_e32 v27, v26, v24
	v_mul_f32_e32 v24, v25, v24
	v_fma_f32 v25, v25, v23, -v27
	v_fmac_f32_e32 v24, v26, v23
	v_add_f32_e32 v2, v2, v25
	v_add_f32_e32 v3, v3, v24
	s_or_b64 exec, exec, s[86:87]
	s_and_saveexec_b64 s[20:21], s[10:11]
	s_cbranch_execz .LBB49_522
.LBB49_1013:
	ds_read_b64 v[23:24], v21 offset:31744
	ds_read_b64 v[25:26], v22 offset:16880
	s_waitcnt lgkmcnt(0)
	v_mul_f32_e32 v27, v26, v24
	v_mul_f32_e32 v24, v25, v24
	v_fma_f32 v25, v25, v23, -v27
	v_fmac_f32_e32 v24, v26, v23
	v_add_f32_e32 v2, v2, v25
	v_add_f32_e32 v3, v3, v24
	s_or_b64 exec, exec, s[20:21]
	v_cmp_gt_u32_e64 s[20:21], 32, v8
	s_and_saveexec_b64 s[86:87], s[20:21]
	s_cbranch_execnz .LBB49_523
	s_branch .LBB49_524
.LBB49_1014:
	ds_read_b64 v[20:21], v18 offset:15040
	ds_read_b64 v[22:23], v19 offset:14568
	s_waitcnt lgkmcnt(0)
	v_mul_f32_e32 v24, v23, v21
	v_mul_f32_e32 v21, v22, v21
	v_fma_f32 v22, v22, v20, -v24
	v_fmac_f32_e32 v21, v23, v20
	v_add_f32_e32 v2, v2, v22
	v_add_f32_e32 v3, v3, v21
	s_or_b64 exec, exec, s[20:21]
	v_cmp_gt_u32_e64 s[14:15], 8, v8
	s_and_saveexec_b64 s[20:21], s[14:15]
	s_cbranch_execz .LBB49_556
.LBB49_1015:
	ds_read_b64 v[20:21], v18 offset:15552
	ds_read_b64 v[18:19], v19 offset:14576
	s_waitcnt lgkmcnt(0)
	v_mul_f32_e32 v22, v19, v21
	v_mul_f32_e32 v21, v18, v21
	v_fma_f32 v18, v18, v20, -v22
	v_fmac_f32_e32 v21, v19, v20
	v_add_f32_e32 v2, v2, v18
	v_add_f32_e32 v3, v3, v21
	s_or_b64 exec, exec, s[20:21]
	v_cmp_gt_u32_e64 s[14:15], 4, v8
	s_and_saveexec_b64 s[20:21], s[14:15]
	s_cbranch_execnz .LBB49_557
	s_branch .LBB49_558
.LBB49_1016:
	ds_read_b64 v[20:21], v18 offset:12928
	ds_read_b64 v[22:23], v19 offset:12488
	s_waitcnt lgkmcnt(0)
	v_mul_f32_e32 v24, v23, v21
	v_mul_f32_e32 v21, v22, v21
	v_fma_f32 v22, v22, v20, -v24
	v_fmac_f32_e32 v21, v23, v20
	v_add_f32_e32 v2, v2, v22
	v_add_f32_e32 v3, v3, v21
	s_or_b64 exec, exec, s[20:21]
	v_cmp_gt_u32_e64 s[14:15], 48, v8
	s_and_saveexec_b64 s[20:21], s[14:15]
	s_cbranch_execz .LBB49_594
.LBB49_1017:
	ds_read_b64 v[20:21], v18 offset:13440
	ds_read_b64 v[22:23], v19 offset:12496
	s_waitcnt lgkmcnt(0)
	v_mul_f32_e32 v24, v23, v21
	v_mul_f32_e32 v21, v22, v21
	v_fma_f32 v22, v22, v20, -v24
	v_fmac_f32_e32 v21, v23, v20
	v_add_f32_e32 v2, v2, v22
	v_add_f32_e32 v3, v3, v21
	s_or_b64 exec, exec, s[20:21]
	v_cmp_gt_u32_e64 s[14:15], 40, v8
	s_and_saveexec_b64 s[20:21], s[14:15]
	s_cbranch_execz .LBB49_595
.LBB49_1018:
	ds_read_b64 v[20:21], v18 offset:13952
	ds_read_b64 v[22:23], v19 offset:12504
	s_waitcnt lgkmcnt(0)
	v_mul_f32_e32 v24, v23, v21
	v_mul_f32_e32 v21, v22, v21
	v_fma_f32 v22, v22, v20, -v24
	v_fmac_f32_e32 v21, v23, v20
	v_add_f32_e32 v2, v2, v22
	v_add_f32_e32 v3, v3, v21
	s_or_b64 exec, exec, s[20:21]
	v_cmp_gt_u32_e64 s[14:15], 32, v8
	s_and_saveexec_b64 s[20:21], s[14:15]
	s_cbranch_execz .LBB49_596
.LBB49_1019:
	ds_read_b64 v[20:21], v18 offset:14464
	ds_read_b64 v[22:23], v19 offset:12512
	s_waitcnt lgkmcnt(0)
	v_mul_f32_e32 v24, v23, v21
	v_mul_f32_e32 v21, v22, v21
	v_fma_f32 v22, v22, v20, -v24
	v_fmac_f32_e32 v21, v23, v20
	v_add_f32_e32 v2, v2, v22
	v_add_f32_e32 v3, v3, v21
	s_or_b64 exec, exec, s[20:21]
	v_cmp_gt_u32_e64 s[14:15], 24, v8
	s_and_saveexec_b64 s[20:21], s[14:15]
	s_cbranch_execz .LBB49_597
.LBB49_1020:
	ds_read_b64 v[20:21], v18 offset:14976
	ds_read_b64 v[22:23], v19 offset:12520
	s_waitcnt lgkmcnt(0)
	v_mul_f32_e32 v24, v23, v21
	v_mul_f32_e32 v21, v22, v21
	v_fma_f32 v22, v22, v20, -v24
	v_fmac_f32_e32 v21, v23, v20
	v_add_f32_e32 v2, v2, v22
	v_add_f32_e32 v3, v3, v21
	s_or_b64 exec, exec, s[20:21]
	s_and_saveexec_b64 s[14:15], s[18:19]
	s_cbranch_execz .LBB49_598
.LBB49_1021:
	ds_read_b64 v[20:21], v18 offset:15488
	ds_read_b64 v[18:19], v19 offset:12528
	s_waitcnt lgkmcnt(0)
	v_mul_f32_e32 v22, v19, v21
	v_mul_f32_e32 v21, v18, v21
	v_fma_f32 v18, v18, v20, -v22
	v_fmac_f32_e32 v21, v19, v20
	v_add_f32_e32 v2, v2, v18
	v_add_f32_e32 v3, v3, v21
	s_or_b64 exec, exec, s[14:15]
	v_cmp_gt_u32_e64 s[14:15], 8, v8
	s_and_saveexec_b64 s[20:21], s[14:15]
	s_cbranch_execnz .LBB49_599
	s_branch .LBB49_600
.LBB49_1022:
	ds_read_b64 v[20:21], v18 offset:10880
	ds_read_b64 v[22:23], v19 offset:10408
	s_waitcnt lgkmcnt(0)
	v_mul_f32_e32 v24, v23, v21
	v_mul_f32_e32 v21, v22, v21
	v_fma_f32 v22, v22, v20, -v24
	v_fmac_f32_e32 v21, v23, v20
	v_add_f32_e32 v2, v2, v22
	v_add_f32_e32 v3, v3, v21
	s_or_b64 exec, exec, s[20:21]
	v_cmp_gt_u32_e64 s[14:15], 8, v8
	s_and_saveexec_b64 s[20:21], s[14:15]
	s_cbranch_execz .LBB49_652
.LBB49_1023:
	ds_read_b64 v[20:21], v18 offset:11392
	ds_read_b64 v[18:19], v19 offset:10416
	s_waitcnt lgkmcnt(0)
	v_mul_f32_e32 v22, v19, v21
	v_mul_f32_e32 v21, v18, v21
	v_fma_f32 v18, v18, v20, -v22
	v_fmac_f32_e32 v21, v19, v20
	v_add_f32_e32 v2, v2, v18
	v_add_f32_e32 v3, v3, v21
	s_or_b64 exec, exec, s[20:21]
	v_cmp_gt_u32_e64 s[14:15], 4, v8
	s_and_saveexec_b64 s[20:21], s[14:15]
	s_cbranch_execnz .LBB49_653
	s_branch .LBB49_654
.LBB49_1024:
	ds_read_b64 v[20:21], v18 offset:13824
	ds_read_b64 v[22:23], v19 offset:8408
	s_waitcnt lgkmcnt(0)
	v_mul_f32_e32 v24, v23, v21
	v_mul_f32_e32 v21, v22, v21
	v_fma_f32 v22, v22, v20, -v24
	v_fmac_f32_e32 v21, v23, v20
	v_add_f32_e32 v2, v2, v22
	v_add_f32_e32 v3, v3, v21
	s_or_b64 exec, exec, s[20:21]
	s_and_saveexec_b64 s[14:15], s[10:11]
	s_cbranch_execz .LBB49_710
.LBB49_1025:
	ds_read_b64 v[20:21], v18 offset:14336
	ds_read_b64 v[22:23], v19 offset:8416
	s_waitcnt lgkmcnt(0)
	v_mul_f32_e32 v24, v23, v21
	v_mul_f32_e32 v21, v22, v21
	v_fma_f32 v22, v22, v20, -v24
	v_fmac_f32_e32 v21, v23, v20
	v_add_f32_e32 v2, v2, v22
	v_add_f32_e32 v3, v3, v21
	s_or_b64 exec, exec, s[14:15]
	v_cmp_gt_u32_e64 s[14:15], 48, v8
	s_and_saveexec_b64 s[20:21], s[14:15]
	s_cbranch_execz .LBB49_711
.LBB49_1026:
	ds_read_b64 v[20:21], v18 offset:14848
	ds_read_b64 v[22:23], v19 offset:8424
	s_waitcnt lgkmcnt(0)
	v_mul_f32_e32 v24, v23, v21
	v_mul_f32_e32 v21, v22, v21
	v_fma_f32 v22, v22, v20, -v24
	v_fmac_f32_e32 v21, v23, v20
	v_add_f32_e32 v2, v2, v22
	v_add_f32_e32 v3, v3, v21
	s_or_b64 exec, exec, s[20:21]
	v_cmp_gt_u32_e64 s[14:15], 32, v8
	s_and_saveexec_b64 s[20:21], s[14:15]
	s_cbranch_execz .LBB49_712
.LBB49_1027:
	ds_read_b64 v[20:21], v18 offset:15360
	ds_read_b64 v[18:19], v19 offset:8432
	s_waitcnt lgkmcnt(0)
	v_mul_f32_e32 v22, v19, v21
	v_mul_f32_e32 v21, v18, v21
	v_fma_f32 v18, v18, v20, -v22
	v_fmac_f32_e32 v21, v19, v20
	v_add_f32_e32 v2, v2, v18
	v_add_f32_e32 v3, v3, v21
	s_or_b64 exec, exec, s[20:21]
	v_cmp_gt_u32_e64 s[14:15], 16, v8
	s_and_saveexec_b64 s[20:21], s[14:15]
	s_cbranch_execnz .LBB49_713
	s_branch .LBB49_714
.LBB49_1028:
	ds_read_b64 v[17:18], v15 offset:6720
	ds_read_b64 v[19:20], v16 offset:6248
	s_waitcnt lgkmcnt(0)
	v_mul_f32_e32 v21, v20, v18
	v_mul_f32_e32 v18, v19, v18
	v_fma_f32 v19, v19, v17, -v21
	v_fmac_f32_e32 v18, v20, v17
	v_add_f32_e32 v2, v2, v19
	v_add_f32_e32 v3, v3, v18
	s_or_b64 exec, exec, s[16:17]
	v_cmp_gt_u32_e64 s[12:13], 8, v8
	s_and_saveexec_b64 s[16:17], s[12:13]
	s_cbranch_execz .LBB49_798
.LBB49_1029:
	ds_read_b64 v[17:18], v15 offset:7232
	ds_read_b64 v[15:16], v16 offset:6256
	s_waitcnt lgkmcnt(0)
	v_mul_f32_e32 v19, v16, v18
	v_mul_f32_e32 v18, v15, v18
	v_fma_f32 v15, v15, v17, -v19
	v_fmac_f32_e32 v18, v16, v17
	v_add_f32_e32 v2, v2, v15
	v_add_f32_e32 v3, v3, v18
	s_or_b64 exec, exec, s[16:17]
	v_cmp_gt_u32_e64 s[12:13], 4, v8
	s_and_saveexec_b64 s[16:17], s[12:13]
	s_cbranch_execnz .LBB49_799
	s_branch .LBB49_800
.LBB49_1030:
	ds_read_b64 v[17:18], v15 offset:4608
	ds_read_b64 v[19:20], v16 offset:4168
	s_waitcnt lgkmcnt(0)
	v_mul_f32_e32 v21, v20, v18
	v_mul_f32_e32 v18, v19, v18
	v_fma_f32 v19, v19, v17, -v21
	v_fmac_f32_e32 v18, v20, v17
	v_add_f32_e32 v2, v2, v19
	v_add_f32_e32 v3, v3, v18
	s_or_b64 exec, exec, s[16:17]
	v_cmp_gt_u32_e64 s[12:13], 48, v8
	s_and_saveexec_b64 s[16:17], s[12:13]
	s_cbranch_execz .LBB49_836
.LBB49_1031:
	ds_read_b64 v[17:18], v15 offset:5120
	ds_read_b64 v[19:20], v16 offset:4176
	s_waitcnt lgkmcnt(0)
	v_mul_f32_e32 v21, v20, v18
	v_mul_f32_e32 v18, v19, v18
	v_fma_f32 v19, v19, v17, -v21
	v_fmac_f32_e32 v18, v20, v17
	v_add_f32_e32 v2, v2, v19
	v_add_f32_e32 v3, v3, v18
	s_or_b64 exec, exec, s[16:17]
	v_cmp_gt_u32_e64 s[12:13], 40, v8
	s_and_saveexec_b64 s[16:17], s[12:13]
	s_cbranch_execz .LBB49_837
.LBB49_1032:
	ds_read_b64 v[17:18], v15 offset:5632
	ds_read_b64 v[19:20], v16 offset:4184
	s_waitcnt lgkmcnt(0)
	v_mul_f32_e32 v21, v20, v18
	v_mul_f32_e32 v18, v19, v18
	v_fma_f32 v19, v19, v17, -v21
	v_fmac_f32_e32 v18, v20, v17
	v_add_f32_e32 v2, v2, v19
	v_add_f32_e32 v3, v3, v18
	s_or_b64 exec, exec, s[16:17]
	v_cmp_gt_u32_e64 s[12:13], 32, v8
	s_and_saveexec_b64 s[16:17], s[12:13]
	s_cbranch_execz .LBB49_838
.LBB49_1033:
	ds_read_b64 v[17:18], v15 offset:6144
	ds_read_b64 v[19:20], v16 offset:4192
	s_waitcnt lgkmcnt(0)
	v_mul_f32_e32 v21, v20, v18
	v_mul_f32_e32 v18, v19, v18
	v_fma_f32 v19, v19, v17, -v21
	v_fmac_f32_e32 v18, v20, v17
	v_add_f32_e32 v2, v2, v19
	v_add_f32_e32 v3, v3, v18
	s_or_b64 exec, exec, s[16:17]
	v_cmp_gt_u32_e64 s[12:13], 24, v8
	s_and_saveexec_b64 s[16:17], s[12:13]
	s_cbranch_execz .LBB49_839
.LBB49_1034:
	ds_read_b64 v[17:18], v15 offset:6656
	ds_read_b64 v[19:20], v16 offset:4200
	s_waitcnt lgkmcnt(0)
	v_mul_f32_e32 v21, v20, v18
	v_mul_f32_e32 v18, v19, v18
	v_fma_f32 v19, v19, v17, -v21
	v_fmac_f32_e32 v18, v20, v17
	v_add_f32_e32 v2, v2, v19
	v_add_f32_e32 v3, v3, v18
	s_or_b64 exec, exec, s[16:17]
	s_and_saveexec_b64 s[12:13], s[18:19]
	s_cbranch_execz .LBB49_840
.LBB49_1035:
	ds_read_b64 v[17:18], v15 offset:7168
	ds_read_b64 v[15:16], v16 offset:4208
	s_waitcnt lgkmcnt(0)
	v_mul_f32_e32 v19, v16, v18
	v_mul_f32_e32 v18, v15, v18
	v_fma_f32 v15, v15, v17, -v19
	v_fmac_f32_e32 v18, v16, v17
	v_add_f32_e32 v2, v2, v15
	v_add_f32_e32 v3, v3, v18
	s_or_b64 exec, exec, s[12:13]
	v_cmp_gt_u32_e64 s[12:13], 8, v8
	s_and_saveexec_b64 s[16:17], s[12:13]
	s_cbranch_execnz .LBB49_841
	s_branch .LBB49_842
.LBB49_1036:
	ds_read_b64 v[14:15], v12 offset:2560
	ds_read_b64 v[16:17], v13 offset:2088
	s_waitcnt lgkmcnt(0)
	v_mul_f32_e32 v18, v17, v15
	v_mul_f32_e32 v15, v16, v15
	v_fma_f32 v16, v16, v14, -v18
	v_fmac_f32_e32 v15, v17, v14
	v_add_f32_e32 v2, v2, v16
	v_add_f32_e32 v3, v3, v15
	s_or_b64 exec, exec, s[14:15]
	v_cmp_gt_u32_e64 s[10:11], 8, v8
	s_and_saveexec_b64 s[14:15], s[10:11]
	s_cbranch_execz .LBB49_894
.LBB49_1037:
	ds_read_b64 v[14:15], v12 offset:3072
	ds_read_b64 v[12:13], v13 offset:2096
	s_waitcnt lgkmcnt(0)
	v_mul_f32_e32 v16, v13, v15
	v_mul_f32_e32 v15, v12, v15
	v_fma_f32 v12, v12, v14, -v16
	v_fmac_f32_e32 v15, v13, v14
	v_add_f32_e32 v2, v2, v12
	v_add_f32_e32 v3, v3, v15
	s_or_b64 exec, exec, s[14:15]
	v_cmp_gt_u32_e64 s[10:11], 4, v8
	s_and_saveexec_b64 s[14:15], s[10:11]
	s_cbranch_execnz .LBB49_895
	s_branch .LBB49_896
	.section	.rodata,"a",@progbits
	.p2align	6, 0x0
	.amdhsa_kernel _ZL19rocblas_trsv_deviceILi64ELi16ELb0ELb0ELb0ELb1E19rocblas_complex_numIfEPKS1_S3_PS1_EviT7_lllT6_T8_lllPii
		.amdhsa_group_segment_fixed_size 41480
		.amdhsa_private_segment_fixed_size 48
		.amdhsa_kernarg_size 352
		.amdhsa_user_sgpr_count 8
		.amdhsa_user_sgpr_private_segment_buffer 1
		.amdhsa_user_sgpr_dispatch_ptr 0
		.amdhsa_user_sgpr_queue_ptr 0
		.amdhsa_user_sgpr_kernarg_segment_ptr 1
		.amdhsa_user_sgpr_dispatch_id 0
		.amdhsa_user_sgpr_flat_scratch_init 1
		.amdhsa_user_sgpr_private_segment_size 0
		.amdhsa_uses_dynamic_stack 0
		.amdhsa_system_sgpr_private_segment_wavefront_offset 1
		.amdhsa_system_sgpr_workgroup_id_x 1
		.amdhsa_system_sgpr_workgroup_id_y 0
		.amdhsa_system_sgpr_workgroup_id_z 1
		.amdhsa_system_sgpr_workgroup_info 0
		.amdhsa_system_vgpr_workitem_id 1
		.amdhsa_next_free_vgpr 49
		.amdhsa_next_free_sgpr 100
		.amdhsa_reserve_vcc 1
		.amdhsa_reserve_flat_scratch 1
		.amdhsa_float_round_mode_32 0
		.amdhsa_float_round_mode_16_64 0
		.amdhsa_float_denorm_mode_32 3
		.amdhsa_float_denorm_mode_16_64 3
		.amdhsa_dx10_clamp 1
		.amdhsa_ieee_mode 1
		.amdhsa_fp16_overflow 0
		.amdhsa_exception_fp_ieee_invalid_op 0
		.amdhsa_exception_fp_denorm_src 0
		.amdhsa_exception_fp_ieee_div_zero 0
		.amdhsa_exception_fp_ieee_overflow 0
		.amdhsa_exception_fp_ieee_underflow 0
		.amdhsa_exception_fp_ieee_inexact 0
		.amdhsa_exception_int_div_zero 0
	.end_amdhsa_kernel
	.section	.text._ZL19rocblas_trsv_deviceILi64ELi16ELb0ELb0ELb0ELb1E19rocblas_complex_numIfEPKS1_S3_PS1_EviT7_lllT6_T8_lllPii,"axG",@progbits,_ZL19rocblas_trsv_deviceILi64ELi16ELb0ELb0ELb0ELb1E19rocblas_complex_numIfEPKS1_S3_PS1_EviT7_lllT6_T8_lllPii,comdat
.Lfunc_end49:
	.size	_ZL19rocblas_trsv_deviceILi64ELi16ELb0ELb0ELb0ELb1E19rocblas_complex_numIfEPKS1_S3_PS1_EviT7_lllT6_T8_lllPii, .Lfunc_end49-_ZL19rocblas_trsv_deviceILi64ELi16ELb0ELb0ELb0ELb1E19rocblas_complex_numIfEPKS1_S3_PS1_EviT7_lllT6_T8_lllPii
                                        ; -- End function
	.set _ZL19rocblas_trsv_deviceILi64ELi16ELb0ELb0ELb0ELb1E19rocblas_complex_numIfEPKS1_S3_PS1_EviT7_lllT6_T8_lllPii.num_vgpr, 29
	.set _ZL19rocblas_trsv_deviceILi64ELi16ELb0ELb0ELb0ELb1E19rocblas_complex_numIfEPKS1_S3_PS1_EviT7_lllT6_T8_lllPii.num_agpr, 0
	.set _ZL19rocblas_trsv_deviceILi64ELi16ELb0ELb0ELb0ELb1E19rocblas_complex_numIfEPKS1_S3_PS1_EviT7_lllT6_T8_lllPii.numbered_sgpr, 100
	.set _ZL19rocblas_trsv_deviceILi64ELi16ELb0ELb0ELb0ELb1E19rocblas_complex_numIfEPKS1_S3_PS1_EviT7_lllT6_T8_lllPii.num_named_barrier, 0
	.set _ZL19rocblas_trsv_deviceILi64ELi16ELb0ELb0ELb0ELb1E19rocblas_complex_numIfEPKS1_S3_PS1_EviT7_lllT6_T8_lllPii.private_seg_size, 48
	.set _ZL19rocblas_trsv_deviceILi64ELi16ELb0ELb0ELb0ELb1E19rocblas_complex_numIfEPKS1_S3_PS1_EviT7_lllT6_T8_lllPii.uses_vcc, 1
	.set _ZL19rocblas_trsv_deviceILi64ELi16ELb0ELb0ELb0ELb1E19rocblas_complex_numIfEPKS1_S3_PS1_EviT7_lllT6_T8_lllPii.uses_flat_scratch, 1
	.set _ZL19rocblas_trsv_deviceILi64ELi16ELb0ELb0ELb0ELb1E19rocblas_complex_numIfEPKS1_S3_PS1_EviT7_lllT6_T8_lllPii.has_dyn_sized_stack, 0
	.set _ZL19rocblas_trsv_deviceILi64ELi16ELb0ELb0ELb0ELb1E19rocblas_complex_numIfEPKS1_S3_PS1_EviT7_lllT6_T8_lllPii.has_recursion, 0
	.set _ZL19rocblas_trsv_deviceILi64ELi16ELb0ELb0ELb0ELb1E19rocblas_complex_numIfEPKS1_S3_PS1_EviT7_lllT6_T8_lllPii.has_indirect_call, 0
	.section	.AMDGPU.csdata,"",@progbits
; Kernel info:
; codeLenInByte = 34996
; TotalNumSgprs: 106
; NumVgprs: 29
; ScratchSize: 48
; MemoryBound: 1
; FloatMode: 240
; IeeeMode: 1
; LDSByteSize: 41480 bytes/workgroup (compile time only)
; SGPRBlocks: 13
; VGPRBlocks: 12
; NumSGPRsForWavesPerEU: 106
; NumVGPRsForWavesPerEU: 49
; Occupancy: 4
; WaveLimiterHint : 0
; COMPUTE_PGM_RSRC2:SCRATCH_EN: 1
; COMPUTE_PGM_RSRC2:USER_SGPR: 8
; COMPUTE_PGM_RSRC2:TRAP_HANDLER: 0
; COMPUTE_PGM_RSRC2:TGID_X_EN: 1
; COMPUTE_PGM_RSRC2:TGID_Y_EN: 0
; COMPUTE_PGM_RSRC2:TGID_Z_EN: 1
; COMPUTE_PGM_RSRC2:TIDIG_COMP_CNT: 1
	.section	.text._ZL19rocblas_trsv_deviceILi64ELi16ELb0ELb1ELb0ELb1E19rocblas_complex_numIfEPKS1_S3_PS1_EviT7_lllT6_T8_lllPii,"axG",@progbits,_ZL19rocblas_trsv_deviceILi64ELi16ELb0ELb1ELb0ELb1E19rocblas_complex_numIfEPKS1_S3_PS1_EviT7_lllT6_T8_lllPii,comdat
	.globl	_ZL19rocblas_trsv_deviceILi64ELi16ELb0ELb1ELb0ELb1E19rocblas_complex_numIfEPKS1_S3_PS1_EviT7_lllT6_T8_lllPii ; -- Begin function _ZL19rocblas_trsv_deviceILi64ELi16ELb0ELb1ELb0ELb1E19rocblas_complex_numIfEPKS1_S3_PS1_EviT7_lllT6_T8_lllPii
	.p2align	8
	.type	_ZL19rocblas_trsv_deviceILi64ELi16ELb0ELb1ELb0ELb1E19rocblas_complex_numIfEPKS1_S3_PS1_EviT7_lllT6_T8_lllPii,@function
_ZL19rocblas_trsv_deviceILi64ELi16ELb0ELb1ELb0ELb1E19rocblas_complex_numIfEPKS1_S3_PS1_EviT7_lllT6_T8_lllPii: ; @_ZL19rocblas_trsv_deviceILi64ELi16ELb0ELb1ELb0ELb1E19rocblas_complex_numIfEPKS1_S3_PS1_EviT7_lllT6_T8_lllPii
; %bb.0:
	s_load_dwordx16 s[36:51], s[4:5], 0x8
	s_load_dword s33, s[4:5], 0x0
	s_add_u32 flat_scratch_lo, s6, s10
	s_addc_u32 flat_scratch_hi, s7, 0
	s_add_u32 s0, s0, s10
	s_waitcnt lgkmcnt(0)
	s_mul_i32 s6, s43, s9
	s_mul_hi_u32 s7, s42, s9
	s_addc_u32 s1, s1, 0
	s_add_i32 s7, s7, s6
	s_mul_i32 s6, s42, s9
	s_lshl_b64 s[6:7], s[6:7], 3
	s_mov_b32 s26, s9
	s_add_u32 s9, s36, s6
	s_load_dwordx2 s[30:31], s[44:45], 0x0
	s_load_dword s24, s[4:5], 0x6c
	s_addc_u32 s10, s37, s7
	s_lshl_b64 s[6:7], s[38:39], 3
	s_add_u32 s94, s9, s6
	s_addc_u32 s95, s10, s7
	s_cmp_eq_u32 s8, 0
	s_mov_b32 s27, 0
	s_cbranch_scc1 .LBB50_18
; %bb.1:
	s_lshl_b32 s9, s8, 6
	v_add_u32_e32 v6, s9, v0
	v_ashrrev_i32_e32 v2, 31, v6
	v_mul_lo_u32 v7, s40, v2
	v_mul_lo_u32 v8, s41, v6
	v_mad_u64_u32 v[2:3], s[6:7], s40, v6, 0
	v_add_u32_e32 v4, s9, v1
	v_subrev_u32_e32 v4, 64, v4
	v_add3_u32 v3, v3, v7, v8
	v_lshlrev_b64 v[2:3], 3, v[2:3]
	v_ashrrev_i32_e32 v5, 31, v4
	v_mov_b32_e32 v7, s95
	v_add_co_u32_e64 v8, s[6:7], s94, v2
	v_addc_co_u32_e64 v7, s[6:7], v7, v3, s[6:7]
	v_lshlrev_b64 v[2:3], 3, v[4:5]
	v_max_i32_e32 v5, v4, v6
	v_add_co_u32_e64 v2, s[6:7], v8, v2
	v_addc_co_u32_e64 v3, s[6:7], v7, v3, s[6:7]
	v_cmp_gt_i32_e32 vcc, s33, v6
	v_cmp_le_i32_e64 s[6:7], s33, v5
	s_waitcnt lgkmcnt(0)
	s_barrier
	s_and_saveexec_b64 s[10:11], s[6:7]
	s_xor_b64 s[6:7], exec, s[10:11]
	s_cbranch_execz .LBB50_3
; %bb.2:
	v_mov_b32_e32 v5, 0
	buffer_store_dword v5, off, s[0:3], 0
	buffer_store_dword v5, off, s[0:3], 0 offset:4
.LBB50_3:
	s_andn2_saveexec_b64 s[6:7], s[6:7]
	s_cbranch_execz .LBB50_5
; %bb.4:
	global_load_dwordx2 v[5:6], v[2:3], off
	s_waitcnt vmcnt(0)
	buffer_store_dword v6, off, s[0:3], 0 offset:4
	buffer_store_dword v5, off, s[0:3], 0
.LBB50_5:
	s_or_b64 exec, exec, s[6:7]
	v_add_u32_e32 v5, 16, v4
	v_cmp_le_i32_e64 s[6:7], s33, v5
	s_xor_b64 s[10:11], vcc, -1
	s_or_b64 s[6:7], s[6:7], s[10:11]
	s_waitcnt vmcnt(0)
	s_barrier
	s_and_saveexec_b64 s[12:13], s[6:7]
	s_xor_b64 s[6:7], exec, s[12:13]
	s_cbranch_execz .LBB50_7
; %bb.6:
	v_mov_b32_e32 v5, 0
	buffer_store_dword v5, off, s[0:3], 0 offset:8
	buffer_store_dword v5, off, s[0:3], 0 offset:12
.LBB50_7:
	s_andn2_saveexec_b64 s[6:7], s[6:7]
	s_cbranch_execz .LBB50_9
; %bb.8:
	global_load_dwordx2 v[5:6], v[2:3], off offset:128
	s_waitcnt vmcnt(0)
	buffer_store_dword v6, off, s[0:3], 0 offset:12
	buffer_store_dword v5, off, s[0:3], 0 offset:8
.LBB50_9:
	s_or_b64 exec, exec, s[6:7]
	v_add_u32_e32 v5, 32, v4
	v_cmp_le_i32_e32 vcc, s33, v5
	s_or_b64 s[6:7], vcc, s[10:11]
	s_waitcnt vmcnt(0)
	s_barrier
	s_and_saveexec_b64 s[12:13], s[6:7]
	s_xor_b64 s[6:7], exec, s[12:13]
	s_cbranch_execz .LBB50_11
; %bb.10:
	v_mov_b32_e32 v5, 0
	buffer_store_dword v5, off, s[0:3], 0 offset:16
	buffer_store_dword v5, off, s[0:3], 0 offset:20
.LBB50_11:
	s_andn2_saveexec_b64 s[6:7], s[6:7]
	s_cbranch_execz .LBB50_13
; %bb.12:
	global_load_dwordx2 v[5:6], v[2:3], off offset:256
	s_waitcnt vmcnt(0)
	buffer_store_dword v6, off, s[0:3], 0 offset:20
	buffer_store_dword v5, off, s[0:3], 0 offset:16
.LBB50_13:
	s_or_b64 exec, exec, s[6:7]
	v_add_u32_e32 v4, 48, v4
	v_cmp_le_i32_e32 vcc, s33, v4
	s_or_b64 s[6:7], vcc, s[10:11]
	s_waitcnt vmcnt(0)
	s_barrier
	s_and_saveexec_b64 s[10:11], s[6:7]
	s_xor_b64 s[6:7], exec, s[10:11]
	s_cbranch_execz .LBB50_15
; %bb.14:
	v_mov_b32_e32 v2, 0
	buffer_store_dword v2, off, s[0:3], 0 offset:24
	buffer_store_dword v2, off, s[0:3], 0 offset:28
                                        ; implicit-def: $vgpr2_vgpr3
.LBB50_15:
	s_andn2_saveexec_b64 s[6:7], s[6:7]
	s_cbranch_execz .LBB50_17
; %bb.16:
	global_load_dwordx2 v[2:3], v[2:3], off offset:384
	s_waitcnt vmcnt(0)
	buffer_store_dword v3, off, s[0:3], 0 offset:28
	buffer_store_dword v2, off, s[0:3], 0 offset:24
.LBB50_17:
	s_or_b64 exec, exec, s[6:7]
.LBB50_18:
	s_ashr_i32 s6, s33, 31
	s_lshr_b32 s6, s6, 26
	s_add_i32 s6, s33, s6
	s_andn2_b32 s6, s6, 63
	s_sub_i32 s9, s33, s6
	s_add_i32 s6, s33, -1
	s_ashr_i32 s7, s6, 31
	s_lshr_b32 s7, s7, 26
	s_add_i32 s6, s6, s7
	s_ashr_i32 s6, s6, 6
	s_cmp_eq_u32 s6, s8
	s_cselect_b64 s[6:7], -1, 0
	s_cmp_lg_u32 s9, 0
	s_cselect_b64 s[10:11], -1, 0
	s_and_b64 s[28:29], s[10:11], s[6:7]
	s_cmp_lt_i32 s8, 5
	s_cselect_b64 s[12:13], -1, 0
	v_lshlrev_b32_e32 v2, 6, v0
	s_mov_b64 s[16:17], -1
	s_or_b64 s[6:7], s[12:13], s[28:29]
	s_and_b64 vcc, exec, s[28:29]
	v_add_u32_e32 v3, v1, v2
	v_cmp_le_u32_e64 s[10:11], v1, v0
	v_lshlrev_b32_e32 v8, 3, v0
	v_lshl_add_u32 v6, v1, 6, v0
	s_cbranch_vccnz .LBB50_44
; %bb.19:
	s_add_u32 s14, s40, 1
	s_addc_u32 s15, s41, 0
	s_lshl_b32 s16, s8, 6
	s_ashr_i32 s17, s16, 31
	s_mul_hi_u32 s18, s14, s16
	s_mul_i32 s17, s14, s17
	s_add_i32 s17, s18, s17
	s_mul_i32 s15, s15, s16
	s_add_i32 s15, s17, s15
	s_mul_i32 s14, s14, s16
	s_lshl_b64 s[14:15], s[14:15], 3
	s_add_u32 s14, s94, s14
	s_addc_u32 s15, s95, s15
	v_lshlrev_b32_e32 v4, 3, v0
	v_mov_b32_e32 v5, s15
	v_add_co_u32_e32 v4, vcc, s14, v4
	v_addc_co_u32_e32 v5, vcc, 0, v5, vcc
	v_cndmask_b32_e64 v7, v6, v3, s[12:13]
	s_and_saveexec_b64 s[12:13], s[10:11]
	s_xor_b64 s[10:11], exec, s[12:13]
	s_cbranch_execz .LBB50_23
; %bb.20:
	v_or_b32_e32 v9, v1, v0
	v_cmp_gt_u32_e32 vcc, 64, v9
	s_and_saveexec_b64 s[12:13], vcc
; %bb.21:
	v_mov_b32_e32 v9, 0
	v_lshlrev_b32_e32 v7, 3, v7
	v_mov_b32_e32 v10, v9
	ds_write_b64 v7, v[9:10]
; %bb.22:
	s_or_b64 exec, exec, s[12:13]
                                        ; implicit-def: $vgpr7
.LBB50_23:
	s_andn2_saveexec_b64 s[10:11], s[10:11]
	s_cbranch_execz .LBB50_25
; %bb.24:
	v_mad_u64_u32 v[9:10], s[12:13], s40, v1, 0
	v_lshlrev_b32_e32 v7, 3, v7
	v_mad_u64_u32 v[10:11], s[12:13], s41, v1, v[10:11]
	v_lshlrev_b64 v[9:10], 3, v[9:10]
	v_add_co_u32_e32 v9, vcc, v4, v9
	v_addc_co_u32_e32 v10, vcc, v5, v10, vcc
	global_load_dwordx2 v[9:10], v[9:10], off
	s_waitcnt vmcnt(0)
	v_xor_b32_e32 v9, 0x80000000, v9
	v_xor_b32_e32 v10, 0x80000000, v10
	ds_write_b64 v7, v[9:10]
.LBB50_25:
	s_or_b64 exec, exec, s[10:11]
	v_add_u32_e32 v9, 16, v1
	v_add_u32_e32 v7, v9, v2
	v_lshl_add_u32 v10, v9, 6, v0
	v_cndmask_b32_e64 v7, v10, v7, s[6:7]
	v_cmp_le_u32_e32 vcc, v9, v0
	s_and_saveexec_b64 s[10:11], vcc
	s_xor_b64 s[10:11], exec, s[10:11]
	s_cbranch_execz .LBB50_29
; %bb.26:
	v_or_b32_e32 v9, v9, v0
	v_cmp_gt_u32_e32 vcc, 64, v9
	s_and_saveexec_b64 s[12:13], vcc
; %bb.27:
	v_mov_b32_e32 v9, 0
	v_lshlrev_b32_e32 v7, 3, v7
	v_mov_b32_e32 v10, v9
	ds_write_b64 v7, v[9:10]
; %bb.28:
	s_or_b64 exec, exec, s[12:13]
                                        ; implicit-def: $vgpr9
                                        ; implicit-def: $vgpr7
.LBB50_29:
	s_andn2_saveexec_b64 s[10:11], s[10:11]
	s_cbranch_execz .LBB50_31
; %bb.30:
	v_mad_u64_u32 v[10:11], s[12:13], s40, v9, 0
	v_lshlrev_b32_e32 v7, 3, v7
	v_mad_u64_u32 v[11:12], s[12:13], s41, v9, v[11:12]
	v_lshlrev_b64 v[9:10], 3, v[10:11]
	v_add_co_u32_e32 v9, vcc, v4, v9
	v_addc_co_u32_e32 v10, vcc, v5, v10, vcc
	global_load_dwordx2 v[9:10], v[9:10], off
	s_waitcnt vmcnt(0)
	v_xor_b32_e32 v9, 0x80000000, v9
	v_xor_b32_e32 v10, 0x80000000, v10
	ds_write_b64 v7, v[9:10]
.LBB50_31:
	s_or_b64 exec, exec, s[10:11]
	v_add_u32_e32 v9, 32, v1
	v_add_u32_e32 v7, v9, v2
	v_lshl_add_u32 v10, v9, 6, v0
	v_cndmask_b32_e64 v7, v10, v7, s[6:7]
	v_cmp_le_u32_e32 vcc, v9, v0
	s_and_saveexec_b64 s[10:11], vcc
	s_xor_b64 s[10:11], exec, s[10:11]
	s_cbranch_execz .LBB50_35
; %bb.32:
	v_or_b32_e32 v9, v9, v0
	v_cmp_gt_u32_e32 vcc, 64, v9
	s_and_saveexec_b64 s[12:13], vcc
; %bb.33:
	v_mov_b32_e32 v9, 0
	v_lshlrev_b32_e32 v7, 3, v7
	v_mov_b32_e32 v10, v9
	ds_write_b64 v7, v[9:10]
; %bb.34:
	s_or_b64 exec, exec, s[12:13]
                                        ; implicit-def: $vgpr9
                                        ; implicit-def: $vgpr7
.LBB50_35:
	s_andn2_saveexec_b64 s[10:11], s[10:11]
	s_cbranch_execz .LBB50_37
; %bb.36:
	v_mad_u64_u32 v[10:11], s[12:13], s40, v9, 0
	v_lshlrev_b32_e32 v7, 3, v7
	v_mad_u64_u32 v[11:12], s[12:13], s41, v9, v[11:12]
	v_lshlrev_b64 v[9:10], 3, v[10:11]
	v_add_co_u32_e32 v9, vcc, v4, v9
	v_addc_co_u32_e32 v10, vcc, v5, v10, vcc
	global_load_dwordx2 v[9:10], v[9:10], off
	s_waitcnt vmcnt(0)
	v_xor_b32_e32 v9, 0x80000000, v9
	v_xor_b32_e32 v10, 0x80000000, v10
	ds_write_b64 v7, v[9:10]
.LBB50_37:
	s_or_b64 exec, exec, s[10:11]
	v_add_u32_e32 v9, 48, v1
	v_add_u32_e32 v7, v9, v2
	v_lshl_add_u32 v10, v9, 6, v0
	v_cndmask_b32_e64 v7, v10, v7, s[6:7]
	v_cmp_le_u32_e32 vcc, v9, v0
	s_and_saveexec_b64 s[10:11], vcc
	s_xor_b64 s[10:11], exec, s[10:11]
	s_cbranch_execz .LBB50_41
; %bb.38:
	v_or_b32_e32 v4, v9, v0
	v_cmp_gt_u32_e32 vcc, 64, v4
	s_and_saveexec_b64 s[12:13], vcc
; %bb.39:
	v_mov_b32_e32 v4, 0
	v_lshlrev_b32_e32 v7, 3, v7
	v_mov_b32_e32 v5, v4
	ds_write_b64 v7, v[4:5]
; %bb.40:
	s_or_b64 exec, exec, s[12:13]
                                        ; implicit-def: $vgpr9
                                        ; implicit-def: $vgpr4
                                        ; implicit-def: $vgpr5
                                        ; implicit-def: $vgpr7
.LBB50_41:
	s_andn2_saveexec_b64 s[10:11], s[10:11]
	s_cbranch_execz .LBB50_43
; %bb.42:
	v_mad_u64_u32 v[10:11], s[12:13], s40, v9, 0
	v_lshlrev_b32_e32 v7, 3, v7
	v_mad_u64_u32 v[11:12], s[12:13], s41, v9, v[11:12]
	v_lshlrev_b64 v[9:10], 3, v[10:11]
	v_add_co_u32_e32 v4, vcc, v4, v9
	v_addc_co_u32_e32 v5, vcc, v5, v10, vcc
	global_load_dwordx2 v[4:5], v[4:5], off
	s_waitcnt vmcnt(0)
	v_xor_b32_e32 v4, 0x80000000, v4
	v_xor_b32_e32 v5, 0x80000000, v5
	ds_write_b64 v7, v[4:5]
.LBB50_43:
	s_or_b64 exec, exec, s[10:11]
	s_mov_b64 s[16:17], 0
.LBB50_44:
	s_xor_b64 s[14:15], s[6:7], -1
	s_and_b64 vcc, exec, s[16:17]
	s_cbranch_vccz .LBB50_70
; %bb.45:
	s_add_u32 s10, s40, 1
	s_addc_u32 s11, s41, 0
	s_lshl_b32 s12, s8, 6
	s_ashr_i32 s13, s12, 31
	s_mul_hi_u32 s16, s10, s12
	s_mul_i32 s13, s10, s13
	s_add_i32 s13, s16, s13
	s_mul_i32 s11, s11, s12
	s_add_i32 s11, s13, s11
	s_mul_i32 s10, s10, s12
	s_lshl_b64 s[10:11], s[10:11], 3
	s_add_u32 s10, s94, s10
	s_addc_u32 s11, s95, s11
	v_lshlrev_b32_e32 v4, 3, v0
	v_mov_b32_e32 v5, s11
	v_add_co_u32_e64 v4, s[10:11], s10, v4
	v_addc_co_u32_e64 v5, s[10:11], 0, v5, s[10:11]
	v_max_i32_e32 v7, v1, v0
	v_cmp_le_u32_e64 s[10:11], v1, v0
	v_cmp_le_i32_e64 s[12:13], s9, v7
	v_cmp_gt_i32_e32 vcc, s9, v0
	s_or_b64 s[10:11], s[12:13], s[10:11]
	s_and_saveexec_b64 s[12:13], s[10:11]
	s_xor_b64 s[12:13], exec, s[12:13]
	s_cbranch_execz .LBB50_49
; %bb.46:
	v_or_b32_e32 v7, v1, v0
	v_cmp_gt_u32_e64 s[10:11], 64, v7
	s_and_saveexec_b64 s[16:17], s[10:11]
; %bb.47:
	v_mov_b32_e32 v9, 0
	v_lshlrev_b32_e32 v3, 3, v3
	v_mov_b32_e32 v10, v9
	ds_write_b64 v3, v[9:10]
; %bb.48:
	s_or_b64 exec, exec, s[16:17]
                                        ; implicit-def: $vgpr3
.LBB50_49:
	s_andn2_saveexec_b64 s[12:13], s[12:13]
	s_cbranch_execz .LBB50_51
; %bb.50:
	v_mad_u64_u32 v[9:10], s[10:11], s40, v1, 0
	v_lshlrev_b32_e32 v3, 3, v3
	v_mov_b32_e32 v7, v10
	v_mad_u64_u32 v[10:11], s[10:11], s41, v1, v[7:8]
	v_lshlrev_b64 v[9:10], 3, v[9:10]
	v_add_co_u32_e64 v9, s[10:11], v4, v9
	v_addc_co_u32_e64 v10, s[10:11], v5, v10, s[10:11]
	global_load_dwordx2 v[9:10], v[9:10], off
	s_waitcnt vmcnt(0)
	v_xor_b32_e32 v9, 0x80000000, v9
	v_xor_b32_e32 v10, 0x80000000, v10
	ds_write_b64 v3, v[9:10]
.LBB50_51:
	s_or_b64 exec, exec, s[12:13]
	v_add_u32_e32 v7, 16, v1
	v_cmp_gt_u32_e64 s[10:11], v7, v0
	v_cmp_gt_i32_e64 s[12:13], s9, v7
	s_and_b64 s[10:11], s[10:11], s[12:13]
	v_add_u32_e32 v3, v7, v2
	v_lshl_add_u32 v9, v7, 6, v0
	s_and_b64 s[10:11], s[10:11], vcc
	v_cndmask_b32_e64 v3, v9, v3, s[6:7]
	s_xor_b64 s[10:11], s[10:11], -1
	s_and_saveexec_b64 s[12:13], s[10:11]
	s_xor_b64 s[12:13], exec, s[12:13]
	s_cbranch_execz .LBB50_55
; %bb.52:
	v_or_b32_e32 v7, v7, v0
	v_cmp_gt_u32_e64 s[10:11], 64, v7
	s_and_saveexec_b64 s[16:17], s[10:11]
; %bb.53:
	v_mov_b32_e32 v9, 0
	v_lshlrev_b32_e32 v3, 3, v3
	v_mov_b32_e32 v10, v9
	ds_write_b64 v3, v[9:10]
; %bb.54:
	s_or_b64 exec, exec, s[16:17]
                                        ; implicit-def: $vgpr7
                                        ; implicit-def: $vgpr3
.LBB50_55:
	s_andn2_saveexec_b64 s[12:13], s[12:13]
	s_cbranch_execz .LBB50_57
; %bb.56:
	v_mad_u64_u32 v[9:10], s[10:11], s40, v7, 0
	v_lshlrev_b32_e32 v3, 3, v3
	v_mad_u64_u32 v[10:11], s[10:11], s41, v7, v[10:11]
	v_lshlrev_b64 v[9:10], 3, v[9:10]
	v_add_co_u32_e64 v9, s[10:11], v4, v9
	v_addc_co_u32_e64 v10, s[10:11], v5, v10, s[10:11]
	global_load_dwordx2 v[9:10], v[9:10], off
	s_waitcnt vmcnt(0)
	v_xor_b32_e32 v9, 0x80000000, v9
	v_xor_b32_e32 v10, 0x80000000, v10
	ds_write_b64 v3, v[9:10]
.LBB50_57:
	s_or_b64 exec, exec, s[12:13]
	v_add_u32_e32 v7, 32, v1
	v_cmp_gt_u32_e64 s[10:11], v7, v0
	v_cmp_gt_i32_e64 s[12:13], s9, v7
	s_and_b64 s[10:11], s[10:11], s[12:13]
	v_add_u32_e32 v3, v7, v2
	v_lshl_add_u32 v9, v7, 6, v0
	s_and_b64 s[10:11], s[10:11], vcc
	v_cndmask_b32_e64 v3, v9, v3, s[6:7]
	s_xor_b64 s[10:11], s[10:11], -1
	s_and_saveexec_b64 s[12:13], s[10:11]
	s_xor_b64 s[12:13], exec, s[12:13]
	s_cbranch_execz .LBB50_61
; %bb.58:
	v_or_b32_e32 v7, v7, v0
	v_cmp_gt_u32_e64 s[10:11], 64, v7
	s_and_saveexec_b64 s[16:17], s[10:11]
; %bb.59:
	v_mov_b32_e32 v9, 0
	v_lshlrev_b32_e32 v3, 3, v3
	v_mov_b32_e32 v10, v9
	ds_write_b64 v3, v[9:10]
; %bb.60:
	s_or_b64 exec, exec, s[16:17]
                                        ; implicit-def: $vgpr7
                                        ; implicit-def: $vgpr3
.LBB50_61:
	s_andn2_saveexec_b64 s[12:13], s[12:13]
	s_cbranch_execz .LBB50_63
; %bb.62:
	v_mad_u64_u32 v[9:10], s[10:11], s40, v7, 0
	v_lshlrev_b32_e32 v3, 3, v3
	v_mad_u64_u32 v[10:11], s[10:11], s41, v7, v[10:11]
	v_lshlrev_b64 v[9:10], 3, v[9:10]
	v_add_co_u32_e64 v9, s[10:11], v4, v9
	v_addc_co_u32_e64 v10, s[10:11], v5, v10, s[10:11]
	global_load_dwordx2 v[9:10], v[9:10], off
	s_waitcnt vmcnt(0)
	v_xor_b32_e32 v9, 0x80000000, v9
	v_xor_b32_e32 v10, 0x80000000, v10
	ds_write_b64 v3, v[9:10]
.LBB50_63:
	s_or_b64 exec, exec, s[12:13]
	v_add_u32_e32 v3, 48, v1
	v_add_u32_e32 v2, v3, v2
	v_lshl_add_u32 v7, v3, 6, v0
	v_cndmask_b32_e64 v2, v7, v2, s[6:7]
	v_cmp_gt_u32_e64 s[6:7], v3, v0
	v_cmp_gt_i32_e64 s[10:11], s9, v3
	s_and_b64 s[6:7], s[6:7], s[10:11]
	s_and_b64 s[6:7], s[6:7], vcc
	s_xor_b64 s[6:7], s[6:7], -1
	s_and_saveexec_b64 s[10:11], s[6:7]
	s_xor_b64 s[6:7], exec, s[10:11]
	s_cbranch_execz .LBB50_67
; %bb.64:
	v_or_b32_e32 v3, v3, v0
	v_cmp_gt_u32_e32 vcc, 64, v3
	s_and_saveexec_b64 s[10:11], vcc
; %bb.65:
	v_lshlrev_b32_e32 v4, 3, v2
	v_mov_b32_e32 v2, 0
	v_mov_b32_e32 v3, v2
	ds_write_b64 v4, v[2:3]
; %bb.66:
	s_or_b64 exec, exec, s[10:11]
                                        ; implicit-def: $vgpr3
                                        ; implicit-def: $vgpr4
                                        ; implicit-def: $vgpr5
                                        ; implicit-def: $vgpr2
.LBB50_67:
	s_andn2_saveexec_b64 s[6:7], s[6:7]
	s_cbranch_execz .LBB50_69
; %bb.68:
	v_mad_u64_u32 v[9:10], s[10:11], s40, v3, 0
	v_lshlrev_b32_e32 v2, 3, v2
	v_mov_b32_e32 v7, v10
	v_mad_u64_u32 v[10:11], s[10:11], s41, v3, v[7:8]
	v_lshlrev_b64 v[9:10], 3, v[9:10]
	v_add_co_u32_e32 v3, vcc, v4, v9
	v_addc_co_u32_e32 v4, vcc, v5, v10, vcc
	global_load_dwordx2 v[3:4], v[3:4], off
	s_waitcnt vmcnt(0)
	v_xor_b32_e32 v3, 0x80000000, v3
	v_xor_b32_e32 v4, 0x80000000, v4
	ds_write_b64 v2, v[3:4]
.LBB50_69:
	s_or_b64 exec, exec, s[6:7]
.LBB50_70:
	v_cndmask_b32_e64 v2, 0, 1, s[14:15]
	v_cmp_ne_u32_e64 s[44:45], 1, v2
	s_andn2_b64 vcc, exec, s[14:15]
	s_waitcnt vmcnt(0) lgkmcnt(0)
	s_barrier
	s_cbranch_vccnz .LBB50_992
; %bb.71:
	v_or_b32_e32 v2, v0, v1
	s_mov_b32 s11, 0
	v_cmp_eq_u32_e32 vcc, 0, v2
	s_and_saveexec_b64 s[6:7], vcc
	s_cbranch_execz .LBB50_73
; %bb.72:
	v_mov_b32_e32 v7, 0
	ds_read_b64 v[2:3], v7 offset:32752
	s_mov_b32 s10, 1.0
	v_mov_b32_e32 v4, s10
	v_mov_b32_e32 v5, s11
	s_movk_i32 s10, 0x7800
	ds_write_b64 v7, v[4:5] offset:32760
	v_add_u32_e64 v7, s10, 0
	s_waitcnt lgkmcnt(1)
	ds_write2_b64 v7, v[4:5], v[2:3] offset0:190 offset1:191
.LBB50_73:
	s_or_b64 exec, exec, s[6:7]
	v_lshlrev_b32_e32 v2, 6, v1
	v_add_u32_e32 v9, v2, v0
	v_and_b32_e32 v3, v2, v0
	v_xor_b32_e32 v2, v2, v0
	v_lshrrev_b16_e32 v2, 1, v2
	v_add_u16_e32 v7, v3, v2
	v_and_b32_e32 v4, 1, v0
	v_sub_u32_e32 v5, 1, v7
	v_cmp_lt_u32_e64 s[10:11], 3, v9
	v_cmp_gt_u32_e64 s[22:23], 4, v9
	v_mov_b32_e32 v2, 0
	v_mov_b32_e32 v3, 0
	s_waitcnt lgkmcnt(0)
	s_barrier
	buffer_wbinvl1_vol
	s_and_saveexec_b64 s[6:7], s[22:23]
	s_cbranch_execz .LBB50_77
; %bb.74:
	v_lshlrev_b32_e32 v2, 3, v4
	v_lshlrev_b32_e32 v10, 9, v5
	ds_read_b64 v[2:3], v2 offset:32224
	ds_read_b64 v[10:11], v10 offset:32240
	v_cmp_gt_u32_e64 s[12:13], 2, v9
	s_waitcnt lgkmcnt(0)
	v_mul_f32_e32 v12, v11, v3
	v_mul_f32_e32 v3, v10, v3
	v_fma_f32 v10, v10, v2, -v12
	v_fmac_f32_e32 v3, v11, v2
	v_add_f32_e32 v2, 0, v10
	v_add_f32_e32 v3, 0, v3
	s_and_saveexec_b64 s[14:15], s[12:13]
	s_cbranch_execz .LBB50_76
; %bb.75:
	v_lshlrev_b32_e32 v10, 3, v0
	v_mov_b32_e32 v12, 0
	ds_read_b64 v[10:11], v10 offset:32736
	ds_read_b64 v[12:13], v12 offset:32760
	s_waitcnt lgkmcnt(0)
	v_mul_f32_e32 v14, v13, v11
	v_mul_f32_e32 v11, v12, v11
	v_fma_f32 v12, v12, v10, -v14
	v_fmac_f32_e32 v11, v13, v10
	v_add_f32_e32 v2, v2, v12
	v_add_f32_e32 v3, v3, v11
.LBB50_76:
	s_or_b64 exec, exec, s[14:15]
.LBB50_77:
	s_or_b64 exec, exec, s[6:7]
	v_mov_b32_e32 v10, 0x8000
	v_cmp_ne_u32_e64 s[12:13], 0, v4
	s_xor_b64 s[6:7], s[10:11], -1
	v_lshl_add_u32 v7, v7, 3, v10
	s_and_b64 s[36:37], s[12:13], s[6:7]
	s_and_saveexec_b64 s[10:11], s[36:37]
; %bb.78:
	v_xor_b32_e32 v11, 0x80000000, v3
	v_xor_b32_e32 v10, 0x80000000, v2
	ds_write_b64 v7, v[10:11]
; %bb.79:
	s_or_b64 exec, exec, s[10:11]
	v_cmp_eq_u32_e64 s[10:11], 0, v4
	s_and_b64 s[34:35], s[10:11], s[6:7]
	s_waitcnt lgkmcnt(0)
	s_barrier
	s_and_saveexec_b64 s[6:7], s[34:35]
	s_cbranch_execz .LBB50_81
; %bb.80:
	v_mov_b32_e32 v10, 0
	ds_read_b64 v[10:11], v10 offset:31712
	ds_read_b64 v[12:13], v7
	s_waitcnt lgkmcnt(0)
	v_mul_f32_e32 v14, v12, v10
	v_mul_f32_e32 v12, v12, v11
	v_fmac_f32_e32 v12, v13, v10
	v_fma_f32 v10, v13, v11, -v14
	v_add_f32_e32 v2, v2, v10
	v_sub_f32_e32 v3, v3, v12
.LBB50_81:
	s_or_b64 exec, exec, s[6:7]
	s_barrier
	s_and_saveexec_b64 s[6:7], s[34:35]
; %bb.82:
	v_xor_b32_e32 v11, 0x80000000, v3
	v_xor_b32_e32 v10, 0x80000000, v2
	ds_write_b64 v7, v[10:11]
; %bb.83:
	s_or_b64 exec, exec, s[6:7]
	s_waitcnt lgkmcnt(0)
	s_barrier
	s_barrier
	s_and_saveexec_b64 s[6:7], s[22:23]
; %bb.84:
	v_lshlrev_b32_e32 v10, 3, v4
	v_lshl_or_b32 v10, v5, 9, v10
	ds_write_b64 v10, v[2:3] offset:32224
; %bb.85:
	s_or_b64 exec, exec, s[6:7]
	v_cmp_eq_u32_e64 s[16:17], 0, v1
	v_cmp_gt_u32_e64 s[10:11], 2, v0
	s_and_b64 s[38:39], s[16:17], s[10:11]
	s_waitcnt lgkmcnt(0)
	s_barrier
	s_barrier
	s_and_saveexec_b64 s[6:7], s[38:39]
	s_cbranch_execz .LBB50_87
; %bb.86:
	v_lshlrev_b32_e32 v10, 3, v0
	s_movk_i32 s10, 0x1f8
	v_mad_u32_u24 v11, v0, s10, v10
	ds_read_b64 v[2:3], v11 offset:32224
	s_waitcnt lgkmcnt(0)
	ds_write_b64 v10, v[2:3] offset:31216
	ds_read_b64 v[2:3], v11 offset:32232
	s_waitcnt lgkmcnt(0)
	ds_write_b64 v10, v[2:3] offset:31728
.LBB50_87:
	s_or_b64 exec, exec, s[6:7]
	s_waitcnt lgkmcnt(0)
	s_barrier
	s_and_saveexec_b64 s[6:7], vcc
	s_cbranch_execz .LBB50_89
; %bb.88:
	v_mov_b32_e32 v12, 0
	ds_read_b64 v[2:3], v12 offset:31712
	s_mov_b64 s[10:11], 0x3f800000
	v_mov_b32_e32 v10, s10
	v_mov_b32_e32 v11, s11
	s_movk_i32 s10, 0x7800
	ds_write_b64 v12, v[10:11] offset:31720
	v_add_u32_e64 v12, s10, 0
	s_waitcnt lgkmcnt(1)
	ds_write2_b64 v12, v[10:11], v[2:3] offset0:60 offset1:61
.LBB50_89:
	s_or_b64 exec, exec, s[6:7]
	v_lshrrev_b32_e32 v12, 2, v9
	v_and_b32_e32 v10, 3, v0
	v_sub_u32_e32 v11, 3, v12
	v_cmp_lt_u32_e64 s[12:13], 15, v9
	v_cmp_gt_u32_e64 s[10:11], 16, v9
	v_mov_b32_e32 v3, 0
	v_mov_b32_e32 v2, 0
	s_waitcnt lgkmcnt(0)
	s_barrier
	buffer_wbinvl1_vol
	s_and_saveexec_b64 s[6:7], s[10:11]
	s_cbranch_execz .LBB50_95
; %bb.90:
	v_lshlrev_b32_e32 v13, 3, v10
	v_lshlrev_b32_e32 v14, 9, v11
	ds_read_b64 v[2:3], v13 offset:31168
	ds_read_b64 v[15:16], v14 offset:31200
	v_cmp_gt_u32_e64 s[14:15], 12, v9
	s_waitcnt lgkmcnt(0)
	v_mul_f32_e32 v17, v16, v3
	v_mul_f32_e32 v3, v15, v3
	v_fma_f32 v15, v15, v2, -v17
	v_fmac_f32_e32 v3, v16, v2
	v_add_f32_e32 v2, 0, v15
	v_add_f32_e32 v3, 0, v3
	s_and_saveexec_b64 s[18:19], s[14:15]
	s_cbranch_execnz .LBB50_1052
; %bb.91:
	s_or_b64 exec, exec, s[18:19]
	v_cmp_gt_u32_e64 s[14:15], 8, v9
	s_and_saveexec_b64 s[18:19], s[14:15]
	s_cbranch_execnz .LBB50_1053
.LBB50_92:
	s_or_b64 exec, exec, s[18:19]
	v_cmp_gt_u32_e64 s[14:15], 4, v9
	s_and_saveexec_b64 s[18:19], s[14:15]
	s_cbranch_execz .LBB50_94
.LBB50_93:
	v_lshlrev_b32_e32 v13, 3, v0
	v_mov_b32_e32 v15, 0
	ds_read_b64 v[13:14], v13 offset:32704
	ds_read_b64 v[15:16], v15 offset:32760
	s_waitcnt lgkmcnt(0)
	v_mul_f32_e32 v17, v16, v14
	v_mul_f32_e32 v14, v15, v14
	v_fma_f32 v15, v15, v13, -v17
	v_fmac_f32_e32 v14, v16, v13
	v_add_f32_e32 v2, v2, v15
	v_add_f32_e32 v3, v3, v14
.LBB50_94:
	s_or_b64 exec, exec, s[18:19]
.LBB50_95:
                                        ; implicit-def: $vgpr29 : SGPR spill to VGPR lane
	v_writelane_b32 v29, s44, 0
	v_writelane_b32 v29, s45, 1
	s_or_b64 exec, exec, s[6:7]
	v_mov_b32_e32 v13, 0x8000
	v_cmp_eq_u32_e64 s[14:15], 3, v10
	s_xor_b64 s[6:7], s[12:13], -1
	v_lshl_add_u32 v12, v12, 3, v13
	s_and_b64 s[44:45], s[14:15], s[6:7]
	s_and_saveexec_b64 s[12:13], s[44:45]
; %bb.96:
	v_xor_b32_e32 v13, 0x80000000, v2
	v_xor_b32_e32 v14, 0x80000000, v3
	ds_write_b64 v12, v[13:14]
; %bb.97:
	s_or_b64 exec, exec, s[12:13]
	v_cmp_ne_u32_e64 s[12:13], 3, v10
	s_and_b64 s[52:53], s[12:13], s[6:7]
	s_waitcnt lgkmcnt(0)
	s_barrier
	s_and_saveexec_b64 s[12:13], s[52:53]
	s_cbranch_execz .LBB50_99
; %bb.98:
	v_lshlrev_b32_e32 v13, 3, v10
	ds_read_b64 v[13:14], v13 offset:30656
	ds_read_b64 v[15:16], v12
	s_waitcnt lgkmcnt(0)
	v_mul_f32_e32 v17, v16, v14
	v_mul_f32_e32 v14, v15, v14
	v_fma_f32 v15, v15, v13, -v17
	v_fmac_f32_e32 v14, v16, v13
	v_sub_f32_e32 v2, v2, v15
	v_sub_f32_e32 v3, v3, v14
.LBB50_99:
	s_or_b64 exec, exec, s[12:13]
	v_cmp_eq_u32_e64 s[12:13], 2, v10
	s_and_b64 s[54:55], s[12:13], s[6:7]
	s_barrier
	s_and_saveexec_b64 s[12:13], s[54:55]
; %bb.100:
	v_xor_b32_e32 v13, 0x80000000, v2
	v_xor_b32_e32 v14, 0x80000000, v3
	ds_write_b64 v12, v[13:14]
; %bb.101:
	s_or_b64 exec, exec, s[12:13]
	v_cmp_gt_u32_e64 s[12:13], 2, v10
	s_and_b64 s[56:57], s[12:13], s[6:7]
	s_waitcnt lgkmcnt(0)
	s_barrier
	s_and_saveexec_b64 s[12:13], s[56:57]
	s_cbranch_execz .LBB50_103
; %bb.102:
	v_lshlrev_b32_e32 v13, 3, v10
	ds_read_b64 v[13:14], v13 offset:30144
	ds_read_b64 v[15:16], v12
	s_waitcnt lgkmcnt(0)
	v_mul_f32_e32 v17, v16, v14
	v_mul_f32_e32 v14, v15, v14
	v_fma_f32 v15, v15, v13, -v17
	v_fmac_f32_e32 v14, v16, v13
	v_sub_f32_e32 v2, v2, v15
	v_sub_f32_e32 v3, v3, v14
.LBB50_103:
	s_or_b64 exec, exec, s[12:13]
	v_cmp_eq_u32_e64 s[12:13], 1, v10
	s_and_b64 s[58:59], s[12:13], s[6:7]
	s_barrier
	s_and_saveexec_b64 s[12:13], s[58:59]
; %bb.104:
	v_xor_b32_e32 v13, 0x80000000, v2
	v_xor_b32_e32 v14, 0x80000000, v3
	ds_write_b64 v12, v[13:14]
; %bb.105:
	s_or_b64 exec, exec, s[12:13]
	v_cmp_eq_u32_e64 s[12:13], 0, v10
	s_and_b64 s[42:43], s[12:13], s[6:7]
	s_waitcnt lgkmcnt(0)
	s_barrier
	s_and_saveexec_b64 s[6:7], s[42:43]
	s_cbranch_execz .LBB50_107
; %bb.106:
	v_mov_b32_e32 v13, 0
	ds_read_b64 v[13:14], v13 offset:29632
	ds_read_b64 v[15:16], v12
	s_waitcnt lgkmcnt(0)
	v_mul_f32_e32 v17, v16, v14
	v_mul_f32_e32 v14, v15, v14
	v_fma_f32 v15, v15, v13, -v17
	v_fmac_f32_e32 v14, v16, v13
	v_sub_f32_e32 v2, v2, v15
	v_sub_f32_e32 v3, v3, v14
.LBB50_107:
	s_or_b64 exec, exec, s[6:7]
	s_barrier
	s_and_saveexec_b64 s[6:7], s[42:43]
; %bb.108:
	v_xor_b32_e32 v13, 0x80000000, v2
	v_xor_b32_e32 v14, 0x80000000, v3
	ds_write_b64 v12, v[13:14]
; %bb.109:
	s_or_b64 exec, exec, s[6:7]
	s_waitcnt lgkmcnt(0)
	s_barrier
	s_barrier
	s_and_saveexec_b64 s[6:7], s[10:11]
; %bb.110:
	v_lshlrev_b32_e32 v13, 3, v10
	v_lshl_or_b32 v13, v11, 9, v13
	ds_write_b64 v13, v[2:3] offset:31168
; %bb.111:
	s_or_b64 exec, exec, s[6:7]
	v_cmp_gt_u32_e64 s[12:13], 4, v0
	s_and_b64 s[60:61], s[16:17], s[12:13]
	s_waitcnt lgkmcnt(0)
	s_barrier
	s_barrier
	s_and_saveexec_b64 s[6:7], s[60:61]
	s_cbranch_execz .LBB50_113
; %bb.112:
	v_lshlrev_b32_e32 v13, 9, v0
	ds_read_b64 v[2:3], v13 offset:31168
	s_movk_i32 s12, 0xfe08
	v_mad_i32_i24 v14, v0, s12, v13
	s_waitcnt lgkmcnt(0)
	ds_write_b64 v14, v[2:3] offset:29152
	ds_read_b64 v[2:3], v13 offset:31176
	s_waitcnt lgkmcnt(0)
	ds_write_b64 v14, v[2:3] offset:29664
	ds_read_b64 v[2:3], v13 offset:31184
	;; [unrolled: 3-line block ×3, first 2 shown]
	s_waitcnt lgkmcnt(0)
	ds_write_b64 v14, v[2:3] offset:30688
.LBB50_113:
	s_or_b64 exec, exec, s[6:7]
	s_waitcnt lgkmcnt(0)
	s_barrier
	s_and_saveexec_b64 s[6:7], vcc
	s_cbranch_execz .LBB50_115
; %bb.114:
	v_mov_b32_e32 v15, 0
	ds_read_b64 v[2:3], v15 offset:30672
	s_mov_b64 s[12:13], 0x3f800000
	v_mov_b32_e32 v14, s13
	v_mov_b32_e32 v13, s12
	s_movk_i32 s12, 0x7000
	ds_write_b64 v15, v[13:14] offset:30680
	v_add_u32_e64 v15, s12, 0
	s_waitcnt lgkmcnt(1)
	ds_write2_b64 v15, v[13:14], v[2:3] offset0:186 offset1:187
.LBB50_115:
	s_or_b64 exec, exec, s[6:7]
	v_mov_b32_e32 v2, 0
	v_mov_b32_e32 v3, 0
	s_waitcnt lgkmcnt(0)
	s_barrier
	buffer_wbinvl1_vol
	s_and_saveexec_b64 s[6:7], s[22:23]
	s_cbranch_execz .LBB50_119
; %bb.116:
	v_lshlrev_b32_e32 v2, 3, v4
	v_lshlrev_b32_e32 v13, 9, v5
	ds_read_b64 v[2:3], v2 offset:30144
	ds_read_b64 v[13:14], v13 offset:30160
	v_cmp_gt_u32_e64 s[12:13], 2, v9
	s_waitcnt lgkmcnt(0)
	v_mul_f32_e32 v15, v14, v3
	v_mul_f32_e32 v3, v13, v3
	v_fma_f32 v13, v13, v2, -v15
	v_fmac_f32_e32 v3, v14, v2
	v_add_f32_e32 v2, 0, v13
	v_add_f32_e32 v3, 0, v3
	s_and_saveexec_b64 s[14:15], s[12:13]
	s_cbranch_execz .LBB50_118
; %bb.117:
	v_lshlrev_b32_e32 v13, 3, v0
	v_mov_b32_e32 v15, 0
	ds_read_b64 v[13:14], v13 offset:30656
	ds_read_b64 v[15:16], v15 offset:30680
	s_waitcnt lgkmcnt(0)
	v_mul_f32_e32 v17, v16, v14
	v_mul_f32_e32 v14, v15, v14
	v_fma_f32 v15, v15, v13, -v17
	v_fmac_f32_e32 v14, v16, v13
	v_add_f32_e32 v2, v2, v15
	v_add_f32_e32 v3, v3, v14
.LBB50_118:
	s_or_b64 exec, exec, s[14:15]
.LBB50_119:
	s_or_b64 exec, exec, s[6:7]
	s_and_saveexec_b64 s[6:7], s[36:37]
; %bb.120:
	v_xor_b32_e32 v14, 0x80000000, v3
	v_xor_b32_e32 v13, 0x80000000, v2
	ds_write_b64 v7, v[13:14]
; %bb.121:
	s_or_b64 exec, exec, s[6:7]
	s_waitcnt lgkmcnt(0)
	s_barrier
	s_and_saveexec_b64 s[6:7], s[34:35]
	s_cbranch_execz .LBB50_123
; %bb.122:
	v_mov_b32_e32 v13, 0
	ds_read_b64 v[13:14], v13 offset:29632
	ds_read_b64 v[15:16], v7
	s_waitcnt lgkmcnt(0)
	v_mul_f32_e32 v17, v15, v13
	v_mul_f32_e32 v15, v15, v14
	v_fmac_f32_e32 v15, v16, v13
	v_fma_f32 v13, v16, v14, -v17
	v_add_f32_e32 v2, v2, v13
	v_sub_f32_e32 v3, v3, v15
.LBB50_123:
	s_or_b64 exec, exec, s[6:7]
	s_barrier
	s_and_saveexec_b64 s[6:7], s[34:35]
; %bb.124:
	v_xor_b32_e32 v14, 0x80000000, v3
	v_xor_b32_e32 v13, 0x80000000, v2
	ds_write_b64 v7, v[13:14]
; %bb.125:
	s_or_b64 exec, exec, s[6:7]
	s_waitcnt lgkmcnt(0)
	s_barrier
	s_barrier
	s_and_saveexec_b64 s[6:7], s[22:23]
; %bb.126:
	v_lshlrev_b32_e32 v13, 3, v4
	v_lshl_or_b32 v13, v5, 9, v13
	ds_write_b64 v13, v[2:3] offset:30144
; %bb.127:
	s_or_b64 exec, exec, s[6:7]
	s_waitcnt lgkmcnt(0)
	s_barrier
	s_barrier
	s_and_saveexec_b64 s[6:7], s[38:39]
	s_cbranch_execz .LBB50_129
; %bb.128:
	v_lshlrev_b32_e32 v13, 3, v0
	s_movk_i32 s12, 0x1f8
	v_mad_u32_u24 v14, v0, s12, v13
	ds_read_b64 v[2:3], v14 offset:30144
	s_waitcnt lgkmcnt(0)
	ds_write_b64 v13, v[2:3] offset:29136
	ds_read_b64 v[2:3], v14 offset:30152
	s_waitcnt lgkmcnt(0)
	ds_write_b64 v13, v[2:3] offset:29648
.LBB50_129:
	s_or_b64 exec, exec, s[6:7]
	s_waitcnt lgkmcnt(0)
	s_barrier
	s_and_saveexec_b64 s[6:7], vcc
	s_cbranch_execz .LBB50_131
; %bb.130:
	v_mov_b32_e32 v15, 0
	ds_read_b64 v[2:3], v15 offset:29632
	s_mov_b64 s[12:13], 0x3f800000
	v_mov_b32_e32 v14, s13
	v_mov_b32_e32 v13, s12
	s_movk_i32 s12, 0x7000
	ds_write_b64 v15, v[13:14] offset:29640
	v_add_u32_e64 v15, s12, 0
	s_waitcnt lgkmcnt(1)
	ds_write2_b64 v15, v[13:14], v[2:3] offset0:56 offset1:57
.LBB50_131:
	s_or_b64 exec, exec, s[6:7]
	v_lshrrev_b32_e32 v15, 3, v9
	v_and_b32_e32 v13, 7, v0
	v_sub_u32_e32 v14, 7, v15
	v_cmp_lt_u32_e64 s[14:15], 63, v9
	v_cmp_gt_u32_e64 s[12:13], 64, v9
	v_mov_b32_e32 v3, 0
	v_mov_b32_e32 v2, 0
	s_waitcnt lgkmcnt(0)
	s_barrier
	buffer_wbinvl1_vol
	s_and_saveexec_b64 s[6:7], s[12:13]
	s_cbranch_execz .LBB50_141
; %bb.132:
	v_lshlrev_b32_e32 v16, 3, v13
	v_lshlrev_b32_e32 v17, 9, v14
	ds_read_b64 v[2:3], v16 offset:29056
	ds_read_b64 v[18:19], v17 offset:29120
	v_cmp_gt_u32_e64 s[18:19], 56, v9
	s_waitcnt lgkmcnt(0)
	v_mul_f32_e32 v20, v19, v3
	v_mul_f32_e32 v3, v18, v3
	v_fma_f32 v18, v18, v2, -v20
	v_fmac_f32_e32 v3, v19, v2
	v_add_f32_e32 v2, 0, v18
	v_add_f32_e32 v3, 0, v3
	s_and_saveexec_b64 s[20:21], s[18:19]
	s_cbranch_execnz .LBB50_1054
; %bb.133:
	s_or_b64 exec, exec, s[20:21]
	v_cmp_gt_u32_e64 s[18:19], 48, v9
	s_and_saveexec_b64 s[20:21], s[18:19]
	s_cbranch_execnz .LBB50_1055
.LBB50_134:
	s_or_b64 exec, exec, s[20:21]
	v_cmp_gt_u32_e64 s[18:19], 40, v9
	s_and_saveexec_b64 s[20:21], s[18:19]
	s_cbranch_execnz .LBB50_1056
.LBB50_135:
	s_or_b64 exec, exec, s[20:21]
	v_cmp_gt_u32_e64 s[18:19], 32, v9
	s_and_saveexec_b64 s[20:21], s[18:19]
	s_cbranch_execnz .LBB50_1057
.LBB50_136:
	s_or_b64 exec, exec, s[20:21]
	v_cmp_gt_u32_e64 s[18:19], 24, v9
	s_and_saveexec_b64 s[20:21], s[18:19]
	s_cbranch_execnz .LBB50_1058
.LBB50_137:
	s_or_b64 exec, exec, s[20:21]
	s_and_saveexec_b64 s[18:19], s[10:11]
	s_cbranch_execnz .LBB50_1059
.LBB50_138:
	s_or_b64 exec, exec, s[18:19]
	v_cmp_gt_u32_e64 s[18:19], 8, v9
	s_and_saveexec_b64 s[20:21], s[18:19]
	s_cbranch_execz .LBB50_140
.LBB50_139:
	v_lshlrev_b32_e32 v16, 3, v0
	v_mov_b32_e32 v18, 0
	ds_read_b64 v[16:17], v16 offset:32640
	ds_read_b64 v[18:19], v18 offset:32760
	s_waitcnt lgkmcnt(0)
	v_mul_f32_e32 v20, v19, v17
	v_mul_f32_e32 v17, v18, v17
	v_fma_f32 v18, v18, v16, -v20
	v_fmac_f32_e32 v17, v19, v16
	v_add_f32_e32 v2, v2, v18
	v_add_f32_e32 v3, v3, v17
.LBB50_140:
	s_or_b64 exec, exec, s[20:21]
.LBB50_141:
	s_or_b64 exec, exec, s[6:7]
	v_mov_b32_e32 v16, 0x8000
	v_cmp_eq_u32_e64 s[18:19], 7, v13
	s_xor_b64 s[6:7], s[14:15], -1
	v_lshl_add_u32 v15, v15, 3, v16
	s_and_b64 s[64:65], s[18:19], s[6:7]
	s_and_saveexec_b64 s[14:15], s[64:65]
; %bb.142:
	v_xor_b32_e32 v17, 0x80000000, v3
	v_xor_b32_e32 v16, 0x80000000, v2
	ds_write_b64 v15, v[16:17]
; %bb.143:
	s_or_b64 exec, exec, s[14:15]
	v_cmp_ne_u32_e64 s[14:15], 7, v13
	s_and_b64 s[66:67], s[14:15], s[6:7]
	s_waitcnt lgkmcnt(0)
	s_barrier
	s_and_saveexec_b64 s[14:15], s[66:67]
	s_cbranch_execz .LBB50_145
; %bb.144:
	v_lshlrev_b32_e32 v16, 3, v13
	ds_read_b64 v[16:17], v16 offset:28544
	ds_read_b64 v[18:19], v15
	s_waitcnt lgkmcnt(0)
	v_mul_f32_e32 v20, v19, v17
	v_mul_f32_e32 v17, v18, v17
	v_fma_f32 v18, v18, v16, -v20
	v_fmac_f32_e32 v17, v19, v16
	v_sub_f32_e32 v2, v2, v18
	v_sub_f32_e32 v3, v3, v17
.LBB50_145:
	s_or_b64 exec, exec, s[14:15]
	v_cmp_eq_u32_e64 s[14:15], 6, v13
	s_and_b64 s[68:69], s[14:15], s[6:7]
	s_barrier
	s_and_saveexec_b64 s[14:15], s[68:69]
; %bb.146:
	v_xor_b32_e32 v17, 0x80000000, v3
	v_xor_b32_e32 v16, 0x80000000, v2
	ds_write_b64 v15, v[16:17]
; %bb.147:
	s_or_b64 exec, exec, s[14:15]
	v_cmp_gt_u32_e64 s[14:15], 6, v13
	s_and_b64 s[70:71], s[14:15], s[6:7]
	s_waitcnt lgkmcnt(0)
	s_barrier
	s_and_saveexec_b64 s[14:15], s[70:71]
	s_cbranch_execz .LBB50_149
; %bb.148:
	v_lshlrev_b32_e32 v16, 3, v13
	ds_read_b64 v[16:17], v16 offset:28032
	ds_read_b64 v[18:19], v15
	s_waitcnt lgkmcnt(0)
	v_mul_f32_e32 v20, v19, v17
	v_mul_f32_e32 v17, v18, v17
	v_fma_f32 v18, v18, v16, -v20
	v_fmac_f32_e32 v17, v19, v16
	v_sub_f32_e32 v2, v2, v18
	v_sub_f32_e32 v3, v3, v17
.LBB50_149:
	s_or_b64 exec, exec, s[14:15]
	v_cmp_eq_u32_e64 s[14:15], 5, v13
	s_and_b64 s[72:73], s[14:15], s[6:7]
	s_barrier
	s_and_saveexec_b64 s[14:15], s[72:73]
; %bb.150:
	v_xor_b32_e32 v17, 0x80000000, v3
	v_xor_b32_e32 v16, 0x80000000, v2
	ds_write_b64 v15, v[16:17]
; %bb.151:
	s_or_b64 exec, exec, s[14:15]
	v_cmp_gt_u32_e64 s[14:15], 5, v13
	;; [unrolled: 29-line block ×5, first 2 shown]
	s_and_b64 s[86:87], s[14:15], s[6:7]
	s_waitcnt lgkmcnt(0)
	s_barrier
	s_and_saveexec_b64 s[14:15], s[86:87]
	s_cbranch_execz .LBB50_165
; %bb.164:
	v_lshlrev_b32_e32 v16, 3, v13
	ds_read_b64 v[16:17], v16 offset:25984
	ds_read_b64 v[18:19], v15
	s_waitcnt lgkmcnt(0)
	v_mul_f32_e32 v20, v19, v17
	v_mul_f32_e32 v17, v18, v17
	v_fma_f32 v18, v18, v16, -v20
	v_fmac_f32_e32 v17, v19, v16
	v_sub_f32_e32 v2, v2, v18
	v_sub_f32_e32 v3, v3, v17
.LBB50_165:
	s_or_b64 exec, exec, s[14:15]
	v_cmp_eq_u32_e64 s[14:15], 1, v13
	s_and_b64 s[88:89], s[14:15], s[6:7]
	s_barrier
	s_and_saveexec_b64 s[14:15], s[88:89]
; %bb.166:
	v_xor_b32_e32 v17, 0x80000000, v3
	v_xor_b32_e32 v16, 0x80000000, v2
	ds_write_b64 v15, v[16:17]
; %bb.167:
	s_or_b64 exec, exec, s[14:15]
	v_cmp_eq_u32_e64 s[14:15], 0, v13
	s_and_b64 s[62:63], s[14:15], s[6:7]
	s_waitcnt lgkmcnt(0)
	s_barrier
	s_and_saveexec_b64 s[6:7], s[62:63]
	s_cbranch_execz .LBB50_169
; %bb.168:
	v_mov_b32_e32 v16, 0
	ds_read_b64 v[16:17], v16 offset:25472
	ds_read_b64 v[18:19], v15
	s_waitcnt lgkmcnt(0)
	v_mul_f32_e32 v20, v19, v17
	v_mul_f32_e32 v17, v18, v17
	v_fma_f32 v18, v18, v16, -v20
	v_fmac_f32_e32 v17, v19, v16
	v_sub_f32_e32 v2, v2, v18
	v_sub_f32_e32 v3, v3, v17
.LBB50_169:
	s_or_b64 exec, exec, s[6:7]
	s_barrier
	s_and_saveexec_b64 s[6:7], s[62:63]
; %bb.170:
	v_xor_b32_e32 v17, 0x80000000, v3
	v_xor_b32_e32 v16, 0x80000000, v2
	ds_write_b64 v15, v[16:17]
; %bb.171:
	s_or_b64 exec, exec, s[6:7]
	s_waitcnt lgkmcnt(0)
	s_barrier
	s_barrier
	s_and_saveexec_b64 s[6:7], s[12:13]
; %bb.172:
	v_lshlrev_b32_e32 v16, 3, v13
	v_lshl_or_b32 v16, v14, 9, v16
	ds_write_b64 v16, v[2:3] offset:29056
; %bb.173:
	s_or_b64 exec, exec, s[6:7]
	v_cmp_gt_u32_e64 s[14:15], 8, v0
	s_and_b64 s[90:91], s[16:17], s[14:15]
	s_waitcnt lgkmcnt(0)
	s_barrier
	s_barrier
	s_and_saveexec_b64 s[6:7], s[90:91]
	s_cbranch_execz .LBB50_175
; %bb.174:
	v_lshlrev_b32_e32 v16, 9, v0
	ds_read_b64 v[2:3], v16 offset:29056
	s_movk_i32 s14, 0xfe08
	v_mad_i32_i24 v17, v0, s14, v16
	s_waitcnt lgkmcnt(0)
	ds_write_b64 v17, v[2:3] offset:25024
	ds_read_b64 v[2:3], v16 offset:29064
	s_waitcnt lgkmcnt(0)
	ds_write_b64 v17, v[2:3] offset:25536
	ds_read_b64 v[2:3], v16 offset:29072
	;; [unrolled: 3-line block ×7, first 2 shown]
	s_waitcnt lgkmcnt(0)
	ds_write_b64 v17, v[2:3] offset:28608
.LBB50_175:
	s_or_b64 exec, exec, s[6:7]
	s_waitcnt lgkmcnt(0)
	s_barrier
	s_and_saveexec_b64 s[6:7], vcc
	s_cbranch_execz .LBB50_177
; %bb.176:
	v_mov_b32_e32 v18, 0
	ds_read_b64 v[2:3], v18 offset:28592
	s_mov_b64 s[14:15], 0x3f800000
	v_mov_b32_e32 v17, s15
	v_mov_b32_e32 v16, s14
	s_movk_i32 s14, 0x6800
	ds_write_b64 v18, v[16:17] offset:28600
	v_add_u32_e64 v18, s14, 0
	s_waitcnt lgkmcnt(1)
	ds_write2_b64 v18, v[16:17], v[2:3] offset0:182 offset1:183
.LBB50_177:
	s_or_b64 exec, exec, s[6:7]
	v_mov_b32_e32 v2, 0
	v_mov_b32_e32 v3, 0
	s_waitcnt lgkmcnt(0)
	s_barrier
	buffer_wbinvl1_vol
	s_and_saveexec_b64 s[6:7], s[22:23]
	s_cbranch_execz .LBB50_181
; %bb.178:
	v_lshlrev_b32_e32 v2, 3, v4
	v_lshlrev_b32_e32 v16, 9, v5
	ds_read_b64 v[2:3], v2 offset:28064
	ds_read_b64 v[16:17], v16 offset:28080
	v_cmp_gt_u32_e64 s[14:15], 2, v9
	s_waitcnt lgkmcnt(0)
	v_mul_f32_e32 v18, v17, v3
	v_mul_f32_e32 v3, v16, v3
	v_fma_f32 v16, v16, v2, -v18
	v_fmac_f32_e32 v3, v17, v2
	v_add_f32_e32 v2, 0, v16
	v_add_f32_e32 v3, 0, v3
	s_and_saveexec_b64 s[18:19], s[14:15]
	s_cbranch_execz .LBB50_180
; %bb.179:
	v_lshlrev_b32_e32 v16, 3, v0
	v_mov_b32_e32 v18, 0
	ds_read_b64 v[16:17], v16 offset:28576
	ds_read_b64 v[18:19], v18 offset:28600
	s_waitcnt lgkmcnt(0)
	v_mul_f32_e32 v20, v19, v17
	v_mul_f32_e32 v17, v18, v17
	v_fma_f32 v18, v18, v16, -v20
	v_fmac_f32_e32 v17, v19, v16
	v_add_f32_e32 v2, v2, v18
	v_add_f32_e32 v3, v3, v17
.LBB50_180:
	s_or_b64 exec, exec, s[18:19]
.LBB50_181:
	s_or_b64 exec, exec, s[6:7]
	s_and_saveexec_b64 s[6:7], s[36:37]
; %bb.182:
	v_xor_b32_e32 v17, 0x80000000, v3
	v_xor_b32_e32 v16, 0x80000000, v2
	ds_write_b64 v7, v[16:17]
; %bb.183:
	s_or_b64 exec, exec, s[6:7]
	s_waitcnt lgkmcnt(0)
	s_barrier
	s_and_saveexec_b64 s[6:7], s[34:35]
	s_cbranch_execz .LBB50_185
; %bb.184:
	v_mov_b32_e32 v16, 0
	ds_read_b64 v[16:17], v16 offset:27552
	ds_read_b64 v[18:19], v7
	s_waitcnt lgkmcnt(0)
	v_mul_f32_e32 v20, v18, v16
	v_mul_f32_e32 v18, v18, v17
	v_fmac_f32_e32 v18, v19, v16
	v_fma_f32 v16, v19, v17, -v20
	v_add_f32_e32 v2, v2, v16
	v_sub_f32_e32 v3, v3, v18
.LBB50_185:
	s_or_b64 exec, exec, s[6:7]
	s_barrier
	s_and_saveexec_b64 s[6:7], s[34:35]
; %bb.186:
	v_xor_b32_e32 v17, 0x80000000, v3
	v_xor_b32_e32 v16, 0x80000000, v2
	ds_write_b64 v7, v[16:17]
; %bb.187:
	s_or_b64 exec, exec, s[6:7]
	s_waitcnt lgkmcnt(0)
	s_barrier
	s_barrier
	s_and_saveexec_b64 s[6:7], s[22:23]
; %bb.188:
	v_lshlrev_b32_e32 v16, 3, v4
	v_lshl_or_b32 v16, v5, 9, v16
	ds_write_b64 v16, v[2:3] offset:28064
; %bb.189:
	s_or_b64 exec, exec, s[6:7]
	s_waitcnt lgkmcnt(0)
	s_barrier
	s_barrier
	s_and_saveexec_b64 s[6:7], s[38:39]
	s_cbranch_execz .LBB50_191
; %bb.190:
	v_lshlrev_b32_e32 v16, 3, v0
	s_movk_i32 s14, 0x1f8
	v_mad_u32_u24 v17, v0, s14, v16
	ds_read_b64 v[2:3], v17 offset:28064
	s_waitcnt lgkmcnt(0)
	ds_write_b64 v16, v[2:3] offset:27056
	ds_read_b64 v[2:3], v17 offset:28072
	s_waitcnt lgkmcnt(0)
	ds_write_b64 v16, v[2:3] offset:27568
.LBB50_191:
	s_or_b64 exec, exec, s[6:7]
	s_waitcnt lgkmcnt(0)
	s_barrier
	s_and_saveexec_b64 s[6:7], vcc
	s_cbranch_execz .LBB50_193
; %bb.192:
	v_mov_b32_e32 v18, 0
	ds_read_b64 v[2:3], v18 offset:27552
	s_mov_b64 s[14:15], 0x3f800000
	v_mov_b32_e32 v17, s15
	v_mov_b32_e32 v16, s14
	s_movk_i32 s14, 0x6800
	ds_write_b64 v18, v[16:17] offset:27560
	v_add_u32_e64 v18, s14, 0
	s_waitcnt lgkmcnt(1)
	ds_write2_b64 v18, v[16:17], v[2:3] offset0:52 offset1:53
.LBB50_193:
	s_or_b64 exec, exec, s[6:7]
	v_mov_b32_e32 v3, 0
	v_mov_b32_e32 v2, 0
	s_waitcnt lgkmcnt(0)
	s_barrier
	buffer_wbinvl1_vol
	s_and_saveexec_b64 s[6:7], s[10:11]
	s_cbranch_execz .LBB50_199
; %bb.194:
	v_lshlrev_b32_e32 v16, 3, v10
	v_lshlrev_b32_e32 v17, 9, v11
	ds_read_b64 v[2:3], v16 offset:27008
	ds_read_b64 v[18:19], v17 offset:27040
	v_cmp_gt_u32_e64 s[14:15], 12, v9
	s_waitcnt lgkmcnt(0)
	v_mul_f32_e32 v20, v19, v3
	v_mul_f32_e32 v3, v18, v3
	v_fma_f32 v18, v18, v2, -v20
	v_fmac_f32_e32 v3, v19, v2
	v_add_f32_e32 v2, 0, v18
	v_add_f32_e32 v3, 0, v3
	s_and_saveexec_b64 s[18:19], s[14:15]
	s_cbranch_execnz .LBB50_1060
; %bb.195:
	s_or_b64 exec, exec, s[18:19]
	v_cmp_gt_u32_e64 s[14:15], 8, v9
	s_and_saveexec_b64 s[18:19], s[14:15]
	s_cbranch_execnz .LBB50_1061
.LBB50_196:
	s_or_b64 exec, exec, s[18:19]
	v_cmp_gt_u32_e64 s[14:15], 4, v9
	s_and_saveexec_b64 s[18:19], s[14:15]
	s_cbranch_execz .LBB50_198
.LBB50_197:
	v_lshlrev_b32_e32 v16, 3, v0
	v_mov_b32_e32 v18, 0
	ds_read_b64 v[16:17], v16 offset:28544
	ds_read_b64 v[18:19], v18 offset:28600
	s_waitcnt lgkmcnt(0)
	v_mul_f32_e32 v20, v19, v17
	v_mul_f32_e32 v17, v18, v17
	v_fma_f32 v18, v18, v16, -v20
	v_fmac_f32_e32 v17, v19, v16
	v_add_f32_e32 v2, v2, v18
	v_add_f32_e32 v3, v3, v17
.LBB50_198:
	s_or_b64 exec, exec, s[18:19]
.LBB50_199:
	s_or_b64 exec, exec, s[6:7]
	s_and_saveexec_b64 s[6:7], s[44:45]
; %bb.200:
	v_xor_b32_e32 v16, 0x80000000, v2
	v_xor_b32_e32 v17, 0x80000000, v3
	ds_write_b64 v12, v[16:17]
; %bb.201:
	s_or_b64 exec, exec, s[6:7]
	s_waitcnt lgkmcnt(0)
	s_barrier
	s_and_saveexec_b64 s[6:7], s[52:53]
	s_cbranch_execz .LBB50_203
; %bb.202:
	v_lshlrev_b32_e32 v16, 3, v10
	ds_read_b64 v[16:17], v16 offset:26496
	ds_read_b64 v[18:19], v12
	s_waitcnt lgkmcnt(0)
	v_mul_f32_e32 v20, v19, v17
	v_mul_f32_e32 v17, v18, v17
	v_fma_f32 v18, v18, v16, -v20
	v_fmac_f32_e32 v17, v19, v16
	v_sub_f32_e32 v2, v2, v18
	v_sub_f32_e32 v3, v3, v17
.LBB50_203:
	s_or_b64 exec, exec, s[6:7]
	s_barrier
	s_and_saveexec_b64 s[6:7], s[54:55]
; %bb.204:
	v_xor_b32_e32 v16, 0x80000000, v2
	v_xor_b32_e32 v17, 0x80000000, v3
	ds_write_b64 v12, v[16:17]
; %bb.205:
	s_or_b64 exec, exec, s[6:7]
	s_waitcnt lgkmcnt(0)
	s_barrier
	s_and_saveexec_b64 s[6:7], s[56:57]
	s_cbranch_execz .LBB50_207
; %bb.206:
	v_lshlrev_b32_e32 v16, 3, v10
	ds_read_b64 v[16:17], v16 offset:25984
	ds_read_b64 v[18:19], v12
	s_waitcnt lgkmcnt(0)
	v_mul_f32_e32 v20, v19, v17
	v_mul_f32_e32 v17, v18, v17
	v_fma_f32 v18, v18, v16, -v20
	v_fmac_f32_e32 v17, v19, v16
	v_sub_f32_e32 v2, v2, v18
	v_sub_f32_e32 v3, v3, v17
.LBB50_207:
	s_or_b64 exec, exec, s[6:7]
	s_barrier
	s_and_saveexec_b64 s[6:7], s[58:59]
; %bb.208:
	v_xor_b32_e32 v16, 0x80000000, v2
	v_xor_b32_e32 v17, 0x80000000, v3
	ds_write_b64 v12, v[16:17]
; %bb.209:
	s_or_b64 exec, exec, s[6:7]
	s_waitcnt lgkmcnt(0)
	s_barrier
	s_and_saveexec_b64 s[6:7], s[42:43]
	s_cbranch_execz .LBB50_211
; %bb.210:
	v_mov_b32_e32 v16, 0
	ds_read_b64 v[16:17], v16 offset:25472
	ds_read_b64 v[18:19], v12
	s_waitcnt lgkmcnt(0)
	v_mul_f32_e32 v20, v19, v17
	v_mul_f32_e32 v17, v18, v17
	v_fma_f32 v18, v18, v16, -v20
	v_fmac_f32_e32 v17, v19, v16
	v_sub_f32_e32 v2, v2, v18
	v_sub_f32_e32 v3, v3, v17
.LBB50_211:
	s_or_b64 exec, exec, s[6:7]
	s_barrier
	s_and_saveexec_b64 s[6:7], s[42:43]
; %bb.212:
	v_xor_b32_e32 v16, 0x80000000, v2
	v_xor_b32_e32 v17, 0x80000000, v3
	ds_write_b64 v12, v[16:17]
; %bb.213:
	s_or_b64 exec, exec, s[6:7]
	s_waitcnt lgkmcnt(0)
	s_barrier
	s_barrier
	s_and_saveexec_b64 s[6:7], s[10:11]
; %bb.214:
	v_lshlrev_b32_e32 v16, 3, v10
	v_lshl_or_b32 v16, v11, 9, v16
	ds_write_b64 v16, v[2:3] offset:27008
; %bb.215:
	s_or_b64 exec, exec, s[6:7]
	s_waitcnt lgkmcnt(0)
	s_barrier
	s_barrier
	s_and_saveexec_b64 s[6:7], s[60:61]
	s_cbranch_execz .LBB50_217
; %bb.216:
	v_lshlrev_b32_e32 v16, 9, v0
	ds_read_b64 v[2:3], v16 offset:27008
	s_movk_i32 s14, 0xfe08
	v_mad_i32_i24 v17, v0, s14, v16
	s_waitcnt lgkmcnt(0)
	ds_write_b64 v17, v[2:3] offset:24992
	ds_read_b64 v[2:3], v16 offset:27016
	s_waitcnt lgkmcnt(0)
	ds_write_b64 v17, v[2:3] offset:25504
	ds_read_b64 v[2:3], v16 offset:27024
	s_waitcnt lgkmcnt(0)
	ds_write_b64 v17, v[2:3] offset:26016
	ds_read_b64 v[2:3], v16 offset:27032
	s_waitcnt lgkmcnt(0)
	ds_write_b64 v17, v[2:3] offset:26528
.LBB50_217:
	s_or_b64 exec, exec, s[6:7]
	s_waitcnt lgkmcnt(0)
	s_barrier
	s_and_saveexec_b64 s[6:7], vcc
	s_cbranch_execz .LBB50_219
; %bb.218:
	v_mov_b32_e32 v18, 0
	ds_read_b64 v[2:3], v18 offset:26512
	s_mov_b64 s[14:15], 0x3f800000
	v_mov_b32_e32 v17, s15
	v_mov_b32_e32 v16, s14
	s_movk_i32 s14, 0x6000
	ds_write_b64 v18, v[16:17] offset:26520
	v_add_u32_e64 v18, s14, 0
	s_waitcnt lgkmcnt(1)
	ds_write2_b64 v18, v[16:17], v[2:3] offset0:178 offset1:179
.LBB50_219:
	s_or_b64 exec, exec, s[6:7]
	v_mov_b32_e32 v2, 0
	v_mov_b32_e32 v3, 0
	s_waitcnt lgkmcnt(0)
	s_barrier
	buffer_wbinvl1_vol
	s_and_saveexec_b64 s[6:7], s[22:23]
	s_cbranch_execz .LBB50_223
; %bb.220:
	v_lshlrev_b32_e32 v2, 3, v4
	v_lshlrev_b32_e32 v16, 9, v5
	ds_read_b64 v[2:3], v2 offset:25984
	ds_read_b64 v[16:17], v16 offset:26000
	v_cmp_gt_u32_e64 s[14:15], 2, v9
	s_waitcnt lgkmcnt(0)
	v_mul_f32_e32 v18, v17, v3
	v_mul_f32_e32 v3, v16, v3
	v_fma_f32 v16, v16, v2, -v18
	v_fmac_f32_e32 v3, v17, v2
	v_add_f32_e32 v2, 0, v16
	v_add_f32_e32 v3, 0, v3
	s_and_saveexec_b64 s[18:19], s[14:15]
	s_cbranch_execz .LBB50_222
; %bb.221:
	v_lshlrev_b32_e32 v16, 3, v0
	v_mov_b32_e32 v18, 0
	ds_read_b64 v[16:17], v16 offset:26496
	ds_read_b64 v[18:19], v18 offset:26520
	s_waitcnt lgkmcnt(0)
	v_mul_f32_e32 v20, v19, v17
	v_mul_f32_e32 v17, v18, v17
	v_fma_f32 v18, v18, v16, -v20
	v_fmac_f32_e32 v17, v19, v16
	v_add_f32_e32 v2, v2, v18
	v_add_f32_e32 v3, v3, v17
.LBB50_222:
	s_or_b64 exec, exec, s[18:19]
.LBB50_223:
	s_or_b64 exec, exec, s[6:7]
	s_and_saveexec_b64 s[6:7], s[36:37]
; %bb.224:
	v_xor_b32_e32 v17, 0x80000000, v3
	v_xor_b32_e32 v16, 0x80000000, v2
	ds_write_b64 v7, v[16:17]
; %bb.225:
	s_or_b64 exec, exec, s[6:7]
	s_waitcnt lgkmcnt(0)
	s_barrier
	s_and_saveexec_b64 s[6:7], s[34:35]
	s_cbranch_execz .LBB50_227
; %bb.226:
	v_mov_b32_e32 v16, 0
	ds_read_b64 v[16:17], v16 offset:25472
	ds_read_b64 v[18:19], v7
	s_waitcnt lgkmcnt(0)
	v_mul_f32_e32 v20, v18, v16
	v_mul_f32_e32 v18, v18, v17
	v_fmac_f32_e32 v18, v19, v16
	v_fma_f32 v16, v19, v17, -v20
	v_add_f32_e32 v2, v2, v16
	v_sub_f32_e32 v3, v3, v18
.LBB50_227:
	s_or_b64 exec, exec, s[6:7]
	s_barrier
	s_and_saveexec_b64 s[6:7], s[34:35]
; %bb.228:
	v_xor_b32_e32 v17, 0x80000000, v3
	v_xor_b32_e32 v16, 0x80000000, v2
	ds_write_b64 v7, v[16:17]
; %bb.229:
	s_or_b64 exec, exec, s[6:7]
	s_waitcnt lgkmcnt(0)
	s_barrier
	s_barrier
	s_and_saveexec_b64 s[6:7], s[22:23]
; %bb.230:
	v_lshlrev_b32_e32 v16, 3, v4
	v_lshl_or_b32 v16, v5, 9, v16
	ds_write_b64 v16, v[2:3] offset:25984
; %bb.231:
	s_or_b64 exec, exec, s[6:7]
	s_waitcnt lgkmcnt(0)
	s_barrier
	s_barrier
	s_and_saveexec_b64 s[6:7], s[38:39]
	s_cbranch_execz .LBB50_233
; %bb.232:
	v_lshlrev_b32_e32 v16, 3, v0
	s_movk_i32 s14, 0x1f8
	v_mad_u32_u24 v17, v0, s14, v16
	ds_read_b64 v[2:3], v17 offset:25984
	s_waitcnt lgkmcnt(0)
	ds_write_b64 v16, v[2:3] offset:24976
	ds_read_b64 v[2:3], v17 offset:25992
	s_waitcnt lgkmcnt(0)
	ds_write_b64 v16, v[2:3] offset:25488
.LBB50_233:
	s_or_b64 exec, exec, s[6:7]
	s_waitcnt lgkmcnt(0)
	s_barrier
	s_and_saveexec_b64 s[6:7], vcc
	s_cbranch_execz .LBB50_235
; %bb.234:
	v_mov_b32_e32 v18, 0
	ds_read_b64 v[2:3], v18 offset:25472
	s_mov_b64 s[14:15], 0x3f800000
	v_mov_b32_e32 v17, s15
	v_mov_b32_e32 v16, s14
	s_movk_i32 s14, 0x6000
	ds_write_b64 v18, v[16:17] offset:25480
	v_add_u32_e64 v18, s14, 0
	s_waitcnt lgkmcnt(1)
	ds_write2_b64 v18, v[16:17], v[2:3] offset0:48 offset1:49
.LBB50_235:
	s_or_b64 exec, exec, s[6:7]
	s_movk_i32 s6, 0xff
	v_lshrrev_b32_e32 v18, 4, v9
	v_cmp_lt_u32_e64 s[18:19], s6, v9
	s_movk_i32 s6, 0x100
	v_and_b32_e32 v16, 15, v0
	v_sub_u32_e32 v17, 15, v18
	v_cmp_gt_u32_e64 s[14:15], s6, v9
	v_mov_b32_e32 v3, 0
	v_mov_b32_e32 v2, 0
	s_waitcnt lgkmcnt(0)
	s_barrier
	buffer_wbinvl1_vol
	s_and_saveexec_b64 s[6:7], s[14:15]
	s_cbranch_execz .LBB50_263
; %bb.236:
	v_lshlrev_b32_e32 v19, 3, v16
	v_lshlrev_b32_e32 v20, 9, v17
	ds_read_b64 v[2:3], v19 offset:24832
	ds_read_b64 v[21:22], v20 offset:24960
	s_movk_i32 s20, 0xf0
	v_cmp_gt_u32_e64 s[20:21], s20, v9
	s_waitcnt lgkmcnt(0)
	v_mul_f32_e32 v23, v22, v3
	v_mul_f32_e32 v3, v21, v3
	v_fma_f32 v21, v21, v2, -v23
	v_fmac_f32_e32 v3, v22, v2
	v_add_f32_e32 v2, 0, v21
	v_add_f32_e32 v3, 0, v3
	s_and_saveexec_b64 s[24:25], s[20:21]
	s_cbranch_execz .LBB50_238
; %bb.237:
	ds_read_b64 v[21:22], v19 offset:25344
	ds_read_b64 v[23:24], v20 offset:24968
	s_waitcnt lgkmcnt(0)
	v_mul_f32_e32 v25, v24, v22
	v_mul_f32_e32 v22, v23, v22
	v_fma_f32 v23, v23, v21, -v25
	v_fmac_f32_e32 v22, v24, v21
	v_add_f32_e32 v2, v2, v23
	v_add_f32_e32 v3, v3, v22
.LBB50_238:
	s_or_b64 exec, exec, s[24:25]
	s_movk_i32 s20, 0xe0
	v_cmp_gt_u32_e64 s[20:21], s20, v9
	s_and_saveexec_b64 s[24:25], s[20:21]
	s_cbranch_execz .LBB50_240
; %bb.239:
	ds_read_b64 v[21:22], v19 offset:25856
	ds_read_b64 v[23:24], v20 offset:24976
	s_waitcnt lgkmcnt(0)
	v_mul_f32_e32 v25, v24, v22
	v_mul_f32_e32 v22, v23, v22
	v_fma_f32 v23, v23, v21, -v25
	v_fmac_f32_e32 v22, v24, v21
	v_add_f32_e32 v2, v2, v23
	v_add_f32_e32 v3, v3, v22
.LBB50_240:
	s_or_b64 exec, exec, s[24:25]
	s_movk_i32 s20, 0xd0
	v_cmp_gt_u32_e64 s[20:21], s20, v9
	;; [unrolled: 16-line block ×10, first 2 shown]
	s_and_saveexec_b64 s[24:25], s[20:21]
	s_cbranch_execnz .LBB50_1062
; %bb.257:
	s_or_b64 exec, exec, s[24:25]
	s_and_saveexec_b64 s[20:21], s[12:13]
	s_cbranch_execnz .LBB50_1063
.LBB50_258:
	s_or_b64 exec, exec, s[20:21]
	v_cmp_gt_u32_e64 s[20:21], 48, v9
	s_and_saveexec_b64 s[24:25], s[20:21]
	s_cbranch_execnz .LBB50_1064
.LBB50_259:
	s_or_b64 exec, exec, s[24:25]
	v_cmp_gt_u32_e64 s[20:21], 32, v9
	s_and_saveexec_b64 s[24:25], s[20:21]
	s_cbranch_execnz .LBB50_1065
.LBB50_260:
	s_or_b64 exec, exec, s[24:25]
	v_cmp_gt_u32_e64 s[20:21], 16, v9
	s_and_saveexec_b64 s[24:25], s[20:21]
	s_cbranch_execz .LBB50_262
.LBB50_261:
	v_lshlrev_b32_e32 v19, 3, v0
	v_mov_b32_e32 v21, 0
	ds_read_b64 v[19:20], v19 offset:32512
	ds_read_b64 v[21:22], v21 offset:32760
	s_waitcnt lgkmcnt(0)
	v_mul_f32_e32 v23, v22, v20
	v_mul_f32_e32 v20, v21, v20
	v_fma_f32 v21, v21, v19, -v23
	v_fmac_f32_e32 v20, v22, v19
	v_add_f32_e32 v2, v2, v21
	v_add_f32_e32 v3, v3, v20
.LBB50_262:
	s_or_b64 exec, exec, s[24:25]
.LBB50_263:
	s_or_b64 exec, exec, s[6:7]
	v_mov_b32_e32 v19, 0x8000
	v_lshl_add_u32 v18, v18, 3, v19
	v_cmp_eq_u32_e64 s[20:21], 15, v16
	s_xor_b64 s[24:25], s[18:19], -1
	s_and_b64 s[18:19], s[20:21], s[24:25]
	s_mov_b64 s[6:7], exec
	v_writelane_b32 v29, s18, 2
	v_writelane_b32 v29, s19, 3
	s_and_b64 s[18:19], s[6:7], s[18:19]
	s_mov_b64 exec, s[18:19]
; %bb.264:
	v_xor_b32_e32 v19, 0x80000000, v2
	v_xor_b32_e32 v20, 0x80000000, v3
	ds_write_b64 v18, v[19:20]
; %bb.265:
	s_or_b64 exec, exec, s[6:7]
	v_cmp_ne_u32_e64 s[18:19], 15, v16
	s_waitcnt lgkmcnt(0)
	s_barrier
	s_and_b64 s[18:19], s[18:19], s[24:25]
	s_mov_b64 s[6:7], exec
	v_writelane_b32 v29, s18, 4
	v_writelane_b32 v29, s19, 5
	s_and_b64 s[18:19], s[6:7], s[18:19]
	s_mov_b64 exec, s[18:19]
	s_cbranch_execz .LBB50_267
; %bb.266:
	v_lshlrev_b32_e32 v19, 3, v16
	ds_read_b64 v[19:20], v19 offset:24320
	ds_read_b64 v[21:22], v18
	s_waitcnt lgkmcnt(0)
	v_mul_f32_e32 v23, v22, v20
	v_mul_f32_e32 v20, v21, v20
	v_fma_f32 v21, v21, v19, -v23
	v_fmac_f32_e32 v20, v22, v19
	v_sub_f32_e32 v2, v2, v21
	v_sub_f32_e32 v3, v3, v20
.LBB50_267:
	s_or_b64 exec, exec, s[6:7]
	v_cmp_eq_u32_e64 s[18:19], 14, v16
	s_barrier
	s_and_b64 s[18:19], s[18:19], s[24:25]
	s_mov_b64 s[6:7], exec
	v_writelane_b32 v29, s18, 6
	v_writelane_b32 v29, s19, 7
	s_and_b64 s[18:19], s[6:7], s[18:19]
	s_mov_b64 exec, s[18:19]
; %bb.268:
	v_xor_b32_e32 v19, 0x80000000, v2
	v_xor_b32_e32 v20, 0x80000000, v3
	ds_write_b64 v18, v[19:20]
; %bb.269:
	s_or_b64 exec, exec, s[6:7]
	v_cmp_gt_u32_e64 s[18:19], 14, v16
	s_waitcnt lgkmcnt(0)
	s_barrier
	s_and_b64 s[18:19], s[18:19], s[24:25]
	s_mov_b64 s[6:7], exec
	v_writelane_b32 v29, s18, 8
	v_writelane_b32 v29, s19, 9
	s_and_b64 s[18:19], s[6:7], s[18:19]
	s_mov_b64 exec, s[18:19]
	s_cbranch_execz .LBB50_271
; %bb.270:
	v_lshlrev_b32_e32 v19, 3, v16
	ds_read_b64 v[19:20], v19 offset:23808
	ds_read_b64 v[21:22], v18
	s_waitcnt lgkmcnt(0)
	v_mul_f32_e32 v23, v22, v20
	v_mul_f32_e32 v20, v21, v20
	v_fma_f32 v21, v21, v19, -v23
	v_fmac_f32_e32 v20, v22, v19
	v_sub_f32_e32 v2, v2, v21
	v_sub_f32_e32 v3, v3, v20
.LBB50_271:
	s_or_b64 exec, exec, s[6:7]
	v_cmp_eq_u32_e64 s[18:19], 13, v16
	s_barrier
	s_and_b64 s[18:19], s[18:19], s[24:25]
	s_mov_b64 s[6:7], exec
	v_writelane_b32 v29, s18, 10
	v_writelane_b32 v29, s19, 11
	s_and_b64 s[18:19], s[6:7], s[18:19]
	s_mov_b64 exec, s[18:19]
; %bb.272:
	v_xor_b32_e32 v19, 0x80000000, v2
	v_xor_b32_e32 v20, 0x80000000, v3
	ds_write_b64 v18, v[19:20]
; %bb.273:
	s_or_b64 exec, exec, s[6:7]
	v_cmp_gt_u32_e64 s[18:19], 13, v16
	;; [unrolled: 37-line block ×13, first 2 shown]
	s_waitcnt lgkmcnt(0)
	s_barrier
	s_and_b64 s[18:19], s[18:19], s[24:25]
	s_mov_b64 s[6:7], exec
	v_writelane_b32 v29, s18, 56
	v_writelane_b32 v29, s19, 57
	s_and_b64 s[18:19], s[6:7], s[18:19]
	s_mov_b64 exec, s[18:19]
	s_cbranch_execz .LBB50_319
; %bb.318:
	v_lshlrev_b32_e32 v19, 3, v16
	ds_read_b64 v[19:20], v19 offset:17664
	ds_read_b64 v[21:22], v18
	s_waitcnt lgkmcnt(0)
	v_mul_f32_e32 v23, v22, v20
	v_mul_f32_e32 v20, v21, v20
	v_fma_f32 v21, v21, v19, -v23
	v_fmac_f32_e32 v20, v22, v19
	v_sub_f32_e32 v2, v2, v21
	v_sub_f32_e32 v3, v3, v20
.LBB50_319:
	s_or_b64 exec, exec, s[6:7]
	v_cmp_eq_u32_e64 s[18:19], 1, v16
	s_and_b64 s[6:7], s[18:19], s[24:25]
	s_barrier
	s_and_saveexec_b64 s[18:19], s[6:7]
; %bb.320:
	v_xor_b32_e32 v19, 0x80000000, v2
	v_xor_b32_e32 v20, 0x80000000, v3
	ds_write_b64 v18, v[19:20]
; %bb.321:
	s_or_b64 exec, exec, s[18:19]
	v_cmp_eq_u32_e64 s[18:19], 0, v16
	s_and_b64 s[98:99], s[18:19], s[24:25]
	s_waitcnt lgkmcnt(0)
	s_barrier
	s_and_saveexec_b64 s[18:19], s[98:99]
	s_cbranch_execz .LBB50_323
; %bb.322:
	v_mov_b32_e32 v19, 0
	ds_read_b64 v[19:20], v19 offset:17152
	ds_read_b64 v[21:22], v18
	s_waitcnt lgkmcnt(0)
	v_mul_f32_e32 v23, v22, v20
	v_mul_f32_e32 v20, v21, v20
	v_fma_f32 v21, v21, v19, -v23
	v_fmac_f32_e32 v20, v22, v19
	v_sub_f32_e32 v2, v2, v21
	v_sub_f32_e32 v3, v3, v20
.LBB50_323:
	s_or_b64 exec, exec, s[18:19]
	s_barrier
	s_and_saveexec_b64 s[18:19], s[98:99]
; %bb.324:
	v_xor_b32_e32 v19, 0x80000000, v2
	v_xor_b32_e32 v20, 0x80000000, v3
	ds_write_b64 v18, v[19:20]
; %bb.325:
	s_or_b64 exec, exec, s[18:19]
	s_waitcnt lgkmcnt(0)
	s_barrier
	s_barrier
	s_and_saveexec_b64 s[18:19], s[14:15]
; %bb.326:
	v_lshlrev_b32_e32 v19, 3, v16
	v_lshl_or_b32 v19, v17, 9, v19
	ds_write_b64 v19, v[2:3] offset:24832
; %bb.327:
	s_or_b64 exec, exec, s[18:19]
	v_cmp_gt_u32_e64 s[18:19], 16, v0
	s_waitcnt lgkmcnt(0)
	s_barrier
	s_barrier
	s_and_b64 s[20:21], s[16:17], s[18:19]
	s_mov_b64 s[18:19], exec
	v_writelane_b32 v29, s20, 58
	v_writelane_b32 v29, s21, 59
	s_and_b64 s[20:21], s[18:19], s[20:21]
	s_mov_b64 exec, s[20:21]
	s_cbranch_execz .LBB50_329
; %bb.328:
	v_lshlrev_b32_e32 v19, 9, v0
	ds_read_b64 v[2:3], v19 offset:24832
	s_movk_i32 s20, 0xfe08
	v_mad_i32_i24 v20, v0, s20, v19
	s_waitcnt lgkmcnt(0)
	ds_write_b64 v20, v[2:3] offset:16768
	ds_read_b64 v[2:3], v19 offset:24840
	s_waitcnt lgkmcnt(0)
	ds_write_b64 v20, v[2:3] offset:17280
	ds_read_b64 v[2:3], v19 offset:24848
	;; [unrolled: 3-line block ×15, first 2 shown]
	s_waitcnt lgkmcnt(0)
	ds_write_b64 v20, v[2:3] offset:24448
.LBB50_329:
	s_or_b64 exec, exec, s[18:19]
	s_waitcnt lgkmcnt(0)
	s_barrier
	s_and_saveexec_b64 s[18:19], vcc
	s_cbranch_execz .LBB50_331
; %bb.330:
	v_mov_b32_e32 v21, 0
	ds_read_b64 v[2:3], v21 offset:24432
	s_mov_b64 s[20:21], 0x3f800000
	v_mov_b32_e32 v19, s20
	v_mov_b32_e32 v20, s21
	s_movk_i32 s20, 0x5800
	ds_write_b64 v21, v[19:20] offset:24440
	v_add_u32_e64 v21, s20, 0
	s_waitcnt lgkmcnt(1)
	ds_write2_b64 v21, v[19:20], v[2:3] offset0:174 offset1:175
.LBB50_331:
	s_or_b64 exec, exec, s[18:19]
	v_mov_b32_e32 v2, 0
	v_mov_b32_e32 v3, 0
	s_waitcnt lgkmcnt(0)
	s_barrier
	buffer_wbinvl1_vol
	s_and_saveexec_b64 s[20:21], s[22:23]
	s_cbranch_execz .LBB50_335
; %bb.332:
	v_lshlrev_b32_e32 v2, 3, v4
	v_lshlrev_b32_e32 v19, 9, v5
	ds_read_b64 v[2:3], v2 offset:23904
	ds_read_b64 v[19:20], v19 offset:23920
	v_cmp_gt_u32_e64 s[18:19], 2, v9
	s_waitcnt lgkmcnt(0)
	v_mul_f32_e32 v21, v20, v3
	v_mul_f32_e32 v3, v19, v3
	v_fma_f32 v19, v19, v2, -v21
	v_fmac_f32_e32 v3, v20, v2
	v_add_f32_e32 v2, 0, v19
	v_add_f32_e32 v3, 0, v3
	s_and_saveexec_b64 s[24:25], s[18:19]
	s_cbranch_execz .LBB50_334
; %bb.333:
	v_lshlrev_b32_e32 v19, 3, v0
	v_mov_b32_e32 v21, 0
	ds_read_b64 v[19:20], v19 offset:24416
	ds_read_b64 v[21:22], v21 offset:24440
	s_waitcnt lgkmcnt(0)
	v_mul_f32_e32 v23, v22, v20
	v_mul_f32_e32 v20, v21, v20
	v_fma_f32 v21, v21, v19, -v23
	v_fmac_f32_e32 v20, v22, v19
	v_add_f32_e32 v2, v2, v21
	v_add_f32_e32 v3, v3, v20
.LBB50_334:
	s_or_b64 exec, exec, s[24:25]
.LBB50_335:
	s_or_b64 exec, exec, s[20:21]
	s_and_saveexec_b64 s[18:19], s[36:37]
; %bb.336:
	v_xor_b32_e32 v20, 0x80000000, v3
	v_xor_b32_e32 v19, 0x80000000, v2
	ds_write_b64 v7, v[19:20]
; %bb.337:
	s_or_b64 exec, exec, s[18:19]
	s_waitcnt lgkmcnt(0)
	s_barrier
	s_and_saveexec_b64 s[18:19], s[34:35]
	s_cbranch_execz .LBB50_339
; %bb.338:
	v_mov_b32_e32 v19, 0
	ds_read_b64 v[19:20], v19 offset:23392
	ds_read_b64 v[21:22], v7
	s_waitcnt lgkmcnt(0)
	v_mul_f32_e32 v23, v21, v19
	v_mul_f32_e32 v21, v21, v20
	v_fmac_f32_e32 v21, v22, v19
	v_fma_f32 v19, v22, v20, -v23
	v_add_f32_e32 v2, v2, v19
	v_sub_f32_e32 v3, v3, v21
.LBB50_339:
	s_or_b64 exec, exec, s[18:19]
	s_barrier
	s_and_saveexec_b64 s[18:19], s[34:35]
; %bb.340:
	v_xor_b32_e32 v20, 0x80000000, v3
	v_xor_b32_e32 v19, 0x80000000, v2
	ds_write_b64 v7, v[19:20]
; %bb.341:
	s_or_b64 exec, exec, s[18:19]
	s_waitcnt lgkmcnt(0)
	s_barrier
	s_barrier
	s_and_saveexec_b64 s[18:19], s[22:23]
; %bb.342:
	v_lshlrev_b32_e32 v19, 3, v4
	v_lshl_or_b32 v19, v5, 9, v19
	ds_write_b64 v19, v[2:3] offset:23904
; %bb.343:
	s_or_b64 exec, exec, s[18:19]
	s_waitcnt lgkmcnt(0)
	s_barrier
	s_barrier
	s_and_saveexec_b64 s[18:19], s[38:39]
	s_cbranch_execz .LBB50_345
; %bb.344:
	v_lshlrev_b32_e32 v19, 3, v0
	s_movk_i32 s20, 0x1f8
	v_mad_u32_u24 v20, v0, s20, v19
	ds_read_b64 v[2:3], v20 offset:23904
	s_waitcnt lgkmcnt(0)
	ds_write_b64 v19, v[2:3] offset:22896
	ds_read_b64 v[2:3], v20 offset:23912
	s_waitcnt lgkmcnt(0)
	ds_write_b64 v19, v[2:3] offset:23408
.LBB50_345:
	s_or_b64 exec, exec, s[18:19]
	s_waitcnt lgkmcnt(0)
	s_barrier
	s_and_saveexec_b64 s[18:19], vcc
	s_cbranch_execz .LBB50_347
; %bb.346:
	v_mov_b32_e32 v21, 0
	ds_read_b64 v[2:3], v21 offset:23392
	s_mov_b64 s[20:21], 0x3f800000
	v_mov_b32_e32 v19, s20
	v_mov_b32_e32 v20, s21
	s_movk_i32 s20, 0x5800
	ds_write_b64 v21, v[19:20] offset:23400
	v_add_u32_e64 v21, s20, 0
	s_waitcnt lgkmcnt(1)
	ds_write2_b64 v21, v[19:20], v[2:3] offset0:44 offset1:45
.LBB50_347:
	s_or_b64 exec, exec, s[18:19]
	v_mov_b32_e32 v3, 0
	v_mov_b32_e32 v2, 0
	s_waitcnt lgkmcnt(0)
	s_barrier
	buffer_wbinvl1_vol
	s_and_saveexec_b64 s[20:21], s[10:11]
	s_cbranch_execz .LBB50_353
; %bb.348:
	v_lshlrev_b32_e32 v19, 3, v10
	v_lshlrev_b32_e32 v20, 9, v11
	ds_read_b64 v[2:3], v19 offset:22848
	ds_read_b64 v[21:22], v20 offset:22880
	v_cmp_gt_u32_e64 s[18:19], 12, v9
	s_waitcnt lgkmcnt(0)
	v_mul_f32_e32 v23, v22, v3
	v_mul_f32_e32 v3, v21, v3
	v_fma_f32 v21, v21, v2, -v23
	v_fmac_f32_e32 v3, v22, v2
	v_add_f32_e32 v2, 0, v21
	v_add_f32_e32 v3, 0, v3
	s_and_saveexec_b64 s[24:25], s[18:19]
	s_cbranch_execnz .LBB50_1066
; %bb.349:
	s_or_b64 exec, exec, s[24:25]
	v_cmp_gt_u32_e64 s[18:19], 8, v9
	s_and_saveexec_b64 s[24:25], s[18:19]
	s_cbranch_execnz .LBB50_1067
.LBB50_350:
	s_or_b64 exec, exec, s[24:25]
	v_cmp_gt_u32_e64 s[18:19], 4, v9
	s_and_saveexec_b64 s[24:25], s[18:19]
	s_cbranch_execz .LBB50_352
.LBB50_351:
	v_lshlrev_b32_e32 v19, 3, v0
	v_mov_b32_e32 v21, 0
	ds_read_b64 v[19:20], v19 offset:24384
	ds_read_b64 v[21:22], v21 offset:24440
	s_waitcnt lgkmcnt(0)
	v_mul_f32_e32 v23, v22, v20
	v_mul_f32_e32 v20, v21, v20
	v_fma_f32 v21, v21, v19, -v23
	v_fmac_f32_e32 v20, v22, v19
	v_add_f32_e32 v2, v2, v21
	v_add_f32_e32 v3, v3, v20
.LBB50_352:
	s_or_b64 exec, exec, s[24:25]
.LBB50_353:
	s_or_b64 exec, exec, s[20:21]
	s_and_saveexec_b64 s[18:19], s[44:45]
; %bb.354:
	v_xor_b32_e32 v19, 0x80000000, v2
	v_xor_b32_e32 v20, 0x80000000, v3
	ds_write_b64 v12, v[19:20]
; %bb.355:
	s_or_b64 exec, exec, s[18:19]
	s_waitcnt lgkmcnt(0)
	s_barrier
	s_and_saveexec_b64 s[18:19], s[52:53]
	s_cbranch_execz .LBB50_357
; %bb.356:
	v_lshlrev_b32_e32 v19, 3, v10
	ds_read_b64 v[19:20], v19 offset:22336
	ds_read_b64 v[21:22], v12
	s_waitcnt lgkmcnt(0)
	v_mul_f32_e32 v23, v22, v20
	v_mul_f32_e32 v20, v21, v20
	v_fma_f32 v21, v21, v19, -v23
	v_fmac_f32_e32 v20, v22, v19
	v_sub_f32_e32 v2, v2, v21
	v_sub_f32_e32 v3, v3, v20
.LBB50_357:
	s_or_b64 exec, exec, s[18:19]
	s_barrier
	s_and_saveexec_b64 s[18:19], s[54:55]
; %bb.358:
	v_xor_b32_e32 v19, 0x80000000, v2
	v_xor_b32_e32 v20, 0x80000000, v3
	ds_write_b64 v12, v[19:20]
; %bb.359:
	s_or_b64 exec, exec, s[18:19]
	s_waitcnt lgkmcnt(0)
	s_barrier
	s_and_saveexec_b64 s[18:19], s[56:57]
	s_cbranch_execz .LBB50_361
; %bb.360:
	v_lshlrev_b32_e32 v19, 3, v10
	ds_read_b64 v[19:20], v19 offset:21824
	ds_read_b64 v[21:22], v12
	s_waitcnt lgkmcnt(0)
	v_mul_f32_e32 v23, v22, v20
	v_mul_f32_e32 v20, v21, v20
	v_fma_f32 v21, v21, v19, -v23
	v_fmac_f32_e32 v20, v22, v19
	v_sub_f32_e32 v2, v2, v21
	v_sub_f32_e32 v3, v3, v20
.LBB50_361:
	s_or_b64 exec, exec, s[18:19]
	s_barrier
	s_and_saveexec_b64 s[18:19], s[58:59]
; %bb.362:
	v_xor_b32_e32 v19, 0x80000000, v2
	v_xor_b32_e32 v20, 0x80000000, v3
	ds_write_b64 v12, v[19:20]
; %bb.363:
	s_or_b64 exec, exec, s[18:19]
	s_waitcnt lgkmcnt(0)
	s_barrier
	s_and_saveexec_b64 s[18:19], s[42:43]
	s_cbranch_execz .LBB50_365
; %bb.364:
	v_mov_b32_e32 v19, 0
	ds_read_b64 v[19:20], v19 offset:21312
	ds_read_b64 v[21:22], v12
	s_waitcnt lgkmcnt(0)
	v_mul_f32_e32 v23, v22, v20
	v_mul_f32_e32 v20, v21, v20
	v_fma_f32 v21, v21, v19, -v23
	v_fmac_f32_e32 v20, v22, v19
	v_sub_f32_e32 v2, v2, v21
	v_sub_f32_e32 v3, v3, v20
.LBB50_365:
	s_or_b64 exec, exec, s[18:19]
	s_barrier
	s_and_saveexec_b64 s[18:19], s[42:43]
; %bb.366:
	v_xor_b32_e32 v19, 0x80000000, v2
	v_xor_b32_e32 v20, 0x80000000, v3
	ds_write_b64 v12, v[19:20]
; %bb.367:
	s_or_b64 exec, exec, s[18:19]
	s_waitcnt lgkmcnt(0)
	s_barrier
	s_barrier
	s_and_saveexec_b64 s[18:19], s[10:11]
; %bb.368:
	v_lshlrev_b32_e32 v19, 3, v10
	v_lshl_or_b32 v19, v11, 9, v19
	ds_write_b64 v19, v[2:3] offset:22848
; %bb.369:
	s_or_b64 exec, exec, s[18:19]
	s_waitcnt lgkmcnt(0)
	s_barrier
	s_barrier
	s_and_saveexec_b64 s[18:19], s[60:61]
	s_cbranch_execz .LBB50_371
; %bb.370:
	v_lshlrev_b32_e32 v19, 9, v0
	ds_read_b64 v[2:3], v19 offset:22848
	s_movk_i32 s20, 0xfe08
	v_mad_i32_i24 v20, v0, s20, v19
	s_waitcnt lgkmcnt(0)
	ds_write_b64 v20, v[2:3] offset:20832
	ds_read_b64 v[2:3], v19 offset:22856
	s_waitcnt lgkmcnt(0)
	ds_write_b64 v20, v[2:3] offset:21344
	ds_read_b64 v[2:3], v19 offset:22864
	;; [unrolled: 3-line block ×3, first 2 shown]
	s_waitcnt lgkmcnt(0)
	ds_write_b64 v20, v[2:3] offset:22368
.LBB50_371:
	s_or_b64 exec, exec, s[18:19]
	s_waitcnt lgkmcnt(0)
	s_barrier
	s_and_saveexec_b64 s[18:19], vcc
	s_cbranch_execz .LBB50_373
; %bb.372:
	v_mov_b32_e32 v21, 0
	ds_read_b64 v[2:3], v21 offset:22352
	s_mov_b64 s[20:21], 0x3f800000
	v_mov_b32_e32 v19, s20
	v_mov_b32_e32 v20, s21
	s_movk_i32 s20, 0x5000
	ds_write_b64 v21, v[19:20] offset:22360
	v_add_u32_e64 v21, s20, 0
	s_waitcnt lgkmcnt(1)
	ds_write2_b64 v21, v[19:20], v[2:3] offset0:170 offset1:171
.LBB50_373:
	s_or_b64 exec, exec, s[18:19]
	v_mov_b32_e32 v2, 0
	v_mov_b32_e32 v3, 0
	s_waitcnt lgkmcnt(0)
	s_barrier
	buffer_wbinvl1_vol
	s_and_saveexec_b64 s[20:21], s[22:23]
	s_cbranch_execz .LBB50_377
; %bb.374:
	v_lshlrev_b32_e32 v2, 3, v4
	v_lshlrev_b32_e32 v19, 9, v5
	ds_read_b64 v[2:3], v2 offset:21824
	ds_read_b64 v[19:20], v19 offset:21840
	v_cmp_gt_u32_e64 s[18:19], 2, v9
	s_waitcnt lgkmcnt(0)
	v_mul_f32_e32 v21, v20, v3
	v_mul_f32_e32 v3, v19, v3
	v_fma_f32 v19, v19, v2, -v21
	v_fmac_f32_e32 v3, v20, v2
	v_add_f32_e32 v2, 0, v19
	v_add_f32_e32 v3, 0, v3
	s_and_saveexec_b64 s[24:25], s[18:19]
	s_cbranch_execz .LBB50_376
; %bb.375:
	v_lshlrev_b32_e32 v19, 3, v0
	v_mov_b32_e32 v21, 0
	ds_read_b64 v[19:20], v19 offset:22336
	ds_read_b64 v[21:22], v21 offset:22360
	s_waitcnt lgkmcnt(0)
	v_mul_f32_e32 v23, v22, v20
	v_mul_f32_e32 v20, v21, v20
	v_fma_f32 v21, v21, v19, -v23
	v_fmac_f32_e32 v20, v22, v19
	v_add_f32_e32 v2, v2, v21
	v_add_f32_e32 v3, v3, v20
.LBB50_376:
	s_or_b64 exec, exec, s[24:25]
.LBB50_377:
	s_or_b64 exec, exec, s[20:21]
	s_and_saveexec_b64 s[18:19], s[36:37]
; %bb.378:
	v_xor_b32_e32 v20, 0x80000000, v3
	v_xor_b32_e32 v19, 0x80000000, v2
	ds_write_b64 v7, v[19:20]
; %bb.379:
	s_or_b64 exec, exec, s[18:19]
	s_waitcnt lgkmcnt(0)
	s_barrier
	s_and_saveexec_b64 s[18:19], s[34:35]
	s_cbranch_execz .LBB50_381
; %bb.380:
	v_mov_b32_e32 v19, 0
	ds_read_b64 v[19:20], v19 offset:21312
	ds_read_b64 v[21:22], v7
	s_waitcnt lgkmcnt(0)
	v_mul_f32_e32 v23, v21, v19
	v_mul_f32_e32 v21, v21, v20
	v_fmac_f32_e32 v21, v22, v19
	v_fma_f32 v19, v22, v20, -v23
	v_add_f32_e32 v2, v2, v19
	v_sub_f32_e32 v3, v3, v21
.LBB50_381:
	s_or_b64 exec, exec, s[18:19]
	s_barrier
	s_and_saveexec_b64 s[18:19], s[34:35]
; %bb.382:
	v_xor_b32_e32 v20, 0x80000000, v3
	v_xor_b32_e32 v19, 0x80000000, v2
	ds_write_b64 v7, v[19:20]
; %bb.383:
	s_or_b64 exec, exec, s[18:19]
	s_waitcnt lgkmcnt(0)
	s_barrier
	s_barrier
	s_and_saveexec_b64 s[18:19], s[22:23]
; %bb.384:
	v_lshlrev_b32_e32 v19, 3, v4
	v_lshl_or_b32 v19, v5, 9, v19
	ds_write_b64 v19, v[2:3] offset:21824
; %bb.385:
	s_or_b64 exec, exec, s[18:19]
	s_waitcnt lgkmcnt(0)
	s_barrier
	s_barrier
	s_and_saveexec_b64 s[18:19], s[38:39]
	s_cbranch_execz .LBB50_387
; %bb.386:
	v_lshlrev_b32_e32 v19, 3, v0
	s_movk_i32 s20, 0x1f8
	v_mad_u32_u24 v20, v0, s20, v19
	ds_read_b64 v[2:3], v20 offset:21824
	s_waitcnt lgkmcnt(0)
	ds_write_b64 v19, v[2:3] offset:20816
	ds_read_b64 v[2:3], v20 offset:21832
	s_waitcnt lgkmcnt(0)
	ds_write_b64 v19, v[2:3] offset:21328
.LBB50_387:
	s_or_b64 exec, exec, s[18:19]
	s_waitcnt lgkmcnt(0)
	s_barrier
	s_and_saveexec_b64 s[18:19], vcc
	s_cbranch_execz .LBB50_389
; %bb.388:
	v_mov_b32_e32 v21, 0
	ds_read_b64 v[2:3], v21 offset:21312
	s_mov_b64 s[20:21], 0x3f800000
	v_mov_b32_e32 v19, s20
	v_mov_b32_e32 v20, s21
	s_movk_i32 s20, 0x5000
	ds_write_b64 v21, v[19:20] offset:21320
	v_add_u32_e64 v21, s20, 0
	s_waitcnt lgkmcnt(1)
	ds_write2_b64 v21, v[19:20], v[2:3] offset0:40 offset1:41
.LBB50_389:
	s_or_b64 exec, exec, s[18:19]
	v_mov_b32_e32 v3, 0
	v_mov_b32_e32 v2, 0
	s_waitcnt lgkmcnt(0)
	s_barrier
	buffer_wbinvl1_vol
	s_and_saveexec_b64 s[20:21], s[12:13]
	s_cbranch_execz .LBB50_399
; %bb.390:
	v_lshlrev_b32_e32 v19, 3, v13
	v_lshlrev_b32_e32 v20, 9, v14
	ds_read_b64 v[2:3], v19 offset:20736
	ds_read_b64 v[21:22], v20 offset:20800
	v_cmp_gt_u32_e64 s[18:19], 56, v9
	s_waitcnt lgkmcnt(0)
	v_mul_f32_e32 v23, v22, v3
	v_mul_f32_e32 v3, v21, v3
	v_fma_f32 v21, v21, v2, -v23
	v_fmac_f32_e32 v3, v22, v2
	v_add_f32_e32 v2, 0, v21
	v_add_f32_e32 v3, 0, v3
	s_and_saveexec_b64 s[24:25], s[18:19]
	s_cbranch_execnz .LBB50_1068
; %bb.391:
	s_or_b64 exec, exec, s[24:25]
	v_cmp_gt_u32_e64 s[18:19], 48, v9
	s_and_saveexec_b64 s[24:25], s[18:19]
	s_cbranch_execnz .LBB50_1069
.LBB50_392:
	s_or_b64 exec, exec, s[24:25]
	v_cmp_gt_u32_e64 s[18:19], 40, v9
	s_and_saveexec_b64 s[24:25], s[18:19]
	s_cbranch_execnz .LBB50_1070
.LBB50_393:
	s_or_b64 exec, exec, s[24:25]
	v_cmp_gt_u32_e64 s[18:19], 32, v9
	s_and_saveexec_b64 s[24:25], s[18:19]
	s_cbranch_execnz .LBB50_1071
.LBB50_394:
	s_or_b64 exec, exec, s[24:25]
	v_cmp_gt_u32_e64 s[18:19], 24, v9
	s_and_saveexec_b64 s[24:25], s[18:19]
	s_cbranch_execnz .LBB50_1072
.LBB50_395:
	s_or_b64 exec, exec, s[24:25]
	s_and_saveexec_b64 s[18:19], s[10:11]
	s_cbranch_execnz .LBB50_1073
.LBB50_396:
	s_or_b64 exec, exec, s[18:19]
	v_cmp_gt_u32_e64 s[18:19], 8, v9
	s_and_saveexec_b64 s[24:25], s[18:19]
	s_cbranch_execz .LBB50_398
.LBB50_397:
	v_lshlrev_b32_e32 v19, 3, v0
	v_mov_b32_e32 v21, 0
	ds_read_b64 v[19:20], v19 offset:24320
	ds_read_b64 v[21:22], v21 offset:24440
	s_waitcnt lgkmcnt(0)
	v_mul_f32_e32 v23, v22, v20
	v_mul_f32_e32 v20, v21, v20
	v_fma_f32 v21, v21, v19, -v23
	v_fmac_f32_e32 v20, v22, v19
	v_add_f32_e32 v2, v2, v21
	v_add_f32_e32 v3, v3, v20
.LBB50_398:
	s_or_b64 exec, exec, s[24:25]
.LBB50_399:
	s_or_b64 exec, exec, s[20:21]
	s_and_saveexec_b64 s[18:19], s[64:65]
; %bb.400:
	v_xor_b32_e32 v20, 0x80000000, v3
	v_xor_b32_e32 v19, 0x80000000, v2
	ds_write_b64 v15, v[19:20]
; %bb.401:
	s_or_b64 exec, exec, s[18:19]
	s_waitcnt lgkmcnt(0)
	s_barrier
	s_and_saveexec_b64 s[18:19], s[66:67]
	s_cbranch_execz .LBB50_403
; %bb.402:
	v_lshlrev_b32_e32 v19, 3, v13
	ds_read_b64 v[19:20], v19 offset:20224
	ds_read_b64 v[21:22], v15
	s_waitcnt lgkmcnt(0)
	v_mul_f32_e32 v23, v22, v20
	v_mul_f32_e32 v20, v21, v20
	v_fma_f32 v21, v21, v19, -v23
	v_fmac_f32_e32 v20, v22, v19
	v_sub_f32_e32 v2, v2, v21
	v_sub_f32_e32 v3, v3, v20
.LBB50_403:
	s_or_b64 exec, exec, s[18:19]
	s_barrier
	s_and_saveexec_b64 s[18:19], s[68:69]
; %bb.404:
	v_xor_b32_e32 v20, 0x80000000, v3
	v_xor_b32_e32 v19, 0x80000000, v2
	ds_write_b64 v15, v[19:20]
; %bb.405:
	s_or_b64 exec, exec, s[18:19]
	s_waitcnt lgkmcnt(0)
	s_barrier
	s_and_saveexec_b64 s[18:19], s[70:71]
	s_cbranch_execz .LBB50_407
; %bb.406:
	v_lshlrev_b32_e32 v19, 3, v13
	ds_read_b64 v[19:20], v19 offset:19712
	ds_read_b64 v[21:22], v15
	s_waitcnt lgkmcnt(0)
	v_mul_f32_e32 v23, v22, v20
	v_mul_f32_e32 v20, v21, v20
	v_fma_f32 v21, v21, v19, -v23
	v_fmac_f32_e32 v20, v22, v19
	v_sub_f32_e32 v2, v2, v21
	v_sub_f32_e32 v3, v3, v20
.LBB50_407:
	s_or_b64 exec, exec, s[18:19]
	s_barrier
	;; [unrolled: 25-line block ×6, first 2 shown]
	s_and_saveexec_b64 s[18:19], s[88:89]
; %bb.424:
	v_xor_b32_e32 v20, 0x80000000, v3
	v_xor_b32_e32 v19, 0x80000000, v2
	ds_write_b64 v15, v[19:20]
; %bb.425:
	s_or_b64 exec, exec, s[18:19]
	s_waitcnt lgkmcnt(0)
	s_barrier
	s_and_saveexec_b64 s[18:19], s[62:63]
	s_cbranch_execz .LBB50_427
; %bb.426:
	v_mov_b32_e32 v19, 0
	ds_read_b64 v[19:20], v19 offset:17152
	ds_read_b64 v[21:22], v15
	s_waitcnt lgkmcnt(0)
	v_mul_f32_e32 v23, v22, v20
	v_mul_f32_e32 v20, v21, v20
	v_fma_f32 v21, v21, v19, -v23
	v_fmac_f32_e32 v20, v22, v19
	v_sub_f32_e32 v2, v2, v21
	v_sub_f32_e32 v3, v3, v20
.LBB50_427:
	s_or_b64 exec, exec, s[18:19]
	s_barrier
	s_and_saveexec_b64 s[18:19], s[62:63]
; %bb.428:
	v_xor_b32_e32 v20, 0x80000000, v3
	v_xor_b32_e32 v19, 0x80000000, v2
	ds_write_b64 v15, v[19:20]
; %bb.429:
	s_or_b64 exec, exec, s[18:19]
	s_waitcnt lgkmcnt(0)
	s_barrier
	s_barrier
	s_and_saveexec_b64 s[18:19], s[12:13]
; %bb.430:
	v_lshlrev_b32_e32 v19, 3, v13
	v_lshl_or_b32 v19, v14, 9, v19
	ds_write_b64 v19, v[2:3] offset:20736
; %bb.431:
	s_or_b64 exec, exec, s[18:19]
	s_waitcnt lgkmcnt(0)
	s_barrier
	s_barrier
	s_and_saveexec_b64 s[18:19], s[90:91]
	s_cbranch_execz .LBB50_433
; %bb.432:
	v_lshlrev_b32_e32 v19, 9, v0
	ds_read_b64 v[2:3], v19 offset:20736
	s_movk_i32 s20, 0xfe08
	v_mad_i32_i24 v20, v0, s20, v19
	s_waitcnt lgkmcnt(0)
	ds_write_b64 v20, v[2:3] offset:16704
	ds_read_b64 v[2:3], v19 offset:20744
	s_waitcnt lgkmcnt(0)
	ds_write_b64 v20, v[2:3] offset:17216
	ds_read_b64 v[2:3], v19 offset:20752
	;; [unrolled: 3-line block ×7, first 2 shown]
	s_waitcnt lgkmcnt(0)
	ds_write_b64 v20, v[2:3] offset:20288
.LBB50_433:
	s_or_b64 exec, exec, s[18:19]
	s_waitcnt lgkmcnt(0)
	s_barrier
	s_and_saveexec_b64 s[18:19], vcc
	s_cbranch_execz .LBB50_435
; %bb.434:
	v_mov_b32_e32 v21, 0
	ds_read_b64 v[2:3], v21 offset:20272
	s_mov_b64 s[20:21], 0x3f800000
	v_mov_b32_e32 v19, s20
	v_mov_b32_e32 v20, s21
	s_movk_i32 s20, 0x4800
	ds_write_b64 v21, v[19:20] offset:20280
	v_add_u32_e64 v21, s20, 0
	s_waitcnt lgkmcnt(1)
	ds_write2_b64 v21, v[19:20], v[2:3] offset0:166 offset1:167
.LBB50_435:
	s_or_b64 exec, exec, s[18:19]
	v_mov_b32_e32 v2, 0
	v_mov_b32_e32 v3, 0
	s_waitcnt lgkmcnt(0)
	s_barrier
	buffer_wbinvl1_vol
	s_and_saveexec_b64 s[20:21], s[22:23]
	s_cbranch_execz .LBB50_439
; %bb.436:
	v_lshlrev_b32_e32 v2, 3, v4
	v_lshlrev_b32_e32 v19, 9, v5
	ds_read_b64 v[2:3], v2 offset:19744
	ds_read_b64 v[19:20], v19 offset:19760
	v_cmp_gt_u32_e64 s[18:19], 2, v9
	s_waitcnt lgkmcnt(0)
	v_mul_f32_e32 v21, v20, v3
	v_mul_f32_e32 v3, v19, v3
	v_fma_f32 v19, v19, v2, -v21
	v_fmac_f32_e32 v3, v20, v2
	v_add_f32_e32 v2, 0, v19
	v_add_f32_e32 v3, 0, v3
	s_and_saveexec_b64 s[24:25], s[18:19]
	s_cbranch_execz .LBB50_438
; %bb.437:
	v_lshlrev_b32_e32 v19, 3, v0
	v_mov_b32_e32 v21, 0
	ds_read_b64 v[19:20], v19 offset:20256
	ds_read_b64 v[21:22], v21 offset:20280
	s_waitcnt lgkmcnt(0)
	v_mul_f32_e32 v23, v22, v20
	v_mul_f32_e32 v20, v21, v20
	v_fma_f32 v21, v21, v19, -v23
	v_fmac_f32_e32 v20, v22, v19
	v_add_f32_e32 v2, v2, v21
	v_add_f32_e32 v3, v3, v20
.LBB50_438:
	s_or_b64 exec, exec, s[24:25]
.LBB50_439:
	s_or_b64 exec, exec, s[20:21]
	s_and_saveexec_b64 s[18:19], s[36:37]
; %bb.440:
	v_xor_b32_e32 v20, 0x80000000, v3
	v_xor_b32_e32 v19, 0x80000000, v2
	ds_write_b64 v7, v[19:20]
; %bb.441:
	s_or_b64 exec, exec, s[18:19]
	s_waitcnt lgkmcnt(0)
	s_barrier
	s_and_saveexec_b64 s[18:19], s[34:35]
	s_cbranch_execz .LBB50_443
; %bb.442:
	v_mov_b32_e32 v19, 0
	ds_read_b64 v[19:20], v19 offset:19232
	ds_read_b64 v[21:22], v7
	s_waitcnt lgkmcnt(0)
	v_mul_f32_e32 v23, v21, v19
	v_mul_f32_e32 v21, v21, v20
	v_fmac_f32_e32 v21, v22, v19
	v_fma_f32 v19, v22, v20, -v23
	v_add_f32_e32 v2, v2, v19
	v_sub_f32_e32 v3, v3, v21
.LBB50_443:
	s_or_b64 exec, exec, s[18:19]
	s_barrier
	s_and_saveexec_b64 s[18:19], s[34:35]
; %bb.444:
	v_xor_b32_e32 v20, 0x80000000, v3
	v_xor_b32_e32 v19, 0x80000000, v2
	ds_write_b64 v7, v[19:20]
; %bb.445:
	s_or_b64 exec, exec, s[18:19]
	s_waitcnt lgkmcnt(0)
	s_barrier
	s_barrier
	s_and_saveexec_b64 s[18:19], s[22:23]
; %bb.446:
	v_lshlrev_b32_e32 v19, 3, v4
	v_lshl_or_b32 v19, v5, 9, v19
	ds_write_b64 v19, v[2:3] offset:19744
; %bb.447:
	s_or_b64 exec, exec, s[18:19]
	s_waitcnt lgkmcnt(0)
	s_barrier
	s_barrier
	s_and_saveexec_b64 s[18:19], s[38:39]
	s_cbranch_execz .LBB50_449
; %bb.448:
	v_lshlrev_b32_e32 v19, 3, v0
	s_movk_i32 s20, 0x1f8
	v_mad_u32_u24 v20, v0, s20, v19
	ds_read_b64 v[2:3], v20 offset:19744
	s_waitcnt lgkmcnt(0)
	ds_write_b64 v19, v[2:3] offset:18736
	ds_read_b64 v[2:3], v20 offset:19752
	s_waitcnt lgkmcnt(0)
	ds_write_b64 v19, v[2:3] offset:19248
.LBB50_449:
	s_or_b64 exec, exec, s[18:19]
	s_waitcnt lgkmcnt(0)
	s_barrier
	s_and_saveexec_b64 s[18:19], vcc
	s_cbranch_execz .LBB50_451
; %bb.450:
	v_mov_b32_e32 v21, 0
	ds_read_b64 v[2:3], v21 offset:19232
	s_mov_b64 s[20:21], 0x3f800000
	v_mov_b32_e32 v19, s20
	v_mov_b32_e32 v20, s21
	s_movk_i32 s20, 0x4800
	ds_write_b64 v21, v[19:20] offset:19240
	v_add_u32_e64 v21, s20, 0
	s_waitcnt lgkmcnt(1)
	ds_write2_b64 v21, v[19:20], v[2:3] offset0:36 offset1:37
.LBB50_451:
	s_or_b64 exec, exec, s[18:19]
	v_mov_b32_e32 v3, 0
	v_mov_b32_e32 v2, 0
	s_waitcnt lgkmcnt(0)
	s_barrier
	buffer_wbinvl1_vol
	s_and_saveexec_b64 s[20:21], s[10:11]
	s_cbranch_execz .LBB50_457
; %bb.452:
	v_lshlrev_b32_e32 v19, 3, v10
	v_lshlrev_b32_e32 v20, 9, v11
	ds_read_b64 v[2:3], v19 offset:18688
	ds_read_b64 v[21:22], v20 offset:18720
	v_cmp_gt_u32_e64 s[18:19], 12, v9
	s_waitcnt lgkmcnt(0)
	v_mul_f32_e32 v23, v22, v3
	v_mul_f32_e32 v3, v21, v3
	v_fma_f32 v21, v21, v2, -v23
	v_fmac_f32_e32 v3, v22, v2
	v_add_f32_e32 v2, 0, v21
	v_add_f32_e32 v3, 0, v3
	s_and_saveexec_b64 s[24:25], s[18:19]
	s_cbranch_execnz .LBB50_1074
; %bb.453:
	s_or_b64 exec, exec, s[24:25]
	v_cmp_gt_u32_e64 s[18:19], 8, v9
	s_and_saveexec_b64 s[24:25], s[18:19]
	s_cbranch_execnz .LBB50_1075
.LBB50_454:
	s_or_b64 exec, exec, s[24:25]
	v_cmp_gt_u32_e64 s[18:19], 4, v9
	s_and_saveexec_b64 s[24:25], s[18:19]
	s_cbranch_execz .LBB50_456
.LBB50_455:
	v_lshlrev_b32_e32 v19, 3, v0
	v_mov_b32_e32 v21, 0
	ds_read_b64 v[19:20], v19 offset:20224
	ds_read_b64 v[21:22], v21 offset:20280
	s_waitcnt lgkmcnt(0)
	v_mul_f32_e32 v23, v22, v20
	v_mul_f32_e32 v20, v21, v20
	v_fma_f32 v21, v21, v19, -v23
	v_fmac_f32_e32 v20, v22, v19
	v_add_f32_e32 v2, v2, v21
	v_add_f32_e32 v3, v3, v20
.LBB50_456:
	s_or_b64 exec, exec, s[24:25]
.LBB50_457:
	s_or_b64 exec, exec, s[20:21]
	s_and_saveexec_b64 s[18:19], s[44:45]
; %bb.458:
	v_xor_b32_e32 v19, 0x80000000, v2
	v_xor_b32_e32 v20, 0x80000000, v3
	ds_write_b64 v12, v[19:20]
; %bb.459:
	s_or_b64 exec, exec, s[18:19]
	s_waitcnt lgkmcnt(0)
	s_barrier
	s_and_saveexec_b64 s[18:19], s[52:53]
	s_cbranch_execz .LBB50_461
; %bb.460:
	v_lshlrev_b32_e32 v19, 3, v10
	ds_read_b64 v[19:20], v19 offset:18176
	ds_read_b64 v[21:22], v12
	s_waitcnt lgkmcnt(0)
	v_mul_f32_e32 v23, v22, v20
	v_mul_f32_e32 v20, v21, v20
	v_fma_f32 v21, v21, v19, -v23
	v_fmac_f32_e32 v20, v22, v19
	v_sub_f32_e32 v2, v2, v21
	v_sub_f32_e32 v3, v3, v20
.LBB50_461:
	s_or_b64 exec, exec, s[18:19]
	s_barrier
	s_and_saveexec_b64 s[18:19], s[54:55]
; %bb.462:
	v_xor_b32_e32 v19, 0x80000000, v2
	v_xor_b32_e32 v20, 0x80000000, v3
	ds_write_b64 v12, v[19:20]
; %bb.463:
	s_or_b64 exec, exec, s[18:19]
	s_waitcnt lgkmcnt(0)
	s_barrier
	s_and_saveexec_b64 s[18:19], s[56:57]
	s_cbranch_execz .LBB50_465
; %bb.464:
	v_lshlrev_b32_e32 v19, 3, v10
	ds_read_b64 v[19:20], v19 offset:17664
	ds_read_b64 v[21:22], v12
	s_waitcnt lgkmcnt(0)
	v_mul_f32_e32 v23, v22, v20
	v_mul_f32_e32 v20, v21, v20
	v_fma_f32 v21, v21, v19, -v23
	v_fmac_f32_e32 v20, v22, v19
	v_sub_f32_e32 v2, v2, v21
	v_sub_f32_e32 v3, v3, v20
.LBB50_465:
	s_or_b64 exec, exec, s[18:19]
	s_barrier
	s_and_saveexec_b64 s[18:19], s[58:59]
; %bb.466:
	v_xor_b32_e32 v19, 0x80000000, v2
	v_xor_b32_e32 v20, 0x80000000, v3
	ds_write_b64 v12, v[19:20]
; %bb.467:
	s_or_b64 exec, exec, s[18:19]
	s_waitcnt lgkmcnt(0)
	s_barrier
	s_and_saveexec_b64 s[18:19], s[42:43]
	s_cbranch_execz .LBB50_469
; %bb.468:
	v_mov_b32_e32 v19, 0
	ds_read_b64 v[19:20], v19 offset:17152
	ds_read_b64 v[21:22], v12
	s_waitcnt lgkmcnt(0)
	v_mul_f32_e32 v23, v22, v20
	v_mul_f32_e32 v20, v21, v20
	v_fma_f32 v21, v21, v19, -v23
	v_fmac_f32_e32 v20, v22, v19
	v_sub_f32_e32 v2, v2, v21
	v_sub_f32_e32 v3, v3, v20
.LBB50_469:
	s_or_b64 exec, exec, s[18:19]
	s_barrier
	s_and_saveexec_b64 s[18:19], s[42:43]
; %bb.470:
	v_xor_b32_e32 v19, 0x80000000, v2
	v_xor_b32_e32 v20, 0x80000000, v3
	ds_write_b64 v12, v[19:20]
; %bb.471:
	s_or_b64 exec, exec, s[18:19]
	s_waitcnt lgkmcnt(0)
	s_barrier
	s_barrier
	s_and_saveexec_b64 s[18:19], s[10:11]
; %bb.472:
	v_lshlrev_b32_e32 v19, 3, v10
	v_lshl_or_b32 v19, v11, 9, v19
	ds_write_b64 v19, v[2:3] offset:18688
; %bb.473:
	s_or_b64 exec, exec, s[18:19]
	s_waitcnt lgkmcnt(0)
	s_barrier
	s_barrier
	s_and_saveexec_b64 s[18:19], s[60:61]
	s_cbranch_execz .LBB50_475
; %bb.474:
	v_lshlrev_b32_e32 v19, 9, v0
	ds_read_b64 v[2:3], v19 offset:18688
	s_movk_i32 s20, 0xfe08
	v_mad_i32_i24 v20, v0, s20, v19
	s_waitcnt lgkmcnt(0)
	ds_write_b64 v20, v[2:3] offset:16672
	ds_read_b64 v[2:3], v19 offset:18696
	s_waitcnt lgkmcnt(0)
	ds_write_b64 v20, v[2:3] offset:17184
	ds_read_b64 v[2:3], v19 offset:18704
	;; [unrolled: 3-line block ×3, first 2 shown]
	s_waitcnt lgkmcnt(0)
	ds_write_b64 v20, v[2:3] offset:18208
.LBB50_475:
	s_or_b64 exec, exec, s[18:19]
	s_waitcnt lgkmcnt(0)
	s_barrier
	s_and_saveexec_b64 s[18:19], vcc
	s_cbranch_execz .LBB50_477
; %bb.476:
	v_mov_b32_e32 v21, 0
	ds_read_b64 v[2:3], v21 offset:18192
	s_mov_b64 s[20:21], 0x3f800000
	v_mov_b32_e32 v19, s20
	v_mov_b32_e32 v20, s21
	s_movk_i32 s20, 0x4000
	ds_write_b64 v21, v[19:20] offset:18200
	v_add_u32_e64 v21, s20, 0
	s_waitcnt lgkmcnt(1)
	ds_write2_b64 v21, v[19:20], v[2:3] offset0:162 offset1:163
.LBB50_477:
	s_or_b64 exec, exec, s[18:19]
	v_mov_b32_e32 v2, 0
	v_mov_b32_e32 v3, 0
	s_waitcnt lgkmcnt(0)
	s_barrier
	buffer_wbinvl1_vol
	s_and_saveexec_b64 s[20:21], s[22:23]
	s_cbranch_execz .LBB50_481
; %bb.478:
	v_lshlrev_b32_e32 v2, 3, v4
	v_lshlrev_b32_e32 v19, 9, v5
	ds_read_b64 v[2:3], v2 offset:17664
	ds_read_b64 v[19:20], v19 offset:17680
	v_cmp_gt_u32_e64 s[18:19], 2, v9
	s_waitcnt lgkmcnt(0)
	v_mul_f32_e32 v21, v20, v3
	v_mul_f32_e32 v3, v19, v3
	v_fma_f32 v19, v19, v2, -v21
	v_fmac_f32_e32 v3, v20, v2
	v_add_f32_e32 v2, 0, v19
	v_add_f32_e32 v3, 0, v3
	s_and_saveexec_b64 s[24:25], s[18:19]
	s_cbranch_execz .LBB50_480
; %bb.479:
	v_lshlrev_b32_e32 v19, 3, v0
	v_mov_b32_e32 v21, 0
	ds_read_b64 v[19:20], v19 offset:18176
	ds_read_b64 v[21:22], v21 offset:18200
	s_waitcnt lgkmcnt(0)
	v_mul_f32_e32 v23, v22, v20
	v_mul_f32_e32 v20, v21, v20
	v_fma_f32 v21, v21, v19, -v23
	v_fmac_f32_e32 v20, v22, v19
	v_add_f32_e32 v2, v2, v21
	v_add_f32_e32 v3, v3, v20
.LBB50_480:
	s_or_b64 exec, exec, s[24:25]
.LBB50_481:
	s_or_b64 exec, exec, s[20:21]
	s_and_saveexec_b64 s[18:19], s[36:37]
; %bb.482:
	v_xor_b32_e32 v20, 0x80000000, v3
	v_xor_b32_e32 v19, 0x80000000, v2
	ds_write_b64 v7, v[19:20]
; %bb.483:
	s_or_b64 exec, exec, s[18:19]
	s_waitcnt lgkmcnt(0)
	s_barrier
	s_and_saveexec_b64 s[18:19], s[34:35]
	s_cbranch_execz .LBB50_485
; %bb.484:
	v_mov_b32_e32 v19, 0
	ds_read_b64 v[19:20], v19 offset:17152
	ds_read_b64 v[21:22], v7
	s_waitcnt lgkmcnt(0)
	v_mul_f32_e32 v23, v21, v19
	v_mul_f32_e32 v21, v21, v20
	v_fmac_f32_e32 v21, v22, v19
	v_fma_f32 v19, v22, v20, -v23
	v_add_f32_e32 v2, v2, v19
	v_sub_f32_e32 v3, v3, v21
.LBB50_485:
	s_or_b64 exec, exec, s[18:19]
	s_barrier
	s_and_saveexec_b64 s[18:19], s[34:35]
; %bb.486:
	v_xor_b32_e32 v20, 0x80000000, v3
	v_xor_b32_e32 v19, 0x80000000, v2
	ds_write_b64 v7, v[19:20]
; %bb.487:
	s_or_b64 exec, exec, s[18:19]
	s_waitcnt lgkmcnt(0)
	s_barrier
	s_barrier
	s_and_saveexec_b64 s[18:19], s[22:23]
; %bb.488:
	v_lshlrev_b32_e32 v19, 3, v4
	v_lshl_or_b32 v19, v5, 9, v19
	ds_write_b64 v19, v[2:3] offset:17664
; %bb.489:
	s_or_b64 exec, exec, s[18:19]
	s_waitcnt lgkmcnt(0)
	s_barrier
	s_barrier
	s_and_saveexec_b64 s[18:19], s[38:39]
	s_cbranch_execz .LBB50_491
; %bb.490:
	v_lshlrev_b32_e32 v19, 3, v0
	s_movk_i32 s20, 0x1f8
	v_mad_u32_u24 v20, v0, s20, v19
	ds_read_b64 v[2:3], v20 offset:17664
	s_waitcnt lgkmcnt(0)
	ds_write_b64 v19, v[2:3] offset:16656
	ds_read_b64 v[2:3], v20 offset:17672
	s_waitcnt lgkmcnt(0)
	ds_write_b64 v19, v[2:3] offset:17168
.LBB50_491:
	s_or_b64 exec, exec, s[18:19]
	s_waitcnt lgkmcnt(0)
	s_barrier
	s_and_saveexec_b64 s[18:19], vcc
	s_cbranch_execz .LBB50_493
; %bb.492:
	v_mov_b32_e32 v21, 0
	ds_read_b64 v[2:3], v21 offset:17152
	s_mov_b64 s[20:21], 0x3f800000
	v_mov_b32_e32 v19, s20
	v_mov_b32_e32 v20, s21
	s_movk_i32 s20, 0x4000
	ds_write_b64 v21, v[19:20] offset:17160
	v_add_u32_e64 v21, s20, 0
	s_waitcnt lgkmcnt(1)
	ds_write2_b64 v21, v[19:20], v[2:3] offset0:32 offset1:33
.LBB50_493:
	s_or_b64 exec, exec, s[18:19]
	s_movk_i32 s18, 0x3ff
	v_lshrrev_b32_e32 v21, 5, v9
	v_cmp_lt_u32_e64 s[20:21], s18, v9
	s_movk_i32 s18, 0x400
	v_and_b32_e32 v19, 31, v0
	v_sub_u32_e32 v20, 31, v21
	v_cmp_gt_u32_e64 s[18:19], s18, v9
	v_mov_b32_e32 v3, 0
	v_mov_b32_e32 v2, 0
	s_waitcnt lgkmcnt(0)
	s_barrier
	buffer_wbinvl1_vol
	s_and_saveexec_b64 s[92:93], s[18:19]
	s_cbranch_execz .LBB50_555
; %bb.494:
	v_lshlrev_b32_e32 v22, 3, v19
	v_lshlrev_b32_e32 v23, 9, v20
	ds_read_b64 v[2:3], v22 offset:16384
	ds_read_b64 v[24:25], v23 offset:16640
	s_movk_i32 s24, 0x3e0
	v_cmp_gt_u32_e64 s[24:25], s24, v9
	s_waitcnt lgkmcnt(0)
	v_mul_f32_e32 v26, v25, v3
	v_mul_f32_e32 v3, v24, v3
	v_fma_f32 v24, v24, v2, -v26
	v_fmac_f32_e32 v3, v25, v2
	v_add_f32_e32 v2, 0, v24
	v_add_f32_e32 v3, 0, v3
	s_and_saveexec_b64 s[96:97], s[24:25]
	s_cbranch_execz .LBB50_496
; %bb.495:
	ds_read_b64 v[24:25], v22 offset:16896
	ds_read_b64 v[26:27], v23 offset:16648
	s_waitcnt lgkmcnt(0)
	v_mul_f32_e32 v28, v27, v25
	v_mul_f32_e32 v25, v26, v25
	v_fma_f32 v26, v26, v24, -v28
	v_fmac_f32_e32 v25, v27, v24
	v_add_f32_e32 v2, v2, v26
	v_add_f32_e32 v3, v3, v25
.LBB50_496:
	s_or_b64 exec, exec, s[96:97]
	s_movk_i32 s24, 0x3c0
	v_cmp_gt_u32_e64 s[24:25], s24, v9
	s_and_saveexec_b64 s[96:97], s[24:25]
	s_cbranch_execz .LBB50_498
; %bb.497:
	ds_read_b64 v[24:25], v22 offset:17408
	ds_read_b64 v[26:27], v23 offset:16656
	s_waitcnt lgkmcnt(0)
	v_mul_f32_e32 v28, v27, v25
	v_mul_f32_e32 v25, v26, v25
	v_fma_f32 v26, v26, v24, -v28
	v_fmac_f32_e32 v25, v27, v24
	v_add_f32_e32 v2, v2, v26
	v_add_f32_e32 v3, v3, v25
.LBB50_498:
	s_or_b64 exec, exec, s[96:97]
	s_movk_i32 s24, 0x3a0
	v_cmp_gt_u32_e64 s[24:25], s24, v9
	;; [unrolled: 16-line block ×22, first 2 shown]
	s_and_saveexec_b64 s[96:97], s[24:25]
	s_cbranch_execz .LBB50_540
; %bb.539:
	ds_read_b64 v[24:25], v22 offset:28160
	ds_read_b64 v[26:27], v23 offset:16824
	s_waitcnt lgkmcnt(0)
	v_mul_f32_e32 v28, v27, v25
	v_mul_f32_e32 v25, v26, v25
	v_fma_f32 v26, v26, v24, -v28
	v_fmac_f32_e32 v25, v27, v24
	v_add_f32_e32 v2, v2, v26
	v_add_f32_e32 v3, v3, v25
.LBB50_540:
	s_or_b64 exec, exec, s[96:97]
	s_and_saveexec_b64 s[24:25], s[14:15]
	s_cbranch_execz .LBB50_542
; %bb.541:
	ds_read_b64 v[24:25], v22 offset:28672
	ds_read_b64 v[26:27], v23 offset:16832
	s_waitcnt lgkmcnt(0)
	v_mul_f32_e32 v28, v27, v25
	v_mul_f32_e32 v25, v26, v25
	v_fma_f32 v26, v26, v24, -v28
	v_fmac_f32_e32 v25, v27, v24
	v_add_f32_e32 v2, v2, v26
	v_add_f32_e32 v3, v3, v25
.LBB50_542:
	s_or_b64 exec, exec, s[24:25]
	s_movk_i32 s24, 0xe0
	v_cmp_gt_u32_e64 s[24:25], s24, v9
	s_and_saveexec_b64 s[96:97], s[24:25]
	s_cbranch_execz .LBB50_544
; %bb.543:
	ds_read_b64 v[24:25], v22 offset:29184
	ds_read_b64 v[26:27], v23 offset:16840
	s_waitcnt lgkmcnt(0)
	v_mul_f32_e32 v28, v27, v25
	v_mul_f32_e32 v25, v26, v25
	v_fma_f32 v26, v26, v24, -v28
	v_fmac_f32_e32 v25, v27, v24
	v_add_f32_e32 v2, v2, v26
	v_add_f32_e32 v3, v3, v25
.LBB50_544:
	s_or_b64 exec, exec, s[96:97]
	s_movk_i32 s24, 0xc0
	v_cmp_gt_u32_e64 s[24:25], s24, v9
	;; [unrolled: 16-line block ×5, first 2 shown]
	s_and_saveexec_b64 s[96:97], s[24:25]
	s_cbranch_execnz .LBB50_1076
; %bb.551:
	s_or_b64 exec, exec, s[96:97]
	s_and_saveexec_b64 s[24:25], s[12:13]
	s_cbranch_execnz .LBB50_1077
.LBB50_552:
	s_or_b64 exec, exec, s[24:25]
	v_cmp_gt_u32_e64 s[24:25], 32, v9
	s_and_saveexec_b64 s[96:97], s[24:25]
	s_cbranch_execz .LBB50_554
.LBB50_553:
	ds_read_b64 v[24:25], v22 offset:32256
	ds_read_b64 v[22:23], v23 offset:16888
	s_waitcnt lgkmcnt(0)
	v_mul_f32_e32 v26, v23, v25
	v_mul_f32_e32 v25, v22, v25
	v_fma_f32 v22, v22, v24, -v26
	v_fmac_f32_e32 v25, v23, v24
	v_add_f32_e32 v2, v2, v22
	v_add_f32_e32 v3, v3, v25
.LBB50_554:
	s_or_b64 exec, exec, s[96:97]
.LBB50_555:
	s_or_b64 exec, exec, s[92:93]
	v_mov_b32_e32 v22, 0x8000
	v_lshl_add_u32 v21, v21, 3, v22
	v_mov_b32_e32 v22, 0x3c00
	v_lshl_or_b32 v22, v19, 3, v22
	s_mov_b32 s92, 31
	v_subrev_u32_e32 v23, 31, v19
	s_xor_b64 s[24:25], s[20:21], -1
	s_branch .LBB50_557
.LBB50_556:                             ;   in Loop: Header=BB50_557 Depth=1
	s_or_b64 exec, exec, s[20:21]
	s_add_i32 s92, s92, -2
	v_add_u32_e32 v22, 0xfffffc00, v22
	s_cmp_eq_u32 s93, 0
	v_add_u32_e32 v23, 2, v23
	s_barrier
	s_cbranch_scc1 .LBB50_565
.LBB50_557:                             ; =>This Inner Loop Header: Depth=1
	v_cmp_eq_u32_e64 s[20:21], 0, v23
	s_and_b64 s[96:97], s[24:25], s[20:21]
	s_and_saveexec_b64 s[20:21], s[96:97]
; %bb.558:                              ;   in Loop: Header=BB50_557 Depth=1
	v_xor_b32_e32 v25, 0x80000000, v3
	v_xor_b32_e32 v24, 0x80000000, v2
	ds_write_b64 v21, v[24:25]
; %bb.559:                              ;   in Loop: Header=BB50_557 Depth=1
	s_or_b64 exec, exec, s[20:21]
	v_cmp_gt_u32_e64 s[20:21], s92, v19
	s_and_b64 s[96:97], s[24:25], s[20:21]
	s_waitcnt lgkmcnt(0)
	s_barrier
	s_and_saveexec_b64 s[20:21], s[96:97]
	s_cbranch_execz .LBB50_561
; %bb.560:                              ;   in Loop: Header=BB50_557 Depth=1
	ds_read_b64 v[24:25], v22 offset:512
	ds_read_b64 v[26:27], v21
	s_waitcnt lgkmcnt(0)
	v_mul_f32_e32 v28, v27, v25
	v_mul_f32_e32 v25, v26, v25
	v_fma_f32 v26, v26, v24, -v28
	v_fmac_f32_e32 v25, v27, v24
	v_sub_f32_e32 v2, v2, v26
	v_sub_f32_e32 v3, v3, v25
.LBB50_561:                             ;   in Loop: Header=BB50_557 Depth=1
	s_or_b64 exec, exec, s[20:21]
	s_add_i32 s93, s92, -1
	v_cmp_eq_u32_e64 s[20:21], s93, v19
	s_and_b64 s[96:97], s[24:25], s[20:21]
	s_barrier
	s_and_saveexec_b64 s[20:21], s[96:97]
; %bb.562:                              ;   in Loop: Header=BB50_557 Depth=1
	v_xor_b32_e32 v25, 0x80000000, v3
	v_xor_b32_e32 v24, 0x80000000, v2
	ds_write_b64 v21, v[24:25]
; %bb.563:                              ;   in Loop: Header=BB50_557 Depth=1
	s_or_b64 exec, exec, s[20:21]
	v_cmp_gt_u32_e64 s[20:21], s93, v19
	s_and_b64 s[96:97], s[24:25], s[20:21]
	s_waitcnt lgkmcnt(0)
	s_barrier
	s_and_saveexec_b64 s[20:21], s[96:97]
	s_cbranch_execz .LBB50_556
; %bb.564:                              ;   in Loop: Header=BB50_557 Depth=1
	ds_read_b64 v[24:25], v22
	ds_read_b64 v[26:27], v21
	s_waitcnt lgkmcnt(0)
	v_mul_f32_e32 v28, v27, v25
	v_mul_f32_e32 v25, v26, v25
	v_fma_f32 v26, v26, v24, -v28
	v_fmac_f32_e32 v25, v27, v24
	v_sub_f32_e32 v2, v2, v26
	v_sub_f32_e32 v3, v3, v25
	s_branch .LBB50_556
.LBB50_565:
	s_and_saveexec_b64 s[20:21], s[18:19]
; %bb.566:
	v_lshlrev_b32_e32 v19, 3, v19
	v_lshl_or_b32 v19, v20, 9, v19
	ds_write_b64 v19, v[2:3] offset:16384
; %bb.567:
	s_or_b64 exec, exec, s[20:21]
	v_cmp_gt_u32_e64 s[18:19], 32, v0
	s_and_b64 s[18:19], s[16:17], s[18:19]
	s_waitcnt lgkmcnt(0)
	s_barrier
	s_barrier
	s_and_saveexec_b64 s[16:17], s[18:19]
	s_cbranch_execz .LBB50_569
; %bb.568:
	v_lshlrev_b32_e32 v19, 9, v0
	ds_read_b64 v[2:3], v19 offset:16384
	s_movk_i32 s18, 0xfe08
	v_mad_i32_i24 v20, v0, s18, v19
	s_waitcnt lgkmcnt(0)
	ds_write_b64 v20, v[2:3] offset:256
	ds_read_b64 v[2:3], v19 offset:16392
	s_waitcnt lgkmcnt(0)
	ds_write_b64 v20, v[2:3] offset:768
	ds_read_b64 v[2:3], v19 offset:16400
	;; [unrolled: 3-line block ×31, first 2 shown]
	s_waitcnt lgkmcnt(0)
	ds_write_b64 v20, v[2:3] offset:16128
.LBB50_569:
	s_or_b64 exec, exec, s[16:17]
	s_waitcnt lgkmcnt(0)
	s_barrier
	s_and_saveexec_b64 s[16:17], vcc
	s_cbranch_execz .LBB50_571
; %bb.570:
	v_mov_b32_e32 v21, 0
	ds_read_b64 v[2:3], v21 offset:16112
	s_mov_b64 s[18:19], 0x3f800000
	v_mov_b32_e32 v20, s19
	v_mov_b32_e32 v19, s18
	s_movk_i32 s18, 0x3800
	ds_write_b64 v21, v[19:20] offset:16120
	v_add_u32_e64 v21, s18, 0
	s_waitcnt lgkmcnt(1)
	ds_write2_b64 v21, v[19:20], v[2:3] offset0:158 offset1:159
.LBB50_571:
	s_or_b64 exec, exec, s[16:17]
	v_mov_b32_e32 v2, 0
	v_mov_b32_e32 v3, 0
	s_waitcnt lgkmcnt(0)
	s_barrier
	buffer_wbinvl1_vol
	s_and_saveexec_b64 s[18:19], s[22:23]
	s_cbranch_execz .LBB50_575
; %bb.572:
	v_lshlrev_b32_e32 v2, 3, v4
	v_lshlrev_b32_e32 v19, 9, v5
	ds_read_b64 v[2:3], v2 offset:15584
	ds_read_b64 v[19:20], v19 offset:15600
	v_cmp_gt_u32_e64 s[16:17], 2, v9
	s_waitcnt lgkmcnt(0)
	v_mul_f32_e32 v21, v20, v3
	v_mul_f32_e32 v3, v19, v3
	v_fma_f32 v19, v19, v2, -v21
	v_fmac_f32_e32 v3, v20, v2
	v_add_f32_e32 v2, 0, v19
	v_add_f32_e32 v3, 0, v3
	s_and_saveexec_b64 s[20:21], s[16:17]
	s_cbranch_execz .LBB50_574
; %bb.573:
	v_lshlrev_b32_e32 v19, 3, v0
	v_mov_b32_e32 v21, 0
	ds_read_b64 v[19:20], v19 offset:16096
	ds_read_b64 v[21:22], v21 offset:16120
	s_waitcnt lgkmcnt(0)
	v_mul_f32_e32 v23, v22, v20
	v_mul_f32_e32 v20, v21, v20
	v_fma_f32 v21, v21, v19, -v23
	v_fmac_f32_e32 v20, v22, v19
	v_add_f32_e32 v2, v2, v21
	v_add_f32_e32 v3, v3, v20
.LBB50_574:
	s_or_b64 exec, exec, s[20:21]
.LBB50_575:
	s_or_b64 exec, exec, s[18:19]
	s_and_saveexec_b64 s[16:17], s[36:37]
; %bb.576:
	v_xor_b32_e32 v20, 0x80000000, v3
	v_xor_b32_e32 v19, 0x80000000, v2
	ds_write_b64 v7, v[19:20]
; %bb.577:
	s_or_b64 exec, exec, s[16:17]
	s_waitcnt lgkmcnt(0)
	s_barrier
	s_and_saveexec_b64 s[16:17], s[34:35]
	s_cbranch_execz .LBB50_579
; %bb.578:
	v_mov_b32_e32 v19, 0
	ds_read_b64 v[19:20], v19 offset:15072
	ds_read_b64 v[21:22], v7
	s_waitcnt lgkmcnt(0)
	v_mul_f32_e32 v23, v21, v19
	v_mul_f32_e32 v21, v21, v20
	v_fmac_f32_e32 v21, v22, v19
	v_fma_f32 v19, v22, v20, -v23
	v_add_f32_e32 v2, v2, v19
	v_sub_f32_e32 v3, v3, v21
.LBB50_579:
	s_or_b64 exec, exec, s[16:17]
	s_barrier
	s_and_saveexec_b64 s[16:17], s[34:35]
; %bb.580:
	v_xor_b32_e32 v20, 0x80000000, v3
	v_xor_b32_e32 v19, 0x80000000, v2
	ds_write_b64 v7, v[19:20]
; %bb.581:
	s_or_b64 exec, exec, s[16:17]
	s_waitcnt lgkmcnt(0)
	s_barrier
	s_barrier
	s_and_saveexec_b64 s[16:17], s[22:23]
; %bb.582:
	v_lshlrev_b32_e32 v19, 3, v4
	v_lshl_or_b32 v19, v5, 9, v19
	ds_write_b64 v19, v[2:3] offset:15584
; %bb.583:
	s_or_b64 exec, exec, s[16:17]
	s_waitcnt lgkmcnt(0)
	s_barrier
	s_barrier
	s_and_saveexec_b64 s[16:17], s[38:39]
	s_cbranch_execz .LBB50_585
; %bb.584:
	v_lshlrev_b32_e32 v19, 3, v0
	s_movk_i32 s18, 0x1f8
	v_mad_u32_u24 v20, v0, s18, v19
	ds_read_b64 v[2:3], v20 offset:15584
	s_waitcnt lgkmcnt(0)
	ds_write_b64 v19, v[2:3] offset:14576
	ds_read_b64 v[2:3], v20 offset:15592
	s_waitcnt lgkmcnt(0)
	ds_write_b64 v19, v[2:3] offset:15088
.LBB50_585:
	s_or_b64 exec, exec, s[16:17]
	s_waitcnt lgkmcnt(0)
	s_barrier
	s_and_saveexec_b64 s[16:17], vcc
	s_cbranch_execz .LBB50_587
; %bb.586:
	v_mov_b32_e32 v21, 0
	ds_read_b64 v[2:3], v21 offset:15072
	s_mov_b64 s[18:19], 0x3f800000
	v_mov_b32_e32 v20, s19
	v_mov_b32_e32 v19, s18
	s_movk_i32 s18, 0x3800
	ds_write_b64 v21, v[19:20] offset:15080
	v_add_u32_e64 v21, s18, 0
	s_waitcnt lgkmcnt(1)
	ds_write2_b64 v21, v[19:20], v[2:3] offset0:28 offset1:29
.LBB50_587:
	s_or_b64 exec, exec, s[16:17]
	v_mov_b32_e32 v3, 0
	v_mov_b32_e32 v2, 0
	s_waitcnt lgkmcnt(0)
	s_barrier
	buffer_wbinvl1_vol
	s_and_saveexec_b64 s[18:19], s[10:11]
	s_cbranch_execz .LBB50_593
; %bb.588:
	v_lshlrev_b32_e32 v19, 3, v10
	v_lshlrev_b32_e32 v20, 9, v11
	ds_read_b64 v[2:3], v19 offset:14528
	ds_read_b64 v[21:22], v20 offset:14560
	v_cmp_gt_u32_e64 s[16:17], 12, v9
	s_waitcnt lgkmcnt(0)
	v_mul_f32_e32 v23, v22, v3
	v_mul_f32_e32 v3, v21, v3
	v_fma_f32 v21, v21, v2, -v23
	v_fmac_f32_e32 v3, v22, v2
	v_add_f32_e32 v2, 0, v21
	v_add_f32_e32 v3, 0, v3
	s_and_saveexec_b64 s[20:21], s[16:17]
	s_cbranch_execnz .LBB50_1078
; %bb.589:
	s_or_b64 exec, exec, s[20:21]
	v_cmp_gt_u32_e64 s[16:17], 8, v9
	s_and_saveexec_b64 s[20:21], s[16:17]
	s_cbranch_execnz .LBB50_1079
.LBB50_590:
	s_or_b64 exec, exec, s[20:21]
	v_cmp_gt_u32_e64 s[16:17], 4, v9
	s_and_saveexec_b64 s[20:21], s[16:17]
	s_cbranch_execz .LBB50_592
.LBB50_591:
	v_lshlrev_b32_e32 v19, 3, v0
	v_mov_b32_e32 v21, 0
	ds_read_b64 v[19:20], v19 offset:16064
	ds_read_b64 v[21:22], v21 offset:16120
	s_waitcnt lgkmcnt(0)
	v_mul_f32_e32 v23, v22, v20
	v_mul_f32_e32 v20, v21, v20
	v_fma_f32 v21, v21, v19, -v23
	v_fmac_f32_e32 v20, v22, v19
	v_add_f32_e32 v2, v2, v21
	v_add_f32_e32 v3, v3, v20
.LBB50_592:
	s_or_b64 exec, exec, s[20:21]
.LBB50_593:
	s_or_b64 exec, exec, s[18:19]
	s_and_saveexec_b64 s[16:17], s[44:45]
; %bb.594:
	v_xor_b32_e32 v19, 0x80000000, v2
	v_xor_b32_e32 v20, 0x80000000, v3
	ds_write_b64 v12, v[19:20]
; %bb.595:
	s_or_b64 exec, exec, s[16:17]
	s_waitcnt lgkmcnt(0)
	s_barrier
	s_and_saveexec_b64 s[16:17], s[52:53]
	s_cbranch_execz .LBB50_597
; %bb.596:
	v_lshlrev_b32_e32 v19, 3, v10
	ds_read_b64 v[19:20], v19 offset:14016
	ds_read_b64 v[21:22], v12
	s_waitcnt lgkmcnt(0)
	v_mul_f32_e32 v23, v22, v20
	v_mul_f32_e32 v20, v21, v20
	v_fma_f32 v21, v21, v19, -v23
	v_fmac_f32_e32 v20, v22, v19
	v_sub_f32_e32 v2, v2, v21
	v_sub_f32_e32 v3, v3, v20
.LBB50_597:
	s_or_b64 exec, exec, s[16:17]
	s_barrier
	s_and_saveexec_b64 s[16:17], s[54:55]
; %bb.598:
	v_xor_b32_e32 v19, 0x80000000, v2
	v_xor_b32_e32 v20, 0x80000000, v3
	ds_write_b64 v12, v[19:20]
; %bb.599:
	s_or_b64 exec, exec, s[16:17]
	s_waitcnt lgkmcnt(0)
	s_barrier
	s_and_saveexec_b64 s[16:17], s[56:57]
	s_cbranch_execz .LBB50_601
; %bb.600:
	v_lshlrev_b32_e32 v19, 3, v10
	ds_read_b64 v[19:20], v19 offset:13504
	ds_read_b64 v[21:22], v12
	s_waitcnt lgkmcnt(0)
	v_mul_f32_e32 v23, v22, v20
	v_mul_f32_e32 v20, v21, v20
	v_fma_f32 v21, v21, v19, -v23
	v_fmac_f32_e32 v20, v22, v19
	v_sub_f32_e32 v2, v2, v21
	v_sub_f32_e32 v3, v3, v20
.LBB50_601:
	s_or_b64 exec, exec, s[16:17]
	s_barrier
	s_and_saveexec_b64 s[16:17], s[58:59]
; %bb.602:
	v_xor_b32_e32 v19, 0x80000000, v2
	v_xor_b32_e32 v20, 0x80000000, v3
	ds_write_b64 v12, v[19:20]
; %bb.603:
	s_or_b64 exec, exec, s[16:17]
	s_waitcnt lgkmcnt(0)
	s_barrier
	s_and_saveexec_b64 s[16:17], s[42:43]
	s_cbranch_execz .LBB50_605
; %bb.604:
	v_mov_b32_e32 v19, 0
	ds_read_b64 v[19:20], v19 offset:12992
	ds_read_b64 v[21:22], v12
	s_waitcnt lgkmcnt(0)
	v_mul_f32_e32 v23, v22, v20
	v_mul_f32_e32 v20, v21, v20
	v_fma_f32 v21, v21, v19, -v23
	v_fmac_f32_e32 v20, v22, v19
	v_sub_f32_e32 v2, v2, v21
	v_sub_f32_e32 v3, v3, v20
.LBB50_605:
	s_or_b64 exec, exec, s[16:17]
	s_barrier
	s_and_saveexec_b64 s[16:17], s[42:43]
; %bb.606:
	v_xor_b32_e32 v19, 0x80000000, v2
	v_xor_b32_e32 v20, 0x80000000, v3
	ds_write_b64 v12, v[19:20]
; %bb.607:
	s_or_b64 exec, exec, s[16:17]
	s_waitcnt lgkmcnt(0)
	s_barrier
	s_barrier
	s_and_saveexec_b64 s[16:17], s[10:11]
; %bb.608:
	v_lshlrev_b32_e32 v19, 3, v10
	v_lshl_or_b32 v19, v11, 9, v19
	ds_write_b64 v19, v[2:3] offset:14528
; %bb.609:
	s_or_b64 exec, exec, s[16:17]
	s_waitcnt lgkmcnt(0)
	s_barrier
	s_barrier
	s_and_saveexec_b64 s[16:17], s[60:61]
	s_cbranch_execz .LBB50_611
; %bb.610:
	v_lshlrev_b32_e32 v19, 9, v0
	ds_read_b64 v[2:3], v19 offset:14528
	s_movk_i32 s18, 0xfe08
	v_mad_i32_i24 v20, v0, s18, v19
	s_waitcnt lgkmcnt(0)
	ds_write_b64 v20, v[2:3] offset:12512
	ds_read_b64 v[2:3], v19 offset:14536
	s_waitcnt lgkmcnt(0)
	ds_write_b64 v20, v[2:3] offset:13024
	ds_read_b64 v[2:3], v19 offset:14544
	;; [unrolled: 3-line block ×3, first 2 shown]
	s_waitcnt lgkmcnt(0)
	ds_write_b64 v20, v[2:3] offset:14048
.LBB50_611:
	s_or_b64 exec, exec, s[16:17]
	s_waitcnt lgkmcnt(0)
	s_barrier
	s_and_saveexec_b64 s[16:17], vcc
	s_cbranch_execz .LBB50_613
; %bb.612:
	v_mov_b32_e32 v21, 0
	ds_read_b64 v[2:3], v21 offset:14032
	s_mov_b64 s[18:19], 0x3f800000
	v_mov_b32_e32 v20, s19
	v_mov_b32_e32 v19, s18
	s_movk_i32 s18, 0x3000
	ds_write_b64 v21, v[19:20] offset:14040
	v_add_u32_e64 v21, s18, 0
	s_waitcnt lgkmcnt(1)
	ds_write2_b64 v21, v[19:20], v[2:3] offset0:154 offset1:155
.LBB50_613:
	s_or_b64 exec, exec, s[16:17]
	v_mov_b32_e32 v2, 0
	v_mov_b32_e32 v3, 0
	s_waitcnt lgkmcnt(0)
	s_barrier
	buffer_wbinvl1_vol
	s_and_saveexec_b64 s[18:19], s[22:23]
	s_cbranch_execz .LBB50_617
; %bb.614:
	v_lshlrev_b32_e32 v2, 3, v4
	v_lshlrev_b32_e32 v19, 9, v5
	ds_read_b64 v[2:3], v2 offset:13504
	ds_read_b64 v[19:20], v19 offset:13520
	v_cmp_gt_u32_e64 s[16:17], 2, v9
	s_waitcnt lgkmcnt(0)
	v_mul_f32_e32 v21, v20, v3
	v_mul_f32_e32 v3, v19, v3
	v_fma_f32 v19, v19, v2, -v21
	v_fmac_f32_e32 v3, v20, v2
	v_add_f32_e32 v2, 0, v19
	v_add_f32_e32 v3, 0, v3
	s_and_saveexec_b64 s[20:21], s[16:17]
	s_cbranch_execz .LBB50_616
; %bb.615:
	v_lshlrev_b32_e32 v19, 3, v0
	v_mov_b32_e32 v21, 0
	ds_read_b64 v[19:20], v19 offset:14016
	ds_read_b64 v[21:22], v21 offset:14040
	s_waitcnt lgkmcnt(0)
	v_mul_f32_e32 v23, v22, v20
	v_mul_f32_e32 v20, v21, v20
	v_fma_f32 v21, v21, v19, -v23
	v_fmac_f32_e32 v20, v22, v19
	v_add_f32_e32 v2, v2, v21
	v_add_f32_e32 v3, v3, v20
.LBB50_616:
	s_or_b64 exec, exec, s[20:21]
.LBB50_617:
	s_or_b64 exec, exec, s[18:19]
	s_and_saveexec_b64 s[16:17], s[36:37]
; %bb.618:
	v_xor_b32_e32 v20, 0x80000000, v3
	v_xor_b32_e32 v19, 0x80000000, v2
	ds_write_b64 v7, v[19:20]
; %bb.619:
	s_or_b64 exec, exec, s[16:17]
	s_waitcnt lgkmcnt(0)
	s_barrier
	s_and_saveexec_b64 s[16:17], s[34:35]
	s_cbranch_execz .LBB50_621
; %bb.620:
	v_mov_b32_e32 v19, 0
	ds_read_b64 v[19:20], v19 offset:12992
	ds_read_b64 v[21:22], v7
	s_waitcnt lgkmcnt(0)
	v_mul_f32_e32 v23, v21, v19
	v_mul_f32_e32 v21, v21, v20
	v_fmac_f32_e32 v21, v22, v19
	v_fma_f32 v19, v22, v20, -v23
	v_add_f32_e32 v2, v2, v19
	v_sub_f32_e32 v3, v3, v21
.LBB50_621:
	s_or_b64 exec, exec, s[16:17]
	s_barrier
	s_and_saveexec_b64 s[16:17], s[34:35]
; %bb.622:
	v_xor_b32_e32 v20, 0x80000000, v3
	v_xor_b32_e32 v19, 0x80000000, v2
	ds_write_b64 v7, v[19:20]
; %bb.623:
	s_or_b64 exec, exec, s[16:17]
	s_waitcnt lgkmcnt(0)
	s_barrier
	s_barrier
	s_and_saveexec_b64 s[16:17], s[22:23]
; %bb.624:
	v_lshlrev_b32_e32 v19, 3, v4
	v_lshl_or_b32 v19, v5, 9, v19
	ds_write_b64 v19, v[2:3] offset:13504
; %bb.625:
	s_or_b64 exec, exec, s[16:17]
	s_waitcnt lgkmcnt(0)
	s_barrier
	s_barrier
	s_and_saveexec_b64 s[16:17], s[38:39]
	s_cbranch_execz .LBB50_627
; %bb.626:
	v_lshlrev_b32_e32 v19, 3, v0
	s_movk_i32 s18, 0x1f8
	v_mad_u32_u24 v20, v0, s18, v19
	ds_read_b64 v[2:3], v20 offset:13504
	s_waitcnt lgkmcnt(0)
	ds_write_b64 v19, v[2:3] offset:12496
	ds_read_b64 v[2:3], v20 offset:13512
	s_waitcnt lgkmcnt(0)
	ds_write_b64 v19, v[2:3] offset:13008
.LBB50_627:
	s_or_b64 exec, exec, s[16:17]
	s_waitcnt lgkmcnt(0)
	s_barrier
	s_and_saveexec_b64 s[16:17], vcc
	s_cbranch_execz .LBB50_629
; %bb.628:
	v_mov_b32_e32 v21, 0
	ds_read_b64 v[2:3], v21 offset:12992
	s_mov_b64 s[18:19], 0x3f800000
	v_mov_b32_e32 v20, s19
	v_mov_b32_e32 v19, s18
	s_movk_i32 s18, 0x3000
	ds_write_b64 v21, v[19:20] offset:13000
	v_add_u32_e64 v21, s18, 0
	s_waitcnt lgkmcnt(1)
	ds_write2_b64 v21, v[19:20], v[2:3] offset0:24 offset1:25
.LBB50_629:
	s_or_b64 exec, exec, s[16:17]
	v_mov_b32_e32 v3, 0
	v_mov_b32_e32 v2, 0
	s_waitcnt lgkmcnt(0)
	s_barrier
	buffer_wbinvl1_vol
	s_and_saveexec_b64 s[18:19], s[12:13]
	s_cbranch_execz .LBB50_639
; %bb.630:
	v_lshlrev_b32_e32 v19, 3, v13
	v_lshlrev_b32_e32 v20, 9, v14
	ds_read_b64 v[2:3], v19 offset:12416
	ds_read_b64 v[21:22], v20 offset:12480
	v_cmp_gt_u32_e64 s[16:17], 56, v9
	s_waitcnt lgkmcnt(0)
	v_mul_f32_e32 v23, v22, v3
	v_mul_f32_e32 v3, v21, v3
	v_fma_f32 v21, v21, v2, -v23
	v_fmac_f32_e32 v3, v22, v2
	v_add_f32_e32 v2, 0, v21
	v_add_f32_e32 v3, 0, v3
	s_and_saveexec_b64 s[20:21], s[16:17]
	s_cbranch_execnz .LBB50_1080
; %bb.631:
	s_or_b64 exec, exec, s[20:21]
	v_cmp_gt_u32_e64 s[16:17], 48, v9
	s_and_saveexec_b64 s[20:21], s[16:17]
	s_cbranch_execnz .LBB50_1081
.LBB50_632:
	s_or_b64 exec, exec, s[20:21]
	v_cmp_gt_u32_e64 s[16:17], 40, v9
	s_and_saveexec_b64 s[20:21], s[16:17]
	s_cbranch_execnz .LBB50_1082
.LBB50_633:
	s_or_b64 exec, exec, s[20:21]
	v_cmp_gt_u32_e64 s[16:17], 32, v9
	s_and_saveexec_b64 s[20:21], s[16:17]
	s_cbranch_execnz .LBB50_1083
.LBB50_634:
	s_or_b64 exec, exec, s[20:21]
	v_cmp_gt_u32_e64 s[16:17], 24, v9
	s_and_saveexec_b64 s[20:21], s[16:17]
	s_cbranch_execnz .LBB50_1084
.LBB50_635:
	s_or_b64 exec, exec, s[20:21]
	s_and_saveexec_b64 s[16:17], s[10:11]
	s_cbranch_execnz .LBB50_1085
.LBB50_636:
	s_or_b64 exec, exec, s[16:17]
	v_cmp_gt_u32_e64 s[16:17], 8, v9
	s_and_saveexec_b64 s[20:21], s[16:17]
	s_cbranch_execz .LBB50_638
.LBB50_637:
	v_lshlrev_b32_e32 v19, 3, v0
	v_mov_b32_e32 v21, 0
	ds_read_b64 v[19:20], v19 offset:16000
	ds_read_b64 v[21:22], v21 offset:16120
	s_waitcnt lgkmcnt(0)
	v_mul_f32_e32 v23, v22, v20
	v_mul_f32_e32 v20, v21, v20
	v_fma_f32 v21, v21, v19, -v23
	v_fmac_f32_e32 v20, v22, v19
	v_add_f32_e32 v2, v2, v21
	v_add_f32_e32 v3, v3, v20
.LBB50_638:
	s_or_b64 exec, exec, s[20:21]
.LBB50_639:
	s_or_b64 exec, exec, s[18:19]
	s_and_saveexec_b64 s[16:17], s[64:65]
; %bb.640:
	v_xor_b32_e32 v20, 0x80000000, v3
	v_xor_b32_e32 v19, 0x80000000, v2
	ds_write_b64 v15, v[19:20]
; %bb.641:
	s_or_b64 exec, exec, s[16:17]
	s_waitcnt lgkmcnt(0)
	s_barrier
	s_and_saveexec_b64 s[16:17], s[66:67]
	s_cbranch_execz .LBB50_643
; %bb.642:
	v_lshlrev_b32_e32 v19, 3, v13
	ds_read_b64 v[19:20], v19 offset:11904
	ds_read_b64 v[21:22], v15
	s_waitcnt lgkmcnt(0)
	v_mul_f32_e32 v23, v22, v20
	v_mul_f32_e32 v20, v21, v20
	v_fma_f32 v21, v21, v19, -v23
	v_fmac_f32_e32 v20, v22, v19
	v_sub_f32_e32 v2, v2, v21
	v_sub_f32_e32 v3, v3, v20
.LBB50_643:
	s_or_b64 exec, exec, s[16:17]
	s_barrier
	s_and_saveexec_b64 s[16:17], s[68:69]
; %bb.644:
	v_xor_b32_e32 v20, 0x80000000, v3
	v_xor_b32_e32 v19, 0x80000000, v2
	ds_write_b64 v15, v[19:20]
; %bb.645:
	s_or_b64 exec, exec, s[16:17]
	s_waitcnt lgkmcnt(0)
	s_barrier
	s_and_saveexec_b64 s[16:17], s[70:71]
	s_cbranch_execz .LBB50_647
; %bb.646:
	v_lshlrev_b32_e32 v19, 3, v13
	ds_read_b64 v[19:20], v19 offset:11392
	ds_read_b64 v[21:22], v15
	s_waitcnt lgkmcnt(0)
	v_mul_f32_e32 v23, v22, v20
	v_mul_f32_e32 v20, v21, v20
	v_fma_f32 v21, v21, v19, -v23
	v_fmac_f32_e32 v20, v22, v19
	v_sub_f32_e32 v2, v2, v21
	v_sub_f32_e32 v3, v3, v20
.LBB50_647:
	s_or_b64 exec, exec, s[16:17]
	s_barrier
	;; [unrolled: 25-line block ×6, first 2 shown]
	s_and_saveexec_b64 s[16:17], s[88:89]
; %bb.664:
	v_xor_b32_e32 v20, 0x80000000, v3
	v_xor_b32_e32 v19, 0x80000000, v2
	ds_write_b64 v15, v[19:20]
; %bb.665:
	s_or_b64 exec, exec, s[16:17]
	s_waitcnt lgkmcnt(0)
	s_barrier
	s_and_saveexec_b64 s[16:17], s[62:63]
	s_cbranch_execz .LBB50_667
; %bb.666:
	v_mov_b32_e32 v19, 0
	ds_read_b64 v[19:20], v19 offset:8832
	ds_read_b64 v[21:22], v15
	s_waitcnt lgkmcnt(0)
	v_mul_f32_e32 v23, v22, v20
	v_mul_f32_e32 v20, v21, v20
	v_fma_f32 v21, v21, v19, -v23
	v_fmac_f32_e32 v20, v22, v19
	v_sub_f32_e32 v2, v2, v21
	v_sub_f32_e32 v3, v3, v20
.LBB50_667:
	s_or_b64 exec, exec, s[16:17]
	s_barrier
	s_and_saveexec_b64 s[16:17], s[62:63]
; %bb.668:
	v_xor_b32_e32 v20, 0x80000000, v3
	v_xor_b32_e32 v19, 0x80000000, v2
	ds_write_b64 v15, v[19:20]
; %bb.669:
	s_or_b64 exec, exec, s[16:17]
	s_waitcnt lgkmcnt(0)
	s_barrier
	s_barrier
	s_and_saveexec_b64 s[16:17], s[12:13]
; %bb.670:
	v_lshlrev_b32_e32 v19, 3, v13
	v_lshl_or_b32 v19, v14, 9, v19
	ds_write_b64 v19, v[2:3] offset:12416
; %bb.671:
	s_or_b64 exec, exec, s[16:17]
	s_waitcnt lgkmcnt(0)
	s_barrier
	s_barrier
	s_and_saveexec_b64 s[16:17], s[90:91]
	s_cbranch_execz .LBB50_673
; %bb.672:
	v_lshlrev_b32_e32 v19, 9, v0
	ds_read_b64 v[2:3], v19 offset:12416
	s_movk_i32 s18, 0xfe08
	v_mad_i32_i24 v20, v0, s18, v19
	s_waitcnt lgkmcnt(0)
	ds_write_b64 v20, v[2:3] offset:8384
	ds_read_b64 v[2:3], v19 offset:12424
	s_waitcnt lgkmcnt(0)
	ds_write_b64 v20, v[2:3] offset:8896
	ds_read_b64 v[2:3], v19 offset:12432
	;; [unrolled: 3-line block ×7, first 2 shown]
	s_waitcnt lgkmcnt(0)
	ds_write_b64 v20, v[2:3] offset:11968
.LBB50_673:
	s_or_b64 exec, exec, s[16:17]
	s_waitcnt lgkmcnt(0)
	s_barrier
	s_and_saveexec_b64 s[16:17], vcc
	s_cbranch_execz .LBB50_675
; %bb.674:
	v_mov_b32_e32 v21, 0
	ds_read_b64 v[2:3], v21 offset:11952
	s_mov_b64 s[18:19], 0x3f800000
	v_mov_b32_e32 v20, s19
	v_mov_b32_e32 v19, s18
	s_movk_i32 s18, 0x2800
	ds_write_b64 v21, v[19:20] offset:11960
	v_add_u32_e64 v21, s18, 0
	s_waitcnt lgkmcnt(1)
	ds_write2_b64 v21, v[19:20], v[2:3] offset0:150 offset1:151
.LBB50_675:
	s_or_b64 exec, exec, s[16:17]
	v_mov_b32_e32 v2, 0
	v_mov_b32_e32 v3, 0
	s_waitcnt lgkmcnt(0)
	s_barrier
	buffer_wbinvl1_vol
	s_and_saveexec_b64 s[18:19], s[22:23]
	s_cbranch_execz .LBB50_679
; %bb.676:
	v_lshlrev_b32_e32 v2, 3, v4
	v_lshlrev_b32_e32 v19, 9, v5
	ds_read_b64 v[2:3], v2 offset:11424
	ds_read_b64 v[19:20], v19 offset:11440
	v_cmp_gt_u32_e64 s[16:17], 2, v9
	s_waitcnt lgkmcnt(0)
	v_mul_f32_e32 v21, v20, v3
	v_mul_f32_e32 v3, v19, v3
	v_fma_f32 v19, v19, v2, -v21
	v_fmac_f32_e32 v3, v20, v2
	v_add_f32_e32 v2, 0, v19
	v_add_f32_e32 v3, 0, v3
	s_and_saveexec_b64 s[20:21], s[16:17]
	s_cbranch_execz .LBB50_678
; %bb.677:
	v_lshlrev_b32_e32 v19, 3, v0
	v_mov_b32_e32 v21, 0
	ds_read_b64 v[19:20], v19 offset:11936
	ds_read_b64 v[21:22], v21 offset:11960
	s_waitcnt lgkmcnt(0)
	v_mul_f32_e32 v23, v22, v20
	v_mul_f32_e32 v20, v21, v20
	v_fma_f32 v21, v21, v19, -v23
	v_fmac_f32_e32 v20, v22, v19
	v_add_f32_e32 v2, v2, v21
	v_add_f32_e32 v3, v3, v20
.LBB50_678:
	s_or_b64 exec, exec, s[20:21]
.LBB50_679:
	s_or_b64 exec, exec, s[18:19]
	s_and_saveexec_b64 s[16:17], s[36:37]
; %bb.680:
	v_xor_b32_e32 v20, 0x80000000, v3
	v_xor_b32_e32 v19, 0x80000000, v2
	ds_write_b64 v7, v[19:20]
; %bb.681:
	s_or_b64 exec, exec, s[16:17]
	s_waitcnt lgkmcnt(0)
	s_barrier
	s_and_saveexec_b64 s[16:17], s[34:35]
	s_cbranch_execz .LBB50_683
; %bb.682:
	v_mov_b32_e32 v19, 0
	ds_read_b64 v[19:20], v19 offset:10912
	ds_read_b64 v[21:22], v7
	s_waitcnt lgkmcnt(0)
	v_mul_f32_e32 v23, v21, v19
	v_mul_f32_e32 v21, v21, v20
	v_fmac_f32_e32 v21, v22, v19
	v_fma_f32 v19, v22, v20, -v23
	v_add_f32_e32 v2, v2, v19
	v_sub_f32_e32 v3, v3, v21
.LBB50_683:
	s_or_b64 exec, exec, s[16:17]
	s_barrier
	s_and_saveexec_b64 s[16:17], s[34:35]
; %bb.684:
	v_xor_b32_e32 v20, 0x80000000, v3
	v_xor_b32_e32 v19, 0x80000000, v2
	ds_write_b64 v7, v[19:20]
; %bb.685:
	s_or_b64 exec, exec, s[16:17]
	s_waitcnt lgkmcnt(0)
	s_barrier
	s_barrier
	s_and_saveexec_b64 s[16:17], s[22:23]
; %bb.686:
	v_lshlrev_b32_e32 v19, 3, v4
	v_lshl_or_b32 v19, v5, 9, v19
	ds_write_b64 v19, v[2:3] offset:11424
; %bb.687:
	s_or_b64 exec, exec, s[16:17]
	s_waitcnt lgkmcnt(0)
	s_barrier
	s_barrier
	s_and_saveexec_b64 s[16:17], s[38:39]
	s_cbranch_execz .LBB50_689
; %bb.688:
	v_lshlrev_b32_e32 v19, 3, v0
	s_movk_i32 s18, 0x1f8
	v_mad_u32_u24 v20, v0, s18, v19
	ds_read_b64 v[2:3], v20 offset:11424
	s_waitcnt lgkmcnt(0)
	ds_write_b64 v19, v[2:3] offset:10416
	ds_read_b64 v[2:3], v20 offset:11432
	s_waitcnt lgkmcnt(0)
	ds_write_b64 v19, v[2:3] offset:10928
.LBB50_689:
	s_or_b64 exec, exec, s[16:17]
	s_waitcnt lgkmcnt(0)
	s_barrier
	s_and_saveexec_b64 s[16:17], vcc
	s_cbranch_execz .LBB50_691
; %bb.690:
	v_mov_b32_e32 v21, 0
	ds_read_b64 v[2:3], v21 offset:10912
	s_mov_b64 s[18:19], 0x3f800000
	v_mov_b32_e32 v20, s19
	v_mov_b32_e32 v19, s18
	s_movk_i32 s18, 0x2800
	ds_write_b64 v21, v[19:20] offset:10920
	v_add_u32_e64 v21, s18, 0
	s_waitcnt lgkmcnt(1)
	ds_write2_b64 v21, v[19:20], v[2:3] offset0:20 offset1:21
.LBB50_691:
	s_or_b64 exec, exec, s[16:17]
	v_mov_b32_e32 v3, 0
	v_mov_b32_e32 v2, 0
	s_waitcnt lgkmcnt(0)
	s_barrier
	buffer_wbinvl1_vol
	s_and_saveexec_b64 s[18:19], s[10:11]
	s_cbranch_execz .LBB50_697
; %bb.692:
	v_lshlrev_b32_e32 v19, 3, v10
	v_lshlrev_b32_e32 v20, 9, v11
	ds_read_b64 v[2:3], v19 offset:10368
	ds_read_b64 v[21:22], v20 offset:10400
	v_cmp_gt_u32_e64 s[16:17], 12, v9
	s_waitcnt lgkmcnt(0)
	v_mul_f32_e32 v23, v22, v3
	v_mul_f32_e32 v3, v21, v3
	v_fma_f32 v21, v21, v2, -v23
	v_fmac_f32_e32 v3, v22, v2
	v_add_f32_e32 v2, 0, v21
	v_add_f32_e32 v3, 0, v3
	s_and_saveexec_b64 s[20:21], s[16:17]
	s_cbranch_execnz .LBB50_1086
; %bb.693:
	s_or_b64 exec, exec, s[20:21]
	v_cmp_gt_u32_e64 s[16:17], 8, v9
	s_and_saveexec_b64 s[20:21], s[16:17]
	s_cbranch_execnz .LBB50_1087
.LBB50_694:
	s_or_b64 exec, exec, s[20:21]
	v_cmp_gt_u32_e64 s[16:17], 4, v9
	s_and_saveexec_b64 s[20:21], s[16:17]
	s_cbranch_execz .LBB50_696
.LBB50_695:
	v_lshlrev_b32_e32 v19, 3, v0
	v_mov_b32_e32 v21, 0
	ds_read_b64 v[19:20], v19 offset:11904
	ds_read_b64 v[21:22], v21 offset:11960
	s_waitcnt lgkmcnt(0)
	v_mul_f32_e32 v23, v22, v20
	v_mul_f32_e32 v20, v21, v20
	v_fma_f32 v21, v21, v19, -v23
	v_fmac_f32_e32 v20, v22, v19
	v_add_f32_e32 v2, v2, v21
	v_add_f32_e32 v3, v3, v20
.LBB50_696:
	s_or_b64 exec, exec, s[20:21]
.LBB50_697:
	s_or_b64 exec, exec, s[18:19]
	s_and_saveexec_b64 s[16:17], s[44:45]
; %bb.698:
	v_xor_b32_e32 v19, 0x80000000, v2
	v_xor_b32_e32 v20, 0x80000000, v3
	ds_write_b64 v12, v[19:20]
; %bb.699:
	s_or_b64 exec, exec, s[16:17]
	s_waitcnt lgkmcnt(0)
	s_barrier
	s_and_saveexec_b64 s[16:17], s[52:53]
	s_cbranch_execz .LBB50_701
; %bb.700:
	v_lshlrev_b32_e32 v19, 3, v10
	ds_read_b64 v[19:20], v19 offset:9856
	ds_read_b64 v[21:22], v12
	s_waitcnt lgkmcnt(0)
	v_mul_f32_e32 v23, v22, v20
	v_mul_f32_e32 v20, v21, v20
	v_fma_f32 v21, v21, v19, -v23
	v_fmac_f32_e32 v20, v22, v19
	v_sub_f32_e32 v2, v2, v21
	v_sub_f32_e32 v3, v3, v20
.LBB50_701:
	s_or_b64 exec, exec, s[16:17]
	s_barrier
	s_and_saveexec_b64 s[16:17], s[54:55]
; %bb.702:
	v_xor_b32_e32 v19, 0x80000000, v2
	v_xor_b32_e32 v20, 0x80000000, v3
	ds_write_b64 v12, v[19:20]
; %bb.703:
	s_or_b64 exec, exec, s[16:17]
	s_waitcnt lgkmcnt(0)
	s_barrier
	s_and_saveexec_b64 s[16:17], s[56:57]
	s_cbranch_execz .LBB50_705
; %bb.704:
	v_lshlrev_b32_e32 v19, 3, v10
	ds_read_b64 v[19:20], v19 offset:9344
	ds_read_b64 v[21:22], v12
	s_waitcnt lgkmcnt(0)
	v_mul_f32_e32 v23, v22, v20
	v_mul_f32_e32 v20, v21, v20
	v_fma_f32 v21, v21, v19, -v23
	v_fmac_f32_e32 v20, v22, v19
	v_sub_f32_e32 v2, v2, v21
	v_sub_f32_e32 v3, v3, v20
.LBB50_705:
	s_or_b64 exec, exec, s[16:17]
	s_barrier
	s_and_saveexec_b64 s[16:17], s[58:59]
; %bb.706:
	v_xor_b32_e32 v19, 0x80000000, v2
	v_xor_b32_e32 v20, 0x80000000, v3
	ds_write_b64 v12, v[19:20]
; %bb.707:
	s_or_b64 exec, exec, s[16:17]
	s_waitcnt lgkmcnt(0)
	s_barrier
	s_and_saveexec_b64 s[16:17], s[42:43]
	s_cbranch_execz .LBB50_709
; %bb.708:
	v_mov_b32_e32 v19, 0
	ds_read_b64 v[19:20], v19 offset:8832
	ds_read_b64 v[21:22], v12
	s_waitcnt lgkmcnt(0)
	v_mul_f32_e32 v23, v22, v20
	v_mul_f32_e32 v20, v21, v20
	v_fma_f32 v21, v21, v19, -v23
	v_fmac_f32_e32 v20, v22, v19
	v_sub_f32_e32 v2, v2, v21
	v_sub_f32_e32 v3, v3, v20
.LBB50_709:
	s_or_b64 exec, exec, s[16:17]
	s_barrier
	s_and_saveexec_b64 s[16:17], s[42:43]
; %bb.710:
	v_xor_b32_e32 v19, 0x80000000, v2
	v_xor_b32_e32 v20, 0x80000000, v3
	ds_write_b64 v12, v[19:20]
; %bb.711:
	s_or_b64 exec, exec, s[16:17]
	s_waitcnt lgkmcnt(0)
	s_barrier
	s_barrier
	s_and_saveexec_b64 s[16:17], s[10:11]
; %bb.712:
	v_lshlrev_b32_e32 v19, 3, v10
	v_lshl_or_b32 v19, v11, 9, v19
	ds_write_b64 v19, v[2:3] offset:10368
; %bb.713:
	s_or_b64 exec, exec, s[16:17]
	s_waitcnt lgkmcnt(0)
	s_barrier
	s_barrier
	s_and_saveexec_b64 s[16:17], s[60:61]
	s_cbranch_execz .LBB50_715
; %bb.714:
	v_lshlrev_b32_e32 v19, 9, v0
	ds_read_b64 v[2:3], v19 offset:10368
	s_movk_i32 s18, 0xfe08
	v_mad_i32_i24 v20, v0, s18, v19
	s_waitcnt lgkmcnt(0)
	ds_write_b64 v20, v[2:3] offset:8352
	ds_read_b64 v[2:3], v19 offset:10376
	s_waitcnt lgkmcnt(0)
	ds_write_b64 v20, v[2:3] offset:8864
	ds_read_b64 v[2:3], v19 offset:10384
	;; [unrolled: 3-line block ×3, first 2 shown]
	s_waitcnt lgkmcnt(0)
	ds_write_b64 v20, v[2:3] offset:9888
.LBB50_715:
	s_or_b64 exec, exec, s[16:17]
	s_waitcnt lgkmcnt(0)
	s_barrier
	s_and_saveexec_b64 s[16:17], vcc
	s_cbranch_execz .LBB50_717
; %bb.716:
	v_mov_b32_e32 v21, 0
	ds_read_b64 v[2:3], v21 offset:9872
	s_mov_b64 s[18:19], 0x3f800000
	v_mov_b32_e32 v20, s19
	v_mov_b32_e32 v19, s18
	s_movk_i32 s18, 0x2000
	ds_write_b64 v21, v[19:20] offset:9880
	v_add_u32_e64 v21, s18, 0
	s_waitcnt lgkmcnt(1)
	ds_write2_b64 v21, v[19:20], v[2:3] offset0:146 offset1:147
.LBB50_717:
	s_or_b64 exec, exec, s[16:17]
	v_mov_b32_e32 v2, 0
	v_mov_b32_e32 v3, 0
	s_waitcnt lgkmcnt(0)
	s_barrier
	buffer_wbinvl1_vol
	s_and_saveexec_b64 s[18:19], s[22:23]
	s_cbranch_execz .LBB50_721
; %bb.718:
	v_lshlrev_b32_e32 v2, 3, v4
	v_lshlrev_b32_e32 v19, 9, v5
	ds_read_b64 v[2:3], v2 offset:9344
	ds_read_b64 v[19:20], v19 offset:9360
	v_cmp_gt_u32_e64 s[16:17], 2, v9
	s_waitcnt lgkmcnt(0)
	v_mul_f32_e32 v21, v20, v3
	v_mul_f32_e32 v3, v19, v3
	v_fma_f32 v19, v19, v2, -v21
	v_fmac_f32_e32 v3, v20, v2
	v_add_f32_e32 v2, 0, v19
	v_add_f32_e32 v3, 0, v3
	s_and_saveexec_b64 s[20:21], s[16:17]
	s_cbranch_execz .LBB50_720
; %bb.719:
	v_lshlrev_b32_e32 v19, 3, v0
	v_mov_b32_e32 v21, 0
	ds_read_b64 v[19:20], v19 offset:9856
	ds_read_b64 v[21:22], v21 offset:9880
	s_waitcnt lgkmcnt(0)
	v_mul_f32_e32 v23, v22, v20
	v_mul_f32_e32 v20, v21, v20
	v_fma_f32 v21, v21, v19, -v23
	v_fmac_f32_e32 v20, v22, v19
	v_add_f32_e32 v2, v2, v21
	v_add_f32_e32 v3, v3, v20
.LBB50_720:
	s_or_b64 exec, exec, s[20:21]
.LBB50_721:
	s_or_b64 exec, exec, s[18:19]
	s_and_saveexec_b64 s[16:17], s[36:37]
; %bb.722:
	v_xor_b32_e32 v20, 0x80000000, v3
	v_xor_b32_e32 v19, 0x80000000, v2
	ds_write_b64 v7, v[19:20]
; %bb.723:
	s_or_b64 exec, exec, s[16:17]
	s_waitcnt lgkmcnt(0)
	s_barrier
	s_and_saveexec_b64 s[16:17], s[34:35]
	s_cbranch_execz .LBB50_725
; %bb.724:
	v_mov_b32_e32 v19, 0
	ds_read_b64 v[19:20], v19 offset:8832
	ds_read_b64 v[21:22], v7
	s_waitcnt lgkmcnt(0)
	v_mul_f32_e32 v23, v21, v19
	v_mul_f32_e32 v21, v21, v20
	v_fmac_f32_e32 v21, v22, v19
	v_fma_f32 v19, v22, v20, -v23
	v_add_f32_e32 v2, v2, v19
	v_sub_f32_e32 v3, v3, v21
.LBB50_725:
	s_or_b64 exec, exec, s[16:17]
	s_barrier
	s_and_saveexec_b64 s[16:17], s[34:35]
; %bb.726:
	v_xor_b32_e32 v20, 0x80000000, v3
	v_xor_b32_e32 v19, 0x80000000, v2
	ds_write_b64 v7, v[19:20]
; %bb.727:
	s_or_b64 exec, exec, s[16:17]
	s_waitcnt lgkmcnt(0)
	s_barrier
	s_barrier
	s_and_saveexec_b64 s[16:17], s[22:23]
; %bb.728:
	v_lshlrev_b32_e32 v19, 3, v4
	v_lshl_or_b32 v19, v5, 9, v19
	ds_write_b64 v19, v[2:3] offset:9344
; %bb.729:
	s_or_b64 exec, exec, s[16:17]
	s_waitcnt lgkmcnt(0)
	s_barrier
	s_barrier
	s_and_saveexec_b64 s[16:17], s[38:39]
	s_cbranch_execz .LBB50_731
; %bb.730:
	v_lshlrev_b32_e32 v19, 3, v0
	s_movk_i32 s18, 0x1f8
	v_mad_u32_u24 v20, v0, s18, v19
	ds_read_b64 v[2:3], v20 offset:9344
	s_waitcnt lgkmcnt(0)
	ds_write_b64 v19, v[2:3] offset:8336
	ds_read_b64 v[2:3], v20 offset:9352
	s_waitcnt lgkmcnt(0)
	ds_write_b64 v19, v[2:3] offset:8848
.LBB50_731:
	s_or_b64 exec, exec, s[16:17]
	s_waitcnt lgkmcnt(0)
	s_barrier
	s_and_saveexec_b64 s[16:17], vcc
	s_cbranch_execz .LBB50_733
; %bb.732:
	v_mov_b32_e32 v21, 0
	ds_read_b64 v[2:3], v21 offset:8832
	s_mov_b64 s[18:19], 0x3f800000
	v_mov_b32_e32 v20, s19
	v_mov_b32_e32 v19, s18
	s_movk_i32 s18, 0x2000
	ds_write_b64 v21, v[19:20] offset:8840
	v_add_u32_e64 v21, s18, 0
	s_waitcnt lgkmcnt(1)
	ds_write2_b64 v21, v[19:20], v[2:3] offset0:16 offset1:17
.LBB50_733:
	s_or_b64 exec, exec, s[16:17]
	v_mov_b32_e32 v3, 0
	v_mov_b32_e32 v2, 0
	s_waitcnt lgkmcnt(0)
	s_barrier
	buffer_wbinvl1_vol
	s_and_saveexec_b64 s[18:19], s[14:15]
	s_cbranch_execz .LBB50_761
; %bb.734:
	v_lshlrev_b32_e32 v19, 3, v16
	v_lshlrev_b32_e32 v20, 9, v17
	ds_read_b64 v[2:3], v19 offset:8192
	ds_read_b64 v[21:22], v20 offset:8320
	s_movk_i32 s16, 0xf0
	v_cmp_gt_u32_e64 s[16:17], s16, v9
	s_waitcnt lgkmcnt(0)
	v_mul_f32_e32 v23, v22, v3
	v_mul_f32_e32 v3, v21, v3
	v_fma_f32 v21, v21, v2, -v23
	v_fmac_f32_e32 v3, v22, v2
	v_add_f32_e32 v2, 0, v21
	v_add_f32_e32 v3, 0, v3
	s_and_saveexec_b64 s[20:21], s[16:17]
	s_cbranch_execz .LBB50_736
; %bb.735:
	ds_read_b64 v[21:22], v19 offset:8704
	ds_read_b64 v[23:24], v20 offset:8328
	s_waitcnt lgkmcnt(0)
	v_mul_f32_e32 v25, v24, v22
	v_mul_f32_e32 v22, v23, v22
	v_fma_f32 v23, v23, v21, -v25
	v_fmac_f32_e32 v22, v24, v21
	v_add_f32_e32 v2, v2, v23
	v_add_f32_e32 v3, v3, v22
.LBB50_736:
	s_or_b64 exec, exec, s[20:21]
	s_movk_i32 s16, 0xe0
	v_cmp_gt_u32_e64 s[16:17], s16, v9
	s_and_saveexec_b64 s[20:21], s[16:17]
	s_cbranch_execz .LBB50_738
; %bb.737:
	ds_read_b64 v[21:22], v19 offset:9216
	ds_read_b64 v[23:24], v20 offset:8336
	s_waitcnt lgkmcnt(0)
	v_mul_f32_e32 v25, v24, v22
	v_mul_f32_e32 v22, v23, v22
	v_fma_f32 v23, v23, v21, -v25
	v_fmac_f32_e32 v22, v24, v21
	v_add_f32_e32 v2, v2, v23
	v_add_f32_e32 v3, v3, v22
.LBB50_738:
	s_or_b64 exec, exec, s[20:21]
	s_movk_i32 s16, 0xd0
	v_cmp_gt_u32_e64 s[16:17], s16, v9
	;; [unrolled: 16-line block ×10, first 2 shown]
	s_and_saveexec_b64 s[20:21], s[16:17]
	s_cbranch_execnz .LBB50_1088
; %bb.755:
	s_or_b64 exec, exec, s[20:21]
	s_and_saveexec_b64 s[16:17], s[12:13]
	s_cbranch_execnz .LBB50_1089
.LBB50_756:
	s_or_b64 exec, exec, s[16:17]
	v_cmp_gt_u32_e64 s[16:17], 48, v9
	s_and_saveexec_b64 s[20:21], s[16:17]
	s_cbranch_execnz .LBB50_1090
.LBB50_757:
	s_or_b64 exec, exec, s[20:21]
	v_cmp_gt_u32_e64 s[16:17], 32, v9
	s_and_saveexec_b64 s[20:21], s[16:17]
	s_cbranch_execnz .LBB50_1091
.LBB50_758:
	s_or_b64 exec, exec, s[20:21]
	v_cmp_gt_u32_e64 s[16:17], 16, v9
	s_and_saveexec_b64 s[20:21], s[16:17]
	s_cbranch_execz .LBB50_760
.LBB50_759:
	v_lshlrev_b32_e32 v19, 3, v0
	v_mov_b32_e32 v21, 0
	ds_read_b64 v[19:20], v19 offset:15872
	ds_read_b64 v[21:22], v21 offset:16120
	s_waitcnt lgkmcnt(0)
	v_mul_f32_e32 v23, v22, v20
	v_mul_f32_e32 v20, v21, v20
	v_fma_f32 v21, v21, v19, -v23
	v_fmac_f32_e32 v20, v22, v19
	v_add_f32_e32 v2, v2, v21
	v_add_f32_e32 v3, v3, v20
.LBB50_760:
	s_or_b64 exec, exec, s[20:21]
.LBB50_761:
	s_or_b64 exec, exec, s[18:19]
	s_mov_b64 s[16:17], exec
	v_readlane_b32 s18, v29, 2
	v_readlane_b32 s19, v29, 3
	s_and_b64 s[18:19], s[16:17], s[18:19]
	s_mov_b64 exec, s[18:19]
; %bb.762:
	v_xor_b32_e32 v19, 0x80000000, v2
	v_xor_b32_e32 v20, 0x80000000, v3
	ds_write_b64 v18, v[19:20]
; %bb.763:
	s_or_b64 exec, exec, s[16:17]
	s_waitcnt lgkmcnt(0)
	s_barrier
	s_mov_b64 s[16:17], exec
	v_readlane_b32 s18, v29, 4
	v_readlane_b32 s19, v29, 5
	s_and_b64 s[18:19], s[16:17], s[18:19]
	s_mov_b64 exec, s[18:19]
	s_cbranch_execz .LBB50_765
; %bb.764:
	v_lshlrev_b32_e32 v19, 3, v16
	ds_read_b64 v[19:20], v19 offset:7680
	ds_read_b64 v[21:22], v18
	s_waitcnt lgkmcnt(0)
	v_mul_f32_e32 v23, v22, v20
	v_mul_f32_e32 v20, v21, v20
	v_fma_f32 v21, v21, v19, -v23
	v_fmac_f32_e32 v20, v22, v19
	v_sub_f32_e32 v2, v2, v21
	v_sub_f32_e32 v3, v3, v20
.LBB50_765:
	s_or_b64 exec, exec, s[16:17]
	s_barrier
	s_mov_b64 s[16:17], exec
	v_readlane_b32 s18, v29, 6
	v_readlane_b32 s19, v29, 7
	s_and_b64 s[18:19], s[16:17], s[18:19]
	s_mov_b64 exec, s[18:19]
; %bb.766:
	v_xor_b32_e32 v19, 0x80000000, v2
	v_xor_b32_e32 v20, 0x80000000, v3
	ds_write_b64 v18, v[19:20]
; %bb.767:
	s_or_b64 exec, exec, s[16:17]
	s_waitcnt lgkmcnt(0)
	s_barrier
	s_mov_b64 s[16:17], exec
	v_readlane_b32 s18, v29, 8
	v_readlane_b32 s19, v29, 9
	s_and_b64 s[18:19], s[16:17], s[18:19]
	s_mov_b64 exec, s[18:19]
	s_cbranch_execz .LBB50_769
; %bb.768:
	v_lshlrev_b32_e32 v19, 3, v16
	ds_read_b64 v[19:20], v19 offset:7168
	ds_read_b64 v[21:22], v18
	s_waitcnt lgkmcnt(0)
	v_mul_f32_e32 v23, v22, v20
	v_mul_f32_e32 v20, v21, v20
	v_fma_f32 v21, v21, v19, -v23
	v_fmac_f32_e32 v20, v22, v19
	v_sub_f32_e32 v2, v2, v21
	v_sub_f32_e32 v3, v3, v20
.LBB50_769:
	s_or_b64 exec, exec, s[16:17]
	s_barrier
	;; [unrolled: 33-line block ×14, first 2 shown]
	s_and_saveexec_b64 s[16:17], s[6:7]
; %bb.818:
	v_xor_b32_e32 v19, 0x80000000, v2
	v_xor_b32_e32 v20, 0x80000000, v3
	ds_write_b64 v18, v[19:20]
; %bb.819:
	s_or_b64 exec, exec, s[16:17]
	s_waitcnt lgkmcnt(0)
	s_barrier
	s_and_saveexec_b64 s[6:7], s[98:99]
	s_cbranch_execz .LBB50_821
; %bb.820:
	v_mov_b32_e32 v19, 0
	ds_read_b64 v[19:20], v19 offset:512
	ds_read_b64 v[21:22], v18
	s_waitcnt lgkmcnt(0)
	v_mul_f32_e32 v23, v22, v20
	v_mul_f32_e32 v20, v21, v20
	v_fma_f32 v21, v21, v19, -v23
	v_fmac_f32_e32 v20, v22, v19
	v_sub_f32_e32 v2, v2, v21
	v_sub_f32_e32 v3, v3, v20
.LBB50_821:
	s_or_b64 exec, exec, s[6:7]
	s_barrier
	s_and_saveexec_b64 s[6:7], s[98:99]
; %bb.822:
	v_xor_b32_e32 v19, 0x80000000, v2
	v_xor_b32_e32 v20, 0x80000000, v3
	ds_write_b64 v18, v[19:20]
; %bb.823:
	s_or_b64 exec, exec, s[6:7]
	s_waitcnt lgkmcnt(0)
	s_barrier
	s_barrier
	s_and_saveexec_b64 s[6:7], s[14:15]
; %bb.824:
	v_lshlrev_b32_e32 v16, 3, v16
	v_lshl_or_b32 v16, v17, 9, v16
	ds_write_b64 v16, v[2:3] offset:8192
; %bb.825:
	s_or_b64 exec, exec, s[6:7]
	s_waitcnt lgkmcnt(0)
	s_barrier
	s_barrier
	s_mov_b64 s[6:7], exec
	v_readlane_b32 s14, v29, 58
	v_readlane_b32 s15, v29, 59
	s_and_b64 s[14:15], s[6:7], s[14:15]
	s_mov_b64 exec, s[14:15]
	s_cbranch_execz .LBB50_827
; %bb.826:
	v_lshlrev_b32_e32 v16, 9, v0
	ds_read_b64 v[2:3], v16 offset:8192
	s_movk_i32 s14, 0xfe08
	v_mad_i32_i24 v17, v0, s14, v16
	s_waitcnt lgkmcnt(0)
	ds_write_b64 v17, v[2:3] offset:128
	ds_read_b64 v[2:3], v16 offset:8200
	s_waitcnt lgkmcnt(0)
	ds_write_b64 v17, v[2:3] offset:640
	ds_read_b64 v[2:3], v16 offset:8208
	s_waitcnt lgkmcnt(0)
	ds_write_b64 v17, v[2:3] offset:1152
	ds_read_b64 v[2:3], v16 offset:8216
	s_waitcnt lgkmcnt(0)
	ds_write_b64 v17, v[2:3] offset:1664
	ds_read_b64 v[2:3], v16 offset:8224
	s_waitcnt lgkmcnt(0)
	ds_write_b64 v17, v[2:3] offset:2176
	ds_read_b64 v[2:3], v16 offset:8232
	s_waitcnt lgkmcnt(0)
	ds_write_b64 v17, v[2:3] offset:2688
	ds_read_b64 v[2:3], v16 offset:8240
	s_waitcnt lgkmcnt(0)
	ds_write_b64 v17, v[2:3] offset:3200
	ds_read_b64 v[2:3], v16 offset:8248
	s_waitcnt lgkmcnt(0)
	ds_write_b64 v17, v[2:3] offset:3712
	ds_read_b64 v[2:3], v16 offset:8256
	s_waitcnt lgkmcnt(0)
	ds_write_b64 v17, v[2:3] offset:4224
	ds_read_b64 v[2:3], v16 offset:8264
	s_waitcnt lgkmcnt(0)
	ds_write_b64 v17, v[2:3] offset:4736
	ds_read_b64 v[2:3], v16 offset:8272
	s_waitcnt lgkmcnt(0)
	ds_write_b64 v17, v[2:3] offset:5248
	ds_read_b64 v[2:3], v16 offset:8280
	s_waitcnt lgkmcnt(0)
	ds_write_b64 v17, v[2:3] offset:5760
	ds_read_b64 v[2:3], v16 offset:8288
	s_waitcnt lgkmcnt(0)
	ds_write_b64 v17, v[2:3] offset:6272
	ds_read_b64 v[2:3], v16 offset:8296
	s_waitcnt lgkmcnt(0)
	ds_write_b64 v17, v[2:3] offset:6784
	ds_read_b64 v[2:3], v16 offset:8304
	s_waitcnt lgkmcnt(0)
	ds_write_b64 v17, v[2:3] offset:7296
	ds_read_b64 v[2:3], v16 offset:8312
	s_waitcnt lgkmcnt(0)
	ds_write_b64 v17, v[2:3] offset:7808
.LBB50_827:
	s_or_b64 exec, exec, s[6:7]
	s_waitcnt lgkmcnt(0)
	s_barrier
	s_and_saveexec_b64 s[6:7], vcc
	s_cbranch_execz .LBB50_829
; %bb.828:
	v_mov_b32_e32 v18, 0
	ds_read_b64 v[2:3], v18 offset:7792
	s_mov_b64 s[14:15], 0x3f800000
	v_mov_b32_e32 v17, s15
	v_mov_b32_e32 v16, s14
	s_movk_i32 s14, 0x1800
	ds_write_b64 v18, v[16:17] offset:7800
	v_add_u32_e64 v18, s14, 0
	s_waitcnt lgkmcnt(1)
	ds_write2_b64 v18, v[16:17], v[2:3] offset0:142 offset1:143
.LBB50_829:
	s_or_b64 exec, exec, s[6:7]
	v_mov_b32_e32 v2, 0
	v_mov_b32_e32 v3, 0
	s_waitcnt lgkmcnt(0)
	s_barrier
	buffer_wbinvl1_vol
	s_and_saveexec_b64 s[6:7], s[22:23]
	s_cbranch_execz .LBB50_833
; %bb.830:
	v_lshlrev_b32_e32 v2, 3, v4
	v_lshlrev_b32_e32 v16, 9, v5
	ds_read_b64 v[2:3], v2 offset:7264
	ds_read_b64 v[16:17], v16 offset:7280
	v_cmp_gt_u32_e64 s[14:15], 2, v9
	s_waitcnt lgkmcnt(0)
	v_mul_f32_e32 v18, v17, v3
	v_mul_f32_e32 v3, v16, v3
	v_fma_f32 v16, v16, v2, -v18
	v_fmac_f32_e32 v3, v17, v2
	v_add_f32_e32 v2, 0, v16
	v_add_f32_e32 v3, 0, v3
	s_and_saveexec_b64 s[16:17], s[14:15]
	s_cbranch_execz .LBB50_832
; %bb.831:
	v_lshlrev_b32_e32 v16, 3, v0
	v_mov_b32_e32 v18, 0
	ds_read_b64 v[16:17], v16 offset:7776
	ds_read_b64 v[18:19], v18 offset:7800
	s_waitcnt lgkmcnt(0)
	v_mul_f32_e32 v20, v19, v17
	v_mul_f32_e32 v17, v18, v17
	v_fma_f32 v18, v18, v16, -v20
	v_fmac_f32_e32 v17, v19, v16
	v_add_f32_e32 v2, v2, v18
	v_add_f32_e32 v3, v3, v17
.LBB50_832:
	s_or_b64 exec, exec, s[16:17]
.LBB50_833:
	s_or_b64 exec, exec, s[6:7]
	s_and_saveexec_b64 s[6:7], s[36:37]
; %bb.834:
	v_xor_b32_e32 v17, 0x80000000, v3
	v_xor_b32_e32 v16, 0x80000000, v2
	ds_write_b64 v7, v[16:17]
; %bb.835:
	s_or_b64 exec, exec, s[6:7]
	s_waitcnt lgkmcnt(0)
	s_barrier
	s_and_saveexec_b64 s[6:7], s[34:35]
	s_cbranch_execz .LBB50_837
; %bb.836:
	v_mov_b32_e32 v16, 0
	ds_read_b64 v[16:17], v16 offset:6752
	ds_read_b64 v[18:19], v7
	s_waitcnt lgkmcnt(0)
	v_mul_f32_e32 v20, v18, v16
	v_mul_f32_e32 v18, v18, v17
	v_fmac_f32_e32 v18, v19, v16
	v_fma_f32 v16, v19, v17, -v20
	v_add_f32_e32 v2, v2, v16
	v_sub_f32_e32 v3, v3, v18
.LBB50_837:
	s_or_b64 exec, exec, s[6:7]
	s_barrier
	s_and_saveexec_b64 s[6:7], s[34:35]
; %bb.838:
	v_xor_b32_e32 v17, 0x80000000, v3
	v_xor_b32_e32 v16, 0x80000000, v2
	ds_write_b64 v7, v[16:17]
; %bb.839:
	s_or_b64 exec, exec, s[6:7]
	s_waitcnt lgkmcnt(0)
	s_barrier
	s_barrier
	s_and_saveexec_b64 s[6:7], s[22:23]
; %bb.840:
	v_lshlrev_b32_e32 v16, 3, v4
	v_lshl_or_b32 v16, v5, 9, v16
	ds_write_b64 v16, v[2:3] offset:7264
; %bb.841:
	s_or_b64 exec, exec, s[6:7]
	s_waitcnt lgkmcnt(0)
	s_barrier
	s_barrier
	s_and_saveexec_b64 s[6:7], s[38:39]
	s_cbranch_execz .LBB50_843
; %bb.842:
	v_lshlrev_b32_e32 v16, 3, v0
	s_movk_i32 s14, 0x1f8
	v_mad_u32_u24 v17, v0, s14, v16
	ds_read_b64 v[2:3], v17 offset:7264
	s_waitcnt lgkmcnt(0)
	ds_write_b64 v16, v[2:3] offset:6256
	ds_read_b64 v[2:3], v17 offset:7272
	s_waitcnt lgkmcnt(0)
	ds_write_b64 v16, v[2:3] offset:6768
.LBB50_843:
	s_or_b64 exec, exec, s[6:7]
	s_waitcnt lgkmcnt(0)
	s_barrier
	s_and_saveexec_b64 s[6:7], vcc
	s_cbranch_execz .LBB50_845
; %bb.844:
	v_mov_b32_e32 v18, 0
	ds_read_b64 v[2:3], v18 offset:6752
	s_mov_b64 s[14:15], 0x3f800000
	v_mov_b32_e32 v17, s15
	v_mov_b32_e32 v16, s14
	s_movk_i32 s14, 0x1800
	ds_write_b64 v18, v[16:17] offset:6760
	v_add_u32_e64 v18, s14, 0
	s_waitcnt lgkmcnt(1)
	ds_write2_b64 v18, v[16:17], v[2:3] offset0:12 offset1:13
.LBB50_845:
	s_or_b64 exec, exec, s[6:7]
	v_mov_b32_e32 v3, 0
	v_mov_b32_e32 v2, 0
	s_waitcnt lgkmcnt(0)
	s_barrier
	buffer_wbinvl1_vol
	s_and_saveexec_b64 s[6:7], s[10:11]
	s_cbranch_execz .LBB50_851
; %bb.846:
	v_lshlrev_b32_e32 v16, 3, v10
	v_lshlrev_b32_e32 v17, 9, v11
	ds_read_b64 v[2:3], v16 offset:6208
	ds_read_b64 v[18:19], v17 offset:6240
	v_cmp_gt_u32_e64 s[14:15], 12, v9
	s_waitcnt lgkmcnt(0)
	v_mul_f32_e32 v20, v19, v3
	v_mul_f32_e32 v3, v18, v3
	v_fma_f32 v18, v18, v2, -v20
	v_fmac_f32_e32 v3, v19, v2
	v_add_f32_e32 v2, 0, v18
	v_add_f32_e32 v3, 0, v3
	s_and_saveexec_b64 s[16:17], s[14:15]
	s_cbranch_execnz .LBB50_1092
; %bb.847:
	s_or_b64 exec, exec, s[16:17]
	v_cmp_gt_u32_e64 s[14:15], 8, v9
	s_and_saveexec_b64 s[16:17], s[14:15]
	s_cbranch_execnz .LBB50_1093
.LBB50_848:
	s_or_b64 exec, exec, s[16:17]
	v_cmp_gt_u32_e64 s[14:15], 4, v9
	s_and_saveexec_b64 s[16:17], s[14:15]
	s_cbranch_execz .LBB50_850
.LBB50_849:
	v_lshlrev_b32_e32 v16, 3, v0
	v_mov_b32_e32 v18, 0
	ds_read_b64 v[16:17], v16 offset:7744
	ds_read_b64 v[18:19], v18 offset:7800
	s_waitcnt lgkmcnt(0)
	v_mul_f32_e32 v20, v19, v17
	v_mul_f32_e32 v17, v18, v17
	v_fma_f32 v18, v18, v16, -v20
	v_fmac_f32_e32 v17, v19, v16
	v_add_f32_e32 v2, v2, v18
	v_add_f32_e32 v3, v3, v17
.LBB50_850:
	s_or_b64 exec, exec, s[16:17]
.LBB50_851:
	s_or_b64 exec, exec, s[6:7]
	s_and_saveexec_b64 s[6:7], s[44:45]
; %bb.852:
	v_xor_b32_e32 v16, 0x80000000, v2
	v_xor_b32_e32 v17, 0x80000000, v3
	ds_write_b64 v12, v[16:17]
; %bb.853:
	s_or_b64 exec, exec, s[6:7]
	s_waitcnt lgkmcnt(0)
	s_barrier
	s_and_saveexec_b64 s[6:7], s[52:53]
	s_cbranch_execz .LBB50_855
; %bb.854:
	v_lshlrev_b32_e32 v16, 3, v10
	ds_read_b64 v[16:17], v16 offset:5696
	ds_read_b64 v[18:19], v12
	s_waitcnt lgkmcnt(0)
	v_mul_f32_e32 v20, v19, v17
	v_mul_f32_e32 v17, v18, v17
	v_fma_f32 v18, v18, v16, -v20
	v_fmac_f32_e32 v17, v19, v16
	v_sub_f32_e32 v2, v2, v18
	v_sub_f32_e32 v3, v3, v17
.LBB50_855:
	s_or_b64 exec, exec, s[6:7]
	s_barrier
	s_and_saveexec_b64 s[6:7], s[54:55]
; %bb.856:
	v_xor_b32_e32 v16, 0x80000000, v2
	v_xor_b32_e32 v17, 0x80000000, v3
	ds_write_b64 v12, v[16:17]
; %bb.857:
	s_or_b64 exec, exec, s[6:7]
	s_waitcnt lgkmcnt(0)
	s_barrier
	s_and_saveexec_b64 s[6:7], s[56:57]
	s_cbranch_execz .LBB50_859
; %bb.858:
	v_lshlrev_b32_e32 v16, 3, v10
	ds_read_b64 v[16:17], v16 offset:5184
	ds_read_b64 v[18:19], v12
	s_waitcnt lgkmcnt(0)
	v_mul_f32_e32 v20, v19, v17
	v_mul_f32_e32 v17, v18, v17
	v_fma_f32 v18, v18, v16, -v20
	v_fmac_f32_e32 v17, v19, v16
	v_sub_f32_e32 v2, v2, v18
	v_sub_f32_e32 v3, v3, v17
.LBB50_859:
	s_or_b64 exec, exec, s[6:7]
	s_barrier
	s_and_saveexec_b64 s[6:7], s[58:59]
; %bb.860:
	v_xor_b32_e32 v16, 0x80000000, v2
	v_xor_b32_e32 v17, 0x80000000, v3
	ds_write_b64 v12, v[16:17]
; %bb.861:
	s_or_b64 exec, exec, s[6:7]
	s_waitcnt lgkmcnt(0)
	s_barrier
	s_and_saveexec_b64 s[6:7], s[42:43]
	s_cbranch_execz .LBB50_863
; %bb.862:
	v_mov_b32_e32 v16, 0
	ds_read_b64 v[16:17], v16 offset:4672
	ds_read_b64 v[18:19], v12
	s_waitcnt lgkmcnt(0)
	v_mul_f32_e32 v20, v19, v17
	v_mul_f32_e32 v17, v18, v17
	v_fma_f32 v18, v18, v16, -v20
	v_fmac_f32_e32 v17, v19, v16
	v_sub_f32_e32 v2, v2, v18
	v_sub_f32_e32 v3, v3, v17
.LBB50_863:
	s_or_b64 exec, exec, s[6:7]
	s_barrier
	s_and_saveexec_b64 s[6:7], s[42:43]
; %bb.864:
	v_xor_b32_e32 v16, 0x80000000, v2
	v_xor_b32_e32 v17, 0x80000000, v3
	ds_write_b64 v12, v[16:17]
; %bb.865:
	s_or_b64 exec, exec, s[6:7]
	s_waitcnt lgkmcnt(0)
	s_barrier
	s_barrier
	s_and_saveexec_b64 s[6:7], s[10:11]
; %bb.866:
	v_lshlrev_b32_e32 v16, 3, v10
	v_lshl_or_b32 v16, v11, 9, v16
	ds_write_b64 v16, v[2:3] offset:6208
; %bb.867:
	s_or_b64 exec, exec, s[6:7]
	s_waitcnt lgkmcnt(0)
	s_barrier
	s_barrier
	s_and_saveexec_b64 s[6:7], s[60:61]
	s_cbranch_execz .LBB50_869
; %bb.868:
	v_lshlrev_b32_e32 v16, 9, v0
	ds_read_b64 v[2:3], v16 offset:6208
	s_movk_i32 s14, 0xfe08
	v_mad_i32_i24 v17, v0, s14, v16
	s_waitcnt lgkmcnt(0)
	ds_write_b64 v17, v[2:3] offset:4192
	ds_read_b64 v[2:3], v16 offset:6216
	s_waitcnt lgkmcnt(0)
	ds_write_b64 v17, v[2:3] offset:4704
	ds_read_b64 v[2:3], v16 offset:6224
	;; [unrolled: 3-line block ×3, first 2 shown]
	s_waitcnt lgkmcnt(0)
	ds_write_b64 v17, v[2:3] offset:5728
.LBB50_869:
	s_or_b64 exec, exec, s[6:7]
	s_waitcnt lgkmcnt(0)
	s_barrier
	s_and_saveexec_b64 s[6:7], vcc
	s_cbranch_execz .LBB50_871
; %bb.870:
	v_mov_b32_e32 v18, 0
	ds_read_b64 v[2:3], v18 offset:5712
	s_mov_b64 s[14:15], 0x3f800000
	v_mov_b32_e32 v17, s15
	v_mov_b32_e32 v16, s14
	s_movk_i32 s14, 0x1000
	ds_write_b64 v18, v[16:17] offset:5720
	v_add_u32_e64 v18, s14, 0
	s_waitcnt lgkmcnt(1)
	ds_write2_b64 v18, v[16:17], v[2:3] offset0:138 offset1:139
.LBB50_871:
	s_or_b64 exec, exec, s[6:7]
	v_mov_b32_e32 v2, 0
	v_mov_b32_e32 v3, 0
	s_waitcnt lgkmcnt(0)
	s_barrier
	buffer_wbinvl1_vol
	s_and_saveexec_b64 s[6:7], s[22:23]
	s_cbranch_execz .LBB50_875
; %bb.872:
	v_lshlrev_b32_e32 v2, 3, v4
	v_lshlrev_b32_e32 v16, 9, v5
	ds_read_b64 v[2:3], v2 offset:5184
	ds_read_b64 v[16:17], v16 offset:5200
	v_cmp_gt_u32_e64 s[14:15], 2, v9
	s_waitcnt lgkmcnt(0)
	v_mul_f32_e32 v18, v17, v3
	v_mul_f32_e32 v3, v16, v3
	v_fma_f32 v16, v16, v2, -v18
	v_fmac_f32_e32 v3, v17, v2
	v_add_f32_e32 v2, 0, v16
	v_add_f32_e32 v3, 0, v3
	s_and_saveexec_b64 s[16:17], s[14:15]
	s_cbranch_execz .LBB50_874
; %bb.873:
	v_lshlrev_b32_e32 v16, 3, v0
	v_mov_b32_e32 v18, 0
	ds_read_b64 v[16:17], v16 offset:5696
	ds_read_b64 v[18:19], v18 offset:5720
	s_waitcnt lgkmcnt(0)
	v_mul_f32_e32 v20, v19, v17
	v_mul_f32_e32 v17, v18, v17
	v_fma_f32 v18, v18, v16, -v20
	v_fmac_f32_e32 v17, v19, v16
	v_add_f32_e32 v2, v2, v18
	v_add_f32_e32 v3, v3, v17
.LBB50_874:
	s_or_b64 exec, exec, s[16:17]
.LBB50_875:
	s_or_b64 exec, exec, s[6:7]
	s_and_saveexec_b64 s[6:7], s[36:37]
; %bb.876:
	v_xor_b32_e32 v17, 0x80000000, v3
	v_xor_b32_e32 v16, 0x80000000, v2
	ds_write_b64 v7, v[16:17]
; %bb.877:
	s_or_b64 exec, exec, s[6:7]
	s_waitcnt lgkmcnt(0)
	s_barrier
	s_and_saveexec_b64 s[6:7], s[34:35]
	s_cbranch_execz .LBB50_879
; %bb.878:
	v_mov_b32_e32 v16, 0
	ds_read_b64 v[16:17], v16 offset:4672
	ds_read_b64 v[18:19], v7
	s_waitcnt lgkmcnt(0)
	v_mul_f32_e32 v20, v18, v16
	v_mul_f32_e32 v18, v18, v17
	v_fmac_f32_e32 v18, v19, v16
	v_fma_f32 v16, v19, v17, -v20
	v_add_f32_e32 v2, v2, v16
	v_sub_f32_e32 v3, v3, v18
.LBB50_879:
	s_or_b64 exec, exec, s[6:7]
	s_barrier
	s_and_saveexec_b64 s[6:7], s[34:35]
; %bb.880:
	v_xor_b32_e32 v17, 0x80000000, v3
	v_xor_b32_e32 v16, 0x80000000, v2
	ds_write_b64 v7, v[16:17]
; %bb.881:
	s_or_b64 exec, exec, s[6:7]
	s_waitcnt lgkmcnt(0)
	s_barrier
	s_barrier
	s_and_saveexec_b64 s[6:7], s[22:23]
; %bb.882:
	v_lshlrev_b32_e32 v16, 3, v4
	v_lshl_or_b32 v16, v5, 9, v16
	ds_write_b64 v16, v[2:3] offset:5184
; %bb.883:
	s_or_b64 exec, exec, s[6:7]
	s_waitcnt lgkmcnt(0)
	s_barrier
	s_barrier
	s_and_saveexec_b64 s[6:7], s[38:39]
	s_cbranch_execz .LBB50_885
; %bb.884:
	v_lshlrev_b32_e32 v16, 3, v0
	s_movk_i32 s14, 0x1f8
	v_mad_u32_u24 v17, v0, s14, v16
	ds_read_b64 v[2:3], v17 offset:5184
	s_waitcnt lgkmcnt(0)
	ds_write_b64 v16, v[2:3] offset:4176
	ds_read_b64 v[2:3], v17 offset:5192
	s_waitcnt lgkmcnt(0)
	ds_write_b64 v16, v[2:3] offset:4688
.LBB50_885:
	s_or_b64 exec, exec, s[6:7]
	s_waitcnt lgkmcnt(0)
	s_barrier
	s_and_saveexec_b64 s[6:7], vcc
	s_cbranch_execz .LBB50_887
; %bb.886:
	v_mov_b32_e32 v18, 0
	ds_read_b64 v[2:3], v18 offset:4672
	s_mov_b64 s[14:15], 0x3f800000
	v_mov_b32_e32 v17, s15
	v_mov_b32_e32 v16, s14
	s_movk_i32 s14, 0x1000
	ds_write_b64 v18, v[16:17] offset:4680
	v_add_u32_e64 v18, s14, 0
	s_waitcnt lgkmcnt(1)
	ds_write2_b64 v18, v[16:17], v[2:3] offset0:8 offset1:9
.LBB50_887:
	s_or_b64 exec, exec, s[6:7]
	v_mov_b32_e32 v3, 0
	v_mov_b32_e32 v2, 0
	s_waitcnt lgkmcnt(0)
	s_barrier
	buffer_wbinvl1_vol
	s_and_saveexec_b64 s[6:7], s[12:13]
	s_cbranch_execz .LBB50_897
; %bb.888:
	v_lshlrev_b32_e32 v16, 3, v13
	v_lshlrev_b32_e32 v17, 9, v14
	ds_read_b64 v[2:3], v16 offset:4096
	ds_read_b64 v[18:19], v17 offset:4160
	v_cmp_gt_u32_e64 s[14:15], 56, v9
	s_waitcnt lgkmcnt(0)
	v_mul_f32_e32 v20, v19, v3
	v_mul_f32_e32 v3, v18, v3
	v_fma_f32 v18, v18, v2, -v20
	v_fmac_f32_e32 v3, v19, v2
	v_add_f32_e32 v2, 0, v18
	v_add_f32_e32 v3, 0, v3
	s_and_saveexec_b64 s[16:17], s[14:15]
	s_cbranch_execnz .LBB50_1094
; %bb.889:
	s_or_b64 exec, exec, s[16:17]
	v_cmp_gt_u32_e64 s[14:15], 48, v9
	s_and_saveexec_b64 s[16:17], s[14:15]
	s_cbranch_execnz .LBB50_1095
.LBB50_890:
	s_or_b64 exec, exec, s[16:17]
	v_cmp_gt_u32_e64 s[14:15], 40, v9
	s_and_saveexec_b64 s[16:17], s[14:15]
	s_cbranch_execnz .LBB50_1096
.LBB50_891:
	s_or_b64 exec, exec, s[16:17]
	v_cmp_gt_u32_e64 s[14:15], 32, v9
	s_and_saveexec_b64 s[16:17], s[14:15]
	s_cbranch_execnz .LBB50_1097
.LBB50_892:
	s_or_b64 exec, exec, s[16:17]
	v_cmp_gt_u32_e64 s[14:15], 24, v9
	s_and_saveexec_b64 s[16:17], s[14:15]
	s_cbranch_execnz .LBB50_1098
.LBB50_893:
	s_or_b64 exec, exec, s[16:17]
	s_and_saveexec_b64 s[14:15], s[10:11]
	s_cbranch_execnz .LBB50_1099
.LBB50_894:
	s_or_b64 exec, exec, s[14:15]
	v_cmp_gt_u32_e64 s[14:15], 8, v9
	s_and_saveexec_b64 s[16:17], s[14:15]
	s_cbranch_execz .LBB50_896
.LBB50_895:
	v_lshlrev_b32_e32 v16, 3, v0
	v_mov_b32_e32 v18, 0
	ds_read_b64 v[16:17], v16 offset:7680
	ds_read_b64 v[18:19], v18 offset:7800
	s_waitcnt lgkmcnt(0)
	v_mul_f32_e32 v20, v19, v17
	v_mul_f32_e32 v17, v18, v17
	v_fma_f32 v18, v18, v16, -v20
	v_fmac_f32_e32 v17, v19, v16
	v_add_f32_e32 v2, v2, v18
	v_add_f32_e32 v3, v3, v17
.LBB50_896:
	s_or_b64 exec, exec, s[16:17]
.LBB50_897:
	s_or_b64 exec, exec, s[6:7]
	s_and_saveexec_b64 s[6:7], s[64:65]
; %bb.898:
	v_xor_b32_e32 v17, 0x80000000, v3
	v_xor_b32_e32 v16, 0x80000000, v2
	ds_write_b64 v15, v[16:17]
; %bb.899:
	s_or_b64 exec, exec, s[6:7]
	s_waitcnt lgkmcnt(0)
	s_barrier
	s_and_saveexec_b64 s[6:7], s[66:67]
	s_load_dword s24, s[4:5], 0x6c
	s_cbranch_execz .LBB50_901
; %bb.900:
	v_lshlrev_b32_e32 v16, 3, v13
	ds_read_b64 v[16:17], v16 offset:3584
	ds_read_b64 v[18:19], v15
	s_waitcnt lgkmcnt(0)
	v_mul_f32_e32 v20, v19, v17
	v_mul_f32_e32 v17, v18, v17
	v_fma_f32 v18, v18, v16, -v20
	v_fmac_f32_e32 v17, v19, v16
	v_sub_f32_e32 v2, v2, v18
	v_sub_f32_e32 v3, v3, v17
.LBB50_901:
	s_or_b64 exec, exec, s[6:7]
	s_waitcnt lgkmcnt(0)
	s_barrier
	s_and_saveexec_b64 s[6:7], s[68:69]
; %bb.902:
	v_xor_b32_e32 v17, 0x80000000, v3
	v_xor_b32_e32 v16, 0x80000000, v2
	ds_write_b64 v15, v[16:17]
; %bb.903:
	s_or_b64 exec, exec, s[6:7]
	s_waitcnt lgkmcnt(0)
	s_barrier
	s_and_saveexec_b64 s[6:7], s[70:71]
	s_cbranch_execz .LBB50_905
; %bb.904:
	v_lshlrev_b32_e32 v16, 3, v13
	ds_read_b64 v[16:17], v16 offset:3072
	ds_read_b64 v[18:19], v15
	s_waitcnt lgkmcnt(0)
	v_mul_f32_e32 v20, v19, v17
	v_mul_f32_e32 v17, v18, v17
	v_fma_f32 v18, v18, v16, -v20
	v_fmac_f32_e32 v17, v19, v16
	v_sub_f32_e32 v2, v2, v18
	v_sub_f32_e32 v3, v3, v17
.LBB50_905:
	s_or_b64 exec, exec, s[6:7]
	s_barrier
	s_and_saveexec_b64 s[6:7], s[72:73]
; %bb.906:
	v_xor_b32_e32 v17, 0x80000000, v3
	v_xor_b32_e32 v16, 0x80000000, v2
	ds_write_b64 v15, v[16:17]
; %bb.907:
	s_or_b64 exec, exec, s[6:7]
	s_waitcnt lgkmcnt(0)
	s_barrier
	s_and_saveexec_b64 s[6:7], s[74:75]
	s_cbranch_execz .LBB50_909
; %bb.908:
	v_lshlrev_b32_e32 v16, 3, v13
	ds_read_b64 v[16:17], v16 offset:2560
	ds_read_b64 v[18:19], v15
	s_waitcnt lgkmcnt(0)
	v_mul_f32_e32 v20, v19, v17
	v_mul_f32_e32 v17, v18, v17
	v_fma_f32 v18, v18, v16, -v20
	v_fmac_f32_e32 v17, v19, v16
	v_sub_f32_e32 v2, v2, v18
	v_sub_f32_e32 v3, v3, v17
.LBB50_909:
	s_or_b64 exec, exec, s[6:7]
	;; [unrolled: 25-line block ×5, first 2 shown]
	s_barrier
	s_and_saveexec_b64 s[6:7], s[88:89]
; %bb.922:
	v_xor_b32_e32 v17, 0x80000000, v3
	v_xor_b32_e32 v16, 0x80000000, v2
	ds_write_b64 v15, v[16:17]
; %bb.923:
	s_or_b64 exec, exec, s[6:7]
	s_waitcnt lgkmcnt(0)
	s_barrier
	s_and_saveexec_b64 s[6:7], s[62:63]
	s_cbranch_execz .LBB50_925
; %bb.924:
	v_mov_b32_e32 v16, 0
	ds_read_b64 v[16:17], v16 offset:512
	ds_read_b64 v[18:19], v15
	s_waitcnt lgkmcnt(0)
	v_mul_f32_e32 v20, v19, v17
	v_mul_f32_e32 v17, v18, v17
	v_fma_f32 v18, v18, v16, -v20
	v_fmac_f32_e32 v17, v19, v16
	v_sub_f32_e32 v2, v2, v18
	v_sub_f32_e32 v3, v3, v17
.LBB50_925:
	s_or_b64 exec, exec, s[6:7]
	s_barrier
	s_and_saveexec_b64 s[6:7], s[62:63]
; %bb.926:
	v_xor_b32_e32 v17, 0x80000000, v3
	v_xor_b32_e32 v16, 0x80000000, v2
	ds_write_b64 v15, v[16:17]
; %bb.927:
	s_or_b64 exec, exec, s[6:7]
	s_waitcnt lgkmcnt(0)
	s_barrier
	s_barrier
	s_and_saveexec_b64 s[6:7], s[12:13]
; %bb.928:
	v_lshlrev_b32_e32 v13, 3, v13
	v_lshl_or_b32 v13, v14, 9, v13
	ds_write_b64 v13, v[2:3] offset:4096
; %bb.929:
	s_or_b64 exec, exec, s[6:7]
	s_waitcnt lgkmcnt(0)
	s_barrier
	s_barrier
	s_and_saveexec_b64 s[6:7], s[90:91]
	s_cbranch_execz .LBB50_931
; %bb.930:
	v_lshlrev_b32_e32 v13, 9, v0
	ds_read_b64 v[2:3], v13 offset:4096
	s_movk_i32 s12, 0xfe08
	v_mad_i32_i24 v14, v0, s12, v13
	s_waitcnt lgkmcnt(0)
	ds_write_b64 v14, v[2:3] offset:64
	ds_read_b64 v[2:3], v13 offset:4104
	s_waitcnt lgkmcnt(0)
	ds_write_b64 v14, v[2:3] offset:576
	ds_read_b64 v[2:3], v13 offset:4112
	;; [unrolled: 3-line block ×7, first 2 shown]
	s_waitcnt lgkmcnt(0)
	ds_write_b64 v14, v[2:3] offset:3648
.LBB50_931:
	s_or_b64 exec, exec, s[6:7]
	s_waitcnt lgkmcnt(0)
	s_barrier
	s_and_saveexec_b64 s[6:7], vcc
	s_cbranch_execz .LBB50_933
; %bb.932:
	v_mov_b32_e32 v15, 0
	ds_read_b64 v[2:3], v15 offset:3632
	s_mov_b64 s[12:13], 0x3f800000
	v_mov_b32_e32 v14, s13
	v_mov_b32_e32 v13, s12
	s_movk_i32 s12, 0x800
	ds_write_b64 v15, v[13:14] offset:3640
	v_add_u32_e64 v15, s12, 0
	s_waitcnt lgkmcnt(1)
	ds_write2_b64 v15, v[13:14], v[2:3] offset0:134 offset1:135
.LBB50_933:
	s_or_b64 exec, exec, s[6:7]
	v_mov_b32_e32 v2, 0
	v_mov_b32_e32 v3, 0
	s_waitcnt lgkmcnt(0)
	s_barrier
	buffer_wbinvl1_vol
	s_and_saveexec_b64 s[6:7], s[22:23]
	s_cbranch_execz .LBB50_937
; %bb.934:
	v_lshlrev_b32_e32 v2, 3, v4
	v_lshlrev_b32_e32 v13, 9, v5
	ds_read_b64 v[2:3], v2 offset:3104
	ds_read_b64 v[13:14], v13 offset:3120
	v_cmp_gt_u32_e64 s[12:13], 2, v9
	s_waitcnt lgkmcnt(0)
	v_mul_f32_e32 v15, v14, v3
	v_mul_f32_e32 v3, v13, v3
	v_fma_f32 v13, v13, v2, -v15
	v_fmac_f32_e32 v3, v14, v2
	v_add_f32_e32 v2, 0, v13
	v_add_f32_e32 v3, 0, v3
	s_and_saveexec_b64 s[14:15], s[12:13]
	s_cbranch_execz .LBB50_936
; %bb.935:
	v_lshlrev_b32_e32 v13, 3, v0
	v_mov_b32_e32 v15, 0
	ds_read_b64 v[13:14], v13 offset:3616
	ds_read_b64 v[15:16], v15 offset:3640
	s_waitcnt lgkmcnt(0)
	v_mul_f32_e32 v17, v16, v14
	v_mul_f32_e32 v14, v15, v14
	v_fma_f32 v15, v15, v13, -v17
	v_fmac_f32_e32 v14, v16, v13
	v_add_f32_e32 v2, v2, v15
	v_add_f32_e32 v3, v3, v14
.LBB50_936:
	s_or_b64 exec, exec, s[14:15]
.LBB50_937:
	s_or_b64 exec, exec, s[6:7]
	s_and_saveexec_b64 s[6:7], s[36:37]
; %bb.938:
	v_xor_b32_e32 v14, 0x80000000, v3
	v_xor_b32_e32 v13, 0x80000000, v2
	ds_write_b64 v7, v[13:14]
; %bb.939:
	s_or_b64 exec, exec, s[6:7]
	s_waitcnt lgkmcnt(0)
	s_barrier
	s_and_saveexec_b64 s[6:7], s[34:35]
	s_cbranch_execz .LBB50_941
; %bb.940:
	v_mov_b32_e32 v13, 0
	ds_read_b64 v[13:14], v13 offset:2592
	ds_read_b64 v[15:16], v7
	s_waitcnt lgkmcnt(0)
	v_mul_f32_e32 v17, v15, v13
	v_mul_f32_e32 v15, v15, v14
	v_fmac_f32_e32 v15, v16, v13
	v_fma_f32 v13, v16, v14, -v17
	v_add_f32_e32 v2, v2, v13
	v_sub_f32_e32 v3, v3, v15
.LBB50_941:
	s_or_b64 exec, exec, s[6:7]
	s_barrier
	s_and_saveexec_b64 s[6:7], s[34:35]
; %bb.942:
	v_xor_b32_e32 v14, 0x80000000, v3
	v_xor_b32_e32 v13, 0x80000000, v2
	ds_write_b64 v7, v[13:14]
; %bb.943:
	s_or_b64 exec, exec, s[6:7]
	s_waitcnt lgkmcnt(0)
	s_barrier
	s_barrier
	s_and_saveexec_b64 s[6:7], s[22:23]
; %bb.944:
	v_lshlrev_b32_e32 v13, 3, v4
	v_lshl_or_b32 v13, v5, 9, v13
	ds_write_b64 v13, v[2:3] offset:3104
; %bb.945:
	s_or_b64 exec, exec, s[6:7]
	s_waitcnt lgkmcnt(0)
	s_barrier
	s_barrier
	s_and_saveexec_b64 s[6:7], s[38:39]
	s_cbranch_execz .LBB50_947
; %bb.946:
	v_lshlrev_b32_e32 v13, 3, v0
	s_movk_i32 s12, 0x1f8
	v_mad_u32_u24 v14, v0, s12, v13
	ds_read_b64 v[2:3], v14 offset:3104
	s_waitcnt lgkmcnt(0)
	ds_write_b64 v13, v[2:3] offset:2096
	ds_read_b64 v[2:3], v14 offset:3112
	s_waitcnt lgkmcnt(0)
	ds_write_b64 v13, v[2:3] offset:2608
.LBB50_947:
	s_or_b64 exec, exec, s[6:7]
	s_waitcnt lgkmcnt(0)
	s_barrier
	s_and_saveexec_b64 s[6:7], vcc
	s_cbranch_execz .LBB50_949
; %bb.948:
	v_mov_b32_e32 v15, 0
	ds_read_b64 v[2:3], v15 offset:2592
	s_mov_b64 s[12:13], 0x3f800000
	v_mov_b32_e32 v14, s13
	v_mov_b32_e32 v13, s12
	s_movk_i32 s12, 0x800
	ds_write_b64 v15, v[13:14] offset:2600
	v_add_u32_e64 v15, s12, 0
	s_waitcnt lgkmcnt(1)
	ds_write2_b64 v15, v[13:14], v[2:3] offset0:4 offset1:5
.LBB50_949:
	s_or_b64 exec, exec, s[6:7]
	v_mov_b32_e32 v3, 0
	v_mov_b32_e32 v2, 0
	s_waitcnt lgkmcnt(0)
	s_barrier
	buffer_wbinvl1_vol
	s_and_saveexec_b64 s[6:7], s[10:11]
	s_cbranch_execz .LBB50_955
; %bb.950:
	v_lshlrev_b32_e32 v13, 3, v10
	v_lshlrev_b32_e32 v14, 9, v11
	ds_read_b64 v[2:3], v13 offset:2048
	ds_read_b64 v[15:16], v14 offset:2080
	v_cmp_gt_u32_e64 s[12:13], 12, v9
	s_waitcnt lgkmcnt(0)
	v_mul_f32_e32 v17, v16, v3
	v_mul_f32_e32 v3, v15, v3
	v_fma_f32 v15, v15, v2, -v17
	v_fmac_f32_e32 v3, v16, v2
	v_add_f32_e32 v2, 0, v15
	v_add_f32_e32 v3, 0, v3
	s_and_saveexec_b64 s[14:15], s[12:13]
	s_cbranch_execnz .LBB50_1100
; %bb.951:
	s_or_b64 exec, exec, s[14:15]
	v_cmp_gt_u32_e64 s[12:13], 8, v9
	s_and_saveexec_b64 s[14:15], s[12:13]
	s_cbranch_execnz .LBB50_1101
.LBB50_952:
	s_or_b64 exec, exec, s[14:15]
	v_cmp_gt_u32_e64 s[12:13], 4, v9
	s_and_saveexec_b64 s[14:15], s[12:13]
	s_cbranch_execz .LBB50_954
.LBB50_953:
	v_lshlrev_b32_e32 v13, 3, v0
	v_mov_b32_e32 v15, 0
	ds_read_b64 v[13:14], v13 offset:3584
	ds_read_b64 v[15:16], v15 offset:3640
	s_waitcnt lgkmcnt(0)
	v_mul_f32_e32 v17, v16, v14
	v_mul_f32_e32 v14, v15, v14
	v_fma_f32 v15, v15, v13, -v17
	v_fmac_f32_e32 v14, v16, v13
	v_add_f32_e32 v2, v2, v15
	v_add_f32_e32 v3, v3, v14
.LBB50_954:
	s_or_b64 exec, exec, s[14:15]
.LBB50_955:
	s_or_b64 exec, exec, s[6:7]
	s_and_saveexec_b64 s[6:7], s[44:45]
; %bb.956:
	v_xor_b32_e32 v13, 0x80000000, v2
	v_xor_b32_e32 v14, 0x80000000, v3
	ds_write_b64 v12, v[13:14]
; %bb.957:
	s_or_b64 exec, exec, s[6:7]
	s_waitcnt lgkmcnt(0)
	s_barrier
	s_and_saveexec_b64 s[6:7], s[52:53]
	v_readlane_b32 s44, v29, 0
	v_readlane_b32 s45, v29, 1
	s_cbranch_execz .LBB50_959
; %bb.958:
	v_lshlrev_b32_e32 v13, 3, v10
	ds_read_b64 v[13:14], v13 offset:1536
	ds_read_b64 v[15:16], v12
	s_waitcnt lgkmcnt(0)
	v_mul_f32_e32 v17, v16, v14
	v_mul_f32_e32 v14, v15, v14
	v_fma_f32 v15, v15, v13, -v17
	v_fmac_f32_e32 v14, v16, v13
	v_sub_f32_e32 v2, v2, v15
	v_sub_f32_e32 v3, v3, v14
.LBB50_959:
	s_or_b64 exec, exec, s[6:7]
	s_barrier
	s_and_saveexec_b64 s[6:7], s[54:55]
; %bb.960:
	v_xor_b32_e32 v13, 0x80000000, v2
	v_xor_b32_e32 v14, 0x80000000, v3
	ds_write_b64 v12, v[13:14]
; %bb.961:
	s_or_b64 exec, exec, s[6:7]
	s_waitcnt lgkmcnt(0)
	s_barrier
	s_and_saveexec_b64 s[6:7], s[56:57]
	s_cbranch_execz .LBB50_963
; %bb.962:
	v_lshlrev_b32_e32 v13, 3, v10
	ds_read_b64 v[13:14], v13 offset:1024
	ds_read_b64 v[15:16], v12
	s_waitcnt lgkmcnt(0)
	v_mul_f32_e32 v17, v16, v14
	v_mul_f32_e32 v14, v15, v14
	v_fma_f32 v15, v15, v13, -v17
	v_fmac_f32_e32 v14, v16, v13
	v_sub_f32_e32 v2, v2, v15
	v_sub_f32_e32 v3, v3, v14
.LBB50_963:
	s_or_b64 exec, exec, s[6:7]
	s_barrier
	s_and_saveexec_b64 s[6:7], s[58:59]
; %bb.964:
	v_xor_b32_e32 v13, 0x80000000, v2
	v_xor_b32_e32 v14, 0x80000000, v3
	ds_write_b64 v12, v[13:14]
; %bb.965:
	s_or_b64 exec, exec, s[6:7]
	s_waitcnt lgkmcnt(0)
	s_barrier
	s_and_saveexec_b64 s[6:7], s[42:43]
	s_cbranch_execz .LBB50_967
; %bb.966:
	v_mov_b32_e32 v13, 0
	ds_read_b64 v[13:14], v13 offset:512
	ds_read_b64 v[15:16], v12
	s_waitcnt lgkmcnt(0)
	v_mul_f32_e32 v17, v16, v14
	v_mul_f32_e32 v14, v15, v14
	v_fma_f32 v15, v15, v13, -v17
	v_fmac_f32_e32 v14, v16, v13
	v_sub_f32_e32 v2, v2, v15
	v_sub_f32_e32 v3, v3, v14
.LBB50_967:
	s_or_b64 exec, exec, s[6:7]
	s_barrier
	s_and_saveexec_b64 s[6:7], s[42:43]
; %bb.968:
	v_xor_b32_e32 v13, 0x80000000, v2
	v_xor_b32_e32 v14, 0x80000000, v3
	ds_write_b64 v12, v[13:14]
; %bb.969:
	s_or_b64 exec, exec, s[6:7]
	s_waitcnt lgkmcnt(0)
	s_barrier
	s_barrier
	s_and_saveexec_b64 s[6:7], s[10:11]
; %bb.970:
	v_lshlrev_b32_e32 v10, 3, v10
	v_lshl_or_b32 v10, v11, 9, v10
	ds_write_b64 v10, v[2:3] offset:2048
; %bb.971:
	s_or_b64 exec, exec, s[6:7]
	s_waitcnt lgkmcnt(0)
	s_barrier
	s_barrier
	s_and_saveexec_b64 s[6:7], s[60:61]
	s_cbranch_execz .LBB50_973
; %bb.972:
	v_lshlrev_b32_e32 v10, 9, v0
	ds_read_b64 v[2:3], v10 offset:2048
	s_movk_i32 s10, 0xfe08
	v_mad_i32_i24 v11, v0, s10, v10
	s_waitcnt lgkmcnt(0)
	ds_write_b64 v11, v[2:3] offset:32
	ds_read_b64 v[2:3], v10 offset:2056
	s_waitcnt lgkmcnt(0)
	ds_write_b64 v11, v[2:3] offset:544
	ds_read_b64 v[2:3], v10 offset:2064
	;; [unrolled: 3-line block ×3, first 2 shown]
	s_waitcnt lgkmcnt(0)
	ds_write_b64 v11, v[2:3] offset:1568
.LBB50_973:
	s_or_b64 exec, exec, s[6:7]
	s_waitcnt lgkmcnt(0)
	s_barrier
	s_and_saveexec_b64 s[6:7], vcc
	s_cbranch_execz .LBB50_975
; %bb.974:
	v_mov_b32_e32 v12, 0
	ds_read_b64 v[2:3], v12 offset:1552
	s_mov_b64 s[10:11], 0x3f800000
	v_mov_b32_e32 v10, s10
	v_mov_b32_e32 v11, s11
	ds_write_b64 v12, v[10:11] offset:1560
	s_waitcnt lgkmcnt(1)
	ds_write2_b64 v12, v[10:11], v[2:3] offset0:130 offset1:131
.LBB50_975:
	s_or_b64 exec, exec, s[6:7]
	v_mov_b32_e32 v2, 0
	v_mov_b32_e32 v3, 0
	s_waitcnt lgkmcnt(0)
	s_barrier
	buffer_wbinvl1_vol
	s_and_saveexec_b64 s[6:7], s[22:23]
	s_cbranch_execz .LBB50_979
; %bb.976:
	v_lshlrev_b32_e32 v2, 3, v4
	v_lshlrev_b32_e32 v10, 9, v5
	ds_read_b64 v[2:3], v2 offset:1024
	ds_read_b64 v[10:11], v10 offset:1040
	v_cmp_gt_u32_e64 s[10:11], 2, v9
	s_waitcnt lgkmcnt(0)
	v_mul_f32_e32 v12, v11, v3
	v_mul_f32_e32 v3, v10, v3
	v_fma_f32 v10, v10, v2, -v12
	v_fmac_f32_e32 v3, v11, v2
	v_add_f32_e32 v2, 0, v10
	v_add_f32_e32 v3, 0, v3
	s_and_saveexec_b64 s[12:13], s[10:11]
	s_cbranch_execz .LBB50_978
; %bb.977:
	v_lshlrev_b32_e32 v9, 3, v0
	v_mov_b32_e32 v11, 0
	ds_read_b64 v[9:10], v9 offset:1536
	ds_read_b64 v[11:12], v11 offset:1560
	s_waitcnt lgkmcnt(0)
	v_mul_f32_e32 v13, v12, v10
	v_mul_f32_e32 v10, v11, v10
	v_fma_f32 v11, v11, v9, -v13
	v_fmac_f32_e32 v10, v12, v9
	v_add_f32_e32 v2, v2, v11
	v_add_f32_e32 v3, v3, v10
.LBB50_978:
	s_or_b64 exec, exec, s[12:13]
.LBB50_979:
	s_or_b64 exec, exec, s[6:7]
	s_and_saveexec_b64 s[6:7], s[36:37]
; %bb.980:
	v_xor_b32_e32 v10, 0x80000000, v3
	v_xor_b32_e32 v9, 0x80000000, v2
	ds_write_b64 v7, v[9:10]
; %bb.981:
	s_or_b64 exec, exec, s[6:7]
	s_waitcnt lgkmcnt(0)
	s_barrier
	s_and_saveexec_b64 s[6:7], s[34:35]
	s_cbranch_execz .LBB50_983
; %bb.982:
	v_mov_b32_e32 v9, 0
	ds_read_b64 v[9:10], v9 offset:512
	ds_read_b64 v[11:12], v7
	s_waitcnt lgkmcnt(0)
	v_mul_f32_e32 v13, v11, v9
	v_mul_f32_e32 v11, v11, v10
	v_fmac_f32_e32 v11, v12, v9
	v_fma_f32 v9, v12, v10, -v13
	v_add_f32_e32 v2, v2, v9
	v_sub_f32_e32 v3, v3, v11
.LBB50_983:
	s_or_b64 exec, exec, s[6:7]
	s_barrier
	s_and_saveexec_b64 s[6:7], s[34:35]
; %bb.984:
	v_xor_b32_e32 v10, 0x80000000, v3
	v_xor_b32_e32 v9, 0x80000000, v2
	ds_write_b64 v7, v[9:10]
; %bb.985:
	s_or_b64 exec, exec, s[6:7]
	s_waitcnt lgkmcnt(0)
	s_barrier
	s_barrier
	s_and_saveexec_b64 s[6:7], s[22:23]
; %bb.986:
	v_lshlrev_b32_e32 v4, 3, v4
	v_lshl_or_b32 v4, v5, 9, v4
	ds_write_b64 v4, v[2:3] offset:1024
; %bb.987:
	s_or_b64 exec, exec, s[6:7]
	s_waitcnt lgkmcnt(0)
	s_barrier
	s_barrier
	s_and_saveexec_b64 s[6:7], s[38:39]
	s_cbranch_execz .LBB50_989
; %bb.988:
	v_lshlrev_b32_e32 v4, 3, v0
	s_movk_i32 s10, 0x1f8
	v_mad_u32_u24 v5, v0, s10, v4
	ds_read_b64 v[2:3], v5 offset:1024
	s_waitcnt lgkmcnt(0)
	ds_write_b64 v4, v[2:3] offset:16
	ds_read_b64 v[2:3], v5 offset:1032
	s_waitcnt lgkmcnt(0)
	ds_write_b64 v4, v[2:3] offset:528
.LBB50_989:
	s_or_b64 exec, exec, s[6:7]
	s_waitcnt lgkmcnt(0)
	s_barrier
	s_and_saveexec_b64 s[6:7], vcc
	s_cbranch_execz .LBB50_991
; %bb.990:
	v_mov_b32_e32 v7, 0
	ds_read_b64 v[2:3], v7 offset:512
	s_mov_b64 s[10:11], 0x3f800000
	v_mov_b32_e32 v4, s10
	v_mov_b32_e32 v5, s11
	ds_write_b64 v7, v[4:5] offset:520
	s_waitcnt lgkmcnt(1)
	ds_write2_b64 v7, v[4:5], v[2:3] offset1:1
.LBB50_991:
	s_or_b64 exec, exec, s[6:7]
.LBB50_992:
	s_load_dwordx4 s[16:19], s[4:5], 0x48
	v_cmp_le_i32_e32 vcc, s9, v0
	v_mov_b32_e32 v2, 0
	v_lshl_add_u32 v4, s8, 6, v0
	v_mov_b32_e32 v3, v2
	s_waitcnt lgkmcnt(0)
	s_mul_i32 s5, s17, s26
	s_mul_hi_u32 s6, s16, s26
	s_mul_i32 s4, s16, s26
	s_add_i32 s5, s6, s5
	s_lshl_b64 s[4:5], s[4:5], 3
	s_add_u32 s6, s46, s4
	s_addc_u32 s7, s47, s5
	s_lshl_b64 s[4:5], s[48:49], 3
	s_add_u32 s34, s6, s4
	s_addc_u32 s35, s7, s5
	s_and_b64 s[20:21], vcc, s[28:29]
	v_cmp_eq_u32_e64 s[4:5], 0, v1
	s_xor_b64 s[6:7], s[20:21], -1
	s_and_b64 s[10:11], s[4:5], s[6:7]
	s_barrier
	s_and_saveexec_b64 s[6:7], s[10:11]
	s_cbranch_execz .LBB50_994
; %bb.993:
	v_ashrrev_i32_e32 v5, 31, v4
	v_mul_lo_u32 v7, s51, v4
	v_mad_u64_u32 v[2:3], s[10:11], s50, v4, 0
	v_mul_lo_u32 v5, s50, v5
	v_add3_u32 v3, v3, v5, v7
	v_lshlrev_b64 v[2:3], 3, v[2:3]
	v_mov_b32_e32 v5, s35
	v_add_co_u32_e32 v2, vcc, s34, v2
	v_addc_co_u32_e32 v3, vcc, v5, v3, vcc
	global_load_dwordx2 v[9:10], v[2:3], off
	s_waitcnt vmcnt(0)
	v_mul_f32_e32 v2, s30, v9
	v_mul_f32_e32 v3, s30, v10
	v_fma_f32 v2, s31, v10, -v2
	v_fma_f32 v3, v9, -s31, -v3
.LBB50_994:
	s_or_b64 exec, exec, s[6:7]
	s_and_b32 s6, 0xffff, s24
	v_mad_u32_u24 v9, v1, s6, v0
	s_cmp_lt_i32 s8, 1
	v_cmp_eq_u32_e64 s[16:17], 0, v9
	s_cbranch_scc1 .LBB50_1013
; %bb.995:
	v_mad_u64_u32 v[11:12], s[10:11], s40, v4, 0
	v_cmp_gt_i32_e64 s[12:13], s33, v4
	s_mov_b64 s[6:7], src_private_base
	v_mov_b32_e32 v5, v12
	v_mad_u64_u32 v[12:13], s[10:11], s41, v4, v[5:6]
	v_mov_b32_e32 v5, 0xa000
	v_lshl_add_u32 v7, v9, 3, v5
	v_lshl_or_b32 v10, v1, 3, v5
	v_lshlrev_b64 v[4:5], 3, v[11:12]
	s_lshl_b64 s[10:11], s[26:27], 2
	s_add_u32 s22, s18, s10
	v_mov_b32_e32 v12, s95
	v_add_co_u32_e32 v11, vcc, s94, v4
	s_mov_b32 s6, 0
	s_addc_u32 s23, s19, s11
	v_cmp_gt_u32_e64 s[10:11], 64, v9
	s_add_i32 s30, s8, -1
	v_addc_co_u32_e32 v12, vcc, v12, v5, vcc
	v_mov_b32_e32 v15, -1
	v_mov_b32_e32 v5, 0
	v_mov_b32_e32 v13, 0
	;; [unrolled: 1-line block ×5, first 2 shown]
	s_branch .LBB50_997
.LBB50_996:                             ;   in Loop: Header=BB50_997 Depth=1
	s_or_b64 exec, exec, s[24:25]
	s_add_i32 s6, s6, 1
	s_cmp_eq_u32 s6, s8
	s_cbranch_scc1 .LBB50_1013
.LBB50_997:                             ; =>This Loop Header: Depth=1
                                        ;     Child Loop BB50_999 Depth 2
	v_cmp_gt_i32_e32 vcc, s6, v15
	s_and_b64 s[24:25], s[16:17], vcc
	s_and_saveexec_b64 s[14:15], s[24:25]
	s_cbranch_execz .LBB50_1000
; %bb.998:                              ;   in Loop: Header=BB50_997 Depth=1
	global_load_dword v15, v5, s[22:23]
	s_waitcnt vmcnt(0)
	v_cmp_le_i32_e32 vcc, s6, v15
	s_cbranch_vccnz .LBB50_1000
.LBB50_999:                             ;   Parent Loop BB50_997 Depth=1
                                        ; =>  This Inner Loop Header: Depth=2
	buffer_wbinvl1_vol
	global_load_dword v15, v5, s[22:23]
	s_waitcnt vmcnt(0)
	v_cmp_gt_i32_e32 vcc, s6, v15
	s_cbranch_vccnz .LBB50_999
.LBB50_1000:                            ;   in Loop: Header=BB50_997 Depth=1
	s_or_b64 exec, exec, s[14:15]
	s_lshl_b32 s31, s6, 6
	buffer_wbinvl1_vol
	s_barrier
	s_and_saveexec_b64 s[14:15], s[10:11]
	s_cbranch_execz .LBB50_1005
; %bb.1001:                             ;   in Loop: Header=BB50_997 Depth=1
	v_or_b32_e32 v4, s31, v9
	v_cmp_le_i32_e32 vcc, s33, v4
	s_and_saveexec_b64 s[24:25], vcc
	s_xor_b64 s[24:25], exec, s[24:25]
; %bb.1002:                             ;   in Loop: Header=BB50_997 Depth=1
	v_mov_b32_e32 v4, v5
	ds_write_b64 v7, v[4:5]
                                        ; implicit-def: $vgpr4
; %bb.1003:                             ;   in Loop: Header=BB50_997 Depth=1
	s_andn2_saveexec_b64 s[24:25], s[24:25]
	s_cbranch_execz .LBB50_1005
; %bb.1004:                             ;   in Loop: Header=BB50_997 Depth=1
	v_mad_u64_u32 v[18:19], s[24:25], s50, v4, 0
	v_mad_u64_u32 v[19:20], s[24:25], s51, v4, v[19:20]
	v_mov_b32_e32 v4, s35
	v_lshlrev_b64 v[18:19], 3, v[18:19]
	v_add_co_u32_e32 v18, vcc, s34, v18
	v_addc_co_u32_e32 v19, vcc, v4, v19, vcc
	global_load_dwordx2 v[18:19], v[18:19], off
	s_waitcnt vmcnt(0)
	ds_write_b64 v7, v[18:19]
.LBB50_1005:                            ;   in Loop: Header=BB50_997 Depth=1
	s_or_b64 exec, exec, s[14:15]
	v_add_u32_e32 v4, s31, v1
	v_lshlrev_b64 v[19:20], 3, v[4:5]
	s_cmp_eq_u32 s6, s30
	v_add_co_u32_e32 v19, vcc, v11, v19
	v_addc_co_u32_e32 v18, vcc, v12, v20, vcc
	v_cmp_gt_i32_e32 vcc, s33, v4
	s_cselect_b64 s[14:15], -1, 0
	s_and_b64 s[36:37], vcc, s[12:13]
	s_waitcnt lgkmcnt(0)
	s_barrier
	s_and_saveexec_b64 s[24:25], s[36:37]
	s_cbranch_execz .LBB50_1007
; %bb.1006:                             ;   in Loop: Header=BB50_997 Depth=1
	v_mov_b32_e32 v20, s7
	v_cndmask_b32_e64 v21, v18, v20, s[14:15]
	v_cndmask_b32_e64 v20, v19, v13, s[14:15]
	flat_load_dwordx2 v[20:21], v[20:21]
	ds_read_b64 v[22:23], v10
	s_waitcnt vmcnt(0) lgkmcnt(0)
	v_mul_f32_e32 v24, v23, v21
	v_mul_f32_e32 v21, v22, v21
	v_fma_f32 v22, v22, v20, -v24
	v_fmac_f32_e32 v21, v23, v20
	v_add_f32_e32 v2, v2, v22
	v_add_f32_e32 v3, v3, v21
.LBB50_1007:                            ;   in Loop: Header=BB50_997 Depth=1
	s_or_b64 exec, exec, s[24:25]
	v_add_u32_e32 v20, 16, v4
	v_cmp_gt_i32_e32 vcc, s33, v20
	s_and_b64 s[36:37], vcc, s[12:13]
	s_and_saveexec_b64 s[24:25], s[36:37]
	s_cbranch_execz .LBB50_1009
; %bb.1008:                             ;   in Loop: Header=BB50_997 Depth=1
	v_add_co_u32_e32 v20, vcc, 0x80, v19
	v_addc_co_u32_e32 v21, vcc, 0, v18, vcc
	v_mov_b32_e32 v22, s7
	v_cndmask_b32_e64 v21, v21, v22, s[14:15]
	v_cndmask_b32_e64 v20, v20, v14, s[14:15]
	flat_load_dwordx2 v[20:21], v[20:21]
	ds_read_b64 v[22:23], v10 offset:128
	s_waitcnt vmcnt(0) lgkmcnt(0)
	v_mul_f32_e32 v24, v23, v21
	v_mul_f32_e32 v21, v22, v21
	v_fma_f32 v22, v22, v20, -v24
	v_fmac_f32_e32 v21, v23, v20
	v_add_f32_e32 v2, v2, v22
	v_add_f32_e32 v3, v3, v21
.LBB50_1009:                            ;   in Loop: Header=BB50_997 Depth=1
	s_or_b64 exec, exec, s[24:25]
	v_add_u32_e32 v20, 32, v4
	v_cmp_gt_i32_e32 vcc, s33, v20
	s_and_b64 s[36:37], vcc, s[12:13]
	s_and_saveexec_b64 s[24:25], s[36:37]
	s_cbranch_execz .LBB50_1011
; %bb.1010:                             ;   in Loop: Header=BB50_997 Depth=1
	v_add_co_u32_e32 v20, vcc, 0x100, v19
	v_addc_co_u32_e32 v21, vcc, 0, v18, vcc
	v_mov_b32_e32 v22, s7
	v_cndmask_b32_e64 v21, v21, v22, s[14:15]
	v_cndmask_b32_e64 v20, v20, v16, s[14:15]
	flat_load_dwordx2 v[20:21], v[20:21]
	ds_read_b64 v[22:23], v10 offset:256
	s_waitcnt vmcnt(0) lgkmcnt(0)
	v_mul_f32_e32 v24, v23, v21
	v_mul_f32_e32 v21, v22, v21
	v_fma_f32 v22, v22, v20, -v24
	v_fmac_f32_e32 v21, v23, v20
	v_add_f32_e32 v2, v2, v22
	v_add_f32_e32 v3, v3, v21
.LBB50_1011:                            ;   in Loop: Header=BB50_997 Depth=1
	s_or_b64 exec, exec, s[24:25]
	v_add_u32_e32 v4, 48, v4
	v_cmp_gt_i32_e32 vcc, s33, v4
	s_and_b64 s[36:37], vcc, s[12:13]
	s_and_saveexec_b64 s[24:25], s[36:37]
	s_cbranch_execz .LBB50_996
; %bb.1012:                             ;   in Loop: Header=BB50_997 Depth=1
	v_add_co_u32_e32 v4, vcc, 0x180, v19
	v_addc_co_u32_e32 v18, vcc, 0, v18, vcc
	v_mov_b32_e32 v19, s7
	v_cndmask_b32_e64 v19, v18, v19, s[14:15]
	v_cndmask_b32_e64 v18, v4, v17, s[14:15]
	flat_load_dwordx2 v[18:19], v[18:19]
	ds_read_b64 v[20:21], v10 offset:384
	s_waitcnt vmcnt(0) lgkmcnt(0)
	v_mul_f32_e32 v4, v21, v19
	v_mul_f32_e32 v19, v20, v19
	v_fma_f32 v4, v20, v18, -v4
	v_fmac_f32_e32 v19, v21, v18
	v_add_f32_e32 v2, v2, v4
	v_add_f32_e32 v3, v3, v19
	s_branch .LBB50_996
.LBB50_1013:
	s_xor_b64 s[6:7], s[28:29], -1
	v_lshlrev_b32_e32 v6, 3, v6
	ds_write_b64 v6, v[2:3] offset:32768
	s_waitcnt lgkmcnt(0)
	s_barrier
	s_and_saveexec_b64 s[10:11], s[4:5]
	s_cbranch_execz .LBB50_1015
; %bb.1014:
	v_lshlrev_b32_e32 v7, 3, v0
	ds_read2st64_b64 v[10:13], v7 offset0:65 offset1:66
	ds_read2st64_b64 v[14:17], v7 offset0:67 offset1:68
	ds_read_b64 v[18:19], v7 offset:40448
	s_waitcnt lgkmcnt(2)
	v_add_f32_e32 v2, v2, v10
	v_add_f32_e32 v3, v3, v11
	;; [unrolled: 1-line block ×4, first 2 shown]
	ds_read2st64_b64 v[2:5], v7 offset0:69 offset1:70
	s_waitcnt lgkmcnt(2)
	v_add_f32_e32 v10, v10, v14
	v_add_f32_e32 v11, v11, v15
	;; [unrolled: 1-line block ×4, first 2 shown]
	s_waitcnt lgkmcnt(0)
	v_add_f32_e32 v2, v10, v2
	ds_read2st64_b64 v[10:13], v7 offset0:71 offset1:72
	v_add_f32_e32 v3, v14, v3
	v_add_f32_e32 v14, v2, v4
	;; [unrolled: 1-line block ×3, first 2 shown]
	ds_read2st64_b64 v[2:5], v7 offset0:73 offset1:74
	s_waitcnt lgkmcnt(1)
	v_add_f32_e32 v10, v14, v10
	v_add_f32_e32 v11, v15, v11
	;; [unrolled: 1-line block ×4, first 2 shown]
	s_waitcnt lgkmcnt(0)
	v_add_f32_e32 v2, v10, v2
	ds_read2st64_b64 v[10:13], v7 offset0:75 offset1:76
	v_add_f32_e32 v3, v14, v3
	v_add_f32_e32 v14, v2, v4
	;; [unrolled: 1-line block ×3, first 2 shown]
	ds_read2st64_b64 v[2:5], v7 offset0:77 offset1:78
	s_waitcnt lgkmcnt(1)
	v_add_f32_e32 v7, v14, v10
	v_add_f32_e32 v10, v15, v11
	;; [unrolled: 1-line block ×4, first 2 shown]
	s_waitcnt lgkmcnt(0)
	v_add_f32_e32 v2, v7, v2
	v_add_f32_e32 v3, v10, v3
	;; [unrolled: 1-line block ×6, first 2 shown]
	v_cndmask_b32_e64 v2, -v2, 0, s[20:21]
	v_cndmask_b32_e64 v3, -v3, 0, s[20:21]
.LBB50_1015:
	s_or_b64 exec, exec, s[10:11]
	s_and_b64 vcc, exec, s[44:45]
	s_cbranch_vccnz .LBB50_1028
; %bb.1016:
	v_mov_b32_e32 v4, 0xa000
	v_lshl_or_b32 v7, v1, 3, v4
	s_and_saveexec_b64 s[10:11], s[4:5]
; %bb.1017:
	v_lshl_add_u32 v4, v0, 3, v7
	ds_write_b64 v4, v[2:3]
; %bb.1018:
	s_or_b64 exec, exec, s[10:11]
	v_cmp_le_u32_e32 vcc, v1, v0
	v_mov_b32_e32 v4, 0
	v_mov_b32_e32 v5, 0
	s_waitcnt lgkmcnt(0)
	s_barrier
	s_and_saveexec_b64 s[10:11], vcc
	s_cbranch_execz .LBB50_1020
; %bb.1019:
	ds_read_b64 v[4:5], v6
	ds_read_b64 v[10:11], v7
	s_waitcnt lgkmcnt(0)
	v_mul_f32_e32 v12, v11, v5
	v_mul_f32_e32 v5, v10, v5
	v_fma_f32 v10, v10, v4, -v12
	v_fmac_f32_e32 v5, v11, v4
	v_add_f32_e32 v4, 0, v10
	v_add_f32_e32 v5, 0, v5
.LBB50_1020:
	s_or_b64 exec, exec, s[10:11]
	v_add_u32_e32 v10, 16, v1
	v_cmp_ge_u32_e32 vcc, v0, v10
	s_and_saveexec_b64 s[10:11], vcc
	s_cbranch_execz .LBB50_1022
; %bb.1021:
	ds_read_b64 v[10:11], v6 offset:8192
	ds_read_b64 v[12:13], v7 offset:128
	s_waitcnt lgkmcnt(0)
	v_mul_f32_e32 v14, v13, v11
	v_mul_f32_e32 v11, v12, v11
	v_fma_f32 v12, v12, v10, -v14
	v_fmac_f32_e32 v11, v13, v10
	v_add_f32_e32 v4, v4, v12
	v_add_f32_e32 v5, v5, v11
.LBB50_1022:
	s_or_b64 exec, exec, s[10:11]
	v_add_u32_e32 v10, 32, v1
	v_cmp_ge_u32_e32 vcc, v0, v10
	s_and_saveexec_b64 s[10:11], vcc
	s_cbranch_execz .LBB50_1024
; %bb.1023:
	ds_read_b64 v[10:11], v6 offset:16384
	ds_read_b64 v[12:13], v7 offset:256
	s_waitcnt lgkmcnt(0)
	v_mul_f32_e32 v14, v13, v11
	v_mul_f32_e32 v11, v12, v11
	v_fma_f32 v12, v12, v10, -v14
	v_fmac_f32_e32 v11, v13, v10
	v_add_f32_e32 v4, v4, v12
	v_add_f32_e32 v5, v5, v11
.LBB50_1024:
	s_or_b64 exec, exec, s[10:11]
	v_add_u32_e32 v1, 48, v1
	v_add_u32_e32 v10, 0x8000, v6
	v_cmp_ge_u32_e32 vcc, v0, v1
	s_and_saveexec_b64 s[10:11], vcc
	s_cbranch_execz .LBB50_1026
; %bb.1025:
	ds_read_b64 v[11:12], v6 offset:24576
	ds_read_b64 v[6:7], v7 offset:384
	s_waitcnt lgkmcnt(0)
	v_mul_f32_e32 v1, v7, v12
	v_mul_f32_e32 v12, v6, v12
	v_fma_f32 v1, v6, v11, -v1
	v_fmac_f32_e32 v12, v7, v11
	v_add_f32_e32 v4, v4, v1
	v_add_f32_e32 v5, v5, v12
.LBB50_1026:
	s_or_b64 exec, exec, s[10:11]
	s_mov_b64 s[12:13], 0
	s_mov_b64 s[10:11], 0
	ds_write_b64 v10, v[4:5]
	s_waitcnt lgkmcnt(0)
	s_barrier
                                        ; implicit-def: $vgpr1
                                        ; implicit-def: $vgpr10
                                        ; implicit-def: $vgpr6_vgpr7
	s_and_saveexec_b64 s[14:15], s[4:5]
	s_cbranch_execz .LBB50_1041
; %bb.1027:
	v_lshlrev_b32_e32 v1, 3, v0
	ds_read2st64_b64 v[10:13], v1 offset0:65 offset1:66
	ds_read2st64_b64 v[14:17], v1 offset0:67 offset1:68
	ds_read_b64 v[18:19], v1 offset:40448
	s_mov_b64 s[10:11], exec
	s_waitcnt lgkmcnt(2)
	v_add_f32_e32 v4, v4, v10
	v_add_f32_e32 v5, v5, v11
	;; [unrolled: 1-line block ×4, first 2 shown]
	ds_read2st64_b64 v[4:7], v1 offset0:69 offset1:70
	s_waitcnt lgkmcnt(2)
	v_add_f32_e32 v10, v10, v14
	v_add_f32_e32 v11, v11, v15
	;; [unrolled: 1-line block ×4, first 2 shown]
	s_waitcnt lgkmcnt(0)
	v_add_f32_e32 v4, v10, v4
	ds_read2st64_b64 v[10:13], v1 offset0:71 offset1:72
	v_add_f32_e32 v5, v14, v5
	v_add_f32_e32 v14, v4, v6
	v_add_f32_e32 v15, v5, v7
	ds_read2st64_b64 v[4:7], v1 offset0:73 offset1:74
	s_waitcnt lgkmcnt(1)
	v_add_f32_e32 v10, v14, v10
	v_add_f32_e32 v11, v15, v11
	;; [unrolled: 1-line block ×4, first 2 shown]
	s_waitcnt lgkmcnt(0)
	v_add_f32_e32 v4, v10, v4
	ds_read2st64_b64 v[10:13], v1 offset0:75 offset1:76
	v_add_f32_e32 v5, v14, v5
	v_add_f32_e32 v4, v4, v6
	;; [unrolled: 1-line block ×3, first 2 shown]
	ds_read2st64_b64 v[14:17], v1 offset0:77 offset1:78
	s_waitcnt lgkmcnt(1)
	v_add_f32_e32 v1, v4, v10
	v_add_f32_e32 v4, v5, v11
	v_lshl_add_u32 v5, s8, 6, v9
	v_mad_u64_u32 v[6:7], s[16:17], s50, v5, 0
	v_add_f32_e32 v1, v1, v12
	s_waitcnt lgkmcnt(0)
	v_add_f32_e32 v1, v1, v14
	v_add_f32_e32 v4, v4, v13
	;; [unrolled: 1-line block ×3, first 2 shown]
	v_mov_b32_e32 v1, v7
	v_add_f32_e32 v10, v4, v15
	v_mad_u64_u32 v[4:5], s[16:17], s51, v5, v[1:2]
	v_add_f32_e32 v1, v10, v17
	v_add_f32_e32 v10, v11, v18
	;; [unrolled: 1-line block ×3, first 2 shown]
	v_mov_b32_e32 v7, v4
	s_or_b64 exec, exec, s[14:15]
	s_and_b64 vcc, exec, s[12:13]
	s_cbranch_vccnz .LBB50_1029
	s_branch .LBB50_1042
.LBB50_1028:
	s_mov_b64 s[10:11], 0
                                        ; implicit-def: $vgpr1
                                        ; implicit-def: $vgpr10
                                        ; implicit-def: $vgpr6_vgpr7
	s_cbranch_execz .LBB50_1042
.LBB50_1029:
	s_mov_b32 s14, 0
	v_mov_b32_e32 v1, 0
	v_mov_b32_e32 v4, v0
	s_branch .LBB50_1031
.LBB50_1030:                            ;   in Loop: Header=BB50_1031 Depth=1
	s_or_b64 exec, exec, s[12:13]
	s_add_i32 s14, s14, 2
	v_add_u32_e32 v8, 0x400, v8
	s_cmp_lg_u32 s14, 64
	v_add_u32_e32 v4, -2, v4
	s_barrier
	s_cbranch_scc0 .LBB50_1039
.LBB50_1031:                            ; =>This Inner Loop Header: Depth=1
	v_cmp_eq_u32_e32 vcc, 0, v4
	s_and_b64 s[16:17], s[4:5], vcc
	s_and_saveexec_b64 s[12:13], s[16:17]
; %bb.1032:                             ;   in Loop: Header=BB50_1031 Depth=1
	ds_write_b64 v1, v[2:3] offset:41472
; %bb.1033:                             ;   in Loop: Header=BB50_1031 Depth=1
	s_or_b64 exec, exec, s[12:13]
	v_cmp_lt_u32_e32 vcc, s14, v0
	s_and_b64 s[16:17], s[4:5], vcc
	s_waitcnt lgkmcnt(0)
	s_barrier
	s_and_saveexec_b64 s[12:13], s[16:17]
	s_cbranch_execz .LBB50_1035
; %bb.1034:                             ;   in Loop: Header=BB50_1031 Depth=1
	ds_read_b64 v[5:6], v8
	ds_read_b64 v[10:11], v1 offset:41472
	s_waitcnt lgkmcnt(0)
	v_mul_f32_e32 v7, v11, v6
	v_mul_f32_e32 v6, v10, v6
	v_fma_f32 v7, v10, v5, -v7
	v_fmac_f32_e32 v6, v11, v5
	v_add_f32_e32 v2, v2, v7
	v_add_f32_e32 v3, v3, v6
.LBB50_1035:                            ;   in Loop: Header=BB50_1031 Depth=1
	s_or_b64 exec, exec, s[12:13]
	s_or_b32 s15, s14, 1
	v_cmp_eq_u32_e32 vcc, s15, v0
	s_and_b64 s[16:17], s[4:5], vcc
	s_barrier
	s_and_saveexec_b64 s[12:13], s[16:17]
; %bb.1036:                             ;   in Loop: Header=BB50_1031 Depth=1
	ds_write_b64 v1, v[2:3] offset:41472
; %bb.1037:                             ;   in Loop: Header=BB50_1031 Depth=1
	s_or_b64 exec, exec, s[12:13]
	v_cmp_lt_u32_e32 vcc, s15, v0
	s_and_b64 s[16:17], s[4:5], vcc
	s_waitcnt lgkmcnt(0)
	s_barrier
	s_and_saveexec_b64 s[12:13], s[16:17]
	s_cbranch_execz .LBB50_1030
; %bb.1038:                             ;   in Loop: Header=BB50_1031 Depth=1
	ds_read_b64 v[5:6], v8 offset:512
	ds_read_b64 v[10:11], v1 offset:41472
	s_waitcnt lgkmcnt(0)
	v_mul_f32_e32 v7, v11, v6
	v_mul_f32_e32 v6, v10, v6
	v_fma_f32 v7, v10, v5, -v7
	v_fmac_f32_e32 v6, v11, v5
	v_add_f32_e32 v2, v2, v7
	v_add_f32_e32 v3, v3, v6
	s_branch .LBB50_1030
.LBB50_1039:
	s_and_b64 vcc, exec, s[6:7]
	s_cbranch_vccz .LBB50_1043
; %bb.1040:
	s_and_b64 s[6:7], s[4:5], exec
	s_cbranch_execz .LBB50_1044
	s_branch .LBB50_1045
.LBB50_1041:
	s_or_b64 exec, exec, s[14:15]
	s_and_b64 vcc, exec, s[12:13]
	s_cbranch_vccnz .LBB50_1029
.LBB50_1042:
	v_mov_b32_e32 v3, v1
	v_mov_b32_e32 v2, v10
	s_and_saveexec_b64 s[4:5], s[10:11]
	s_cbranch_execnz .LBB50_1048
	s_branch .LBB50_1049
.LBB50_1043:
	s_mov_b64 s[6:7], 0
.LBB50_1044:
	v_cmp_gt_i32_e32 vcc, s9, v0
	s_and_b64 s[4:5], s[4:5], vcc
	s_andn2_b64 s[6:7], s[6:7], exec
	s_and_b64 s[4:5], s[4:5], exec
	s_or_b64 s[6:7], s[6:7], s[4:5]
.LBB50_1045:
                                        ; implicit-def: $vgpr6_vgpr7
	s_and_saveexec_b64 s[4:5], s[6:7]
	s_cbranch_execz .LBB50_1047
; %bb.1046:
	s_lshl_b32 s6, s8, 6
	s_ashr_i32 s7, s6, 31
	v_mov_b32_e32 v0, s7
	v_add_co_u32_e32 v1, vcc, s6, v9
	v_addc_co_u32_e32 v0, vcc, 0, v0, vcc
	v_mul_lo_u32 v0, v0, s50
	v_mul_lo_u32 v4, v1, s51
	v_mad_u64_u32 v[6:7], s[6:7], v1, s50, 0
	s_or_b64 s[10:11], s[10:11], exec
	v_add3_u32 v7, v7, v4, v0
.LBB50_1047:
	s_or_b64 exec, exec, s[4:5]
	s_and_saveexec_b64 s[4:5], s[10:11]
	s_cbranch_execz .LBB50_1049
.LBB50_1048:
	v_lshlrev_b64 v[0:1], 3, v[6:7]
	v_mov_b32_e32 v4, s35
	v_add_co_u32_e32 v0, vcc, s34, v0
	v_addc_co_u32_e32 v1, vcc, v4, v1, vcc
	global_store_dwordx2 v[0:1], v[2:3], off
.LBB50_1049:
	s_or_b64 exec, exec, s[4:5]
	v_cmp_eq_u32_e32 vcc, 0, v9
	s_waitcnt vmcnt(0)
	buffer_wbinvl1_vol
	s_barrier
	s_and_saveexec_b64 s[4:5], vcc
	s_cbranch_execz .LBB50_1051
; %bb.1050:
	s_lshl_b64 s[6:7], s[26:27], 2
	s_add_u32 s6, s18, s6
	s_addc_u32 s7, s19, s7
	v_mov_b32_e32 v0, 0
	global_load_dword v1, v0, s[6:7]
	s_waitcnt vmcnt(0)
	v_add_u32_e32 v1, 1, v1
	global_store_dword v0, v1, s[6:7]
.LBB50_1051:
	s_or_b64 exec, exec, s[4:5]
	s_waitcnt vmcnt(0)
	buffer_wbinvl1_vol
	s_endpgm
.LBB50_1052:
	ds_read_b64 v[15:16], v13 offset:31680
	ds_read_b64 v[17:18], v14 offset:31208
	s_waitcnt lgkmcnt(0)
	v_mul_f32_e32 v19, v18, v16
	v_mul_f32_e32 v16, v17, v16
	v_fma_f32 v17, v17, v15, -v19
	v_fmac_f32_e32 v16, v18, v15
	v_add_f32_e32 v2, v2, v17
	v_add_f32_e32 v3, v3, v16
	s_or_b64 exec, exec, s[18:19]
	v_cmp_gt_u32_e64 s[14:15], 8, v9
	s_and_saveexec_b64 s[18:19], s[14:15]
	s_cbranch_execz .LBB50_92
.LBB50_1053:
	ds_read_b64 v[15:16], v13 offset:32192
	ds_read_b64 v[13:14], v14 offset:31216
	s_waitcnt lgkmcnt(0)
	v_mul_f32_e32 v17, v14, v16
	v_mul_f32_e32 v16, v13, v16
	v_fma_f32 v13, v13, v15, -v17
	v_fmac_f32_e32 v16, v14, v15
	v_add_f32_e32 v2, v2, v13
	v_add_f32_e32 v3, v3, v16
	s_or_b64 exec, exec, s[18:19]
	v_cmp_gt_u32_e64 s[14:15], 4, v9
	s_and_saveexec_b64 s[18:19], s[14:15]
	s_cbranch_execnz .LBB50_93
	s_branch .LBB50_94
.LBB50_1054:
	ds_read_b64 v[18:19], v16 offset:29568
	ds_read_b64 v[20:21], v17 offset:29128
	s_waitcnt lgkmcnt(0)
	v_mul_f32_e32 v22, v21, v19
	v_mul_f32_e32 v19, v20, v19
	v_fma_f32 v20, v20, v18, -v22
	v_fmac_f32_e32 v19, v21, v18
	v_add_f32_e32 v2, v2, v20
	v_add_f32_e32 v3, v3, v19
	s_or_b64 exec, exec, s[20:21]
	v_cmp_gt_u32_e64 s[18:19], 48, v9
	s_and_saveexec_b64 s[20:21], s[18:19]
	s_cbranch_execz .LBB50_134
.LBB50_1055:
	ds_read_b64 v[18:19], v16 offset:30080
	ds_read_b64 v[20:21], v17 offset:29136
	s_waitcnt lgkmcnt(0)
	v_mul_f32_e32 v22, v21, v19
	v_mul_f32_e32 v19, v20, v19
	v_fma_f32 v20, v20, v18, -v22
	v_fmac_f32_e32 v19, v21, v18
	v_add_f32_e32 v2, v2, v20
	v_add_f32_e32 v3, v3, v19
	s_or_b64 exec, exec, s[20:21]
	v_cmp_gt_u32_e64 s[18:19], 40, v9
	s_and_saveexec_b64 s[20:21], s[18:19]
	s_cbranch_execz .LBB50_135
.LBB50_1056:
	ds_read_b64 v[18:19], v16 offset:30592
	ds_read_b64 v[20:21], v17 offset:29144
	s_waitcnt lgkmcnt(0)
	v_mul_f32_e32 v22, v21, v19
	v_mul_f32_e32 v19, v20, v19
	v_fma_f32 v20, v20, v18, -v22
	v_fmac_f32_e32 v19, v21, v18
	v_add_f32_e32 v2, v2, v20
	v_add_f32_e32 v3, v3, v19
	s_or_b64 exec, exec, s[20:21]
	v_cmp_gt_u32_e64 s[18:19], 32, v9
	s_and_saveexec_b64 s[20:21], s[18:19]
	s_cbranch_execz .LBB50_136
.LBB50_1057:
	ds_read_b64 v[18:19], v16 offset:31104
	ds_read_b64 v[20:21], v17 offset:29152
	s_waitcnt lgkmcnt(0)
	v_mul_f32_e32 v22, v21, v19
	v_mul_f32_e32 v19, v20, v19
	v_fma_f32 v20, v20, v18, -v22
	v_fmac_f32_e32 v19, v21, v18
	v_add_f32_e32 v2, v2, v20
	v_add_f32_e32 v3, v3, v19
	s_or_b64 exec, exec, s[20:21]
	v_cmp_gt_u32_e64 s[18:19], 24, v9
	s_and_saveexec_b64 s[20:21], s[18:19]
	s_cbranch_execz .LBB50_137
.LBB50_1058:
	ds_read_b64 v[18:19], v16 offset:31616
	ds_read_b64 v[20:21], v17 offset:29160
	s_waitcnt lgkmcnt(0)
	v_mul_f32_e32 v22, v21, v19
	v_mul_f32_e32 v19, v20, v19
	v_fma_f32 v20, v20, v18, -v22
	v_fmac_f32_e32 v19, v21, v18
	v_add_f32_e32 v2, v2, v20
	v_add_f32_e32 v3, v3, v19
	s_or_b64 exec, exec, s[20:21]
	s_and_saveexec_b64 s[18:19], s[10:11]
	s_cbranch_execz .LBB50_138
.LBB50_1059:
	ds_read_b64 v[18:19], v16 offset:32128
	ds_read_b64 v[16:17], v17 offset:29168
	s_waitcnt lgkmcnt(0)
	v_mul_f32_e32 v20, v17, v19
	v_mul_f32_e32 v19, v16, v19
	v_fma_f32 v16, v16, v18, -v20
	v_fmac_f32_e32 v19, v17, v18
	v_add_f32_e32 v2, v2, v16
	v_add_f32_e32 v3, v3, v19
	s_or_b64 exec, exec, s[18:19]
	v_cmp_gt_u32_e64 s[18:19], 8, v9
	s_and_saveexec_b64 s[20:21], s[18:19]
	s_cbranch_execnz .LBB50_139
	s_branch .LBB50_140
.LBB50_1060:
	ds_read_b64 v[18:19], v16 offset:27520
	ds_read_b64 v[20:21], v17 offset:27048
	s_waitcnt lgkmcnt(0)
	v_mul_f32_e32 v22, v21, v19
	v_mul_f32_e32 v19, v20, v19
	v_fma_f32 v20, v20, v18, -v22
	v_fmac_f32_e32 v19, v21, v18
	v_add_f32_e32 v2, v2, v20
	v_add_f32_e32 v3, v3, v19
	s_or_b64 exec, exec, s[18:19]
	v_cmp_gt_u32_e64 s[14:15], 8, v9
	s_and_saveexec_b64 s[18:19], s[14:15]
	s_cbranch_execz .LBB50_196
.LBB50_1061:
	ds_read_b64 v[18:19], v16 offset:28032
	ds_read_b64 v[16:17], v17 offset:27056
	s_waitcnt lgkmcnt(0)
	v_mul_f32_e32 v20, v17, v19
	v_mul_f32_e32 v19, v16, v19
	v_fma_f32 v16, v16, v18, -v20
	v_fmac_f32_e32 v19, v17, v18
	v_add_f32_e32 v2, v2, v16
	v_add_f32_e32 v3, v3, v19
	s_or_b64 exec, exec, s[18:19]
	v_cmp_gt_u32_e64 s[14:15], 4, v9
	s_and_saveexec_b64 s[18:19], s[14:15]
	s_cbranch_execnz .LBB50_197
	s_branch .LBB50_198
.LBB50_1062:
	ds_read_b64 v[21:22], v19 offset:30464
	ds_read_b64 v[23:24], v20 offset:25048
	s_waitcnt lgkmcnt(0)
	v_mul_f32_e32 v25, v24, v22
	v_mul_f32_e32 v22, v23, v22
	v_fma_f32 v23, v23, v21, -v25
	v_fmac_f32_e32 v22, v24, v21
	v_add_f32_e32 v2, v2, v23
	v_add_f32_e32 v3, v3, v22
	s_or_b64 exec, exec, s[24:25]
	s_and_saveexec_b64 s[20:21], s[12:13]
	s_cbranch_execz .LBB50_258
.LBB50_1063:
	ds_read_b64 v[21:22], v19 offset:30976
	ds_read_b64 v[23:24], v20 offset:25056
	s_waitcnt lgkmcnt(0)
	v_mul_f32_e32 v25, v24, v22
	v_mul_f32_e32 v22, v23, v22
	v_fma_f32 v23, v23, v21, -v25
	v_fmac_f32_e32 v22, v24, v21
	v_add_f32_e32 v2, v2, v23
	v_add_f32_e32 v3, v3, v22
	s_or_b64 exec, exec, s[20:21]
	v_cmp_gt_u32_e64 s[20:21], 48, v9
	s_and_saveexec_b64 s[24:25], s[20:21]
	s_cbranch_execz .LBB50_259
.LBB50_1064:
	ds_read_b64 v[21:22], v19 offset:31488
	ds_read_b64 v[23:24], v20 offset:25064
	s_waitcnt lgkmcnt(0)
	v_mul_f32_e32 v25, v24, v22
	v_mul_f32_e32 v22, v23, v22
	v_fma_f32 v23, v23, v21, -v25
	v_fmac_f32_e32 v22, v24, v21
	v_add_f32_e32 v2, v2, v23
	v_add_f32_e32 v3, v3, v22
	s_or_b64 exec, exec, s[24:25]
	v_cmp_gt_u32_e64 s[20:21], 32, v9
	s_and_saveexec_b64 s[24:25], s[20:21]
	s_cbranch_execz .LBB50_260
.LBB50_1065:
	ds_read_b64 v[21:22], v19 offset:32000
	ds_read_b64 v[19:20], v20 offset:25072
	s_waitcnt lgkmcnt(0)
	v_mul_f32_e32 v23, v20, v22
	v_mul_f32_e32 v22, v19, v22
	v_fma_f32 v19, v19, v21, -v23
	v_fmac_f32_e32 v22, v20, v21
	v_add_f32_e32 v2, v2, v19
	v_add_f32_e32 v3, v3, v22
	s_or_b64 exec, exec, s[24:25]
	v_cmp_gt_u32_e64 s[20:21], 16, v9
	s_and_saveexec_b64 s[24:25], s[20:21]
	s_cbranch_execnz .LBB50_261
	s_branch .LBB50_262
.LBB50_1066:
	ds_read_b64 v[21:22], v19 offset:23360
	ds_read_b64 v[23:24], v20 offset:22888
	s_waitcnt lgkmcnt(0)
	v_mul_f32_e32 v25, v24, v22
	v_mul_f32_e32 v22, v23, v22
	v_fma_f32 v23, v23, v21, -v25
	v_fmac_f32_e32 v22, v24, v21
	v_add_f32_e32 v2, v2, v23
	v_add_f32_e32 v3, v3, v22
	s_or_b64 exec, exec, s[24:25]
	v_cmp_gt_u32_e64 s[18:19], 8, v9
	s_and_saveexec_b64 s[24:25], s[18:19]
	s_cbranch_execz .LBB50_350
.LBB50_1067:
	ds_read_b64 v[21:22], v19 offset:23872
	ds_read_b64 v[19:20], v20 offset:22896
	s_waitcnt lgkmcnt(0)
	v_mul_f32_e32 v23, v20, v22
	v_mul_f32_e32 v22, v19, v22
	v_fma_f32 v19, v19, v21, -v23
	v_fmac_f32_e32 v22, v20, v21
	v_add_f32_e32 v2, v2, v19
	v_add_f32_e32 v3, v3, v22
	s_or_b64 exec, exec, s[24:25]
	v_cmp_gt_u32_e64 s[18:19], 4, v9
	s_and_saveexec_b64 s[24:25], s[18:19]
	s_cbranch_execnz .LBB50_351
	s_branch .LBB50_352
.LBB50_1068:
	ds_read_b64 v[21:22], v19 offset:21248
	ds_read_b64 v[23:24], v20 offset:20808
	s_waitcnt lgkmcnt(0)
	v_mul_f32_e32 v25, v24, v22
	v_mul_f32_e32 v22, v23, v22
	v_fma_f32 v23, v23, v21, -v25
	v_fmac_f32_e32 v22, v24, v21
	v_add_f32_e32 v2, v2, v23
	v_add_f32_e32 v3, v3, v22
	s_or_b64 exec, exec, s[24:25]
	v_cmp_gt_u32_e64 s[18:19], 48, v9
	s_and_saveexec_b64 s[24:25], s[18:19]
	s_cbranch_execz .LBB50_392
.LBB50_1069:
	ds_read_b64 v[21:22], v19 offset:21760
	ds_read_b64 v[23:24], v20 offset:20816
	s_waitcnt lgkmcnt(0)
	v_mul_f32_e32 v25, v24, v22
	v_mul_f32_e32 v22, v23, v22
	v_fma_f32 v23, v23, v21, -v25
	v_fmac_f32_e32 v22, v24, v21
	v_add_f32_e32 v2, v2, v23
	v_add_f32_e32 v3, v3, v22
	s_or_b64 exec, exec, s[24:25]
	v_cmp_gt_u32_e64 s[18:19], 40, v9
	s_and_saveexec_b64 s[24:25], s[18:19]
	s_cbranch_execz .LBB50_393
.LBB50_1070:
	ds_read_b64 v[21:22], v19 offset:22272
	ds_read_b64 v[23:24], v20 offset:20824
	s_waitcnt lgkmcnt(0)
	v_mul_f32_e32 v25, v24, v22
	v_mul_f32_e32 v22, v23, v22
	v_fma_f32 v23, v23, v21, -v25
	v_fmac_f32_e32 v22, v24, v21
	v_add_f32_e32 v2, v2, v23
	v_add_f32_e32 v3, v3, v22
	s_or_b64 exec, exec, s[24:25]
	v_cmp_gt_u32_e64 s[18:19], 32, v9
	s_and_saveexec_b64 s[24:25], s[18:19]
	s_cbranch_execz .LBB50_394
.LBB50_1071:
	ds_read_b64 v[21:22], v19 offset:22784
	ds_read_b64 v[23:24], v20 offset:20832
	s_waitcnt lgkmcnt(0)
	v_mul_f32_e32 v25, v24, v22
	v_mul_f32_e32 v22, v23, v22
	v_fma_f32 v23, v23, v21, -v25
	v_fmac_f32_e32 v22, v24, v21
	v_add_f32_e32 v2, v2, v23
	v_add_f32_e32 v3, v3, v22
	s_or_b64 exec, exec, s[24:25]
	v_cmp_gt_u32_e64 s[18:19], 24, v9
	s_and_saveexec_b64 s[24:25], s[18:19]
	s_cbranch_execz .LBB50_395
.LBB50_1072:
	ds_read_b64 v[21:22], v19 offset:23296
	ds_read_b64 v[23:24], v20 offset:20840
	s_waitcnt lgkmcnt(0)
	v_mul_f32_e32 v25, v24, v22
	v_mul_f32_e32 v22, v23, v22
	v_fma_f32 v23, v23, v21, -v25
	v_fmac_f32_e32 v22, v24, v21
	v_add_f32_e32 v2, v2, v23
	v_add_f32_e32 v3, v3, v22
	s_or_b64 exec, exec, s[24:25]
	s_and_saveexec_b64 s[18:19], s[10:11]
	s_cbranch_execz .LBB50_396
.LBB50_1073:
	ds_read_b64 v[21:22], v19 offset:23808
	ds_read_b64 v[19:20], v20 offset:20848
	s_waitcnt lgkmcnt(0)
	v_mul_f32_e32 v23, v20, v22
	v_mul_f32_e32 v22, v19, v22
	v_fma_f32 v19, v19, v21, -v23
	v_fmac_f32_e32 v22, v20, v21
	v_add_f32_e32 v2, v2, v19
	v_add_f32_e32 v3, v3, v22
	s_or_b64 exec, exec, s[18:19]
	v_cmp_gt_u32_e64 s[18:19], 8, v9
	s_and_saveexec_b64 s[24:25], s[18:19]
	s_cbranch_execnz .LBB50_397
	s_branch .LBB50_398
.LBB50_1074:
	ds_read_b64 v[21:22], v19 offset:19200
	ds_read_b64 v[23:24], v20 offset:18728
	s_waitcnt lgkmcnt(0)
	v_mul_f32_e32 v25, v24, v22
	v_mul_f32_e32 v22, v23, v22
	v_fma_f32 v23, v23, v21, -v25
	v_fmac_f32_e32 v22, v24, v21
	v_add_f32_e32 v2, v2, v23
	v_add_f32_e32 v3, v3, v22
	s_or_b64 exec, exec, s[24:25]
	v_cmp_gt_u32_e64 s[18:19], 8, v9
	s_and_saveexec_b64 s[24:25], s[18:19]
	s_cbranch_execz .LBB50_454
.LBB50_1075:
	ds_read_b64 v[21:22], v19 offset:19712
	ds_read_b64 v[19:20], v20 offset:18736
	s_waitcnt lgkmcnt(0)
	v_mul_f32_e32 v23, v20, v22
	v_mul_f32_e32 v22, v19, v22
	v_fma_f32 v19, v19, v21, -v23
	v_fmac_f32_e32 v22, v20, v21
	v_add_f32_e32 v2, v2, v19
	v_add_f32_e32 v3, v3, v22
	s_or_b64 exec, exec, s[24:25]
	v_cmp_gt_u32_e64 s[18:19], 4, v9
	s_and_saveexec_b64 s[24:25], s[18:19]
	s_cbranch_execnz .LBB50_455
	s_branch .LBB50_456
.LBB50_1076:
	ds_read_b64 v[24:25], v22 offset:31232
	ds_read_b64 v[26:27], v23 offset:16872
	s_waitcnt lgkmcnt(0)
	v_mul_f32_e32 v28, v27, v25
	v_mul_f32_e32 v25, v26, v25
	v_fma_f32 v26, v26, v24, -v28
	v_fmac_f32_e32 v25, v27, v24
	v_add_f32_e32 v2, v2, v26
	v_add_f32_e32 v3, v3, v25
	s_or_b64 exec, exec, s[96:97]
	s_and_saveexec_b64 s[24:25], s[12:13]
	s_cbranch_execz .LBB50_552
.LBB50_1077:
	ds_read_b64 v[24:25], v22 offset:31744
	ds_read_b64 v[26:27], v23 offset:16880
	s_waitcnt lgkmcnt(0)
	v_mul_f32_e32 v28, v27, v25
	v_mul_f32_e32 v25, v26, v25
	v_fma_f32 v26, v26, v24, -v28
	v_fmac_f32_e32 v25, v27, v24
	v_add_f32_e32 v2, v2, v26
	v_add_f32_e32 v3, v3, v25
	s_or_b64 exec, exec, s[24:25]
	v_cmp_gt_u32_e64 s[24:25], 32, v9
	s_and_saveexec_b64 s[96:97], s[24:25]
	s_cbranch_execnz .LBB50_553
	s_branch .LBB50_554
.LBB50_1078:
	ds_read_b64 v[21:22], v19 offset:15040
	ds_read_b64 v[23:24], v20 offset:14568
	s_waitcnt lgkmcnt(0)
	v_mul_f32_e32 v25, v24, v22
	v_mul_f32_e32 v22, v23, v22
	v_fma_f32 v23, v23, v21, -v25
	v_fmac_f32_e32 v22, v24, v21
	v_add_f32_e32 v2, v2, v23
	v_add_f32_e32 v3, v3, v22
	s_or_b64 exec, exec, s[20:21]
	v_cmp_gt_u32_e64 s[16:17], 8, v9
	s_and_saveexec_b64 s[20:21], s[16:17]
	s_cbranch_execz .LBB50_590
.LBB50_1079:
	ds_read_b64 v[21:22], v19 offset:15552
	ds_read_b64 v[19:20], v20 offset:14576
	s_waitcnt lgkmcnt(0)
	v_mul_f32_e32 v23, v20, v22
	v_mul_f32_e32 v22, v19, v22
	v_fma_f32 v19, v19, v21, -v23
	v_fmac_f32_e32 v22, v20, v21
	v_add_f32_e32 v2, v2, v19
	v_add_f32_e32 v3, v3, v22
	s_or_b64 exec, exec, s[20:21]
	v_cmp_gt_u32_e64 s[16:17], 4, v9
	s_and_saveexec_b64 s[20:21], s[16:17]
	s_cbranch_execnz .LBB50_591
	s_branch .LBB50_592
.LBB50_1080:
	ds_read_b64 v[21:22], v19 offset:12928
	ds_read_b64 v[23:24], v20 offset:12488
	s_waitcnt lgkmcnt(0)
	v_mul_f32_e32 v25, v24, v22
	v_mul_f32_e32 v22, v23, v22
	v_fma_f32 v23, v23, v21, -v25
	v_fmac_f32_e32 v22, v24, v21
	v_add_f32_e32 v2, v2, v23
	v_add_f32_e32 v3, v3, v22
	s_or_b64 exec, exec, s[20:21]
	v_cmp_gt_u32_e64 s[16:17], 48, v9
	s_and_saveexec_b64 s[20:21], s[16:17]
	s_cbranch_execz .LBB50_632
.LBB50_1081:
	ds_read_b64 v[21:22], v19 offset:13440
	ds_read_b64 v[23:24], v20 offset:12496
	s_waitcnt lgkmcnt(0)
	v_mul_f32_e32 v25, v24, v22
	v_mul_f32_e32 v22, v23, v22
	v_fma_f32 v23, v23, v21, -v25
	v_fmac_f32_e32 v22, v24, v21
	v_add_f32_e32 v2, v2, v23
	v_add_f32_e32 v3, v3, v22
	s_or_b64 exec, exec, s[20:21]
	v_cmp_gt_u32_e64 s[16:17], 40, v9
	s_and_saveexec_b64 s[20:21], s[16:17]
	s_cbranch_execz .LBB50_633
.LBB50_1082:
	ds_read_b64 v[21:22], v19 offset:13952
	ds_read_b64 v[23:24], v20 offset:12504
	s_waitcnt lgkmcnt(0)
	v_mul_f32_e32 v25, v24, v22
	v_mul_f32_e32 v22, v23, v22
	v_fma_f32 v23, v23, v21, -v25
	v_fmac_f32_e32 v22, v24, v21
	v_add_f32_e32 v2, v2, v23
	v_add_f32_e32 v3, v3, v22
	s_or_b64 exec, exec, s[20:21]
	v_cmp_gt_u32_e64 s[16:17], 32, v9
	s_and_saveexec_b64 s[20:21], s[16:17]
	s_cbranch_execz .LBB50_634
.LBB50_1083:
	ds_read_b64 v[21:22], v19 offset:14464
	ds_read_b64 v[23:24], v20 offset:12512
	s_waitcnt lgkmcnt(0)
	v_mul_f32_e32 v25, v24, v22
	v_mul_f32_e32 v22, v23, v22
	v_fma_f32 v23, v23, v21, -v25
	v_fmac_f32_e32 v22, v24, v21
	v_add_f32_e32 v2, v2, v23
	v_add_f32_e32 v3, v3, v22
	s_or_b64 exec, exec, s[20:21]
	v_cmp_gt_u32_e64 s[16:17], 24, v9
	s_and_saveexec_b64 s[20:21], s[16:17]
	s_cbranch_execz .LBB50_635
.LBB50_1084:
	ds_read_b64 v[21:22], v19 offset:14976
	ds_read_b64 v[23:24], v20 offset:12520
	s_waitcnt lgkmcnt(0)
	v_mul_f32_e32 v25, v24, v22
	v_mul_f32_e32 v22, v23, v22
	v_fma_f32 v23, v23, v21, -v25
	v_fmac_f32_e32 v22, v24, v21
	v_add_f32_e32 v2, v2, v23
	v_add_f32_e32 v3, v3, v22
	s_or_b64 exec, exec, s[20:21]
	s_and_saveexec_b64 s[16:17], s[10:11]
	s_cbranch_execz .LBB50_636
.LBB50_1085:
	ds_read_b64 v[21:22], v19 offset:15488
	ds_read_b64 v[19:20], v20 offset:12528
	s_waitcnt lgkmcnt(0)
	v_mul_f32_e32 v23, v20, v22
	v_mul_f32_e32 v22, v19, v22
	v_fma_f32 v19, v19, v21, -v23
	v_fmac_f32_e32 v22, v20, v21
	v_add_f32_e32 v2, v2, v19
	v_add_f32_e32 v3, v3, v22
	s_or_b64 exec, exec, s[16:17]
	v_cmp_gt_u32_e64 s[16:17], 8, v9
	s_and_saveexec_b64 s[20:21], s[16:17]
	s_cbranch_execnz .LBB50_637
	s_branch .LBB50_638
.LBB50_1086:
	ds_read_b64 v[21:22], v19 offset:10880
	ds_read_b64 v[23:24], v20 offset:10408
	s_waitcnt lgkmcnt(0)
	v_mul_f32_e32 v25, v24, v22
	v_mul_f32_e32 v22, v23, v22
	v_fma_f32 v23, v23, v21, -v25
	v_fmac_f32_e32 v22, v24, v21
	v_add_f32_e32 v2, v2, v23
	v_add_f32_e32 v3, v3, v22
	s_or_b64 exec, exec, s[20:21]
	v_cmp_gt_u32_e64 s[16:17], 8, v9
	s_and_saveexec_b64 s[20:21], s[16:17]
	s_cbranch_execz .LBB50_694
.LBB50_1087:
	ds_read_b64 v[21:22], v19 offset:11392
	ds_read_b64 v[19:20], v20 offset:10416
	s_waitcnt lgkmcnt(0)
	v_mul_f32_e32 v23, v20, v22
	v_mul_f32_e32 v22, v19, v22
	v_fma_f32 v19, v19, v21, -v23
	v_fmac_f32_e32 v22, v20, v21
	v_add_f32_e32 v2, v2, v19
	v_add_f32_e32 v3, v3, v22
	s_or_b64 exec, exec, s[20:21]
	v_cmp_gt_u32_e64 s[16:17], 4, v9
	s_and_saveexec_b64 s[20:21], s[16:17]
	s_cbranch_execnz .LBB50_695
	s_branch .LBB50_696
.LBB50_1088:
	ds_read_b64 v[21:22], v19 offset:13824
	ds_read_b64 v[23:24], v20 offset:8408
	s_waitcnt lgkmcnt(0)
	v_mul_f32_e32 v25, v24, v22
	v_mul_f32_e32 v22, v23, v22
	v_fma_f32 v23, v23, v21, -v25
	v_fmac_f32_e32 v22, v24, v21
	v_add_f32_e32 v2, v2, v23
	v_add_f32_e32 v3, v3, v22
	s_or_b64 exec, exec, s[20:21]
	s_and_saveexec_b64 s[16:17], s[12:13]
	s_cbranch_execz .LBB50_756
.LBB50_1089:
	ds_read_b64 v[21:22], v19 offset:14336
	ds_read_b64 v[23:24], v20 offset:8416
	s_waitcnt lgkmcnt(0)
	v_mul_f32_e32 v25, v24, v22
	v_mul_f32_e32 v22, v23, v22
	v_fma_f32 v23, v23, v21, -v25
	v_fmac_f32_e32 v22, v24, v21
	v_add_f32_e32 v2, v2, v23
	v_add_f32_e32 v3, v3, v22
	s_or_b64 exec, exec, s[16:17]
	v_cmp_gt_u32_e64 s[16:17], 48, v9
	s_and_saveexec_b64 s[20:21], s[16:17]
	s_cbranch_execz .LBB50_757
.LBB50_1090:
	ds_read_b64 v[21:22], v19 offset:14848
	ds_read_b64 v[23:24], v20 offset:8424
	s_waitcnt lgkmcnt(0)
	v_mul_f32_e32 v25, v24, v22
	v_mul_f32_e32 v22, v23, v22
	v_fma_f32 v23, v23, v21, -v25
	v_fmac_f32_e32 v22, v24, v21
	v_add_f32_e32 v2, v2, v23
	v_add_f32_e32 v3, v3, v22
	s_or_b64 exec, exec, s[20:21]
	v_cmp_gt_u32_e64 s[16:17], 32, v9
	s_and_saveexec_b64 s[20:21], s[16:17]
	s_cbranch_execz .LBB50_758
.LBB50_1091:
	ds_read_b64 v[21:22], v19 offset:15360
	ds_read_b64 v[19:20], v20 offset:8432
	s_waitcnt lgkmcnt(0)
	v_mul_f32_e32 v23, v20, v22
	v_mul_f32_e32 v22, v19, v22
	v_fma_f32 v19, v19, v21, -v23
	v_fmac_f32_e32 v22, v20, v21
	v_add_f32_e32 v2, v2, v19
	v_add_f32_e32 v3, v3, v22
	s_or_b64 exec, exec, s[20:21]
	v_cmp_gt_u32_e64 s[16:17], 16, v9
	s_and_saveexec_b64 s[20:21], s[16:17]
	s_cbranch_execnz .LBB50_759
	s_branch .LBB50_760
.LBB50_1092:
	ds_read_b64 v[18:19], v16 offset:6720
	ds_read_b64 v[20:21], v17 offset:6248
	s_waitcnt lgkmcnt(0)
	v_mul_f32_e32 v22, v21, v19
	v_mul_f32_e32 v19, v20, v19
	v_fma_f32 v20, v20, v18, -v22
	v_fmac_f32_e32 v19, v21, v18
	v_add_f32_e32 v2, v2, v20
	v_add_f32_e32 v3, v3, v19
	s_or_b64 exec, exec, s[16:17]
	v_cmp_gt_u32_e64 s[14:15], 8, v9
	s_and_saveexec_b64 s[16:17], s[14:15]
	s_cbranch_execz .LBB50_848
.LBB50_1093:
	ds_read_b64 v[18:19], v16 offset:7232
	ds_read_b64 v[16:17], v17 offset:6256
	s_waitcnt lgkmcnt(0)
	v_mul_f32_e32 v20, v17, v19
	v_mul_f32_e32 v19, v16, v19
	v_fma_f32 v16, v16, v18, -v20
	v_fmac_f32_e32 v19, v17, v18
	v_add_f32_e32 v2, v2, v16
	v_add_f32_e32 v3, v3, v19
	s_or_b64 exec, exec, s[16:17]
	v_cmp_gt_u32_e64 s[14:15], 4, v9
	s_and_saveexec_b64 s[16:17], s[14:15]
	s_cbranch_execnz .LBB50_849
	s_branch .LBB50_850
.LBB50_1094:
	ds_read_b64 v[18:19], v16 offset:4608
	ds_read_b64 v[20:21], v17 offset:4168
	s_waitcnt lgkmcnt(0)
	v_mul_f32_e32 v22, v21, v19
	v_mul_f32_e32 v19, v20, v19
	v_fma_f32 v20, v20, v18, -v22
	v_fmac_f32_e32 v19, v21, v18
	v_add_f32_e32 v2, v2, v20
	v_add_f32_e32 v3, v3, v19
	s_or_b64 exec, exec, s[16:17]
	v_cmp_gt_u32_e64 s[14:15], 48, v9
	s_and_saveexec_b64 s[16:17], s[14:15]
	s_cbranch_execz .LBB50_890
.LBB50_1095:
	ds_read_b64 v[18:19], v16 offset:5120
	ds_read_b64 v[20:21], v17 offset:4176
	s_waitcnt lgkmcnt(0)
	v_mul_f32_e32 v22, v21, v19
	v_mul_f32_e32 v19, v20, v19
	v_fma_f32 v20, v20, v18, -v22
	v_fmac_f32_e32 v19, v21, v18
	v_add_f32_e32 v2, v2, v20
	v_add_f32_e32 v3, v3, v19
	s_or_b64 exec, exec, s[16:17]
	v_cmp_gt_u32_e64 s[14:15], 40, v9
	s_and_saveexec_b64 s[16:17], s[14:15]
	s_cbranch_execz .LBB50_891
.LBB50_1096:
	ds_read_b64 v[18:19], v16 offset:5632
	ds_read_b64 v[20:21], v17 offset:4184
	s_waitcnt lgkmcnt(0)
	v_mul_f32_e32 v22, v21, v19
	v_mul_f32_e32 v19, v20, v19
	v_fma_f32 v20, v20, v18, -v22
	v_fmac_f32_e32 v19, v21, v18
	v_add_f32_e32 v2, v2, v20
	v_add_f32_e32 v3, v3, v19
	s_or_b64 exec, exec, s[16:17]
	v_cmp_gt_u32_e64 s[14:15], 32, v9
	s_and_saveexec_b64 s[16:17], s[14:15]
	s_cbranch_execz .LBB50_892
.LBB50_1097:
	ds_read_b64 v[18:19], v16 offset:6144
	ds_read_b64 v[20:21], v17 offset:4192
	s_waitcnt lgkmcnt(0)
	v_mul_f32_e32 v22, v21, v19
	v_mul_f32_e32 v19, v20, v19
	v_fma_f32 v20, v20, v18, -v22
	v_fmac_f32_e32 v19, v21, v18
	v_add_f32_e32 v2, v2, v20
	v_add_f32_e32 v3, v3, v19
	s_or_b64 exec, exec, s[16:17]
	v_cmp_gt_u32_e64 s[14:15], 24, v9
	s_and_saveexec_b64 s[16:17], s[14:15]
	s_cbranch_execz .LBB50_893
.LBB50_1098:
	ds_read_b64 v[18:19], v16 offset:6656
	ds_read_b64 v[20:21], v17 offset:4200
	s_waitcnt lgkmcnt(0)
	v_mul_f32_e32 v22, v21, v19
	v_mul_f32_e32 v19, v20, v19
	v_fma_f32 v20, v20, v18, -v22
	v_fmac_f32_e32 v19, v21, v18
	v_add_f32_e32 v2, v2, v20
	v_add_f32_e32 v3, v3, v19
	s_or_b64 exec, exec, s[16:17]
	s_and_saveexec_b64 s[14:15], s[10:11]
	s_cbranch_execz .LBB50_894
.LBB50_1099:
	ds_read_b64 v[18:19], v16 offset:7168
	ds_read_b64 v[16:17], v17 offset:4208
	s_waitcnt lgkmcnt(0)
	v_mul_f32_e32 v20, v17, v19
	v_mul_f32_e32 v19, v16, v19
	v_fma_f32 v16, v16, v18, -v20
	v_fmac_f32_e32 v19, v17, v18
	v_add_f32_e32 v2, v2, v16
	v_add_f32_e32 v3, v3, v19
	s_or_b64 exec, exec, s[14:15]
	v_cmp_gt_u32_e64 s[14:15], 8, v9
	s_and_saveexec_b64 s[16:17], s[14:15]
	s_cbranch_execnz .LBB50_895
	s_branch .LBB50_896
.LBB50_1100:
	ds_read_b64 v[15:16], v13 offset:2560
	ds_read_b64 v[17:18], v14 offset:2088
	s_waitcnt lgkmcnt(0)
	v_mul_f32_e32 v19, v18, v16
	v_mul_f32_e32 v16, v17, v16
	v_fma_f32 v17, v17, v15, -v19
	v_fmac_f32_e32 v16, v18, v15
	v_add_f32_e32 v2, v2, v17
	v_add_f32_e32 v3, v3, v16
	s_or_b64 exec, exec, s[14:15]
	v_cmp_gt_u32_e64 s[12:13], 8, v9
	s_and_saveexec_b64 s[14:15], s[12:13]
	s_cbranch_execz .LBB50_952
.LBB50_1101:
	ds_read_b64 v[15:16], v13 offset:3072
	ds_read_b64 v[13:14], v14 offset:2096
	s_waitcnt lgkmcnt(0)
	v_mul_f32_e32 v17, v14, v16
	v_mul_f32_e32 v16, v13, v16
	v_fma_f32 v13, v13, v15, -v17
	v_fmac_f32_e32 v16, v14, v15
	v_add_f32_e32 v2, v2, v13
	v_add_f32_e32 v3, v3, v16
	s_or_b64 exec, exec, s[14:15]
	v_cmp_gt_u32_e64 s[12:13], 4, v9
	s_and_saveexec_b64 s[14:15], s[12:13]
	s_cbranch_execnz .LBB50_953
	s_branch .LBB50_954
	.section	.rodata,"a",@progbits
	.p2align	6, 0x0
	.amdhsa_kernel _ZL19rocblas_trsv_deviceILi64ELi16ELb0ELb1ELb0ELb1E19rocblas_complex_numIfEPKS1_S3_PS1_EviT7_lllT6_T8_lllPii
		.amdhsa_group_segment_fixed_size 41480
		.amdhsa_private_segment_fixed_size 48
		.amdhsa_kernarg_size 352
		.amdhsa_user_sgpr_count 8
		.amdhsa_user_sgpr_private_segment_buffer 1
		.amdhsa_user_sgpr_dispatch_ptr 0
		.amdhsa_user_sgpr_queue_ptr 0
		.amdhsa_user_sgpr_kernarg_segment_ptr 1
		.amdhsa_user_sgpr_dispatch_id 0
		.amdhsa_user_sgpr_flat_scratch_init 1
		.amdhsa_user_sgpr_private_segment_size 0
		.amdhsa_uses_dynamic_stack 0
		.amdhsa_system_sgpr_private_segment_wavefront_offset 1
		.amdhsa_system_sgpr_workgroup_id_x 1
		.amdhsa_system_sgpr_workgroup_id_y 0
		.amdhsa_system_sgpr_workgroup_id_z 1
		.amdhsa_system_sgpr_workgroup_info 0
		.amdhsa_system_vgpr_workitem_id 1
		.amdhsa_next_free_vgpr 49
		.amdhsa_next_free_sgpr 100
		.amdhsa_reserve_vcc 1
		.amdhsa_reserve_flat_scratch 1
		.amdhsa_float_round_mode_32 0
		.amdhsa_float_round_mode_16_64 0
		.amdhsa_float_denorm_mode_32 3
		.amdhsa_float_denorm_mode_16_64 3
		.amdhsa_dx10_clamp 1
		.amdhsa_ieee_mode 1
		.amdhsa_fp16_overflow 0
		.amdhsa_exception_fp_ieee_invalid_op 0
		.amdhsa_exception_fp_denorm_src 0
		.amdhsa_exception_fp_ieee_div_zero 0
		.amdhsa_exception_fp_ieee_overflow 0
		.amdhsa_exception_fp_ieee_underflow 0
		.amdhsa_exception_fp_ieee_inexact 0
		.amdhsa_exception_int_div_zero 0
	.end_amdhsa_kernel
	.section	.text._ZL19rocblas_trsv_deviceILi64ELi16ELb0ELb1ELb0ELb1E19rocblas_complex_numIfEPKS1_S3_PS1_EviT7_lllT6_T8_lllPii,"axG",@progbits,_ZL19rocblas_trsv_deviceILi64ELi16ELb0ELb1ELb0ELb1E19rocblas_complex_numIfEPKS1_S3_PS1_EviT7_lllT6_T8_lllPii,comdat
.Lfunc_end50:
	.size	_ZL19rocblas_trsv_deviceILi64ELi16ELb0ELb1ELb0ELb1E19rocblas_complex_numIfEPKS1_S3_PS1_EviT7_lllT6_T8_lllPii, .Lfunc_end50-_ZL19rocblas_trsv_deviceILi64ELi16ELb0ELb1ELb0ELb1E19rocblas_complex_numIfEPKS1_S3_PS1_EviT7_lllT6_T8_lllPii
                                        ; -- End function
	.set _ZL19rocblas_trsv_deviceILi64ELi16ELb0ELb1ELb0ELb1E19rocblas_complex_numIfEPKS1_S3_PS1_EviT7_lllT6_T8_lllPii.num_vgpr, 30
	.set _ZL19rocblas_trsv_deviceILi64ELi16ELb0ELb1ELb0ELb1E19rocblas_complex_numIfEPKS1_S3_PS1_EviT7_lllT6_T8_lllPii.num_agpr, 0
	.set _ZL19rocblas_trsv_deviceILi64ELi16ELb0ELb1ELb0ELb1E19rocblas_complex_numIfEPKS1_S3_PS1_EviT7_lllT6_T8_lllPii.numbered_sgpr, 100
	.set _ZL19rocblas_trsv_deviceILi64ELi16ELb0ELb1ELb0ELb1E19rocblas_complex_numIfEPKS1_S3_PS1_EviT7_lllT6_T8_lllPii.num_named_barrier, 0
	.set _ZL19rocblas_trsv_deviceILi64ELi16ELb0ELb1ELb0ELb1E19rocblas_complex_numIfEPKS1_S3_PS1_EviT7_lllT6_T8_lllPii.private_seg_size, 48
	.set _ZL19rocblas_trsv_deviceILi64ELi16ELb0ELb1ELb0ELb1E19rocblas_complex_numIfEPKS1_S3_PS1_EviT7_lllT6_T8_lllPii.uses_vcc, 1
	.set _ZL19rocblas_trsv_deviceILi64ELi16ELb0ELb1ELb0ELb1E19rocblas_complex_numIfEPKS1_S3_PS1_EviT7_lllT6_T8_lllPii.uses_flat_scratch, 1
	.set _ZL19rocblas_trsv_deviceILi64ELi16ELb0ELb1ELb0ELb1E19rocblas_complex_numIfEPKS1_S3_PS1_EviT7_lllT6_T8_lllPii.has_dyn_sized_stack, 0
	.set _ZL19rocblas_trsv_deviceILi64ELi16ELb0ELb1ELb0ELb1E19rocblas_complex_numIfEPKS1_S3_PS1_EviT7_lllT6_T8_lllPii.has_recursion, 0
	.set _ZL19rocblas_trsv_deviceILi64ELi16ELb0ELb1ELb0ELb1E19rocblas_complex_numIfEPKS1_S3_PS1_EviT7_lllT6_T8_lllPii.has_indirect_call, 0
	.section	.AMDGPU.csdata,"",@progbits
; Kernel info:
; codeLenInByte = 40196
; TotalNumSgprs: 106
; NumVgprs: 30
; ScratchSize: 48
; MemoryBound: 1
; FloatMode: 240
; IeeeMode: 1
; LDSByteSize: 41480 bytes/workgroup (compile time only)
; SGPRBlocks: 13
; VGPRBlocks: 12
; NumSGPRsForWavesPerEU: 106
; NumVGPRsForWavesPerEU: 49
; Occupancy: 4
; WaveLimiterHint : 0
; COMPUTE_PGM_RSRC2:SCRATCH_EN: 1
; COMPUTE_PGM_RSRC2:USER_SGPR: 8
; COMPUTE_PGM_RSRC2:TRAP_HANDLER: 0
; COMPUTE_PGM_RSRC2:TGID_X_EN: 1
; COMPUTE_PGM_RSRC2:TGID_Y_EN: 0
; COMPUTE_PGM_RSRC2:TGID_Z_EN: 1
; COMPUTE_PGM_RSRC2:TIDIG_COMP_CNT: 1
	.section	.text._ZL19rocblas_trsv_deviceILi64ELi16ELb0ELb1ELb1ELb1E19rocblas_complex_numIfEPKS1_S3_PS1_EviT7_lllT6_T8_lllPii,"axG",@progbits,_ZL19rocblas_trsv_deviceILi64ELi16ELb0ELb1ELb1ELb1E19rocblas_complex_numIfEPKS1_S3_PS1_EviT7_lllT6_T8_lllPii,comdat
	.globl	_ZL19rocblas_trsv_deviceILi64ELi16ELb0ELb1ELb1ELb1E19rocblas_complex_numIfEPKS1_S3_PS1_EviT7_lllT6_T8_lllPii ; -- Begin function _ZL19rocblas_trsv_deviceILi64ELi16ELb0ELb1ELb1ELb1E19rocblas_complex_numIfEPKS1_S3_PS1_EviT7_lllT6_T8_lllPii
	.p2align	8
	.type	_ZL19rocblas_trsv_deviceILi64ELi16ELb0ELb1ELb1ELb1E19rocblas_complex_numIfEPKS1_S3_PS1_EviT7_lllT6_T8_lllPii,@function
_ZL19rocblas_trsv_deviceILi64ELi16ELb0ELb1ELb1ELb1E19rocblas_complex_numIfEPKS1_S3_PS1_EviT7_lllT6_T8_lllPii: ; @_ZL19rocblas_trsv_deviceILi64ELi16ELb0ELb1ELb1ELb1E19rocblas_complex_numIfEPKS1_S3_PS1_EviT7_lllT6_T8_lllPii
; %bb.0:
	s_load_dwordx16 s[36:51], s[4:5], 0x8
	s_load_dword s33, s[4:5], 0x0
	s_mov_b32 s22, s7
	s_mov_b32 s23, 0
	s_waitcnt lgkmcnt(0)
	s_mul_i32 s0, s43, s7
	s_mul_hi_u32 s1, s42, s7
	s_add_i32 s1, s1, s0
	s_mul_i32 s0, s42, s7
	s_lshl_b64 s[0:1], s[0:1], 3
	s_add_u32 s2, s36, s0
	s_addc_u32 s3, s37, s1
	s_lshl_b64 s[0:1], s[38:39], 3
	s_load_dwordx2 s[26:27], s[44:45], 0x0
	s_load_dword s38, s[4:5], 0x6c
	s_add_u32 s90, s2, s0
	s_addc_u32 s91, s3, s1
	s_cmp_eq_u32 s6, 0
	s_cbranch_scc1 .LBB51_10
; %bb.1:
	s_lshl_b32 s2, s6, 6
	v_add_u32_e32 v4, s2, v0
	v_ashrrev_i32_e32 v2, 31, v4
	v_mul_lo_u32 v5, s40, v2
	v_mul_lo_u32 v8, s41, v4
	v_mad_u64_u32 v[2:3], s[0:1], s40, v4, 0
	v_add_u32_e32 v6, s2, v1
	v_subrev_u32_e32 v6, 64, v6
	v_add3_u32 v3, v3, v5, v8
	v_lshlrev_b64 v[2:3], 3, v[2:3]
	v_ashrrev_i32_e32 v7, 31, v6
	v_cmp_gt_i32_e32 vcc, s33, v4
	v_mov_b32_e32 v4, s91
	v_add_co_u32_e64 v5, s[0:1], s90, v2
	v_addc_co_u32_e64 v4, s[0:1], v4, v3, s[0:1]
	v_lshlrev_b64 v[2:3], 3, v[6:7]
	s_waitcnt lgkmcnt(0)
	v_add_co_u32_e64 v10, s[0:1], v5, v2
	v_addc_co_u32_e64 v11, s[0:1], v4, v3, s[0:1]
	v_cmp_gt_i32_e64 s[0:1], s33, v6
	s_and_b64 s[2:3], s[0:1], vcc
	v_mov_b32_e32 v2, 0
	v_mov_b32_e32 v4, 0
	;; [unrolled: 1-line block ×3, first 2 shown]
	s_barrier
	s_and_saveexec_b64 s[0:1], s[2:3]
	s_cbranch_execz .LBB51_3
; %bb.2:
	global_load_dwordx2 v[4:5], v[10:11], off
.LBB51_3:
	s_or_b64 exec, exec, s[0:1]
	v_add_u32_e32 v3, 16, v6
	v_cmp_gt_i32_e64 s[0:1], s33, v3
	s_and_b64 s[2:3], s[0:1], vcc
	v_mov_b32_e32 v3, 0
	s_waitcnt vmcnt(0)
	s_barrier
	s_and_saveexec_b64 s[0:1], s[2:3]
	s_cbranch_execz .LBB51_5
; %bb.4:
	global_load_dwordx2 v[2:3], v[10:11], off offset:128
.LBB51_5:
	s_or_b64 exec, exec, s[0:1]
	v_add_u32_e32 v7, 32, v6
	v_cmp_gt_i32_e64 s[0:1], s33, v7
	s_and_b64 s[2:3], s[0:1], vcc
	v_mov_b32_e32 v7, 0
	v_mov_b32_e32 v8, 0
	;; [unrolled: 1-line block ×3, first 2 shown]
	s_waitcnt vmcnt(0)
	s_barrier
	s_and_saveexec_b64 s[0:1], s[2:3]
	s_cbranch_execz .LBB51_7
; %bb.6:
	global_load_dwordx2 v[8:9], v[10:11], off offset:256
.LBB51_7:
	s_or_b64 exec, exec, s[0:1]
	v_add_u32_e32 v6, 48, v6
	v_cmp_gt_i32_e64 s[0:1], s33, v6
	s_and_b64 s[2:3], s[0:1], vcc
	v_mov_b32_e32 v6, 0
	s_waitcnt vmcnt(0)
	s_barrier
	s_and_saveexec_b64 s[0:1], s[2:3]
	s_cbranch_execz .LBB51_9
; %bb.8:
	global_load_dwordx2 v[6:7], v[10:11], off offset:384
.LBB51_9:
	s_or_b64 exec, exec, s[0:1]
	s_branch .LBB51_11
.LBB51_10:
                                        ; implicit-def: $vgpr7
                                        ; implicit-def: $vgpr9
                                        ; implicit-def: $vgpr3
                                        ; implicit-def: $vgpr5
.LBB51_11:
	s_ashr_i32 s0, s33, 31
	s_lshr_b32 s0, s0, 26
	s_add_i32 s0, s33, s0
	s_andn2_b32 s0, s0, 63
	s_sub_i32 s7, s33, s0
	s_add_i32 s0, s33, -1
	s_ashr_i32 s1, s0, 31
	s_lshr_b32 s1, s1, 26
	s_add_i32 s0, s0, s1
	s_ashr_i32 s0, s0, 6
	s_cmp_eq_u32 s0, s6
	s_cselect_b64 s[0:1], -1, 0
	s_cmp_lg_u32 s7, 0
	s_cselect_b64 s[2:3], -1, 0
	s_and_b64 s[24:25], s[2:3], s[0:1]
	s_cmp_lt_i32 s6, 5
	s_cselect_b64 s[2:3], -1, 0
	v_lshlrev_b32_e32 v10, 6, v0
	s_mov_b64 s[12:13], -1
	s_or_b64 s[0:1], s[2:3], s[24:25]
	s_and_b64 vcc, exec, s[24:25]
	v_add_u32_e32 v11, v1, v10
	v_cmp_le_u32_e64 s[8:9], v1, v0
	v_lshlrev_b32_e32 v16, 3, v0
	v_lshl_add_u32 v17, v1, 6, v0
	s_cbranch_vccnz .LBB51_37
; %bb.12:
	s_add_u32 s10, s40, 1
	s_addc_u32 s11, s41, 0
	s_lshl_b32 s12, s6, 6
	s_ashr_i32 s13, s12, 31
	s_mul_hi_u32 s14, s10, s12
	s_mul_i32 s13, s10, s13
	s_add_i32 s13, s14, s13
	s_mul_i32 s11, s11, s12
	s_add_i32 s11, s13, s11
	s_mul_i32 s10, s10, s12
	s_lshl_b64 s[10:11], s[10:11], 3
	s_add_u32 s10, s90, s10
	s_addc_u32 s11, s91, s11
	v_lshlrev_b32_e32 v12, 3, v0
	v_mov_b32_e32 v13, s11
	v_add_co_u32_e32 v12, vcc, s10, v12
	v_addc_co_u32_e32 v13, vcc, 0, v13, vcc
	v_cndmask_b32_e64 v14, v17, v11, s[2:3]
	s_and_saveexec_b64 s[2:3], s[8:9]
	s_xor_b64 s[2:3], exec, s[2:3]
	s_cbranch_execz .LBB51_16
; %bb.13:
	v_or_b32_e32 v15, v1, v0
	v_cmp_gt_u32_e32 vcc, 64, v15
	s_and_saveexec_b64 s[8:9], vcc
; %bb.14:
	v_lshlrev_b32_e32 v18, 3, v14
	v_mov_b32_e32 v14, 0
	v_mov_b32_e32 v15, v14
	ds_write_b64 v18, v[14:15]
; %bb.15:
	s_or_b64 exec, exec, s[8:9]
                                        ; implicit-def: $vgpr14
.LBB51_16:
	s_andn2_saveexec_b64 s[2:3], s[2:3]
	s_cbranch_execz .LBB51_18
; %bb.17:
	v_mad_u64_u32 v[18:19], s[8:9], s40, v1, 0
	v_lshlrev_b32_e32 v14, 3, v14
	v_mov_b32_e32 v15, v19
	v_mad_u64_u32 v[19:20], s[8:9], s41, v1, v[15:16]
	v_lshlrev_b64 v[18:19], 3, v[18:19]
	v_add_co_u32_e32 v18, vcc, v12, v18
	v_addc_co_u32_e32 v19, vcc, v13, v19, vcc
	global_load_dwordx2 v[18:19], v[18:19], off
	s_waitcnt vmcnt(0)
	v_xor_b32_e32 v18, 0x80000000, v18
	ds_write_b64 v14, v[18:19]
.LBB51_18:
	s_or_b64 exec, exec, s[2:3]
	v_add_u32_e32 v15, 16, v1
	v_add_u32_e32 v14, v15, v10
	v_lshl_add_u32 v18, v15, 6, v0
	v_cndmask_b32_e64 v14, v18, v14, s[0:1]
	v_cmp_le_u32_e32 vcc, v15, v0
	s_and_saveexec_b64 s[2:3], vcc
	s_xor_b64 s[2:3], exec, s[2:3]
	s_cbranch_execz .LBB51_22
; %bb.19:
	v_or_b32_e32 v15, v15, v0
	v_cmp_gt_u32_e32 vcc, 64, v15
	s_and_saveexec_b64 s[8:9], vcc
; %bb.20:
	v_lshlrev_b32_e32 v18, 3, v14
	v_mov_b32_e32 v14, 0
	v_mov_b32_e32 v15, v14
	ds_write_b64 v18, v[14:15]
; %bb.21:
	s_or_b64 exec, exec, s[8:9]
                                        ; implicit-def: $vgpr15
                                        ; implicit-def: $vgpr14
.LBB51_22:
	s_andn2_saveexec_b64 s[2:3], s[2:3]
	s_cbranch_execz .LBB51_24
; %bb.23:
	v_mad_u64_u32 v[18:19], s[8:9], s40, v15, 0
	v_lshlrev_b32_e32 v14, 3, v14
	v_mad_u64_u32 v[19:20], s[8:9], s41, v15, v[19:20]
	v_lshlrev_b64 v[18:19], 3, v[18:19]
	v_add_co_u32_e32 v18, vcc, v12, v18
	v_addc_co_u32_e32 v19, vcc, v13, v19, vcc
	global_load_dwordx2 v[18:19], v[18:19], off
	s_waitcnt vmcnt(0)
	v_xor_b32_e32 v18, 0x80000000, v18
	ds_write_b64 v14, v[18:19]
.LBB51_24:
	s_or_b64 exec, exec, s[2:3]
	v_add_u32_e32 v15, 32, v1
	v_add_u32_e32 v14, v15, v10
	v_lshl_add_u32 v18, v15, 6, v0
	v_cndmask_b32_e64 v14, v18, v14, s[0:1]
	v_cmp_le_u32_e32 vcc, v15, v0
	s_and_saveexec_b64 s[2:3], vcc
	s_xor_b64 s[2:3], exec, s[2:3]
	s_cbranch_execz .LBB51_28
; %bb.25:
	v_or_b32_e32 v15, v15, v0
	v_cmp_gt_u32_e32 vcc, 64, v15
	s_and_saveexec_b64 s[8:9], vcc
; %bb.26:
	v_lshlrev_b32_e32 v18, 3, v14
	v_mov_b32_e32 v14, 0
	v_mov_b32_e32 v15, v14
	ds_write_b64 v18, v[14:15]
; %bb.27:
	s_or_b64 exec, exec, s[8:9]
                                        ; implicit-def: $vgpr15
                                        ; implicit-def: $vgpr14
.LBB51_28:
	s_andn2_saveexec_b64 s[2:3], s[2:3]
	s_cbranch_execz .LBB51_30
; %bb.29:
	v_mad_u64_u32 v[18:19], s[8:9], s40, v15, 0
	v_lshlrev_b32_e32 v14, 3, v14
	v_mad_u64_u32 v[19:20], s[8:9], s41, v15, v[19:20]
	v_lshlrev_b64 v[18:19], 3, v[18:19]
	v_add_co_u32_e32 v18, vcc, v12, v18
	v_addc_co_u32_e32 v19, vcc, v13, v19, vcc
	global_load_dwordx2 v[18:19], v[18:19], off
	s_waitcnt vmcnt(0)
	v_xor_b32_e32 v18, 0x80000000, v18
	ds_write_b64 v14, v[18:19]
.LBB51_30:
	s_or_b64 exec, exec, s[2:3]
	v_add_u32_e32 v15, 48, v1
	v_add_u32_e32 v14, v15, v10
	v_lshl_add_u32 v18, v15, 6, v0
	v_cndmask_b32_e64 v14, v18, v14, s[0:1]
	v_cmp_le_u32_e32 vcc, v15, v0
	s_and_saveexec_b64 s[2:3], vcc
	s_xor_b64 s[2:3], exec, s[2:3]
	s_cbranch_execz .LBB51_34
; %bb.31:
	v_or_b32_e32 v12, v15, v0
	v_cmp_gt_u32_e32 vcc, 64, v12
	s_and_saveexec_b64 s[8:9], vcc
; %bb.32:
	v_mov_b32_e32 v12, 0
	v_lshlrev_b32_e32 v14, 3, v14
	v_mov_b32_e32 v13, v12
	ds_write_b64 v14, v[12:13]
; %bb.33:
	s_or_b64 exec, exec, s[8:9]
                                        ; implicit-def: $vgpr15
                                        ; implicit-def: $vgpr12
                                        ; implicit-def: $vgpr13
                                        ; implicit-def: $vgpr14
.LBB51_34:
	s_andn2_saveexec_b64 s[2:3], s[2:3]
	s_cbranch_execz .LBB51_36
; %bb.35:
	v_mad_u64_u32 v[18:19], s[8:9], s40, v15, 0
	v_lshlrev_b32_e32 v14, 3, v14
	v_mad_u64_u32 v[19:20], s[8:9], s41, v15, v[19:20]
	v_lshlrev_b64 v[18:19], 3, v[18:19]
	v_add_co_u32_e32 v12, vcc, v12, v18
	v_addc_co_u32_e32 v13, vcc, v13, v19, vcc
	global_load_dwordx2 v[12:13], v[12:13], off
	s_waitcnt vmcnt(0)
	v_xor_b32_e32 v12, 0x80000000, v12
	ds_write_b64 v14, v[12:13]
.LBB51_36:
	s_or_b64 exec, exec, s[2:3]
	s_mov_b64 s[12:13], 0
.LBB51_37:
	s_xor_b64 s[10:11], s[0:1], -1
	s_and_b64 vcc, exec, s[12:13]
	s_cbranch_vccz .LBB51_63
; %bb.38:
	s_add_u32 s2, s40, 1
	s_addc_u32 s3, s41, 0
	s_lshl_b32 s8, s6, 6
	s_ashr_i32 s9, s8, 31
	s_mul_hi_u32 s12, s2, s8
	s_mul_i32 s9, s2, s9
	s_add_i32 s9, s12, s9
	s_mul_i32 s3, s3, s8
	s_add_i32 s3, s9, s3
	s_mul_i32 s2, s2, s8
	s_lshl_b64 s[2:3], s[2:3], 3
	s_add_u32 s2, s90, s2
	s_addc_u32 s3, s91, s3
	v_lshlrev_b32_e32 v12, 3, v0
	v_mov_b32_e32 v13, s3
	v_add_co_u32_e64 v12, s[2:3], s2, v12
	v_addc_co_u32_e64 v13, s[2:3], 0, v13, s[2:3]
	v_max_i32_e32 v14, v1, v0
	v_cmp_le_u32_e64 s[2:3], v1, v0
	v_cmp_le_i32_e64 s[8:9], s7, v14
	v_cmp_gt_i32_e32 vcc, s7, v0
	s_or_b64 s[2:3], s[8:9], s[2:3]
	s_and_saveexec_b64 s[8:9], s[2:3]
	s_xor_b64 s[8:9], exec, s[8:9]
	s_cbranch_execz .LBB51_42
; %bb.39:
	v_or_b32_e32 v14, v1, v0
	v_cmp_gt_u32_e64 s[2:3], 64, v14
	s_and_saveexec_b64 s[12:13], s[2:3]
; %bb.40:
	v_mov_b32_e32 v14, 0
	v_lshlrev_b32_e32 v11, 3, v11
	v_mov_b32_e32 v15, v14
	ds_write_b64 v11, v[14:15]
; %bb.41:
	s_or_b64 exec, exec, s[12:13]
                                        ; implicit-def: $vgpr11
.LBB51_42:
	s_andn2_saveexec_b64 s[8:9], s[8:9]
	s_cbranch_execz .LBB51_44
; %bb.43:
	v_mad_u64_u32 v[14:15], s[2:3], s40, v1, 0
	v_lshlrev_b32_e32 v11, 3, v11
	v_mad_u64_u32 v[18:19], s[2:3], s41, v1, v[15:16]
	v_mov_b32_e32 v15, v18
	v_lshlrev_b64 v[14:15], 3, v[14:15]
	v_add_co_u32_e64 v14, s[2:3], v12, v14
	v_addc_co_u32_e64 v15, s[2:3], v13, v15, s[2:3]
	global_load_dwordx2 v[14:15], v[14:15], off
	s_waitcnt vmcnt(0)
	v_xor_b32_e32 v14, 0x80000000, v14
	ds_write_b64 v11, v[14:15]
.LBB51_44:
	s_or_b64 exec, exec, s[8:9]
	v_add_u32_e32 v14, 16, v1
	v_cmp_gt_u32_e64 s[2:3], v14, v0
	v_cmp_gt_i32_e64 s[8:9], s7, v14
	s_and_b64 s[2:3], s[2:3], s[8:9]
	v_add_u32_e32 v11, v14, v10
	v_lshl_add_u32 v15, v14, 6, v0
	s_and_b64 s[2:3], s[2:3], vcc
	v_cndmask_b32_e64 v11, v15, v11, s[0:1]
	s_xor_b64 s[2:3], s[2:3], -1
	s_and_saveexec_b64 s[8:9], s[2:3]
	s_xor_b64 s[8:9], exec, s[8:9]
	s_cbranch_execz .LBB51_48
; %bb.45:
	v_or_b32_e32 v14, v14, v0
	v_cmp_gt_u32_e64 s[2:3], 64, v14
	s_and_saveexec_b64 s[12:13], s[2:3]
; %bb.46:
	v_mov_b32_e32 v14, 0
	v_lshlrev_b32_e32 v11, 3, v11
	v_mov_b32_e32 v15, v14
	ds_write_b64 v11, v[14:15]
; %bb.47:
	s_or_b64 exec, exec, s[12:13]
                                        ; implicit-def: $vgpr14
                                        ; implicit-def: $vgpr11
.LBB51_48:
	s_andn2_saveexec_b64 s[8:9], s[8:9]
	s_cbranch_execz .LBB51_50
; %bb.49:
	v_mad_u64_u32 v[18:19], s[2:3], s40, v14, 0
	v_lshlrev_b32_e32 v11, 3, v11
	v_mov_b32_e32 v15, v19
	v_mad_u64_u32 v[14:15], s[2:3], s41, v14, v[15:16]
	v_mov_b32_e32 v19, v14
	v_lshlrev_b64 v[14:15], 3, v[18:19]
	v_add_co_u32_e64 v14, s[2:3], v12, v14
	v_addc_co_u32_e64 v15, s[2:3], v13, v15, s[2:3]
	global_load_dwordx2 v[14:15], v[14:15], off
	s_waitcnt vmcnt(0)
	v_xor_b32_e32 v14, 0x80000000, v14
	ds_write_b64 v11, v[14:15]
.LBB51_50:
	s_or_b64 exec, exec, s[8:9]
	v_add_u32_e32 v14, 32, v1
	v_cmp_gt_u32_e64 s[2:3], v14, v0
	v_cmp_gt_i32_e64 s[8:9], s7, v14
	s_and_b64 s[2:3], s[2:3], s[8:9]
	v_add_u32_e32 v11, v14, v10
	v_lshl_add_u32 v15, v14, 6, v0
	s_and_b64 s[2:3], s[2:3], vcc
	v_cndmask_b32_e64 v11, v15, v11, s[0:1]
	s_xor_b64 s[2:3], s[2:3], -1
	s_and_saveexec_b64 s[8:9], s[2:3]
	s_xor_b64 s[8:9], exec, s[8:9]
	s_cbranch_execz .LBB51_54
; %bb.51:
	v_or_b32_e32 v14, v14, v0
	v_cmp_gt_u32_e64 s[2:3], 64, v14
	s_and_saveexec_b64 s[12:13], s[2:3]
; %bb.52:
	v_mov_b32_e32 v14, 0
	v_lshlrev_b32_e32 v11, 3, v11
	v_mov_b32_e32 v15, v14
	ds_write_b64 v11, v[14:15]
; %bb.53:
	s_or_b64 exec, exec, s[12:13]
                                        ; implicit-def: $vgpr14
                                        ; implicit-def: $vgpr11
.LBB51_54:
	s_andn2_saveexec_b64 s[8:9], s[8:9]
	s_cbranch_execz .LBB51_56
; %bb.55:
	v_mad_u64_u32 v[18:19], s[2:3], s40, v14, 0
	v_lshlrev_b32_e32 v11, 3, v11
	v_mov_b32_e32 v15, v19
	v_mad_u64_u32 v[14:15], s[2:3], s41, v14, v[15:16]
	v_mov_b32_e32 v19, v14
	v_lshlrev_b64 v[14:15], 3, v[18:19]
	v_add_co_u32_e64 v14, s[2:3], v12, v14
	v_addc_co_u32_e64 v15, s[2:3], v13, v15, s[2:3]
	global_load_dwordx2 v[14:15], v[14:15], off
	s_waitcnt vmcnt(0)
	v_xor_b32_e32 v14, 0x80000000, v14
	ds_write_b64 v11, v[14:15]
.LBB51_56:
	s_or_b64 exec, exec, s[8:9]
	v_add_u32_e32 v11, 48, v1
	v_add_u32_e32 v10, v11, v10
	v_lshl_add_u32 v14, v11, 6, v0
	v_cndmask_b32_e64 v10, v14, v10, s[0:1]
	v_cmp_gt_u32_e64 s[0:1], v11, v0
	v_cmp_gt_i32_e64 s[2:3], s7, v11
	s_and_b64 s[0:1], s[0:1], s[2:3]
	s_and_b64 s[0:1], s[0:1], vcc
	s_xor_b64 s[0:1], s[0:1], -1
	s_and_saveexec_b64 s[2:3], s[0:1]
	s_xor_b64 s[0:1], exec, s[2:3]
	s_cbranch_execz .LBB51_60
; %bb.57:
	v_or_b32_e32 v11, v11, v0
	v_cmp_gt_u32_e32 vcc, 64, v11
	s_and_saveexec_b64 s[2:3], vcc
; %bb.58:
	v_lshlrev_b32_e32 v12, 3, v10
	v_mov_b32_e32 v10, 0
	v_mov_b32_e32 v11, v10
	ds_write_b64 v12, v[10:11]
; %bb.59:
	s_or_b64 exec, exec, s[2:3]
                                        ; implicit-def: $vgpr11
                                        ; implicit-def: $vgpr12
                                        ; implicit-def: $vgpr13
                                        ; implicit-def: $vgpr10
.LBB51_60:
	s_andn2_saveexec_b64 s[0:1], s[0:1]
	s_cbranch_execz .LBB51_62
; %bb.61:
	v_mad_u64_u32 v[14:15], s[2:3], s40, v11, 0
	v_lshlrev_b32_e32 v10, 3, v10
	v_mad_u64_u32 v[18:19], s[2:3], s41, v11, v[15:16]
	v_mov_b32_e32 v15, v18
	v_lshlrev_b64 v[14:15], 3, v[14:15]
	v_add_co_u32_e32 v11, vcc, v12, v14
	v_addc_co_u32_e32 v12, vcc, v13, v15, vcc
	global_load_dwordx2 v[11:12], v[11:12], off
	s_waitcnt vmcnt(0)
	v_xor_b32_e32 v11, 0x80000000, v11
	ds_write_b64 v10, v[11:12]
.LBB51_62:
	s_or_b64 exec, exec, s[0:1]
.LBB51_63:
	v_cndmask_b32_e64 v10, 0, 1, s[10:11]
	v_cmp_ne_u32_e64 s[60:61], 1, v10
	s_andn2_b64 vcc, exec, s[10:11]
	s_waitcnt vmcnt(0) lgkmcnt(0)
	s_barrier
	s_cbranch_vccnz .LBB51_985
; %bb.64:
	v_or_b32_e32 v10, v0, v1
	s_mov_b32 s3, 0
	v_cmp_eq_u32_e32 vcc, 0, v10
	s_and_saveexec_b64 s[0:1], vcc
	s_cbranch_execz .LBB51_66
; %bb.65:
	v_mov_b32_e32 v14, 0
	ds_read_b64 v[10:11], v14 offset:32752
	s_mov_b32 s2, 1.0
	v_mov_b32_e32 v13, s3
	v_mov_b32_e32 v12, s2
	s_movk_i32 s2, 0x7800
	ds_write_b64 v14, v[12:13] offset:32760
	v_add_u32_e64 v14, s2, 0
	s_waitcnt lgkmcnt(1)
	ds_write2_b64 v14, v[12:13], v[10:11] offset0:190 offset1:191
.LBB51_66:
	s_or_b64 exec, exec, s[0:1]
	v_lshlrev_b32_e32 v10, 6, v1
	v_add_u32_e32 v15, v10, v0
	v_and_b32_e32 v11, v10, v0
	v_xor_b32_e32 v10, v10, v0
	v_lshrrev_b16_e32 v10, 1, v10
	v_add_u16_e32 v14, v11, v10
	v_and_b32_e32 v12, 1, v0
	v_sub_u32_e32 v13, 1, v14
	v_cmp_lt_u32_e64 s[8:9], 3, v15
	v_cmp_gt_u32_e64 s[2:3], 4, v15
	v_mov_b32_e32 v10, 0
	v_mov_b32_e32 v11, 0
	s_waitcnt lgkmcnt(0)
	s_barrier
	buffer_wbinvl1_vol
	s_and_saveexec_b64 s[0:1], s[2:3]
	s_cbranch_execz .LBB51_70
; %bb.67:
	v_lshlrev_b32_e32 v10, 3, v12
	v_lshlrev_b32_e32 v18, 9, v13
	ds_read_b64 v[10:11], v10 offset:32224
	ds_read_b64 v[18:19], v18 offset:32240
	v_cmp_gt_u32_e64 s[10:11], 2, v15
	s_waitcnt lgkmcnt(0)
	v_mul_f32_e32 v20, v19, v11
	v_mul_f32_e32 v11, v18, v11
	v_fma_f32 v18, v18, v10, -v20
	v_fmac_f32_e32 v11, v19, v10
	v_add_f32_e32 v10, 0, v18
	v_add_f32_e32 v11, 0, v11
	s_and_saveexec_b64 s[12:13], s[10:11]
	s_cbranch_execz .LBB51_69
; %bb.68:
	v_lshlrev_b32_e32 v18, 3, v0
	v_mov_b32_e32 v20, 0
	ds_read_b64 v[18:19], v18 offset:32736
	ds_read_b64 v[20:21], v20 offset:32760
	s_waitcnt lgkmcnt(0)
	v_mul_f32_e32 v22, v21, v19
	v_mul_f32_e32 v19, v20, v19
	v_fma_f32 v20, v20, v18, -v22
	v_fmac_f32_e32 v19, v21, v18
	v_add_f32_e32 v10, v10, v20
	v_add_f32_e32 v11, v11, v19
.LBB51_69:
	s_or_b64 exec, exec, s[12:13]
.LBB51_70:
	s_or_b64 exec, exec, s[0:1]
	v_mov_b32_e32 v18, 0x8000
	v_cmp_ne_u32_e64 s[10:11], 0, v12
	s_xor_b64 s[0:1], s[8:9], -1
	v_lshl_add_u32 v14, v14, 3, v18
	s_and_b64 s[30:31], s[10:11], s[0:1]
	s_and_saveexec_b64 s[8:9], s[30:31]
; %bb.71:
	v_xor_b32_e32 v19, 0x80000000, v11
	v_xor_b32_e32 v18, 0x80000000, v10
	ds_write_b64 v14, v[18:19]
; %bb.72:
	s_or_b64 exec, exec, s[8:9]
	v_cmp_eq_u32_e64 s[8:9], 0, v12
	s_and_b64 s[28:29], s[8:9], s[0:1]
	s_waitcnt lgkmcnt(0)
	s_barrier
	s_and_saveexec_b64 s[0:1], s[28:29]
	s_cbranch_execz .LBB51_74
; %bb.73:
	v_mov_b32_e32 v18, 0
	ds_read_b64 v[18:19], v18 offset:31712
	ds_read_b64 v[20:21], v14
	s_waitcnt lgkmcnt(0)
	v_mul_f32_e32 v22, v20, v18
	v_mul_f32_e32 v20, v20, v19
	v_fmac_f32_e32 v20, v21, v18
	v_fma_f32 v18, v21, v19, -v22
	v_add_f32_e32 v10, v10, v18
	v_sub_f32_e32 v11, v11, v20
.LBB51_74:
	s_or_b64 exec, exec, s[0:1]
	s_barrier
	s_and_saveexec_b64 s[0:1], s[28:29]
; %bb.75:
	v_xor_b32_e32 v19, 0x80000000, v11
	v_xor_b32_e32 v18, 0x80000000, v10
	ds_write_b64 v14, v[18:19]
; %bb.76:
	s_or_b64 exec, exec, s[0:1]
	s_waitcnt lgkmcnt(0)
	s_barrier
	s_barrier
	s_and_saveexec_b64 s[0:1], s[2:3]
; %bb.77:
	v_lshlrev_b32_e32 v18, 3, v12
	v_lshl_or_b32 v18, v13, 9, v18
	ds_write_b64 v18, v[10:11] offset:32224
; %bb.78:
	s_or_b64 exec, exec, s[0:1]
	v_cmp_eq_u32_e64 s[12:13], 0, v1
	v_cmp_gt_u32_e64 s[8:9], 2, v0
	s_and_b64 s[34:35], s[12:13], s[8:9]
	s_waitcnt lgkmcnt(0)
	s_barrier
	s_barrier
	s_and_saveexec_b64 s[0:1], s[34:35]
	s_cbranch_execz .LBB51_80
; %bb.79:
	v_lshlrev_b32_e32 v18, 3, v0
	s_movk_i32 s8, 0x1f8
	v_mad_u32_u24 v19, v0, s8, v18
	ds_read_b64 v[10:11], v19 offset:32224
	s_waitcnt lgkmcnt(0)
	ds_write_b64 v18, v[10:11] offset:31216
	ds_read_b64 v[10:11], v19 offset:32232
	s_waitcnt lgkmcnt(0)
	ds_write_b64 v18, v[10:11] offset:31728
.LBB51_80:
	s_or_b64 exec, exec, s[0:1]
	s_waitcnt lgkmcnt(0)
	s_barrier
	s_and_saveexec_b64 s[0:1], vcc
	s_cbranch_execz .LBB51_82
; %bb.81:
	v_mov_b32_e32 v20, 0
	ds_read_b64 v[10:11], v20 offset:31712
	s_mov_b64 s[8:9], 0x3f800000
	v_mov_b32_e32 v19, s9
	v_mov_b32_e32 v18, s8
	s_movk_i32 s8, 0x7800
	ds_write_b64 v20, v[18:19] offset:31720
	v_add_u32_e64 v20, s8, 0
	s_waitcnt lgkmcnt(1)
	ds_write2_b64 v20, v[18:19], v[10:11] offset0:60 offset1:61
.LBB51_82:
	s_or_b64 exec, exec, s[0:1]
	v_lshrrev_b32_e32 v20, 2, v15
	v_and_b32_e32 v18, 3, v0
	v_sub_u32_e32 v19, 3, v20
	v_cmp_lt_u32_e64 s[8:9], 15, v15
	v_cmp_gt_u32_e64 s[18:19], 16, v15
	v_mov_b32_e32 v11, 0
	v_mov_b32_e32 v10, 0
	s_waitcnt lgkmcnt(0)
	s_barrier
	buffer_wbinvl1_vol
	s_and_saveexec_b64 s[0:1], s[18:19]
	s_cbranch_execz .LBB51_88
; %bb.83:
	v_lshlrev_b32_e32 v21, 3, v18
	v_lshlrev_b32_e32 v22, 9, v19
	ds_read_b64 v[10:11], v21 offset:31168
	ds_read_b64 v[23:24], v22 offset:31200
	v_cmp_gt_u32_e64 s[10:11], 12, v15
	s_waitcnt lgkmcnt(0)
	v_mul_f32_e32 v25, v24, v11
	v_mul_f32_e32 v11, v23, v11
	v_fma_f32 v23, v23, v10, -v25
	v_fmac_f32_e32 v11, v24, v10
	v_add_f32_e32 v10, 0, v23
	v_add_f32_e32 v11, 0, v11
	s_and_saveexec_b64 s[14:15], s[10:11]
	s_cbranch_execnz .LBB51_1061
; %bb.84:
	s_or_b64 exec, exec, s[14:15]
	v_cmp_gt_u32_e64 s[10:11], 8, v15
	s_and_saveexec_b64 s[14:15], s[10:11]
	s_cbranch_execnz .LBB51_1062
.LBB51_85:
	s_or_b64 exec, exec, s[14:15]
	v_cmp_gt_u32_e64 s[10:11], 4, v15
	s_and_saveexec_b64 s[14:15], s[10:11]
	s_cbranch_execz .LBB51_87
.LBB51_86:
	v_lshlrev_b32_e32 v21, 3, v0
	v_mov_b32_e32 v23, 0
	ds_read_b64 v[21:22], v21 offset:32704
	ds_read_b64 v[23:24], v23 offset:32760
	s_waitcnt lgkmcnt(0)
	v_mul_f32_e32 v25, v24, v22
	v_mul_f32_e32 v22, v23, v22
	v_fma_f32 v23, v23, v21, -v25
	v_fmac_f32_e32 v22, v24, v21
	v_add_f32_e32 v10, v10, v23
	v_add_f32_e32 v11, v11, v22
.LBB51_87:
	s_or_b64 exec, exec, s[14:15]
.LBB51_88:
	s_or_b64 exec, exec, s[0:1]
	v_mov_b32_e32 v21, 0x8000
	v_cmp_eq_u32_e64 s[10:11], 3, v18
	s_xor_b64 s[0:1], s[8:9], -1
	v_lshl_add_u32 v20, v20, 3, v21
	s_and_b64 s[38:39], s[10:11], s[0:1]
	s_and_saveexec_b64 s[8:9], s[38:39]
; %bb.89:
	v_xor_b32_e32 v21, 0x80000000, v10
	v_xor_b32_e32 v22, 0x80000000, v11
	ds_write_b64 v20, v[21:22]
; %bb.90:
	s_or_b64 exec, exec, s[8:9]
	v_cmp_ne_u32_e64 s[8:9], 3, v18
	s_and_b64 s[42:43], s[8:9], s[0:1]
	s_waitcnt lgkmcnt(0)
	s_barrier
	s_and_saveexec_b64 s[8:9], s[42:43]
	s_cbranch_execz .LBB51_92
; %bb.91:
	v_lshlrev_b32_e32 v21, 3, v18
	ds_read_b64 v[21:22], v21 offset:30656
	ds_read_b64 v[23:24], v20
	s_waitcnt lgkmcnt(0)
	v_mul_f32_e32 v25, v24, v22
	v_mul_f32_e32 v22, v23, v22
	v_fma_f32 v23, v23, v21, -v25
	v_fmac_f32_e32 v22, v24, v21
	v_sub_f32_e32 v10, v10, v23
	v_sub_f32_e32 v11, v11, v22
.LBB51_92:
	s_or_b64 exec, exec, s[8:9]
	v_cmp_eq_u32_e64 s[8:9], 2, v18
	s_and_b64 s[44:45], s[8:9], s[0:1]
	s_barrier
	s_and_saveexec_b64 s[8:9], s[44:45]
; %bb.93:
	v_xor_b32_e32 v21, 0x80000000, v10
	v_xor_b32_e32 v22, 0x80000000, v11
	ds_write_b64 v20, v[21:22]
; %bb.94:
	s_or_b64 exec, exec, s[8:9]
	v_cmp_gt_u32_e64 s[8:9], 2, v18
	s_and_b64 s[52:53], s[8:9], s[0:1]
	s_waitcnt lgkmcnt(0)
	s_barrier
	s_and_saveexec_b64 s[8:9], s[52:53]
	s_cbranch_execz .LBB51_96
; %bb.95:
	v_lshlrev_b32_e32 v21, 3, v18
	ds_read_b64 v[21:22], v21 offset:30144
	ds_read_b64 v[23:24], v20
	s_waitcnt lgkmcnt(0)
	v_mul_f32_e32 v25, v24, v22
	v_mul_f32_e32 v22, v23, v22
	v_fma_f32 v23, v23, v21, -v25
	v_fmac_f32_e32 v22, v24, v21
	v_sub_f32_e32 v10, v10, v23
	v_sub_f32_e32 v11, v11, v22
.LBB51_96:
	s_or_b64 exec, exec, s[8:9]
	v_cmp_eq_u32_e64 s[8:9], 1, v18
	s_and_b64 s[54:55], s[8:9], s[0:1]
	s_barrier
	s_and_saveexec_b64 s[8:9], s[54:55]
; %bb.97:
	v_xor_b32_e32 v21, 0x80000000, v10
	v_xor_b32_e32 v22, 0x80000000, v11
	ds_write_b64 v20, v[21:22]
; %bb.98:
	s_or_b64 exec, exec, s[8:9]
	v_cmp_eq_u32_e64 s[8:9], 0, v18
	s_and_b64 s[36:37], s[8:9], s[0:1]
	s_waitcnt lgkmcnt(0)
	s_barrier
	s_and_saveexec_b64 s[0:1], s[36:37]
	s_cbranch_execz .LBB51_100
; %bb.99:
	v_mov_b32_e32 v21, 0
	ds_read_b64 v[21:22], v21 offset:29632
	ds_read_b64 v[23:24], v20
	s_waitcnt lgkmcnt(0)
	v_mul_f32_e32 v25, v24, v22
	v_mul_f32_e32 v22, v23, v22
	v_fma_f32 v23, v23, v21, -v25
	v_fmac_f32_e32 v22, v24, v21
	v_sub_f32_e32 v10, v10, v23
	v_sub_f32_e32 v11, v11, v22
.LBB51_100:
	s_or_b64 exec, exec, s[0:1]
	s_barrier
	s_and_saveexec_b64 s[0:1], s[36:37]
; %bb.101:
	v_xor_b32_e32 v21, 0x80000000, v10
	v_xor_b32_e32 v22, 0x80000000, v11
	ds_write_b64 v20, v[21:22]
; %bb.102:
	s_or_b64 exec, exec, s[0:1]
	s_waitcnt lgkmcnt(0)
	s_barrier
	s_barrier
	s_and_saveexec_b64 s[0:1], s[18:19]
; %bb.103:
	v_lshlrev_b32_e32 v21, 3, v18
	v_lshl_or_b32 v21, v19, 9, v21
	ds_write_b64 v21, v[10:11] offset:31168
; %bb.104:
	s_or_b64 exec, exec, s[0:1]
	v_cmp_gt_u32_e64 s[8:9], 4, v0
	s_and_b64 s[56:57], s[12:13], s[8:9]
	s_waitcnt lgkmcnt(0)
	s_barrier
	s_barrier
	s_and_saveexec_b64 s[0:1], s[56:57]
	s_cbranch_execz .LBB51_106
; %bb.105:
	v_lshlrev_b32_e32 v21, 9, v0
	ds_read_b64 v[10:11], v21 offset:31168
	s_movk_i32 s8, 0xfe08
	v_mad_i32_i24 v22, v0, s8, v21
	s_waitcnt lgkmcnt(0)
	ds_write_b64 v22, v[10:11] offset:29152
	ds_read_b64 v[10:11], v21 offset:31176
	s_waitcnt lgkmcnt(0)
	ds_write_b64 v22, v[10:11] offset:29664
	ds_read_b64 v[10:11], v21 offset:31184
	;; [unrolled: 3-line block ×3, first 2 shown]
	s_waitcnt lgkmcnt(0)
	ds_write_b64 v22, v[10:11] offset:30688
.LBB51_106:
	s_or_b64 exec, exec, s[0:1]
	s_waitcnt lgkmcnt(0)
	s_barrier
	s_and_saveexec_b64 s[0:1], vcc
	s_cbranch_execz .LBB51_108
; %bb.107:
	v_mov_b32_e32 v23, 0
	ds_read_b64 v[10:11], v23 offset:30672
	s_mov_b64 s[8:9], 0x3f800000
	v_mov_b32_e32 v22, s9
	v_mov_b32_e32 v21, s8
	s_movk_i32 s8, 0x7000
	ds_write_b64 v23, v[21:22] offset:30680
	v_add_u32_e64 v23, s8, 0
	s_waitcnt lgkmcnt(1)
	ds_write2_b64 v23, v[21:22], v[10:11] offset0:186 offset1:187
.LBB51_108:
	s_or_b64 exec, exec, s[0:1]
	v_mov_b32_e32 v10, 0
	v_mov_b32_e32 v11, 0
	s_waitcnt lgkmcnt(0)
	s_barrier
	buffer_wbinvl1_vol
	s_and_saveexec_b64 s[0:1], s[2:3]
	s_cbranch_execz .LBB51_112
; %bb.109:
	v_lshlrev_b32_e32 v10, 3, v12
	v_lshlrev_b32_e32 v21, 9, v13
	ds_read_b64 v[10:11], v10 offset:30144
	ds_read_b64 v[21:22], v21 offset:30160
	v_cmp_gt_u32_e64 s[8:9], 2, v15
	s_waitcnt lgkmcnt(0)
	v_mul_f32_e32 v23, v22, v11
	v_mul_f32_e32 v11, v21, v11
	v_fma_f32 v21, v21, v10, -v23
	v_fmac_f32_e32 v11, v22, v10
	v_add_f32_e32 v10, 0, v21
	v_add_f32_e32 v11, 0, v11
	s_and_saveexec_b64 s[10:11], s[8:9]
	s_cbranch_execz .LBB51_111
; %bb.110:
	v_lshlrev_b32_e32 v21, 3, v0
	v_mov_b32_e32 v23, 0
	ds_read_b64 v[21:22], v21 offset:30656
	ds_read_b64 v[23:24], v23 offset:30680
	s_waitcnt lgkmcnt(0)
	v_mul_f32_e32 v25, v24, v22
	v_mul_f32_e32 v22, v23, v22
	v_fma_f32 v23, v23, v21, -v25
	v_fmac_f32_e32 v22, v24, v21
	v_add_f32_e32 v10, v10, v23
	v_add_f32_e32 v11, v11, v22
.LBB51_111:
	s_or_b64 exec, exec, s[10:11]
.LBB51_112:
	s_or_b64 exec, exec, s[0:1]
	s_and_saveexec_b64 s[0:1], s[30:31]
; %bb.113:
	v_xor_b32_e32 v22, 0x80000000, v11
	v_xor_b32_e32 v21, 0x80000000, v10
	ds_write_b64 v14, v[21:22]
; %bb.114:
	s_or_b64 exec, exec, s[0:1]
	s_waitcnt lgkmcnt(0)
	s_barrier
	s_and_saveexec_b64 s[0:1], s[28:29]
	s_cbranch_execz .LBB51_116
; %bb.115:
	v_mov_b32_e32 v21, 0
	ds_read_b64 v[21:22], v21 offset:29632
	ds_read_b64 v[23:24], v14
	s_waitcnt lgkmcnt(0)
	v_mul_f32_e32 v25, v23, v21
	v_mul_f32_e32 v23, v23, v22
	v_fmac_f32_e32 v23, v24, v21
	v_fma_f32 v21, v24, v22, -v25
	v_add_f32_e32 v10, v10, v21
	v_sub_f32_e32 v11, v11, v23
.LBB51_116:
	s_or_b64 exec, exec, s[0:1]
	s_barrier
	s_and_saveexec_b64 s[0:1], s[28:29]
; %bb.117:
	v_xor_b32_e32 v22, 0x80000000, v11
	v_xor_b32_e32 v21, 0x80000000, v10
	ds_write_b64 v14, v[21:22]
; %bb.118:
	s_or_b64 exec, exec, s[0:1]
	s_waitcnt lgkmcnt(0)
	s_barrier
	s_barrier
	s_and_saveexec_b64 s[0:1], s[2:3]
; %bb.119:
	v_lshlrev_b32_e32 v21, 3, v12
	v_lshl_or_b32 v21, v13, 9, v21
	ds_write_b64 v21, v[10:11] offset:30144
; %bb.120:
	s_or_b64 exec, exec, s[0:1]
	s_waitcnt lgkmcnt(0)
	s_barrier
	s_barrier
	s_and_saveexec_b64 s[0:1], s[34:35]
	s_cbranch_execz .LBB51_122
; %bb.121:
	v_lshlrev_b32_e32 v21, 3, v0
	s_movk_i32 s8, 0x1f8
	v_mad_u32_u24 v22, v0, s8, v21
	ds_read_b64 v[10:11], v22 offset:30144
	s_waitcnt lgkmcnt(0)
	ds_write_b64 v21, v[10:11] offset:29136
	ds_read_b64 v[10:11], v22 offset:30152
	s_waitcnt lgkmcnt(0)
	ds_write_b64 v21, v[10:11] offset:29648
.LBB51_122:
	s_or_b64 exec, exec, s[0:1]
	s_waitcnt lgkmcnt(0)
	s_barrier
	s_and_saveexec_b64 s[0:1], vcc
	s_cbranch_execz .LBB51_124
; %bb.123:
	v_mov_b32_e32 v23, 0
	ds_read_b64 v[10:11], v23 offset:29632
	s_mov_b64 s[8:9], 0x3f800000
	v_mov_b32_e32 v22, s9
	v_mov_b32_e32 v21, s8
	s_movk_i32 s8, 0x7000
	ds_write_b64 v23, v[21:22] offset:29640
	v_add_u32_e64 v23, s8, 0
	s_waitcnt lgkmcnt(1)
	ds_write2_b64 v23, v[21:22], v[10:11] offset0:56 offset1:57
.LBB51_124:
	s_or_b64 exec, exec, s[0:1]
	v_lshrrev_b32_e32 v23, 3, v15
	v_and_b32_e32 v21, 7, v0
	v_sub_u32_e32 v22, 7, v23
	v_cmp_lt_u32_e64 s[10:11], 63, v15
	v_cmp_gt_u32_e64 s[8:9], 64, v15
	v_mov_b32_e32 v11, 0
	v_mov_b32_e32 v10, 0
	s_waitcnt lgkmcnt(0)
	s_barrier
	buffer_wbinvl1_vol
	s_and_saveexec_b64 s[0:1], s[8:9]
	s_cbranch_execz .LBB51_134
; %bb.125:
	v_lshlrev_b32_e32 v24, 3, v21
	v_lshlrev_b32_e32 v25, 9, v22
	ds_read_b64 v[10:11], v24 offset:29056
	ds_read_b64 v[26:27], v25 offset:29120
	v_cmp_gt_u32_e64 s[14:15], 56, v15
	s_waitcnt lgkmcnt(0)
	v_mul_f32_e32 v28, v27, v11
	v_mul_f32_e32 v11, v26, v11
	v_fma_f32 v26, v26, v10, -v28
	v_fmac_f32_e32 v11, v27, v10
	v_add_f32_e32 v10, 0, v26
	v_add_f32_e32 v11, 0, v11
	s_and_saveexec_b64 s[16:17], s[14:15]
	s_cbranch_execnz .LBB51_1063
; %bb.126:
	s_or_b64 exec, exec, s[16:17]
	v_cmp_gt_u32_e64 s[14:15], 48, v15
	s_and_saveexec_b64 s[16:17], s[14:15]
	s_cbranch_execnz .LBB51_1064
.LBB51_127:
	s_or_b64 exec, exec, s[16:17]
	v_cmp_gt_u32_e64 s[14:15], 40, v15
	s_and_saveexec_b64 s[16:17], s[14:15]
	s_cbranch_execnz .LBB51_1065
.LBB51_128:
	s_or_b64 exec, exec, s[16:17]
	v_cmp_gt_u32_e64 s[14:15], 32, v15
	s_and_saveexec_b64 s[16:17], s[14:15]
	s_cbranch_execnz .LBB51_1066
.LBB51_129:
	s_or_b64 exec, exec, s[16:17]
	v_cmp_gt_u32_e64 s[14:15], 24, v15
	s_and_saveexec_b64 s[16:17], s[14:15]
	s_cbranch_execnz .LBB51_1067
.LBB51_130:
	s_or_b64 exec, exec, s[16:17]
	s_and_saveexec_b64 s[14:15], s[18:19]
	s_cbranch_execnz .LBB51_1068
.LBB51_131:
	s_or_b64 exec, exec, s[14:15]
	v_cmp_gt_u32_e64 s[14:15], 8, v15
	s_and_saveexec_b64 s[16:17], s[14:15]
	s_cbranch_execz .LBB51_133
.LBB51_132:
	v_lshlrev_b32_e32 v24, 3, v0
	v_mov_b32_e32 v26, 0
	ds_read_b64 v[24:25], v24 offset:32640
	ds_read_b64 v[26:27], v26 offset:32760
	s_waitcnt lgkmcnt(0)
	v_mul_f32_e32 v28, v27, v25
	v_mul_f32_e32 v25, v26, v25
	v_fma_f32 v26, v26, v24, -v28
	v_fmac_f32_e32 v25, v27, v24
	v_add_f32_e32 v10, v10, v26
	v_add_f32_e32 v11, v11, v25
.LBB51_133:
	s_or_b64 exec, exec, s[16:17]
.LBB51_134:
                                        ; implicit-def: $vgpr37 : SGPR spill to VGPR lane
	v_writelane_b32 v37, s60, 0
	v_writelane_b32 v37, s61, 1
	s_or_b64 exec, exec, s[0:1]
	v_mov_b32_e32 v24, 0x8000
	v_cmp_eq_u32_e64 s[14:15], 7, v21
	s_xor_b64 s[0:1], s[10:11], -1
	v_lshl_add_u32 v23, v23, 3, v24
	s_and_b64 s[60:61], s[14:15], s[0:1]
	s_and_saveexec_b64 s[10:11], s[60:61]
; %bb.135:
	v_xor_b32_e32 v25, 0x80000000, v11
	v_xor_b32_e32 v24, 0x80000000, v10
	ds_write_b64 v23, v[24:25]
; %bb.136:
	s_or_b64 exec, exec, s[10:11]
	v_cmp_ne_u32_e64 s[10:11], 7, v21
	s_and_b64 s[62:63], s[10:11], s[0:1]
	s_waitcnt lgkmcnt(0)
	s_barrier
	s_and_saveexec_b64 s[10:11], s[62:63]
	s_cbranch_execz .LBB51_138
; %bb.137:
	v_lshlrev_b32_e32 v24, 3, v21
	ds_read_b64 v[24:25], v24 offset:28544
	ds_read_b64 v[26:27], v23
	s_waitcnt lgkmcnt(0)
	v_mul_f32_e32 v28, v27, v25
	v_mul_f32_e32 v25, v26, v25
	v_fma_f32 v26, v26, v24, -v28
	v_fmac_f32_e32 v25, v27, v24
	v_sub_f32_e32 v10, v10, v26
	v_sub_f32_e32 v11, v11, v25
.LBB51_138:
	s_or_b64 exec, exec, s[10:11]
	v_cmp_eq_u32_e64 s[10:11], 6, v21
	s_and_b64 s[64:65], s[10:11], s[0:1]
	s_barrier
	s_and_saveexec_b64 s[10:11], s[64:65]
; %bb.139:
	v_xor_b32_e32 v25, 0x80000000, v11
	v_xor_b32_e32 v24, 0x80000000, v10
	ds_write_b64 v23, v[24:25]
; %bb.140:
	s_or_b64 exec, exec, s[10:11]
	v_cmp_gt_u32_e64 s[10:11], 6, v21
	s_and_b64 s[66:67], s[10:11], s[0:1]
	s_waitcnt lgkmcnt(0)
	s_barrier
	s_and_saveexec_b64 s[10:11], s[66:67]
	s_cbranch_execz .LBB51_142
; %bb.141:
	v_lshlrev_b32_e32 v24, 3, v21
	ds_read_b64 v[24:25], v24 offset:28032
	ds_read_b64 v[26:27], v23
	s_waitcnt lgkmcnt(0)
	v_mul_f32_e32 v28, v27, v25
	v_mul_f32_e32 v25, v26, v25
	v_fma_f32 v26, v26, v24, -v28
	v_fmac_f32_e32 v25, v27, v24
	v_sub_f32_e32 v10, v10, v26
	v_sub_f32_e32 v11, v11, v25
.LBB51_142:
	s_or_b64 exec, exec, s[10:11]
	v_cmp_eq_u32_e64 s[10:11], 5, v21
	s_and_b64 s[68:69], s[10:11], s[0:1]
	s_barrier
	s_and_saveexec_b64 s[10:11], s[68:69]
; %bb.143:
	v_xor_b32_e32 v25, 0x80000000, v11
	v_xor_b32_e32 v24, 0x80000000, v10
	ds_write_b64 v23, v[24:25]
; %bb.144:
	s_or_b64 exec, exec, s[10:11]
	v_cmp_gt_u32_e64 s[10:11], 5, v21
	;; [unrolled: 29-line block ×5, first 2 shown]
	s_and_b64 s[82:83], s[10:11], s[0:1]
	s_waitcnt lgkmcnt(0)
	s_barrier
	s_and_saveexec_b64 s[10:11], s[82:83]
	s_cbranch_execz .LBB51_158
; %bb.157:
	v_lshlrev_b32_e32 v24, 3, v21
	ds_read_b64 v[24:25], v24 offset:25984
	ds_read_b64 v[26:27], v23
	s_waitcnt lgkmcnt(0)
	v_mul_f32_e32 v28, v27, v25
	v_mul_f32_e32 v25, v26, v25
	v_fma_f32 v26, v26, v24, -v28
	v_fmac_f32_e32 v25, v27, v24
	v_sub_f32_e32 v10, v10, v26
	v_sub_f32_e32 v11, v11, v25
.LBB51_158:
	s_or_b64 exec, exec, s[10:11]
	v_cmp_eq_u32_e64 s[10:11], 1, v21
	s_and_b64 s[84:85], s[10:11], s[0:1]
	s_barrier
	s_and_saveexec_b64 s[10:11], s[84:85]
; %bb.159:
	v_xor_b32_e32 v25, 0x80000000, v11
	v_xor_b32_e32 v24, 0x80000000, v10
	ds_write_b64 v23, v[24:25]
; %bb.160:
	s_or_b64 exec, exec, s[10:11]
	v_cmp_eq_u32_e64 s[10:11], 0, v21
	s_and_b64 s[58:59], s[10:11], s[0:1]
	s_waitcnt lgkmcnt(0)
	s_barrier
	s_and_saveexec_b64 s[0:1], s[58:59]
	s_cbranch_execz .LBB51_162
; %bb.161:
	v_mov_b32_e32 v24, 0
	ds_read_b64 v[24:25], v24 offset:25472
	ds_read_b64 v[26:27], v23
	s_waitcnt lgkmcnt(0)
	v_mul_f32_e32 v28, v27, v25
	v_mul_f32_e32 v25, v26, v25
	v_fma_f32 v26, v26, v24, -v28
	v_fmac_f32_e32 v25, v27, v24
	v_sub_f32_e32 v10, v10, v26
	v_sub_f32_e32 v11, v11, v25
.LBB51_162:
	s_or_b64 exec, exec, s[0:1]
	s_barrier
	s_and_saveexec_b64 s[0:1], s[58:59]
; %bb.163:
	v_xor_b32_e32 v25, 0x80000000, v11
	v_xor_b32_e32 v24, 0x80000000, v10
	ds_write_b64 v23, v[24:25]
; %bb.164:
	s_or_b64 exec, exec, s[0:1]
	s_waitcnt lgkmcnt(0)
	s_barrier
	s_barrier
	s_and_saveexec_b64 s[0:1], s[8:9]
; %bb.165:
	v_lshlrev_b32_e32 v24, 3, v21
	v_lshl_or_b32 v24, v22, 9, v24
	ds_write_b64 v24, v[10:11] offset:29056
; %bb.166:
	s_or_b64 exec, exec, s[0:1]
	v_cmp_gt_u32_e64 s[10:11], 8, v0
	s_and_b64 s[86:87], s[12:13], s[10:11]
	s_waitcnt lgkmcnt(0)
	s_barrier
	s_barrier
	s_and_saveexec_b64 s[0:1], s[86:87]
	s_cbranch_execz .LBB51_168
; %bb.167:
	v_lshlrev_b32_e32 v24, 9, v0
	ds_read_b64 v[10:11], v24 offset:29056
	s_movk_i32 s10, 0xfe08
	v_mad_i32_i24 v25, v0, s10, v24
	s_waitcnt lgkmcnt(0)
	ds_write_b64 v25, v[10:11] offset:25024
	ds_read_b64 v[10:11], v24 offset:29064
	s_waitcnt lgkmcnt(0)
	ds_write_b64 v25, v[10:11] offset:25536
	ds_read_b64 v[10:11], v24 offset:29072
	;; [unrolled: 3-line block ×7, first 2 shown]
	s_waitcnt lgkmcnt(0)
	ds_write_b64 v25, v[10:11] offset:28608
.LBB51_168:
	s_or_b64 exec, exec, s[0:1]
	s_waitcnt lgkmcnt(0)
	s_barrier
	s_and_saveexec_b64 s[0:1], vcc
	s_cbranch_execz .LBB51_170
; %bb.169:
	v_mov_b32_e32 v26, 0
	ds_read_b64 v[10:11], v26 offset:28592
	s_mov_b64 s[10:11], 0x3f800000
	v_mov_b32_e32 v25, s11
	v_mov_b32_e32 v24, s10
	s_movk_i32 s10, 0x6800
	ds_write_b64 v26, v[24:25] offset:28600
	v_add_u32_e64 v26, s10, 0
	s_waitcnt lgkmcnt(1)
	ds_write2_b64 v26, v[24:25], v[10:11] offset0:182 offset1:183
.LBB51_170:
	s_or_b64 exec, exec, s[0:1]
	v_mov_b32_e32 v10, 0
	v_mov_b32_e32 v11, 0
	s_waitcnt lgkmcnt(0)
	s_barrier
	buffer_wbinvl1_vol
	s_and_saveexec_b64 s[0:1], s[2:3]
	s_cbranch_execz .LBB51_174
; %bb.171:
	v_lshlrev_b32_e32 v10, 3, v12
	v_lshlrev_b32_e32 v24, 9, v13
	ds_read_b64 v[10:11], v10 offset:28064
	ds_read_b64 v[24:25], v24 offset:28080
	v_cmp_gt_u32_e64 s[10:11], 2, v15
	s_waitcnt lgkmcnt(0)
	v_mul_f32_e32 v26, v25, v11
	v_mul_f32_e32 v11, v24, v11
	v_fma_f32 v24, v24, v10, -v26
	v_fmac_f32_e32 v11, v25, v10
	v_add_f32_e32 v10, 0, v24
	v_add_f32_e32 v11, 0, v11
	s_and_saveexec_b64 s[14:15], s[10:11]
	s_cbranch_execz .LBB51_173
; %bb.172:
	v_lshlrev_b32_e32 v24, 3, v0
	v_mov_b32_e32 v26, 0
	ds_read_b64 v[24:25], v24 offset:28576
	ds_read_b64 v[26:27], v26 offset:28600
	s_waitcnt lgkmcnt(0)
	v_mul_f32_e32 v28, v27, v25
	v_mul_f32_e32 v25, v26, v25
	v_fma_f32 v26, v26, v24, -v28
	v_fmac_f32_e32 v25, v27, v24
	v_add_f32_e32 v10, v10, v26
	v_add_f32_e32 v11, v11, v25
.LBB51_173:
	s_or_b64 exec, exec, s[14:15]
.LBB51_174:
	s_or_b64 exec, exec, s[0:1]
	s_and_saveexec_b64 s[0:1], s[30:31]
; %bb.175:
	v_xor_b32_e32 v25, 0x80000000, v11
	v_xor_b32_e32 v24, 0x80000000, v10
	ds_write_b64 v14, v[24:25]
; %bb.176:
	s_or_b64 exec, exec, s[0:1]
	s_waitcnt lgkmcnt(0)
	s_barrier
	s_and_saveexec_b64 s[0:1], s[28:29]
	s_cbranch_execz .LBB51_178
; %bb.177:
	v_mov_b32_e32 v24, 0
	ds_read_b64 v[24:25], v24 offset:27552
	ds_read_b64 v[26:27], v14
	s_waitcnt lgkmcnt(0)
	v_mul_f32_e32 v28, v26, v24
	v_mul_f32_e32 v26, v26, v25
	v_fmac_f32_e32 v26, v27, v24
	v_fma_f32 v24, v27, v25, -v28
	v_add_f32_e32 v10, v10, v24
	v_sub_f32_e32 v11, v11, v26
.LBB51_178:
	s_or_b64 exec, exec, s[0:1]
	s_barrier
	s_and_saveexec_b64 s[0:1], s[28:29]
; %bb.179:
	v_xor_b32_e32 v25, 0x80000000, v11
	v_xor_b32_e32 v24, 0x80000000, v10
	ds_write_b64 v14, v[24:25]
; %bb.180:
	s_or_b64 exec, exec, s[0:1]
	s_waitcnt lgkmcnt(0)
	s_barrier
	s_barrier
	s_and_saveexec_b64 s[0:1], s[2:3]
; %bb.181:
	v_lshlrev_b32_e32 v24, 3, v12
	v_lshl_or_b32 v24, v13, 9, v24
	ds_write_b64 v24, v[10:11] offset:28064
; %bb.182:
	s_or_b64 exec, exec, s[0:1]
	s_waitcnt lgkmcnt(0)
	s_barrier
	s_barrier
	s_and_saveexec_b64 s[0:1], s[34:35]
	s_cbranch_execz .LBB51_184
; %bb.183:
	v_lshlrev_b32_e32 v24, 3, v0
	s_movk_i32 s10, 0x1f8
	v_mad_u32_u24 v25, v0, s10, v24
	ds_read_b64 v[10:11], v25 offset:28064
	s_waitcnt lgkmcnt(0)
	ds_write_b64 v24, v[10:11] offset:27056
	ds_read_b64 v[10:11], v25 offset:28072
	s_waitcnt lgkmcnt(0)
	ds_write_b64 v24, v[10:11] offset:27568
.LBB51_184:
	s_or_b64 exec, exec, s[0:1]
	s_waitcnt lgkmcnt(0)
	s_barrier
	s_and_saveexec_b64 s[0:1], vcc
	s_cbranch_execz .LBB51_186
; %bb.185:
	v_mov_b32_e32 v26, 0
	ds_read_b64 v[10:11], v26 offset:27552
	s_mov_b64 s[10:11], 0x3f800000
	v_mov_b32_e32 v25, s11
	v_mov_b32_e32 v24, s10
	s_movk_i32 s10, 0x6800
	ds_write_b64 v26, v[24:25] offset:27560
	v_add_u32_e64 v26, s10, 0
	s_waitcnt lgkmcnt(1)
	ds_write2_b64 v26, v[24:25], v[10:11] offset0:52 offset1:53
.LBB51_186:
	s_or_b64 exec, exec, s[0:1]
	v_mov_b32_e32 v11, 0
	v_mov_b32_e32 v10, 0
	s_waitcnt lgkmcnt(0)
	s_barrier
	buffer_wbinvl1_vol
	s_and_saveexec_b64 s[0:1], s[18:19]
	s_cbranch_execz .LBB51_192
; %bb.187:
	v_lshlrev_b32_e32 v24, 3, v18
	v_lshlrev_b32_e32 v25, 9, v19
	ds_read_b64 v[10:11], v24 offset:27008
	ds_read_b64 v[26:27], v25 offset:27040
	v_cmp_gt_u32_e64 s[10:11], 12, v15
	s_waitcnt lgkmcnt(0)
	v_mul_f32_e32 v28, v27, v11
	v_mul_f32_e32 v11, v26, v11
	v_fma_f32 v26, v26, v10, -v28
	v_fmac_f32_e32 v11, v27, v10
	v_add_f32_e32 v10, 0, v26
	v_add_f32_e32 v11, 0, v11
	s_and_saveexec_b64 s[14:15], s[10:11]
	s_cbranch_execnz .LBB51_1069
; %bb.188:
	s_or_b64 exec, exec, s[14:15]
	v_cmp_gt_u32_e64 s[10:11], 8, v15
	s_and_saveexec_b64 s[14:15], s[10:11]
	s_cbranch_execnz .LBB51_1070
.LBB51_189:
	s_or_b64 exec, exec, s[14:15]
	v_cmp_gt_u32_e64 s[10:11], 4, v15
	s_and_saveexec_b64 s[14:15], s[10:11]
	s_cbranch_execz .LBB51_191
.LBB51_190:
	v_lshlrev_b32_e32 v24, 3, v0
	v_mov_b32_e32 v26, 0
	ds_read_b64 v[24:25], v24 offset:28544
	ds_read_b64 v[26:27], v26 offset:28600
	s_waitcnt lgkmcnt(0)
	v_mul_f32_e32 v28, v27, v25
	v_mul_f32_e32 v25, v26, v25
	v_fma_f32 v26, v26, v24, -v28
	v_fmac_f32_e32 v25, v27, v24
	v_add_f32_e32 v10, v10, v26
	v_add_f32_e32 v11, v11, v25
.LBB51_191:
	s_or_b64 exec, exec, s[14:15]
.LBB51_192:
	s_or_b64 exec, exec, s[0:1]
	s_and_saveexec_b64 s[0:1], s[38:39]
; %bb.193:
	v_xor_b32_e32 v24, 0x80000000, v10
	v_xor_b32_e32 v25, 0x80000000, v11
	ds_write_b64 v20, v[24:25]
; %bb.194:
	s_or_b64 exec, exec, s[0:1]
	s_waitcnt lgkmcnt(0)
	s_barrier
	s_and_saveexec_b64 s[0:1], s[42:43]
	s_cbranch_execz .LBB51_196
; %bb.195:
	v_lshlrev_b32_e32 v24, 3, v18
	ds_read_b64 v[24:25], v24 offset:26496
	ds_read_b64 v[26:27], v20
	s_waitcnt lgkmcnt(0)
	v_mul_f32_e32 v28, v27, v25
	v_mul_f32_e32 v25, v26, v25
	v_fma_f32 v26, v26, v24, -v28
	v_fmac_f32_e32 v25, v27, v24
	v_sub_f32_e32 v10, v10, v26
	v_sub_f32_e32 v11, v11, v25
.LBB51_196:
	s_or_b64 exec, exec, s[0:1]
	s_barrier
	s_and_saveexec_b64 s[0:1], s[44:45]
; %bb.197:
	v_xor_b32_e32 v24, 0x80000000, v10
	v_xor_b32_e32 v25, 0x80000000, v11
	ds_write_b64 v20, v[24:25]
; %bb.198:
	s_or_b64 exec, exec, s[0:1]
	s_waitcnt lgkmcnt(0)
	s_barrier
	s_and_saveexec_b64 s[0:1], s[52:53]
	s_cbranch_execz .LBB51_200
; %bb.199:
	v_lshlrev_b32_e32 v24, 3, v18
	ds_read_b64 v[24:25], v24 offset:25984
	ds_read_b64 v[26:27], v20
	s_waitcnt lgkmcnt(0)
	v_mul_f32_e32 v28, v27, v25
	v_mul_f32_e32 v25, v26, v25
	v_fma_f32 v26, v26, v24, -v28
	v_fmac_f32_e32 v25, v27, v24
	v_sub_f32_e32 v10, v10, v26
	v_sub_f32_e32 v11, v11, v25
.LBB51_200:
	s_or_b64 exec, exec, s[0:1]
	s_barrier
	s_and_saveexec_b64 s[0:1], s[54:55]
; %bb.201:
	v_xor_b32_e32 v24, 0x80000000, v10
	v_xor_b32_e32 v25, 0x80000000, v11
	ds_write_b64 v20, v[24:25]
; %bb.202:
	s_or_b64 exec, exec, s[0:1]
	s_waitcnt lgkmcnt(0)
	s_barrier
	s_and_saveexec_b64 s[0:1], s[36:37]
	s_cbranch_execz .LBB51_204
; %bb.203:
	v_mov_b32_e32 v24, 0
	ds_read_b64 v[24:25], v24 offset:25472
	ds_read_b64 v[26:27], v20
	s_waitcnt lgkmcnt(0)
	v_mul_f32_e32 v28, v27, v25
	v_mul_f32_e32 v25, v26, v25
	v_fma_f32 v26, v26, v24, -v28
	v_fmac_f32_e32 v25, v27, v24
	v_sub_f32_e32 v10, v10, v26
	v_sub_f32_e32 v11, v11, v25
.LBB51_204:
	s_or_b64 exec, exec, s[0:1]
	s_barrier
	s_and_saveexec_b64 s[0:1], s[36:37]
; %bb.205:
	v_xor_b32_e32 v24, 0x80000000, v10
	v_xor_b32_e32 v25, 0x80000000, v11
	ds_write_b64 v20, v[24:25]
; %bb.206:
	s_or_b64 exec, exec, s[0:1]
	s_waitcnt lgkmcnt(0)
	s_barrier
	s_barrier
	s_and_saveexec_b64 s[0:1], s[18:19]
; %bb.207:
	v_lshlrev_b32_e32 v24, 3, v18
	v_lshl_or_b32 v24, v19, 9, v24
	ds_write_b64 v24, v[10:11] offset:27008
; %bb.208:
	s_or_b64 exec, exec, s[0:1]
	s_waitcnt lgkmcnt(0)
	s_barrier
	s_barrier
	s_and_saveexec_b64 s[0:1], s[56:57]
	s_cbranch_execz .LBB51_210
; %bb.209:
	v_lshlrev_b32_e32 v24, 9, v0
	ds_read_b64 v[10:11], v24 offset:27008
	s_movk_i32 s10, 0xfe08
	v_mad_i32_i24 v25, v0, s10, v24
	s_waitcnt lgkmcnt(0)
	ds_write_b64 v25, v[10:11] offset:24992
	ds_read_b64 v[10:11], v24 offset:27016
	s_waitcnt lgkmcnt(0)
	ds_write_b64 v25, v[10:11] offset:25504
	ds_read_b64 v[10:11], v24 offset:27024
	;; [unrolled: 3-line block ×3, first 2 shown]
	s_waitcnt lgkmcnt(0)
	ds_write_b64 v25, v[10:11] offset:26528
.LBB51_210:
	s_or_b64 exec, exec, s[0:1]
	s_waitcnt lgkmcnt(0)
	s_barrier
	s_and_saveexec_b64 s[0:1], vcc
	s_cbranch_execz .LBB51_212
; %bb.211:
	v_mov_b32_e32 v26, 0
	ds_read_b64 v[10:11], v26 offset:26512
	s_mov_b64 s[10:11], 0x3f800000
	v_mov_b32_e32 v25, s11
	v_mov_b32_e32 v24, s10
	s_movk_i32 s10, 0x6000
	ds_write_b64 v26, v[24:25] offset:26520
	v_add_u32_e64 v26, s10, 0
	s_waitcnt lgkmcnt(1)
	ds_write2_b64 v26, v[24:25], v[10:11] offset0:178 offset1:179
.LBB51_212:
	s_or_b64 exec, exec, s[0:1]
	v_mov_b32_e32 v10, 0
	v_mov_b32_e32 v11, 0
	s_waitcnt lgkmcnt(0)
	s_barrier
	buffer_wbinvl1_vol
	s_and_saveexec_b64 s[0:1], s[2:3]
	s_cbranch_execz .LBB51_216
; %bb.213:
	v_lshlrev_b32_e32 v10, 3, v12
	v_lshlrev_b32_e32 v24, 9, v13
	ds_read_b64 v[10:11], v10 offset:25984
	ds_read_b64 v[24:25], v24 offset:26000
	v_cmp_gt_u32_e64 s[10:11], 2, v15
	s_waitcnt lgkmcnt(0)
	v_mul_f32_e32 v26, v25, v11
	v_mul_f32_e32 v11, v24, v11
	v_fma_f32 v24, v24, v10, -v26
	v_fmac_f32_e32 v11, v25, v10
	v_add_f32_e32 v10, 0, v24
	v_add_f32_e32 v11, 0, v11
	s_and_saveexec_b64 s[14:15], s[10:11]
	s_cbranch_execz .LBB51_215
; %bb.214:
	v_lshlrev_b32_e32 v24, 3, v0
	v_mov_b32_e32 v26, 0
	ds_read_b64 v[24:25], v24 offset:26496
	ds_read_b64 v[26:27], v26 offset:26520
	s_waitcnt lgkmcnt(0)
	v_mul_f32_e32 v28, v27, v25
	v_mul_f32_e32 v25, v26, v25
	v_fma_f32 v26, v26, v24, -v28
	v_fmac_f32_e32 v25, v27, v24
	v_add_f32_e32 v10, v10, v26
	v_add_f32_e32 v11, v11, v25
.LBB51_215:
	s_or_b64 exec, exec, s[14:15]
.LBB51_216:
	s_or_b64 exec, exec, s[0:1]
	s_and_saveexec_b64 s[0:1], s[30:31]
; %bb.217:
	v_xor_b32_e32 v25, 0x80000000, v11
	v_xor_b32_e32 v24, 0x80000000, v10
	ds_write_b64 v14, v[24:25]
; %bb.218:
	s_or_b64 exec, exec, s[0:1]
	s_waitcnt lgkmcnt(0)
	s_barrier
	s_and_saveexec_b64 s[0:1], s[28:29]
	s_cbranch_execz .LBB51_220
; %bb.219:
	v_mov_b32_e32 v24, 0
	ds_read_b64 v[24:25], v24 offset:25472
	ds_read_b64 v[26:27], v14
	s_waitcnt lgkmcnt(0)
	v_mul_f32_e32 v28, v26, v24
	v_mul_f32_e32 v26, v26, v25
	v_fmac_f32_e32 v26, v27, v24
	v_fma_f32 v24, v27, v25, -v28
	v_add_f32_e32 v10, v10, v24
	v_sub_f32_e32 v11, v11, v26
.LBB51_220:
	s_or_b64 exec, exec, s[0:1]
	s_barrier
	s_and_saveexec_b64 s[0:1], s[28:29]
; %bb.221:
	v_xor_b32_e32 v25, 0x80000000, v11
	v_xor_b32_e32 v24, 0x80000000, v10
	ds_write_b64 v14, v[24:25]
; %bb.222:
	s_or_b64 exec, exec, s[0:1]
	s_waitcnt lgkmcnt(0)
	s_barrier
	s_barrier
	s_and_saveexec_b64 s[0:1], s[2:3]
; %bb.223:
	v_lshlrev_b32_e32 v24, 3, v12
	v_lshl_or_b32 v24, v13, 9, v24
	ds_write_b64 v24, v[10:11] offset:25984
; %bb.224:
	s_or_b64 exec, exec, s[0:1]
	s_waitcnt lgkmcnt(0)
	s_barrier
	s_barrier
	s_and_saveexec_b64 s[0:1], s[34:35]
	s_cbranch_execz .LBB51_226
; %bb.225:
	v_lshlrev_b32_e32 v24, 3, v0
	s_movk_i32 s10, 0x1f8
	v_mad_u32_u24 v25, v0, s10, v24
	ds_read_b64 v[10:11], v25 offset:25984
	s_waitcnt lgkmcnt(0)
	ds_write_b64 v24, v[10:11] offset:24976
	ds_read_b64 v[10:11], v25 offset:25992
	s_waitcnt lgkmcnt(0)
	ds_write_b64 v24, v[10:11] offset:25488
.LBB51_226:
	s_or_b64 exec, exec, s[0:1]
	s_waitcnt lgkmcnt(0)
	s_barrier
	s_and_saveexec_b64 s[0:1], vcc
	s_cbranch_execz .LBB51_228
; %bb.227:
	v_mov_b32_e32 v26, 0
	ds_read_b64 v[10:11], v26 offset:25472
	s_mov_b64 s[10:11], 0x3f800000
	v_mov_b32_e32 v25, s11
	v_mov_b32_e32 v24, s10
	s_movk_i32 s10, 0x6000
	ds_write_b64 v26, v[24:25] offset:25480
	v_add_u32_e64 v26, s10, 0
	s_waitcnt lgkmcnt(1)
	ds_write2_b64 v26, v[24:25], v[10:11] offset0:48 offset1:49
.LBB51_228:
	s_or_b64 exec, exec, s[0:1]
	s_movk_i32 s0, 0xff
	v_lshrrev_b32_e32 v26, 4, v15
	v_cmp_lt_u32_e64 s[14:15], s0, v15
	s_movk_i32 s0, 0x100
	v_and_b32_e32 v24, 15, v0
	v_sub_u32_e32 v25, 15, v26
	v_cmp_gt_u32_e64 s[10:11], s0, v15
	v_mov_b32_e32 v11, 0
	v_mov_b32_e32 v10, 0
	s_waitcnt lgkmcnt(0)
	s_barrier
	buffer_wbinvl1_vol
	s_and_saveexec_b64 s[0:1], s[10:11]
	s_cbranch_execz .LBB51_256
; %bb.229:
	v_lshlrev_b32_e32 v27, 3, v24
	v_lshlrev_b32_e32 v28, 9, v25
	ds_read_b64 v[10:11], v27 offset:24832
	ds_read_b64 v[29:30], v28 offset:24960
	s_movk_i32 s16, 0xf0
	v_cmp_gt_u32_e64 s[16:17], s16, v15
	s_waitcnt lgkmcnt(0)
	v_mul_f32_e32 v31, v30, v11
	v_mul_f32_e32 v11, v29, v11
	v_fma_f32 v29, v29, v10, -v31
	v_fmac_f32_e32 v11, v30, v10
	v_add_f32_e32 v10, 0, v29
	v_add_f32_e32 v11, 0, v11
	s_and_saveexec_b64 s[20:21], s[16:17]
	s_cbranch_execz .LBB51_231
; %bb.230:
	ds_read_b64 v[29:30], v27 offset:25344
	ds_read_b64 v[31:32], v28 offset:24968
	s_waitcnt lgkmcnt(0)
	v_mul_f32_e32 v33, v32, v30
	v_mul_f32_e32 v30, v31, v30
	v_fma_f32 v31, v31, v29, -v33
	v_fmac_f32_e32 v30, v32, v29
	v_add_f32_e32 v10, v10, v31
	v_add_f32_e32 v11, v11, v30
.LBB51_231:
	s_or_b64 exec, exec, s[20:21]
	s_movk_i32 s16, 0xe0
	v_cmp_gt_u32_e64 s[16:17], s16, v15
	s_and_saveexec_b64 s[20:21], s[16:17]
	s_cbranch_execz .LBB51_233
; %bb.232:
	ds_read_b64 v[29:30], v27 offset:25856
	ds_read_b64 v[31:32], v28 offset:24976
	s_waitcnt lgkmcnt(0)
	v_mul_f32_e32 v33, v32, v30
	v_mul_f32_e32 v30, v31, v30
	v_fma_f32 v31, v31, v29, -v33
	v_fmac_f32_e32 v30, v32, v29
	v_add_f32_e32 v10, v10, v31
	v_add_f32_e32 v11, v11, v30
.LBB51_233:
	s_or_b64 exec, exec, s[20:21]
	s_movk_i32 s16, 0xd0
	v_cmp_gt_u32_e64 s[16:17], s16, v15
	;; [unrolled: 16-line block ×10, first 2 shown]
	s_and_saveexec_b64 s[20:21], s[16:17]
	s_cbranch_execnz .LBB51_1071
; %bb.250:
	s_or_b64 exec, exec, s[20:21]
	s_and_saveexec_b64 s[16:17], s[8:9]
	s_cbranch_execnz .LBB51_1072
.LBB51_251:
	s_or_b64 exec, exec, s[16:17]
	v_cmp_gt_u32_e64 s[16:17], 48, v15
	s_and_saveexec_b64 s[20:21], s[16:17]
	s_cbranch_execnz .LBB51_1073
.LBB51_252:
	s_or_b64 exec, exec, s[20:21]
	v_cmp_gt_u32_e64 s[16:17], 32, v15
	s_and_saveexec_b64 s[20:21], s[16:17]
	s_cbranch_execnz .LBB51_1074
.LBB51_253:
	s_or_b64 exec, exec, s[20:21]
	v_cmp_gt_u32_e64 s[16:17], 16, v15
	s_and_saveexec_b64 s[20:21], s[16:17]
	s_cbranch_execz .LBB51_255
.LBB51_254:
	v_lshlrev_b32_e32 v27, 3, v0
	v_mov_b32_e32 v29, 0
	ds_read_b64 v[27:28], v27 offset:32512
	ds_read_b64 v[29:30], v29 offset:32760
	s_waitcnt lgkmcnt(0)
	v_mul_f32_e32 v31, v30, v28
	v_mul_f32_e32 v28, v29, v28
	v_fma_f32 v29, v29, v27, -v31
	v_fmac_f32_e32 v28, v30, v27
	v_add_f32_e32 v10, v10, v29
	v_add_f32_e32 v11, v11, v28
.LBB51_255:
	s_or_b64 exec, exec, s[20:21]
.LBB51_256:
	s_or_b64 exec, exec, s[0:1]
	v_mov_b32_e32 v27, 0x8000
	v_lshl_add_u32 v26, v26, 3, v27
	v_cmp_eq_u32_e64 s[16:17], 15, v24
	s_xor_b64 s[20:21], s[14:15], -1
	s_and_b64 s[14:15], s[16:17], s[20:21]
	s_mov_b64 s[0:1], exec
	v_writelane_b32 v37, s14, 2
	v_writelane_b32 v37, s15, 3
	s_and_b64 s[14:15], s[0:1], s[14:15]
	s_mov_b64 exec, s[14:15]
; %bb.257:
	v_xor_b32_e32 v27, 0x80000000, v10
	v_xor_b32_e32 v28, 0x80000000, v11
	ds_write_b64 v26, v[27:28]
; %bb.258:
	s_or_b64 exec, exec, s[0:1]
	v_cmp_ne_u32_e64 s[14:15], 15, v24
	s_waitcnt lgkmcnt(0)
	s_barrier
	s_and_b64 s[14:15], s[14:15], s[20:21]
	s_mov_b64 s[0:1], exec
	v_writelane_b32 v37, s14, 4
	v_writelane_b32 v37, s15, 5
	s_and_b64 s[14:15], s[0:1], s[14:15]
	s_mov_b64 exec, s[14:15]
	s_cbranch_execz .LBB51_260
; %bb.259:
	v_lshlrev_b32_e32 v27, 3, v24
	ds_read_b64 v[27:28], v27 offset:24320
	ds_read_b64 v[29:30], v26
	s_waitcnt lgkmcnt(0)
	v_mul_f32_e32 v31, v30, v28
	v_mul_f32_e32 v28, v29, v28
	v_fma_f32 v29, v29, v27, -v31
	v_fmac_f32_e32 v28, v30, v27
	v_sub_f32_e32 v10, v10, v29
	v_sub_f32_e32 v11, v11, v28
.LBB51_260:
	s_or_b64 exec, exec, s[0:1]
	v_cmp_eq_u32_e64 s[14:15], 14, v24
	s_barrier
	s_and_b64 s[14:15], s[14:15], s[20:21]
	s_mov_b64 s[0:1], exec
	v_writelane_b32 v37, s14, 6
	v_writelane_b32 v37, s15, 7
	s_and_b64 s[14:15], s[0:1], s[14:15]
	s_mov_b64 exec, s[14:15]
; %bb.261:
	v_xor_b32_e32 v27, 0x80000000, v10
	v_xor_b32_e32 v28, 0x80000000, v11
	ds_write_b64 v26, v[27:28]
; %bb.262:
	s_or_b64 exec, exec, s[0:1]
	v_cmp_gt_u32_e64 s[14:15], 14, v24
	s_waitcnt lgkmcnt(0)
	s_barrier
	s_and_b64 s[14:15], s[14:15], s[20:21]
	s_mov_b64 s[0:1], exec
	v_writelane_b32 v37, s14, 8
	v_writelane_b32 v37, s15, 9
	s_and_b64 s[14:15], s[0:1], s[14:15]
	s_mov_b64 exec, s[14:15]
	s_cbranch_execz .LBB51_264
; %bb.263:
	v_lshlrev_b32_e32 v27, 3, v24
	ds_read_b64 v[27:28], v27 offset:23808
	ds_read_b64 v[29:30], v26
	s_waitcnt lgkmcnt(0)
	v_mul_f32_e32 v31, v30, v28
	v_mul_f32_e32 v28, v29, v28
	v_fma_f32 v29, v29, v27, -v31
	v_fmac_f32_e32 v28, v30, v27
	v_sub_f32_e32 v10, v10, v29
	v_sub_f32_e32 v11, v11, v28
.LBB51_264:
	s_or_b64 exec, exec, s[0:1]
	v_cmp_eq_u32_e64 s[14:15], 13, v24
	s_barrier
	s_and_b64 s[14:15], s[14:15], s[20:21]
	s_mov_b64 s[0:1], exec
	v_writelane_b32 v37, s14, 10
	v_writelane_b32 v37, s15, 11
	s_and_b64 s[14:15], s[0:1], s[14:15]
	s_mov_b64 exec, s[14:15]
; %bb.265:
	v_xor_b32_e32 v27, 0x80000000, v10
	v_xor_b32_e32 v28, 0x80000000, v11
	ds_write_b64 v26, v[27:28]
; %bb.266:
	s_or_b64 exec, exec, s[0:1]
	v_cmp_gt_u32_e64 s[14:15], 13, v24
	;; [unrolled: 37-line block ×13, first 2 shown]
	s_waitcnt lgkmcnt(0)
	s_barrier
	s_and_b64 s[14:15], s[14:15], s[20:21]
	s_mov_b64 s[0:1], exec
	v_writelane_b32 v37, s14, 56
	v_writelane_b32 v37, s15, 57
	s_and_b64 s[14:15], s[0:1], s[14:15]
	s_mov_b64 exec, s[14:15]
	s_cbranch_execz .LBB51_312
; %bb.311:
	v_lshlrev_b32_e32 v27, 3, v24
	ds_read_b64 v[27:28], v27 offset:17664
	ds_read_b64 v[29:30], v26
	s_waitcnt lgkmcnt(0)
	v_mul_f32_e32 v31, v30, v28
	v_mul_f32_e32 v28, v29, v28
	v_fma_f32 v29, v29, v27, -v31
	v_fmac_f32_e32 v28, v30, v27
	v_sub_f32_e32 v10, v10, v29
	v_sub_f32_e32 v11, v11, v28
.LBB51_312:
	s_or_b64 exec, exec, s[0:1]
	v_cmp_eq_u32_e64 s[14:15], 1, v24
	s_and_b64 s[0:1], s[14:15], s[20:21]
	s_barrier
	s_and_saveexec_b64 s[14:15], s[0:1]
; %bb.313:
	v_xor_b32_e32 v27, 0x80000000, v10
	v_xor_b32_e32 v28, 0x80000000, v11
	ds_write_b64 v26, v[27:28]
; %bb.314:
	s_or_b64 exec, exec, s[14:15]
	v_cmp_eq_u32_e64 s[14:15], 0, v24
	s_and_b64 s[94:95], s[14:15], s[20:21]
	s_waitcnt lgkmcnt(0)
	s_barrier
	s_and_saveexec_b64 s[14:15], s[94:95]
	s_cbranch_execz .LBB51_316
; %bb.315:
	v_mov_b32_e32 v27, 0
	ds_read_b64 v[27:28], v27 offset:17152
	ds_read_b64 v[29:30], v26
	s_waitcnt lgkmcnt(0)
	v_mul_f32_e32 v31, v30, v28
	v_mul_f32_e32 v28, v29, v28
	v_fma_f32 v29, v29, v27, -v31
	v_fmac_f32_e32 v28, v30, v27
	v_sub_f32_e32 v10, v10, v29
	v_sub_f32_e32 v11, v11, v28
.LBB51_316:
	s_or_b64 exec, exec, s[14:15]
	s_barrier
	s_and_saveexec_b64 s[14:15], s[94:95]
; %bb.317:
	v_xor_b32_e32 v27, 0x80000000, v10
	v_xor_b32_e32 v28, 0x80000000, v11
	ds_write_b64 v26, v[27:28]
; %bb.318:
	s_or_b64 exec, exec, s[14:15]
	s_waitcnt lgkmcnt(0)
	s_barrier
	s_barrier
	s_and_saveexec_b64 s[14:15], s[10:11]
; %bb.319:
	v_lshlrev_b32_e32 v27, 3, v24
	v_lshl_or_b32 v27, v25, 9, v27
	ds_write_b64 v27, v[10:11] offset:24832
; %bb.320:
	s_or_b64 exec, exec, s[14:15]
	v_cmp_gt_u32_e64 s[14:15], 16, v0
	s_waitcnt lgkmcnt(0)
	s_barrier
	s_barrier
	s_and_b64 s[16:17], s[12:13], s[14:15]
	s_mov_b64 s[14:15], exec
	v_writelane_b32 v37, s16, 58
	v_writelane_b32 v37, s17, 59
	s_and_b64 s[16:17], s[14:15], s[16:17]
	s_mov_b64 exec, s[16:17]
	s_cbranch_execz .LBB51_322
; %bb.321:
	v_lshlrev_b32_e32 v27, 9, v0
	ds_read_b64 v[10:11], v27 offset:24832
	s_movk_i32 s16, 0xfe08
	v_mad_i32_i24 v28, v0, s16, v27
	s_waitcnt lgkmcnt(0)
	ds_write_b64 v28, v[10:11] offset:16768
	ds_read_b64 v[10:11], v27 offset:24840
	s_waitcnt lgkmcnt(0)
	ds_write_b64 v28, v[10:11] offset:17280
	ds_read_b64 v[10:11], v27 offset:24848
	;; [unrolled: 3-line block ×15, first 2 shown]
	s_waitcnt lgkmcnt(0)
	ds_write_b64 v28, v[10:11] offset:24448
.LBB51_322:
	s_or_b64 exec, exec, s[14:15]
	s_waitcnt lgkmcnt(0)
	s_barrier
	s_and_saveexec_b64 s[14:15], vcc
	s_cbranch_execz .LBB51_324
; %bb.323:
	v_mov_b32_e32 v29, 0
	ds_read_b64 v[10:11], v29 offset:24432
	s_mov_b64 s[16:17], 0x3f800000
	v_mov_b32_e32 v28, s17
	v_mov_b32_e32 v27, s16
	s_movk_i32 s16, 0x5800
	ds_write_b64 v29, v[27:28] offset:24440
	v_add_u32_e64 v29, s16, 0
	s_waitcnt lgkmcnt(1)
	ds_write2_b64 v29, v[27:28], v[10:11] offset0:174 offset1:175
.LBB51_324:
	s_or_b64 exec, exec, s[14:15]
	v_mov_b32_e32 v10, 0
	v_mov_b32_e32 v11, 0
	s_waitcnt lgkmcnt(0)
	s_barrier
	buffer_wbinvl1_vol
	s_and_saveexec_b64 s[16:17], s[2:3]
	s_cbranch_execz .LBB51_328
; %bb.325:
	v_lshlrev_b32_e32 v10, 3, v12
	v_lshlrev_b32_e32 v27, 9, v13
	ds_read_b64 v[10:11], v10 offset:23904
	ds_read_b64 v[27:28], v27 offset:23920
	v_cmp_gt_u32_e64 s[14:15], 2, v15
	s_waitcnt lgkmcnt(0)
	v_mul_f32_e32 v29, v28, v11
	v_mul_f32_e32 v11, v27, v11
	v_fma_f32 v27, v27, v10, -v29
	v_fmac_f32_e32 v11, v28, v10
	v_add_f32_e32 v10, 0, v27
	v_add_f32_e32 v11, 0, v11
	s_and_saveexec_b64 s[20:21], s[14:15]
	s_cbranch_execz .LBB51_327
; %bb.326:
	v_lshlrev_b32_e32 v27, 3, v0
	v_mov_b32_e32 v29, 0
	ds_read_b64 v[27:28], v27 offset:24416
	ds_read_b64 v[29:30], v29 offset:24440
	s_waitcnt lgkmcnt(0)
	v_mul_f32_e32 v31, v30, v28
	v_mul_f32_e32 v28, v29, v28
	v_fma_f32 v29, v29, v27, -v31
	v_fmac_f32_e32 v28, v30, v27
	v_add_f32_e32 v10, v10, v29
	v_add_f32_e32 v11, v11, v28
.LBB51_327:
	s_or_b64 exec, exec, s[20:21]
.LBB51_328:
	s_or_b64 exec, exec, s[16:17]
	s_and_saveexec_b64 s[14:15], s[30:31]
; %bb.329:
	v_xor_b32_e32 v28, 0x80000000, v11
	v_xor_b32_e32 v27, 0x80000000, v10
	ds_write_b64 v14, v[27:28]
; %bb.330:
	s_or_b64 exec, exec, s[14:15]
	s_waitcnt lgkmcnt(0)
	s_barrier
	s_and_saveexec_b64 s[14:15], s[28:29]
	s_cbranch_execz .LBB51_332
; %bb.331:
	v_mov_b32_e32 v27, 0
	ds_read_b64 v[27:28], v27 offset:23392
	ds_read_b64 v[29:30], v14
	s_waitcnt lgkmcnt(0)
	v_mul_f32_e32 v31, v29, v27
	v_mul_f32_e32 v29, v29, v28
	v_fmac_f32_e32 v29, v30, v27
	v_fma_f32 v27, v30, v28, -v31
	v_add_f32_e32 v10, v10, v27
	v_sub_f32_e32 v11, v11, v29
.LBB51_332:
	s_or_b64 exec, exec, s[14:15]
	s_barrier
	s_and_saveexec_b64 s[14:15], s[28:29]
; %bb.333:
	v_xor_b32_e32 v28, 0x80000000, v11
	v_xor_b32_e32 v27, 0x80000000, v10
	ds_write_b64 v14, v[27:28]
; %bb.334:
	s_or_b64 exec, exec, s[14:15]
	s_waitcnt lgkmcnt(0)
	s_barrier
	s_barrier
	s_and_saveexec_b64 s[14:15], s[2:3]
; %bb.335:
	v_lshlrev_b32_e32 v27, 3, v12
	v_lshl_or_b32 v27, v13, 9, v27
	ds_write_b64 v27, v[10:11] offset:23904
; %bb.336:
	s_or_b64 exec, exec, s[14:15]
	s_waitcnt lgkmcnt(0)
	s_barrier
	s_barrier
	s_and_saveexec_b64 s[14:15], s[34:35]
	s_cbranch_execz .LBB51_338
; %bb.337:
	v_lshlrev_b32_e32 v27, 3, v0
	s_movk_i32 s16, 0x1f8
	v_mad_u32_u24 v28, v0, s16, v27
	ds_read_b64 v[10:11], v28 offset:23904
	s_waitcnt lgkmcnt(0)
	ds_write_b64 v27, v[10:11] offset:22896
	ds_read_b64 v[10:11], v28 offset:23912
	s_waitcnt lgkmcnt(0)
	ds_write_b64 v27, v[10:11] offset:23408
.LBB51_338:
	s_or_b64 exec, exec, s[14:15]
	s_waitcnt lgkmcnt(0)
	s_barrier
	s_and_saveexec_b64 s[14:15], vcc
	s_cbranch_execz .LBB51_340
; %bb.339:
	v_mov_b32_e32 v29, 0
	ds_read_b64 v[10:11], v29 offset:23392
	s_mov_b64 s[16:17], 0x3f800000
	v_mov_b32_e32 v28, s17
	v_mov_b32_e32 v27, s16
	s_movk_i32 s16, 0x5800
	ds_write_b64 v29, v[27:28] offset:23400
	v_add_u32_e64 v29, s16, 0
	s_waitcnt lgkmcnt(1)
	ds_write2_b64 v29, v[27:28], v[10:11] offset0:44 offset1:45
.LBB51_340:
	s_or_b64 exec, exec, s[14:15]
	v_mov_b32_e32 v11, 0
	v_mov_b32_e32 v10, 0
	s_waitcnt lgkmcnt(0)
	s_barrier
	buffer_wbinvl1_vol
	s_and_saveexec_b64 s[16:17], s[18:19]
	s_cbranch_execz .LBB51_346
; %bb.341:
	v_lshlrev_b32_e32 v27, 3, v18
	v_lshlrev_b32_e32 v28, 9, v19
	ds_read_b64 v[10:11], v27 offset:22848
	ds_read_b64 v[29:30], v28 offset:22880
	v_cmp_gt_u32_e64 s[14:15], 12, v15
	s_waitcnt lgkmcnt(0)
	v_mul_f32_e32 v31, v30, v11
	v_mul_f32_e32 v11, v29, v11
	v_fma_f32 v29, v29, v10, -v31
	v_fmac_f32_e32 v11, v30, v10
	v_add_f32_e32 v10, 0, v29
	v_add_f32_e32 v11, 0, v11
	s_and_saveexec_b64 s[20:21], s[14:15]
	s_cbranch_execnz .LBB51_1075
; %bb.342:
	s_or_b64 exec, exec, s[20:21]
	v_cmp_gt_u32_e64 s[14:15], 8, v15
	s_and_saveexec_b64 s[20:21], s[14:15]
	s_cbranch_execnz .LBB51_1076
.LBB51_343:
	s_or_b64 exec, exec, s[20:21]
	v_cmp_gt_u32_e64 s[14:15], 4, v15
	s_and_saveexec_b64 s[20:21], s[14:15]
	s_cbranch_execz .LBB51_345
.LBB51_344:
	v_lshlrev_b32_e32 v27, 3, v0
	v_mov_b32_e32 v29, 0
	ds_read_b64 v[27:28], v27 offset:24384
	ds_read_b64 v[29:30], v29 offset:24440
	s_waitcnt lgkmcnt(0)
	v_mul_f32_e32 v31, v30, v28
	v_mul_f32_e32 v28, v29, v28
	v_fma_f32 v29, v29, v27, -v31
	v_fmac_f32_e32 v28, v30, v27
	v_add_f32_e32 v10, v10, v29
	v_add_f32_e32 v11, v11, v28
.LBB51_345:
	s_or_b64 exec, exec, s[20:21]
.LBB51_346:
	s_or_b64 exec, exec, s[16:17]
	s_and_saveexec_b64 s[14:15], s[38:39]
; %bb.347:
	v_xor_b32_e32 v27, 0x80000000, v10
	v_xor_b32_e32 v28, 0x80000000, v11
	ds_write_b64 v20, v[27:28]
; %bb.348:
	s_or_b64 exec, exec, s[14:15]
	s_waitcnt lgkmcnt(0)
	s_barrier
	s_and_saveexec_b64 s[14:15], s[42:43]
	s_cbranch_execz .LBB51_350
; %bb.349:
	v_lshlrev_b32_e32 v27, 3, v18
	ds_read_b64 v[27:28], v27 offset:22336
	ds_read_b64 v[29:30], v20
	s_waitcnt lgkmcnt(0)
	v_mul_f32_e32 v31, v30, v28
	v_mul_f32_e32 v28, v29, v28
	v_fma_f32 v29, v29, v27, -v31
	v_fmac_f32_e32 v28, v30, v27
	v_sub_f32_e32 v10, v10, v29
	v_sub_f32_e32 v11, v11, v28
.LBB51_350:
	s_or_b64 exec, exec, s[14:15]
	s_barrier
	s_and_saveexec_b64 s[14:15], s[44:45]
; %bb.351:
	v_xor_b32_e32 v27, 0x80000000, v10
	v_xor_b32_e32 v28, 0x80000000, v11
	ds_write_b64 v20, v[27:28]
; %bb.352:
	s_or_b64 exec, exec, s[14:15]
	s_waitcnt lgkmcnt(0)
	s_barrier
	s_and_saveexec_b64 s[14:15], s[52:53]
	s_cbranch_execz .LBB51_354
; %bb.353:
	v_lshlrev_b32_e32 v27, 3, v18
	ds_read_b64 v[27:28], v27 offset:21824
	ds_read_b64 v[29:30], v20
	s_waitcnt lgkmcnt(0)
	v_mul_f32_e32 v31, v30, v28
	v_mul_f32_e32 v28, v29, v28
	v_fma_f32 v29, v29, v27, -v31
	v_fmac_f32_e32 v28, v30, v27
	v_sub_f32_e32 v10, v10, v29
	v_sub_f32_e32 v11, v11, v28
.LBB51_354:
	s_or_b64 exec, exec, s[14:15]
	s_barrier
	s_and_saveexec_b64 s[14:15], s[54:55]
; %bb.355:
	v_xor_b32_e32 v27, 0x80000000, v10
	v_xor_b32_e32 v28, 0x80000000, v11
	ds_write_b64 v20, v[27:28]
; %bb.356:
	s_or_b64 exec, exec, s[14:15]
	s_waitcnt lgkmcnt(0)
	s_barrier
	s_and_saveexec_b64 s[14:15], s[36:37]
	s_cbranch_execz .LBB51_358
; %bb.357:
	v_mov_b32_e32 v27, 0
	ds_read_b64 v[27:28], v27 offset:21312
	ds_read_b64 v[29:30], v20
	s_waitcnt lgkmcnt(0)
	v_mul_f32_e32 v31, v30, v28
	v_mul_f32_e32 v28, v29, v28
	v_fma_f32 v29, v29, v27, -v31
	v_fmac_f32_e32 v28, v30, v27
	v_sub_f32_e32 v10, v10, v29
	v_sub_f32_e32 v11, v11, v28
.LBB51_358:
	s_or_b64 exec, exec, s[14:15]
	s_barrier
	s_and_saveexec_b64 s[14:15], s[36:37]
; %bb.359:
	v_xor_b32_e32 v27, 0x80000000, v10
	v_xor_b32_e32 v28, 0x80000000, v11
	ds_write_b64 v20, v[27:28]
; %bb.360:
	s_or_b64 exec, exec, s[14:15]
	s_waitcnt lgkmcnt(0)
	s_barrier
	s_barrier
	s_and_saveexec_b64 s[14:15], s[18:19]
; %bb.361:
	v_lshlrev_b32_e32 v27, 3, v18
	v_lshl_or_b32 v27, v19, 9, v27
	ds_write_b64 v27, v[10:11] offset:22848
; %bb.362:
	s_or_b64 exec, exec, s[14:15]
	s_waitcnt lgkmcnt(0)
	s_barrier
	s_barrier
	s_and_saveexec_b64 s[14:15], s[56:57]
	s_cbranch_execz .LBB51_364
; %bb.363:
	v_lshlrev_b32_e32 v27, 9, v0
	ds_read_b64 v[10:11], v27 offset:22848
	s_movk_i32 s16, 0xfe08
	v_mad_i32_i24 v28, v0, s16, v27
	s_waitcnt lgkmcnt(0)
	ds_write_b64 v28, v[10:11] offset:20832
	ds_read_b64 v[10:11], v27 offset:22856
	s_waitcnt lgkmcnt(0)
	ds_write_b64 v28, v[10:11] offset:21344
	ds_read_b64 v[10:11], v27 offset:22864
	s_waitcnt lgkmcnt(0)
	ds_write_b64 v28, v[10:11] offset:21856
	ds_read_b64 v[10:11], v27 offset:22872
	s_waitcnt lgkmcnt(0)
	ds_write_b64 v28, v[10:11] offset:22368
.LBB51_364:
	s_or_b64 exec, exec, s[14:15]
	s_waitcnt lgkmcnt(0)
	s_barrier
	s_and_saveexec_b64 s[14:15], vcc
	s_cbranch_execz .LBB51_366
; %bb.365:
	v_mov_b32_e32 v29, 0
	ds_read_b64 v[10:11], v29 offset:22352
	s_mov_b64 s[16:17], 0x3f800000
	v_mov_b32_e32 v28, s17
	v_mov_b32_e32 v27, s16
	s_movk_i32 s16, 0x5000
	ds_write_b64 v29, v[27:28] offset:22360
	v_add_u32_e64 v29, s16, 0
	s_waitcnt lgkmcnt(1)
	ds_write2_b64 v29, v[27:28], v[10:11] offset0:170 offset1:171
.LBB51_366:
	s_or_b64 exec, exec, s[14:15]
	v_mov_b32_e32 v10, 0
	v_mov_b32_e32 v11, 0
	s_waitcnt lgkmcnt(0)
	s_barrier
	buffer_wbinvl1_vol
	s_and_saveexec_b64 s[16:17], s[2:3]
	s_cbranch_execz .LBB51_370
; %bb.367:
	v_lshlrev_b32_e32 v10, 3, v12
	v_lshlrev_b32_e32 v27, 9, v13
	ds_read_b64 v[10:11], v10 offset:21824
	ds_read_b64 v[27:28], v27 offset:21840
	v_cmp_gt_u32_e64 s[14:15], 2, v15
	s_waitcnt lgkmcnt(0)
	v_mul_f32_e32 v29, v28, v11
	v_mul_f32_e32 v11, v27, v11
	v_fma_f32 v27, v27, v10, -v29
	v_fmac_f32_e32 v11, v28, v10
	v_add_f32_e32 v10, 0, v27
	v_add_f32_e32 v11, 0, v11
	s_and_saveexec_b64 s[20:21], s[14:15]
	s_cbranch_execz .LBB51_369
; %bb.368:
	v_lshlrev_b32_e32 v27, 3, v0
	v_mov_b32_e32 v29, 0
	ds_read_b64 v[27:28], v27 offset:22336
	ds_read_b64 v[29:30], v29 offset:22360
	s_waitcnt lgkmcnt(0)
	v_mul_f32_e32 v31, v30, v28
	v_mul_f32_e32 v28, v29, v28
	v_fma_f32 v29, v29, v27, -v31
	v_fmac_f32_e32 v28, v30, v27
	v_add_f32_e32 v10, v10, v29
	v_add_f32_e32 v11, v11, v28
.LBB51_369:
	s_or_b64 exec, exec, s[20:21]
.LBB51_370:
	s_or_b64 exec, exec, s[16:17]
	s_and_saveexec_b64 s[14:15], s[30:31]
; %bb.371:
	v_xor_b32_e32 v28, 0x80000000, v11
	v_xor_b32_e32 v27, 0x80000000, v10
	ds_write_b64 v14, v[27:28]
; %bb.372:
	s_or_b64 exec, exec, s[14:15]
	s_waitcnt lgkmcnt(0)
	s_barrier
	s_and_saveexec_b64 s[14:15], s[28:29]
	s_cbranch_execz .LBB51_374
; %bb.373:
	v_mov_b32_e32 v27, 0
	ds_read_b64 v[27:28], v27 offset:21312
	ds_read_b64 v[29:30], v14
	s_waitcnt lgkmcnt(0)
	v_mul_f32_e32 v31, v29, v27
	v_mul_f32_e32 v29, v29, v28
	v_fmac_f32_e32 v29, v30, v27
	v_fma_f32 v27, v30, v28, -v31
	v_add_f32_e32 v10, v10, v27
	v_sub_f32_e32 v11, v11, v29
.LBB51_374:
	s_or_b64 exec, exec, s[14:15]
	s_barrier
	s_and_saveexec_b64 s[14:15], s[28:29]
; %bb.375:
	v_xor_b32_e32 v28, 0x80000000, v11
	v_xor_b32_e32 v27, 0x80000000, v10
	ds_write_b64 v14, v[27:28]
; %bb.376:
	s_or_b64 exec, exec, s[14:15]
	s_waitcnt lgkmcnt(0)
	s_barrier
	s_barrier
	s_and_saveexec_b64 s[14:15], s[2:3]
; %bb.377:
	v_lshlrev_b32_e32 v27, 3, v12
	v_lshl_or_b32 v27, v13, 9, v27
	ds_write_b64 v27, v[10:11] offset:21824
; %bb.378:
	s_or_b64 exec, exec, s[14:15]
	s_waitcnt lgkmcnt(0)
	s_barrier
	s_barrier
	s_and_saveexec_b64 s[14:15], s[34:35]
	s_cbranch_execz .LBB51_380
; %bb.379:
	v_lshlrev_b32_e32 v27, 3, v0
	s_movk_i32 s16, 0x1f8
	v_mad_u32_u24 v28, v0, s16, v27
	ds_read_b64 v[10:11], v28 offset:21824
	s_waitcnt lgkmcnt(0)
	ds_write_b64 v27, v[10:11] offset:20816
	ds_read_b64 v[10:11], v28 offset:21832
	s_waitcnt lgkmcnt(0)
	ds_write_b64 v27, v[10:11] offset:21328
.LBB51_380:
	s_or_b64 exec, exec, s[14:15]
	s_waitcnt lgkmcnt(0)
	s_barrier
	s_and_saveexec_b64 s[14:15], vcc
	s_cbranch_execz .LBB51_382
; %bb.381:
	v_mov_b32_e32 v29, 0
	ds_read_b64 v[10:11], v29 offset:21312
	s_mov_b64 s[16:17], 0x3f800000
	v_mov_b32_e32 v28, s17
	v_mov_b32_e32 v27, s16
	s_movk_i32 s16, 0x5000
	ds_write_b64 v29, v[27:28] offset:21320
	v_add_u32_e64 v29, s16, 0
	s_waitcnt lgkmcnt(1)
	ds_write2_b64 v29, v[27:28], v[10:11] offset0:40 offset1:41
.LBB51_382:
	s_or_b64 exec, exec, s[14:15]
	v_mov_b32_e32 v11, 0
	v_mov_b32_e32 v10, 0
	s_waitcnt lgkmcnt(0)
	s_barrier
	buffer_wbinvl1_vol
	s_and_saveexec_b64 s[16:17], s[8:9]
	s_cbranch_execz .LBB51_392
; %bb.383:
	v_lshlrev_b32_e32 v27, 3, v21
	v_lshlrev_b32_e32 v28, 9, v22
	ds_read_b64 v[10:11], v27 offset:20736
	ds_read_b64 v[29:30], v28 offset:20800
	v_cmp_gt_u32_e64 s[14:15], 56, v15
	s_waitcnt lgkmcnt(0)
	v_mul_f32_e32 v31, v30, v11
	v_mul_f32_e32 v11, v29, v11
	v_fma_f32 v29, v29, v10, -v31
	v_fmac_f32_e32 v11, v30, v10
	v_add_f32_e32 v10, 0, v29
	v_add_f32_e32 v11, 0, v11
	s_and_saveexec_b64 s[20:21], s[14:15]
	s_cbranch_execnz .LBB51_1077
; %bb.384:
	s_or_b64 exec, exec, s[20:21]
	v_cmp_gt_u32_e64 s[14:15], 48, v15
	s_and_saveexec_b64 s[20:21], s[14:15]
	s_cbranch_execnz .LBB51_1078
.LBB51_385:
	s_or_b64 exec, exec, s[20:21]
	v_cmp_gt_u32_e64 s[14:15], 40, v15
	s_and_saveexec_b64 s[20:21], s[14:15]
	s_cbranch_execnz .LBB51_1079
.LBB51_386:
	s_or_b64 exec, exec, s[20:21]
	v_cmp_gt_u32_e64 s[14:15], 32, v15
	s_and_saveexec_b64 s[20:21], s[14:15]
	s_cbranch_execnz .LBB51_1080
.LBB51_387:
	s_or_b64 exec, exec, s[20:21]
	v_cmp_gt_u32_e64 s[14:15], 24, v15
	s_and_saveexec_b64 s[20:21], s[14:15]
	s_cbranch_execnz .LBB51_1081
.LBB51_388:
	s_or_b64 exec, exec, s[20:21]
	s_and_saveexec_b64 s[14:15], s[18:19]
	s_cbranch_execnz .LBB51_1082
.LBB51_389:
	s_or_b64 exec, exec, s[14:15]
	v_cmp_gt_u32_e64 s[14:15], 8, v15
	s_and_saveexec_b64 s[20:21], s[14:15]
	s_cbranch_execz .LBB51_391
.LBB51_390:
	v_lshlrev_b32_e32 v27, 3, v0
	v_mov_b32_e32 v29, 0
	ds_read_b64 v[27:28], v27 offset:24320
	ds_read_b64 v[29:30], v29 offset:24440
	s_waitcnt lgkmcnt(0)
	v_mul_f32_e32 v31, v30, v28
	v_mul_f32_e32 v28, v29, v28
	v_fma_f32 v29, v29, v27, -v31
	v_fmac_f32_e32 v28, v30, v27
	v_add_f32_e32 v10, v10, v29
	v_add_f32_e32 v11, v11, v28
.LBB51_391:
	s_or_b64 exec, exec, s[20:21]
.LBB51_392:
	s_or_b64 exec, exec, s[16:17]
	s_and_saveexec_b64 s[14:15], s[60:61]
; %bb.393:
	v_xor_b32_e32 v28, 0x80000000, v11
	v_xor_b32_e32 v27, 0x80000000, v10
	ds_write_b64 v23, v[27:28]
; %bb.394:
	s_or_b64 exec, exec, s[14:15]
	s_waitcnt lgkmcnt(0)
	s_barrier
	s_and_saveexec_b64 s[14:15], s[62:63]
	s_cbranch_execz .LBB51_396
; %bb.395:
	v_lshlrev_b32_e32 v27, 3, v21
	ds_read_b64 v[27:28], v27 offset:20224
	ds_read_b64 v[29:30], v23
	s_waitcnt lgkmcnt(0)
	v_mul_f32_e32 v31, v30, v28
	v_mul_f32_e32 v28, v29, v28
	v_fma_f32 v29, v29, v27, -v31
	v_fmac_f32_e32 v28, v30, v27
	v_sub_f32_e32 v10, v10, v29
	v_sub_f32_e32 v11, v11, v28
.LBB51_396:
	s_or_b64 exec, exec, s[14:15]
	s_barrier
	s_and_saveexec_b64 s[14:15], s[64:65]
; %bb.397:
	v_xor_b32_e32 v28, 0x80000000, v11
	v_xor_b32_e32 v27, 0x80000000, v10
	ds_write_b64 v23, v[27:28]
; %bb.398:
	s_or_b64 exec, exec, s[14:15]
	s_waitcnt lgkmcnt(0)
	s_barrier
	s_and_saveexec_b64 s[14:15], s[66:67]
	s_cbranch_execz .LBB51_400
; %bb.399:
	v_lshlrev_b32_e32 v27, 3, v21
	ds_read_b64 v[27:28], v27 offset:19712
	ds_read_b64 v[29:30], v23
	s_waitcnt lgkmcnt(0)
	v_mul_f32_e32 v31, v30, v28
	v_mul_f32_e32 v28, v29, v28
	v_fma_f32 v29, v29, v27, -v31
	v_fmac_f32_e32 v28, v30, v27
	v_sub_f32_e32 v10, v10, v29
	v_sub_f32_e32 v11, v11, v28
.LBB51_400:
	s_or_b64 exec, exec, s[14:15]
	s_barrier
	;; [unrolled: 25-line block ×6, first 2 shown]
	s_and_saveexec_b64 s[14:15], s[84:85]
; %bb.417:
	v_xor_b32_e32 v28, 0x80000000, v11
	v_xor_b32_e32 v27, 0x80000000, v10
	ds_write_b64 v23, v[27:28]
; %bb.418:
	s_or_b64 exec, exec, s[14:15]
	s_waitcnt lgkmcnt(0)
	s_barrier
	s_and_saveexec_b64 s[14:15], s[58:59]
	s_cbranch_execz .LBB51_420
; %bb.419:
	v_mov_b32_e32 v27, 0
	ds_read_b64 v[27:28], v27 offset:17152
	ds_read_b64 v[29:30], v23
	s_waitcnt lgkmcnt(0)
	v_mul_f32_e32 v31, v30, v28
	v_mul_f32_e32 v28, v29, v28
	v_fma_f32 v29, v29, v27, -v31
	v_fmac_f32_e32 v28, v30, v27
	v_sub_f32_e32 v10, v10, v29
	v_sub_f32_e32 v11, v11, v28
.LBB51_420:
	s_or_b64 exec, exec, s[14:15]
	s_barrier
	s_and_saveexec_b64 s[14:15], s[58:59]
; %bb.421:
	v_xor_b32_e32 v28, 0x80000000, v11
	v_xor_b32_e32 v27, 0x80000000, v10
	ds_write_b64 v23, v[27:28]
; %bb.422:
	s_or_b64 exec, exec, s[14:15]
	s_waitcnt lgkmcnt(0)
	s_barrier
	s_barrier
	s_and_saveexec_b64 s[14:15], s[8:9]
; %bb.423:
	v_lshlrev_b32_e32 v27, 3, v21
	v_lshl_or_b32 v27, v22, 9, v27
	ds_write_b64 v27, v[10:11] offset:20736
; %bb.424:
	s_or_b64 exec, exec, s[14:15]
	s_waitcnt lgkmcnt(0)
	s_barrier
	s_barrier
	s_and_saveexec_b64 s[14:15], s[86:87]
	s_cbranch_execz .LBB51_426
; %bb.425:
	v_lshlrev_b32_e32 v27, 9, v0
	ds_read_b64 v[10:11], v27 offset:20736
	s_movk_i32 s16, 0xfe08
	v_mad_i32_i24 v28, v0, s16, v27
	s_waitcnt lgkmcnt(0)
	ds_write_b64 v28, v[10:11] offset:16704
	ds_read_b64 v[10:11], v27 offset:20744
	s_waitcnt lgkmcnt(0)
	ds_write_b64 v28, v[10:11] offset:17216
	ds_read_b64 v[10:11], v27 offset:20752
	;; [unrolled: 3-line block ×7, first 2 shown]
	s_waitcnt lgkmcnt(0)
	ds_write_b64 v28, v[10:11] offset:20288
.LBB51_426:
	s_or_b64 exec, exec, s[14:15]
	s_waitcnt lgkmcnt(0)
	s_barrier
	s_and_saveexec_b64 s[14:15], vcc
	s_cbranch_execz .LBB51_428
; %bb.427:
	v_mov_b32_e32 v29, 0
	ds_read_b64 v[10:11], v29 offset:20272
	s_mov_b64 s[16:17], 0x3f800000
	v_mov_b32_e32 v28, s17
	v_mov_b32_e32 v27, s16
	s_movk_i32 s16, 0x4800
	ds_write_b64 v29, v[27:28] offset:20280
	v_add_u32_e64 v29, s16, 0
	s_waitcnt lgkmcnt(1)
	ds_write2_b64 v29, v[27:28], v[10:11] offset0:166 offset1:167
.LBB51_428:
	s_or_b64 exec, exec, s[14:15]
	v_mov_b32_e32 v10, 0
	v_mov_b32_e32 v11, 0
	s_waitcnt lgkmcnt(0)
	s_barrier
	buffer_wbinvl1_vol
	s_and_saveexec_b64 s[16:17], s[2:3]
	s_cbranch_execz .LBB51_432
; %bb.429:
	v_lshlrev_b32_e32 v10, 3, v12
	v_lshlrev_b32_e32 v27, 9, v13
	ds_read_b64 v[10:11], v10 offset:19744
	ds_read_b64 v[27:28], v27 offset:19760
	v_cmp_gt_u32_e64 s[14:15], 2, v15
	s_waitcnt lgkmcnt(0)
	v_mul_f32_e32 v29, v28, v11
	v_mul_f32_e32 v11, v27, v11
	v_fma_f32 v27, v27, v10, -v29
	v_fmac_f32_e32 v11, v28, v10
	v_add_f32_e32 v10, 0, v27
	v_add_f32_e32 v11, 0, v11
	s_and_saveexec_b64 s[20:21], s[14:15]
	s_cbranch_execz .LBB51_431
; %bb.430:
	v_lshlrev_b32_e32 v27, 3, v0
	v_mov_b32_e32 v29, 0
	ds_read_b64 v[27:28], v27 offset:20256
	ds_read_b64 v[29:30], v29 offset:20280
	s_waitcnt lgkmcnt(0)
	v_mul_f32_e32 v31, v30, v28
	v_mul_f32_e32 v28, v29, v28
	v_fma_f32 v29, v29, v27, -v31
	v_fmac_f32_e32 v28, v30, v27
	v_add_f32_e32 v10, v10, v29
	v_add_f32_e32 v11, v11, v28
.LBB51_431:
	s_or_b64 exec, exec, s[20:21]
.LBB51_432:
	s_or_b64 exec, exec, s[16:17]
	s_and_saveexec_b64 s[14:15], s[30:31]
; %bb.433:
	v_xor_b32_e32 v28, 0x80000000, v11
	v_xor_b32_e32 v27, 0x80000000, v10
	ds_write_b64 v14, v[27:28]
; %bb.434:
	s_or_b64 exec, exec, s[14:15]
	s_waitcnt lgkmcnt(0)
	s_barrier
	s_and_saveexec_b64 s[14:15], s[28:29]
	s_cbranch_execz .LBB51_436
; %bb.435:
	v_mov_b32_e32 v27, 0
	ds_read_b64 v[27:28], v27 offset:19232
	ds_read_b64 v[29:30], v14
	s_waitcnt lgkmcnt(0)
	v_mul_f32_e32 v31, v29, v27
	v_mul_f32_e32 v29, v29, v28
	v_fmac_f32_e32 v29, v30, v27
	v_fma_f32 v27, v30, v28, -v31
	v_add_f32_e32 v10, v10, v27
	v_sub_f32_e32 v11, v11, v29
.LBB51_436:
	s_or_b64 exec, exec, s[14:15]
	s_barrier
	s_and_saveexec_b64 s[14:15], s[28:29]
; %bb.437:
	v_xor_b32_e32 v28, 0x80000000, v11
	v_xor_b32_e32 v27, 0x80000000, v10
	ds_write_b64 v14, v[27:28]
; %bb.438:
	s_or_b64 exec, exec, s[14:15]
	s_waitcnt lgkmcnt(0)
	s_barrier
	s_barrier
	s_and_saveexec_b64 s[14:15], s[2:3]
; %bb.439:
	v_lshlrev_b32_e32 v27, 3, v12
	v_lshl_or_b32 v27, v13, 9, v27
	ds_write_b64 v27, v[10:11] offset:19744
; %bb.440:
	s_or_b64 exec, exec, s[14:15]
	s_waitcnt lgkmcnt(0)
	s_barrier
	s_barrier
	s_and_saveexec_b64 s[14:15], s[34:35]
	s_cbranch_execz .LBB51_442
; %bb.441:
	v_lshlrev_b32_e32 v27, 3, v0
	s_movk_i32 s16, 0x1f8
	v_mad_u32_u24 v28, v0, s16, v27
	ds_read_b64 v[10:11], v28 offset:19744
	s_waitcnt lgkmcnt(0)
	ds_write_b64 v27, v[10:11] offset:18736
	ds_read_b64 v[10:11], v28 offset:19752
	s_waitcnt lgkmcnt(0)
	ds_write_b64 v27, v[10:11] offset:19248
.LBB51_442:
	s_or_b64 exec, exec, s[14:15]
	s_waitcnt lgkmcnt(0)
	s_barrier
	s_and_saveexec_b64 s[14:15], vcc
	s_cbranch_execz .LBB51_444
; %bb.443:
	v_mov_b32_e32 v29, 0
	ds_read_b64 v[10:11], v29 offset:19232
	s_mov_b64 s[16:17], 0x3f800000
	v_mov_b32_e32 v28, s17
	v_mov_b32_e32 v27, s16
	s_movk_i32 s16, 0x4800
	ds_write_b64 v29, v[27:28] offset:19240
	v_add_u32_e64 v29, s16, 0
	s_waitcnt lgkmcnt(1)
	ds_write2_b64 v29, v[27:28], v[10:11] offset0:36 offset1:37
.LBB51_444:
	s_or_b64 exec, exec, s[14:15]
	v_mov_b32_e32 v11, 0
	v_mov_b32_e32 v10, 0
	s_waitcnt lgkmcnt(0)
	s_barrier
	buffer_wbinvl1_vol
	s_and_saveexec_b64 s[16:17], s[18:19]
	s_cbranch_execz .LBB51_450
; %bb.445:
	v_lshlrev_b32_e32 v27, 3, v18
	v_lshlrev_b32_e32 v28, 9, v19
	ds_read_b64 v[10:11], v27 offset:18688
	ds_read_b64 v[29:30], v28 offset:18720
	v_cmp_gt_u32_e64 s[14:15], 12, v15
	s_waitcnt lgkmcnt(0)
	v_mul_f32_e32 v31, v30, v11
	v_mul_f32_e32 v11, v29, v11
	v_fma_f32 v29, v29, v10, -v31
	v_fmac_f32_e32 v11, v30, v10
	v_add_f32_e32 v10, 0, v29
	v_add_f32_e32 v11, 0, v11
	s_and_saveexec_b64 s[20:21], s[14:15]
	s_cbranch_execnz .LBB51_1083
; %bb.446:
	s_or_b64 exec, exec, s[20:21]
	v_cmp_gt_u32_e64 s[14:15], 8, v15
	s_and_saveexec_b64 s[20:21], s[14:15]
	s_cbranch_execnz .LBB51_1084
.LBB51_447:
	s_or_b64 exec, exec, s[20:21]
	v_cmp_gt_u32_e64 s[14:15], 4, v15
	s_and_saveexec_b64 s[20:21], s[14:15]
	s_cbranch_execz .LBB51_449
.LBB51_448:
	v_lshlrev_b32_e32 v27, 3, v0
	v_mov_b32_e32 v29, 0
	ds_read_b64 v[27:28], v27 offset:20224
	ds_read_b64 v[29:30], v29 offset:20280
	s_waitcnt lgkmcnt(0)
	v_mul_f32_e32 v31, v30, v28
	v_mul_f32_e32 v28, v29, v28
	v_fma_f32 v29, v29, v27, -v31
	v_fmac_f32_e32 v28, v30, v27
	v_add_f32_e32 v10, v10, v29
	v_add_f32_e32 v11, v11, v28
.LBB51_449:
	s_or_b64 exec, exec, s[20:21]
.LBB51_450:
	s_or_b64 exec, exec, s[16:17]
	s_and_saveexec_b64 s[14:15], s[38:39]
; %bb.451:
	v_xor_b32_e32 v27, 0x80000000, v10
	v_xor_b32_e32 v28, 0x80000000, v11
	ds_write_b64 v20, v[27:28]
; %bb.452:
	s_or_b64 exec, exec, s[14:15]
	s_waitcnt lgkmcnt(0)
	s_barrier
	s_and_saveexec_b64 s[14:15], s[42:43]
	s_cbranch_execz .LBB51_454
; %bb.453:
	v_lshlrev_b32_e32 v27, 3, v18
	ds_read_b64 v[27:28], v27 offset:18176
	ds_read_b64 v[29:30], v20
	s_waitcnt lgkmcnt(0)
	v_mul_f32_e32 v31, v30, v28
	v_mul_f32_e32 v28, v29, v28
	v_fma_f32 v29, v29, v27, -v31
	v_fmac_f32_e32 v28, v30, v27
	v_sub_f32_e32 v10, v10, v29
	v_sub_f32_e32 v11, v11, v28
.LBB51_454:
	s_or_b64 exec, exec, s[14:15]
	s_barrier
	s_and_saveexec_b64 s[14:15], s[44:45]
; %bb.455:
	v_xor_b32_e32 v27, 0x80000000, v10
	v_xor_b32_e32 v28, 0x80000000, v11
	ds_write_b64 v20, v[27:28]
; %bb.456:
	s_or_b64 exec, exec, s[14:15]
	s_waitcnt lgkmcnt(0)
	s_barrier
	s_and_saveexec_b64 s[14:15], s[52:53]
	s_cbranch_execz .LBB51_458
; %bb.457:
	v_lshlrev_b32_e32 v27, 3, v18
	ds_read_b64 v[27:28], v27 offset:17664
	ds_read_b64 v[29:30], v20
	s_waitcnt lgkmcnt(0)
	v_mul_f32_e32 v31, v30, v28
	v_mul_f32_e32 v28, v29, v28
	v_fma_f32 v29, v29, v27, -v31
	v_fmac_f32_e32 v28, v30, v27
	v_sub_f32_e32 v10, v10, v29
	v_sub_f32_e32 v11, v11, v28
.LBB51_458:
	s_or_b64 exec, exec, s[14:15]
	s_barrier
	s_and_saveexec_b64 s[14:15], s[54:55]
; %bb.459:
	v_xor_b32_e32 v27, 0x80000000, v10
	v_xor_b32_e32 v28, 0x80000000, v11
	ds_write_b64 v20, v[27:28]
; %bb.460:
	s_or_b64 exec, exec, s[14:15]
	s_waitcnt lgkmcnt(0)
	s_barrier
	s_and_saveexec_b64 s[14:15], s[36:37]
	s_cbranch_execz .LBB51_462
; %bb.461:
	v_mov_b32_e32 v27, 0
	ds_read_b64 v[27:28], v27 offset:17152
	ds_read_b64 v[29:30], v20
	s_waitcnt lgkmcnt(0)
	v_mul_f32_e32 v31, v30, v28
	v_mul_f32_e32 v28, v29, v28
	v_fma_f32 v29, v29, v27, -v31
	v_fmac_f32_e32 v28, v30, v27
	v_sub_f32_e32 v10, v10, v29
	v_sub_f32_e32 v11, v11, v28
.LBB51_462:
	s_or_b64 exec, exec, s[14:15]
	s_barrier
	s_and_saveexec_b64 s[14:15], s[36:37]
; %bb.463:
	v_xor_b32_e32 v27, 0x80000000, v10
	v_xor_b32_e32 v28, 0x80000000, v11
	ds_write_b64 v20, v[27:28]
; %bb.464:
	s_or_b64 exec, exec, s[14:15]
	s_waitcnt lgkmcnt(0)
	s_barrier
	s_barrier
	s_and_saveexec_b64 s[14:15], s[18:19]
; %bb.465:
	v_lshlrev_b32_e32 v27, 3, v18
	v_lshl_or_b32 v27, v19, 9, v27
	ds_write_b64 v27, v[10:11] offset:18688
; %bb.466:
	s_or_b64 exec, exec, s[14:15]
	s_waitcnt lgkmcnt(0)
	s_barrier
	s_barrier
	s_and_saveexec_b64 s[14:15], s[56:57]
	s_cbranch_execz .LBB51_468
; %bb.467:
	v_lshlrev_b32_e32 v27, 9, v0
	ds_read_b64 v[10:11], v27 offset:18688
	s_movk_i32 s16, 0xfe08
	v_mad_i32_i24 v28, v0, s16, v27
	s_waitcnt lgkmcnt(0)
	ds_write_b64 v28, v[10:11] offset:16672
	ds_read_b64 v[10:11], v27 offset:18696
	s_waitcnt lgkmcnt(0)
	ds_write_b64 v28, v[10:11] offset:17184
	ds_read_b64 v[10:11], v27 offset:18704
	s_waitcnt lgkmcnt(0)
	ds_write_b64 v28, v[10:11] offset:17696
	ds_read_b64 v[10:11], v27 offset:18712
	s_waitcnt lgkmcnt(0)
	ds_write_b64 v28, v[10:11] offset:18208
.LBB51_468:
	s_or_b64 exec, exec, s[14:15]
	s_waitcnt lgkmcnt(0)
	s_barrier
	s_and_saveexec_b64 s[14:15], vcc
	s_cbranch_execz .LBB51_470
; %bb.469:
	v_mov_b32_e32 v29, 0
	ds_read_b64 v[10:11], v29 offset:18192
	s_mov_b64 s[16:17], 0x3f800000
	v_mov_b32_e32 v28, s17
	v_mov_b32_e32 v27, s16
	s_movk_i32 s16, 0x4000
	ds_write_b64 v29, v[27:28] offset:18200
	v_add_u32_e64 v29, s16, 0
	s_waitcnt lgkmcnt(1)
	ds_write2_b64 v29, v[27:28], v[10:11] offset0:162 offset1:163
.LBB51_470:
	s_or_b64 exec, exec, s[14:15]
	v_mov_b32_e32 v10, 0
	v_mov_b32_e32 v11, 0
	s_waitcnt lgkmcnt(0)
	s_barrier
	buffer_wbinvl1_vol
	s_and_saveexec_b64 s[16:17], s[2:3]
	s_cbranch_execz .LBB51_474
; %bb.471:
	v_lshlrev_b32_e32 v10, 3, v12
	v_lshlrev_b32_e32 v27, 9, v13
	ds_read_b64 v[10:11], v10 offset:17664
	ds_read_b64 v[27:28], v27 offset:17680
	v_cmp_gt_u32_e64 s[14:15], 2, v15
	s_waitcnt lgkmcnt(0)
	v_mul_f32_e32 v29, v28, v11
	v_mul_f32_e32 v11, v27, v11
	v_fma_f32 v27, v27, v10, -v29
	v_fmac_f32_e32 v11, v28, v10
	v_add_f32_e32 v10, 0, v27
	v_add_f32_e32 v11, 0, v11
	s_and_saveexec_b64 s[20:21], s[14:15]
	s_cbranch_execz .LBB51_473
; %bb.472:
	v_lshlrev_b32_e32 v27, 3, v0
	v_mov_b32_e32 v29, 0
	ds_read_b64 v[27:28], v27 offset:18176
	ds_read_b64 v[29:30], v29 offset:18200
	s_waitcnt lgkmcnt(0)
	v_mul_f32_e32 v31, v30, v28
	v_mul_f32_e32 v28, v29, v28
	v_fma_f32 v29, v29, v27, -v31
	v_fmac_f32_e32 v28, v30, v27
	v_add_f32_e32 v10, v10, v29
	v_add_f32_e32 v11, v11, v28
.LBB51_473:
	s_or_b64 exec, exec, s[20:21]
.LBB51_474:
	s_or_b64 exec, exec, s[16:17]
	s_and_saveexec_b64 s[14:15], s[30:31]
; %bb.475:
	v_xor_b32_e32 v28, 0x80000000, v11
	v_xor_b32_e32 v27, 0x80000000, v10
	ds_write_b64 v14, v[27:28]
; %bb.476:
	s_or_b64 exec, exec, s[14:15]
	s_waitcnt lgkmcnt(0)
	s_barrier
	s_and_saveexec_b64 s[14:15], s[28:29]
	s_cbranch_execz .LBB51_478
; %bb.477:
	v_mov_b32_e32 v27, 0
	ds_read_b64 v[27:28], v27 offset:17152
	ds_read_b64 v[29:30], v14
	s_waitcnt lgkmcnt(0)
	v_mul_f32_e32 v31, v29, v27
	v_mul_f32_e32 v29, v29, v28
	v_fmac_f32_e32 v29, v30, v27
	v_fma_f32 v27, v30, v28, -v31
	v_add_f32_e32 v10, v10, v27
	v_sub_f32_e32 v11, v11, v29
.LBB51_478:
	s_or_b64 exec, exec, s[14:15]
	s_barrier
	s_and_saveexec_b64 s[14:15], s[28:29]
; %bb.479:
	v_xor_b32_e32 v28, 0x80000000, v11
	v_xor_b32_e32 v27, 0x80000000, v10
	ds_write_b64 v14, v[27:28]
; %bb.480:
	s_or_b64 exec, exec, s[14:15]
	s_waitcnt lgkmcnt(0)
	s_barrier
	s_barrier
	s_and_saveexec_b64 s[14:15], s[2:3]
; %bb.481:
	v_lshlrev_b32_e32 v27, 3, v12
	v_lshl_or_b32 v27, v13, 9, v27
	ds_write_b64 v27, v[10:11] offset:17664
; %bb.482:
	s_or_b64 exec, exec, s[14:15]
	s_waitcnt lgkmcnt(0)
	s_barrier
	s_barrier
	s_and_saveexec_b64 s[14:15], s[34:35]
	s_cbranch_execz .LBB51_484
; %bb.483:
	v_lshlrev_b32_e32 v27, 3, v0
	s_movk_i32 s16, 0x1f8
	v_mad_u32_u24 v28, v0, s16, v27
	ds_read_b64 v[10:11], v28 offset:17664
	s_waitcnt lgkmcnt(0)
	ds_write_b64 v27, v[10:11] offset:16656
	ds_read_b64 v[10:11], v28 offset:17672
	s_waitcnt lgkmcnt(0)
	ds_write_b64 v27, v[10:11] offset:17168
.LBB51_484:
	s_or_b64 exec, exec, s[14:15]
	s_waitcnt lgkmcnt(0)
	s_barrier
	s_and_saveexec_b64 s[14:15], vcc
	s_cbranch_execz .LBB51_486
; %bb.485:
	v_mov_b32_e32 v29, 0
	ds_read_b64 v[10:11], v29 offset:17152
	s_mov_b64 s[16:17], 0x3f800000
	v_mov_b32_e32 v28, s17
	v_mov_b32_e32 v27, s16
	s_movk_i32 s16, 0x4000
	ds_write_b64 v29, v[27:28] offset:17160
	v_add_u32_e64 v29, s16, 0
	s_waitcnt lgkmcnt(1)
	ds_write2_b64 v29, v[27:28], v[10:11] offset0:32 offset1:33
.LBB51_486:
	s_or_b64 exec, exec, s[14:15]
	s_movk_i32 s14, 0x3ff
	v_lshrrev_b32_e32 v29, 5, v15
	v_cmp_lt_u32_e64 s[16:17], s14, v15
	s_movk_i32 s14, 0x400
	v_and_b32_e32 v27, 31, v0
	v_sub_u32_e32 v28, 31, v29
	v_cmp_gt_u32_e64 s[14:15], s14, v15
	v_mov_b32_e32 v11, 0
	v_mov_b32_e32 v10, 0
	s_waitcnt lgkmcnt(0)
	s_barrier
	buffer_wbinvl1_vol
	s_and_saveexec_b64 s[88:89], s[14:15]
	s_cbranch_execz .LBB51_548
; %bb.487:
	v_lshlrev_b32_e32 v30, 3, v27
	v_lshlrev_b32_e32 v31, 9, v28
	ds_read_b64 v[10:11], v30 offset:16384
	ds_read_b64 v[32:33], v31 offset:16640
	s_movk_i32 s20, 0x3e0
	v_cmp_gt_u32_e64 s[20:21], s20, v15
	s_waitcnt lgkmcnt(0)
	v_mul_f32_e32 v34, v33, v11
	v_mul_f32_e32 v11, v32, v11
	v_fma_f32 v32, v32, v10, -v34
	v_fmac_f32_e32 v11, v33, v10
	v_add_f32_e32 v10, 0, v32
	v_add_f32_e32 v11, 0, v11
	s_and_saveexec_b64 s[92:93], s[20:21]
	s_cbranch_execz .LBB51_489
; %bb.488:
	ds_read_b64 v[32:33], v30 offset:16896
	ds_read_b64 v[34:35], v31 offset:16648
	s_waitcnt lgkmcnt(0)
	v_mul_f32_e32 v36, v35, v33
	v_mul_f32_e32 v33, v34, v33
	v_fma_f32 v34, v34, v32, -v36
	v_fmac_f32_e32 v33, v35, v32
	v_add_f32_e32 v10, v10, v34
	v_add_f32_e32 v11, v11, v33
.LBB51_489:
	s_or_b64 exec, exec, s[92:93]
	s_movk_i32 s20, 0x3c0
	v_cmp_gt_u32_e64 s[20:21], s20, v15
	s_and_saveexec_b64 s[92:93], s[20:21]
	s_cbranch_execz .LBB51_491
; %bb.490:
	ds_read_b64 v[32:33], v30 offset:17408
	ds_read_b64 v[34:35], v31 offset:16656
	s_waitcnt lgkmcnt(0)
	v_mul_f32_e32 v36, v35, v33
	v_mul_f32_e32 v33, v34, v33
	v_fma_f32 v34, v34, v32, -v36
	v_fmac_f32_e32 v33, v35, v32
	v_add_f32_e32 v10, v10, v34
	v_add_f32_e32 v11, v11, v33
.LBB51_491:
	s_or_b64 exec, exec, s[92:93]
	s_movk_i32 s20, 0x3a0
	v_cmp_gt_u32_e64 s[20:21], s20, v15
	;; [unrolled: 16-line block ×22, first 2 shown]
	s_and_saveexec_b64 s[92:93], s[20:21]
	s_cbranch_execz .LBB51_533
; %bb.532:
	ds_read_b64 v[32:33], v30 offset:28160
	ds_read_b64 v[34:35], v31 offset:16824
	s_waitcnt lgkmcnt(0)
	v_mul_f32_e32 v36, v35, v33
	v_mul_f32_e32 v33, v34, v33
	v_fma_f32 v34, v34, v32, -v36
	v_fmac_f32_e32 v33, v35, v32
	v_add_f32_e32 v10, v10, v34
	v_add_f32_e32 v11, v11, v33
.LBB51_533:
	s_or_b64 exec, exec, s[92:93]
	s_and_saveexec_b64 s[20:21], s[10:11]
	s_cbranch_execz .LBB51_535
; %bb.534:
	ds_read_b64 v[32:33], v30 offset:28672
	ds_read_b64 v[34:35], v31 offset:16832
	s_waitcnt lgkmcnt(0)
	v_mul_f32_e32 v36, v35, v33
	v_mul_f32_e32 v33, v34, v33
	v_fma_f32 v34, v34, v32, -v36
	v_fmac_f32_e32 v33, v35, v32
	v_add_f32_e32 v10, v10, v34
	v_add_f32_e32 v11, v11, v33
.LBB51_535:
	s_or_b64 exec, exec, s[20:21]
	s_movk_i32 s20, 0xe0
	v_cmp_gt_u32_e64 s[20:21], s20, v15
	s_and_saveexec_b64 s[92:93], s[20:21]
	s_cbranch_execz .LBB51_537
; %bb.536:
	ds_read_b64 v[32:33], v30 offset:29184
	ds_read_b64 v[34:35], v31 offset:16840
	s_waitcnt lgkmcnt(0)
	v_mul_f32_e32 v36, v35, v33
	v_mul_f32_e32 v33, v34, v33
	v_fma_f32 v34, v34, v32, -v36
	v_fmac_f32_e32 v33, v35, v32
	v_add_f32_e32 v10, v10, v34
	v_add_f32_e32 v11, v11, v33
.LBB51_537:
	s_or_b64 exec, exec, s[92:93]
	s_movk_i32 s20, 0xc0
	v_cmp_gt_u32_e64 s[20:21], s20, v15
	;; [unrolled: 16-line block ×5, first 2 shown]
	s_and_saveexec_b64 s[92:93], s[20:21]
	s_cbranch_execnz .LBB51_1085
; %bb.544:
	s_or_b64 exec, exec, s[92:93]
	s_and_saveexec_b64 s[20:21], s[8:9]
	s_cbranch_execnz .LBB51_1086
.LBB51_545:
	s_or_b64 exec, exec, s[20:21]
	v_cmp_gt_u32_e64 s[20:21], 32, v15
	s_and_saveexec_b64 s[92:93], s[20:21]
	s_cbranch_execz .LBB51_547
.LBB51_546:
	ds_read_b64 v[32:33], v30 offset:32256
	ds_read_b64 v[30:31], v31 offset:16888
	s_waitcnt lgkmcnt(0)
	v_mul_f32_e32 v34, v31, v33
	v_mul_f32_e32 v33, v30, v33
	v_fma_f32 v30, v30, v32, -v34
	v_fmac_f32_e32 v33, v31, v32
	v_add_f32_e32 v10, v10, v30
	v_add_f32_e32 v11, v11, v33
.LBB51_547:
	s_or_b64 exec, exec, s[92:93]
.LBB51_548:
	s_or_b64 exec, exec, s[88:89]
	v_mov_b32_e32 v30, 0x8000
	v_lshl_add_u32 v29, v29, 3, v30
	v_mov_b32_e32 v30, 0x3c00
	v_lshl_or_b32 v30, v27, 3, v30
	s_mov_b32 s88, 31
	v_subrev_u32_e32 v31, 31, v27
	s_xor_b64 s[20:21], s[16:17], -1
	s_branch .LBB51_550
.LBB51_549:                             ;   in Loop: Header=BB51_550 Depth=1
	s_or_b64 exec, exec, s[16:17]
	s_add_i32 s88, s88, -2
	v_add_u32_e32 v30, 0xfffffc00, v30
	s_cmp_eq_u32 s89, 0
	v_add_u32_e32 v31, 2, v31
	s_barrier
	s_cbranch_scc1 .LBB51_558
.LBB51_550:                             ; =>This Inner Loop Header: Depth=1
	v_cmp_eq_u32_e64 s[16:17], 0, v31
	s_and_b64 s[92:93], s[20:21], s[16:17]
	s_and_saveexec_b64 s[16:17], s[92:93]
; %bb.551:                              ;   in Loop: Header=BB51_550 Depth=1
	v_xor_b32_e32 v33, 0x80000000, v11
	v_xor_b32_e32 v32, 0x80000000, v10
	ds_write_b64 v29, v[32:33]
; %bb.552:                              ;   in Loop: Header=BB51_550 Depth=1
	s_or_b64 exec, exec, s[16:17]
	v_cmp_gt_u32_e64 s[16:17], s88, v27
	s_and_b64 s[92:93], s[20:21], s[16:17]
	s_waitcnt lgkmcnt(0)
	s_barrier
	s_and_saveexec_b64 s[16:17], s[92:93]
	s_cbranch_execz .LBB51_554
; %bb.553:                              ;   in Loop: Header=BB51_550 Depth=1
	ds_read_b64 v[32:33], v30 offset:512
	ds_read_b64 v[34:35], v29
	s_waitcnt lgkmcnt(0)
	v_mul_f32_e32 v36, v35, v33
	v_mul_f32_e32 v33, v34, v33
	v_fma_f32 v34, v34, v32, -v36
	v_fmac_f32_e32 v33, v35, v32
	v_sub_f32_e32 v10, v10, v34
	v_sub_f32_e32 v11, v11, v33
.LBB51_554:                             ;   in Loop: Header=BB51_550 Depth=1
	s_or_b64 exec, exec, s[16:17]
	s_add_i32 s89, s88, -1
	v_cmp_eq_u32_e64 s[16:17], s89, v27
	s_and_b64 s[92:93], s[20:21], s[16:17]
	s_barrier
	s_and_saveexec_b64 s[16:17], s[92:93]
; %bb.555:                              ;   in Loop: Header=BB51_550 Depth=1
	v_xor_b32_e32 v33, 0x80000000, v11
	v_xor_b32_e32 v32, 0x80000000, v10
	ds_write_b64 v29, v[32:33]
; %bb.556:                              ;   in Loop: Header=BB51_550 Depth=1
	s_or_b64 exec, exec, s[16:17]
	v_cmp_gt_u32_e64 s[16:17], s89, v27
	s_and_b64 s[92:93], s[20:21], s[16:17]
	s_waitcnt lgkmcnt(0)
	s_barrier
	s_and_saveexec_b64 s[16:17], s[92:93]
	s_cbranch_execz .LBB51_549
; %bb.557:                              ;   in Loop: Header=BB51_550 Depth=1
	ds_read_b64 v[32:33], v30
	ds_read_b64 v[34:35], v29
	s_waitcnt lgkmcnt(0)
	v_mul_f32_e32 v36, v35, v33
	v_mul_f32_e32 v33, v34, v33
	v_fma_f32 v34, v34, v32, -v36
	v_fmac_f32_e32 v33, v35, v32
	v_sub_f32_e32 v10, v10, v34
	v_sub_f32_e32 v11, v11, v33
	s_branch .LBB51_549
.LBB51_558:
	s_and_saveexec_b64 s[16:17], s[14:15]
; %bb.559:
	v_lshlrev_b32_e32 v27, 3, v27
	v_lshl_or_b32 v27, v28, 9, v27
	ds_write_b64 v27, v[10:11] offset:16384
; %bb.560:
	s_or_b64 exec, exec, s[16:17]
	v_cmp_gt_u32_e64 s[14:15], 32, v0
	s_and_b64 s[14:15], s[12:13], s[14:15]
	s_waitcnt lgkmcnt(0)
	s_barrier
	s_barrier
	s_and_saveexec_b64 s[12:13], s[14:15]
	s_cbranch_execz .LBB51_562
; %bb.561:
	v_lshlrev_b32_e32 v27, 9, v0
	ds_read_b64 v[10:11], v27 offset:16384
	s_movk_i32 s14, 0xfe08
	v_mad_i32_i24 v28, v0, s14, v27
	s_waitcnt lgkmcnt(0)
	ds_write_b64 v28, v[10:11] offset:256
	ds_read_b64 v[10:11], v27 offset:16392
	s_waitcnt lgkmcnt(0)
	ds_write_b64 v28, v[10:11] offset:768
	ds_read_b64 v[10:11], v27 offset:16400
	;; [unrolled: 3-line block ×31, first 2 shown]
	s_waitcnt lgkmcnt(0)
	ds_write_b64 v28, v[10:11] offset:16128
.LBB51_562:
	s_or_b64 exec, exec, s[12:13]
	s_waitcnt lgkmcnt(0)
	s_barrier
	s_and_saveexec_b64 s[12:13], vcc
	s_cbranch_execz .LBB51_564
; %bb.563:
	v_mov_b32_e32 v29, 0
	ds_read_b64 v[10:11], v29 offset:16112
	s_mov_b64 s[14:15], 0x3f800000
	v_mov_b32_e32 v28, s15
	v_mov_b32_e32 v27, s14
	s_movk_i32 s14, 0x3800
	ds_write_b64 v29, v[27:28] offset:16120
	v_add_u32_e64 v29, s14, 0
	s_waitcnt lgkmcnt(1)
	ds_write2_b64 v29, v[27:28], v[10:11] offset0:158 offset1:159
.LBB51_564:
	s_or_b64 exec, exec, s[12:13]
	v_mov_b32_e32 v10, 0
	v_mov_b32_e32 v11, 0
	s_waitcnt lgkmcnt(0)
	s_barrier
	buffer_wbinvl1_vol
	s_and_saveexec_b64 s[14:15], s[2:3]
	s_cbranch_execz .LBB51_568
; %bb.565:
	v_lshlrev_b32_e32 v10, 3, v12
	v_lshlrev_b32_e32 v27, 9, v13
	ds_read_b64 v[10:11], v10 offset:15584
	ds_read_b64 v[27:28], v27 offset:15600
	v_cmp_gt_u32_e64 s[12:13], 2, v15
	s_waitcnt lgkmcnt(0)
	v_mul_f32_e32 v29, v28, v11
	v_mul_f32_e32 v11, v27, v11
	v_fma_f32 v27, v27, v10, -v29
	v_fmac_f32_e32 v11, v28, v10
	v_add_f32_e32 v10, 0, v27
	v_add_f32_e32 v11, 0, v11
	s_and_saveexec_b64 s[16:17], s[12:13]
	s_cbranch_execz .LBB51_567
; %bb.566:
	v_lshlrev_b32_e32 v27, 3, v0
	v_mov_b32_e32 v29, 0
	ds_read_b64 v[27:28], v27 offset:16096
	ds_read_b64 v[29:30], v29 offset:16120
	s_waitcnt lgkmcnt(0)
	v_mul_f32_e32 v31, v30, v28
	v_mul_f32_e32 v28, v29, v28
	v_fma_f32 v29, v29, v27, -v31
	v_fmac_f32_e32 v28, v30, v27
	v_add_f32_e32 v10, v10, v29
	v_add_f32_e32 v11, v11, v28
.LBB51_567:
	s_or_b64 exec, exec, s[16:17]
.LBB51_568:
	s_or_b64 exec, exec, s[14:15]
	s_and_saveexec_b64 s[12:13], s[30:31]
; %bb.569:
	v_xor_b32_e32 v28, 0x80000000, v11
	v_xor_b32_e32 v27, 0x80000000, v10
	ds_write_b64 v14, v[27:28]
; %bb.570:
	s_or_b64 exec, exec, s[12:13]
	s_waitcnt lgkmcnt(0)
	s_barrier
	s_and_saveexec_b64 s[12:13], s[28:29]
	s_cbranch_execz .LBB51_572
; %bb.571:
	v_mov_b32_e32 v27, 0
	ds_read_b64 v[27:28], v27 offset:15072
	ds_read_b64 v[29:30], v14
	s_waitcnt lgkmcnt(0)
	v_mul_f32_e32 v31, v29, v27
	v_mul_f32_e32 v29, v29, v28
	v_fmac_f32_e32 v29, v30, v27
	v_fma_f32 v27, v30, v28, -v31
	v_add_f32_e32 v10, v10, v27
	v_sub_f32_e32 v11, v11, v29
.LBB51_572:
	s_or_b64 exec, exec, s[12:13]
	s_barrier
	s_and_saveexec_b64 s[12:13], s[28:29]
; %bb.573:
	v_xor_b32_e32 v28, 0x80000000, v11
	v_xor_b32_e32 v27, 0x80000000, v10
	ds_write_b64 v14, v[27:28]
; %bb.574:
	s_or_b64 exec, exec, s[12:13]
	s_waitcnt lgkmcnt(0)
	s_barrier
	s_barrier
	s_and_saveexec_b64 s[12:13], s[2:3]
; %bb.575:
	v_lshlrev_b32_e32 v27, 3, v12
	v_lshl_or_b32 v27, v13, 9, v27
	ds_write_b64 v27, v[10:11] offset:15584
; %bb.576:
	s_or_b64 exec, exec, s[12:13]
	s_waitcnt lgkmcnt(0)
	s_barrier
	s_barrier
	s_and_saveexec_b64 s[12:13], s[34:35]
	s_cbranch_execz .LBB51_578
; %bb.577:
	v_lshlrev_b32_e32 v27, 3, v0
	s_movk_i32 s14, 0x1f8
	v_mad_u32_u24 v28, v0, s14, v27
	ds_read_b64 v[10:11], v28 offset:15584
	s_waitcnt lgkmcnt(0)
	ds_write_b64 v27, v[10:11] offset:14576
	ds_read_b64 v[10:11], v28 offset:15592
	s_waitcnt lgkmcnt(0)
	ds_write_b64 v27, v[10:11] offset:15088
.LBB51_578:
	s_or_b64 exec, exec, s[12:13]
	s_waitcnt lgkmcnt(0)
	s_barrier
	s_and_saveexec_b64 s[12:13], vcc
	s_cbranch_execz .LBB51_580
; %bb.579:
	v_mov_b32_e32 v29, 0
	ds_read_b64 v[10:11], v29 offset:15072
	s_mov_b64 s[14:15], 0x3f800000
	v_mov_b32_e32 v28, s15
	v_mov_b32_e32 v27, s14
	s_movk_i32 s14, 0x3800
	ds_write_b64 v29, v[27:28] offset:15080
	v_add_u32_e64 v29, s14, 0
	s_waitcnt lgkmcnt(1)
	ds_write2_b64 v29, v[27:28], v[10:11] offset0:28 offset1:29
.LBB51_580:
	s_or_b64 exec, exec, s[12:13]
	v_mov_b32_e32 v11, 0
	v_mov_b32_e32 v10, 0
	s_waitcnt lgkmcnt(0)
	s_barrier
	buffer_wbinvl1_vol
	s_and_saveexec_b64 s[14:15], s[18:19]
	s_cbranch_execz .LBB51_586
; %bb.581:
	v_lshlrev_b32_e32 v27, 3, v18
	v_lshlrev_b32_e32 v28, 9, v19
	ds_read_b64 v[10:11], v27 offset:14528
	ds_read_b64 v[29:30], v28 offset:14560
	v_cmp_gt_u32_e64 s[12:13], 12, v15
	s_waitcnt lgkmcnt(0)
	v_mul_f32_e32 v31, v30, v11
	v_mul_f32_e32 v11, v29, v11
	v_fma_f32 v29, v29, v10, -v31
	v_fmac_f32_e32 v11, v30, v10
	v_add_f32_e32 v10, 0, v29
	v_add_f32_e32 v11, 0, v11
	s_and_saveexec_b64 s[16:17], s[12:13]
	s_cbranch_execnz .LBB51_1087
; %bb.582:
	s_or_b64 exec, exec, s[16:17]
	v_cmp_gt_u32_e64 s[12:13], 8, v15
	s_and_saveexec_b64 s[16:17], s[12:13]
	s_cbranch_execnz .LBB51_1088
.LBB51_583:
	s_or_b64 exec, exec, s[16:17]
	v_cmp_gt_u32_e64 s[12:13], 4, v15
	s_and_saveexec_b64 s[16:17], s[12:13]
	s_cbranch_execz .LBB51_585
.LBB51_584:
	v_lshlrev_b32_e32 v27, 3, v0
	v_mov_b32_e32 v29, 0
	ds_read_b64 v[27:28], v27 offset:16064
	ds_read_b64 v[29:30], v29 offset:16120
	s_waitcnt lgkmcnt(0)
	v_mul_f32_e32 v31, v30, v28
	v_mul_f32_e32 v28, v29, v28
	v_fma_f32 v29, v29, v27, -v31
	v_fmac_f32_e32 v28, v30, v27
	v_add_f32_e32 v10, v10, v29
	v_add_f32_e32 v11, v11, v28
.LBB51_585:
	s_or_b64 exec, exec, s[16:17]
.LBB51_586:
	s_or_b64 exec, exec, s[14:15]
	s_and_saveexec_b64 s[12:13], s[38:39]
; %bb.587:
	v_xor_b32_e32 v27, 0x80000000, v10
	v_xor_b32_e32 v28, 0x80000000, v11
	ds_write_b64 v20, v[27:28]
; %bb.588:
	s_or_b64 exec, exec, s[12:13]
	s_waitcnt lgkmcnt(0)
	s_barrier
	s_and_saveexec_b64 s[12:13], s[42:43]
	s_cbranch_execz .LBB51_590
; %bb.589:
	v_lshlrev_b32_e32 v27, 3, v18
	ds_read_b64 v[27:28], v27 offset:14016
	ds_read_b64 v[29:30], v20
	s_waitcnt lgkmcnt(0)
	v_mul_f32_e32 v31, v30, v28
	v_mul_f32_e32 v28, v29, v28
	v_fma_f32 v29, v29, v27, -v31
	v_fmac_f32_e32 v28, v30, v27
	v_sub_f32_e32 v10, v10, v29
	v_sub_f32_e32 v11, v11, v28
.LBB51_590:
	s_or_b64 exec, exec, s[12:13]
	s_barrier
	s_and_saveexec_b64 s[12:13], s[44:45]
; %bb.591:
	v_xor_b32_e32 v27, 0x80000000, v10
	v_xor_b32_e32 v28, 0x80000000, v11
	ds_write_b64 v20, v[27:28]
; %bb.592:
	s_or_b64 exec, exec, s[12:13]
	s_waitcnt lgkmcnt(0)
	s_barrier
	s_and_saveexec_b64 s[12:13], s[52:53]
	s_cbranch_execz .LBB51_594
; %bb.593:
	v_lshlrev_b32_e32 v27, 3, v18
	ds_read_b64 v[27:28], v27 offset:13504
	ds_read_b64 v[29:30], v20
	s_waitcnt lgkmcnt(0)
	v_mul_f32_e32 v31, v30, v28
	v_mul_f32_e32 v28, v29, v28
	v_fma_f32 v29, v29, v27, -v31
	v_fmac_f32_e32 v28, v30, v27
	v_sub_f32_e32 v10, v10, v29
	v_sub_f32_e32 v11, v11, v28
.LBB51_594:
	s_or_b64 exec, exec, s[12:13]
	s_barrier
	s_and_saveexec_b64 s[12:13], s[54:55]
; %bb.595:
	v_xor_b32_e32 v27, 0x80000000, v10
	v_xor_b32_e32 v28, 0x80000000, v11
	ds_write_b64 v20, v[27:28]
; %bb.596:
	s_or_b64 exec, exec, s[12:13]
	s_waitcnt lgkmcnt(0)
	s_barrier
	s_and_saveexec_b64 s[12:13], s[36:37]
	s_cbranch_execz .LBB51_598
; %bb.597:
	v_mov_b32_e32 v27, 0
	ds_read_b64 v[27:28], v27 offset:12992
	ds_read_b64 v[29:30], v20
	s_waitcnt lgkmcnt(0)
	v_mul_f32_e32 v31, v30, v28
	v_mul_f32_e32 v28, v29, v28
	v_fma_f32 v29, v29, v27, -v31
	v_fmac_f32_e32 v28, v30, v27
	v_sub_f32_e32 v10, v10, v29
	v_sub_f32_e32 v11, v11, v28
.LBB51_598:
	s_or_b64 exec, exec, s[12:13]
	s_barrier
	s_and_saveexec_b64 s[12:13], s[36:37]
; %bb.599:
	v_xor_b32_e32 v27, 0x80000000, v10
	v_xor_b32_e32 v28, 0x80000000, v11
	ds_write_b64 v20, v[27:28]
; %bb.600:
	s_or_b64 exec, exec, s[12:13]
	s_waitcnt lgkmcnt(0)
	s_barrier
	s_barrier
	s_and_saveexec_b64 s[12:13], s[18:19]
; %bb.601:
	v_lshlrev_b32_e32 v27, 3, v18
	v_lshl_or_b32 v27, v19, 9, v27
	ds_write_b64 v27, v[10:11] offset:14528
; %bb.602:
	s_or_b64 exec, exec, s[12:13]
	s_waitcnt lgkmcnt(0)
	s_barrier
	s_barrier
	s_and_saveexec_b64 s[12:13], s[56:57]
	s_cbranch_execz .LBB51_604
; %bb.603:
	v_lshlrev_b32_e32 v27, 9, v0
	ds_read_b64 v[10:11], v27 offset:14528
	s_movk_i32 s14, 0xfe08
	v_mad_i32_i24 v28, v0, s14, v27
	s_waitcnt lgkmcnt(0)
	ds_write_b64 v28, v[10:11] offset:12512
	ds_read_b64 v[10:11], v27 offset:14536
	s_waitcnt lgkmcnt(0)
	ds_write_b64 v28, v[10:11] offset:13024
	ds_read_b64 v[10:11], v27 offset:14544
	;; [unrolled: 3-line block ×3, first 2 shown]
	s_waitcnt lgkmcnt(0)
	ds_write_b64 v28, v[10:11] offset:14048
.LBB51_604:
	s_or_b64 exec, exec, s[12:13]
	s_waitcnt lgkmcnt(0)
	s_barrier
	s_and_saveexec_b64 s[12:13], vcc
	s_cbranch_execz .LBB51_606
; %bb.605:
	v_mov_b32_e32 v29, 0
	ds_read_b64 v[10:11], v29 offset:14032
	s_mov_b64 s[14:15], 0x3f800000
	v_mov_b32_e32 v28, s15
	v_mov_b32_e32 v27, s14
	s_movk_i32 s14, 0x3000
	ds_write_b64 v29, v[27:28] offset:14040
	v_add_u32_e64 v29, s14, 0
	s_waitcnt lgkmcnt(1)
	ds_write2_b64 v29, v[27:28], v[10:11] offset0:154 offset1:155
.LBB51_606:
	s_or_b64 exec, exec, s[12:13]
	v_mov_b32_e32 v10, 0
	v_mov_b32_e32 v11, 0
	s_waitcnt lgkmcnt(0)
	s_barrier
	buffer_wbinvl1_vol
	s_and_saveexec_b64 s[14:15], s[2:3]
	s_cbranch_execz .LBB51_610
; %bb.607:
	v_lshlrev_b32_e32 v10, 3, v12
	v_lshlrev_b32_e32 v27, 9, v13
	ds_read_b64 v[10:11], v10 offset:13504
	ds_read_b64 v[27:28], v27 offset:13520
	v_cmp_gt_u32_e64 s[12:13], 2, v15
	s_waitcnt lgkmcnt(0)
	v_mul_f32_e32 v29, v28, v11
	v_mul_f32_e32 v11, v27, v11
	v_fma_f32 v27, v27, v10, -v29
	v_fmac_f32_e32 v11, v28, v10
	v_add_f32_e32 v10, 0, v27
	v_add_f32_e32 v11, 0, v11
	s_and_saveexec_b64 s[16:17], s[12:13]
	s_cbranch_execz .LBB51_609
; %bb.608:
	v_lshlrev_b32_e32 v27, 3, v0
	v_mov_b32_e32 v29, 0
	ds_read_b64 v[27:28], v27 offset:14016
	ds_read_b64 v[29:30], v29 offset:14040
	s_waitcnt lgkmcnt(0)
	v_mul_f32_e32 v31, v30, v28
	v_mul_f32_e32 v28, v29, v28
	v_fma_f32 v29, v29, v27, -v31
	v_fmac_f32_e32 v28, v30, v27
	v_add_f32_e32 v10, v10, v29
	v_add_f32_e32 v11, v11, v28
.LBB51_609:
	s_or_b64 exec, exec, s[16:17]
.LBB51_610:
	s_or_b64 exec, exec, s[14:15]
	s_and_saveexec_b64 s[12:13], s[30:31]
; %bb.611:
	v_xor_b32_e32 v28, 0x80000000, v11
	v_xor_b32_e32 v27, 0x80000000, v10
	ds_write_b64 v14, v[27:28]
; %bb.612:
	s_or_b64 exec, exec, s[12:13]
	s_waitcnt lgkmcnt(0)
	s_barrier
	s_and_saveexec_b64 s[12:13], s[28:29]
	s_cbranch_execz .LBB51_614
; %bb.613:
	v_mov_b32_e32 v27, 0
	ds_read_b64 v[27:28], v27 offset:12992
	ds_read_b64 v[29:30], v14
	s_waitcnt lgkmcnt(0)
	v_mul_f32_e32 v31, v29, v27
	v_mul_f32_e32 v29, v29, v28
	v_fmac_f32_e32 v29, v30, v27
	v_fma_f32 v27, v30, v28, -v31
	v_add_f32_e32 v10, v10, v27
	v_sub_f32_e32 v11, v11, v29
.LBB51_614:
	s_or_b64 exec, exec, s[12:13]
	s_barrier
	s_and_saveexec_b64 s[12:13], s[28:29]
; %bb.615:
	v_xor_b32_e32 v28, 0x80000000, v11
	v_xor_b32_e32 v27, 0x80000000, v10
	ds_write_b64 v14, v[27:28]
; %bb.616:
	s_or_b64 exec, exec, s[12:13]
	s_waitcnt lgkmcnt(0)
	s_barrier
	s_barrier
	s_and_saveexec_b64 s[12:13], s[2:3]
; %bb.617:
	v_lshlrev_b32_e32 v27, 3, v12
	v_lshl_or_b32 v27, v13, 9, v27
	ds_write_b64 v27, v[10:11] offset:13504
; %bb.618:
	s_or_b64 exec, exec, s[12:13]
	s_waitcnt lgkmcnt(0)
	s_barrier
	s_barrier
	s_and_saveexec_b64 s[12:13], s[34:35]
	s_cbranch_execz .LBB51_620
; %bb.619:
	v_lshlrev_b32_e32 v27, 3, v0
	s_movk_i32 s14, 0x1f8
	v_mad_u32_u24 v28, v0, s14, v27
	ds_read_b64 v[10:11], v28 offset:13504
	s_waitcnt lgkmcnt(0)
	ds_write_b64 v27, v[10:11] offset:12496
	ds_read_b64 v[10:11], v28 offset:13512
	s_waitcnt lgkmcnt(0)
	ds_write_b64 v27, v[10:11] offset:13008
.LBB51_620:
	s_or_b64 exec, exec, s[12:13]
	s_waitcnt lgkmcnt(0)
	s_barrier
	s_and_saveexec_b64 s[12:13], vcc
	s_cbranch_execz .LBB51_622
; %bb.621:
	v_mov_b32_e32 v29, 0
	ds_read_b64 v[10:11], v29 offset:12992
	s_mov_b64 s[14:15], 0x3f800000
	v_mov_b32_e32 v28, s15
	v_mov_b32_e32 v27, s14
	s_movk_i32 s14, 0x3000
	ds_write_b64 v29, v[27:28] offset:13000
	v_add_u32_e64 v29, s14, 0
	s_waitcnt lgkmcnt(1)
	ds_write2_b64 v29, v[27:28], v[10:11] offset0:24 offset1:25
.LBB51_622:
	s_or_b64 exec, exec, s[12:13]
	v_mov_b32_e32 v11, 0
	v_mov_b32_e32 v10, 0
	s_waitcnt lgkmcnt(0)
	s_barrier
	buffer_wbinvl1_vol
	s_and_saveexec_b64 s[14:15], s[8:9]
	s_cbranch_execz .LBB51_632
; %bb.623:
	v_lshlrev_b32_e32 v27, 3, v21
	v_lshlrev_b32_e32 v28, 9, v22
	ds_read_b64 v[10:11], v27 offset:12416
	ds_read_b64 v[29:30], v28 offset:12480
	v_cmp_gt_u32_e64 s[12:13], 56, v15
	s_waitcnt lgkmcnt(0)
	v_mul_f32_e32 v31, v30, v11
	v_mul_f32_e32 v11, v29, v11
	v_fma_f32 v29, v29, v10, -v31
	v_fmac_f32_e32 v11, v30, v10
	v_add_f32_e32 v10, 0, v29
	v_add_f32_e32 v11, 0, v11
	s_and_saveexec_b64 s[16:17], s[12:13]
	s_cbranch_execnz .LBB51_1089
; %bb.624:
	s_or_b64 exec, exec, s[16:17]
	v_cmp_gt_u32_e64 s[12:13], 48, v15
	s_and_saveexec_b64 s[16:17], s[12:13]
	s_cbranch_execnz .LBB51_1090
.LBB51_625:
	s_or_b64 exec, exec, s[16:17]
	v_cmp_gt_u32_e64 s[12:13], 40, v15
	s_and_saveexec_b64 s[16:17], s[12:13]
	s_cbranch_execnz .LBB51_1091
.LBB51_626:
	s_or_b64 exec, exec, s[16:17]
	v_cmp_gt_u32_e64 s[12:13], 32, v15
	s_and_saveexec_b64 s[16:17], s[12:13]
	s_cbranch_execnz .LBB51_1092
.LBB51_627:
	s_or_b64 exec, exec, s[16:17]
	v_cmp_gt_u32_e64 s[12:13], 24, v15
	s_and_saveexec_b64 s[16:17], s[12:13]
	s_cbranch_execnz .LBB51_1093
.LBB51_628:
	s_or_b64 exec, exec, s[16:17]
	s_and_saveexec_b64 s[12:13], s[18:19]
	s_cbranch_execnz .LBB51_1094
.LBB51_629:
	s_or_b64 exec, exec, s[12:13]
	v_cmp_gt_u32_e64 s[12:13], 8, v15
	s_and_saveexec_b64 s[16:17], s[12:13]
	s_cbranch_execz .LBB51_631
.LBB51_630:
	v_lshlrev_b32_e32 v27, 3, v0
	v_mov_b32_e32 v29, 0
	ds_read_b64 v[27:28], v27 offset:16000
	ds_read_b64 v[29:30], v29 offset:16120
	s_waitcnt lgkmcnt(0)
	v_mul_f32_e32 v31, v30, v28
	v_mul_f32_e32 v28, v29, v28
	v_fma_f32 v29, v29, v27, -v31
	v_fmac_f32_e32 v28, v30, v27
	v_add_f32_e32 v10, v10, v29
	v_add_f32_e32 v11, v11, v28
.LBB51_631:
	s_or_b64 exec, exec, s[16:17]
.LBB51_632:
	s_or_b64 exec, exec, s[14:15]
	s_and_saveexec_b64 s[12:13], s[60:61]
; %bb.633:
	v_xor_b32_e32 v28, 0x80000000, v11
	v_xor_b32_e32 v27, 0x80000000, v10
	ds_write_b64 v23, v[27:28]
; %bb.634:
	s_or_b64 exec, exec, s[12:13]
	s_waitcnt lgkmcnt(0)
	s_barrier
	s_and_saveexec_b64 s[12:13], s[62:63]
	s_cbranch_execz .LBB51_636
; %bb.635:
	v_lshlrev_b32_e32 v27, 3, v21
	ds_read_b64 v[27:28], v27 offset:11904
	ds_read_b64 v[29:30], v23
	s_waitcnt lgkmcnt(0)
	v_mul_f32_e32 v31, v30, v28
	v_mul_f32_e32 v28, v29, v28
	v_fma_f32 v29, v29, v27, -v31
	v_fmac_f32_e32 v28, v30, v27
	v_sub_f32_e32 v10, v10, v29
	v_sub_f32_e32 v11, v11, v28
.LBB51_636:
	s_or_b64 exec, exec, s[12:13]
	s_barrier
	s_and_saveexec_b64 s[12:13], s[64:65]
; %bb.637:
	v_xor_b32_e32 v28, 0x80000000, v11
	v_xor_b32_e32 v27, 0x80000000, v10
	ds_write_b64 v23, v[27:28]
; %bb.638:
	s_or_b64 exec, exec, s[12:13]
	s_waitcnt lgkmcnt(0)
	s_barrier
	s_and_saveexec_b64 s[12:13], s[66:67]
	s_cbranch_execz .LBB51_640
; %bb.639:
	v_lshlrev_b32_e32 v27, 3, v21
	ds_read_b64 v[27:28], v27 offset:11392
	ds_read_b64 v[29:30], v23
	s_waitcnt lgkmcnt(0)
	v_mul_f32_e32 v31, v30, v28
	v_mul_f32_e32 v28, v29, v28
	v_fma_f32 v29, v29, v27, -v31
	v_fmac_f32_e32 v28, v30, v27
	v_sub_f32_e32 v10, v10, v29
	v_sub_f32_e32 v11, v11, v28
.LBB51_640:
	s_or_b64 exec, exec, s[12:13]
	s_barrier
	;; [unrolled: 25-line block ×6, first 2 shown]
	s_and_saveexec_b64 s[12:13], s[84:85]
; %bb.657:
	v_xor_b32_e32 v28, 0x80000000, v11
	v_xor_b32_e32 v27, 0x80000000, v10
	ds_write_b64 v23, v[27:28]
; %bb.658:
	s_or_b64 exec, exec, s[12:13]
	s_waitcnt lgkmcnt(0)
	s_barrier
	s_and_saveexec_b64 s[12:13], s[58:59]
	s_cbranch_execz .LBB51_660
; %bb.659:
	v_mov_b32_e32 v27, 0
	ds_read_b64 v[27:28], v27 offset:8832
	ds_read_b64 v[29:30], v23
	s_waitcnt lgkmcnt(0)
	v_mul_f32_e32 v31, v30, v28
	v_mul_f32_e32 v28, v29, v28
	v_fma_f32 v29, v29, v27, -v31
	v_fmac_f32_e32 v28, v30, v27
	v_sub_f32_e32 v10, v10, v29
	v_sub_f32_e32 v11, v11, v28
.LBB51_660:
	s_or_b64 exec, exec, s[12:13]
	s_barrier
	s_and_saveexec_b64 s[12:13], s[58:59]
; %bb.661:
	v_xor_b32_e32 v28, 0x80000000, v11
	v_xor_b32_e32 v27, 0x80000000, v10
	ds_write_b64 v23, v[27:28]
; %bb.662:
	s_or_b64 exec, exec, s[12:13]
	s_waitcnt lgkmcnt(0)
	s_barrier
	s_barrier
	s_and_saveexec_b64 s[12:13], s[8:9]
; %bb.663:
	v_lshlrev_b32_e32 v27, 3, v21
	v_lshl_or_b32 v27, v22, 9, v27
	ds_write_b64 v27, v[10:11] offset:12416
; %bb.664:
	s_or_b64 exec, exec, s[12:13]
	s_waitcnt lgkmcnt(0)
	s_barrier
	s_barrier
	s_and_saveexec_b64 s[12:13], s[86:87]
	s_cbranch_execz .LBB51_666
; %bb.665:
	v_lshlrev_b32_e32 v27, 9, v0
	ds_read_b64 v[10:11], v27 offset:12416
	s_movk_i32 s14, 0xfe08
	v_mad_i32_i24 v28, v0, s14, v27
	s_waitcnt lgkmcnt(0)
	ds_write_b64 v28, v[10:11] offset:8384
	ds_read_b64 v[10:11], v27 offset:12424
	s_waitcnt lgkmcnt(0)
	ds_write_b64 v28, v[10:11] offset:8896
	ds_read_b64 v[10:11], v27 offset:12432
	s_waitcnt lgkmcnt(0)
	ds_write_b64 v28, v[10:11] offset:9408
	ds_read_b64 v[10:11], v27 offset:12440
	s_waitcnt lgkmcnt(0)
	ds_write_b64 v28, v[10:11] offset:9920
	ds_read_b64 v[10:11], v27 offset:12448
	s_waitcnt lgkmcnt(0)
	ds_write_b64 v28, v[10:11] offset:10432
	ds_read_b64 v[10:11], v27 offset:12456
	s_waitcnt lgkmcnt(0)
	ds_write_b64 v28, v[10:11] offset:10944
	ds_read_b64 v[10:11], v27 offset:12464
	s_waitcnt lgkmcnt(0)
	ds_write_b64 v28, v[10:11] offset:11456
	ds_read_b64 v[10:11], v27 offset:12472
	s_waitcnt lgkmcnt(0)
	ds_write_b64 v28, v[10:11] offset:11968
.LBB51_666:
	s_or_b64 exec, exec, s[12:13]
	s_waitcnt lgkmcnt(0)
	s_barrier
	s_and_saveexec_b64 s[12:13], vcc
	s_cbranch_execz .LBB51_668
; %bb.667:
	v_mov_b32_e32 v29, 0
	ds_read_b64 v[10:11], v29 offset:11952
	s_mov_b64 s[14:15], 0x3f800000
	v_mov_b32_e32 v28, s15
	v_mov_b32_e32 v27, s14
	s_movk_i32 s14, 0x2800
	ds_write_b64 v29, v[27:28] offset:11960
	v_add_u32_e64 v29, s14, 0
	s_waitcnt lgkmcnt(1)
	ds_write2_b64 v29, v[27:28], v[10:11] offset0:150 offset1:151
.LBB51_668:
	s_or_b64 exec, exec, s[12:13]
	v_mov_b32_e32 v10, 0
	v_mov_b32_e32 v11, 0
	s_waitcnt lgkmcnt(0)
	s_barrier
	buffer_wbinvl1_vol
	s_and_saveexec_b64 s[14:15], s[2:3]
	s_cbranch_execz .LBB51_672
; %bb.669:
	v_lshlrev_b32_e32 v10, 3, v12
	v_lshlrev_b32_e32 v27, 9, v13
	ds_read_b64 v[10:11], v10 offset:11424
	ds_read_b64 v[27:28], v27 offset:11440
	v_cmp_gt_u32_e64 s[12:13], 2, v15
	s_waitcnt lgkmcnt(0)
	v_mul_f32_e32 v29, v28, v11
	v_mul_f32_e32 v11, v27, v11
	v_fma_f32 v27, v27, v10, -v29
	v_fmac_f32_e32 v11, v28, v10
	v_add_f32_e32 v10, 0, v27
	v_add_f32_e32 v11, 0, v11
	s_and_saveexec_b64 s[16:17], s[12:13]
	s_cbranch_execz .LBB51_671
; %bb.670:
	v_lshlrev_b32_e32 v27, 3, v0
	v_mov_b32_e32 v29, 0
	ds_read_b64 v[27:28], v27 offset:11936
	ds_read_b64 v[29:30], v29 offset:11960
	s_waitcnt lgkmcnt(0)
	v_mul_f32_e32 v31, v30, v28
	v_mul_f32_e32 v28, v29, v28
	v_fma_f32 v29, v29, v27, -v31
	v_fmac_f32_e32 v28, v30, v27
	v_add_f32_e32 v10, v10, v29
	v_add_f32_e32 v11, v11, v28
.LBB51_671:
	s_or_b64 exec, exec, s[16:17]
.LBB51_672:
	s_or_b64 exec, exec, s[14:15]
	s_and_saveexec_b64 s[12:13], s[30:31]
; %bb.673:
	v_xor_b32_e32 v28, 0x80000000, v11
	v_xor_b32_e32 v27, 0x80000000, v10
	ds_write_b64 v14, v[27:28]
; %bb.674:
	s_or_b64 exec, exec, s[12:13]
	s_waitcnt lgkmcnt(0)
	s_barrier
	s_and_saveexec_b64 s[12:13], s[28:29]
	s_cbranch_execz .LBB51_676
; %bb.675:
	v_mov_b32_e32 v27, 0
	ds_read_b64 v[27:28], v27 offset:10912
	ds_read_b64 v[29:30], v14
	s_waitcnt lgkmcnt(0)
	v_mul_f32_e32 v31, v29, v27
	v_mul_f32_e32 v29, v29, v28
	v_fmac_f32_e32 v29, v30, v27
	v_fma_f32 v27, v30, v28, -v31
	v_add_f32_e32 v10, v10, v27
	v_sub_f32_e32 v11, v11, v29
.LBB51_676:
	s_or_b64 exec, exec, s[12:13]
	s_barrier
	s_and_saveexec_b64 s[12:13], s[28:29]
; %bb.677:
	v_xor_b32_e32 v28, 0x80000000, v11
	v_xor_b32_e32 v27, 0x80000000, v10
	ds_write_b64 v14, v[27:28]
; %bb.678:
	s_or_b64 exec, exec, s[12:13]
	s_waitcnt lgkmcnt(0)
	s_barrier
	s_barrier
	s_and_saveexec_b64 s[12:13], s[2:3]
; %bb.679:
	v_lshlrev_b32_e32 v27, 3, v12
	v_lshl_or_b32 v27, v13, 9, v27
	ds_write_b64 v27, v[10:11] offset:11424
; %bb.680:
	s_or_b64 exec, exec, s[12:13]
	s_waitcnt lgkmcnt(0)
	s_barrier
	s_barrier
	s_and_saveexec_b64 s[12:13], s[34:35]
	s_cbranch_execz .LBB51_682
; %bb.681:
	v_lshlrev_b32_e32 v27, 3, v0
	s_movk_i32 s14, 0x1f8
	v_mad_u32_u24 v28, v0, s14, v27
	ds_read_b64 v[10:11], v28 offset:11424
	s_waitcnt lgkmcnt(0)
	ds_write_b64 v27, v[10:11] offset:10416
	ds_read_b64 v[10:11], v28 offset:11432
	s_waitcnt lgkmcnt(0)
	ds_write_b64 v27, v[10:11] offset:10928
.LBB51_682:
	s_or_b64 exec, exec, s[12:13]
	s_waitcnt lgkmcnt(0)
	s_barrier
	s_and_saveexec_b64 s[12:13], vcc
	s_cbranch_execz .LBB51_684
; %bb.683:
	v_mov_b32_e32 v29, 0
	ds_read_b64 v[10:11], v29 offset:10912
	s_mov_b64 s[14:15], 0x3f800000
	v_mov_b32_e32 v28, s15
	v_mov_b32_e32 v27, s14
	s_movk_i32 s14, 0x2800
	ds_write_b64 v29, v[27:28] offset:10920
	v_add_u32_e64 v29, s14, 0
	s_waitcnt lgkmcnt(1)
	ds_write2_b64 v29, v[27:28], v[10:11] offset0:20 offset1:21
.LBB51_684:
	s_or_b64 exec, exec, s[12:13]
	v_mov_b32_e32 v11, 0
	v_mov_b32_e32 v10, 0
	s_waitcnt lgkmcnt(0)
	s_barrier
	buffer_wbinvl1_vol
	s_and_saveexec_b64 s[14:15], s[18:19]
	s_cbranch_execz .LBB51_690
; %bb.685:
	v_lshlrev_b32_e32 v27, 3, v18
	v_lshlrev_b32_e32 v28, 9, v19
	ds_read_b64 v[10:11], v27 offset:10368
	ds_read_b64 v[29:30], v28 offset:10400
	v_cmp_gt_u32_e64 s[12:13], 12, v15
	s_waitcnt lgkmcnt(0)
	v_mul_f32_e32 v31, v30, v11
	v_mul_f32_e32 v11, v29, v11
	v_fma_f32 v29, v29, v10, -v31
	v_fmac_f32_e32 v11, v30, v10
	v_add_f32_e32 v10, 0, v29
	v_add_f32_e32 v11, 0, v11
	s_and_saveexec_b64 s[16:17], s[12:13]
	s_cbranch_execnz .LBB51_1095
; %bb.686:
	s_or_b64 exec, exec, s[16:17]
	v_cmp_gt_u32_e64 s[12:13], 8, v15
	s_and_saveexec_b64 s[16:17], s[12:13]
	s_cbranch_execnz .LBB51_1096
.LBB51_687:
	s_or_b64 exec, exec, s[16:17]
	v_cmp_gt_u32_e64 s[12:13], 4, v15
	s_and_saveexec_b64 s[16:17], s[12:13]
	s_cbranch_execz .LBB51_689
.LBB51_688:
	v_lshlrev_b32_e32 v27, 3, v0
	v_mov_b32_e32 v29, 0
	ds_read_b64 v[27:28], v27 offset:11904
	ds_read_b64 v[29:30], v29 offset:11960
	s_waitcnt lgkmcnt(0)
	v_mul_f32_e32 v31, v30, v28
	v_mul_f32_e32 v28, v29, v28
	v_fma_f32 v29, v29, v27, -v31
	v_fmac_f32_e32 v28, v30, v27
	v_add_f32_e32 v10, v10, v29
	v_add_f32_e32 v11, v11, v28
.LBB51_689:
	s_or_b64 exec, exec, s[16:17]
.LBB51_690:
	s_or_b64 exec, exec, s[14:15]
	s_and_saveexec_b64 s[12:13], s[38:39]
; %bb.691:
	v_xor_b32_e32 v27, 0x80000000, v10
	v_xor_b32_e32 v28, 0x80000000, v11
	ds_write_b64 v20, v[27:28]
; %bb.692:
	s_or_b64 exec, exec, s[12:13]
	s_waitcnt lgkmcnt(0)
	s_barrier
	s_and_saveexec_b64 s[12:13], s[42:43]
	s_cbranch_execz .LBB51_694
; %bb.693:
	v_lshlrev_b32_e32 v27, 3, v18
	ds_read_b64 v[27:28], v27 offset:9856
	ds_read_b64 v[29:30], v20
	s_waitcnt lgkmcnt(0)
	v_mul_f32_e32 v31, v30, v28
	v_mul_f32_e32 v28, v29, v28
	v_fma_f32 v29, v29, v27, -v31
	v_fmac_f32_e32 v28, v30, v27
	v_sub_f32_e32 v10, v10, v29
	v_sub_f32_e32 v11, v11, v28
.LBB51_694:
	s_or_b64 exec, exec, s[12:13]
	s_barrier
	s_and_saveexec_b64 s[12:13], s[44:45]
; %bb.695:
	v_xor_b32_e32 v27, 0x80000000, v10
	v_xor_b32_e32 v28, 0x80000000, v11
	ds_write_b64 v20, v[27:28]
; %bb.696:
	s_or_b64 exec, exec, s[12:13]
	s_waitcnt lgkmcnt(0)
	s_barrier
	s_and_saveexec_b64 s[12:13], s[52:53]
	s_cbranch_execz .LBB51_698
; %bb.697:
	v_lshlrev_b32_e32 v27, 3, v18
	ds_read_b64 v[27:28], v27 offset:9344
	ds_read_b64 v[29:30], v20
	s_waitcnt lgkmcnt(0)
	v_mul_f32_e32 v31, v30, v28
	v_mul_f32_e32 v28, v29, v28
	v_fma_f32 v29, v29, v27, -v31
	v_fmac_f32_e32 v28, v30, v27
	v_sub_f32_e32 v10, v10, v29
	v_sub_f32_e32 v11, v11, v28
.LBB51_698:
	s_or_b64 exec, exec, s[12:13]
	s_barrier
	s_and_saveexec_b64 s[12:13], s[54:55]
; %bb.699:
	v_xor_b32_e32 v27, 0x80000000, v10
	v_xor_b32_e32 v28, 0x80000000, v11
	ds_write_b64 v20, v[27:28]
; %bb.700:
	s_or_b64 exec, exec, s[12:13]
	s_waitcnt lgkmcnt(0)
	s_barrier
	s_and_saveexec_b64 s[12:13], s[36:37]
	s_cbranch_execz .LBB51_702
; %bb.701:
	v_mov_b32_e32 v27, 0
	ds_read_b64 v[27:28], v27 offset:8832
	ds_read_b64 v[29:30], v20
	s_waitcnt lgkmcnt(0)
	v_mul_f32_e32 v31, v30, v28
	v_mul_f32_e32 v28, v29, v28
	v_fma_f32 v29, v29, v27, -v31
	v_fmac_f32_e32 v28, v30, v27
	v_sub_f32_e32 v10, v10, v29
	v_sub_f32_e32 v11, v11, v28
.LBB51_702:
	s_or_b64 exec, exec, s[12:13]
	s_barrier
	s_and_saveexec_b64 s[12:13], s[36:37]
; %bb.703:
	v_xor_b32_e32 v27, 0x80000000, v10
	v_xor_b32_e32 v28, 0x80000000, v11
	ds_write_b64 v20, v[27:28]
; %bb.704:
	s_or_b64 exec, exec, s[12:13]
	s_waitcnt lgkmcnt(0)
	s_barrier
	s_barrier
	s_and_saveexec_b64 s[12:13], s[18:19]
; %bb.705:
	v_lshlrev_b32_e32 v27, 3, v18
	v_lshl_or_b32 v27, v19, 9, v27
	ds_write_b64 v27, v[10:11] offset:10368
; %bb.706:
	s_or_b64 exec, exec, s[12:13]
	s_waitcnt lgkmcnt(0)
	s_barrier
	s_barrier
	s_and_saveexec_b64 s[12:13], s[56:57]
	s_cbranch_execz .LBB51_708
; %bb.707:
	v_lshlrev_b32_e32 v27, 9, v0
	ds_read_b64 v[10:11], v27 offset:10368
	s_movk_i32 s14, 0xfe08
	v_mad_i32_i24 v28, v0, s14, v27
	s_waitcnt lgkmcnt(0)
	ds_write_b64 v28, v[10:11] offset:8352
	ds_read_b64 v[10:11], v27 offset:10376
	s_waitcnt lgkmcnt(0)
	ds_write_b64 v28, v[10:11] offset:8864
	ds_read_b64 v[10:11], v27 offset:10384
	;; [unrolled: 3-line block ×3, first 2 shown]
	s_waitcnt lgkmcnt(0)
	ds_write_b64 v28, v[10:11] offset:9888
.LBB51_708:
	s_or_b64 exec, exec, s[12:13]
	s_waitcnt lgkmcnt(0)
	s_barrier
	s_and_saveexec_b64 s[12:13], vcc
	s_cbranch_execz .LBB51_710
; %bb.709:
	v_mov_b32_e32 v29, 0
	ds_read_b64 v[10:11], v29 offset:9872
	s_mov_b64 s[14:15], 0x3f800000
	v_mov_b32_e32 v28, s15
	v_mov_b32_e32 v27, s14
	s_movk_i32 s14, 0x2000
	ds_write_b64 v29, v[27:28] offset:9880
	v_add_u32_e64 v29, s14, 0
	s_waitcnt lgkmcnt(1)
	ds_write2_b64 v29, v[27:28], v[10:11] offset0:146 offset1:147
.LBB51_710:
	s_or_b64 exec, exec, s[12:13]
	v_mov_b32_e32 v10, 0
	v_mov_b32_e32 v11, 0
	s_waitcnt lgkmcnt(0)
	s_barrier
	buffer_wbinvl1_vol
	s_and_saveexec_b64 s[14:15], s[2:3]
	s_cbranch_execz .LBB51_714
; %bb.711:
	v_lshlrev_b32_e32 v10, 3, v12
	v_lshlrev_b32_e32 v27, 9, v13
	ds_read_b64 v[10:11], v10 offset:9344
	ds_read_b64 v[27:28], v27 offset:9360
	v_cmp_gt_u32_e64 s[12:13], 2, v15
	s_waitcnt lgkmcnt(0)
	v_mul_f32_e32 v29, v28, v11
	v_mul_f32_e32 v11, v27, v11
	v_fma_f32 v27, v27, v10, -v29
	v_fmac_f32_e32 v11, v28, v10
	v_add_f32_e32 v10, 0, v27
	v_add_f32_e32 v11, 0, v11
	s_and_saveexec_b64 s[16:17], s[12:13]
	s_cbranch_execz .LBB51_713
; %bb.712:
	v_lshlrev_b32_e32 v27, 3, v0
	v_mov_b32_e32 v29, 0
	ds_read_b64 v[27:28], v27 offset:9856
	ds_read_b64 v[29:30], v29 offset:9880
	s_waitcnt lgkmcnt(0)
	v_mul_f32_e32 v31, v30, v28
	v_mul_f32_e32 v28, v29, v28
	v_fma_f32 v29, v29, v27, -v31
	v_fmac_f32_e32 v28, v30, v27
	v_add_f32_e32 v10, v10, v29
	v_add_f32_e32 v11, v11, v28
.LBB51_713:
	s_or_b64 exec, exec, s[16:17]
.LBB51_714:
	s_or_b64 exec, exec, s[14:15]
	s_and_saveexec_b64 s[12:13], s[30:31]
; %bb.715:
	v_xor_b32_e32 v28, 0x80000000, v11
	v_xor_b32_e32 v27, 0x80000000, v10
	ds_write_b64 v14, v[27:28]
; %bb.716:
	s_or_b64 exec, exec, s[12:13]
	s_waitcnt lgkmcnt(0)
	s_barrier
	s_and_saveexec_b64 s[12:13], s[28:29]
	s_cbranch_execz .LBB51_718
; %bb.717:
	v_mov_b32_e32 v27, 0
	ds_read_b64 v[27:28], v27 offset:8832
	ds_read_b64 v[29:30], v14
	s_waitcnt lgkmcnt(0)
	v_mul_f32_e32 v31, v29, v27
	v_mul_f32_e32 v29, v29, v28
	v_fmac_f32_e32 v29, v30, v27
	v_fma_f32 v27, v30, v28, -v31
	v_add_f32_e32 v10, v10, v27
	v_sub_f32_e32 v11, v11, v29
.LBB51_718:
	s_or_b64 exec, exec, s[12:13]
	s_barrier
	s_and_saveexec_b64 s[12:13], s[28:29]
; %bb.719:
	v_xor_b32_e32 v28, 0x80000000, v11
	v_xor_b32_e32 v27, 0x80000000, v10
	ds_write_b64 v14, v[27:28]
; %bb.720:
	s_or_b64 exec, exec, s[12:13]
	s_waitcnt lgkmcnt(0)
	s_barrier
	s_barrier
	s_and_saveexec_b64 s[12:13], s[2:3]
; %bb.721:
	v_lshlrev_b32_e32 v27, 3, v12
	v_lshl_or_b32 v27, v13, 9, v27
	ds_write_b64 v27, v[10:11] offset:9344
; %bb.722:
	s_or_b64 exec, exec, s[12:13]
	s_waitcnt lgkmcnt(0)
	s_barrier
	s_barrier
	s_and_saveexec_b64 s[12:13], s[34:35]
	s_cbranch_execz .LBB51_724
; %bb.723:
	v_lshlrev_b32_e32 v27, 3, v0
	s_movk_i32 s14, 0x1f8
	v_mad_u32_u24 v28, v0, s14, v27
	ds_read_b64 v[10:11], v28 offset:9344
	s_waitcnt lgkmcnt(0)
	ds_write_b64 v27, v[10:11] offset:8336
	ds_read_b64 v[10:11], v28 offset:9352
	s_waitcnt lgkmcnt(0)
	ds_write_b64 v27, v[10:11] offset:8848
.LBB51_724:
	s_or_b64 exec, exec, s[12:13]
	s_waitcnt lgkmcnt(0)
	s_barrier
	s_and_saveexec_b64 s[12:13], vcc
	s_cbranch_execz .LBB51_726
; %bb.725:
	v_mov_b32_e32 v29, 0
	ds_read_b64 v[10:11], v29 offset:8832
	s_mov_b64 s[14:15], 0x3f800000
	v_mov_b32_e32 v28, s15
	v_mov_b32_e32 v27, s14
	s_movk_i32 s14, 0x2000
	ds_write_b64 v29, v[27:28] offset:8840
	v_add_u32_e64 v29, s14, 0
	s_waitcnt lgkmcnt(1)
	ds_write2_b64 v29, v[27:28], v[10:11] offset0:16 offset1:17
.LBB51_726:
	s_or_b64 exec, exec, s[12:13]
	v_mov_b32_e32 v11, 0
	v_mov_b32_e32 v10, 0
	s_waitcnt lgkmcnt(0)
	s_barrier
	buffer_wbinvl1_vol
	s_and_saveexec_b64 s[14:15], s[10:11]
	s_cbranch_execz .LBB51_754
; %bb.727:
	v_lshlrev_b32_e32 v27, 3, v24
	v_lshlrev_b32_e32 v28, 9, v25
	ds_read_b64 v[10:11], v27 offset:8192
	ds_read_b64 v[29:30], v28 offset:8320
	s_movk_i32 s12, 0xf0
	v_cmp_gt_u32_e64 s[12:13], s12, v15
	s_waitcnt lgkmcnt(0)
	v_mul_f32_e32 v31, v30, v11
	v_mul_f32_e32 v11, v29, v11
	v_fma_f32 v29, v29, v10, -v31
	v_fmac_f32_e32 v11, v30, v10
	v_add_f32_e32 v10, 0, v29
	v_add_f32_e32 v11, 0, v11
	s_and_saveexec_b64 s[16:17], s[12:13]
	s_cbranch_execz .LBB51_729
; %bb.728:
	ds_read_b64 v[29:30], v27 offset:8704
	ds_read_b64 v[31:32], v28 offset:8328
	s_waitcnt lgkmcnt(0)
	v_mul_f32_e32 v33, v32, v30
	v_mul_f32_e32 v30, v31, v30
	v_fma_f32 v31, v31, v29, -v33
	v_fmac_f32_e32 v30, v32, v29
	v_add_f32_e32 v10, v10, v31
	v_add_f32_e32 v11, v11, v30
.LBB51_729:
	s_or_b64 exec, exec, s[16:17]
	s_movk_i32 s12, 0xe0
	v_cmp_gt_u32_e64 s[12:13], s12, v15
	s_and_saveexec_b64 s[16:17], s[12:13]
	s_cbranch_execz .LBB51_731
; %bb.730:
	ds_read_b64 v[29:30], v27 offset:9216
	ds_read_b64 v[31:32], v28 offset:8336
	s_waitcnt lgkmcnt(0)
	v_mul_f32_e32 v33, v32, v30
	v_mul_f32_e32 v30, v31, v30
	v_fma_f32 v31, v31, v29, -v33
	v_fmac_f32_e32 v30, v32, v29
	v_add_f32_e32 v10, v10, v31
	v_add_f32_e32 v11, v11, v30
.LBB51_731:
	s_or_b64 exec, exec, s[16:17]
	s_movk_i32 s12, 0xd0
	v_cmp_gt_u32_e64 s[12:13], s12, v15
	;; [unrolled: 16-line block ×10, first 2 shown]
	s_and_saveexec_b64 s[16:17], s[12:13]
	s_cbranch_execnz .LBB51_1097
; %bb.748:
	s_or_b64 exec, exec, s[16:17]
	s_and_saveexec_b64 s[12:13], s[8:9]
	s_cbranch_execnz .LBB51_1098
.LBB51_749:
	s_or_b64 exec, exec, s[12:13]
	v_cmp_gt_u32_e64 s[12:13], 48, v15
	s_and_saveexec_b64 s[16:17], s[12:13]
	s_cbranch_execnz .LBB51_1099
.LBB51_750:
	s_or_b64 exec, exec, s[16:17]
	v_cmp_gt_u32_e64 s[12:13], 32, v15
	s_and_saveexec_b64 s[16:17], s[12:13]
	s_cbranch_execnz .LBB51_1100
.LBB51_751:
	s_or_b64 exec, exec, s[16:17]
	v_cmp_gt_u32_e64 s[12:13], 16, v15
	s_and_saveexec_b64 s[16:17], s[12:13]
	s_cbranch_execz .LBB51_753
.LBB51_752:
	v_lshlrev_b32_e32 v27, 3, v0
	v_mov_b32_e32 v29, 0
	ds_read_b64 v[27:28], v27 offset:15872
	ds_read_b64 v[29:30], v29 offset:16120
	s_waitcnt lgkmcnt(0)
	v_mul_f32_e32 v31, v30, v28
	v_mul_f32_e32 v28, v29, v28
	v_fma_f32 v29, v29, v27, -v31
	v_fmac_f32_e32 v28, v30, v27
	v_add_f32_e32 v10, v10, v29
	v_add_f32_e32 v11, v11, v28
.LBB51_753:
	s_or_b64 exec, exec, s[16:17]
.LBB51_754:
	s_or_b64 exec, exec, s[14:15]
	s_mov_b64 s[12:13], exec
	v_readlane_b32 s14, v37, 2
	v_readlane_b32 s15, v37, 3
	s_and_b64 s[14:15], s[12:13], s[14:15]
	s_mov_b64 exec, s[14:15]
; %bb.755:
	v_xor_b32_e32 v27, 0x80000000, v10
	v_xor_b32_e32 v28, 0x80000000, v11
	ds_write_b64 v26, v[27:28]
; %bb.756:
	s_or_b64 exec, exec, s[12:13]
	s_waitcnt lgkmcnt(0)
	s_barrier
	s_mov_b64 s[12:13], exec
	v_readlane_b32 s14, v37, 4
	v_readlane_b32 s15, v37, 5
	s_and_b64 s[14:15], s[12:13], s[14:15]
	s_mov_b64 exec, s[14:15]
	s_cbranch_execz .LBB51_758
; %bb.757:
	v_lshlrev_b32_e32 v27, 3, v24
	ds_read_b64 v[27:28], v27 offset:7680
	ds_read_b64 v[29:30], v26
	s_waitcnt lgkmcnt(0)
	v_mul_f32_e32 v31, v30, v28
	v_mul_f32_e32 v28, v29, v28
	v_fma_f32 v29, v29, v27, -v31
	v_fmac_f32_e32 v28, v30, v27
	v_sub_f32_e32 v10, v10, v29
	v_sub_f32_e32 v11, v11, v28
.LBB51_758:
	s_or_b64 exec, exec, s[12:13]
	s_barrier
	s_mov_b64 s[12:13], exec
	v_readlane_b32 s14, v37, 6
	v_readlane_b32 s15, v37, 7
	s_and_b64 s[14:15], s[12:13], s[14:15]
	s_mov_b64 exec, s[14:15]
; %bb.759:
	v_xor_b32_e32 v27, 0x80000000, v10
	v_xor_b32_e32 v28, 0x80000000, v11
	ds_write_b64 v26, v[27:28]
; %bb.760:
	s_or_b64 exec, exec, s[12:13]
	s_waitcnt lgkmcnt(0)
	s_barrier
	s_mov_b64 s[12:13], exec
	v_readlane_b32 s14, v37, 8
	v_readlane_b32 s15, v37, 9
	s_and_b64 s[14:15], s[12:13], s[14:15]
	s_mov_b64 exec, s[14:15]
	s_cbranch_execz .LBB51_762
; %bb.761:
	v_lshlrev_b32_e32 v27, 3, v24
	ds_read_b64 v[27:28], v27 offset:7168
	ds_read_b64 v[29:30], v26
	s_waitcnt lgkmcnt(0)
	v_mul_f32_e32 v31, v30, v28
	v_mul_f32_e32 v28, v29, v28
	v_fma_f32 v29, v29, v27, -v31
	v_fmac_f32_e32 v28, v30, v27
	v_sub_f32_e32 v10, v10, v29
	v_sub_f32_e32 v11, v11, v28
.LBB51_762:
	s_or_b64 exec, exec, s[12:13]
	s_barrier
	;; [unrolled: 33-line block ×14, first 2 shown]
	s_and_saveexec_b64 s[12:13], s[0:1]
; %bb.811:
	v_xor_b32_e32 v27, 0x80000000, v10
	v_xor_b32_e32 v28, 0x80000000, v11
	ds_write_b64 v26, v[27:28]
; %bb.812:
	s_or_b64 exec, exec, s[12:13]
	s_waitcnt lgkmcnt(0)
	s_barrier
	s_and_saveexec_b64 s[0:1], s[94:95]
	s_cbranch_execz .LBB51_814
; %bb.813:
	v_mov_b32_e32 v27, 0
	ds_read_b64 v[27:28], v27 offset:512
	ds_read_b64 v[29:30], v26
	s_waitcnt lgkmcnt(0)
	v_mul_f32_e32 v31, v30, v28
	v_mul_f32_e32 v28, v29, v28
	v_fma_f32 v29, v29, v27, -v31
	v_fmac_f32_e32 v28, v30, v27
	v_sub_f32_e32 v10, v10, v29
	v_sub_f32_e32 v11, v11, v28
.LBB51_814:
	s_or_b64 exec, exec, s[0:1]
	s_barrier
	s_and_saveexec_b64 s[0:1], s[94:95]
; %bb.815:
	v_xor_b32_e32 v27, 0x80000000, v10
	v_xor_b32_e32 v28, 0x80000000, v11
	ds_write_b64 v26, v[27:28]
; %bb.816:
	s_or_b64 exec, exec, s[0:1]
	s_waitcnt lgkmcnt(0)
	s_barrier
	s_barrier
	s_and_saveexec_b64 s[0:1], s[10:11]
; %bb.817:
	v_lshlrev_b32_e32 v24, 3, v24
	v_lshl_or_b32 v24, v25, 9, v24
	ds_write_b64 v24, v[10:11] offset:8192
; %bb.818:
	s_or_b64 exec, exec, s[0:1]
	s_waitcnt lgkmcnt(0)
	s_barrier
	s_barrier
	s_mov_b64 s[0:1], exec
	v_readlane_b32 s10, v37, 58
	v_readlane_b32 s11, v37, 59
	s_and_b64 s[10:11], s[0:1], s[10:11]
	s_mov_b64 exec, s[10:11]
	s_cbranch_execz .LBB51_820
; %bb.819:
	v_lshlrev_b32_e32 v24, 9, v0
	ds_read_b64 v[10:11], v24 offset:8192
	s_movk_i32 s10, 0xfe08
	v_mad_i32_i24 v25, v0, s10, v24
	s_waitcnt lgkmcnt(0)
	ds_write_b64 v25, v[10:11] offset:128
	ds_read_b64 v[10:11], v24 offset:8200
	s_waitcnt lgkmcnt(0)
	ds_write_b64 v25, v[10:11] offset:640
	ds_read_b64 v[10:11], v24 offset:8208
	;; [unrolled: 3-line block ×15, first 2 shown]
	s_waitcnt lgkmcnt(0)
	ds_write_b64 v25, v[10:11] offset:7808
.LBB51_820:
	s_or_b64 exec, exec, s[0:1]
	s_waitcnt lgkmcnt(0)
	s_barrier
	s_and_saveexec_b64 s[0:1], vcc
	s_cbranch_execz .LBB51_822
; %bb.821:
	v_mov_b32_e32 v26, 0
	ds_read_b64 v[10:11], v26 offset:7792
	s_mov_b64 s[10:11], 0x3f800000
	v_mov_b32_e32 v25, s11
	v_mov_b32_e32 v24, s10
	s_movk_i32 s10, 0x1800
	ds_write_b64 v26, v[24:25] offset:7800
	v_add_u32_e64 v26, s10, 0
	s_waitcnt lgkmcnt(1)
	ds_write2_b64 v26, v[24:25], v[10:11] offset0:142 offset1:143
.LBB51_822:
	s_or_b64 exec, exec, s[0:1]
	v_mov_b32_e32 v10, 0
	v_mov_b32_e32 v11, 0
	s_waitcnt lgkmcnt(0)
	s_barrier
	buffer_wbinvl1_vol
	s_and_saveexec_b64 s[0:1], s[2:3]
	s_cbranch_execz .LBB51_826
; %bb.823:
	v_lshlrev_b32_e32 v10, 3, v12
	v_lshlrev_b32_e32 v24, 9, v13
	ds_read_b64 v[10:11], v10 offset:7264
	ds_read_b64 v[24:25], v24 offset:7280
	v_cmp_gt_u32_e64 s[10:11], 2, v15
	s_waitcnt lgkmcnt(0)
	v_mul_f32_e32 v26, v25, v11
	v_mul_f32_e32 v11, v24, v11
	v_fma_f32 v24, v24, v10, -v26
	v_fmac_f32_e32 v11, v25, v10
	v_add_f32_e32 v10, 0, v24
	v_add_f32_e32 v11, 0, v11
	s_and_saveexec_b64 s[12:13], s[10:11]
	s_cbranch_execz .LBB51_825
; %bb.824:
	v_lshlrev_b32_e32 v24, 3, v0
	v_mov_b32_e32 v26, 0
	ds_read_b64 v[24:25], v24 offset:7776
	ds_read_b64 v[26:27], v26 offset:7800
	s_waitcnt lgkmcnt(0)
	v_mul_f32_e32 v28, v27, v25
	v_mul_f32_e32 v25, v26, v25
	v_fma_f32 v26, v26, v24, -v28
	v_fmac_f32_e32 v25, v27, v24
	v_add_f32_e32 v10, v10, v26
	v_add_f32_e32 v11, v11, v25
.LBB51_825:
	s_or_b64 exec, exec, s[12:13]
.LBB51_826:
	s_or_b64 exec, exec, s[0:1]
	s_and_saveexec_b64 s[0:1], s[30:31]
; %bb.827:
	v_xor_b32_e32 v25, 0x80000000, v11
	v_xor_b32_e32 v24, 0x80000000, v10
	ds_write_b64 v14, v[24:25]
; %bb.828:
	s_or_b64 exec, exec, s[0:1]
	s_waitcnt lgkmcnt(0)
	s_barrier
	s_and_saveexec_b64 s[0:1], s[28:29]
	s_cbranch_execz .LBB51_830
; %bb.829:
	v_mov_b32_e32 v24, 0
	ds_read_b64 v[24:25], v24 offset:6752
	ds_read_b64 v[26:27], v14
	s_waitcnt lgkmcnt(0)
	v_mul_f32_e32 v28, v26, v24
	v_mul_f32_e32 v26, v26, v25
	v_fmac_f32_e32 v26, v27, v24
	v_fma_f32 v24, v27, v25, -v28
	v_add_f32_e32 v10, v10, v24
	v_sub_f32_e32 v11, v11, v26
.LBB51_830:
	s_or_b64 exec, exec, s[0:1]
	s_barrier
	s_and_saveexec_b64 s[0:1], s[28:29]
; %bb.831:
	v_xor_b32_e32 v25, 0x80000000, v11
	v_xor_b32_e32 v24, 0x80000000, v10
	ds_write_b64 v14, v[24:25]
; %bb.832:
	s_or_b64 exec, exec, s[0:1]
	s_waitcnt lgkmcnt(0)
	s_barrier
	s_barrier
	s_and_saveexec_b64 s[0:1], s[2:3]
; %bb.833:
	v_lshlrev_b32_e32 v24, 3, v12
	v_lshl_or_b32 v24, v13, 9, v24
	ds_write_b64 v24, v[10:11] offset:7264
; %bb.834:
	s_or_b64 exec, exec, s[0:1]
	s_waitcnt lgkmcnt(0)
	s_barrier
	s_barrier
	s_and_saveexec_b64 s[0:1], s[34:35]
	s_cbranch_execz .LBB51_836
; %bb.835:
	v_lshlrev_b32_e32 v24, 3, v0
	s_movk_i32 s10, 0x1f8
	v_mad_u32_u24 v25, v0, s10, v24
	ds_read_b64 v[10:11], v25 offset:7264
	s_waitcnt lgkmcnt(0)
	ds_write_b64 v24, v[10:11] offset:6256
	ds_read_b64 v[10:11], v25 offset:7272
	s_waitcnt lgkmcnt(0)
	ds_write_b64 v24, v[10:11] offset:6768
.LBB51_836:
	s_or_b64 exec, exec, s[0:1]
	s_waitcnt lgkmcnt(0)
	s_barrier
	s_and_saveexec_b64 s[0:1], vcc
	s_cbranch_execz .LBB51_838
; %bb.837:
	v_mov_b32_e32 v26, 0
	ds_read_b64 v[10:11], v26 offset:6752
	s_mov_b64 s[10:11], 0x3f800000
	v_mov_b32_e32 v25, s11
	v_mov_b32_e32 v24, s10
	s_movk_i32 s10, 0x1800
	ds_write_b64 v26, v[24:25] offset:6760
	v_add_u32_e64 v26, s10, 0
	s_waitcnt lgkmcnt(1)
	ds_write2_b64 v26, v[24:25], v[10:11] offset0:12 offset1:13
.LBB51_838:
	s_or_b64 exec, exec, s[0:1]
	v_mov_b32_e32 v11, 0
	v_mov_b32_e32 v10, 0
	s_waitcnt lgkmcnt(0)
	s_barrier
	buffer_wbinvl1_vol
	s_and_saveexec_b64 s[0:1], s[18:19]
	s_cbranch_execz .LBB51_844
; %bb.839:
	v_lshlrev_b32_e32 v24, 3, v18
	v_lshlrev_b32_e32 v25, 9, v19
	ds_read_b64 v[10:11], v24 offset:6208
	ds_read_b64 v[26:27], v25 offset:6240
	v_cmp_gt_u32_e64 s[10:11], 12, v15
	s_waitcnt lgkmcnt(0)
	v_mul_f32_e32 v28, v27, v11
	v_mul_f32_e32 v11, v26, v11
	v_fma_f32 v26, v26, v10, -v28
	v_fmac_f32_e32 v11, v27, v10
	v_add_f32_e32 v10, 0, v26
	v_add_f32_e32 v11, 0, v11
	s_and_saveexec_b64 s[12:13], s[10:11]
	s_cbranch_execnz .LBB51_1101
; %bb.840:
	s_or_b64 exec, exec, s[12:13]
	v_cmp_gt_u32_e64 s[10:11], 8, v15
	s_and_saveexec_b64 s[12:13], s[10:11]
	s_cbranch_execnz .LBB51_1102
.LBB51_841:
	s_or_b64 exec, exec, s[12:13]
	v_cmp_gt_u32_e64 s[10:11], 4, v15
	s_and_saveexec_b64 s[12:13], s[10:11]
	s_cbranch_execz .LBB51_843
.LBB51_842:
	v_lshlrev_b32_e32 v24, 3, v0
	v_mov_b32_e32 v26, 0
	ds_read_b64 v[24:25], v24 offset:7744
	ds_read_b64 v[26:27], v26 offset:7800
	s_waitcnt lgkmcnt(0)
	v_mul_f32_e32 v28, v27, v25
	v_mul_f32_e32 v25, v26, v25
	v_fma_f32 v26, v26, v24, -v28
	v_fmac_f32_e32 v25, v27, v24
	v_add_f32_e32 v10, v10, v26
	v_add_f32_e32 v11, v11, v25
.LBB51_843:
	s_or_b64 exec, exec, s[12:13]
.LBB51_844:
	s_or_b64 exec, exec, s[0:1]
	s_and_saveexec_b64 s[0:1], s[38:39]
; %bb.845:
	v_xor_b32_e32 v24, 0x80000000, v10
	v_xor_b32_e32 v25, 0x80000000, v11
	ds_write_b64 v20, v[24:25]
; %bb.846:
	s_or_b64 exec, exec, s[0:1]
	s_waitcnt lgkmcnt(0)
	s_barrier
	s_and_saveexec_b64 s[0:1], s[42:43]
	s_cbranch_execz .LBB51_848
; %bb.847:
	v_lshlrev_b32_e32 v24, 3, v18
	ds_read_b64 v[24:25], v24 offset:5696
	ds_read_b64 v[26:27], v20
	s_waitcnt lgkmcnt(0)
	v_mul_f32_e32 v28, v27, v25
	v_mul_f32_e32 v25, v26, v25
	v_fma_f32 v26, v26, v24, -v28
	v_fmac_f32_e32 v25, v27, v24
	v_sub_f32_e32 v10, v10, v26
	v_sub_f32_e32 v11, v11, v25
.LBB51_848:
	s_or_b64 exec, exec, s[0:1]
	s_barrier
	s_and_saveexec_b64 s[0:1], s[44:45]
; %bb.849:
	v_xor_b32_e32 v24, 0x80000000, v10
	v_xor_b32_e32 v25, 0x80000000, v11
	ds_write_b64 v20, v[24:25]
; %bb.850:
	s_or_b64 exec, exec, s[0:1]
	s_waitcnt lgkmcnt(0)
	s_barrier
	s_and_saveexec_b64 s[0:1], s[52:53]
	s_cbranch_execz .LBB51_852
; %bb.851:
	v_lshlrev_b32_e32 v24, 3, v18
	ds_read_b64 v[24:25], v24 offset:5184
	ds_read_b64 v[26:27], v20
	s_waitcnt lgkmcnt(0)
	v_mul_f32_e32 v28, v27, v25
	v_mul_f32_e32 v25, v26, v25
	v_fma_f32 v26, v26, v24, -v28
	v_fmac_f32_e32 v25, v27, v24
	v_sub_f32_e32 v10, v10, v26
	v_sub_f32_e32 v11, v11, v25
.LBB51_852:
	s_or_b64 exec, exec, s[0:1]
	s_barrier
	s_and_saveexec_b64 s[0:1], s[54:55]
; %bb.853:
	v_xor_b32_e32 v24, 0x80000000, v10
	v_xor_b32_e32 v25, 0x80000000, v11
	ds_write_b64 v20, v[24:25]
; %bb.854:
	s_or_b64 exec, exec, s[0:1]
	s_waitcnt lgkmcnt(0)
	s_barrier
	s_and_saveexec_b64 s[0:1], s[36:37]
	s_cbranch_execz .LBB51_856
; %bb.855:
	v_mov_b32_e32 v24, 0
	ds_read_b64 v[24:25], v24 offset:4672
	ds_read_b64 v[26:27], v20
	s_waitcnt lgkmcnt(0)
	v_mul_f32_e32 v28, v27, v25
	v_mul_f32_e32 v25, v26, v25
	v_fma_f32 v26, v26, v24, -v28
	v_fmac_f32_e32 v25, v27, v24
	v_sub_f32_e32 v10, v10, v26
	v_sub_f32_e32 v11, v11, v25
.LBB51_856:
	s_or_b64 exec, exec, s[0:1]
	s_barrier
	s_and_saveexec_b64 s[0:1], s[36:37]
; %bb.857:
	v_xor_b32_e32 v24, 0x80000000, v10
	v_xor_b32_e32 v25, 0x80000000, v11
	ds_write_b64 v20, v[24:25]
; %bb.858:
	s_or_b64 exec, exec, s[0:1]
	s_waitcnt lgkmcnt(0)
	s_barrier
	s_barrier
	s_and_saveexec_b64 s[0:1], s[18:19]
; %bb.859:
	v_lshlrev_b32_e32 v24, 3, v18
	v_lshl_or_b32 v24, v19, 9, v24
	ds_write_b64 v24, v[10:11] offset:6208
; %bb.860:
	s_or_b64 exec, exec, s[0:1]
	s_waitcnt lgkmcnt(0)
	s_barrier
	s_barrier
	s_and_saveexec_b64 s[0:1], s[56:57]
	s_cbranch_execz .LBB51_862
; %bb.861:
	v_lshlrev_b32_e32 v24, 9, v0
	ds_read_b64 v[10:11], v24 offset:6208
	s_movk_i32 s10, 0xfe08
	v_mad_i32_i24 v25, v0, s10, v24
	s_waitcnt lgkmcnt(0)
	ds_write_b64 v25, v[10:11] offset:4192
	ds_read_b64 v[10:11], v24 offset:6216
	s_waitcnt lgkmcnt(0)
	ds_write_b64 v25, v[10:11] offset:4704
	ds_read_b64 v[10:11], v24 offset:6224
	;; [unrolled: 3-line block ×3, first 2 shown]
	s_waitcnt lgkmcnt(0)
	ds_write_b64 v25, v[10:11] offset:5728
.LBB51_862:
	s_or_b64 exec, exec, s[0:1]
	s_waitcnt lgkmcnt(0)
	s_barrier
	s_and_saveexec_b64 s[0:1], vcc
	s_cbranch_execz .LBB51_864
; %bb.863:
	v_mov_b32_e32 v26, 0
	ds_read_b64 v[10:11], v26 offset:5712
	s_mov_b64 s[10:11], 0x3f800000
	v_mov_b32_e32 v25, s11
	v_mov_b32_e32 v24, s10
	s_movk_i32 s10, 0x1000
	ds_write_b64 v26, v[24:25] offset:5720
	v_add_u32_e64 v26, s10, 0
	s_waitcnt lgkmcnt(1)
	ds_write2_b64 v26, v[24:25], v[10:11] offset0:138 offset1:139
.LBB51_864:
	s_or_b64 exec, exec, s[0:1]
	v_mov_b32_e32 v10, 0
	v_mov_b32_e32 v11, 0
	s_waitcnt lgkmcnt(0)
	s_barrier
	buffer_wbinvl1_vol
	s_and_saveexec_b64 s[0:1], s[2:3]
	s_cbranch_execz .LBB51_868
; %bb.865:
	v_lshlrev_b32_e32 v10, 3, v12
	v_lshlrev_b32_e32 v24, 9, v13
	ds_read_b64 v[10:11], v10 offset:5184
	ds_read_b64 v[24:25], v24 offset:5200
	v_cmp_gt_u32_e64 s[10:11], 2, v15
	s_waitcnt lgkmcnt(0)
	v_mul_f32_e32 v26, v25, v11
	v_mul_f32_e32 v11, v24, v11
	v_fma_f32 v24, v24, v10, -v26
	v_fmac_f32_e32 v11, v25, v10
	v_add_f32_e32 v10, 0, v24
	v_add_f32_e32 v11, 0, v11
	s_and_saveexec_b64 s[12:13], s[10:11]
	s_cbranch_execz .LBB51_867
; %bb.866:
	v_lshlrev_b32_e32 v24, 3, v0
	v_mov_b32_e32 v26, 0
	ds_read_b64 v[24:25], v24 offset:5696
	ds_read_b64 v[26:27], v26 offset:5720
	s_waitcnt lgkmcnt(0)
	v_mul_f32_e32 v28, v27, v25
	v_mul_f32_e32 v25, v26, v25
	v_fma_f32 v26, v26, v24, -v28
	v_fmac_f32_e32 v25, v27, v24
	v_add_f32_e32 v10, v10, v26
	v_add_f32_e32 v11, v11, v25
.LBB51_867:
	s_or_b64 exec, exec, s[12:13]
.LBB51_868:
	s_or_b64 exec, exec, s[0:1]
	s_and_saveexec_b64 s[0:1], s[30:31]
; %bb.869:
	v_xor_b32_e32 v25, 0x80000000, v11
	v_xor_b32_e32 v24, 0x80000000, v10
	ds_write_b64 v14, v[24:25]
; %bb.870:
	s_or_b64 exec, exec, s[0:1]
	s_waitcnt lgkmcnt(0)
	s_barrier
	s_and_saveexec_b64 s[0:1], s[28:29]
	s_cbranch_execz .LBB51_872
; %bb.871:
	v_mov_b32_e32 v24, 0
	ds_read_b64 v[24:25], v24 offset:4672
	ds_read_b64 v[26:27], v14
	s_waitcnt lgkmcnt(0)
	v_mul_f32_e32 v28, v26, v24
	v_mul_f32_e32 v26, v26, v25
	v_fmac_f32_e32 v26, v27, v24
	v_fma_f32 v24, v27, v25, -v28
	v_add_f32_e32 v10, v10, v24
	v_sub_f32_e32 v11, v11, v26
.LBB51_872:
	s_or_b64 exec, exec, s[0:1]
	s_barrier
	s_and_saveexec_b64 s[0:1], s[28:29]
; %bb.873:
	v_xor_b32_e32 v25, 0x80000000, v11
	v_xor_b32_e32 v24, 0x80000000, v10
	ds_write_b64 v14, v[24:25]
; %bb.874:
	s_or_b64 exec, exec, s[0:1]
	s_waitcnt lgkmcnt(0)
	s_barrier
	s_barrier
	s_and_saveexec_b64 s[0:1], s[2:3]
; %bb.875:
	v_lshlrev_b32_e32 v24, 3, v12
	v_lshl_or_b32 v24, v13, 9, v24
	ds_write_b64 v24, v[10:11] offset:5184
; %bb.876:
	s_or_b64 exec, exec, s[0:1]
	s_waitcnt lgkmcnt(0)
	s_barrier
	s_barrier
	s_and_saveexec_b64 s[0:1], s[34:35]
	s_cbranch_execz .LBB51_878
; %bb.877:
	v_lshlrev_b32_e32 v24, 3, v0
	s_movk_i32 s10, 0x1f8
	v_mad_u32_u24 v25, v0, s10, v24
	ds_read_b64 v[10:11], v25 offset:5184
	s_waitcnt lgkmcnt(0)
	ds_write_b64 v24, v[10:11] offset:4176
	ds_read_b64 v[10:11], v25 offset:5192
	s_waitcnt lgkmcnt(0)
	ds_write_b64 v24, v[10:11] offset:4688
.LBB51_878:
	s_or_b64 exec, exec, s[0:1]
	s_waitcnt lgkmcnt(0)
	s_barrier
	s_and_saveexec_b64 s[0:1], vcc
	s_cbranch_execz .LBB51_880
; %bb.879:
	v_mov_b32_e32 v26, 0
	ds_read_b64 v[10:11], v26 offset:4672
	s_mov_b64 s[10:11], 0x3f800000
	v_mov_b32_e32 v25, s11
	v_mov_b32_e32 v24, s10
	s_movk_i32 s10, 0x1000
	ds_write_b64 v26, v[24:25] offset:4680
	v_add_u32_e64 v26, s10, 0
	s_waitcnt lgkmcnt(1)
	ds_write2_b64 v26, v[24:25], v[10:11] offset0:8 offset1:9
.LBB51_880:
	s_or_b64 exec, exec, s[0:1]
	v_mov_b32_e32 v11, 0
	v_mov_b32_e32 v10, 0
	s_waitcnt lgkmcnt(0)
	s_barrier
	buffer_wbinvl1_vol
	s_and_saveexec_b64 s[0:1], s[8:9]
	s_cbranch_execz .LBB51_890
; %bb.881:
	v_lshlrev_b32_e32 v24, 3, v21
	v_lshlrev_b32_e32 v25, 9, v22
	ds_read_b64 v[10:11], v24 offset:4096
	ds_read_b64 v[26:27], v25 offset:4160
	v_cmp_gt_u32_e64 s[10:11], 56, v15
	s_waitcnt lgkmcnt(0)
	v_mul_f32_e32 v28, v27, v11
	v_mul_f32_e32 v11, v26, v11
	v_fma_f32 v26, v26, v10, -v28
	v_fmac_f32_e32 v11, v27, v10
	v_add_f32_e32 v10, 0, v26
	v_add_f32_e32 v11, 0, v11
	s_and_saveexec_b64 s[12:13], s[10:11]
	s_cbranch_execnz .LBB51_1103
; %bb.882:
	s_or_b64 exec, exec, s[12:13]
	v_cmp_gt_u32_e64 s[10:11], 48, v15
	s_and_saveexec_b64 s[12:13], s[10:11]
	s_cbranch_execnz .LBB51_1104
.LBB51_883:
	s_or_b64 exec, exec, s[12:13]
	v_cmp_gt_u32_e64 s[10:11], 40, v15
	s_and_saveexec_b64 s[12:13], s[10:11]
	s_cbranch_execnz .LBB51_1105
.LBB51_884:
	s_or_b64 exec, exec, s[12:13]
	v_cmp_gt_u32_e64 s[10:11], 32, v15
	s_and_saveexec_b64 s[12:13], s[10:11]
	s_cbranch_execnz .LBB51_1106
.LBB51_885:
	s_or_b64 exec, exec, s[12:13]
	v_cmp_gt_u32_e64 s[10:11], 24, v15
	s_and_saveexec_b64 s[12:13], s[10:11]
	s_cbranch_execnz .LBB51_1107
.LBB51_886:
	s_or_b64 exec, exec, s[12:13]
	s_and_saveexec_b64 s[10:11], s[18:19]
	s_cbranch_execnz .LBB51_1108
.LBB51_887:
	s_or_b64 exec, exec, s[10:11]
	v_cmp_gt_u32_e64 s[10:11], 8, v15
	s_and_saveexec_b64 s[12:13], s[10:11]
	s_cbranch_execz .LBB51_889
.LBB51_888:
	v_lshlrev_b32_e32 v24, 3, v0
	v_mov_b32_e32 v26, 0
	ds_read_b64 v[24:25], v24 offset:7680
	ds_read_b64 v[26:27], v26 offset:7800
	s_waitcnt lgkmcnt(0)
	v_mul_f32_e32 v28, v27, v25
	v_mul_f32_e32 v25, v26, v25
	v_fma_f32 v26, v26, v24, -v28
	v_fmac_f32_e32 v25, v27, v24
	v_add_f32_e32 v10, v10, v26
	v_add_f32_e32 v11, v11, v25
.LBB51_889:
	s_or_b64 exec, exec, s[12:13]
.LBB51_890:
	s_or_b64 exec, exec, s[0:1]
	s_and_saveexec_b64 s[0:1], s[60:61]
; %bb.891:
	v_xor_b32_e32 v25, 0x80000000, v11
	v_xor_b32_e32 v24, 0x80000000, v10
	ds_write_b64 v23, v[24:25]
; %bb.892:
	s_or_b64 exec, exec, s[0:1]
	s_waitcnt lgkmcnt(0)
	s_barrier
	s_and_saveexec_b64 s[0:1], s[62:63]
	v_readlane_b32 s60, v37, 0
	v_readlane_b32 s61, v37, 1
	s_cbranch_execz .LBB51_894
; %bb.893:
	v_lshlrev_b32_e32 v24, 3, v21
	ds_read_b64 v[24:25], v24 offset:3584
	ds_read_b64 v[26:27], v23
	s_waitcnt lgkmcnt(0)
	v_mul_f32_e32 v28, v27, v25
	v_mul_f32_e32 v25, v26, v25
	v_fma_f32 v26, v26, v24, -v28
	v_fmac_f32_e32 v25, v27, v24
	v_sub_f32_e32 v10, v10, v26
	v_sub_f32_e32 v11, v11, v25
.LBB51_894:
	s_or_b64 exec, exec, s[0:1]
	s_barrier
	s_and_saveexec_b64 s[0:1], s[64:65]
; %bb.895:
	v_xor_b32_e32 v25, 0x80000000, v11
	v_xor_b32_e32 v24, 0x80000000, v10
	ds_write_b64 v23, v[24:25]
; %bb.896:
	s_or_b64 exec, exec, s[0:1]
	s_waitcnt lgkmcnt(0)
	s_barrier
	s_and_saveexec_b64 s[0:1], s[66:67]
	s_cbranch_execz .LBB51_898
; %bb.897:
	v_lshlrev_b32_e32 v24, 3, v21
	ds_read_b64 v[24:25], v24 offset:3072
	ds_read_b64 v[26:27], v23
	s_waitcnt lgkmcnt(0)
	v_mul_f32_e32 v28, v27, v25
	v_mul_f32_e32 v25, v26, v25
	v_fma_f32 v26, v26, v24, -v28
	v_fmac_f32_e32 v25, v27, v24
	v_sub_f32_e32 v10, v10, v26
	v_sub_f32_e32 v11, v11, v25
.LBB51_898:
	s_or_b64 exec, exec, s[0:1]
	s_barrier
	s_and_saveexec_b64 s[0:1], s[68:69]
; %bb.899:
	v_xor_b32_e32 v25, 0x80000000, v11
	v_xor_b32_e32 v24, 0x80000000, v10
	ds_write_b64 v23, v[24:25]
; %bb.900:
	s_or_b64 exec, exec, s[0:1]
	s_waitcnt lgkmcnt(0)
	s_barrier
	s_and_saveexec_b64 s[0:1], s[70:71]
	;; [unrolled: 25-line block ×6, first 2 shown]
	s_cbranch_execz .LBB51_918
; %bb.917:
	v_mov_b32_e32 v24, 0
	ds_read_b64 v[24:25], v24 offset:512
	ds_read_b64 v[26:27], v23
	s_waitcnt lgkmcnt(0)
	v_mul_f32_e32 v28, v27, v25
	v_mul_f32_e32 v25, v26, v25
	v_fma_f32 v26, v26, v24, -v28
	v_fmac_f32_e32 v25, v27, v24
	v_sub_f32_e32 v10, v10, v26
	v_sub_f32_e32 v11, v11, v25
.LBB51_918:
	s_or_b64 exec, exec, s[0:1]
	s_barrier
	s_and_saveexec_b64 s[0:1], s[58:59]
; %bb.919:
	v_xor_b32_e32 v25, 0x80000000, v11
	v_xor_b32_e32 v24, 0x80000000, v10
	ds_write_b64 v23, v[24:25]
; %bb.920:
	s_or_b64 exec, exec, s[0:1]
	s_waitcnt lgkmcnt(0)
	s_barrier
	s_barrier
	s_and_saveexec_b64 s[0:1], s[8:9]
; %bb.921:
	v_lshlrev_b32_e32 v21, 3, v21
	v_lshl_or_b32 v21, v22, 9, v21
	ds_write_b64 v21, v[10:11] offset:4096
; %bb.922:
	s_or_b64 exec, exec, s[0:1]
	s_waitcnt lgkmcnt(0)
	s_barrier
	s_barrier
	s_and_saveexec_b64 s[0:1], s[86:87]
	s_cbranch_execz .LBB51_924
; %bb.923:
	v_lshlrev_b32_e32 v21, 9, v0
	ds_read_b64 v[10:11], v21 offset:4096
	s_movk_i32 s8, 0xfe08
	v_mad_i32_i24 v22, v0, s8, v21
	s_waitcnt lgkmcnt(0)
	ds_write_b64 v22, v[10:11] offset:64
	ds_read_b64 v[10:11], v21 offset:4104
	s_waitcnt lgkmcnt(0)
	ds_write_b64 v22, v[10:11] offset:576
	ds_read_b64 v[10:11], v21 offset:4112
	;; [unrolled: 3-line block ×7, first 2 shown]
	s_waitcnt lgkmcnt(0)
	ds_write_b64 v22, v[10:11] offset:3648
.LBB51_924:
	s_or_b64 exec, exec, s[0:1]
	s_waitcnt lgkmcnt(0)
	s_barrier
	s_and_saveexec_b64 s[0:1], vcc
	s_cbranch_execz .LBB51_926
; %bb.925:
	v_mov_b32_e32 v23, 0
	ds_read_b64 v[10:11], v23 offset:3632
	s_mov_b64 s[8:9], 0x3f800000
	v_mov_b32_e32 v22, s9
	v_mov_b32_e32 v21, s8
	s_movk_i32 s8, 0x800
	ds_write_b64 v23, v[21:22] offset:3640
	v_add_u32_e64 v23, s8, 0
	s_waitcnt lgkmcnt(1)
	ds_write2_b64 v23, v[21:22], v[10:11] offset0:134 offset1:135
.LBB51_926:
	s_or_b64 exec, exec, s[0:1]
	v_mov_b32_e32 v10, 0
	v_mov_b32_e32 v11, 0
	s_waitcnt lgkmcnt(0)
	s_barrier
	buffer_wbinvl1_vol
	s_and_saveexec_b64 s[0:1], s[2:3]
	s_cbranch_execz .LBB51_930
; %bb.927:
	v_lshlrev_b32_e32 v10, 3, v12
	v_lshlrev_b32_e32 v21, 9, v13
	ds_read_b64 v[10:11], v10 offset:3104
	ds_read_b64 v[21:22], v21 offset:3120
	v_cmp_gt_u32_e64 s[8:9], 2, v15
	s_waitcnt lgkmcnt(0)
	v_mul_f32_e32 v23, v22, v11
	v_mul_f32_e32 v11, v21, v11
	v_fma_f32 v21, v21, v10, -v23
	v_fmac_f32_e32 v11, v22, v10
	v_add_f32_e32 v10, 0, v21
	v_add_f32_e32 v11, 0, v11
	s_and_saveexec_b64 s[10:11], s[8:9]
	s_cbranch_execz .LBB51_929
; %bb.928:
	v_lshlrev_b32_e32 v21, 3, v0
	v_mov_b32_e32 v23, 0
	ds_read_b64 v[21:22], v21 offset:3616
	ds_read_b64 v[23:24], v23 offset:3640
	s_waitcnt lgkmcnt(0)
	v_mul_f32_e32 v25, v24, v22
	v_mul_f32_e32 v22, v23, v22
	v_fma_f32 v23, v23, v21, -v25
	v_fmac_f32_e32 v22, v24, v21
	v_add_f32_e32 v10, v10, v23
	v_add_f32_e32 v11, v11, v22
.LBB51_929:
	s_or_b64 exec, exec, s[10:11]
.LBB51_930:
	s_or_b64 exec, exec, s[0:1]
	s_and_saveexec_b64 s[0:1], s[30:31]
; %bb.931:
	v_xor_b32_e32 v22, 0x80000000, v11
	v_xor_b32_e32 v21, 0x80000000, v10
	ds_write_b64 v14, v[21:22]
; %bb.932:
	s_or_b64 exec, exec, s[0:1]
	s_waitcnt lgkmcnt(0)
	s_barrier
	s_and_saveexec_b64 s[0:1], s[28:29]
	s_cbranch_execz .LBB51_934
; %bb.933:
	v_mov_b32_e32 v21, 0
	ds_read_b64 v[21:22], v21 offset:2592
	ds_read_b64 v[23:24], v14
	s_waitcnt lgkmcnt(0)
	v_mul_f32_e32 v25, v23, v21
	v_mul_f32_e32 v23, v23, v22
	v_fmac_f32_e32 v23, v24, v21
	v_fma_f32 v21, v24, v22, -v25
	v_add_f32_e32 v10, v10, v21
	v_sub_f32_e32 v11, v11, v23
.LBB51_934:
	s_or_b64 exec, exec, s[0:1]
	s_barrier
	s_and_saveexec_b64 s[0:1], s[28:29]
; %bb.935:
	v_xor_b32_e32 v22, 0x80000000, v11
	v_xor_b32_e32 v21, 0x80000000, v10
	ds_write_b64 v14, v[21:22]
; %bb.936:
	s_or_b64 exec, exec, s[0:1]
	s_waitcnt lgkmcnt(0)
	s_barrier
	s_barrier
	s_and_saveexec_b64 s[0:1], s[2:3]
; %bb.937:
	v_lshlrev_b32_e32 v21, 3, v12
	v_lshl_or_b32 v21, v13, 9, v21
	ds_write_b64 v21, v[10:11] offset:3104
; %bb.938:
	s_or_b64 exec, exec, s[0:1]
	s_waitcnt lgkmcnt(0)
	s_barrier
	s_barrier
	s_and_saveexec_b64 s[0:1], s[34:35]
	s_cbranch_execz .LBB51_940
; %bb.939:
	v_lshlrev_b32_e32 v21, 3, v0
	s_movk_i32 s8, 0x1f8
	v_mad_u32_u24 v22, v0, s8, v21
	ds_read_b64 v[10:11], v22 offset:3104
	s_waitcnt lgkmcnt(0)
	ds_write_b64 v21, v[10:11] offset:2096
	ds_read_b64 v[10:11], v22 offset:3112
	s_waitcnt lgkmcnt(0)
	ds_write_b64 v21, v[10:11] offset:2608
.LBB51_940:
	s_or_b64 exec, exec, s[0:1]
	s_waitcnt lgkmcnt(0)
	s_barrier
	s_and_saveexec_b64 s[0:1], vcc
	s_cbranch_execz .LBB51_942
; %bb.941:
	v_mov_b32_e32 v23, 0
	ds_read_b64 v[10:11], v23 offset:2592
	s_mov_b64 s[8:9], 0x3f800000
	v_mov_b32_e32 v22, s9
	v_mov_b32_e32 v21, s8
	s_movk_i32 s8, 0x800
	ds_write_b64 v23, v[21:22] offset:2600
	v_add_u32_e64 v23, s8, 0
	s_waitcnt lgkmcnt(1)
	ds_write2_b64 v23, v[21:22], v[10:11] offset0:4 offset1:5
.LBB51_942:
	s_or_b64 exec, exec, s[0:1]
	v_mov_b32_e32 v11, 0
	v_mov_b32_e32 v10, 0
	s_waitcnt lgkmcnt(0)
	s_barrier
	buffer_wbinvl1_vol
	s_and_saveexec_b64 s[0:1], s[18:19]
	s_cbranch_execz .LBB51_948
; %bb.943:
	v_lshlrev_b32_e32 v21, 3, v18
	v_lshlrev_b32_e32 v22, 9, v19
	ds_read_b64 v[10:11], v21 offset:2048
	ds_read_b64 v[23:24], v22 offset:2080
	v_cmp_gt_u32_e64 s[8:9], 12, v15
	s_waitcnt lgkmcnt(0)
	v_mul_f32_e32 v25, v24, v11
	v_mul_f32_e32 v11, v23, v11
	v_fma_f32 v23, v23, v10, -v25
	v_fmac_f32_e32 v11, v24, v10
	v_add_f32_e32 v10, 0, v23
	v_add_f32_e32 v11, 0, v11
	s_and_saveexec_b64 s[10:11], s[8:9]
	s_cbranch_execnz .LBB51_1109
; %bb.944:
	s_or_b64 exec, exec, s[10:11]
	v_cmp_gt_u32_e64 s[8:9], 8, v15
	s_and_saveexec_b64 s[10:11], s[8:9]
	s_cbranch_execnz .LBB51_1110
.LBB51_945:
	s_or_b64 exec, exec, s[10:11]
	v_cmp_gt_u32_e64 s[8:9], 4, v15
	s_and_saveexec_b64 s[10:11], s[8:9]
	s_cbranch_execz .LBB51_947
.LBB51_946:
	v_lshlrev_b32_e32 v21, 3, v0
	v_mov_b32_e32 v23, 0
	ds_read_b64 v[21:22], v21 offset:3584
	ds_read_b64 v[23:24], v23 offset:3640
	s_waitcnt lgkmcnt(0)
	v_mul_f32_e32 v25, v24, v22
	v_mul_f32_e32 v22, v23, v22
	v_fma_f32 v23, v23, v21, -v25
	v_fmac_f32_e32 v22, v24, v21
	v_add_f32_e32 v10, v10, v23
	v_add_f32_e32 v11, v11, v22
.LBB51_947:
	s_or_b64 exec, exec, s[10:11]
.LBB51_948:
	s_or_b64 exec, exec, s[0:1]
	s_and_saveexec_b64 s[0:1], s[38:39]
; %bb.949:
	v_xor_b32_e32 v21, 0x80000000, v10
	v_xor_b32_e32 v22, 0x80000000, v11
	ds_write_b64 v20, v[21:22]
; %bb.950:
	s_or_b64 exec, exec, s[0:1]
	s_waitcnt lgkmcnt(0)
	s_barrier
	s_and_saveexec_b64 s[0:1], s[42:43]
	s_load_dword s38, s[4:5], 0x6c
	s_cbranch_execz .LBB51_952
; %bb.951:
	v_lshlrev_b32_e32 v21, 3, v18
	ds_read_b64 v[21:22], v21 offset:1536
	ds_read_b64 v[23:24], v20
	s_waitcnt lgkmcnt(0)
	v_mul_f32_e32 v25, v24, v22
	v_mul_f32_e32 v22, v23, v22
	v_fma_f32 v23, v23, v21, -v25
	v_fmac_f32_e32 v22, v24, v21
	v_sub_f32_e32 v10, v10, v23
	v_sub_f32_e32 v11, v11, v22
.LBB51_952:
	s_or_b64 exec, exec, s[0:1]
	s_waitcnt lgkmcnt(0)
	s_barrier
	s_and_saveexec_b64 s[0:1], s[44:45]
; %bb.953:
	v_xor_b32_e32 v21, 0x80000000, v10
	v_xor_b32_e32 v22, 0x80000000, v11
	ds_write_b64 v20, v[21:22]
; %bb.954:
	s_or_b64 exec, exec, s[0:1]
	s_waitcnt lgkmcnt(0)
	s_barrier
	s_and_saveexec_b64 s[0:1], s[52:53]
	s_cbranch_execz .LBB51_956
; %bb.955:
	v_lshlrev_b32_e32 v21, 3, v18
	ds_read_b64 v[21:22], v21 offset:1024
	ds_read_b64 v[23:24], v20
	s_waitcnt lgkmcnt(0)
	v_mul_f32_e32 v25, v24, v22
	v_mul_f32_e32 v22, v23, v22
	v_fma_f32 v23, v23, v21, -v25
	v_fmac_f32_e32 v22, v24, v21
	v_sub_f32_e32 v10, v10, v23
	v_sub_f32_e32 v11, v11, v22
.LBB51_956:
	s_or_b64 exec, exec, s[0:1]
	s_barrier
	s_and_saveexec_b64 s[0:1], s[54:55]
; %bb.957:
	v_xor_b32_e32 v21, 0x80000000, v10
	v_xor_b32_e32 v22, 0x80000000, v11
	ds_write_b64 v20, v[21:22]
; %bb.958:
	s_or_b64 exec, exec, s[0:1]
	s_waitcnt lgkmcnt(0)
	s_barrier
	s_and_saveexec_b64 s[0:1], s[36:37]
	s_cbranch_execz .LBB51_960
; %bb.959:
	v_mov_b32_e32 v21, 0
	ds_read_b64 v[21:22], v21 offset:512
	ds_read_b64 v[23:24], v20
	s_waitcnt lgkmcnt(0)
	v_mul_f32_e32 v25, v24, v22
	v_mul_f32_e32 v22, v23, v22
	v_fma_f32 v23, v23, v21, -v25
	v_fmac_f32_e32 v22, v24, v21
	v_sub_f32_e32 v10, v10, v23
	v_sub_f32_e32 v11, v11, v22
.LBB51_960:
	s_or_b64 exec, exec, s[0:1]
	s_barrier
	s_and_saveexec_b64 s[0:1], s[36:37]
; %bb.961:
	v_xor_b32_e32 v21, 0x80000000, v10
	v_xor_b32_e32 v22, 0x80000000, v11
	ds_write_b64 v20, v[21:22]
; %bb.962:
	s_or_b64 exec, exec, s[0:1]
	s_waitcnt lgkmcnt(0)
	s_barrier
	s_barrier
	s_and_saveexec_b64 s[0:1], s[18:19]
; %bb.963:
	v_lshlrev_b32_e32 v18, 3, v18
	v_lshl_or_b32 v18, v19, 9, v18
	ds_write_b64 v18, v[10:11] offset:2048
; %bb.964:
	s_or_b64 exec, exec, s[0:1]
	s_waitcnt lgkmcnt(0)
	s_barrier
	s_barrier
	s_and_saveexec_b64 s[0:1], s[56:57]
	s_cbranch_execz .LBB51_966
; %bb.965:
	v_lshlrev_b32_e32 v18, 9, v0
	ds_read_b64 v[10:11], v18 offset:2048
	s_movk_i32 s8, 0xfe08
	v_mad_i32_i24 v19, v0, s8, v18
	s_waitcnt lgkmcnt(0)
	ds_write_b64 v19, v[10:11] offset:32
	ds_read_b64 v[10:11], v18 offset:2056
	s_waitcnt lgkmcnt(0)
	ds_write_b64 v19, v[10:11] offset:544
	ds_read_b64 v[10:11], v18 offset:2064
	;; [unrolled: 3-line block ×3, first 2 shown]
	s_waitcnt lgkmcnt(0)
	ds_write_b64 v19, v[10:11] offset:1568
.LBB51_966:
	s_or_b64 exec, exec, s[0:1]
	s_waitcnt lgkmcnt(0)
	s_barrier
	s_and_saveexec_b64 s[0:1], vcc
	s_cbranch_execz .LBB51_968
; %bb.967:
	v_mov_b32_e32 v20, 0
	ds_read_b64 v[10:11], v20 offset:1552
	s_mov_b64 s[8:9], 0x3f800000
	v_mov_b32_e32 v19, s9
	v_mov_b32_e32 v18, s8
	ds_write_b64 v20, v[18:19] offset:1560
	s_waitcnt lgkmcnt(1)
	ds_write2_b64 v20, v[18:19], v[10:11] offset0:130 offset1:131
.LBB51_968:
	s_or_b64 exec, exec, s[0:1]
	v_mov_b32_e32 v10, 0
	v_mov_b32_e32 v11, 0
	s_waitcnt lgkmcnt(0)
	s_barrier
	buffer_wbinvl1_vol
	s_and_saveexec_b64 s[0:1], s[2:3]
	s_cbranch_execz .LBB51_972
; %bb.969:
	v_lshlrev_b32_e32 v10, 3, v12
	v_lshlrev_b32_e32 v18, 9, v13
	ds_read_b64 v[10:11], v10 offset:1024
	ds_read_b64 v[18:19], v18 offset:1040
	v_cmp_gt_u32_e64 s[8:9], 2, v15
	s_waitcnt lgkmcnt(0)
	v_mul_f32_e32 v20, v19, v11
	v_mul_f32_e32 v11, v18, v11
	v_fma_f32 v18, v18, v10, -v20
	v_fmac_f32_e32 v11, v19, v10
	v_add_f32_e32 v10, 0, v18
	v_add_f32_e32 v11, 0, v11
	s_and_saveexec_b64 s[10:11], s[8:9]
	s_cbranch_execz .LBB51_971
; %bb.970:
	v_lshlrev_b32_e32 v15, 3, v0
	v_mov_b32_e32 v20, 0
	ds_read_b64 v[18:19], v15 offset:1536
	ds_read_b64 v[20:21], v20 offset:1560
	s_waitcnt lgkmcnt(0)
	v_mul_f32_e32 v15, v21, v19
	v_mul_f32_e32 v19, v20, v19
	v_fma_f32 v15, v20, v18, -v15
	v_fmac_f32_e32 v19, v21, v18
	v_add_f32_e32 v10, v10, v15
	v_add_f32_e32 v11, v11, v19
.LBB51_971:
	s_or_b64 exec, exec, s[10:11]
.LBB51_972:
	s_or_b64 exec, exec, s[0:1]
	s_and_saveexec_b64 s[0:1], s[30:31]
; %bb.973:
	v_xor_b32_e32 v19, 0x80000000, v11
	v_xor_b32_e32 v18, 0x80000000, v10
	ds_write_b64 v14, v[18:19]
; %bb.974:
	s_or_b64 exec, exec, s[0:1]
	s_waitcnt lgkmcnt(0)
	s_barrier
	s_and_saveexec_b64 s[0:1], s[28:29]
	s_cbranch_execz .LBB51_976
; %bb.975:
	v_mov_b32_e32 v15, 0
	ds_read_b64 v[18:19], v15 offset:512
	ds_read_b64 v[20:21], v14
	s_waitcnt lgkmcnt(0)
	v_mul_f32_e32 v15, v20, v18
	v_mul_f32_e32 v20, v20, v19
	v_fmac_f32_e32 v20, v21, v18
	v_fma_f32 v15, v21, v19, -v15
	v_add_f32_e32 v10, v10, v15
	v_sub_f32_e32 v11, v11, v20
.LBB51_976:
	s_or_b64 exec, exec, s[0:1]
	s_barrier
	s_and_saveexec_b64 s[0:1], s[28:29]
; %bb.977:
	v_xor_b32_e32 v19, 0x80000000, v11
	v_xor_b32_e32 v18, 0x80000000, v10
	ds_write_b64 v14, v[18:19]
; %bb.978:
	s_or_b64 exec, exec, s[0:1]
	s_waitcnt lgkmcnt(0)
	s_barrier
	s_barrier
	s_and_saveexec_b64 s[0:1], s[2:3]
; %bb.979:
	v_lshlrev_b32_e32 v12, 3, v12
	v_lshl_or_b32 v12, v13, 9, v12
	ds_write_b64 v12, v[10:11] offset:1024
; %bb.980:
	s_or_b64 exec, exec, s[0:1]
	s_waitcnt lgkmcnt(0)
	s_barrier
	s_barrier
	s_and_saveexec_b64 s[0:1], s[34:35]
	s_cbranch_execz .LBB51_982
; %bb.981:
	v_lshlrev_b32_e32 v12, 3, v0
	s_movk_i32 s2, 0x1f8
	v_mad_u32_u24 v13, v0, s2, v12
	ds_read_b64 v[10:11], v13 offset:1024
	s_waitcnt lgkmcnt(0)
	ds_write_b64 v12, v[10:11] offset:16
	ds_read_b64 v[10:11], v13 offset:1032
	s_waitcnt lgkmcnt(0)
	ds_write_b64 v12, v[10:11] offset:528
.LBB51_982:
	s_or_b64 exec, exec, s[0:1]
	s_waitcnt lgkmcnt(0)
	s_barrier
	s_and_saveexec_b64 s[0:1], vcc
	s_cbranch_execz .LBB51_984
; %bb.983:
	v_mov_b32_e32 v14, 0
	ds_read_b64 v[10:11], v14 offset:512
	s_mov_b64 s[2:3], 0x3f800000
	v_mov_b32_e32 v13, s3
	v_mov_b32_e32 v12, s2
	ds_write_b64 v14, v[12:13] offset:520
	s_waitcnt lgkmcnt(1)
	ds_write2_b64 v14, v[12:13], v[10:11] offset1:1
.LBB51_984:
	s_or_b64 exec, exec, s[0:1]
.LBB51_985:
	s_load_dwordx4 s[12:15], s[4:5], 0x48
	v_cmp_le_i32_e32 vcc, s7, v0
	v_mov_b32_e32 v10, 0
	v_lshl_add_u32 v12, s6, 6, v0
	v_mov_b32_e32 v11, v10
	s_waitcnt lgkmcnt(0)
	s_mul_i32 s1, s13, s22
	s_mul_hi_u32 s2, s12, s22
	s_mul_i32 s0, s12, s22
	s_add_i32 s1, s2, s1
	s_lshl_b64 s[0:1], s[0:1], 3
	s_add_u32 s2, s46, s0
	s_addc_u32 s3, s47, s1
	s_lshl_b64 s[0:1], s[48:49], 3
	s_add_u32 s20, s2, s0
	s_addc_u32 s21, s3, s1
	s_and_b64 s[16:17], vcc, s[24:25]
	v_cmp_eq_u32_e64 s[2:3], 0, v1
	s_xor_b64 s[0:1], s[16:17], -1
	s_and_b64 s[4:5], s[2:3], s[0:1]
	s_barrier
	s_and_saveexec_b64 s[0:1], s[4:5]
	s_cbranch_execz .LBB51_987
; %bb.986:
	v_ashrrev_i32_e32 v13, 31, v12
	v_mul_lo_u32 v14, s51, v12
	v_mad_u64_u32 v[10:11], s[4:5], s50, v12, 0
	v_mul_lo_u32 v13, s50, v13
	v_add3_u32 v11, v11, v13, v14
	v_lshlrev_b64 v[10:11], 3, v[10:11]
	v_mov_b32_e32 v13, s21
	v_add_co_u32_e32 v10, vcc, s20, v10
	v_addc_co_u32_e32 v11, vcc, v13, v11, vcc
	global_load_dwordx2 v[13:14], v[10:11], off
	s_waitcnt vmcnt(0)
	v_mul_f32_e32 v10, s26, v13
	v_mul_f32_e32 v11, s26, v14
	v_fma_f32 v10, s27, v14, -v10
	v_fma_f32 v11, v13, -s27, -v11
.LBB51_987:
	s_or_b64 exec, exec, s[0:1]
	s_and_b32 s0, 0xffff, s38
	v_mad_u32_u24 v18, v1, s0, v0
	s_cmp_lt_i32 s6, 1
	v_cmp_eq_u32_e64 s[4:5], 0, v18
	s_cbranch_scc1 .LBB51_1022
; %bb.988:
	v_mad_u64_u32 v[13:14], s[0:1], s40, v12, 0
	v_cmp_gt_i32_e64 s[8:9], s33, v12
	s_mov_b32 s26, 0
	v_mad_u64_u32 v[14:15], s[0:1], s41, v12, v[14:15]
	s_lshl_b64 s[0:1], s[22:23], 2
	s_add_u32 s0, s14, s0
	v_lshlrev_b64 v[12:13], 3, v[13:14]
	v_mov_b32_e32 v15, 0xa000
	v_mov_b32_e32 v14, s91
	v_add_co_u32_e32 v21, vcc, s90, v12
	s_addc_u32 s1, s15, s1
	v_cmp_gt_u32_e64 s[12:13], 64, v18
	v_lshl_add_u32 v19, v18, 3, v15
	v_lshl_or_b32 v20, v1, 3, v15
	s_add_i32 s27, s6, -1
	v_addc_co_u32_e32 v22, vcc, v14, v13, vcc
	v_mov_b32_e32 v23, -1
	v_mov_b32_e32 v13, 0
	s_branch .LBB51_991
.LBB51_989:                             ;   in Loop: Header=BB51_991 Depth=1
	ds_read_b64 v[14:15], v20 offset:384
	s_waitcnt vmcnt(0) lgkmcnt(0)
	v_mul_f32_e32 v25, v24, v15
	v_mul_f32_e32 v24, v24, v14
	v_fmac_f32_e32 v25, v12, v14
	v_fma_f32 v12, v12, v15, -v24
	v_add_f32_e32 v10, v10, v25
	v_add_f32_e32 v11, v11, v12
.LBB51_990:                             ;   in Loop: Header=BB51_991 Depth=1
	s_or_b64 exec, exec, s[18:19]
	s_add_i32 s26, s26, 1
	s_cmp_eq_u32 s26, s6
	s_cbranch_scc1 .LBB51_1022
.LBB51_991:                             ; =>This Loop Header: Depth=1
                                        ;     Child Loop BB51_993 Depth 2
	v_cmp_gt_i32_e32 vcc, s26, v23
	s_and_b64 s[18:19], s[4:5], vcc
	s_and_saveexec_b64 s[10:11], s[18:19]
	s_cbranch_execz .LBB51_994
; %bb.992:                              ;   in Loop: Header=BB51_991 Depth=1
	global_load_dword v23, v13, s[0:1]
	s_waitcnt vmcnt(0)
	v_cmp_le_i32_e32 vcc, s26, v23
	s_cbranch_vccnz .LBB51_994
.LBB51_993:                             ;   Parent Loop BB51_991 Depth=1
                                        ; =>  This Inner Loop Header: Depth=2
	buffer_wbinvl1_vol
	global_load_dword v23, v13, s[0:1]
	s_waitcnt vmcnt(0)
	v_cmp_gt_i32_e32 vcc, s26, v23
	s_cbranch_vccnz .LBB51_993
.LBB51_994:                             ;   in Loop: Header=BB51_991 Depth=1
	s_or_b64 exec, exec, s[10:11]
	s_lshl_b32 s28, s26, 6
	buffer_wbinvl1_vol
	s_barrier
	s_and_saveexec_b64 s[10:11], s[12:13]
	s_cbranch_execz .LBB51_999
; %bb.995:                              ;   in Loop: Header=BB51_991 Depth=1
	v_or_b32_e32 v12, s28, v18
	v_cmp_le_i32_e32 vcc, s33, v12
	s_and_saveexec_b64 s[18:19], vcc
	s_xor_b64 s[18:19], exec, s[18:19]
; %bb.996:                              ;   in Loop: Header=BB51_991 Depth=1
	v_mov_b32_e32 v12, v13
	ds_write_b64 v19, v[12:13]
                                        ; implicit-def: $vgpr12
; %bb.997:                              ;   in Loop: Header=BB51_991 Depth=1
	s_andn2_saveexec_b64 s[18:19], s[18:19]
	s_cbranch_execz .LBB51_999
; %bb.998:                              ;   in Loop: Header=BB51_991 Depth=1
	v_mad_u64_u32 v[14:15], s[18:19], s50, v12, 0
	v_mad_u64_u32 v[24:25], s[18:19], s51, v12, v[15:16]
	v_mov_b32_e32 v12, s21
	v_mov_b32_e32 v15, v24
	v_lshlrev_b64 v[14:15], 3, v[14:15]
	v_add_co_u32_e32 v14, vcc, s20, v14
	v_addc_co_u32_e32 v15, vcc, v12, v15, vcc
	global_load_dwordx2 v[14:15], v[14:15], off
	s_waitcnt vmcnt(0)
	ds_write_b64 v19, v[14:15]
.LBB51_999:                             ;   in Loop: Header=BB51_991 Depth=1
	s_or_b64 exec, exec, s[10:11]
	v_add_u32_e32 v12, s28, v1
	v_lshlrev_b64 v[14:15], 3, v[12:13]
	s_cmp_lg_u32 s26, s27
	v_add_co_u32_e32 v14, vcc, v21, v14
	s_cselect_b64 s[10:11], -1, 0
	v_addc_co_u32_e32 v15, vcc, v22, v15, vcc
	v_cmp_gt_i32_e32 vcc, s33, v12
	v_cndmask_b32_e64 v24, 0, 1, s[10:11]
	s_and_b64 s[28:29], vcc, s[8:9]
	v_cmp_ne_u32_e64 s[10:11], 1, v24
	s_waitcnt lgkmcnt(0)
	s_barrier
	s_and_saveexec_b64 s[18:19], s[28:29]
	s_cbranch_execz .LBB51_1005
; %bb.1000:                             ;   in Loop: Header=BB51_991 Depth=1
	s_and_b64 vcc, exec, s[10:11]
	v_mov_b32_e32 v24, v4
	s_cbranch_vccnz .LBB51_1002
; %bb.1001:                             ;   in Loop: Header=BB51_991 Depth=1
	global_load_dword v24, v[14:15], off
.LBB51_1002:                            ;   in Loop: Header=BB51_991 Depth=1
	s_and_b64 vcc, exec, s[10:11]
	v_mov_b32_e32 v25, v5
	s_cbranch_vccnz .LBB51_1004
; %bb.1003:                             ;   in Loop: Header=BB51_991 Depth=1
	global_load_dword v25, v[14:15], off offset:4
.LBB51_1004:                            ;   in Loop: Header=BB51_991 Depth=1
	ds_read_b64 v[26:27], v20
	s_waitcnt vmcnt(0) lgkmcnt(0)
	v_mul_f32_e32 v28, v25, v27
	v_mul_f32_e32 v25, v25, v26
	v_fmac_f32_e32 v28, v24, v26
	v_fma_f32 v24, v24, v27, -v25
	v_add_f32_e32 v10, v10, v28
	v_add_f32_e32 v11, v11, v24
.LBB51_1005:                            ;   in Loop: Header=BB51_991 Depth=1
	s_or_b64 exec, exec, s[18:19]
	v_add_u32_e32 v24, 16, v12
	v_cmp_gt_i32_e32 vcc, s33, v24
	s_and_b64 s[28:29], vcc, s[8:9]
	s_and_saveexec_b64 s[18:19], s[28:29]
	s_cbranch_execz .LBB51_1011
; %bb.1006:                             ;   in Loop: Header=BB51_991 Depth=1
	s_and_b64 vcc, exec, s[10:11]
	v_mov_b32_e32 v24, v2
	s_cbranch_vccnz .LBB51_1008
; %bb.1007:                             ;   in Loop: Header=BB51_991 Depth=1
	global_load_dword v24, v[14:15], off offset:128
.LBB51_1008:                            ;   in Loop: Header=BB51_991 Depth=1
	s_and_b64 vcc, exec, s[10:11]
	v_mov_b32_e32 v25, v3
	s_cbranch_vccnz .LBB51_1010
; %bb.1009:                             ;   in Loop: Header=BB51_991 Depth=1
	global_load_dword v25, v[14:15], off offset:132
.LBB51_1010:                            ;   in Loop: Header=BB51_991 Depth=1
	ds_read_b64 v[26:27], v20 offset:128
	s_waitcnt vmcnt(0) lgkmcnt(0)
	v_mul_f32_e32 v28, v25, v27
	v_mul_f32_e32 v25, v25, v26
	v_fmac_f32_e32 v28, v24, v26
	v_fma_f32 v24, v24, v27, -v25
	v_add_f32_e32 v10, v10, v28
	v_add_f32_e32 v11, v11, v24
.LBB51_1011:                            ;   in Loop: Header=BB51_991 Depth=1
	s_or_b64 exec, exec, s[18:19]
	v_add_u32_e32 v24, 32, v12
	v_cmp_gt_i32_e32 vcc, s33, v24
	s_and_b64 s[28:29], vcc, s[8:9]
	s_and_saveexec_b64 s[18:19], s[28:29]
	s_cbranch_execz .LBB51_1017
; %bb.1012:                             ;   in Loop: Header=BB51_991 Depth=1
	s_and_b64 vcc, exec, s[10:11]
	v_mov_b32_e32 v24, v8
	s_cbranch_vccnz .LBB51_1014
; %bb.1013:                             ;   in Loop: Header=BB51_991 Depth=1
	global_load_dword v24, v[14:15], off offset:256
.LBB51_1014:                            ;   in Loop: Header=BB51_991 Depth=1
	s_and_b64 vcc, exec, s[10:11]
	v_mov_b32_e32 v25, v9
	s_cbranch_vccnz .LBB51_1016
; %bb.1015:                             ;   in Loop: Header=BB51_991 Depth=1
	global_load_dword v25, v[14:15], off offset:260
.LBB51_1016:                            ;   in Loop: Header=BB51_991 Depth=1
	ds_read_b64 v[26:27], v20 offset:256
	s_waitcnt vmcnt(0) lgkmcnt(0)
	v_mul_f32_e32 v28, v25, v27
	v_mul_f32_e32 v25, v25, v26
	v_fmac_f32_e32 v28, v24, v26
	v_fma_f32 v24, v24, v27, -v25
	v_add_f32_e32 v10, v10, v28
	v_add_f32_e32 v11, v11, v24
.LBB51_1017:                            ;   in Loop: Header=BB51_991 Depth=1
	s_or_b64 exec, exec, s[18:19]
	v_add_u32_e32 v12, 48, v12
	v_cmp_gt_i32_e32 vcc, s33, v12
	s_and_b64 s[28:29], vcc, s[8:9]
	s_and_saveexec_b64 s[18:19], s[28:29]
	s_cbranch_execz .LBB51_990
; %bb.1018:                             ;   in Loop: Header=BB51_991 Depth=1
	s_and_b64 vcc, exec, s[10:11]
	v_mov_b32_e32 v12, v6
	s_cbranch_vccnz .LBB51_1020
; %bb.1019:                             ;   in Loop: Header=BB51_991 Depth=1
	global_load_dword v12, v[14:15], off offset:384
.LBB51_1020:                            ;   in Loop: Header=BB51_991 Depth=1
	s_and_b64 vcc, exec, s[10:11]
	v_mov_b32_e32 v24, v7
	s_cbranch_vccnz .LBB51_989
; %bb.1021:                             ;   in Loop: Header=BB51_991 Depth=1
	global_load_dword v24, v[14:15], off offset:388
	s_branch .LBB51_989
.LBB51_1022:
	s_xor_b64 s[0:1], s[24:25], -1
	v_lshlrev_b32_e32 v4, 3, v17
	ds_write_b64 v4, v[10:11] offset:32768
	s_waitcnt lgkmcnt(0)
	s_barrier
	s_and_saveexec_b64 s[4:5], s[2:3]
	s_cbranch_execz .LBB51_1024
; %bb.1023:
	v_lshlrev_b32_e32 v17, 3, v0
	ds_read2st64_b64 v[5:8], v17 offset0:65 offset1:66
	ds_read2st64_b64 v[12:15], v17 offset0:67 offset1:68
	ds_read_b64 v[2:3], v17 offset:40448
	s_waitcnt lgkmcnt(2)
	v_add_f32_e32 v5, v10, v5
	v_add_f32_e32 v6, v11, v6
	;; [unrolled: 1-line block ×4, first 2 shown]
	ds_read2st64_b64 v[5:8], v17 offset0:69 offset1:70
	s_waitcnt lgkmcnt(2)
	v_add_f32_e32 v9, v9, v12
	v_add_f32_e32 v10, v10, v13
	;; [unrolled: 1-line block ×4, first 2 shown]
	s_waitcnt lgkmcnt(0)
	v_add_f32_e32 v5, v9, v5
	ds_read2st64_b64 v[9:12], v17 offset0:71 offset1:72
	v_add_f32_e32 v6, v13, v6
	v_add_f32_e32 v13, v5, v7
	;; [unrolled: 1-line block ×3, first 2 shown]
	ds_read2st64_b64 v[5:8], v17 offset0:73 offset1:74
	s_waitcnt lgkmcnt(1)
	v_add_f32_e32 v9, v13, v9
	v_add_f32_e32 v10, v14, v10
	;; [unrolled: 1-line block ×4, first 2 shown]
	s_waitcnt lgkmcnt(0)
	v_add_f32_e32 v5, v9, v5
	ds_read2st64_b64 v[9:12], v17 offset0:75 offset1:76
	v_add_f32_e32 v6, v13, v6
	v_add_f32_e32 v13, v5, v7
	;; [unrolled: 1-line block ×3, first 2 shown]
	ds_read2st64_b64 v[5:8], v17 offset0:77 offset1:78
	s_waitcnt lgkmcnt(1)
	v_add_f32_e32 v9, v13, v9
	v_add_f32_e32 v10, v14, v10
	;; [unrolled: 1-line block ×4, first 2 shown]
	s_waitcnt lgkmcnt(0)
	v_add_f32_e32 v5, v9, v5
	v_add_f32_e32 v6, v10, v6
	;; [unrolled: 1-line block ×6, first 2 shown]
	v_cndmask_b32_e64 v10, -v2, 0, s[16:17]
	v_cndmask_b32_e64 v11, -v3, 0, s[16:17]
.LBB51_1024:
	s_or_b64 exec, exec, s[4:5]
	s_and_b64 vcc, exec, s[60:61]
	s_cbranch_vccnz .LBB51_1037
; %bb.1025:
	v_mov_b32_e32 v2, 0xa000
	v_lshl_or_b32 v5, v1, 3, v2
	s_and_saveexec_b64 s[4:5], s[2:3]
; %bb.1026:
	v_lshl_add_u32 v2, v0, 3, v5
	ds_write_b64 v2, v[10:11]
; %bb.1027:
	s_or_b64 exec, exec, s[4:5]
	v_cmp_le_u32_e32 vcc, v1, v0
	v_mov_b32_e32 v2, 0
	v_mov_b32_e32 v3, 0
	s_waitcnt lgkmcnt(0)
	s_barrier
	s_and_saveexec_b64 s[4:5], vcc
	s_cbranch_execz .LBB51_1029
; %bb.1028:
	ds_read_b64 v[2:3], v4
	ds_read_b64 v[6:7], v5
	s_waitcnt lgkmcnt(0)
	v_mul_f32_e32 v8, v7, v3
	v_mul_f32_e32 v3, v6, v3
	v_fma_f32 v6, v6, v2, -v8
	v_fmac_f32_e32 v3, v7, v2
	v_add_f32_e32 v2, 0, v6
	v_add_f32_e32 v3, 0, v3
.LBB51_1029:
	s_or_b64 exec, exec, s[4:5]
	v_add_u32_e32 v6, 16, v1
	v_cmp_ge_u32_e32 vcc, v0, v6
	s_and_saveexec_b64 s[4:5], vcc
	s_cbranch_execz .LBB51_1031
; %bb.1030:
	ds_read_b64 v[6:7], v4 offset:8192
	ds_read_b64 v[8:9], v5 offset:128
	s_waitcnt lgkmcnt(0)
	v_mul_f32_e32 v12, v9, v7
	v_mul_f32_e32 v7, v8, v7
	v_fma_f32 v8, v8, v6, -v12
	v_fmac_f32_e32 v7, v9, v6
	v_add_f32_e32 v2, v2, v8
	v_add_f32_e32 v3, v3, v7
.LBB51_1031:
	s_or_b64 exec, exec, s[4:5]
	v_add_u32_e32 v6, 32, v1
	v_cmp_ge_u32_e32 vcc, v0, v6
	s_and_saveexec_b64 s[4:5], vcc
	s_cbranch_execz .LBB51_1033
; %bb.1032:
	ds_read_b64 v[6:7], v4 offset:16384
	ds_read_b64 v[8:9], v5 offset:256
	s_waitcnt lgkmcnt(0)
	v_mul_f32_e32 v12, v9, v7
	v_mul_f32_e32 v7, v8, v7
	v_fma_f32 v8, v8, v6, -v12
	v_fmac_f32_e32 v7, v9, v6
	v_add_f32_e32 v2, v2, v8
	v_add_f32_e32 v3, v3, v7
.LBB51_1033:
	s_or_b64 exec, exec, s[4:5]
	v_add_u32_e32 v1, 48, v1
	v_add_u32_e32 v6, 0x8000, v4
	v_cmp_ge_u32_e32 vcc, v0, v1
	s_and_saveexec_b64 s[4:5], vcc
	s_cbranch_execz .LBB51_1035
; %bb.1034:
	ds_read_b64 v[7:8], v4 offset:24576
	ds_read_b64 v[4:5], v5 offset:384
	s_waitcnt lgkmcnt(0)
	v_mul_f32_e32 v1, v5, v8
	v_mul_f32_e32 v8, v4, v8
	v_fma_f32 v1, v4, v7, -v1
	v_fmac_f32_e32 v8, v5, v7
	v_add_f32_e32 v2, v2, v1
	v_add_f32_e32 v3, v3, v8
.LBB51_1035:
	s_or_b64 exec, exec, s[4:5]
	s_mov_b64 s[8:9], 0
	s_mov_b64 s[4:5], 0
	ds_write_b64 v6, v[2:3]
	s_waitcnt lgkmcnt(0)
	s_barrier
                                        ; implicit-def: $vgpr1
                                        ; implicit-def: $vgpr6
                                        ; implicit-def: $vgpr4_vgpr5
	s_and_saveexec_b64 s[10:11], s[2:3]
	s_cbranch_execz .LBB51_1050
; %bb.1036:
	v_lshlrev_b32_e32 v9, 3, v0
	ds_read2st64_b64 v[4:7], v9 offset0:65 offset1:66
	ds_read2st64_b64 v[12:15], v9 offset0:67 offset1:68
	ds_read_b64 v[19:20], v9 offset:40448
	s_mov_b64 s[4:5], exec
	s_waitcnt lgkmcnt(2)
	v_add_f32_e32 v1, v2, v4
	v_add_f32_e32 v2, v3, v5
	;; [unrolled: 1-line block ×4, first 2 shown]
	ds_read2st64_b64 v[1:4], v9 offset0:69 offset1:70
	s_waitcnt lgkmcnt(2)
	v_add_f32_e32 v5, v5, v12
	v_add_f32_e32 v6, v6, v13
	;; [unrolled: 1-line block ×4, first 2 shown]
	s_waitcnt lgkmcnt(0)
	v_add_f32_e32 v1, v5, v1
	ds_read2st64_b64 v[5:8], v9 offset0:71 offset1:72
	v_add_f32_e32 v2, v12, v2
	v_add_f32_e32 v12, v1, v3
	;; [unrolled: 1-line block ×3, first 2 shown]
	ds_read2st64_b64 v[1:4], v9 offset0:73 offset1:74
	s_waitcnt lgkmcnt(1)
	v_add_f32_e32 v5, v12, v5
	v_add_f32_e32 v6, v13, v6
	;; [unrolled: 1-line block ×4, first 2 shown]
	s_waitcnt lgkmcnt(0)
	v_add_f32_e32 v1, v5, v1
	ds_read2st64_b64 v[5:8], v9 offset0:75 offset1:76
	v_add_f32_e32 v2, v12, v2
	ds_read2st64_b64 v[12:15], v9 offset0:77 offset1:78
	v_add_f32_e32 v1, v1, v3
	v_lshl_add_u32 v3, s6, 6, v18
	v_add_f32_e32 v2, v2, v4
	s_waitcnt lgkmcnt(1)
	v_add_f32_e32 v1, v1, v5
	v_mad_u64_u32 v[4:5], s[12:13], s50, v3, 0
	v_add_f32_e32 v1, v1, v7
	v_add_f32_e32 v2, v2, v6
	s_waitcnt lgkmcnt(0)
	v_add_f32_e32 v1, v1, v12
	v_add_f32_e32 v2, v2, v8
	;; [unrolled: 1-line block ×3, first 2 shown]
	v_mov_b32_e32 v1, v5
	v_add_f32_e32 v6, v2, v13
	v_mad_u64_u32 v[2:3], s[12:13], s51, v3, v[1:2]
	v_add_f32_e32 v1, v6, v15
	v_add_f32_e32 v6, v7, v19
	;; [unrolled: 1-line block ×3, first 2 shown]
	v_mov_b32_e32 v5, v2
	s_or_b64 exec, exec, s[10:11]
	s_and_b64 vcc, exec, s[8:9]
	s_cbranch_vccnz .LBB51_1038
	s_branch .LBB51_1051
.LBB51_1037:
	s_mov_b64 s[4:5], 0
                                        ; implicit-def: $vgpr1
                                        ; implicit-def: $vgpr6
                                        ; implicit-def: $vgpr4_vgpr5
	s_cbranch_execz .LBB51_1051
.LBB51_1038:
	s_mov_b32 s10, 0
	v_mov_b32_e32 v1, 0
	v_mov_b32_e32 v2, v0
	s_branch .LBB51_1040
.LBB51_1039:                            ;   in Loop: Header=BB51_1040 Depth=1
	s_or_b64 exec, exec, s[8:9]
	s_add_i32 s10, s10, 2
	v_add_u32_e32 v16, 0x400, v16
	s_cmp_lg_u32 s10, 64
	v_add_u32_e32 v2, -2, v2
	s_barrier
	s_cbranch_scc0 .LBB51_1048
.LBB51_1040:                            ; =>This Inner Loop Header: Depth=1
	v_cmp_eq_u32_e32 vcc, 0, v2
	s_and_b64 s[12:13], s[2:3], vcc
	s_and_saveexec_b64 s[8:9], s[12:13]
; %bb.1041:                             ;   in Loop: Header=BB51_1040 Depth=1
	ds_write_b64 v1, v[10:11] offset:41472
; %bb.1042:                             ;   in Loop: Header=BB51_1040 Depth=1
	s_or_b64 exec, exec, s[8:9]
	v_cmp_lt_u32_e32 vcc, s10, v0
	s_and_b64 s[12:13], s[2:3], vcc
	s_waitcnt lgkmcnt(0)
	s_barrier
	s_and_saveexec_b64 s[8:9], s[12:13]
	s_cbranch_execz .LBB51_1044
; %bb.1043:                             ;   in Loop: Header=BB51_1040 Depth=1
	ds_read_b64 v[3:4], v16
	ds_read_b64 v[5:6], v1 offset:41472
	s_waitcnt lgkmcnt(0)
	v_mul_f32_e32 v7, v6, v4
	v_mul_f32_e32 v4, v5, v4
	v_fma_f32 v5, v5, v3, -v7
	v_fmac_f32_e32 v4, v6, v3
	v_add_f32_e32 v10, v10, v5
	v_add_f32_e32 v11, v11, v4
.LBB51_1044:                            ;   in Loop: Header=BB51_1040 Depth=1
	s_or_b64 exec, exec, s[8:9]
	s_or_b32 s11, s10, 1
	v_cmp_eq_u32_e32 vcc, s11, v0
	s_and_b64 s[12:13], s[2:3], vcc
	s_barrier
	s_and_saveexec_b64 s[8:9], s[12:13]
; %bb.1045:                             ;   in Loop: Header=BB51_1040 Depth=1
	ds_write_b64 v1, v[10:11] offset:41472
; %bb.1046:                             ;   in Loop: Header=BB51_1040 Depth=1
	s_or_b64 exec, exec, s[8:9]
	v_cmp_lt_u32_e32 vcc, s11, v0
	s_and_b64 s[12:13], s[2:3], vcc
	s_waitcnt lgkmcnt(0)
	s_barrier
	s_and_saveexec_b64 s[8:9], s[12:13]
	s_cbranch_execz .LBB51_1039
; %bb.1047:                             ;   in Loop: Header=BB51_1040 Depth=1
	ds_read_b64 v[3:4], v16 offset:512
	ds_read_b64 v[5:6], v1 offset:41472
	s_waitcnt lgkmcnt(0)
	v_mul_f32_e32 v7, v6, v4
	v_mul_f32_e32 v4, v5, v4
	v_fma_f32 v5, v5, v3, -v7
	v_fmac_f32_e32 v4, v6, v3
	v_add_f32_e32 v10, v10, v5
	v_add_f32_e32 v11, v11, v4
	s_branch .LBB51_1039
.LBB51_1048:
	s_and_b64 vcc, exec, s[0:1]
	s_cbranch_vccz .LBB51_1052
; %bb.1049:
	s_and_b64 s[0:1], s[2:3], exec
	s_cbranch_execz .LBB51_1053
	s_branch .LBB51_1054
.LBB51_1050:
	s_or_b64 exec, exec, s[10:11]
	s_and_b64 vcc, exec, s[8:9]
	s_cbranch_vccnz .LBB51_1038
.LBB51_1051:
	v_mov_b32_e32 v11, v1
	v_mov_b32_e32 v10, v6
	s_and_saveexec_b64 s[0:1], s[4:5]
	s_cbranch_execnz .LBB51_1057
	s_branch .LBB51_1058
.LBB51_1052:
	s_mov_b64 s[0:1], 0
.LBB51_1053:
	v_cmp_gt_i32_e32 vcc, s7, v0
	s_and_b64 s[2:3], s[2:3], vcc
	s_andn2_b64 s[0:1], s[0:1], exec
	s_and_b64 s[2:3], s[2:3], exec
	s_or_b64 s[0:1], s[0:1], s[2:3]
.LBB51_1054:
                                        ; implicit-def: $vgpr4_vgpr5
	s_and_saveexec_b64 s[2:3], s[0:1]
	s_cbranch_execz .LBB51_1056
; %bb.1055:
	s_lshl_b32 s0, s6, 6
	s_ashr_i32 s1, s0, 31
	v_mov_b32_e32 v0, s1
	v_add_co_u32_e32 v1, vcc, s0, v18
	v_addc_co_u32_e32 v0, vcc, 0, v0, vcc
	v_mul_lo_u32 v0, v0, s50
	v_mul_lo_u32 v2, v1, s51
	v_mad_u64_u32 v[4:5], s[0:1], v1, s50, 0
	s_or_b64 s[4:5], s[4:5], exec
	v_add3_u32 v5, v5, v2, v0
.LBB51_1056:
	s_or_b64 exec, exec, s[2:3]
	s_and_saveexec_b64 s[0:1], s[4:5]
	s_cbranch_execz .LBB51_1058
.LBB51_1057:
	v_lshlrev_b64 v[0:1], 3, v[4:5]
	v_mov_b32_e32 v2, s21
	v_add_co_u32_e32 v0, vcc, s20, v0
	v_addc_co_u32_e32 v1, vcc, v2, v1, vcc
	global_store_dwordx2 v[0:1], v[10:11], off
.LBB51_1058:
	s_or_b64 exec, exec, s[0:1]
	v_cmp_eq_u32_e32 vcc, 0, v18
	s_waitcnt vmcnt(0)
	buffer_wbinvl1_vol
	s_barrier
	s_and_saveexec_b64 s[0:1], vcc
	s_cbranch_execz .LBB51_1060
; %bb.1059:
	s_lshl_b64 s[2:3], s[22:23], 2
	s_add_u32 s2, s14, s2
	s_addc_u32 s3, s15, s3
	v_mov_b32_e32 v0, 0
	global_load_dword v1, v0, s[2:3]
	s_waitcnt vmcnt(0)
	v_add_u32_e32 v1, 1, v1
	global_store_dword v0, v1, s[2:3]
.LBB51_1060:
	s_or_b64 exec, exec, s[0:1]
	s_waitcnt vmcnt(0)
	buffer_wbinvl1_vol
	s_endpgm
.LBB51_1061:
	ds_read_b64 v[23:24], v21 offset:31680
	ds_read_b64 v[25:26], v22 offset:31208
	s_waitcnt lgkmcnt(0)
	v_mul_f32_e32 v27, v26, v24
	v_mul_f32_e32 v24, v25, v24
	v_fma_f32 v25, v25, v23, -v27
	v_fmac_f32_e32 v24, v26, v23
	v_add_f32_e32 v10, v10, v25
	v_add_f32_e32 v11, v11, v24
	s_or_b64 exec, exec, s[14:15]
	v_cmp_gt_u32_e64 s[10:11], 8, v15
	s_and_saveexec_b64 s[14:15], s[10:11]
	s_cbranch_execz .LBB51_85
.LBB51_1062:
	ds_read_b64 v[23:24], v21 offset:32192
	ds_read_b64 v[21:22], v22 offset:31216
	s_waitcnt lgkmcnt(0)
	v_mul_f32_e32 v25, v22, v24
	v_mul_f32_e32 v24, v21, v24
	v_fma_f32 v21, v21, v23, -v25
	v_fmac_f32_e32 v24, v22, v23
	v_add_f32_e32 v10, v10, v21
	v_add_f32_e32 v11, v11, v24
	s_or_b64 exec, exec, s[14:15]
	v_cmp_gt_u32_e64 s[10:11], 4, v15
	s_and_saveexec_b64 s[14:15], s[10:11]
	s_cbranch_execnz .LBB51_86
	s_branch .LBB51_87
.LBB51_1063:
	ds_read_b64 v[26:27], v24 offset:29568
	ds_read_b64 v[28:29], v25 offset:29128
	s_waitcnt lgkmcnt(0)
	v_mul_f32_e32 v30, v29, v27
	v_mul_f32_e32 v27, v28, v27
	v_fma_f32 v28, v28, v26, -v30
	v_fmac_f32_e32 v27, v29, v26
	v_add_f32_e32 v10, v10, v28
	v_add_f32_e32 v11, v11, v27
	s_or_b64 exec, exec, s[16:17]
	v_cmp_gt_u32_e64 s[14:15], 48, v15
	s_and_saveexec_b64 s[16:17], s[14:15]
	s_cbranch_execz .LBB51_127
.LBB51_1064:
	ds_read_b64 v[26:27], v24 offset:30080
	ds_read_b64 v[28:29], v25 offset:29136
	s_waitcnt lgkmcnt(0)
	v_mul_f32_e32 v30, v29, v27
	v_mul_f32_e32 v27, v28, v27
	v_fma_f32 v28, v28, v26, -v30
	v_fmac_f32_e32 v27, v29, v26
	v_add_f32_e32 v10, v10, v28
	v_add_f32_e32 v11, v11, v27
	s_or_b64 exec, exec, s[16:17]
	v_cmp_gt_u32_e64 s[14:15], 40, v15
	s_and_saveexec_b64 s[16:17], s[14:15]
	s_cbranch_execz .LBB51_128
.LBB51_1065:
	ds_read_b64 v[26:27], v24 offset:30592
	ds_read_b64 v[28:29], v25 offset:29144
	s_waitcnt lgkmcnt(0)
	v_mul_f32_e32 v30, v29, v27
	v_mul_f32_e32 v27, v28, v27
	v_fma_f32 v28, v28, v26, -v30
	v_fmac_f32_e32 v27, v29, v26
	v_add_f32_e32 v10, v10, v28
	v_add_f32_e32 v11, v11, v27
	s_or_b64 exec, exec, s[16:17]
	v_cmp_gt_u32_e64 s[14:15], 32, v15
	s_and_saveexec_b64 s[16:17], s[14:15]
	s_cbranch_execz .LBB51_129
.LBB51_1066:
	ds_read_b64 v[26:27], v24 offset:31104
	ds_read_b64 v[28:29], v25 offset:29152
	s_waitcnt lgkmcnt(0)
	v_mul_f32_e32 v30, v29, v27
	v_mul_f32_e32 v27, v28, v27
	v_fma_f32 v28, v28, v26, -v30
	v_fmac_f32_e32 v27, v29, v26
	v_add_f32_e32 v10, v10, v28
	v_add_f32_e32 v11, v11, v27
	s_or_b64 exec, exec, s[16:17]
	v_cmp_gt_u32_e64 s[14:15], 24, v15
	s_and_saveexec_b64 s[16:17], s[14:15]
	s_cbranch_execz .LBB51_130
.LBB51_1067:
	ds_read_b64 v[26:27], v24 offset:31616
	ds_read_b64 v[28:29], v25 offset:29160
	s_waitcnt lgkmcnt(0)
	v_mul_f32_e32 v30, v29, v27
	v_mul_f32_e32 v27, v28, v27
	v_fma_f32 v28, v28, v26, -v30
	v_fmac_f32_e32 v27, v29, v26
	v_add_f32_e32 v10, v10, v28
	v_add_f32_e32 v11, v11, v27
	s_or_b64 exec, exec, s[16:17]
	s_and_saveexec_b64 s[14:15], s[18:19]
	s_cbranch_execz .LBB51_131
.LBB51_1068:
	ds_read_b64 v[26:27], v24 offset:32128
	ds_read_b64 v[24:25], v25 offset:29168
	s_waitcnt lgkmcnt(0)
	v_mul_f32_e32 v28, v25, v27
	v_mul_f32_e32 v27, v24, v27
	v_fma_f32 v24, v24, v26, -v28
	v_fmac_f32_e32 v27, v25, v26
	v_add_f32_e32 v10, v10, v24
	v_add_f32_e32 v11, v11, v27
	s_or_b64 exec, exec, s[14:15]
	v_cmp_gt_u32_e64 s[14:15], 8, v15
	s_and_saveexec_b64 s[16:17], s[14:15]
	s_cbranch_execnz .LBB51_132
	s_branch .LBB51_133
.LBB51_1069:
	ds_read_b64 v[26:27], v24 offset:27520
	ds_read_b64 v[28:29], v25 offset:27048
	s_waitcnt lgkmcnt(0)
	v_mul_f32_e32 v30, v29, v27
	v_mul_f32_e32 v27, v28, v27
	v_fma_f32 v28, v28, v26, -v30
	v_fmac_f32_e32 v27, v29, v26
	v_add_f32_e32 v10, v10, v28
	v_add_f32_e32 v11, v11, v27
	s_or_b64 exec, exec, s[14:15]
	v_cmp_gt_u32_e64 s[10:11], 8, v15
	s_and_saveexec_b64 s[14:15], s[10:11]
	s_cbranch_execz .LBB51_189
.LBB51_1070:
	ds_read_b64 v[26:27], v24 offset:28032
	ds_read_b64 v[24:25], v25 offset:27056
	s_waitcnt lgkmcnt(0)
	v_mul_f32_e32 v28, v25, v27
	v_mul_f32_e32 v27, v24, v27
	v_fma_f32 v24, v24, v26, -v28
	v_fmac_f32_e32 v27, v25, v26
	v_add_f32_e32 v10, v10, v24
	v_add_f32_e32 v11, v11, v27
	s_or_b64 exec, exec, s[14:15]
	v_cmp_gt_u32_e64 s[10:11], 4, v15
	s_and_saveexec_b64 s[14:15], s[10:11]
	s_cbranch_execnz .LBB51_190
	s_branch .LBB51_191
.LBB51_1071:
	ds_read_b64 v[29:30], v27 offset:30464
	ds_read_b64 v[31:32], v28 offset:25048
	s_waitcnt lgkmcnt(0)
	v_mul_f32_e32 v33, v32, v30
	v_mul_f32_e32 v30, v31, v30
	v_fma_f32 v31, v31, v29, -v33
	v_fmac_f32_e32 v30, v32, v29
	v_add_f32_e32 v10, v10, v31
	v_add_f32_e32 v11, v11, v30
	s_or_b64 exec, exec, s[20:21]
	s_and_saveexec_b64 s[16:17], s[8:9]
	s_cbranch_execz .LBB51_251
.LBB51_1072:
	ds_read_b64 v[29:30], v27 offset:30976
	ds_read_b64 v[31:32], v28 offset:25056
	s_waitcnt lgkmcnt(0)
	v_mul_f32_e32 v33, v32, v30
	v_mul_f32_e32 v30, v31, v30
	v_fma_f32 v31, v31, v29, -v33
	v_fmac_f32_e32 v30, v32, v29
	v_add_f32_e32 v10, v10, v31
	v_add_f32_e32 v11, v11, v30
	s_or_b64 exec, exec, s[16:17]
	v_cmp_gt_u32_e64 s[16:17], 48, v15
	s_and_saveexec_b64 s[20:21], s[16:17]
	s_cbranch_execz .LBB51_252
.LBB51_1073:
	ds_read_b64 v[29:30], v27 offset:31488
	ds_read_b64 v[31:32], v28 offset:25064
	s_waitcnt lgkmcnt(0)
	v_mul_f32_e32 v33, v32, v30
	v_mul_f32_e32 v30, v31, v30
	v_fma_f32 v31, v31, v29, -v33
	v_fmac_f32_e32 v30, v32, v29
	v_add_f32_e32 v10, v10, v31
	v_add_f32_e32 v11, v11, v30
	s_or_b64 exec, exec, s[20:21]
	v_cmp_gt_u32_e64 s[16:17], 32, v15
	s_and_saveexec_b64 s[20:21], s[16:17]
	s_cbranch_execz .LBB51_253
.LBB51_1074:
	ds_read_b64 v[29:30], v27 offset:32000
	ds_read_b64 v[27:28], v28 offset:25072
	s_waitcnt lgkmcnt(0)
	v_mul_f32_e32 v31, v28, v30
	v_mul_f32_e32 v30, v27, v30
	v_fma_f32 v27, v27, v29, -v31
	v_fmac_f32_e32 v30, v28, v29
	v_add_f32_e32 v10, v10, v27
	v_add_f32_e32 v11, v11, v30
	s_or_b64 exec, exec, s[20:21]
	v_cmp_gt_u32_e64 s[16:17], 16, v15
	s_and_saveexec_b64 s[20:21], s[16:17]
	s_cbranch_execnz .LBB51_254
	s_branch .LBB51_255
.LBB51_1075:
	ds_read_b64 v[29:30], v27 offset:23360
	ds_read_b64 v[31:32], v28 offset:22888
	s_waitcnt lgkmcnt(0)
	v_mul_f32_e32 v33, v32, v30
	v_mul_f32_e32 v30, v31, v30
	v_fma_f32 v31, v31, v29, -v33
	v_fmac_f32_e32 v30, v32, v29
	v_add_f32_e32 v10, v10, v31
	v_add_f32_e32 v11, v11, v30
	s_or_b64 exec, exec, s[20:21]
	v_cmp_gt_u32_e64 s[14:15], 8, v15
	s_and_saveexec_b64 s[20:21], s[14:15]
	s_cbranch_execz .LBB51_343
.LBB51_1076:
	ds_read_b64 v[29:30], v27 offset:23872
	ds_read_b64 v[27:28], v28 offset:22896
	s_waitcnt lgkmcnt(0)
	v_mul_f32_e32 v31, v28, v30
	v_mul_f32_e32 v30, v27, v30
	v_fma_f32 v27, v27, v29, -v31
	v_fmac_f32_e32 v30, v28, v29
	v_add_f32_e32 v10, v10, v27
	v_add_f32_e32 v11, v11, v30
	s_or_b64 exec, exec, s[20:21]
	v_cmp_gt_u32_e64 s[14:15], 4, v15
	s_and_saveexec_b64 s[20:21], s[14:15]
	s_cbranch_execnz .LBB51_344
	s_branch .LBB51_345
.LBB51_1077:
	ds_read_b64 v[29:30], v27 offset:21248
	ds_read_b64 v[31:32], v28 offset:20808
	s_waitcnt lgkmcnt(0)
	v_mul_f32_e32 v33, v32, v30
	v_mul_f32_e32 v30, v31, v30
	v_fma_f32 v31, v31, v29, -v33
	v_fmac_f32_e32 v30, v32, v29
	v_add_f32_e32 v10, v10, v31
	v_add_f32_e32 v11, v11, v30
	s_or_b64 exec, exec, s[20:21]
	v_cmp_gt_u32_e64 s[14:15], 48, v15
	s_and_saveexec_b64 s[20:21], s[14:15]
	s_cbranch_execz .LBB51_385
.LBB51_1078:
	ds_read_b64 v[29:30], v27 offset:21760
	ds_read_b64 v[31:32], v28 offset:20816
	s_waitcnt lgkmcnt(0)
	v_mul_f32_e32 v33, v32, v30
	v_mul_f32_e32 v30, v31, v30
	v_fma_f32 v31, v31, v29, -v33
	v_fmac_f32_e32 v30, v32, v29
	v_add_f32_e32 v10, v10, v31
	v_add_f32_e32 v11, v11, v30
	s_or_b64 exec, exec, s[20:21]
	v_cmp_gt_u32_e64 s[14:15], 40, v15
	s_and_saveexec_b64 s[20:21], s[14:15]
	s_cbranch_execz .LBB51_386
.LBB51_1079:
	ds_read_b64 v[29:30], v27 offset:22272
	ds_read_b64 v[31:32], v28 offset:20824
	s_waitcnt lgkmcnt(0)
	v_mul_f32_e32 v33, v32, v30
	v_mul_f32_e32 v30, v31, v30
	v_fma_f32 v31, v31, v29, -v33
	v_fmac_f32_e32 v30, v32, v29
	v_add_f32_e32 v10, v10, v31
	v_add_f32_e32 v11, v11, v30
	s_or_b64 exec, exec, s[20:21]
	v_cmp_gt_u32_e64 s[14:15], 32, v15
	s_and_saveexec_b64 s[20:21], s[14:15]
	s_cbranch_execz .LBB51_387
.LBB51_1080:
	ds_read_b64 v[29:30], v27 offset:22784
	ds_read_b64 v[31:32], v28 offset:20832
	s_waitcnt lgkmcnt(0)
	v_mul_f32_e32 v33, v32, v30
	v_mul_f32_e32 v30, v31, v30
	v_fma_f32 v31, v31, v29, -v33
	v_fmac_f32_e32 v30, v32, v29
	v_add_f32_e32 v10, v10, v31
	v_add_f32_e32 v11, v11, v30
	s_or_b64 exec, exec, s[20:21]
	v_cmp_gt_u32_e64 s[14:15], 24, v15
	s_and_saveexec_b64 s[20:21], s[14:15]
	s_cbranch_execz .LBB51_388
.LBB51_1081:
	ds_read_b64 v[29:30], v27 offset:23296
	ds_read_b64 v[31:32], v28 offset:20840
	s_waitcnt lgkmcnt(0)
	v_mul_f32_e32 v33, v32, v30
	v_mul_f32_e32 v30, v31, v30
	v_fma_f32 v31, v31, v29, -v33
	v_fmac_f32_e32 v30, v32, v29
	v_add_f32_e32 v10, v10, v31
	v_add_f32_e32 v11, v11, v30
	s_or_b64 exec, exec, s[20:21]
	s_and_saveexec_b64 s[14:15], s[18:19]
	s_cbranch_execz .LBB51_389
.LBB51_1082:
	ds_read_b64 v[29:30], v27 offset:23808
	ds_read_b64 v[27:28], v28 offset:20848
	s_waitcnt lgkmcnt(0)
	v_mul_f32_e32 v31, v28, v30
	v_mul_f32_e32 v30, v27, v30
	v_fma_f32 v27, v27, v29, -v31
	v_fmac_f32_e32 v30, v28, v29
	v_add_f32_e32 v10, v10, v27
	v_add_f32_e32 v11, v11, v30
	s_or_b64 exec, exec, s[14:15]
	v_cmp_gt_u32_e64 s[14:15], 8, v15
	s_and_saveexec_b64 s[20:21], s[14:15]
	s_cbranch_execnz .LBB51_390
	s_branch .LBB51_391
.LBB51_1083:
	ds_read_b64 v[29:30], v27 offset:19200
	ds_read_b64 v[31:32], v28 offset:18728
	s_waitcnt lgkmcnt(0)
	v_mul_f32_e32 v33, v32, v30
	v_mul_f32_e32 v30, v31, v30
	v_fma_f32 v31, v31, v29, -v33
	v_fmac_f32_e32 v30, v32, v29
	v_add_f32_e32 v10, v10, v31
	v_add_f32_e32 v11, v11, v30
	s_or_b64 exec, exec, s[20:21]
	v_cmp_gt_u32_e64 s[14:15], 8, v15
	s_and_saveexec_b64 s[20:21], s[14:15]
	s_cbranch_execz .LBB51_447
.LBB51_1084:
	ds_read_b64 v[29:30], v27 offset:19712
	ds_read_b64 v[27:28], v28 offset:18736
	s_waitcnt lgkmcnt(0)
	v_mul_f32_e32 v31, v28, v30
	v_mul_f32_e32 v30, v27, v30
	v_fma_f32 v27, v27, v29, -v31
	v_fmac_f32_e32 v30, v28, v29
	v_add_f32_e32 v10, v10, v27
	v_add_f32_e32 v11, v11, v30
	s_or_b64 exec, exec, s[20:21]
	v_cmp_gt_u32_e64 s[14:15], 4, v15
	s_and_saveexec_b64 s[20:21], s[14:15]
	s_cbranch_execnz .LBB51_448
	s_branch .LBB51_449
.LBB51_1085:
	ds_read_b64 v[32:33], v30 offset:31232
	ds_read_b64 v[34:35], v31 offset:16872
	s_waitcnt lgkmcnt(0)
	v_mul_f32_e32 v36, v35, v33
	v_mul_f32_e32 v33, v34, v33
	v_fma_f32 v34, v34, v32, -v36
	v_fmac_f32_e32 v33, v35, v32
	v_add_f32_e32 v10, v10, v34
	v_add_f32_e32 v11, v11, v33
	s_or_b64 exec, exec, s[92:93]
	s_and_saveexec_b64 s[20:21], s[8:9]
	s_cbranch_execz .LBB51_545
.LBB51_1086:
	ds_read_b64 v[32:33], v30 offset:31744
	ds_read_b64 v[34:35], v31 offset:16880
	s_waitcnt lgkmcnt(0)
	v_mul_f32_e32 v36, v35, v33
	v_mul_f32_e32 v33, v34, v33
	v_fma_f32 v34, v34, v32, -v36
	v_fmac_f32_e32 v33, v35, v32
	v_add_f32_e32 v10, v10, v34
	v_add_f32_e32 v11, v11, v33
	s_or_b64 exec, exec, s[20:21]
	v_cmp_gt_u32_e64 s[20:21], 32, v15
	s_and_saveexec_b64 s[92:93], s[20:21]
	s_cbranch_execnz .LBB51_546
	s_branch .LBB51_547
.LBB51_1087:
	ds_read_b64 v[29:30], v27 offset:15040
	ds_read_b64 v[31:32], v28 offset:14568
	s_waitcnt lgkmcnt(0)
	v_mul_f32_e32 v33, v32, v30
	v_mul_f32_e32 v30, v31, v30
	v_fma_f32 v31, v31, v29, -v33
	v_fmac_f32_e32 v30, v32, v29
	v_add_f32_e32 v10, v10, v31
	v_add_f32_e32 v11, v11, v30
	s_or_b64 exec, exec, s[16:17]
	v_cmp_gt_u32_e64 s[12:13], 8, v15
	s_and_saveexec_b64 s[16:17], s[12:13]
	s_cbranch_execz .LBB51_583
.LBB51_1088:
	ds_read_b64 v[29:30], v27 offset:15552
	ds_read_b64 v[27:28], v28 offset:14576
	s_waitcnt lgkmcnt(0)
	v_mul_f32_e32 v31, v28, v30
	v_mul_f32_e32 v30, v27, v30
	v_fma_f32 v27, v27, v29, -v31
	v_fmac_f32_e32 v30, v28, v29
	v_add_f32_e32 v10, v10, v27
	v_add_f32_e32 v11, v11, v30
	s_or_b64 exec, exec, s[16:17]
	v_cmp_gt_u32_e64 s[12:13], 4, v15
	s_and_saveexec_b64 s[16:17], s[12:13]
	s_cbranch_execnz .LBB51_584
	s_branch .LBB51_585
.LBB51_1089:
	ds_read_b64 v[29:30], v27 offset:12928
	ds_read_b64 v[31:32], v28 offset:12488
	s_waitcnt lgkmcnt(0)
	v_mul_f32_e32 v33, v32, v30
	v_mul_f32_e32 v30, v31, v30
	v_fma_f32 v31, v31, v29, -v33
	v_fmac_f32_e32 v30, v32, v29
	v_add_f32_e32 v10, v10, v31
	v_add_f32_e32 v11, v11, v30
	s_or_b64 exec, exec, s[16:17]
	v_cmp_gt_u32_e64 s[12:13], 48, v15
	s_and_saveexec_b64 s[16:17], s[12:13]
	s_cbranch_execz .LBB51_625
.LBB51_1090:
	ds_read_b64 v[29:30], v27 offset:13440
	ds_read_b64 v[31:32], v28 offset:12496
	s_waitcnt lgkmcnt(0)
	v_mul_f32_e32 v33, v32, v30
	v_mul_f32_e32 v30, v31, v30
	v_fma_f32 v31, v31, v29, -v33
	v_fmac_f32_e32 v30, v32, v29
	v_add_f32_e32 v10, v10, v31
	v_add_f32_e32 v11, v11, v30
	s_or_b64 exec, exec, s[16:17]
	v_cmp_gt_u32_e64 s[12:13], 40, v15
	s_and_saveexec_b64 s[16:17], s[12:13]
	s_cbranch_execz .LBB51_626
.LBB51_1091:
	ds_read_b64 v[29:30], v27 offset:13952
	ds_read_b64 v[31:32], v28 offset:12504
	s_waitcnt lgkmcnt(0)
	v_mul_f32_e32 v33, v32, v30
	v_mul_f32_e32 v30, v31, v30
	v_fma_f32 v31, v31, v29, -v33
	v_fmac_f32_e32 v30, v32, v29
	v_add_f32_e32 v10, v10, v31
	v_add_f32_e32 v11, v11, v30
	s_or_b64 exec, exec, s[16:17]
	v_cmp_gt_u32_e64 s[12:13], 32, v15
	s_and_saveexec_b64 s[16:17], s[12:13]
	s_cbranch_execz .LBB51_627
.LBB51_1092:
	ds_read_b64 v[29:30], v27 offset:14464
	ds_read_b64 v[31:32], v28 offset:12512
	s_waitcnt lgkmcnt(0)
	v_mul_f32_e32 v33, v32, v30
	v_mul_f32_e32 v30, v31, v30
	v_fma_f32 v31, v31, v29, -v33
	v_fmac_f32_e32 v30, v32, v29
	v_add_f32_e32 v10, v10, v31
	v_add_f32_e32 v11, v11, v30
	s_or_b64 exec, exec, s[16:17]
	v_cmp_gt_u32_e64 s[12:13], 24, v15
	s_and_saveexec_b64 s[16:17], s[12:13]
	s_cbranch_execz .LBB51_628
.LBB51_1093:
	ds_read_b64 v[29:30], v27 offset:14976
	ds_read_b64 v[31:32], v28 offset:12520
	s_waitcnt lgkmcnt(0)
	v_mul_f32_e32 v33, v32, v30
	v_mul_f32_e32 v30, v31, v30
	v_fma_f32 v31, v31, v29, -v33
	v_fmac_f32_e32 v30, v32, v29
	v_add_f32_e32 v10, v10, v31
	v_add_f32_e32 v11, v11, v30
	s_or_b64 exec, exec, s[16:17]
	s_and_saveexec_b64 s[12:13], s[18:19]
	s_cbranch_execz .LBB51_629
.LBB51_1094:
	ds_read_b64 v[29:30], v27 offset:15488
	ds_read_b64 v[27:28], v28 offset:12528
	s_waitcnt lgkmcnt(0)
	v_mul_f32_e32 v31, v28, v30
	v_mul_f32_e32 v30, v27, v30
	v_fma_f32 v27, v27, v29, -v31
	v_fmac_f32_e32 v30, v28, v29
	v_add_f32_e32 v10, v10, v27
	v_add_f32_e32 v11, v11, v30
	s_or_b64 exec, exec, s[12:13]
	v_cmp_gt_u32_e64 s[12:13], 8, v15
	s_and_saveexec_b64 s[16:17], s[12:13]
	s_cbranch_execnz .LBB51_630
	s_branch .LBB51_631
.LBB51_1095:
	ds_read_b64 v[29:30], v27 offset:10880
	ds_read_b64 v[31:32], v28 offset:10408
	s_waitcnt lgkmcnt(0)
	v_mul_f32_e32 v33, v32, v30
	v_mul_f32_e32 v30, v31, v30
	v_fma_f32 v31, v31, v29, -v33
	v_fmac_f32_e32 v30, v32, v29
	v_add_f32_e32 v10, v10, v31
	v_add_f32_e32 v11, v11, v30
	s_or_b64 exec, exec, s[16:17]
	v_cmp_gt_u32_e64 s[12:13], 8, v15
	s_and_saveexec_b64 s[16:17], s[12:13]
	s_cbranch_execz .LBB51_687
.LBB51_1096:
	ds_read_b64 v[29:30], v27 offset:11392
	ds_read_b64 v[27:28], v28 offset:10416
	s_waitcnt lgkmcnt(0)
	v_mul_f32_e32 v31, v28, v30
	v_mul_f32_e32 v30, v27, v30
	v_fma_f32 v27, v27, v29, -v31
	v_fmac_f32_e32 v30, v28, v29
	v_add_f32_e32 v10, v10, v27
	v_add_f32_e32 v11, v11, v30
	s_or_b64 exec, exec, s[16:17]
	v_cmp_gt_u32_e64 s[12:13], 4, v15
	s_and_saveexec_b64 s[16:17], s[12:13]
	s_cbranch_execnz .LBB51_688
	s_branch .LBB51_689
.LBB51_1097:
	ds_read_b64 v[29:30], v27 offset:13824
	ds_read_b64 v[31:32], v28 offset:8408
	s_waitcnt lgkmcnt(0)
	v_mul_f32_e32 v33, v32, v30
	v_mul_f32_e32 v30, v31, v30
	v_fma_f32 v31, v31, v29, -v33
	v_fmac_f32_e32 v30, v32, v29
	v_add_f32_e32 v10, v10, v31
	v_add_f32_e32 v11, v11, v30
	s_or_b64 exec, exec, s[16:17]
	s_and_saveexec_b64 s[12:13], s[8:9]
	s_cbranch_execz .LBB51_749
.LBB51_1098:
	ds_read_b64 v[29:30], v27 offset:14336
	ds_read_b64 v[31:32], v28 offset:8416
	s_waitcnt lgkmcnt(0)
	v_mul_f32_e32 v33, v32, v30
	v_mul_f32_e32 v30, v31, v30
	v_fma_f32 v31, v31, v29, -v33
	v_fmac_f32_e32 v30, v32, v29
	v_add_f32_e32 v10, v10, v31
	v_add_f32_e32 v11, v11, v30
	s_or_b64 exec, exec, s[12:13]
	v_cmp_gt_u32_e64 s[12:13], 48, v15
	s_and_saveexec_b64 s[16:17], s[12:13]
	s_cbranch_execz .LBB51_750
.LBB51_1099:
	ds_read_b64 v[29:30], v27 offset:14848
	ds_read_b64 v[31:32], v28 offset:8424
	s_waitcnt lgkmcnt(0)
	v_mul_f32_e32 v33, v32, v30
	v_mul_f32_e32 v30, v31, v30
	v_fma_f32 v31, v31, v29, -v33
	v_fmac_f32_e32 v30, v32, v29
	v_add_f32_e32 v10, v10, v31
	v_add_f32_e32 v11, v11, v30
	s_or_b64 exec, exec, s[16:17]
	v_cmp_gt_u32_e64 s[12:13], 32, v15
	s_and_saveexec_b64 s[16:17], s[12:13]
	s_cbranch_execz .LBB51_751
.LBB51_1100:
	ds_read_b64 v[29:30], v27 offset:15360
	ds_read_b64 v[27:28], v28 offset:8432
	s_waitcnt lgkmcnt(0)
	v_mul_f32_e32 v31, v28, v30
	v_mul_f32_e32 v30, v27, v30
	v_fma_f32 v27, v27, v29, -v31
	v_fmac_f32_e32 v30, v28, v29
	v_add_f32_e32 v10, v10, v27
	v_add_f32_e32 v11, v11, v30
	s_or_b64 exec, exec, s[16:17]
	v_cmp_gt_u32_e64 s[12:13], 16, v15
	s_and_saveexec_b64 s[16:17], s[12:13]
	s_cbranch_execnz .LBB51_752
	s_branch .LBB51_753
.LBB51_1101:
	ds_read_b64 v[26:27], v24 offset:6720
	ds_read_b64 v[28:29], v25 offset:6248
	s_waitcnt lgkmcnt(0)
	v_mul_f32_e32 v30, v29, v27
	v_mul_f32_e32 v27, v28, v27
	v_fma_f32 v28, v28, v26, -v30
	v_fmac_f32_e32 v27, v29, v26
	v_add_f32_e32 v10, v10, v28
	v_add_f32_e32 v11, v11, v27
	s_or_b64 exec, exec, s[12:13]
	v_cmp_gt_u32_e64 s[10:11], 8, v15
	s_and_saveexec_b64 s[12:13], s[10:11]
	s_cbranch_execz .LBB51_841
.LBB51_1102:
	ds_read_b64 v[26:27], v24 offset:7232
	ds_read_b64 v[24:25], v25 offset:6256
	s_waitcnt lgkmcnt(0)
	v_mul_f32_e32 v28, v25, v27
	v_mul_f32_e32 v27, v24, v27
	v_fma_f32 v24, v24, v26, -v28
	v_fmac_f32_e32 v27, v25, v26
	v_add_f32_e32 v10, v10, v24
	v_add_f32_e32 v11, v11, v27
	s_or_b64 exec, exec, s[12:13]
	v_cmp_gt_u32_e64 s[10:11], 4, v15
	s_and_saveexec_b64 s[12:13], s[10:11]
	s_cbranch_execnz .LBB51_842
	s_branch .LBB51_843
.LBB51_1103:
	ds_read_b64 v[26:27], v24 offset:4608
	ds_read_b64 v[28:29], v25 offset:4168
	s_waitcnt lgkmcnt(0)
	v_mul_f32_e32 v30, v29, v27
	v_mul_f32_e32 v27, v28, v27
	v_fma_f32 v28, v28, v26, -v30
	v_fmac_f32_e32 v27, v29, v26
	v_add_f32_e32 v10, v10, v28
	v_add_f32_e32 v11, v11, v27
	s_or_b64 exec, exec, s[12:13]
	v_cmp_gt_u32_e64 s[10:11], 48, v15
	s_and_saveexec_b64 s[12:13], s[10:11]
	s_cbranch_execz .LBB51_883
.LBB51_1104:
	ds_read_b64 v[26:27], v24 offset:5120
	ds_read_b64 v[28:29], v25 offset:4176
	s_waitcnt lgkmcnt(0)
	v_mul_f32_e32 v30, v29, v27
	v_mul_f32_e32 v27, v28, v27
	v_fma_f32 v28, v28, v26, -v30
	v_fmac_f32_e32 v27, v29, v26
	v_add_f32_e32 v10, v10, v28
	v_add_f32_e32 v11, v11, v27
	s_or_b64 exec, exec, s[12:13]
	v_cmp_gt_u32_e64 s[10:11], 40, v15
	s_and_saveexec_b64 s[12:13], s[10:11]
	s_cbranch_execz .LBB51_884
.LBB51_1105:
	ds_read_b64 v[26:27], v24 offset:5632
	ds_read_b64 v[28:29], v25 offset:4184
	s_waitcnt lgkmcnt(0)
	v_mul_f32_e32 v30, v29, v27
	v_mul_f32_e32 v27, v28, v27
	v_fma_f32 v28, v28, v26, -v30
	v_fmac_f32_e32 v27, v29, v26
	v_add_f32_e32 v10, v10, v28
	v_add_f32_e32 v11, v11, v27
	s_or_b64 exec, exec, s[12:13]
	v_cmp_gt_u32_e64 s[10:11], 32, v15
	s_and_saveexec_b64 s[12:13], s[10:11]
	s_cbranch_execz .LBB51_885
.LBB51_1106:
	ds_read_b64 v[26:27], v24 offset:6144
	ds_read_b64 v[28:29], v25 offset:4192
	s_waitcnt lgkmcnt(0)
	v_mul_f32_e32 v30, v29, v27
	v_mul_f32_e32 v27, v28, v27
	v_fma_f32 v28, v28, v26, -v30
	v_fmac_f32_e32 v27, v29, v26
	v_add_f32_e32 v10, v10, v28
	v_add_f32_e32 v11, v11, v27
	s_or_b64 exec, exec, s[12:13]
	v_cmp_gt_u32_e64 s[10:11], 24, v15
	s_and_saveexec_b64 s[12:13], s[10:11]
	s_cbranch_execz .LBB51_886
.LBB51_1107:
	ds_read_b64 v[26:27], v24 offset:6656
	ds_read_b64 v[28:29], v25 offset:4200
	s_waitcnt lgkmcnt(0)
	v_mul_f32_e32 v30, v29, v27
	v_mul_f32_e32 v27, v28, v27
	v_fma_f32 v28, v28, v26, -v30
	v_fmac_f32_e32 v27, v29, v26
	v_add_f32_e32 v10, v10, v28
	v_add_f32_e32 v11, v11, v27
	s_or_b64 exec, exec, s[12:13]
	s_and_saveexec_b64 s[10:11], s[18:19]
	s_cbranch_execz .LBB51_887
.LBB51_1108:
	ds_read_b64 v[26:27], v24 offset:7168
	ds_read_b64 v[24:25], v25 offset:4208
	s_waitcnt lgkmcnt(0)
	v_mul_f32_e32 v28, v25, v27
	v_mul_f32_e32 v27, v24, v27
	v_fma_f32 v24, v24, v26, -v28
	v_fmac_f32_e32 v27, v25, v26
	v_add_f32_e32 v10, v10, v24
	v_add_f32_e32 v11, v11, v27
	s_or_b64 exec, exec, s[10:11]
	v_cmp_gt_u32_e64 s[10:11], 8, v15
	s_and_saveexec_b64 s[12:13], s[10:11]
	s_cbranch_execnz .LBB51_888
	s_branch .LBB51_889
.LBB51_1109:
	ds_read_b64 v[23:24], v21 offset:2560
	ds_read_b64 v[25:26], v22 offset:2088
	s_waitcnt lgkmcnt(0)
	v_mul_f32_e32 v27, v26, v24
	v_mul_f32_e32 v24, v25, v24
	v_fma_f32 v25, v25, v23, -v27
	v_fmac_f32_e32 v24, v26, v23
	v_add_f32_e32 v10, v10, v25
	v_add_f32_e32 v11, v11, v24
	s_or_b64 exec, exec, s[10:11]
	v_cmp_gt_u32_e64 s[8:9], 8, v15
	s_and_saveexec_b64 s[10:11], s[8:9]
	s_cbranch_execz .LBB51_945
.LBB51_1110:
	ds_read_b64 v[23:24], v21 offset:3072
	ds_read_b64 v[21:22], v22 offset:2096
	s_waitcnt lgkmcnt(0)
	v_mul_f32_e32 v25, v22, v24
	v_mul_f32_e32 v24, v21, v24
	v_fma_f32 v21, v21, v23, -v25
	v_fmac_f32_e32 v24, v22, v23
	v_add_f32_e32 v10, v10, v21
	v_add_f32_e32 v11, v11, v24
	s_or_b64 exec, exec, s[10:11]
	v_cmp_gt_u32_e64 s[8:9], 4, v15
	s_and_saveexec_b64 s[10:11], s[8:9]
	s_cbranch_execnz .LBB51_946
	s_branch .LBB51_947
	.section	.rodata,"a",@progbits
	.p2align	6, 0x0
	.amdhsa_kernel _ZL19rocblas_trsv_deviceILi64ELi16ELb0ELb1ELb1ELb1E19rocblas_complex_numIfEPKS1_S3_PS1_EviT7_lllT6_T8_lllPii
		.amdhsa_group_segment_fixed_size 41480
		.amdhsa_private_segment_fixed_size 0
		.amdhsa_kernarg_size 352
		.amdhsa_user_sgpr_count 6
		.amdhsa_user_sgpr_private_segment_buffer 1
		.amdhsa_user_sgpr_dispatch_ptr 0
		.amdhsa_user_sgpr_queue_ptr 0
		.amdhsa_user_sgpr_kernarg_segment_ptr 1
		.amdhsa_user_sgpr_dispatch_id 0
		.amdhsa_user_sgpr_flat_scratch_init 0
		.amdhsa_user_sgpr_private_segment_size 0
		.amdhsa_uses_dynamic_stack 0
		.amdhsa_system_sgpr_private_segment_wavefront_offset 0
		.amdhsa_system_sgpr_workgroup_id_x 1
		.amdhsa_system_sgpr_workgroup_id_y 0
		.amdhsa_system_sgpr_workgroup_id_z 1
		.amdhsa_system_sgpr_workgroup_info 0
		.amdhsa_system_vgpr_workitem_id 1
		.amdhsa_next_free_vgpr 49
		.amdhsa_next_free_sgpr 98
		.amdhsa_reserve_vcc 1
		.amdhsa_reserve_flat_scratch 0
		.amdhsa_float_round_mode_32 0
		.amdhsa_float_round_mode_16_64 0
		.amdhsa_float_denorm_mode_32 3
		.amdhsa_float_denorm_mode_16_64 3
		.amdhsa_dx10_clamp 1
		.amdhsa_ieee_mode 1
		.amdhsa_fp16_overflow 0
		.amdhsa_exception_fp_ieee_invalid_op 0
		.amdhsa_exception_fp_denorm_src 0
		.amdhsa_exception_fp_ieee_div_zero 0
		.amdhsa_exception_fp_ieee_overflow 0
		.amdhsa_exception_fp_ieee_underflow 0
		.amdhsa_exception_fp_ieee_inexact 0
		.amdhsa_exception_int_div_zero 0
	.end_amdhsa_kernel
	.section	.text._ZL19rocblas_trsv_deviceILi64ELi16ELb0ELb1ELb1ELb1E19rocblas_complex_numIfEPKS1_S3_PS1_EviT7_lllT6_T8_lllPii,"axG",@progbits,_ZL19rocblas_trsv_deviceILi64ELi16ELb0ELb1ELb1ELb1E19rocblas_complex_numIfEPKS1_S3_PS1_EviT7_lllT6_T8_lllPii,comdat
.Lfunc_end51:
	.size	_ZL19rocblas_trsv_deviceILi64ELi16ELb0ELb1ELb1ELb1E19rocblas_complex_numIfEPKS1_S3_PS1_EviT7_lllT6_T8_lllPii, .Lfunc_end51-_ZL19rocblas_trsv_deviceILi64ELi16ELb0ELb1ELb1ELb1E19rocblas_complex_numIfEPKS1_S3_PS1_EviT7_lllT6_T8_lllPii
                                        ; -- End function
	.set _ZL19rocblas_trsv_deviceILi64ELi16ELb0ELb1ELb1ELb1E19rocblas_complex_numIfEPKS1_S3_PS1_EviT7_lllT6_T8_lllPii.num_vgpr, 38
	.set _ZL19rocblas_trsv_deviceILi64ELi16ELb0ELb1ELb1ELb1E19rocblas_complex_numIfEPKS1_S3_PS1_EviT7_lllT6_T8_lllPii.num_agpr, 0
	.set _ZL19rocblas_trsv_deviceILi64ELi16ELb0ELb1ELb1ELb1E19rocblas_complex_numIfEPKS1_S3_PS1_EviT7_lllT6_T8_lllPii.numbered_sgpr, 96
	.set _ZL19rocblas_trsv_deviceILi64ELi16ELb0ELb1ELb1ELb1E19rocblas_complex_numIfEPKS1_S3_PS1_EviT7_lllT6_T8_lllPii.num_named_barrier, 0
	.set _ZL19rocblas_trsv_deviceILi64ELi16ELb0ELb1ELb1ELb1E19rocblas_complex_numIfEPKS1_S3_PS1_EviT7_lllT6_T8_lllPii.private_seg_size, 0
	.set _ZL19rocblas_trsv_deviceILi64ELi16ELb0ELb1ELb1ELb1E19rocblas_complex_numIfEPKS1_S3_PS1_EviT7_lllT6_T8_lllPii.uses_vcc, 1
	.set _ZL19rocblas_trsv_deviceILi64ELi16ELb0ELb1ELb1ELb1E19rocblas_complex_numIfEPKS1_S3_PS1_EviT7_lllT6_T8_lllPii.uses_flat_scratch, 0
	.set _ZL19rocblas_trsv_deviceILi64ELi16ELb0ELb1ELb1ELb1E19rocblas_complex_numIfEPKS1_S3_PS1_EviT7_lllT6_T8_lllPii.has_dyn_sized_stack, 0
	.set _ZL19rocblas_trsv_deviceILi64ELi16ELb0ELb1ELb1ELb1E19rocblas_complex_numIfEPKS1_S3_PS1_EviT7_lllT6_T8_lllPii.has_recursion, 0
	.set _ZL19rocblas_trsv_deviceILi64ELi16ELb0ELb1ELb1ELb1E19rocblas_complex_numIfEPKS1_S3_PS1_EviT7_lllT6_T8_lllPii.has_indirect_call, 0
	.section	.AMDGPU.csdata,"",@progbits
; Kernel info:
; codeLenInByte = 39976
; TotalNumSgprs: 100
; NumVgprs: 38
; ScratchSize: 0
; MemoryBound: 0
; FloatMode: 240
; IeeeMode: 1
; LDSByteSize: 41480 bytes/workgroup (compile time only)
; SGPRBlocks: 12
; VGPRBlocks: 12
; NumSGPRsForWavesPerEU: 102
; NumVGPRsForWavesPerEU: 49
; Occupancy: 4
; WaveLimiterHint : 0
; COMPUTE_PGM_RSRC2:SCRATCH_EN: 0
; COMPUTE_PGM_RSRC2:USER_SGPR: 6
; COMPUTE_PGM_RSRC2:TRAP_HANDLER: 0
; COMPUTE_PGM_RSRC2:TGID_X_EN: 1
; COMPUTE_PGM_RSRC2:TGID_Y_EN: 0
; COMPUTE_PGM_RSRC2:TGID_Z_EN: 1
; COMPUTE_PGM_RSRC2:TIDIG_COMP_CNT: 1
	.section	.text._ZL19rocblas_trsv_deviceILi64ELi16ELb0ELb0ELb0ELb0E19rocblas_complex_numIfEPKS1_S3_PS1_EviT7_lllT6_T8_lllPii,"axG",@progbits,_ZL19rocblas_trsv_deviceILi64ELi16ELb0ELb0ELb0ELb0E19rocblas_complex_numIfEPKS1_S3_PS1_EviT7_lllT6_T8_lllPii,comdat
	.globl	_ZL19rocblas_trsv_deviceILi64ELi16ELb0ELb0ELb0ELb0E19rocblas_complex_numIfEPKS1_S3_PS1_EviT7_lllT6_T8_lllPii ; -- Begin function _ZL19rocblas_trsv_deviceILi64ELi16ELb0ELb0ELb0ELb0E19rocblas_complex_numIfEPKS1_S3_PS1_EviT7_lllT6_T8_lllPii
	.p2align	8
	.type	_ZL19rocblas_trsv_deviceILi64ELi16ELb0ELb0ELb0ELb0E19rocblas_complex_numIfEPKS1_S3_PS1_EviT7_lllT6_T8_lllPii,@function
_ZL19rocblas_trsv_deviceILi64ELi16ELb0ELb0ELb0ELb0E19rocblas_complex_numIfEPKS1_S3_PS1_EviT7_lllT6_T8_lllPii: ; @_ZL19rocblas_trsv_deviceILi64ELi16ELb0ELb0ELb0ELb0E19rocblas_complex_numIfEPKS1_S3_PS1_EviT7_lllT6_T8_lllPii
; %bb.0:
	s_load_dwordx16 s[36:51], s[4:5], 0x8
	s_load_dword s24, s[4:5], 0x0
	s_add_u32 flat_scratch_lo, s6, s10
	s_addc_u32 flat_scratch_hi, s7, 0
	s_add_u32 s0, s0, s10
	s_waitcnt lgkmcnt(0)
	s_mul_i32 s6, s43, s9
	s_mul_hi_u32 s7, s42, s9
	s_addc_u32 s1, s1, 0
	s_add_i32 s7, s7, s6
	s_mul_i32 s6, s42, s9
	s_lshl_b64 s[6:7], s[6:7], 3
	s_mov_b32 s22, s9
	s_add_u32 s9, s36, s6
	s_addc_u32 s10, s37, s7
	s_lshl_b64 s[6:7], s[38:39], 3
	s_load_dword s11, s[4:5], 0x60
	s_load_dword s20, s[4:5], 0x6c
	s_add_u32 s89, s9, s6
	s_addc_u32 s90, s10, s7
	s_load_dwordx2 s[6:7], s[44:45], 0x0
	s_waitcnt lgkmcnt(0)
	s_add_i32 s9, s11, -1
                                        ; implicit-def: $vgpr30 : SGPR spill to VGPR lane
	s_sub_i32 s91, s9, s8
	v_mov_b32_e32 v2, v1
	s_cmp_lg_u32 s8, 0
	v_writelane_b32 v30, s6, 0
	s_mov_b32 s23, 0
	v_writelane_b32 v30, s7, 1
                                        ; kill: killed $sgpr44_sgpr45
	s_cbranch_scc0 .LBB52_1049
; %bb.1:
	s_lshl_b32 s33, s91, 6
	v_add3_u32 v1, v2, s33, 64
	v_ashrrev_i32_e32 v3, 31, v1
	v_mul_lo_u32 v7, s40, v3
	v_mul_lo_u32 v8, s41, v1
	v_mad_u64_u32 v[3:4], s[6:7], s40, v1, 0
	v_add_u32_e32 v5, s33, v0
	v_ashrrev_i32_e32 v6, 31, v5
	v_add3_u32 v4, v4, v7, v8
	v_lshlrev_b64 v[3:4], 3, v[3:4]
	v_mov_b32_e32 v7, s90
	v_add_co_u32_e64 v8, s[6:7], s89, v3
	v_addc_co_u32_e64 v7, s[6:7], v7, v4, s[6:7]
	v_lshlrev_b64 v[3:4], 3, v[5:6]
	v_cmp_gt_i32_e32 vcc, s24, v5
	v_add_co_u32_e64 v3, s[6:7], v8, v3
	v_addc_co_u32_e64 v4, s[6:7], v7, v4, s[6:7]
	v_max_i32_e32 v5, v5, v1
	v_cmp_le_i32_e64 s[6:7], s24, v5
	s_barrier
	s_and_saveexec_b64 s[10:11], s[6:7]
	s_xor_b64 s[6:7], exec, s[10:11]
	s_cbranch_execz .LBB52_3
; %bb.2:
	v_mov_b32_e32 v5, 0
	buffer_store_dword v5, off, s[0:3], 0
	buffer_store_dword v5, off, s[0:3], 0 offset:4
.LBB52_3:
	s_andn2_saveexec_b64 s[6:7], s[6:7]
	s_cbranch_execz .LBB52_5
; %bb.4:
	global_load_dwordx2 v[5:6], v[3:4], off
	s_waitcnt vmcnt(0)
	buffer_store_dword v6, off, s[0:3], 0 offset:4
	buffer_store_dword v5, off, s[0:3], 0
.LBB52_5:
	s_or_b64 exec, exec, s[6:7]
	v_add_u32_e32 v5, 16, v1
	v_cmp_le_i32_e64 s[6:7], s24, v5
	s_xor_b64 s[10:11], vcc, -1
	s_or_b64 s[6:7], s[10:11], s[6:7]
	s_waitcnt vmcnt(0)
	s_barrier
	s_and_saveexec_b64 s[12:13], s[6:7]
	s_xor_b64 s[6:7], exec, s[12:13]
	s_cbranch_execz .LBB52_7
; %bb.6:
	v_mov_b32_e32 v5, 0
	buffer_store_dword v5, off, s[0:3], 0 offset:8
	buffer_store_dword v5, off, s[0:3], 0 offset:12
.LBB52_7:
	s_andn2_saveexec_b64 s[6:7], s[6:7]
	s_cbranch_execz .LBB52_9
; %bb.8:
	s_lshl_b64 s[12:13], s[40:41], 7
	v_mov_b32_e32 v6, s13
	v_add_co_u32_e32 v5, vcc, s12, v3
	v_addc_co_u32_e32 v6, vcc, v4, v6, vcc
	global_load_dwordx2 v[5:6], v[5:6], off
	s_waitcnt vmcnt(0)
	buffer_store_dword v6, off, s[0:3], 0 offset:12
	buffer_store_dword v5, off, s[0:3], 0 offset:8
.LBB52_9:
	s_or_b64 exec, exec, s[6:7]
	v_add_u32_e32 v5, 32, v1
	v_cmp_le_i32_e32 vcc, s24, v5
	s_or_b64 s[6:7], s[10:11], vcc
	s_waitcnt vmcnt(0)
	s_barrier
	s_and_saveexec_b64 s[12:13], s[6:7]
	s_xor_b64 s[6:7], exec, s[12:13]
	s_cbranch_execz .LBB52_11
; %bb.10:
	v_mov_b32_e32 v5, 0
	buffer_store_dword v5, off, s[0:3], 0 offset:16
	buffer_store_dword v5, off, s[0:3], 0 offset:20
.LBB52_11:
	s_andn2_saveexec_b64 s[6:7], s[6:7]
	s_cbranch_execz .LBB52_13
; %bb.12:
	s_lshl_b64 s[12:13], s[40:41], 8
	v_mov_b32_e32 v6, s13
	v_add_co_u32_e32 v5, vcc, s12, v3
	v_addc_co_u32_e32 v6, vcc, v4, v6, vcc
	global_load_dwordx2 v[5:6], v[5:6], off
	s_waitcnt vmcnt(0)
	buffer_store_dword v6, off, s[0:3], 0 offset:20
	buffer_store_dword v5, off, s[0:3], 0 offset:16
.LBB52_13:
	s_or_b64 exec, exec, s[6:7]
	v_add_u32_e32 v1, 48, v1
	v_cmp_le_i32_e32 vcc, s24, v1
	s_or_b64 s[6:7], s[10:11], vcc
	s_waitcnt vmcnt(0)
	s_barrier
	s_and_saveexec_b64 s[10:11], s[6:7]
	s_xor_b64 s[6:7], exec, s[10:11]
	s_cbranch_execz .LBB52_15
; %bb.14:
	v_mov_b32_e32 v1, 0
	buffer_store_dword v1, off, s[0:3], 0 offset:24
	buffer_store_dword v1, off, s[0:3], 0 offset:28
                                        ; implicit-def: $vgpr3_vgpr4
.LBB52_15:
	s_andn2_saveexec_b64 s[6:7], s[6:7]
	s_cbranch_execz .LBB52_17
; %bb.16:
	v_mov_b32_e32 v1, 0x180
	v_mad_u64_u32 v[3:4], s[10:11], s40, v1, v[3:4]
	s_mul_i32 s10, s41, 0x180
	v_add_u32_e32 v4, s10, v4
	global_load_dwordx2 v[3:4], v[3:4], off
	s_waitcnt vmcnt(0)
	buffer_store_dword v4, off, s[0:3], 0 offset:28
	buffer_store_dword v3, off, s[0:3], 0 offset:24
.LBB52_17:
	s_or_b64 exec, exec, s[6:7]
	s_branch .LBB52_19
.LBB52_18:
	s_lshl_b32 s33, s91, 6
.LBB52_19:
	s_ashr_i32 s25, s24, 31
	s_lshr_b32 s6, s25, 26
	s_add_i32 s6, s24, s6
	s_andn2_b32 s6, s6, 63
	s_sub_i32 s88, s24, s6
	s_add_i32 s6, s24, -1
	s_ashr_i32 s7, s6, 31
	s_lshr_b32 s7, s7, 26
	s_add_i32 s6, s6, s7
	s_ashr_i32 s6, s6, 6
	s_cmp_eq_u32 s6, s91
	s_cselect_b64 s[6:7], -1, 0
	s_cmp_lg_u32 s88, 0
	s_cselect_b64 s[10:11], -1, 0
	s_and_b64 s[26:27], s[10:11], s[6:7]
	s_ashr_i32 s60, s33, 31
	s_add_u32 s12, s40, 1
	v_mov_b32_e32 v1, 0
	v_mov_b32_e32 v3, s33
	v_mad_u64_u32 v[3:4], s[6:7], s12, v3, v[0:1]
	s_addc_u32 s13, s41, 0
	s_mul_i32 s6, s12, s60
	s_mul_i32 s13, s13, s33
	s_add_i32 s6, s6, s13
	s_mov_b64 s[10:11], -1
	v_add_u32_e32 v4, s6, v4
	s_and_b64 vcc, exec, s[26:27]
	v_cmp_le_u32_e64 s[6:7], v2, v0
	v_lshl_add_u32 v1, v2, 6, v0
	s_cbranch_vccnz .LBB52_77
; %bb.20:
	v_mad_u64_u32 v[5:6], s[10:11], s40, v2, v[3:4]
	v_mad_u64_u32 v[6:7], s[10:11], s41, v2, v[6:7]
	s_and_saveexec_b64 s[10:11], s[6:7]
	s_xor_b64 s[6:7], exec, s[10:11]
	s_cbranch_execz .LBB52_32
; %bb.21:
	v_cmp_ne_u32_e32 vcc, v0, v2
	s_and_saveexec_b64 s[10:11], vcc
	s_xor_b64 s[10:11], exec, s[10:11]
	s_cbranch_execz .LBB52_25
; %bb.22:
	v_or_b32_e32 v5, v2, v0
	v_cmp_gt_u32_e32 vcc, 64, v5
	s_and_saveexec_b64 s[12:13], vcc
; %bb.23:
	v_mov_b32_e32 v5, 0
	v_lshlrev_b32_e32 v7, 3, v1
	v_mov_b32_e32 v6, v5
	ds_write_b64 v7, v[5:6]
; %bb.24:
	s_or_b64 exec, exec, s[12:13]
                                        ; implicit-def: $vgpr5_vgpr6
.LBB52_25:
	s_andn2_saveexec_b64 s[10:11], s[10:11]
	s_cbranch_execz .LBB52_31
; %bb.26:
	v_lshlrev_b64 v[5:6], 3, v[5:6]
	v_mov_b32_e32 v7, s90
	v_add_co_u32_e32 v5, vcc, s89, v5
	v_addc_co_u32_e32 v6, vcc, v7, v6, vcc
	global_load_dwordx2 v[5:6], v[5:6], off
                                        ; implicit-def: $vgpr7
	s_waitcnt vmcnt(0)
	v_cmp_ngt_f32_e64 s[12:13], |v5|, |v6|
	s_and_saveexec_b64 s[14:15], s[12:13]
	s_xor_b64 s[12:13], exec, s[14:15]
	s_cbranch_execz .LBB52_28
; %bb.27:
	v_div_scale_f32 v7, s[14:15], v6, v6, v5
	v_div_scale_f32 v8, vcc, v5, v6, v5
	v_rcp_f32_e32 v9, v7
	v_fma_f32 v10, -v7, v9, 1.0
	v_fmac_f32_e32 v9, v10, v9
	v_mul_f32_e32 v10, v8, v9
	v_fma_f32 v11, -v7, v10, v8
	v_fmac_f32_e32 v10, v11, v9
	v_fma_f32 v7, -v7, v10, v8
	v_div_fmas_f32 v7, v7, v9, v10
	v_div_fixup_f32 v7, v7, v6, v5
	v_fmac_f32_e32 v6, v5, v7
	v_div_scale_f32 v5, s[14:15], v6, v6, 1.0
	v_div_scale_f32 v8, vcc, 1.0, v6, 1.0
	v_rcp_f32_e32 v9, v5
	v_fma_f32 v10, -v5, v9, 1.0
	v_fmac_f32_e32 v9, v10, v9
	v_mul_f32_e32 v10, v8, v9
	v_fma_f32 v11, -v5, v10, v8
	v_fmac_f32_e32 v10, v11, v9
	v_fma_f32 v5, -v5, v10, v8
	v_div_fmas_f32 v5, v5, v9, v10
	v_div_fixup_f32 v5, v5, v6, 1.0
	v_mul_f32_e32 v7, v7, v5
	v_xor_b32_e32 v8, 0x80000000, v5
                                        ; implicit-def: $vgpr5_vgpr6
.LBB52_28:
	s_andn2_saveexec_b64 s[12:13], s[12:13]
	s_cbranch_execz .LBB52_30
; %bb.29:
	v_div_scale_f32 v7, s[14:15], v5, v5, v6
	v_div_scale_f32 v8, vcc, v6, v5, v6
	v_rcp_f32_e32 v9, v7
	v_fma_f32 v10, -v7, v9, 1.0
	v_fmac_f32_e32 v9, v10, v9
	v_mul_f32_e32 v10, v8, v9
	v_fma_f32 v11, -v7, v10, v8
	v_fmac_f32_e32 v10, v11, v9
	v_fma_f32 v7, -v7, v10, v8
	v_div_fmas_f32 v7, v7, v9, v10
	v_div_fixup_f32 v8, v7, v5, v6
	v_fmac_f32_e32 v5, v6, v8
	v_div_scale_f32 v6, s[14:15], v5, v5, 1.0
	v_div_scale_f32 v7, vcc, 1.0, v5, 1.0
	v_rcp_f32_e32 v9, v6
	v_fma_f32 v10, -v6, v9, 1.0
	v_fmac_f32_e32 v9, v10, v9
	v_mul_f32_e32 v10, v7, v9
	v_fma_f32 v11, -v6, v10, v7
	v_fmac_f32_e32 v10, v11, v9
	v_fma_f32 v6, -v6, v10, v7
	v_div_fmas_f32 v6, v6, v9, v10
	v_div_fixup_f32 v7, v6, v5, 1.0
	v_mul_f32_e64 v8, v8, -v7
.LBB52_30:
	s_or_b64 exec, exec, s[12:13]
	v_lshlrev_b32_e32 v5, 3, v1
	ds_write_b64 v5, v[7:8]
.LBB52_31:
	s_or_b64 exec, exec, s[10:11]
                                        ; implicit-def: $vgpr5_vgpr6
.LBB52_32:
	s_andn2_saveexec_b64 s[6:7], s[6:7]
	s_cbranch_execz .LBB52_34
; %bb.33:
	v_lshlrev_b64 v[5:6], 3, v[5:6]
	v_mov_b32_e32 v7, s90
	v_add_co_u32_e32 v5, vcc, s89, v5
	v_addc_co_u32_e32 v6, vcc, v7, v6, vcc
	global_load_dwordx2 v[5:6], v[5:6], off
	v_lshlrev_b32_e32 v7, 3, v1
	s_waitcnt vmcnt(0)
	v_xor_b32_e32 v5, 0x80000000, v5
	v_xor_b32_e32 v6, 0x80000000, v6
	ds_write_b64 v7, v[5:6]
.LBB52_34:
	s_or_b64 exec, exec, s[6:7]
	v_add_u32_e32 v7, 16, v2
	v_mad_u64_u32 v[5:6], s[6:7], s40, v7, v[3:4]
	v_cmp_le_u32_e32 vcc, v7, v0
	v_mad_u64_u32 v[8:9], s[6:7], s41, v7, v[6:7]
	v_lshl_add_u32 v9, v7, 6, v0
	v_mov_b32_e32 v6, v8
	s_and_saveexec_b64 s[6:7], vcc
	s_xor_b64 s[6:7], exec, s[6:7]
	s_cbranch_execz .LBB52_46
; %bb.35:
	v_cmp_ne_u32_e32 vcc, v0, v7
	s_and_saveexec_b64 s[10:11], vcc
	s_xor_b64 s[10:11], exec, s[10:11]
	s_cbranch_execz .LBB52_39
; %bb.36:
	v_or_b32_e32 v5, v7, v0
	v_cmp_gt_u32_e32 vcc, 64, v5
	s_and_saveexec_b64 s[12:13], vcc
; %bb.37:
	v_mov_b32_e32 v5, 0
	v_lshlrev_b32_e32 v7, 3, v9
	v_mov_b32_e32 v6, v5
	ds_write_b64 v7, v[5:6]
; %bb.38:
	s_or_b64 exec, exec, s[12:13]
                                        ; implicit-def: $vgpr9
                                        ; implicit-def: $vgpr5_vgpr6
.LBB52_39:
	s_andn2_saveexec_b64 s[10:11], s[10:11]
	s_cbranch_execz .LBB52_45
; %bb.40:
	v_lshlrev_b64 v[5:6], 3, v[5:6]
	v_mov_b32_e32 v7, s90
	v_add_co_u32_e32 v5, vcc, s89, v5
	v_addc_co_u32_e32 v6, vcc, v7, v6, vcc
	global_load_dwordx2 v[5:6], v[5:6], off
                                        ; implicit-def: $vgpr7
	s_waitcnt vmcnt(0)
	v_cmp_ngt_f32_e64 s[12:13], |v5|, |v6|
	s_and_saveexec_b64 s[14:15], s[12:13]
	s_xor_b64 s[12:13], exec, s[14:15]
	s_cbranch_execz .LBB52_42
; %bb.41:
	v_div_scale_f32 v7, s[14:15], v6, v6, v5
	v_div_scale_f32 v8, vcc, v5, v6, v5
	v_rcp_f32_e32 v10, v7
	v_fma_f32 v11, -v7, v10, 1.0
	v_fmac_f32_e32 v10, v11, v10
	v_mul_f32_e32 v11, v8, v10
	v_fma_f32 v12, -v7, v11, v8
	v_fmac_f32_e32 v11, v12, v10
	v_fma_f32 v7, -v7, v11, v8
	v_div_fmas_f32 v7, v7, v10, v11
	v_div_fixup_f32 v7, v7, v6, v5
	v_fmac_f32_e32 v6, v5, v7
	v_div_scale_f32 v5, s[14:15], v6, v6, 1.0
	v_div_scale_f32 v8, vcc, 1.0, v6, 1.0
	v_rcp_f32_e32 v10, v5
	v_fma_f32 v11, -v5, v10, 1.0
	v_fmac_f32_e32 v10, v11, v10
	v_mul_f32_e32 v11, v8, v10
	v_fma_f32 v12, -v5, v11, v8
	v_fmac_f32_e32 v11, v12, v10
	v_fma_f32 v5, -v5, v11, v8
	v_div_fmas_f32 v5, v5, v10, v11
	v_div_fixup_f32 v5, v5, v6, 1.0
	v_mul_f32_e32 v7, v7, v5
	v_xor_b32_e32 v8, 0x80000000, v5
                                        ; implicit-def: $vgpr5_vgpr6
.LBB52_42:
	s_andn2_saveexec_b64 s[12:13], s[12:13]
	s_cbranch_execz .LBB52_44
; %bb.43:
	v_div_scale_f32 v7, s[14:15], v5, v5, v6
	v_div_scale_f32 v8, vcc, v6, v5, v6
	v_rcp_f32_e32 v10, v7
	v_fma_f32 v11, -v7, v10, 1.0
	v_fmac_f32_e32 v10, v11, v10
	v_mul_f32_e32 v11, v8, v10
	v_fma_f32 v12, -v7, v11, v8
	v_fmac_f32_e32 v11, v12, v10
	v_fma_f32 v7, -v7, v11, v8
	v_div_fmas_f32 v7, v7, v10, v11
	v_div_fixup_f32 v8, v7, v5, v6
	v_fmac_f32_e32 v5, v6, v8
	v_div_scale_f32 v6, s[14:15], v5, v5, 1.0
	v_div_scale_f32 v7, vcc, 1.0, v5, 1.0
	v_rcp_f32_e32 v10, v6
	v_fma_f32 v11, -v6, v10, 1.0
	v_fmac_f32_e32 v10, v11, v10
	v_mul_f32_e32 v11, v7, v10
	v_fma_f32 v12, -v6, v11, v7
	v_fmac_f32_e32 v11, v12, v10
	v_fma_f32 v6, -v6, v11, v7
	v_div_fmas_f32 v6, v6, v10, v11
	v_div_fixup_f32 v7, v6, v5, 1.0
	v_mul_f32_e64 v8, v8, -v7
.LBB52_44:
	s_or_b64 exec, exec, s[12:13]
	v_lshlrev_b32_e32 v5, 3, v9
	ds_write_b64 v5, v[7:8]
.LBB52_45:
	s_or_b64 exec, exec, s[10:11]
                                        ; implicit-def: $vgpr5_vgpr6
                                        ; implicit-def: $vgpr9
.LBB52_46:
	s_andn2_saveexec_b64 s[6:7], s[6:7]
	s_cbranch_execz .LBB52_48
; %bb.47:
	v_lshlrev_b64 v[5:6], 3, v[5:6]
	v_mov_b32_e32 v7, s90
	v_add_co_u32_e32 v5, vcc, s89, v5
	v_addc_co_u32_e32 v6, vcc, v7, v6, vcc
	global_load_dwordx2 v[5:6], v[5:6], off
	v_lshlrev_b32_e32 v7, 3, v9
	s_waitcnt vmcnt(0)
	v_xor_b32_e32 v5, 0x80000000, v5
	v_xor_b32_e32 v6, 0x80000000, v6
	ds_write_b64 v7, v[5:6]
.LBB52_48:
	s_or_b64 exec, exec, s[6:7]
	v_add_u32_e32 v7, 32, v2
	v_mad_u64_u32 v[5:6], s[6:7], s40, v7, v[3:4]
	v_cmp_le_u32_e32 vcc, v7, v0
	v_mad_u64_u32 v[8:9], s[6:7], s41, v7, v[6:7]
	v_lshl_add_u32 v9, v7, 6, v0
	v_mov_b32_e32 v6, v8
	s_and_saveexec_b64 s[6:7], vcc
	s_xor_b64 s[6:7], exec, s[6:7]
	s_cbranch_execz .LBB52_60
; %bb.49:
	v_cmp_ne_u32_e32 vcc, v0, v7
	s_and_saveexec_b64 s[10:11], vcc
	s_xor_b64 s[10:11], exec, s[10:11]
	s_cbranch_execz .LBB52_53
; %bb.50:
	v_or_b32_e32 v5, v7, v0
	v_cmp_gt_u32_e32 vcc, 64, v5
	s_and_saveexec_b64 s[12:13], vcc
; %bb.51:
	v_mov_b32_e32 v5, 0
	v_lshlrev_b32_e32 v7, 3, v9
	v_mov_b32_e32 v6, v5
	ds_write_b64 v7, v[5:6]
; %bb.52:
	s_or_b64 exec, exec, s[12:13]
                                        ; implicit-def: $vgpr9
                                        ; implicit-def: $vgpr5_vgpr6
.LBB52_53:
	s_andn2_saveexec_b64 s[10:11], s[10:11]
	s_cbranch_execz .LBB52_59
; %bb.54:
	v_lshlrev_b64 v[5:6], 3, v[5:6]
	v_mov_b32_e32 v7, s90
	v_add_co_u32_e32 v5, vcc, s89, v5
	v_addc_co_u32_e32 v6, vcc, v7, v6, vcc
	global_load_dwordx2 v[5:6], v[5:6], off
                                        ; implicit-def: $vgpr7
	s_waitcnt vmcnt(0)
	v_cmp_ngt_f32_e64 s[12:13], |v5|, |v6|
	s_and_saveexec_b64 s[14:15], s[12:13]
	s_xor_b64 s[12:13], exec, s[14:15]
	s_cbranch_execz .LBB52_56
; %bb.55:
	v_div_scale_f32 v7, s[14:15], v6, v6, v5
	v_div_scale_f32 v8, vcc, v5, v6, v5
	v_rcp_f32_e32 v10, v7
	v_fma_f32 v11, -v7, v10, 1.0
	v_fmac_f32_e32 v10, v11, v10
	v_mul_f32_e32 v11, v8, v10
	v_fma_f32 v12, -v7, v11, v8
	v_fmac_f32_e32 v11, v12, v10
	v_fma_f32 v7, -v7, v11, v8
	v_div_fmas_f32 v7, v7, v10, v11
	v_div_fixup_f32 v7, v7, v6, v5
	v_fmac_f32_e32 v6, v5, v7
	v_div_scale_f32 v5, s[14:15], v6, v6, 1.0
	v_div_scale_f32 v8, vcc, 1.0, v6, 1.0
	v_rcp_f32_e32 v10, v5
	v_fma_f32 v11, -v5, v10, 1.0
	v_fmac_f32_e32 v10, v11, v10
	v_mul_f32_e32 v11, v8, v10
	v_fma_f32 v12, -v5, v11, v8
	v_fmac_f32_e32 v11, v12, v10
	v_fma_f32 v5, -v5, v11, v8
	v_div_fmas_f32 v5, v5, v10, v11
	v_div_fixup_f32 v5, v5, v6, 1.0
	v_mul_f32_e32 v7, v7, v5
	v_xor_b32_e32 v8, 0x80000000, v5
                                        ; implicit-def: $vgpr5_vgpr6
.LBB52_56:
	s_andn2_saveexec_b64 s[12:13], s[12:13]
	s_cbranch_execz .LBB52_58
; %bb.57:
	v_div_scale_f32 v7, s[14:15], v5, v5, v6
	v_div_scale_f32 v8, vcc, v6, v5, v6
	v_rcp_f32_e32 v10, v7
	v_fma_f32 v11, -v7, v10, 1.0
	v_fmac_f32_e32 v10, v11, v10
	v_mul_f32_e32 v11, v8, v10
	v_fma_f32 v12, -v7, v11, v8
	v_fmac_f32_e32 v11, v12, v10
	v_fma_f32 v7, -v7, v11, v8
	v_div_fmas_f32 v7, v7, v10, v11
	v_div_fixup_f32 v8, v7, v5, v6
	v_fmac_f32_e32 v5, v6, v8
	v_div_scale_f32 v6, s[14:15], v5, v5, 1.0
	v_div_scale_f32 v7, vcc, 1.0, v5, 1.0
	v_rcp_f32_e32 v10, v6
	v_fma_f32 v11, -v6, v10, 1.0
	v_fmac_f32_e32 v10, v11, v10
	v_mul_f32_e32 v11, v7, v10
	v_fma_f32 v12, -v6, v11, v7
	v_fmac_f32_e32 v11, v12, v10
	v_fma_f32 v6, -v6, v11, v7
	v_div_fmas_f32 v6, v6, v10, v11
	v_div_fixup_f32 v7, v6, v5, 1.0
	v_mul_f32_e64 v8, v8, -v7
.LBB52_58:
	s_or_b64 exec, exec, s[12:13]
	v_lshlrev_b32_e32 v5, 3, v9
	ds_write_b64 v5, v[7:8]
.LBB52_59:
	s_or_b64 exec, exec, s[10:11]
                                        ; implicit-def: $vgpr5_vgpr6
                                        ; implicit-def: $vgpr9
.LBB52_60:
	s_andn2_saveexec_b64 s[6:7], s[6:7]
	s_cbranch_execz .LBB52_62
; %bb.61:
	v_lshlrev_b64 v[5:6], 3, v[5:6]
	v_mov_b32_e32 v7, s90
	v_add_co_u32_e32 v5, vcc, s89, v5
	v_addc_co_u32_e32 v6, vcc, v7, v6, vcc
	global_load_dwordx2 v[5:6], v[5:6], off
	v_lshlrev_b32_e32 v7, 3, v9
	s_waitcnt vmcnt(0)
	v_xor_b32_e32 v5, 0x80000000, v5
	v_xor_b32_e32 v6, 0x80000000, v6
	ds_write_b64 v7, v[5:6]
.LBB52_62:
	s_or_b64 exec, exec, s[6:7]
	v_add_u32_e32 v7, 48, v2
	v_mad_u64_u32 v[5:6], s[6:7], s40, v7, v[3:4]
	v_cmp_le_u32_e32 vcc, v7, v0
	v_mad_u64_u32 v[8:9], s[6:7], s41, v7, v[6:7]
	v_lshl_add_u32 v9, v7, 6, v0
	v_mov_b32_e32 v6, v8
	s_and_saveexec_b64 s[6:7], vcc
	s_xor_b64 s[6:7], exec, s[6:7]
	s_cbranch_execz .LBB52_74
; %bb.63:
	v_cmp_ne_u32_e32 vcc, v0, v7
	s_and_saveexec_b64 s[10:11], vcc
	s_xor_b64 s[10:11], exec, s[10:11]
	s_cbranch_execz .LBB52_67
; %bb.64:
	v_or_b32_e32 v5, v7, v0
	v_cmp_gt_u32_e32 vcc, 64, v5
	s_and_saveexec_b64 s[12:13], vcc
; %bb.65:
	v_mov_b32_e32 v5, 0
	v_lshlrev_b32_e32 v7, 3, v9
	v_mov_b32_e32 v6, v5
	ds_write_b64 v7, v[5:6]
; %bb.66:
	s_or_b64 exec, exec, s[12:13]
                                        ; implicit-def: $vgpr9
                                        ; implicit-def: $vgpr5_vgpr6
.LBB52_67:
	s_andn2_saveexec_b64 s[10:11], s[10:11]
	s_cbranch_execz .LBB52_73
; %bb.68:
	v_lshlrev_b64 v[5:6], 3, v[5:6]
	v_mov_b32_e32 v7, s90
	v_add_co_u32_e32 v5, vcc, s89, v5
	v_addc_co_u32_e32 v6, vcc, v7, v6, vcc
	global_load_dwordx2 v[5:6], v[5:6], off
                                        ; implicit-def: $vgpr7
	s_waitcnt vmcnt(0)
	v_cmp_ngt_f32_e64 s[12:13], |v5|, |v6|
	s_and_saveexec_b64 s[14:15], s[12:13]
	s_xor_b64 s[12:13], exec, s[14:15]
	s_cbranch_execz .LBB52_70
; %bb.69:
	v_div_scale_f32 v7, s[14:15], v6, v6, v5
	v_div_scale_f32 v8, vcc, v5, v6, v5
	v_rcp_f32_e32 v10, v7
	v_fma_f32 v11, -v7, v10, 1.0
	v_fmac_f32_e32 v10, v11, v10
	v_mul_f32_e32 v11, v8, v10
	v_fma_f32 v12, -v7, v11, v8
	v_fmac_f32_e32 v11, v12, v10
	v_fma_f32 v7, -v7, v11, v8
	v_div_fmas_f32 v7, v7, v10, v11
	v_div_fixup_f32 v7, v7, v6, v5
	v_fmac_f32_e32 v6, v5, v7
	v_div_scale_f32 v5, s[14:15], v6, v6, 1.0
	v_div_scale_f32 v8, vcc, 1.0, v6, 1.0
	v_rcp_f32_e32 v10, v5
	v_fma_f32 v11, -v5, v10, 1.0
	v_fmac_f32_e32 v10, v11, v10
	v_mul_f32_e32 v11, v8, v10
	v_fma_f32 v12, -v5, v11, v8
	v_fmac_f32_e32 v11, v12, v10
	v_fma_f32 v5, -v5, v11, v8
	v_div_fmas_f32 v5, v5, v10, v11
	v_div_fixup_f32 v5, v5, v6, 1.0
	v_mul_f32_e32 v7, v7, v5
	v_xor_b32_e32 v8, 0x80000000, v5
                                        ; implicit-def: $vgpr5_vgpr6
.LBB52_70:
	s_andn2_saveexec_b64 s[12:13], s[12:13]
	s_cbranch_execz .LBB52_72
; %bb.71:
	v_div_scale_f32 v7, s[14:15], v5, v5, v6
	v_div_scale_f32 v8, vcc, v6, v5, v6
	v_rcp_f32_e32 v10, v7
	v_fma_f32 v11, -v7, v10, 1.0
	v_fmac_f32_e32 v10, v11, v10
	v_mul_f32_e32 v11, v8, v10
	v_fma_f32 v12, -v7, v11, v8
	v_fmac_f32_e32 v11, v12, v10
	v_fma_f32 v7, -v7, v11, v8
	v_div_fmas_f32 v7, v7, v10, v11
	v_div_fixup_f32 v8, v7, v5, v6
	v_fmac_f32_e32 v5, v6, v8
	v_div_scale_f32 v6, s[14:15], v5, v5, 1.0
	v_div_scale_f32 v7, vcc, 1.0, v5, 1.0
	v_rcp_f32_e32 v10, v6
	v_fma_f32 v11, -v6, v10, 1.0
	v_fmac_f32_e32 v10, v11, v10
	v_mul_f32_e32 v11, v7, v10
	v_fma_f32 v12, -v6, v11, v7
	v_fmac_f32_e32 v11, v12, v10
	v_fma_f32 v6, -v6, v11, v7
	v_div_fmas_f32 v6, v6, v10, v11
	v_div_fixup_f32 v7, v6, v5, 1.0
	v_mul_f32_e64 v8, v8, -v7
.LBB52_72:
	s_or_b64 exec, exec, s[12:13]
	v_lshlrev_b32_e32 v5, 3, v9
	ds_write_b64 v5, v[7:8]
.LBB52_73:
	s_or_b64 exec, exec, s[10:11]
                                        ; implicit-def: $vgpr5_vgpr6
                                        ; implicit-def: $vgpr9
.LBB52_74:
	s_andn2_saveexec_b64 s[6:7], s[6:7]
	s_cbranch_execz .LBB52_76
; %bb.75:
	v_lshlrev_b64 v[5:6], 3, v[5:6]
	v_mov_b32_e32 v7, s90
	v_add_co_u32_e32 v5, vcc, s89, v5
	v_addc_co_u32_e32 v6, vcc, v7, v6, vcc
	global_load_dwordx2 v[5:6], v[5:6], off
	v_lshlrev_b32_e32 v7, 3, v9
	s_waitcnt vmcnt(0)
	v_xor_b32_e32 v5, 0x80000000, v5
	v_xor_b32_e32 v6, 0x80000000, v6
	ds_write_b64 v7, v[5:6]
.LBB52_76:
	s_or_b64 exec, exec, s[6:7]
	s_mov_b64 s[10:11], 0
.LBB52_77:
	s_and_b64 vcc, exec, s[10:11]
	s_cbranch_vccz .LBB52_135
; %bb.78:
	v_mad_u64_u32 v[5:6], s[6:7], s40, v2, v[3:4]
	v_cmp_le_u32_e32 vcc, v2, v0
	v_cmp_gt_i32_e64 s[6:7], s88, v0
	v_mad_u64_u32 v[6:7], s[10:11], s41, v2, v[6:7]
	v_max_i32_e32 v7, v2, v0
	v_cmp_le_i32_e64 s[10:11], s88, v7
	s_or_b64 s[10:11], s[10:11], vcc
	s_and_saveexec_b64 s[12:13], s[10:11]
	s_xor_b64 s[10:11], exec, s[12:13]
	s_cbranch_execz .LBB52_90
; %bb.79:
	v_cmp_ne_u32_e32 vcc, v0, v2
	s_xor_b64 s[12:13], s[6:7], -1
	s_or_b64 s[12:13], s[12:13], vcc
	s_and_saveexec_b64 s[14:15], s[12:13]
	s_xor_b64 s[12:13], exec, s[14:15]
	s_cbranch_execz .LBB52_83
; %bb.80:
	v_or_b32_e32 v5, v2, v0
	v_cmp_gt_u32_e32 vcc, 64, v5
	s_and_saveexec_b64 s[14:15], vcc
; %bb.81:
	v_mov_b32_e32 v5, 0
	v_lshlrev_b32_e32 v7, 3, v1
	v_mov_b32_e32 v6, v5
	ds_write_b64 v7, v[5:6]
; %bb.82:
	s_or_b64 exec, exec, s[14:15]
                                        ; implicit-def: $vgpr5_vgpr6
.LBB52_83:
	s_andn2_saveexec_b64 s[12:13], s[12:13]
	s_cbranch_execz .LBB52_89
; %bb.84:
	v_lshlrev_b64 v[5:6], 3, v[5:6]
	v_mov_b32_e32 v7, s90
	v_add_co_u32_e32 v5, vcc, s89, v5
	v_addc_co_u32_e32 v6, vcc, v7, v6, vcc
	global_load_dwordx2 v[5:6], v[5:6], off
                                        ; implicit-def: $vgpr7
	s_waitcnt vmcnt(0)
	v_cmp_ngt_f32_e64 s[14:15], |v5|, |v6|
	s_and_saveexec_b64 s[16:17], s[14:15]
	s_xor_b64 s[14:15], exec, s[16:17]
	s_cbranch_execz .LBB52_86
; %bb.85:
	v_div_scale_f32 v7, s[16:17], v6, v6, v5
	v_div_scale_f32 v8, vcc, v5, v6, v5
	v_rcp_f32_e32 v9, v7
	v_fma_f32 v10, -v7, v9, 1.0
	v_fmac_f32_e32 v9, v10, v9
	v_mul_f32_e32 v10, v8, v9
	v_fma_f32 v11, -v7, v10, v8
	v_fmac_f32_e32 v10, v11, v9
	v_fma_f32 v7, -v7, v10, v8
	v_div_fmas_f32 v7, v7, v9, v10
	v_div_fixup_f32 v7, v7, v6, v5
	v_fmac_f32_e32 v6, v5, v7
	v_div_scale_f32 v5, s[16:17], v6, v6, 1.0
	v_div_scale_f32 v8, vcc, 1.0, v6, 1.0
	v_rcp_f32_e32 v9, v5
	v_fma_f32 v10, -v5, v9, 1.0
	v_fmac_f32_e32 v9, v10, v9
	v_mul_f32_e32 v10, v8, v9
	v_fma_f32 v11, -v5, v10, v8
	v_fmac_f32_e32 v10, v11, v9
	v_fma_f32 v5, -v5, v10, v8
	v_div_fmas_f32 v5, v5, v9, v10
	v_div_fixup_f32 v5, v5, v6, 1.0
	v_mul_f32_e32 v7, v7, v5
	v_xor_b32_e32 v8, 0x80000000, v5
                                        ; implicit-def: $vgpr5_vgpr6
.LBB52_86:
	s_andn2_saveexec_b64 s[14:15], s[14:15]
	s_cbranch_execz .LBB52_88
; %bb.87:
	v_div_scale_f32 v7, s[16:17], v5, v5, v6
	v_div_scale_f32 v8, vcc, v6, v5, v6
	v_rcp_f32_e32 v9, v7
	v_fma_f32 v10, -v7, v9, 1.0
	v_fmac_f32_e32 v9, v10, v9
	v_mul_f32_e32 v10, v8, v9
	v_fma_f32 v11, -v7, v10, v8
	v_fmac_f32_e32 v10, v11, v9
	v_fma_f32 v7, -v7, v10, v8
	v_div_fmas_f32 v7, v7, v9, v10
	v_div_fixup_f32 v8, v7, v5, v6
	v_fmac_f32_e32 v5, v6, v8
	v_div_scale_f32 v6, s[16:17], v5, v5, 1.0
	v_div_scale_f32 v7, vcc, 1.0, v5, 1.0
	v_rcp_f32_e32 v9, v6
	v_fma_f32 v10, -v6, v9, 1.0
	v_fmac_f32_e32 v9, v10, v9
	v_mul_f32_e32 v10, v7, v9
	v_fma_f32 v11, -v6, v10, v7
	v_fmac_f32_e32 v10, v11, v9
	v_fma_f32 v6, -v6, v10, v7
	v_div_fmas_f32 v6, v6, v9, v10
	v_div_fixup_f32 v7, v6, v5, 1.0
	v_mul_f32_e64 v8, v8, -v7
.LBB52_88:
	s_or_b64 exec, exec, s[14:15]
	v_lshlrev_b32_e32 v5, 3, v1
	ds_write_b64 v5, v[7:8]
.LBB52_89:
	s_or_b64 exec, exec, s[12:13]
                                        ; implicit-def: $vgpr5_vgpr6
.LBB52_90:
	s_andn2_saveexec_b64 s[10:11], s[10:11]
	s_cbranch_execz .LBB52_92
; %bb.91:
	v_lshlrev_b64 v[5:6], 3, v[5:6]
	v_mov_b32_e32 v7, s90
	v_add_co_u32_e32 v5, vcc, s89, v5
	v_addc_co_u32_e32 v6, vcc, v7, v6, vcc
	global_load_dwordx2 v[5:6], v[5:6], off
	v_lshlrev_b32_e32 v7, 3, v1
	s_waitcnt vmcnt(0)
	v_xor_b32_e32 v5, 0x80000000, v5
	v_xor_b32_e32 v6, 0x80000000, v6
	ds_write_b64 v7, v[5:6]
.LBB52_92:
	s_or_b64 exec, exec, s[10:11]
	v_add_u32_e32 v7, 16, v2
	v_mad_u64_u32 v[5:6], s[10:11], s40, v7, v[3:4]
	v_cmp_gt_u32_e32 vcc, v7, v0
	v_lshl_add_u32 v9, v7, 6, v0
	v_mad_u64_u32 v[10:11], s[10:11], s41, v7, v[6:7]
	v_cmp_gt_i32_e64 s[10:11], s88, v7
	s_and_b64 s[10:11], vcc, s[10:11]
	s_and_b64 s[10:11], s[6:7], s[10:11]
	v_mov_b32_e32 v6, v10
	s_xor_b64 s[10:11], s[10:11], -1
	s_and_saveexec_b64 s[12:13], s[10:11]
	s_xor_b64 s[10:11], exec, s[12:13]
	s_cbranch_execz .LBB52_104
; %bb.93:
	v_cmp_ne_u32_e32 vcc, v0, v7
	s_xor_b64 s[12:13], s[6:7], -1
	s_or_b64 s[12:13], s[12:13], vcc
	s_and_saveexec_b64 s[14:15], s[12:13]
	s_xor_b64 s[12:13], exec, s[14:15]
	s_cbranch_execz .LBB52_97
; %bb.94:
	v_or_b32_e32 v5, v7, v0
	v_cmp_gt_u32_e32 vcc, 64, v5
	s_and_saveexec_b64 s[14:15], vcc
; %bb.95:
	v_mov_b32_e32 v5, 0
	v_lshlrev_b32_e32 v7, 3, v9
	v_mov_b32_e32 v6, v5
	ds_write_b64 v7, v[5:6]
; %bb.96:
	s_or_b64 exec, exec, s[14:15]
                                        ; implicit-def: $vgpr9
                                        ; implicit-def: $vgpr5_vgpr6
.LBB52_97:
	s_andn2_saveexec_b64 s[12:13], s[12:13]
	s_cbranch_execz .LBB52_103
; %bb.98:
	v_lshlrev_b64 v[5:6], 3, v[5:6]
	v_mov_b32_e32 v7, s90
	v_add_co_u32_e32 v5, vcc, s89, v5
	v_addc_co_u32_e32 v6, vcc, v7, v6, vcc
	global_load_dwordx2 v[5:6], v[5:6], off
                                        ; implicit-def: $vgpr7
	s_waitcnt vmcnt(0)
	v_cmp_ngt_f32_e64 s[14:15], |v5|, |v6|
	s_and_saveexec_b64 s[16:17], s[14:15]
	s_xor_b64 s[14:15], exec, s[16:17]
	s_cbranch_execz .LBB52_100
; %bb.99:
	v_div_scale_f32 v7, s[16:17], v6, v6, v5
	v_div_scale_f32 v8, vcc, v5, v6, v5
	v_rcp_f32_e32 v10, v7
	v_fma_f32 v11, -v7, v10, 1.0
	v_fmac_f32_e32 v10, v11, v10
	v_mul_f32_e32 v11, v8, v10
	v_fma_f32 v12, -v7, v11, v8
	v_fmac_f32_e32 v11, v12, v10
	v_fma_f32 v7, -v7, v11, v8
	v_div_fmas_f32 v7, v7, v10, v11
	v_div_fixup_f32 v7, v7, v6, v5
	v_fmac_f32_e32 v6, v5, v7
	v_div_scale_f32 v5, s[16:17], v6, v6, 1.0
	v_div_scale_f32 v8, vcc, 1.0, v6, 1.0
	v_rcp_f32_e32 v10, v5
	v_fma_f32 v11, -v5, v10, 1.0
	v_fmac_f32_e32 v10, v11, v10
	v_mul_f32_e32 v11, v8, v10
	v_fma_f32 v12, -v5, v11, v8
	v_fmac_f32_e32 v11, v12, v10
	v_fma_f32 v5, -v5, v11, v8
	v_div_fmas_f32 v5, v5, v10, v11
	v_div_fixup_f32 v5, v5, v6, 1.0
	v_mul_f32_e32 v7, v7, v5
	v_xor_b32_e32 v8, 0x80000000, v5
                                        ; implicit-def: $vgpr5_vgpr6
.LBB52_100:
	s_andn2_saveexec_b64 s[14:15], s[14:15]
	s_cbranch_execz .LBB52_102
; %bb.101:
	v_div_scale_f32 v7, s[16:17], v5, v5, v6
	v_div_scale_f32 v8, vcc, v6, v5, v6
	v_rcp_f32_e32 v10, v7
	v_fma_f32 v11, -v7, v10, 1.0
	v_fmac_f32_e32 v10, v11, v10
	v_mul_f32_e32 v11, v8, v10
	v_fma_f32 v12, -v7, v11, v8
	v_fmac_f32_e32 v11, v12, v10
	v_fma_f32 v7, -v7, v11, v8
	v_div_fmas_f32 v7, v7, v10, v11
	v_div_fixup_f32 v8, v7, v5, v6
	v_fmac_f32_e32 v5, v6, v8
	v_div_scale_f32 v6, s[16:17], v5, v5, 1.0
	v_div_scale_f32 v7, vcc, 1.0, v5, 1.0
	v_rcp_f32_e32 v10, v6
	v_fma_f32 v11, -v6, v10, 1.0
	v_fmac_f32_e32 v10, v11, v10
	v_mul_f32_e32 v11, v7, v10
	v_fma_f32 v12, -v6, v11, v7
	v_fmac_f32_e32 v11, v12, v10
	v_fma_f32 v6, -v6, v11, v7
	v_div_fmas_f32 v6, v6, v10, v11
	v_div_fixup_f32 v7, v6, v5, 1.0
	v_mul_f32_e64 v8, v8, -v7
.LBB52_102:
	s_or_b64 exec, exec, s[14:15]
	v_lshlrev_b32_e32 v5, 3, v9
	ds_write_b64 v5, v[7:8]
.LBB52_103:
	s_or_b64 exec, exec, s[12:13]
                                        ; implicit-def: $vgpr5_vgpr6
                                        ; implicit-def: $vgpr9
.LBB52_104:
	s_andn2_saveexec_b64 s[10:11], s[10:11]
	s_cbranch_execz .LBB52_106
; %bb.105:
	v_lshlrev_b64 v[5:6], 3, v[5:6]
	v_mov_b32_e32 v7, s90
	v_add_co_u32_e32 v5, vcc, s89, v5
	v_addc_co_u32_e32 v6, vcc, v7, v6, vcc
	global_load_dwordx2 v[5:6], v[5:6], off
	v_lshlrev_b32_e32 v7, 3, v9
	s_waitcnt vmcnt(0)
	v_xor_b32_e32 v5, 0x80000000, v5
	v_xor_b32_e32 v6, 0x80000000, v6
	ds_write_b64 v7, v[5:6]
.LBB52_106:
	s_or_b64 exec, exec, s[10:11]
	v_add_u32_e32 v7, 32, v2
	v_mad_u64_u32 v[5:6], s[10:11], s40, v7, v[3:4]
	v_cmp_gt_u32_e32 vcc, v7, v0
	v_lshl_add_u32 v9, v7, 6, v0
	v_mad_u64_u32 v[10:11], s[10:11], s41, v7, v[6:7]
	v_cmp_gt_i32_e64 s[10:11], s88, v7
	s_and_b64 s[10:11], vcc, s[10:11]
	s_and_b64 s[10:11], s[6:7], s[10:11]
	v_mov_b32_e32 v6, v10
	s_xor_b64 s[10:11], s[10:11], -1
	s_and_saveexec_b64 s[12:13], s[10:11]
	s_xor_b64 s[10:11], exec, s[12:13]
	s_cbranch_execz .LBB52_118
; %bb.107:
	v_cmp_ne_u32_e32 vcc, v0, v7
	s_xor_b64 s[12:13], s[6:7], -1
	s_or_b64 s[12:13], s[12:13], vcc
	s_and_saveexec_b64 s[14:15], s[12:13]
	s_xor_b64 s[12:13], exec, s[14:15]
	s_cbranch_execz .LBB52_111
; %bb.108:
	v_or_b32_e32 v5, v7, v0
	v_cmp_gt_u32_e32 vcc, 64, v5
	s_and_saveexec_b64 s[14:15], vcc
; %bb.109:
	v_mov_b32_e32 v5, 0
	v_lshlrev_b32_e32 v7, 3, v9
	v_mov_b32_e32 v6, v5
	ds_write_b64 v7, v[5:6]
; %bb.110:
	s_or_b64 exec, exec, s[14:15]
                                        ; implicit-def: $vgpr9
                                        ; implicit-def: $vgpr5_vgpr6
.LBB52_111:
	s_andn2_saveexec_b64 s[12:13], s[12:13]
	s_cbranch_execz .LBB52_117
; %bb.112:
	v_lshlrev_b64 v[5:6], 3, v[5:6]
	v_mov_b32_e32 v7, s90
	v_add_co_u32_e32 v5, vcc, s89, v5
	v_addc_co_u32_e32 v6, vcc, v7, v6, vcc
	global_load_dwordx2 v[5:6], v[5:6], off
                                        ; implicit-def: $vgpr7
	s_waitcnt vmcnt(0)
	v_cmp_ngt_f32_e64 s[14:15], |v5|, |v6|
	s_and_saveexec_b64 s[16:17], s[14:15]
	s_xor_b64 s[14:15], exec, s[16:17]
	s_cbranch_execz .LBB52_114
; %bb.113:
	v_div_scale_f32 v7, s[16:17], v6, v6, v5
	v_div_scale_f32 v8, vcc, v5, v6, v5
	v_rcp_f32_e32 v10, v7
	v_fma_f32 v11, -v7, v10, 1.0
	v_fmac_f32_e32 v10, v11, v10
	v_mul_f32_e32 v11, v8, v10
	v_fma_f32 v12, -v7, v11, v8
	v_fmac_f32_e32 v11, v12, v10
	v_fma_f32 v7, -v7, v11, v8
	v_div_fmas_f32 v7, v7, v10, v11
	v_div_fixup_f32 v7, v7, v6, v5
	v_fmac_f32_e32 v6, v5, v7
	v_div_scale_f32 v5, s[16:17], v6, v6, 1.0
	v_div_scale_f32 v8, vcc, 1.0, v6, 1.0
	v_rcp_f32_e32 v10, v5
	v_fma_f32 v11, -v5, v10, 1.0
	v_fmac_f32_e32 v10, v11, v10
	v_mul_f32_e32 v11, v8, v10
	v_fma_f32 v12, -v5, v11, v8
	v_fmac_f32_e32 v11, v12, v10
	v_fma_f32 v5, -v5, v11, v8
	v_div_fmas_f32 v5, v5, v10, v11
	v_div_fixup_f32 v5, v5, v6, 1.0
	v_mul_f32_e32 v7, v7, v5
	v_xor_b32_e32 v8, 0x80000000, v5
                                        ; implicit-def: $vgpr5_vgpr6
.LBB52_114:
	s_andn2_saveexec_b64 s[14:15], s[14:15]
	s_cbranch_execz .LBB52_116
; %bb.115:
	v_div_scale_f32 v7, s[16:17], v5, v5, v6
	v_div_scale_f32 v8, vcc, v6, v5, v6
	v_rcp_f32_e32 v10, v7
	v_fma_f32 v11, -v7, v10, 1.0
	v_fmac_f32_e32 v10, v11, v10
	v_mul_f32_e32 v11, v8, v10
	v_fma_f32 v12, -v7, v11, v8
	v_fmac_f32_e32 v11, v12, v10
	v_fma_f32 v7, -v7, v11, v8
	v_div_fmas_f32 v7, v7, v10, v11
	v_div_fixup_f32 v8, v7, v5, v6
	v_fmac_f32_e32 v5, v6, v8
	v_div_scale_f32 v6, s[16:17], v5, v5, 1.0
	v_div_scale_f32 v7, vcc, 1.0, v5, 1.0
	v_rcp_f32_e32 v10, v6
	v_fma_f32 v11, -v6, v10, 1.0
	v_fmac_f32_e32 v10, v11, v10
	v_mul_f32_e32 v11, v7, v10
	v_fma_f32 v12, -v6, v11, v7
	v_fmac_f32_e32 v11, v12, v10
	v_fma_f32 v6, -v6, v11, v7
	v_div_fmas_f32 v6, v6, v10, v11
	v_div_fixup_f32 v7, v6, v5, 1.0
	v_mul_f32_e64 v8, v8, -v7
.LBB52_116:
	s_or_b64 exec, exec, s[14:15]
	v_lshlrev_b32_e32 v5, 3, v9
	ds_write_b64 v5, v[7:8]
.LBB52_117:
	s_or_b64 exec, exec, s[12:13]
                                        ; implicit-def: $vgpr5_vgpr6
                                        ; implicit-def: $vgpr9
.LBB52_118:
	s_andn2_saveexec_b64 s[10:11], s[10:11]
	s_cbranch_execz .LBB52_120
; %bb.119:
	v_lshlrev_b64 v[5:6], 3, v[5:6]
	v_mov_b32_e32 v7, s90
	v_add_co_u32_e32 v5, vcc, s89, v5
	v_addc_co_u32_e32 v6, vcc, v7, v6, vcc
	global_load_dwordx2 v[5:6], v[5:6], off
	v_lshlrev_b32_e32 v7, 3, v9
	s_waitcnt vmcnt(0)
	v_xor_b32_e32 v5, 0x80000000, v5
	v_xor_b32_e32 v6, 0x80000000, v6
	ds_write_b64 v7, v[5:6]
.LBB52_120:
	s_or_b64 exec, exec, s[10:11]
	v_add_u32_e32 v5, 48, v2
	v_mad_u64_u32 v[3:4], s[10:11], s40, v5, v[3:4]
	v_cmp_gt_u32_e32 vcc, v5, v0
	v_lshl_add_u32 v7, v5, 6, v0
	v_mad_u64_u32 v[8:9], s[10:11], s41, v5, v[4:5]
	v_cmp_gt_i32_e64 s[10:11], s88, v5
	s_and_b64 s[10:11], vcc, s[10:11]
	s_and_b64 s[10:11], s[6:7], s[10:11]
	v_mov_b32_e32 v4, v8
	s_xor_b64 s[10:11], s[10:11], -1
	s_and_saveexec_b64 s[12:13], s[10:11]
	s_xor_b64 s[10:11], exec, s[12:13]
	s_cbranch_execz .LBB52_132
; %bb.121:
	v_cmp_ne_u32_e32 vcc, v0, v5
	s_xor_b64 s[6:7], s[6:7], -1
	s_or_b64 s[6:7], s[6:7], vcc
	s_and_saveexec_b64 s[12:13], s[6:7]
	s_xor_b64 s[6:7], exec, s[12:13]
	s_cbranch_execz .LBB52_125
; %bb.122:
	v_or_b32_e32 v3, v5, v0
	v_cmp_gt_u32_e32 vcc, 64, v3
	s_and_saveexec_b64 s[12:13], vcc
; %bb.123:
	v_mov_b32_e32 v3, 0
	v_lshlrev_b32_e32 v5, 3, v7
	v_mov_b32_e32 v4, v3
	ds_write_b64 v5, v[3:4]
; %bb.124:
	s_or_b64 exec, exec, s[12:13]
                                        ; implicit-def: $vgpr7
                                        ; implicit-def: $vgpr3_vgpr4
.LBB52_125:
	s_andn2_saveexec_b64 s[6:7], s[6:7]
	s_cbranch_execz .LBB52_131
; %bb.126:
	v_lshlrev_b64 v[3:4], 3, v[3:4]
	v_mov_b32_e32 v5, s90
	v_add_co_u32_e32 v3, vcc, s89, v3
	v_addc_co_u32_e32 v4, vcc, v5, v4, vcc
	global_load_dwordx2 v[3:4], v[3:4], off
                                        ; implicit-def: $vgpr5
	s_waitcnt vmcnt(0)
	v_cmp_ngt_f32_e64 s[12:13], |v3|, |v4|
	s_and_saveexec_b64 s[14:15], s[12:13]
	s_xor_b64 s[12:13], exec, s[14:15]
	s_cbranch_execz .LBB52_128
; %bb.127:
	v_div_scale_f32 v5, s[14:15], v4, v4, v3
	v_div_scale_f32 v6, vcc, v3, v4, v3
	v_rcp_f32_e32 v8, v5
	v_fma_f32 v9, -v5, v8, 1.0
	v_fmac_f32_e32 v8, v9, v8
	v_mul_f32_e32 v9, v6, v8
	v_fma_f32 v10, -v5, v9, v6
	v_fmac_f32_e32 v9, v10, v8
	v_fma_f32 v5, -v5, v9, v6
	v_div_fmas_f32 v5, v5, v8, v9
	v_div_fixup_f32 v5, v5, v4, v3
	v_fmac_f32_e32 v4, v3, v5
	v_div_scale_f32 v3, s[14:15], v4, v4, 1.0
	v_div_scale_f32 v6, vcc, 1.0, v4, 1.0
	v_rcp_f32_e32 v8, v3
	v_fma_f32 v9, -v3, v8, 1.0
	v_fmac_f32_e32 v8, v9, v8
	v_mul_f32_e32 v9, v6, v8
	v_fma_f32 v10, -v3, v9, v6
	v_fmac_f32_e32 v9, v10, v8
	v_fma_f32 v3, -v3, v9, v6
	v_div_fmas_f32 v3, v3, v8, v9
	v_div_fixup_f32 v3, v3, v4, 1.0
	v_mul_f32_e32 v5, v5, v3
	v_xor_b32_e32 v6, 0x80000000, v3
                                        ; implicit-def: $vgpr3_vgpr4
.LBB52_128:
	s_andn2_saveexec_b64 s[12:13], s[12:13]
	s_cbranch_execz .LBB52_130
; %bb.129:
	v_div_scale_f32 v5, s[14:15], v3, v3, v4
	v_div_scale_f32 v6, vcc, v4, v3, v4
	v_rcp_f32_e32 v8, v5
	v_fma_f32 v9, -v5, v8, 1.0
	v_fmac_f32_e32 v8, v9, v8
	v_mul_f32_e32 v9, v6, v8
	v_fma_f32 v10, -v5, v9, v6
	v_fmac_f32_e32 v9, v10, v8
	v_fma_f32 v5, -v5, v9, v6
	v_div_fmas_f32 v5, v5, v8, v9
	v_div_fixup_f32 v6, v5, v3, v4
	v_fmac_f32_e32 v3, v4, v6
	v_div_scale_f32 v4, s[14:15], v3, v3, 1.0
	v_div_scale_f32 v5, vcc, 1.0, v3, 1.0
	v_rcp_f32_e32 v8, v4
	v_fma_f32 v9, -v4, v8, 1.0
	v_fmac_f32_e32 v8, v9, v8
	v_mul_f32_e32 v9, v5, v8
	v_fma_f32 v10, -v4, v9, v5
	v_fmac_f32_e32 v9, v10, v8
	v_fma_f32 v4, -v4, v9, v5
	v_div_fmas_f32 v4, v4, v8, v9
	v_div_fixup_f32 v5, v4, v3, 1.0
	v_mul_f32_e64 v6, v6, -v5
.LBB52_130:
	s_or_b64 exec, exec, s[12:13]
	v_lshlrev_b32_e32 v3, 3, v7
	ds_write_b64 v3, v[5:6]
.LBB52_131:
	s_or_b64 exec, exec, s[6:7]
                                        ; implicit-def: $vgpr3_vgpr4
                                        ; implicit-def: $vgpr7
.LBB52_132:
	s_andn2_saveexec_b64 s[6:7], s[10:11]
	s_cbranch_execz .LBB52_134
; %bb.133:
	v_lshlrev_b64 v[3:4], 3, v[3:4]
	v_mov_b32_e32 v5, s90
	v_add_co_u32_e32 v3, vcc, s89, v3
	v_addc_co_u32_e32 v4, vcc, v5, v4, vcc
	global_load_dwordx2 v[3:4], v[3:4], off
	v_lshlrev_b32_e32 v5, 3, v7
	s_waitcnt vmcnt(0)
	v_xor_b32_e32 v3, 0x80000000, v3
	v_xor_b32_e32 v4, 0x80000000, v4
	ds_write_b64 v5, v[3:4]
.LBB52_134:
	s_or_b64 exec, exec, s[6:7]
.LBB52_135:
	s_cmp_lt_i32 s8, 5
	s_cselect_b64 s[6:7], -1, 0
	s_or_b64 s[30:31], s[6:7], s[26:27]
	s_and_b64 vcc, exec, s[30:31]
	s_waitcnt vmcnt(0) lgkmcnt(0)
	s_barrier
	s_cbranch_vccnz .LBB52_995
; %bb.136:
	v_or_b32_e32 v3, v0, v2
	v_cmp_eq_u32_e32 vcc, 0, v3
	s_and_saveexec_b64 s[6:7], vcc
	s_cbranch_execz .LBB52_138
; %bb.137:
	s_movk_i32 s10, 0x1f0
	v_mov_b32_e32 v9, 0
	v_add_u32_e64 v3, s10, 0
	ds_read_b64 v[7:8], v9 offset:32760
	ds_read2st64_b64 v[3:6], v3 offset0:62 offset1:63
	s_waitcnt lgkmcnt(0)
	v_mul_f32_e32 v11, v7, v4
	v_mul_f32_e32 v10, v8, v4
	v_fmac_f32_e32 v11, v8, v3
	v_fma_f32 v4, v7, v3, -v10
	v_mul_f32_e32 v3, v11, v6
	v_fma_f32 v3, v4, v5, -v3
	v_mul_f32_e32 v4, v4, v6
	v_fmac_f32_e32 v4, v11, v5
	ds_write_b64 v9, v[3:4] offset:32752
.LBB52_138:
	s_or_b64 exec, exec, s[6:7]
	v_lshlrev_b32_e32 v3, 6, v2
	v_add_u32_e32 v8, v3, v0
	v_and_b32_e32 v4, v3, v0
	v_xor_b32_e32 v3, v3, v0
	v_lshrrev_b16_e32 v3, 1, v3
	v_add_u16_e32 v7, v4, v3
	v_and_b32_e32 v5, 1, v0
	v_sub_u32_e32 v6, 1, v7
	v_cmp_lt_u32_e64 s[10:11], 3, v8
	v_cmp_gt_u32_e64 s[6:7], 4, v8
	v_mov_b32_e32 v3, 0
	v_mov_b32_e32 v4, 0
	s_waitcnt lgkmcnt(0)
	s_barrier
	buffer_wbinvl1_vol
	s_and_saveexec_b64 s[14:15], s[6:7]
	s_cbranch_execz .LBB52_142
; %bb.139:
	v_lshlrev_b32_e32 v3, 3, v5
	v_lshlrev_b32_e32 v9, 9, v6
	ds_read_b64 v[3:4], v3 offset:32224
	ds_read_b64 v[9:10], v9 offset:32240
	v_cmp_gt_u32_e64 s[12:13], 2, v8
	s_waitcnt lgkmcnt(0)
	v_mul_f32_e32 v11, v10, v4
	v_mul_f32_e32 v4, v9, v4
	v_fma_f32 v9, v9, v3, -v11
	v_fmac_f32_e32 v4, v10, v3
	v_add_f32_e32 v3, 0, v9
	v_add_f32_e32 v4, 0, v4
	s_and_saveexec_b64 s[16:17], s[12:13]
	s_cbranch_execz .LBB52_141
; %bb.140:
	v_lshlrev_b32_e32 v9, 3, v0
	v_mov_b32_e32 v11, 0
	ds_read_b64 v[9:10], v9 offset:32736
	ds_read_b64 v[11:12], v11 offset:32760
	s_waitcnt lgkmcnt(0)
	v_mul_f32_e32 v13, v12, v10
	v_mul_f32_e32 v10, v11, v10
	v_fma_f32 v11, v11, v9, -v13
	v_fmac_f32_e32 v10, v12, v9
	v_add_f32_e32 v3, v3, v11
	v_add_f32_e32 v4, v4, v10
.LBB52_141:
	s_or_b64 exec, exec, s[16:17]
.LBB52_142:
	s_or_b64 exec, exec, s[14:15]
	v_mov_b32_e32 v9, 0x8000
	v_cmp_ne_u32_e64 s[12:13], 0, v5
	s_xor_b64 s[14:15], s[10:11], -1
	v_lshl_add_u32 v7, v7, 3, v9
	s_and_b64 s[36:37], s[12:13], s[14:15]
	s_and_saveexec_b64 s[10:11], s[36:37]
	s_cbranch_execz .LBB52_144
; %bb.143:
	v_mov_b32_e32 v9, 0
	ds_read_b64 v[9:10], v9 offset:31720
	s_waitcnt lgkmcnt(0)
	v_mul_f32_e32 v11, v4, v10
	v_mul_f32_e32 v12, v3, v10
	v_fma_f32 v3, v3, v9, -v11
	v_fmac_f32_e32 v12, v4, v9
	v_xor_b32_e32 v9, 0x80000000, v3
	v_xor_b32_e32 v10, 0x80000000, v12
	v_mov_b32_e32 v4, v12
	ds_write_b64 v7, v[9:10]
.LBB52_144:
	s_or_b64 exec, exec, s[10:11]
	v_cmp_eq_u32_e64 s[10:11], 0, v5
	s_and_b64 s[34:35], s[10:11], s[14:15]
	s_waitcnt lgkmcnt(0)
	s_barrier
	s_and_saveexec_b64 s[10:11], s[34:35]
	s_cbranch_execz .LBB52_146
; %bb.145:
	v_mov_b32_e32 v9, 0
	ds_read_b64 v[9:10], v9 offset:31712
	ds_read_b64 v[11:12], v7
	s_waitcnt lgkmcnt(0)
	v_mul_f32_e32 v13, v12, v10
	v_mul_f32_e32 v10, v11, v10
	v_fma_f32 v11, v11, v9, -v13
	v_fmac_f32_e32 v10, v12, v9
	v_sub_f32_e32 v3, v3, v11
	v_sub_f32_e32 v4, v4, v10
.LBB52_146:
	s_or_b64 exec, exec, s[10:11]
	s_barrier
	s_and_saveexec_b64 s[10:11], s[34:35]
	s_cbranch_execz .LBB52_148
; %bb.147:
	v_mov_b32_e32 v9, 0
	ds_read_b64 v[9:10], v9 offset:31200
	s_waitcnt lgkmcnt(0)
	v_mul_f32_e32 v11, v4, v10
	v_mul_f32_e32 v12, v3, v10
	v_fma_f32 v3, v3, v9, -v11
	v_fmac_f32_e32 v12, v4, v9
	v_xor_b32_e32 v9, 0x80000000, v3
	v_xor_b32_e32 v10, 0x80000000, v12
	v_mov_b32_e32 v4, v12
	ds_write_b64 v7, v[9:10]
.LBB52_148:
	s_or_b64 exec, exec, s[10:11]
	s_waitcnt lgkmcnt(0)
	s_barrier
	s_barrier
	s_and_saveexec_b64 s[10:11], s[6:7]
; %bb.149:
	v_lshlrev_b32_e32 v9, 3, v5
	v_lshl_or_b32 v9, v6, 9, v9
	ds_write_b64 v9, v[3:4] offset:32224
; %bb.150:
	s_or_b64 exec, exec, s[10:11]
	s_waitcnt lgkmcnt(0)
	s_barrier
	s_barrier
	s_and_saveexec_b64 s[10:11], vcc
	s_cbranch_execz .LBB52_152
; %bb.151:
	s_movk_i32 s12, 0x1e0
	v_mov_b32_e32 v13, 0
	v_add_u32_e64 v9, s12, 0
	ds_read_b64 v[3:4], v13 offset:31720
	ds_read2st64_b64 v[9:12], v9 offset0:60 offset1:61
	s_waitcnt lgkmcnt(0)
	v_mul_f32_e32 v14, v4, v10
	v_mul_f32_e32 v10, v3, v10
	v_fma_f32 v14, v3, v9, -v14
	v_fmac_f32_e32 v10, v4, v9
	v_mul_f32_e32 v3, v10, v12
	v_mul_f32_e32 v4, v14, v12
	v_fma_f32 v3, v14, v11, -v3
	v_fmac_f32_e32 v4, v10, v11
	ds_write_b64 v13, v[3:4] offset:31712
.LBB52_152:
	s_or_b64 exec, exec, s[10:11]
	v_lshrrev_b32_e32 v11, 2, v8
	v_and_b32_e32 v9, 3, v0
	v_sub_u32_e32 v10, 3, v11
	v_cmp_lt_u32_e64 s[10:11], 15, v8
	v_cmp_gt_u32_e64 s[18:19], 16, v8
	v_mov_b32_e32 v4, 0
	v_mov_b32_e32 v3, 0
	s_waitcnt lgkmcnt(0)
	s_barrier
	buffer_wbinvl1_vol
	s_and_saveexec_b64 s[14:15], s[18:19]
	s_cbranch_execz .LBB52_158
; %bb.153:
	v_lshlrev_b32_e32 v12, 3, v9
	v_lshlrev_b32_e32 v13, 9, v10
	ds_read_b64 v[3:4], v12 offset:31168
	ds_read_b64 v[14:15], v13 offset:31200
	v_cmp_gt_u32_e64 s[12:13], 12, v8
	s_waitcnt lgkmcnt(0)
	v_mul_f32_e32 v16, v15, v4
	v_mul_f32_e32 v4, v14, v4
	v_fma_f32 v14, v14, v3, -v16
	v_fmac_f32_e32 v4, v15, v3
	v_add_f32_e32 v3, 0, v14
	v_add_f32_e32 v4, 0, v4
	s_and_saveexec_b64 s[16:17], s[12:13]
	s_cbranch_execnz .LBB52_1054
; %bb.154:
	s_or_b64 exec, exec, s[16:17]
	v_cmp_gt_u32_e64 s[12:13], 8, v8
	s_and_saveexec_b64 s[16:17], s[12:13]
	s_cbranch_execnz .LBB52_1055
.LBB52_155:
	s_or_b64 exec, exec, s[16:17]
	v_cmp_gt_u32_e64 s[12:13], 4, v8
	s_and_saveexec_b64 s[16:17], s[12:13]
	s_cbranch_execz .LBB52_157
.LBB52_156:
	v_lshlrev_b32_e32 v12, 3, v0
	v_mov_b32_e32 v14, 0
	ds_read_b64 v[12:13], v12 offset:32704
	ds_read_b64 v[14:15], v14 offset:32760
	s_waitcnt lgkmcnt(0)
	v_mul_f32_e32 v16, v15, v13
	v_mul_f32_e32 v13, v14, v13
	v_fma_f32 v14, v14, v12, -v16
	v_fmac_f32_e32 v13, v15, v12
	v_add_f32_e32 v3, v3, v14
	v_add_f32_e32 v4, v4, v13
.LBB52_157:
	s_or_b64 exec, exec, s[16:17]
.LBB52_158:
	s_or_b64 exec, exec, s[14:15]
	v_mov_b32_e32 v12, 0x8000
	v_cmp_eq_u32_e64 s[12:13], 3, v9
	s_xor_b64 s[14:15], s[10:11], -1
	v_lshl_add_u32 v11, v11, 3, v12
	s_and_b64 s[42:43], s[12:13], s[14:15]
	s_and_saveexec_b64 s[10:11], s[42:43]
	s_cbranch_execz .LBB52_160
; %bb.159:
	v_mov_b32_e32 v12, 0
	ds_read_b64 v[12:13], v12 offset:30680
	s_waitcnt lgkmcnt(0)
	v_mul_f32_e32 v14, v4, v13
	v_mul_f32_e32 v15, v3, v13
	v_fma_f32 v3, v3, v12, -v14
	v_fmac_f32_e32 v15, v4, v12
	v_xor_b32_e32 v12, 0x80000000, v3
	v_xor_b32_e32 v13, 0x80000000, v15
	v_mov_b32_e32 v4, v15
	ds_write_b64 v11, v[12:13]
.LBB52_160:
	s_or_b64 exec, exec, s[10:11]
	v_cmp_ne_u32_e64 s[10:11], 3, v9
	s_and_b64 s[44:45], s[10:11], s[14:15]
	s_waitcnt lgkmcnt(0)
	s_barrier
	s_and_saveexec_b64 s[10:11], s[44:45]
	s_cbranch_execz .LBB52_162
; %bb.161:
	v_lshlrev_b32_e32 v12, 3, v9
	ds_read_b64 v[12:13], v12 offset:30656
	ds_read_b64 v[14:15], v11
	s_waitcnt lgkmcnt(0)
	v_mul_f32_e32 v16, v15, v13
	v_mul_f32_e32 v13, v14, v13
	v_fma_f32 v14, v14, v12, -v16
	v_fmac_f32_e32 v13, v15, v12
	v_sub_f32_e32 v3, v3, v14
	v_sub_f32_e32 v4, v4, v13
.LBB52_162:
	s_or_b64 exec, exec, s[10:11]
	v_cmp_eq_u32_e64 s[10:11], 2, v9
	s_and_b64 s[52:53], s[10:11], s[14:15]
	s_barrier
	s_and_saveexec_b64 s[10:11], s[52:53]
	s_cbranch_execz .LBB52_164
; %bb.163:
	v_mov_b32_e32 v12, 0
	ds_read_b64 v[12:13], v12 offset:30160
	s_waitcnt lgkmcnt(0)
	v_mul_f32_e32 v14, v4, v13
	v_mul_f32_e32 v15, v3, v13
	v_fma_f32 v3, v3, v12, -v14
	v_fmac_f32_e32 v15, v4, v12
	v_xor_b32_e32 v12, 0x80000000, v3
	v_xor_b32_e32 v13, 0x80000000, v15
	v_mov_b32_e32 v4, v15
	ds_write_b64 v11, v[12:13]
.LBB52_164:
	s_or_b64 exec, exec, s[10:11]
	v_cmp_gt_u32_e64 s[10:11], 2, v9
	s_and_b64 s[54:55], s[10:11], s[14:15]
	s_waitcnt lgkmcnt(0)
	s_barrier
	s_and_saveexec_b64 s[10:11], s[54:55]
	s_cbranch_execz .LBB52_166
; %bb.165:
	v_lshlrev_b32_e32 v12, 3, v9
	ds_read_b64 v[12:13], v12 offset:30144
	ds_read_b64 v[14:15], v11
	s_waitcnt lgkmcnt(0)
	v_mul_f32_e32 v16, v15, v13
	v_mul_f32_e32 v13, v14, v13
	v_fma_f32 v14, v14, v12, -v16
	v_fmac_f32_e32 v13, v15, v12
	v_sub_f32_e32 v3, v3, v14
	v_sub_f32_e32 v4, v4, v13
.LBB52_166:
	s_or_b64 exec, exec, s[10:11]
	v_cmp_eq_u32_e64 s[10:11], 1, v9
	s_and_b64 s[56:57], s[10:11], s[14:15]
	s_barrier
	s_and_saveexec_b64 s[10:11], s[56:57]
	s_cbranch_execz .LBB52_168
; %bb.167:
	v_mov_b32_e32 v12, 0
	ds_read_b64 v[12:13], v12 offset:29640
	s_waitcnt lgkmcnt(0)
	v_mul_f32_e32 v14, v4, v13
	v_mul_f32_e32 v15, v3, v13
	v_fma_f32 v3, v3, v12, -v14
	v_fmac_f32_e32 v15, v4, v12
	v_xor_b32_e32 v12, 0x80000000, v3
	v_xor_b32_e32 v13, 0x80000000, v15
	v_mov_b32_e32 v4, v15
	ds_write_b64 v11, v[12:13]
.LBB52_168:
	s_or_b64 exec, exec, s[10:11]
	v_cmp_eq_u32_e64 s[10:11], 0, v9
	s_and_b64 s[38:39], s[10:11], s[14:15]
	s_waitcnt lgkmcnt(0)
	s_barrier
	s_and_saveexec_b64 s[10:11], s[38:39]
	s_cbranch_execz .LBB52_170
; %bb.169:
	v_mov_b32_e32 v12, 0
	ds_read_b64 v[12:13], v12 offset:29632
	ds_read_b64 v[14:15], v11
	s_waitcnt lgkmcnt(0)
	v_mul_f32_e32 v16, v15, v13
	v_mul_f32_e32 v13, v14, v13
	v_fma_f32 v14, v14, v12, -v16
	v_fmac_f32_e32 v13, v15, v12
	v_sub_f32_e32 v3, v3, v14
	v_sub_f32_e32 v4, v4, v13
.LBB52_170:
	s_or_b64 exec, exec, s[10:11]
	s_barrier
	s_and_saveexec_b64 s[10:11], s[38:39]
	s_cbranch_execz .LBB52_172
; %bb.171:
	v_mov_b32_e32 v12, 0
	ds_read_b64 v[12:13], v12 offset:29120
	s_waitcnt lgkmcnt(0)
	v_mul_f32_e32 v14, v4, v13
	v_mul_f32_e32 v15, v3, v13
	v_fma_f32 v3, v3, v12, -v14
	v_fmac_f32_e32 v15, v4, v12
	v_xor_b32_e32 v12, 0x80000000, v3
	v_xor_b32_e32 v13, 0x80000000, v15
	v_mov_b32_e32 v4, v15
	ds_write_b64 v11, v[12:13]
.LBB52_172:
	s_or_b64 exec, exec, s[10:11]
	s_waitcnt lgkmcnt(0)
	s_barrier
	s_barrier
	s_and_saveexec_b64 s[10:11], s[18:19]
; %bb.173:
	v_lshlrev_b32_e32 v12, 3, v9
	v_lshl_or_b32 v12, v10, 9, v12
	ds_write_b64 v12, v[3:4] offset:31168
; %bb.174:
	s_or_b64 exec, exec, s[10:11]
	s_waitcnt lgkmcnt(0)
	s_barrier
	s_barrier
	s_and_saveexec_b64 s[10:11], vcc
	s_cbranch_execz .LBB52_176
; %bb.175:
	s_movk_i32 s12, 0x1d0
	v_mov_b32_e32 v16, 0
	v_add_u32_e64 v12, s12, 0
	ds_read_b64 v[3:4], v16 offset:30680
	ds_read2st64_b64 v[12:15], v12 offset0:58 offset1:59
	s_waitcnt lgkmcnt(0)
	v_mul_f32_e32 v17, v4, v13
	v_mul_f32_e32 v13, v3, v13
	v_fma_f32 v17, v3, v12, -v17
	v_fmac_f32_e32 v13, v4, v12
	v_mul_f32_e32 v3, v13, v15
	v_mul_f32_e32 v4, v17, v15
	v_fma_f32 v3, v17, v14, -v3
	v_fmac_f32_e32 v4, v13, v14
	ds_write_b64 v16, v[3:4] offset:30672
.LBB52_176:
	s_or_b64 exec, exec, s[10:11]
	v_mov_b32_e32 v3, 0
	v_mov_b32_e32 v4, 0
	s_waitcnt lgkmcnt(0)
	s_barrier
	buffer_wbinvl1_vol
	s_and_saveexec_b64 s[12:13], s[6:7]
	s_cbranch_execz .LBB52_180
; %bb.177:
	v_lshlrev_b32_e32 v3, 3, v5
	v_lshlrev_b32_e32 v12, 9, v6
	ds_read_b64 v[3:4], v3 offset:30144
	ds_read_b64 v[12:13], v12 offset:30160
	v_cmp_gt_u32_e64 s[10:11], 2, v8
	s_waitcnt lgkmcnt(0)
	v_mul_f32_e32 v14, v13, v4
	v_mul_f32_e32 v4, v12, v4
	v_fma_f32 v12, v12, v3, -v14
	v_fmac_f32_e32 v4, v13, v3
	v_add_f32_e32 v3, 0, v12
	v_add_f32_e32 v4, 0, v4
	s_and_saveexec_b64 s[14:15], s[10:11]
	s_cbranch_execz .LBB52_179
; %bb.178:
	v_lshlrev_b32_e32 v12, 3, v0
	v_mov_b32_e32 v14, 0
	ds_read_b64 v[12:13], v12 offset:30656
	ds_read_b64 v[14:15], v14 offset:30680
	s_waitcnt lgkmcnt(0)
	v_mul_f32_e32 v16, v15, v13
	v_mul_f32_e32 v13, v14, v13
	v_fma_f32 v14, v14, v12, -v16
	v_fmac_f32_e32 v13, v15, v12
	v_add_f32_e32 v3, v3, v14
	v_add_f32_e32 v4, v4, v13
.LBB52_179:
	s_or_b64 exec, exec, s[14:15]
.LBB52_180:
	s_or_b64 exec, exec, s[12:13]
	s_and_saveexec_b64 s[10:11], s[36:37]
	s_cbranch_execz .LBB52_182
; %bb.181:
	v_mov_b32_e32 v12, 0
	ds_read_b64 v[12:13], v12 offset:29640
	s_waitcnt lgkmcnt(0)
	v_mul_f32_e32 v14, v4, v13
	v_mul_f32_e32 v15, v3, v13
	v_fma_f32 v3, v3, v12, -v14
	v_fmac_f32_e32 v15, v4, v12
	v_xor_b32_e32 v12, 0x80000000, v3
	v_xor_b32_e32 v13, 0x80000000, v15
	v_mov_b32_e32 v4, v15
	ds_write_b64 v7, v[12:13]
.LBB52_182:
	s_or_b64 exec, exec, s[10:11]
	s_waitcnt lgkmcnt(0)
	s_barrier
	s_and_saveexec_b64 s[10:11], s[34:35]
	s_cbranch_execz .LBB52_184
; %bb.183:
	v_mov_b32_e32 v12, 0
	ds_read_b64 v[12:13], v12 offset:29632
	ds_read_b64 v[14:15], v7
	s_waitcnt lgkmcnt(0)
	v_mul_f32_e32 v16, v15, v13
	v_mul_f32_e32 v13, v14, v13
	v_fma_f32 v14, v14, v12, -v16
	v_fmac_f32_e32 v13, v15, v12
	v_sub_f32_e32 v3, v3, v14
	v_sub_f32_e32 v4, v4, v13
.LBB52_184:
	s_or_b64 exec, exec, s[10:11]
	s_barrier
	s_and_saveexec_b64 s[10:11], s[34:35]
	s_cbranch_execz .LBB52_186
; %bb.185:
	v_mov_b32_e32 v12, 0
	ds_read_b64 v[12:13], v12 offset:29120
	s_waitcnt lgkmcnt(0)
	v_mul_f32_e32 v14, v4, v13
	v_mul_f32_e32 v15, v3, v13
	v_fma_f32 v3, v3, v12, -v14
	v_fmac_f32_e32 v15, v4, v12
	v_xor_b32_e32 v12, 0x80000000, v3
	v_xor_b32_e32 v13, 0x80000000, v15
	v_mov_b32_e32 v4, v15
	ds_write_b64 v7, v[12:13]
.LBB52_186:
	s_or_b64 exec, exec, s[10:11]
	s_waitcnt lgkmcnt(0)
	s_barrier
	s_barrier
	s_and_saveexec_b64 s[10:11], s[6:7]
; %bb.187:
	v_lshlrev_b32_e32 v12, 3, v5
	v_lshl_or_b32 v12, v6, 9, v12
	ds_write_b64 v12, v[3:4] offset:30144
; %bb.188:
	s_or_b64 exec, exec, s[10:11]
	s_waitcnt lgkmcnt(0)
	s_barrier
	s_barrier
	s_and_saveexec_b64 s[10:11], vcc
	s_cbranch_execz .LBB52_190
; %bb.189:
	s_movk_i32 s12, 0x1c0
	v_mov_b32_e32 v16, 0
	v_add_u32_e64 v12, s12, 0
	ds_read_b64 v[3:4], v16 offset:29640
	ds_read2st64_b64 v[12:15], v12 offset0:56 offset1:57
	s_waitcnt lgkmcnt(0)
	v_mul_f32_e32 v17, v4, v13
	v_mul_f32_e32 v13, v3, v13
	v_fma_f32 v17, v3, v12, -v17
	v_fmac_f32_e32 v13, v4, v12
	v_mul_f32_e32 v3, v13, v15
	v_mul_f32_e32 v4, v17, v15
	v_fma_f32 v3, v17, v14, -v3
	v_fmac_f32_e32 v4, v13, v14
	ds_write_b64 v16, v[3:4] offset:29632
.LBB52_190:
	s_or_b64 exec, exec, s[10:11]
	v_lshrrev_b32_e32 v14, 3, v8
	v_and_b32_e32 v12, 7, v0
	v_sub_u32_e32 v13, 7, v14
	v_cmp_lt_u32_e64 s[12:13], 63, v8
	v_cmp_gt_u32_e64 s[10:11], 64, v8
	v_mov_b32_e32 v4, 0
	v_mov_b32_e32 v3, 0
	s_waitcnt lgkmcnt(0)
	s_barrier
	buffer_wbinvl1_vol
	s_and_saveexec_b64 s[16:17], s[10:11]
	s_cbranch_execz .LBB52_200
; %bb.191:
	v_lshlrev_b32_e32 v15, 3, v12
	v_lshlrev_b32_e32 v16, 9, v13
	ds_read_b64 v[3:4], v15 offset:29056
	ds_read_b64 v[17:18], v16 offset:29120
	v_cmp_gt_u32_e64 s[14:15], 56, v8
	s_waitcnt lgkmcnt(0)
	v_mul_f32_e32 v19, v18, v4
	v_mul_f32_e32 v4, v17, v4
	v_fma_f32 v17, v17, v3, -v19
	v_fmac_f32_e32 v4, v18, v3
	v_add_f32_e32 v3, 0, v17
	v_add_f32_e32 v4, 0, v4
	s_and_saveexec_b64 s[20:21], s[14:15]
	s_cbranch_execnz .LBB52_1056
; %bb.192:
	s_or_b64 exec, exec, s[20:21]
	v_cmp_gt_u32_e64 s[14:15], 48, v8
	s_and_saveexec_b64 s[20:21], s[14:15]
	s_cbranch_execnz .LBB52_1057
.LBB52_193:
	s_or_b64 exec, exec, s[20:21]
	v_cmp_gt_u32_e64 s[14:15], 40, v8
	s_and_saveexec_b64 s[20:21], s[14:15]
	s_cbranch_execnz .LBB52_1058
.LBB52_194:
	s_or_b64 exec, exec, s[20:21]
	v_cmp_gt_u32_e64 s[14:15], 32, v8
	s_and_saveexec_b64 s[20:21], s[14:15]
	s_cbranch_execnz .LBB52_1059
.LBB52_195:
	s_or_b64 exec, exec, s[20:21]
	v_cmp_gt_u32_e64 s[14:15], 24, v8
	s_and_saveexec_b64 s[20:21], s[14:15]
	s_cbranch_execnz .LBB52_1060
.LBB52_196:
	s_or_b64 exec, exec, s[20:21]
	s_and_saveexec_b64 s[14:15], s[18:19]
	s_cbranch_execnz .LBB52_1061
.LBB52_197:
	s_or_b64 exec, exec, s[14:15]
	v_cmp_gt_u32_e64 s[14:15], 8, v8
	s_and_saveexec_b64 s[20:21], s[14:15]
	s_cbranch_execz .LBB52_199
.LBB52_198:
	v_lshlrev_b32_e32 v15, 3, v0
	v_mov_b32_e32 v17, 0
	ds_read_b64 v[15:16], v15 offset:32640
	ds_read_b64 v[17:18], v17 offset:32760
	s_waitcnt lgkmcnt(0)
	v_mul_f32_e32 v19, v18, v16
	v_mul_f32_e32 v16, v17, v16
	v_fma_f32 v17, v17, v15, -v19
	v_fmac_f32_e32 v16, v18, v15
	v_add_f32_e32 v3, v3, v17
	v_add_f32_e32 v4, v4, v16
.LBB52_199:
	s_or_b64 exec, exec, s[20:21]
.LBB52_200:
	v_writelane_b32 v30, s60, 2
	s_or_b64 exec, exec, s[16:17]
	v_mov_b32_e32 v15, 0x8000
	v_cmp_eq_u32_e64 s[14:15], 7, v12
	s_xor_b64 s[16:17], s[12:13], -1
	v_lshl_add_u32 v14, v14, 3, v15
	s_and_b64 s[60:61], s[14:15], s[16:17]
	s_and_saveexec_b64 s[12:13], s[60:61]
	s_cbranch_execz .LBB52_202
; %bb.201:
	v_mov_b32_e32 v15, 0
	ds_read_b64 v[15:16], v15 offset:28600
	s_waitcnt lgkmcnt(0)
	v_mul_f32_e32 v17, v4, v16
	v_mul_f32_e32 v18, v3, v16
	v_fma_f32 v3, v3, v15, -v17
	v_fmac_f32_e32 v18, v4, v15
	v_xor_b32_e32 v15, 0x80000000, v3
	v_xor_b32_e32 v16, 0x80000000, v18
	v_mov_b32_e32 v4, v18
	ds_write_b64 v14, v[15:16]
.LBB52_202:
	s_or_b64 exec, exec, s[12:13]
	v_cmp_ne_u32_e64 s[12:13], 7, v12
	s_and_b64 s[62:63], s[12:13], s[16:17]
	s_waitcnt lgkmcnt(0)
	s_barrier
	s_and_saveexec_b64 s[12:13], s[62:63]
	s_cbranch_execz .LBB52_204
; %bb.203:
	v_lshlrev_b32_e32 v15, 3, v12
	ds_read_b64 v[15:16], v15 offset:28544
	ds_read_b64 v[17:18], v14
	s_waitcnt lgkmcnt(0)
	v_mul_f32_e32 v19, v18, v16
	v_mul_f32_e32 v16, v17, v16
	v_fma_f32 v17, v17, v15, -v19
	v_fmac_f32_e32 v16, v18, v15
	v_sub_f32_e32 v3, v3, v17
	v_sub_f32_e32 v4, v4, v16
.LBB52_204:
	s_or_b64 exec, exec, s[12:13]
	v_cmp_eq_u32_e64 s[12:13], 6, v12
	s_and_b64 s[64:65], s[12:13], s[16:17]
	s_barrier
	s_and_saveexec_b64 s[12:13], s[64:65]
	s_cbranch_execz .LBB52_206
; %bb.205:
	v_mov_b32_e32 v15, 0
	ds_read_b64 v[15:16], v15 offset:28080
	s_waitcnt lgkmcnt(0)
	v_mul_f32_e32 v17, v4, v16
	v_mul_f32_e32 v18, v3, v16
	v_fma_f32 v3, v3, v15, -v17
	v_fmac_f32_e32 v18, v4, v15
	v_xor_b32_e32 v15, 0x80000000, v3
	v_xor_b32_e32 v16, 0x80000000, v18
	v_mov_b32_e32 v4, v18
	ds_write_b64 v14, v[15:16]
.LBB52_206:
	s_or_b64 exec, exec, s[12:13]
	v_cmp_gt_u32_e64 s[12:13], 6, v12
	s_and_b64 s[66:67], s[12:13], s[16:17]
	s_waitcnt lgkmcnt(0)
	s_barrier
	s_and_saveexec_b64 s[12:13], s[66:67]
	s_cbranch_execz .LBB52_208
; %bb.207:
	v_lshlrev_b32_e32 v15, 3, v12
	ds_read_b64 v[15:16], v15 offset:28032
	ds_read_b64 v[17:18], v14
	s_waitcnt lgkmcnt(0)
	v_mul_f32_e32 v19, v18, v16
	v_mul_f32_e32 v16, v17, v16
	v_fma_f32 v17, v17, v15, -v19
	v_fmac_f32_e32 v16, v18, v15
	v_sub_f32_e32 v3, v3, v17
	v_sub_f32_e32 v4, v4, v16
.LBB52_208:
	s_or_b64 exec, exec, s[12:13]
	v_cmp_eq_u32_e64 s[12:13], 5, v12
	s_and_b64 s[68:69], s[12:13], s[16:17]
	s_barrier
	s_and_saveexec_b64 s[12:13], s[68:69]
	s_cbranch_execz .LBB52_210
; %bb.209:
	v_mov_b32_e32 v15, 0
	ds_read_b64 v[15:16], v15 offset:27560
	s_waitcnt lgkmcnt(0)
	v_mul_f32_e32 v17, v4, v16
	v_mul_f32_e32 v18, v3, v16
	v_fma_f32 v3, v3, v15, -v17
	v_fmac_f32_e32 v18, v4, v15
	v_xor_b32_e32 v15, 0x80000000, v3
	v_xor_b32_e32 v16, 0x80000000, v18
	v_mov_b32_e32 v4, v18
	ds_write_b64 v14, v[15:16]
.LBB52_210:
	s_or_b64 exec, exec, s[12:13]
	v_cmp_gt_u32_e64 s[12:13], 5, v12
	;; [unrolled: 38-line block ×5, first 2 shown]
	s_and_b64 s[82:83], s[12:13], s[16:17]
	s_waitcnt lgkmcnt(0)
	s_barrier
	s_and_saveexec_b64 s[12:13], s[82:83]
	s_cbranch_execz .LBB52_224
; %bb.223:
	v_lshlrev_b32_e32 v15, 3, v12
	ds_read_b64 v[15:16], v15 offset:25984
	ds_read_b64 v[17:18], v14
	s_waitcnt lgkmcnt(0)
	v_mul_f32_e32 v19, v18, v16
	v_mul_f32_e32 v16, v17, v16
	v_fma_f32 v17, v17, v15, -v19
	v_fmac_f32_e32 v16, v18, v15
	v_sub_f32_e32 v3, v3, v17
	v_sub_f32_e32 v4, v4, v16
.LBB52_224:
	s_or_b64 exec, exec, s[12:13]
	v_cmp_eq_u32_e64 s[12:13], 1, v12
	s_and_b64 s[84:85], s[12:13], s[16:17]
	s_barrier
	s_and_saveexec_b64 s[12:13], s[84:85]
	s_cbranch_execz .LBB52_226
; %bb.225:
	v_mov_b32_e32 v15, 0
	ds_read_b64 v[15:16], v15 offset:25480
	s_waitcnt lgkmcnt(0)
	v_mul_f32_e32 v17, v4, v16
	v_mul_f32_e32 v18, v3, v16
	v_fma_f32 v3, v3, v15, -v17
	v_fmac_f32_e32 v18, v4, v15
	v_xor_b32_e32 v15, 0x80000000, v3
	v_xor_b32_e32 v16, 0x80000000, v18
	v_mov_b32_e32 v4, v18
	ds_write_b64 v14, v[15:16]
.LBB52_226:
	s_or_b64 exec, exec, s[12:13]
	v_cmp_eq_u32_e64 s[12:13], 0, v12
	s_and_b64 s[58:59], s[12:13], s[16:17]
	s_waitcnt lgkmcnt(0)
	s_barrier
	s_and_saveexec_b64 s[12:13], s[58:59]
	s_cbranch_execz .LBB52_228
; %bb.227:
	v_mov_b32_e32 v15, 0
	ds_read_b64 v[15:16], v15 offset:25472
	ds_read_b64 v[17:18], v14
	s_waitcnt lgkmcnt(0)
	v_mul_f32_e32 v19, v18, v16
	v_mul_f32_e32 v16, v17, v16
	v_fma_f32 v17, v17, v15, -v19
	v_fmac_f32_e32 v16, v18, v15
	v_sub_f32_e32 v3, v3, v17
	v_sub_f32_e32 v4, v4, v16
.LBB52_228:
	s_or_b64 exec, exec, s[12:13]
	s_barrier
	s_and_saveexec_b64 s[12:13], s[58:59]
	s_cbranch_execz .LBB52_230
; %bb.229:
	v_mov_b32_e32 v15, 0
	ds_read_b64 v[15:16], v15 offset:24960
	s_waitcnt lgkmcnt(0)
	v_mul_f32_e32 v17, v4, v16
	v_mul_f32_e32 v18, v3, v16
	v_fma_f32 v3, v3, v15, -v17
	v_fmac_f32_e32 v18, v4, v15
	v_xor_b32_e32 v15, 0x80000000, v3
	v_xor_b32_e32 v16, 0x80000000, v18
	v_mov_b32_e32 v4, v18
	ds_write_b64 v14, v[15:16]
.LBB52_230:
	s_or_b64 exec, exec, s[12:13]
	s_waitcnt lgkmcnt(0)
	s_barrier
	s_barrier
	s_and_saveexec_b64 s[12:13], s[10:11]
; %bb.231:
	v_lshlrev_b32_e32 v15, 3, v12
	v_lshl_or_b32 v15, v13, 9, v15
	ds_write_b64 v15, v[3:4] offset:29056
; %bb.232:
	s_or_b64 exec, exec, s[12:13]
	s_waitcnt lgkmcnt(0)
	s_barrier
	s_barrier
	s_and_saveexec_b64 s[12:13], vcc
	s_cbranch_execz .LBB52_234
; %bb.233:
	s_movk_i32 s14, 0x1b0
	v_mov_b32_e32 v19, 0
	v_add_u32_e64 v15, s14, 0
	ds_read_b64 v[3:4], v19 offset:28600
	ds_read2st64_b64 v[15:18], v15 offset0:54 offset1:55
	s_waitcnt lgkmcnt(0)
	v_mul_f32_e32 v20, v4, v16
	v_mul_f32_e32 v16, v3, v16
	v_fma_f32 v20, v3, v15, -v20
	v_fmac_f32_e32 v16, v4, v15
	v_mul_f32_e32 v3, v16, v18
	v_mul_f32_e32 v4, v20, v18
	v_fma_f32 v3, v20, v17, -v3
	v_fmac_f32_e32 v4, v16, v17
	ds_write_b64 v19, v[3:4] offset:28592
.LBB52_234:
	s_or_b64 exec, exec, s[12:13]
	v_mov_b32_e32 v3, 0
	v_mov_b32_e32 v4, 0
	s_waitcnt lgkmcnt(0)
	s_barrier
	buffer_wbinvl1_vol
	s_and_saveexec_b64 s[14:15], s[6:7]
	s_cbranch_execz .LBB52_238
; %bb.235:
	v_lshlrev_b32_e32 v3, 3, v5
	v_lshlrev_b32_e32 v15, 9, v6
	ds_read_b64 v[3:4], v3 offset:28064
	ds_read_b64 v[15:16], v15 offset:28080
	v_cmp_gt_u32_e64 s[12:13], 2, v8
	s_waitcnt lgkmcnt(0)
	v_mul_f32_e32 v17, v16, v4
	v_mul_f32_e32 v4, v15, v4
	v_fma_f32 v15, v15, v3, -v17
	v_fmac_f32_e32 v4, v16, v3
	v_add_f32_e32 v3, 0, v15
	v_add_f32_e32 v4, 0, v4
	s_and_saveexec_b64 s[16:17], s[12:13]
	s_cbranch_execz .LBB52_237
; %bb.236:
	v_lshlrev_b32_e32 v15, 3, v0
	v_mov_b32_e32 v17, 0
	ds_read_b64 v[15:16], v15 offset:28576
	ds_read_b64 v[17:18], v17 offset:28600
	s_waitcnt lgkmcnt(0)
	v_mul_f32_e32 v19, v18, v16
	v_mul_f32_e32 v16, v17, v16
	v_fma_f32 v17, v17, v15, -v19
	v_fmac_f32_e32 v16, v18, v15
	v_add_f32_e32 v3, v3, v17
	v_add_f32_e32 v4, v4, v16
.LBB52_237:
	s_or_b64 exec, exec, s[16:17]
.LBB52_238:
	s_or_b64 exec, exec, s[14:15]
	s_and_saveexec_b64 s[12:13], s[36:37]
	s_cbranch_execz .LBB52_240
; %bb.239:
	v_mov_b32_e32 v15, 0
	ds_read_b64 v[15:16], v15 offset:27560
	s_waitcnt lgkmcnt(0)
	v_mul_f32_e32 v17, v4, v16
	v_mul_f32_e32 v18, v3, v16
	v_fma_f32 v3, v3, v15, -v17
	v_fmac_f32_e32 v18, v4, v15
	v_xor_b32_e32 v15, 0x80000000, v3
	v_xor_b32_e32 v16, 0x80000000, v18
	v_mov_b32_e32 v4, v18
	ds_write_b64 v7, v[15:16]
.LBB52_240:
	s_or_b64 exec, exec, s[12:13]
	s_waitcnt lgkmcnt(0)
	s_barrier
	s_and_saveexec_b64 s[12:13], s[34:35]
	s_cbranch_execz .LBB52_242
; %bb.241:
	v_mov_b32_e32 v15, 0
	ds_read_b64 v[15:16], v15 offset:27552
	ds_read_b64 v[17:18], v7
	s_waitcnt lgkmcnt(0)
	v_mul_f32_e32 v19, v18, v16
	v_mul_f32_e32 v16, v17, v16
	v_fma_f32 v17, v17, v15, -v19
	v_fmac_f32_e32 v16, v18, v15
	v_sub_f32_e32 v3, v3, v17
	v_sub_f32_e32 v4, v4, v16
.LBB52_242:
	s_or_b64 exec, exec, s[12:13]
	s_barrier
	s_and_saveexec_b64 s[12:13], s[34:35]
	s_cbranch_execz .LBB52_244
; %bb.243:
	v_mov_b32_e32 v15, 0
	ds_read_b64 v[15:16], v15 offset:27040
	s_waitcnt lgkmcnt(0)
	v_mul_f32_e32 v17, v4, v16
	v_mul_f32_e32 v18, v3, v16
	v_fma_f32 v3, v3, v15, -v17
	v_fmac_f32_e32 v18, v4, v15
	v_xor_b32_e32 v15, 0x80000000, v3
	v_xor_b32_e32 v16, 0x80000000, v18
	v_mov_b32_e32 v4, v18
	ds_write_b64 v7, v[15:16]
.LBB52_244:
	s_or_b64 exec, exec, s[12:13]
	s_waitcnt lgkmcnt(0)
	s_barrier
	s_barrier
	s_and_saveexec_b64 s[12:13], s[6:7]
; %bb.245:
	v_lshlrev_b32_e32 v15, 3, v5
	v_lshl_or_b32 v15, v6, 9, v15
	ds_write_b64 v15, v[3:4] offset:28064
; %bb.246:
	s_or_b64 exec, exec, s[12:13]
	s_waitcnt lgkmcnt(0)
	s_barrier
	s_barrier
	s_and_saveexec_b64 s[12:13], vcc
	s_cbranch_execz .LBB52_248
; %bb.247:
	s_movk_i32 s14, 0x1a0
	v_mov_b32_e32 v19, 0
	v_add_u32_e64 v15, s14, 0
	ds_read_b64 v[3:4], v19 offset:27560
	ds_read2st64_b64 v[15:18], v15 offset0:52 offset1:53
	s_waitcnt lgkmcnt(0)
	v_mul_f32_e32 v20, v4, v16
	v_mul_f32_e32 v16, v3, v16
	v_fma_f32 v20, v3, v15, -v20
	v_fmac_f32_e32 v16, v4, v15
	v_mul_f32_e32 v3, v16, v18
	v_mul_f32_e32 v4, v20, v18
	v_fma_f32 v3, v20, v17, -v3
	v_fmac_f32_e32 v4, v16, v17
	ds_write_b64 v19, v[3:4] offset:27552
.LBB52_248:
	s_or_b64 exec, exec, s[12:13]
	v_mov_b32_e32 v4, 0
	v_mov_b32_e32 v3, 0
	s_waitcnt lgkmcnt(0)
	s_barrier
	buffer_wbinvl1_vol
	s_and_saveexec_b64 s[14:15], s[18:19]
	s_cbranch_execz .LBB52_254
; %bb.249:
	v_lshlrev_b32_e32 v15, 3, v9
	v_lshlrev_b32_e32 v16, 9, v10
	ds_read_b64 v[3:4], v15 offset:27008
	ds_read_b64 v[17:18], v16 offset:27040
	v_cmp_gt_u32_e64 s[12:13], 12, v8
	s_waitcnt lgkmcnt(0)
	v_mul_f32_e32 v19, v18, v4
	v_mul_f32_e32 v4, v17, v4
	v_fma_f32 v17, v17, v3, -v19
	v_fmac_f32_e32 v4, v18, v3
	v_add_f32_e32 v3, 0, v17
	v_add_f32_e32 v4, 0, v4
	s_and_saveexec_b64 s[16:17], s[12:13]
	s_cbranch_execnz .LBB52_1062
; %bb.250:
	s_or_b64 exec, exec, s[16:17]
	v_cmp_gt_u32_e64 s[12:13], 8, v8
	s_and_saveexec_b64 s[16:17], s[12:13]
	s_cbranch_execnz .LBB52_1063
.LBB52_251:
	s_or_b64 exec, exec, s[16:17]
	v_cmp_gt_u32_e64 s[12:13], 4, v8
	s_and_saveexec_b64 s[16:17], s[12:13]
	s_cbranch_execz .LBB52_253
.LBB52_252:
	v_lshlrev_b32_e32 v15, 3, v0
	v_mov_b32_e32 v17, 0
	ds_read_b64 v[15:16], v15 offset:28544
	ds_read_b64 v[17:18], v17 offset:28600
	s_waitcnt lgkmcnt(0)
	v_mul_f32_e32 v19, v18, v16
	v_mul_f32_e32 v16, v17, v16
	v_fma_f32 v17, v17, v15, -v19
	v_fmac_f32_e32 v16, v18, v15
	v_add_f32_e32 v3, v3, v17
	v_add_f32_e32 v4, v4, v16
.LBB52_253:
	s_or_b64 exec, exec, s[16:17]
.LBB52_254:
	s_or_b64 exec, exec, s[14:15]
	s_and_saveexec_b64 s[12:13], s[42:43]
	s_cbranch_execz .LBB52_256
; %bb.255:
	v_mov_b32_e32 v15, 0
	ds_read_b64 v[15:16], v15 offset:26520
	s_waitcnt lgkmcnt(0)
	v_mul_f32_e32 v17, v4, v16
	v_mul_f32_e32 v18, v3, v16
	v_fma_f32 v3, v3, v15, -v17
	v_fmac_f32_e32 v18, v4, v15
	v_xor_b32_e32 v15, 0x80000000, v3
	v_xor_b32_e32 v16, 0x80000000, v18
	v_mov_b32_e32 v4, v18
	ds_write_b64 v11, v[15:16]
.LBB52_256:
	s_or_b64 exec, exec, s[12:13]
	s_waitcnt lgkmcnt(0)
	s_barrier
	s_and_saveexec_b64 s[12:13], s[44:45]
	s_cbranch_execz .LBB52_258
; %bb.257:
	v_lshlrev_b32_e32 v15, 3, v9
	ds_read_b64 v[15:16], v15 offset:26496
	ds_read_b64 v[17:18], v11
	s_waitcnt lgkmcnt(0)
	v_mul_f32_e32 v19, v18, v16
	v_mul_f32_e32 v16, v17, v16
	v_fma_f32 v17, v17, v15, -v19
	v_fmac_f32_e32 v16, v18, v15
	v_sub_f32_e32 v3, v3, v17
	v_sub_f32_e32 v4, v4, v16
.LBB52_258:
	s_or_b64 exec, exec, s[12:13]
	s_barrier
	s_and_saveexec_b64 s[12:13], s[52:53]
	s_cbranch_execz .LBB52_260
; %bb.259:
	v_mov_b32_e32 v15, 0
	ds_read_b64 v[15:16], v15 offset:26000
	s_waitcnt lgkmcnt(0)
	v_mul_f32_e32 v17, v4, v16
	v_mul_f32_e32 v18, v3, v16
	v_fma_f32 v3, v3, v15, -v17
	v_fmac_f32_e32 v18, v4, v15
	v_xor_b32_e32 v15, 0x80000000, v3
	v_xor_b32_e32 v16, 0x80000000, v18
	v_mov_b32_e32 v4, v18
	ds_write_b64 v11, v[15:16]
.LBB52_260:
	s_or_b64 exec, exec, s[12:13]
	s_waitcnt lgkmcnt(0)
	s_barrier
	s_and_saveexec_b64 s[12:13], s[54:55]
	s_cbranch_execz .LBB52_262
; %bb.261:
	v_lshlrev_b32_e32 v15, 3, v9
	ds_read_b64 v[15:16], v15 offset:25984
	ds_read_b64 v[17:18], v11
	s_waitcnt lgkmcnt(0)
	v_mul_f32_e32 v19, v18, v16
	v_mul_f32_e32 v16, v17, v16
	v_fma_f32 v17, v17, v15, -v19
	v_fmac_f32_e32 v16, v18, v15
	v_sub_f32_e32 v3, v3, v17
	v_sub_f32_e32 v4, v4, v16
.LBB52_262:
	s_or_b64 exec, exec, s[12:13]
	s_barrier
	s_and_saveexec_b64 s[12:13], s[56:57]
	s_cbranch_execz .LBB52_264
; %bb.263:
	v_mov_b32_e32 v15, 0
	ds_read_b64 v[15:16], v15 offset:25480
	s_waitcnt lgkmcnt(0)
	v_mul_f32_e32 v17, v4, v16
	v_mul_f32_e32 v18, v3, v16
	v_fma_f32 v3, v3, v15, -v17
	v_fmac_f32_e32 v18, v4, v15
	v_xor_b32_e32 v15, 0x80000000, v3
	v_xor_b32_e32 v16, 0x80000000, v18
	v_mov_b32_e32 v4, v18
	ds_write_b64 v11, v[15:16]
.LBB52_264:
	s_or_b64 exec, exec, s[12:13]
	s_waitcnt lgkmcnt(0)
	s_barrier
	s_and_saveexec_b64 s[12:13], s[38:39]
	s_cbranch_execz .LBB52_266
; %bb.265:
	v_mov_b32_e32 v15, 0
	ds_read_b64 v[15:16], v15 offset:25472
	ds_read_b64 v[17:18], v11
	s_waitcnt lgkmcnt(0)
	v_mul_f32_e32 v19, v18, v16
	v_mul_f32_e32 v16, v17, v16
	v_fma_f32 v17, v17, v15, -v19
	v_fmac_f32_e32 v16, v18, v15
	v_sub_f32_e32 v3, v3, v17
	v_sub_f32_e32 v4, v4, v16
.LBB52_266:
	s_or_b64 exec, exec, s[12:13]
	s_barrier
	s_and_saveexec_b64 s[12:13], s[38:39]
	s_cbranch_execz .LBB52_268
; %bb.267:
	v_mov_b32_e32 v15, 0
	ds_read_b64 v[15:16], v15 offset:24960
	s_waitcnt lgkmcnt(0)
	v_mul_f32_e32 v17, v4, v16
	v_mul_f32_e32 v18, v3, v16
	v_fma_f32 v3, v3, v15, -v17
	v_fmac_f32_e32 v18, v4, v15
	v_xor_b32_e32 v15, 0x80000000, v3
	v_xor_b32_e32 v16, 0x80000000, v18
	v_mov_b32_e32 v4, v18
	ds_write_b64 v11, v[15:16]
.LBB52_268:
	s_or_b64 exec, exec, s[12:13]
	s_waitcnt lgkmcnt(0)
	s_barrier
	s_barrier
	s_and_saveexec_b64 s[12:13], s[18:19]
; %bb.269:
	v_lshlrev_b32_e32 v15, 3, v9
	v_lshl_or_b32 v15, v10, 9, v15
	ds_write_b64 v15, v[3:4] offset:27008
; %bb.270:
	s_or_b64 exec, exec, s[12:13]
	s_waitcnt lgkmcnt(0)
	s_barrier
	s_barrier
	s_and_saveexec_b64 s[12:13], vcc
	s_cbranch_execz .LBB52_272
; %bb.271:
	s_movk_i32 s14, 0x190
	v_mov_b32_e32 v19, 0
	v_add_u32_e64 v15, s14, 0
	ds_read_b64 v[3:4], v19 offset:26520
	ds_read2st64_b64 v[15:18], v15 offset0:50 offset1:51
	s_waitcnt lgkmcnt(0)
	v_mul_f32_e32 v20, v4, v16
	v_mul_f32_e32 v16, v3, v16
	v_fma_f32 v20, v3, v15, -v20
	v_fmac_f32_e32 v16, v4, v15
	v_mul_f32_e32 v3, v16, v18
	v_mul_f32_e32 v4, v20, v18
	v_fma_f32 v3, v20, v17, -v3
	v_fmac_f32_e32 v4, v16, v17
	ds_write_b64 v19, v[3:4] offset:26512
.LBB52_272:
	s_or_b64 exec, exec, s[12:13]
	v_mov_b32_e32 v3, 0
	v_mov_b32_e32 v4, 0
	s_waitcnt lgkmcnt(0)
	s_barrier
	buffer_wbinvl1_vol
	s_and_saveexec_b64 s[14:15], s[6:7]
	s_cbranch_execz .LBB52_276
; %bb.273:
	v_lshlrev_b32_e32 v3, 3, v5
	v_lshlrev_b32_e32 v15, 9, v6
	ds_read_b64 v[3:4], v3 offset:25984
	ds_read_b64 v[15:16], v15 offset:26000
	v_cmp_gt_u32_e64 s[12:13], 2, v8
	s_waitcnt lgkmcnt(0)
	v_mul_f32_e32 v17, v16, v4
	v_mul_f32_e32 v4, v15, v4
	v_fma_f32 v15, v15, v3, -v17
	v_fmac_f32_e32 v4, v16, v3
	v_add_f32_e32 v3, 0, v15
	v_add_f32_e32 v4, 0, v4
	s_and_saveexec_b64 s[16:17], s[12:13]
	s_cbranch_execz .LBB52_275
; %bb.274:
	v_lshlrev_b32_e32 v15, 3, v0
	v_mov_b32_e32 v17, 0
	ds_read_b64 v[15:16], v15 offset:26496
	ds_read_b64 v[17:18], v17 offset:26520
	s_waitcnt lgkmcnt(0)
	v_mul_f32_e32 v19, v18, v16
	v_mul_f32_e32 v16, v17, v16
	v_fma_f32 v17, v17, v15, -v19
	v_fmac_f32_e32 v16, v18, v15
	v_add_f32_e32 v3, v3, v17
	v_add_f32_e32 v4, v4, v16
.LBB52_275:
	s_or_b64 exec, exec, s[16:17]
.LBB52_276:
	s_or_b64 exec, exec, s[14:15]
	s_and_saveexec_b64 s[12:13], s[36:37]
	s_cbranch_execz .LBB52_278
; %bb.277:
	v_mov_b32_e32 v15, 0
	ds_read_b64 v[15:16], v15 offset:25480
	s_waitcnt lgkmcnt(0)
	v_mul_f32_e32 v17, v4, v16
	v_mul_f32_e32 v18, v3, v16
	v_fma_f32 v3, v3, v15, -v17
	v_fmac_f32_e32 v18, v4, v15
	v_xor_b32_e32 v15, 0x80000000, v3
	v_xor_b32_e32 v16, 0x80000000, v18
	v_mov_b32_e32 v4, v18
	ds_write_b64 v7, v[15:16]
.LBB52_278:
	s_or_b64 exec, exec, s[12:13]
	s_waitcnt lgkmcnt(0)
	s_barrier
	s_and_saveexec_b64 s[12:13], s[34:35]
	s_cbranch_execz .LBB52_280
; %bb.279:
	v_mov_b32_e32 v15, 0
	ds_read_b64 v[15:16], v15 offset:25472
	ds_read_b64 v[17:18], v7
	s_waitcnt lgkmcnt(0)
	v_mul_f32_e32 v19, v18, v16
	v_mul_f32_e32 v16, v17, v16
	v_fma_f32 v17, v17, v15, -v19
	v_fmac_f32_e32 v16, v18, v15
	v_sub_f32_e32 v3, v3, v17
	v_sub_f32_e32 v4, v4, v16
.LBB52_280:
	s_or_b64 exec, exec, s[12:13]
	s_barrier
	s_and_saveexec_b64 s[12:13], s[34:35]
	s_cbranch_execz .LBB52_282
; %bb.281:
	v_mov_b32_e32 v15, 0
	ds_read_b64 v[15:16], v15 offset:24960
	s_waitcnt lgkmcnt(0)
	v_mul_f32_e32 v17, v4, v16
	v_mul_f32_e32 v18, v3, v16
	v_fma_f32 v3, v3, v15, -v17
	v_fmac_f32_e32 v18, v4, v15
	v_xor_b32_e32 v15, 0x80000000, v3
	v_xor_b32_e32 v16, 0x80000000, v18
	v_mov_b32_e32 v4, v18
	ds_write_b64 v7, v[15:16]
.LBB52_282:
	s_or_b64 exec, exec, s[12:13]
	s_waitcnt lgkmcnt(0)
	s_barrier
	s_barrier
	s_and_saveexec_b64 s[12:13], s[6:7]
; %bb.283:
	v_lshlrev_b32_e32 v15, 3, v5
	v_lshl_or_b32 v15, v6, 9, v15
	ds_write_b64 v15, v[3:4] offset:25984
; %bb.284:
	s_or_b64 exec, exec, s[12:13]
	s_waitcnt lgkmcnt(0)
	s_barrier
	s_barrier
	s_and_saveexec_b64 s[12:13], vcc
	s_cbranch_execz .LBB52_286
; %bb.285:
	s_movk_i32 s14, 0x180
	v_mov_b32_e32 v19, 0
	v_add_u32_e64 v15, s14, 0
	ds_read_b64 v[3:4], v19 offset:25480
	ds_read2st64_b64 v[15:18], v15 offset0:48 offset1:49
	s_waitcnt lgkmcnt(0)
	v_mul_f32_e32 v20, v4, v16
	v_mul_f32_e32 v16, v3, v16
	v_fma_f32 v20, v3, v15, -v20
	v_fmac_f32_e32 v16, v4, v15
	v_mul_f32_e32 v3, v16, v18
	v_mul_f32_e32 v4, v20, v18
	v_fma_f32 v3, v20, v17, -v3
	v_fmac_f32_e32 v4, v16, v17
	ds_write_b64 v19, v[3:4] offset:25472
.LBB52_286:
	s_or_b64 exec, exec, s[12:13]
	s_movk_i32 s12, 0xff
	v_lshrrev_b32_e32 v17, 4, v8
	v_cmp_lt_u32_e64 s[14:15], s12, v8
	s_movk_i32 s12, 0x100
	v_and_b32_e32 v15, 15, v0
	v_sub_u32_e32 v16, 15, v17
	v_cmp_gt_u32_e64 s[12:13], s12, v8
	v_mov_b32_e32 v4, 0
	v_mov_b32_e32 v3, 0
	s_waitcnt lgkmcnt(0)
	s_barrier
	buffer_wbinvl1_vol
	s_and_saveexec_b64 s[20:21], s[12:13]
	s_cbranch_execz .LBB52_314
; %bb.287:
	v_lshlrev_b32_e32 v18, 3, v15
	v_lshlrev_b32_e32 v19, 9, v16
	ds_read_b64 v[3:4], v18 offset:24832
	ds_read_b64 v[20:21], v19 offset:24960
	s_movk_i32 s16, 0xf0
	v_cmp_gt_u32_e64 s[16:17], s16, v8
	s_waitcnt lgkmcnt(0)
	v_mul_f32_e32 v22, v21, v4
	v_mul_f32_e32 v4, v20, v4
	v_fma_f32 v20, v20, v3, -v22
	v_fmac_f32_e32 v4, v21, v3
	v_add_f32_e32 v3, 0, v20
	v_add_f32_e32 v4, 0, v4
	s_and_saveexec_b64 s[28:29], s[16:17]
	s_cbranch_execz .LBB52_289
; %bb.288:
	ds_read_b64 v[20:21], v18 offset:25344
	ds_read_b64 v[22:23], v19 offset:24968
	s_waitcnt lgkmcnt(0)
	v_mul_f32_e32 v24, v23, v21
	v_mul_f32_e32 v21, v22, v21
	v_fma_f32 v22, v22, v20, -v24
	v_fmac_f32_e32 v21, v23, v20
	v_add_f32_e32 v3, v3, v22
	v_add_f32_e32 v4, v4, v21
.LBB52_289:
	s_or_b64 exec, exec, s[28:29]
	s_movk_i32 s16, 0xe0
	v_cmp_gt_u32_e64 s[16:17], s16, v8
	s_and_saveexec_b64 s[28:29], s[16:17]
	s_cbranch_execz .LBB52_291
; %bb.290:
	ds_read_b64 v[20:21], v18 offset:25856
	ds_read_b64 v[22:23], v19 offset:24976
	s_waitcnt lgkmcnt(0)
	v_mul_f32_e32 v24, v23, v21
	v_mul_f32_e32 v21, v22, v21
	v_fma_f32 v22, v22, v20, -v24
	v_fmac_f32_e32 v21, v23, v20
	v_add_f32_e32 v3, v3, v22
	v_add_f32_e32 v4, v4, v21
.LBB52_291:
	s_or_b64 exec, exec, s[28:29]
	s_movk_i32 s16, 0xd0
	v_cmp_gt_u32_e64 s[16:17], s16, v8
	;; [unrolled: 16-line block ×10, first 2 shown]
	s_and_saveexec_b64 s[28:29], s[16:17]
	s_cbranch_execnz .LBB52_1064
; %bb.308:
	s_or_b64 exec, exec, s[28:29]
	s_and_saveexec_b64 s[16:17], s[10:11]
	s_cbranch_execnz .LBB52_1065
.LBB52_309:
	s_or_b64 exec, exec, s[16:17]
	v_cmp_gt_u32_e64 s[16:17], 48, v8
	s_and_saveexec_b64 s[28:29], s[16:17]
	s_cbranch_execnz .LBB52_1066
.LBB52_310:
	s_or_b64 exec, exec, s[28:29]
	v_cmp_gt_u32_e64 s[16:17], 32, v8
	s_and_saveexec_b64 s[28:29], s[16:17]
	s_cbranch_execnz .LBB52_1067
.LBB52_311:
	s_or_b64 exec, exec, s[28:29]
	v_cmp_gt_u32_e64 s[16:17], 16, v8
	s_and_saveexec_b64 s[28:29], s[16:17]
	s_cbranch_execz .LBB52_313
.LBB52_312:
	v_lshlrev_b32_e32 v18, 3, v0
	v_mov_b32_e32 v20, 0
	ds_read_b64 v[18:19], v18 offset:32512
	ds_read_b64 v[20:21], v20 offset:32760
	s_waitcnt lgkmcnt(0)
	v_mul_f32_e32 v22, v21, v19
	v_mul_f32_e32 v19, v20, v19
	v_fma_f32 v20, v20, v18, -v22
	v_fmac_f32_e32 v19, v21, v18
	v_add_f32_e32 v3, v3, v20
	v_add_f32_e32 v4, v4, v19
.LBB52_313:
	s_or_b64 exec, exec, s[28:29]
.LBB52_314:
	s_or_b64 exec, exec, s[20:21]
	v_mov_b32_e32 v18, 0x8000
	v_lshl_add_u32 v17, v17, 3, v18
	v_cmp_eq_u32_e64 s[16:17], 15, v15
	s_xor_b64 s[20:21], s[14:15], -1
	s_and_b64 s[16:17], s[16:17], s[20:21]
	s_mov_b64 s[14:15], exec
	v_writelane_b32 v30, s16, 3
	v_writelane_b32 v30, s17, 4
	s_and_b64 s[16:17], s[14:15], s[16:17]
	s_mov_b64 exec, s[16:17]
	s_cbranch_execz .LBB52_316
; %bb.315:
	v_mov_b32_e32 v18, 0
	ds_read_b64 v[18:19], v18 offset:24440
	s_waitcnt lgkmcnt(0)
	v_mul_f32_e32 v20, v4, v19
	v_mul_f32_e32 v21, v3, v19
	v_fma_f32 v3, v3, v18, -v20
	v_fmac_f32_e32 v21, v4, v18
	v_xor_b32_e32 v18, 0x80000000, v3
	v_xor_b32_e32 v19, 0x80000000, v21
	v_mov_b32_e32 v4, v21
	ds_write_b64 v17, v[18:19]
.LBB52_316:
	s_or_b64 exec, exec, s[14:15]
	v_cmp_ne_u32_e64 s[14:15], 15, v15
	s_waitcnt lgkmcnt(0)
	s_barrier
	s_and_b64 s[16:17], s[14:15], s[20:21]
	s_mov_b64 s[14:15], exec
	v_writelane_b32 v30, s16, 5
	v_writelane_b32 v30, s17, 6
	s_and_b64 s[16:17], s[14:15], s[16:17]
	s_mov_b64 exec, s[16:17]
	s_cbranch_execz .LBB52_318
; %bb.317:
	v_lshlrev_b32_e32 v18, 3, v15
	ds_read_b64 v[18:19], v18 offset:24320
	ds_read_b64 v[20:21], v17
	s_waitcnt lgkmcnt(0)
	v_mul_f32_e32 v22, v21, v19
	v_mul_f32_e32 v19, v20, v19
	v_fma_f32 v20, v20, v18, -v22
	v_fmac_f32_e32 v19, v21, v18
	v_sub_f32_e32 v3, v3, v20
	v_sub_f32_e32 v4, v4, v19
.LBB52_318:
	s_or_b64 exec, exec, s[14:15]
	v_cmp_eq_u32_e64 s[14:15], 14, v15
	s_barrier
	s_and_b64 s[16:17], s[14:15], s[20:21]
	s_mov_b64 s[14:15], exec
	v_writelane_b32 v30, s16, 7
	v_writelane_b32 v30, s17, 8
	s_and_b64 s[16:17], s[14:15], s[16:17]
	s_mov_b64 exec, s[16:17]
	s_cbranch_execz .LBB52_320
; %bb.319:
	v_mov_b32_e32 v18, 0
	ds_read_b64 v[18:19], v18 offset:23920
	s_waitcnt lgkmcnt(0)
	v_mul_f32_e32 v20, v4, v19
	v_mul_f32_e32 v21, v3, v19
	v_fma_f32 v3, v3, v18, -v20
	v_fmac_f32_e32 v21, v4, v18
	v_xor_b32_e32 v18, 0x80000000, v3
	v_xor_b32_e32 v19, 0x80000000, v21
	v_mov_b32_e32 v4, v21
	ds_write_b64 v17, v[18:19]
.LBB52_320:
	s_or_b64 exec, exec, s[14:15]
	v_cmp_gt_u32_e64 s[14:15], 14, v15
	s_waitcnt lgkmcnt(0)
	s_barrier
	s_and_b64 s[16:17], s[14:15], s[20:21]
	s_mov_b64 s[14:15], exec
	v_writelane_b32 v30, s16, 9
	v_writelane_b32 v30, s17, 10
	s_and_b64 s[16:17], s[14:15], s[16:17]
	s_mov_b64 exec, s[16:17]
	s_cbranch_execz .LBB52_322
; %bb.321:
	v_lshlrev_b32_e32 v18, 3, v15
	ds_read_b64 v[18:19], v18 offset:23808
	ds_read_b64 v[20:21], v17
	s_waitcnt lgkmcnt(0)
	v_mul_f32_e32 v22, v21, v19
	v_mul_f32_e32 v19, v20, v19
	v_fma_f32 v20, v20, v18, -v22
	v_fmac_f32_e32 v19, v21, v18
	v_sub_f32_e32 v3, v3, v20
	v_sub_f32_e32 v4, v4, v19
.LBB52_322:
	s_or_b64 exec, exec, s[14:15]
	v_cmp_eq_u32_e64 s[14:15], 13, v15
	s_barrier
	s_and_b64 s[16:17], s[14:15], s[20:21]
	s_mov_b64 s[14:15], exec
	v_writelane_b32 v30, s16, 11
	v_writelane_b32 v30, s17, 12
	s_and_b64 s[16:17], s[14:15], s[16:17]
	s_mov_b64 exec, s[16:17]
	s_cbranch_execz .LBB52_324
; %bb.323:
	v_mov_b32_e32 v18, 0
	ds_read_b64 v[18:19], v18 offset:23400
	s_waitcnt lgkmcnt(0)
	v_mul_f32_e32 v20, v4, v19
	v_mul_f32_e32 v21, v3, v19
	v_fma_f32 v3, v3, v18, -v20
	v_fmac_f32_e32 v21, v4, v18
	v_xor_b32_e32 v18, 0x80000000, v3
	v_xor_b32_e32 v19, 0x80000000, v21
	v_mov_b32_e32 v4, v21
	ds_write_b64 v17, v[18:19]
.LBB52_324:
	s_or_b64 exec, exec, s[14:15]
	v_cmp_gt_u32_e64 s[14:15], 13, v15
	;; [unrolled: 46-line block ×12, first 2 shown]
	s_waitcnt lgkmcnt(0)
	s_barrier
	s_and_b64 s[16:17], s[14:15], s[20:21]
	s_mov_b64 s[14:15], exec
	v_writelane_b32 v30, s16, 53
	v_writelane_b32 v30, s17, 54
	s_and_b64 s[16:17], s[14:15], s[16:17]
	s_mov_b64 exec, s[16:17]
	s_cbranch_execz .LBB52_366
; %bb.365:
	v_lshlrev_b32_e32 v18, 3, v15
	ds_read_b64 v[18:19], v18 offset:18176
	ds_read_b64 v[20:21], v17
	s_waitcnt lgkmcnt(0)
	v_mul_f32_e32 v22, v21, v19
	v_mul_f32_e32 v19, v20, v19
	v_fma_f32 v20, v20, v18, -v22
	v_fmac_f32_e32 v19, v21, v18
	v_sub_f32_e32 v3, v3, v20
	v_sub_f32_e32 v4, v4, v19
.LBB52_366:
	s_or_b64 exec, exec, s[14:15]
	v_cmp_eq_u32_e64 s[14:15], 2, v15
	s_and_b64 s[92:93], s[14:15], s[20:21]
	s_barrier
	s_and_saveexec_b64 s[14:15], s[92:93]
	s_cbranch_execz .LBB52_368
; %bb.367:
	v_mov_b32_e32 v18, 0
	ds_read_b64 v[18:19], v18 offset:17680
	s_waitcnt lgkmcnt(0)
	v_mul_f32_e32 v20, v4, v19
	v_mul_f32_e32 v21, v3, v19
	v_fma_f32 v3, v3, v18, -v20
	v_fmac_f32_e32 v21, v4, v18
	v_xor_b32_e32 v18, 0x80000000, v3
	v_xor_b32_e32 v19, 0x80000000, v21
	v_mov_b32_e32 v4, v21
	ds_write_b64 v17, v[18:19]
.LBB52_368:
	s_or_b64 exec, exec, s[14:15]
	v_cmp_gt_u32_e64 s[14:15], 2, v15
	s_and_b64 s[96:97], s[14:15], s[20:21]
	s_waitcnt lgkmcnt(0)
	s_barrier
	s_and_saveexec_b64 s[14:15], s[96:97]
	s_cbranch_execz .LBB52_370
; %bb.369:
	v_lshlrev_b32_e32 v18, 3, v15
	ds_read_b64 v[18:19], v18 offset:17664
	ds_read_b64 v[20:21], v17
	s_waitcnt lgkmcnt(0)
	v_mul_f32_e32 v22, v21, v19
	v_mul_f32_e32 v19, v20, v19
	v_fma_f32 v20, v20, v18, -v22
	v_fmac_f32_e32 v19, v21, v18
	v_sub_f32_e32 v3, v3, v20
	v_sub_f32_e32 v4, v4, v19
.LBB52_370:
	s_or_b64 exec, exec, s[14:15]
	v_cmp_eq_u32_e64 s[14:15], 1, v15
	s_and_b64 s[98:99], s[14:15], s[20:21]
	s_barrier
	s_and_saveexec_b64 s[14:15], s[98:99]
	s_cbranch_execz .LBB52_372
; %bb.371:
	v_mov_b32_e32 v18, 0
	ds_read_b64 v[18:19], v18 offset:17160
	s_waitcnt lgkmcnt(0)
	v_mul_f32_e32 v20, v4, v19
	v_mul_f32_e32 v21, v3, v19
	v_fma_f32 v3, v3, v18, -v20
	v_fmac_f32_e32 v21, v4, v18
	v_xor_b32_e32 v18, 0x80000000, v3
	v_xor_b32_e32 v19, 0x80000000, v21
	v_mov_b32_e32 v4, v21
	ds_write_b64 v17, v[18:19]
.LBB52_372:
	s_or_b64 exec, exec, s[14:15]
	v_cmp_eq_u32_e64 s[14:15], 0, v15
	s_and_b64 s[94:95], s[14:15], s[20:21]
	s_waitcnt lgkmcnt(0)
	s_barrier
	s_and_saveexec_b64 s[14:15], s[94:95]
	s_cbranch_execz .LBB52_374
; %bb.373:
	v_mov_b32_e32 v18, 0
	ds_read_b64 v[18:19], v18 offset:17152
	ds_read_b64 v[20:21], v17
	s_waitcnt lgkmcnt(0)
	v_mul_f32_e32 v22, v21, v19
	v_mul_f32_e32 v19, v20, v19
	v_fma_f32 v20, v20, v18, -v22
	v_fmac_f32_e32 v19, v21, v18
	v_sub_f32_e32 v3, v3, v20
	v_sub_f32_e32 v4, v4, v19
.LBB52_374:
	s_or_b64 exec, exec, s[14:15]
	s_barrier
	s_and_saveexec_b64 s[14:15], s[94:95]
	s_cbranch_execz .LBB52_376
; %bb.375:
	v_mov_b32_e32 v18, 0
	ds_read_b64 v[18:19], v18 offset:16640
	s_waitcnt lgkmcnt(0)
	v_mul_f32_e32 v20, v4, v19
	v_mul_f32_e32 v21, v3, v19
	v_fma_f32 v3, v3, v18, -v20
	v_fmac_f32_e32 v21, v4, v18
	v_xor_b32_e32 v18, 0x80000000, v3
	v_xor_b32_e32 v19, 0x80000000, v21
	v_mov_b32_e32 v4, v21
	ds_write_b64 v17, v[18:19]
.LBB52_376:
	s_or_b64 exec, exec, s[14:15]
	s_waitcnt lgkmcnt(0)
	s_barrier
	s_barrier
	s_and_saveexec_b64 s[14:15], s[12:13]
; %bb.377:
	v_lshlrev_b32_e32 v18, 3, v15
	v_lshl_or_b32 v18, v16, 9, v18
	ds_write_b64 v18, v[3:4] offset:24832
; %bb.378:
	s_or_b64 exec, exec, s[14:15]
	s_waitcnt lgkmcnt(0)
	s_barrier
	s_barrier
	s_and_saveexec_b64 s[14:15], vcc
	s_cbranch_execz .LBB52_380
; %bb.379:
	s_movk_i32 s16, 0x170
	v_mov_b32_e32 v22, 0
	v_add_u32_e64 v18, s16, 0
	ds_read_b64 v[3:4], v22 offset:24440
	ds_read2st64_b64 v[18:21], v18 offset0:46 offset1:47
	s_waitcnt lgkmcnt(0)
	v_mul_f32_e32 v23, v4, v19
	v_mul_f32_e32 v19, v3, v19
	v_fma_f32 v23, v3, v18, -v23
	v_fmac_f32_e32 v19, v4, v18
	v_mul_f32_e32 v3, v19, v21
	v_mul_f32_e32 v4, v23, v21
	v_fma_f32 v3, v23, v20, -v3
	v_fmac_f32_e32 v4, v19, v20
	ds_write_b64 v22, v[3:4] offset:24432
.LBB52_380:
	s_or_b64 exec, exec, s[14:15]
	v_mov_b32_e32 v3, 0
	v_mov_b32_e32 v4, 0
	s_waitcnt lgkmcnt(0)
	s_barrier
	buffer_wbinvl1_vol
	s_and_saveexec_b64 s[16:17], s[6:7]
	s_cbranch_execz .LBB52_384
; %bb.381:
	v_lshlrev_b32_e32 v3, 3, v5
	v_lshlrev_b32_e32 v18, 9, v6
	ds_read_b64 v[3:4], v3 offset:23904
	ds_read_b64 v[18:19], v18 offset:23920
	v_cmp_gt_u32_e64 s[14:15], 2, v8
	s_waitcnt lgkmcnt(0)
	v_mul_f32_e32 v20, v19, v4
	v_mul_f32_e32 v4, v18, v4
	v_fma_f32 v18, v18, v3, -v20
	v_fmac_f32_e32 v4, v19, v3
	v_add_f32_e32 v3, 0, v18
	v_add_f32_e32 v4, 0, v4
	s_and_saveexec_b64 s[20:21], s[14:15]
	s_cbranch_execz .LBB52_383
; %bb.382:
	v_lshlrev_b32_e32 v18, 3, v0
	v_mov_b32_e32 v20, 0
	ds_read_b64 v[18:19], v18 offset:24416
	ds_read_b64 v[20:21], v20 offset:24440
	s_waitcnt lgkmcnt(0)
	v_mul_f32_e32 v22, v21, v19
	v_mul_f32_e32 v19, v20, v19
	v_fma_f32 v20, v20, v18, -v22
	v_fmac_f32_e32 v19, v21, v18
	v_add_f32_e32 v3, v3, v20
	v_add_f32_e32 v4, v4, v19
.LBB52_383:
	s_or_b64 exec, exec, s[20:21]
.LBB52_384:
	s_or_b64 exec, exec, s[16:17]
	s_and_saveexec_b64 s[14:15], s[36:37]
	s_cbranch_execz .LBB52_386
; %bb.385:
	v_mov_b32_e32 v18, 0
	ds_read_b64 v[18:19], v18 offset:23400
	s_waitcnt lgkmcnt(0)
	v_mul_f32_e32 v20, v4, v19
	v_mul_f32_e32 v21, v3, v19
	v_fma_f32 v3, v3, v18, -v20
	v_fmac_f32_e32 v21, v4, v18
	v_xor_b32_e32 v18, 0x80000000, v3
	v_xor_b32_e32 v19, 0x80000000, v21
	v_mov_b32_e32 v4, v21
	ds_write_b64 v7, v[18:19]
.LBB52_386:
	s_or_b64 exec, exec, s[14:15]
	s_waitcnt lgkmcnt(0)
	s_barrier
	s_and_saveexec_b64 s[14:15], s[34:35]
	s_cbranch_execz .LBB52_388
; %bb.387:
	v_mov_b32_e32 v18, 0
	ds_read_b64 v[18:19], v18 offset:23392
	ds_read_b64 v[20:21], v7
	s_waitcnt lgkmcnt(0)
	v_mul_f32_e32 v22, v21, v19
	v_mul_f32_e32 v19, v20, v19
	v_fma_f32 v20, v20, v18, -v22
	v_fmac_f32_e32 v19, v21, v18
	v_sub_f32_e32 v3, v3, v20
	v_sub_f32_e32 v4, v4, v19
.LBB52_388:
	s_or_b64 exec, exec, s[14:15]
	s_barrier
	s_and_saveexec_b64 s[14:15], s[34:35]
	s_cbranch_execz .LBB52_390
; %bb.389:
	v_mov_b32_e32 v18, 0
	ds_read_b64 v[18:19], v18 offset:22880
	s_waitcnt lgkmcnt(0)
	v_mul_f32_e32 v20, v4, v19
	v_mul_f32_e32 v21, v3, v19
	v_fma_f32 v3, v3, v18, -v20
	v_fmac_f32_e32 v21, v4, v18
	v_xor_b32_e32 v18, 0x80000000, v3
	v_xor_b32_e32 v19, 0x80000000, v21
	v_mov_b32_e32 v4, v21
	ds_write_b64 v7, v[18:19]
.LBB52_390:
	s_or_b64 exec, exec, s[14:15]
	s_waitcnt lgkmcnt(0)
	s_barrier
	s_barrier
	s_and_saveexec_b64 s[14:15], s[6:7]
; %bb.391:
	v_lshlrev_b32_e32 v18, 3, v5
	v_lshl_or_b32 v18, v6, 9, v18
	ds_write_b64 v18, v[3:4] offset:23904
; %bb.392:
	s_or_b64 exec, exec, s[14:15]
	s_waitcnt lgkmcnt(0)
	s_barrier
	s_barrier
	s_and_saveexec_b64 s[14:15], vcc
	s_cbranch_execz .LBB52_394
; %bb.393:
	s_movk_i32 s16, 0x160
	v_mov_b32_e32 v22, 0
	v_add_u32_e64 v18, s16, 0
	ds_read_b64 v[3:4], v22 offset:23400
	ds_read2st64_b64 v[18:21], v18 offset0:44 offset1:45
	s_waitcnt lgkmcnt(0)
	v_mul_f32_e32 v23, v4, v19
	v_mul_f32_e32 v19, v3, v19
	v_fma_f32 v23, v3, v18, -v23
	v_fmac_f32_e32 v19, v4, v18
	v_mul_f32_e32 v3, v19, v21
	v_mul_f32_e32 v4, v23, v21
	v_fma_f32 v3, v23, v20, -v3
	v_fmac_f32_e32 v4, v19, v20
	ds_write_b64 v22, v[3:4] offset:23392
.LBB52_394:
	s_or_b64 exec, exec, s[14:15]
	v_mov_b32_e32 v4, 0
	v_mov_b32_e32 v3, 0
	s_waitcnt lgkmcnt(0)
	s_barrier
	buffer_wbinvl1_vol
	s_and_saveexec_b64 s[16:17], s[18:19]
	s_cbranch_execz .LBB52_400
; %bb.395:
	v_lshlrev_b32_e32 v18, 3, v9
	v_lshlrev_b32_e32 v19, 9, v10
	ds_read_b64 v[3:4], v18 offset:22848
	ds_read_b64 v[20:21], v19 offset:22880
	v_cmp_gt_u32_e64 s[14:15], 12, v8
	s_waitcnt lgkmcnt(0)
	v_mul_f32_e32 v22, v21, v4
	v_mul_f32_e32 v4, v20, v4
	v_fma_f32 v20, v20, v3, -v22
	v_fmac_f32_e32 v4, v21, v3
	v_add_f32_e32 v3, 0, v20
	v_add_f32_e32 v4, 0, v4
	s_and_saveexec_b64 s[20:21], s[14:15]
	s_cbranch_execnz .LBB52_1068
; %bb.396:
	s_or_b64 exec, exec, s[20:21]
	v_cmp_gt_u32_e64 s[14:15], 8, v8
	s_and_saveexec_b64 s[20:21], s[14:15]
	s_cbranch_execnz .LBB52_1069
.LBB52_397:
	s_or_b64 exec, exec, s[20:21]
	v_cmp_gt_u32_e64 s[14:15], 4, v8
	s_and_saveexec_b64 s[20:21], s[14:15]
	s_cbranch_execz .LBB52_399
.LBB52_398:
	v_lshlrev_b32_e32 v18, 3, v0
	v_mov_b32_e32 v20, 0
	ds_read_b64 v[18:19], v18 offset:24384
	ds_read_b64 v[20:21], v20 offset:24440
	s_waitcnt lgkmcnt(0)
	v_mul_f32_e32 v22, v21, v19
	v_mul_f32_e32 v19, v20, v19
	v_fma_f32 v20, v20, v18, -v22
	v_fmac_f32_e32 v19, v21, v18
	v_add_f32_e32 v3, v3, v20
	v_add_f32_e32 v4, v4, v19
.LBB52_399:
	s_or_b64 exec, exec, s[20:21]
.LBB52_400:
	s_or_b64 exec, exec, s[16:17]
	s_and_saveexec_b64 s[14:15], s[42:43]
	s_cbranch_execz .LBB52_402
; %bb.401:
	v_mov_b32_e32 v18, 0
	ds_read_b64 v[18:19], v18 offset:22360
	s_waitcnt lgkmcnt(0)
	v_mul_f32_e32 v20, v4, v19
	v_mul_f32_e32 v21, v3, v19
	v_fma_f32 v3, v3, v18, -v20
	v_fmac_f32_e32 v21, v4, v18
	v_xor_b32_e32 v18, 0x80000000, v3
	v_xor_b32_e32 v19, 0x80000000, v21
	v_mov_b32_e32 v4, v21
	ds_write_b64 v11, v[18:19]
.LBB52_402:
	s_or_b64 exec, exec, s[14:15]
	s_waitcnt lgkmcnt(0)
	s_barrier
	s_and_saveexec_b64 s[14:15], s[44:45]
	s_cbranch_execz .LBB52_404
; %bb.403:
	v_lshlrev_b32_e32 v18, 3, v9
	ds_read_b64 v[18:19], v18 offset:22336
	ds_read_b64 v[20:21], v11
	s_waitcnt lgkmcnt(0)
	v_mul_f32_e32 v22, v21, v19
	v_mul_f32_e32 v19, v20, v19
	v_fma_f32 v20, v20, v18, -v22
	v_fmac_f32_e32 v19, v21, v18
	v_sub_f32_e32 v3, v3, v20
	v_sub_f32_e32 v4, v4, v19
.LBB52_404:
	s_or_b64 exec, exec, s[14:15]
	s_barrier
	s_and_saveexec_b64 s[14:15], s[52:53]
	s_cbranch_execz .LBB52_406
; %bb.405:
	v_mov_b32_e32 v18, 0
	ds_read_b64 v[18:19], v18 offset:21840
	s_waitcnt lgkmcnt(0)
	v_mul_f32_e32 v20, v4, v19
	v_mul_f32_e32 v21, v3, v19
	v_fma_f32 v3, v3, v18, -v20
	v_fmac_f32_e32 v21, v4, v18
	v_xor_b32_e32 v18, 0x80000000, v3
	v_xor_b32_e32 v19, 0x80000000, v21
	v_mov_b32_e32 v4, v21
	ds_write_b64 v11, v[18:19]
.LBB52_406:
	s_or_b64 exec, exec, s[14:15]
	s_waitcnt lgkmcnt(0)
	s_barrier
	s_and_saveexec_b64 s[14:15], s[54:55]
	s_cbranch_execz .LBB52_408
; %bb.407:
	v_lshlrev_b32_e32 v18, 3, v9
	ds_read_b64 v[18:19], v18 offset:21824
	ds_read_b64 v[20:21], v11
	s_waitcnt lgkmcnt(0)
	v_mul_f32_e32 v22, v21, v19
	v_mul_f32_e32 v19, v20, v19
	v_fma_f32 v20, v20, v18, -v22
	v_fmac_f32_e32 v19, v21, v18
	v_sub_f32_e32 v3, v3, v20
	v_sub_f32_e32 v4, v4, v19
.LBB52_408:
	s_or_b64 exec, exec, s[14:15]
	s_barrier
	s_and_saveexec_b64 s[14:15], s[56:57]
	s_cbranch_execz .LBB52_410
; %bb.409:
	v_mov_b32_e32 v18, 0
	ds_read_b64 v[18:19], v18 offset:21320
	s_waitcnt lgkmcnt(0)
	v_mul_f32_e32 v20, v4, v19
	v_mul_f32_e32 v21, v3, v19
	v_fma_f32 v3, v3, v18, -v20
	v_fmac_f32_e32 v21, v4, v18
	v_xor_b32_e32 v18, 0x80000000, v3
	v_xor_b32_e32 v19, 0x80000000, v21
	v_mov_b32_e32 v4, v21
	ds_write_b64 v11, v[18:19]
.LBB52_410:
	s_or_b64 exec, exec, s[14:15]
	s_waitcnt lgkmcnt(0)
	s_barrier
	s_and_saveexec_b64 s[14:15], s[38:39]
	s_cbranch_execz .LBB52_412
; %bb.411:
	v_mov_b32_e32 v18, 0
	ds_read_b64 v[18:19], v18 offset:21312
	ds_read_b64 v[20:21], v11
	s_waitcnt lgkmcnt(0)
	v_mul_f32_e32 v22, v21, v19
	v_mul_f32_e32 v19, v20, v19
	v_fma_f32 v20, v20, v18, -v22
	v_fmac_f32_e32 v19, v21, v18
	v_sub_f32_e32 v3, v3, v20
	v_sub_f32_e32 v4, v4, v19
.LBB52_412:
	s_or_b64 exec, exec, s[14:15]
	s_barrier
	s_and_saveexec_b64 s[14:15], s[38:39]
	s_cbranch_execz .LBB52_414
; %bb.413:
	v_mov_b32_e32 v18, 0
	ds_read_b64 v[18:19], v18 offset:20800
	s_waitcnt lgkmcnt(0)
	v_mul_f32_e32 v20, v4, v19
	v_mul_f32_e32 v21, v3, v19
	v_fma_f32 v3, v3, v18, -v20
	v_fmac_f32_e32 v21, v4, v18
	v_xor_b32_e32 v18, 0x80000000, v3
	v_xor_b32_e32 v19, 0x80000000, v21
	v_mov_b32_e32 v4, v21
	ds_write_b64 v11, v[18:19]
.LBB52_414:
	s_or_b64 exec, exec, s[14:15]
	s_waitcnt lgkmcnt(0)
	s_barrier
	s_barrier
	s_and_saveexec_b64 s[14:15], s[18:19]
; %bb.415:
	v_lshlrev_b32_e32 v18, 3, v9
	v_lshl_or_b32 v18, v10, 9, v18
	ds_write_b64 v18, v[3:4] offset:22848
; %bb.416:
	s_or_b64 exec, exec, s[14:15]
	s_waitcnt lgkmcnt(0)
	s_barrier
	s_barrier
	s_and_saveexec_b64 s[14:15], vcc
	s_cbranch_execz .LBB52_418
; %bb.417:
	s_movk_i32 s16, 0x150
	v_mov_b32_e32 v22, 0
	v_add_u32_e64 v18, s16, 0
	ds_read_b64 v[3:4], v22 offset:22360
	ds_read2st64_b64 v[18:21], v18 offset0:42 offset1:43
	s_waitcnt lgkmcnt(0)
	v_mul_f32_e32 v23, v4, v19
	v_mul_f32_e32 v19, v3, v19
	v_fma_f32 v23, v3, v18, -v23
	v_fmac_f32_e32 v19, v4, v18
	v_mul_f32_e32 v3, v19, v21
	v_mul_f32_e32 v4, v23, v21
	v_fma_f32 v3, v23, v20, -v3
	v_fmac_f32_e32 v4, v19, v20
	ds_write_b64 v22, v[3:4] offset:22352
.LBB52_418:
	s_or_b64 exec, exec, s[14:15]
	v_mov_b32_e32 v3, 0
	v_mov_b32_e32 v4, 0
	s_waitcnt lgkmcnt(0)
	s_barrier
	buffer_wbinvl1_vol
	s_and_saveexec_b64 s[16:17], s[6:7]
	s_cbranch_execz .LBB52_422
; %bb.419:
	v_lshlrev_b32_e32 v3, 3, v5
	v_lshlrev_b32_e32 v18, 9, v6
	ds_read_b64 v[3:4], v3 offset:21824
	ds_read_b64 v[18:19], v18 offset:21840
	v_cmp_gt_u32_e64 s[14:15], 2, v8
	s_waitcnt lgkmcnt(0)
	v_mul_f32_e32 v20, v19, v4
	v_mul_f32_e32 v4, v18, v4
	v_fma_f32 v18, v18, v3, -v20
	v_fmac_f32_e32 v4, v19, v3
	v_add_f32_e32 v3, 0, v18
	v_add_f32_e32 v4, 0, v4
	s_and_saveexec_b64 s[20:21], s[14:15]
	s_cbranch_execz .LBB52_421
; %bb.420:
	v_lshlrev_b32_e32 v18, 3, v0
	v_mov_b32_e32 v20, 0
	ds_read_b64 v[18:19], v18 offset:22336
	ds_read_b64 v[20:21], v20 offset:22360
	s_waitcnt lgkmcnt(0)
	v_mul_f32_e32 v22, v21, v19
	v_mul_f32_e32 v19, v20, v19
	v_fma_f32 v20, v20, v18, -v22
	v_fmac_f32_e32 v19, v21, v18
	v_add_f32_e32 v3, v3, v20
	v_add_f32_e32 v4, v4, v19
.LBB52_421:
	s_or_b64 exec, exec, s[20:21]
.LBB52_422:
	s_or_b64 exec, exec, s[16:17]
	s_and_saveexec_b64 s[14:15], s[36:37]
	s_cbranch_execz .LBB52_424
; %bb.423:
	v_mov_b32_e32 v18, 0
	ds_read_b64 v[18:19], v18 offset:21320
	s_waitcnt lgkmcnt(0)
	v_mul_f32_e32 v20, v4, v19
	v_mul_f32_e32 v21, v3, v19
	v_fma_f32 v3, v3, v18, -v20
	v_fmac_f32_e32 v21, v4, v18
	v_xor_b32_e32 v18, 0x80000000, v3
	v_xor_b32_e32 v19, 0x80000000, v21
	v_mov_b32_e32 v4, v21
	ds_write_b64 v7, v[18:19]
.LBB52_424:
	s_or_b64 exec, exec, s[14:15]
	s_waitcnt lgkmcnt(0)
	s_barrier
	s_and_saveexec_b64 s[14:15], s[34:35]
	s_cbranch_execz .LBB52_426
; %bb.425:
	v_mov_b32_e32 v18, 0
	ds_read_b64 v[18:19], v18 offset:21312
	ds_read_b64 v[20:21], v7
	s_waitcnt lgkmcnt(0)
	v_mul_f32_e32 v22, v21, v19
	v_mul_f32_e32 v19, v20, v19
	v_fma_f32 v20, v20, v18, -v22
	v_fmac_f32_e32 v19, v21, v18
	v_sub_f32_e32 v3, v3, v20
	v_sub_f32_e32 v4, v4, v19
.LBB52_426:
	s_or_b64 exec, exec, s[14:15]
	s_barrier
	s_and_saveexec_b64 s[14:15], s[34:35]
	s_cbranch_execz .LBB52_428
; %bb.427:
	v_mov_b32_e32 v18, 0
	ds_read_b64 v[18:19], v18 offset:20800
	s_waitcnt lgkmcnt(0)
	v_mul_f32_e32 v20, v4, v19
	v_mul_f32_e32 v21, v3, v19
	v_fma_f32 v3, v3, v18, -v20
	v_fmac_f32_e32 v21, v4, v18
	v_xor_b32_e32 v18, 0x80000000, v3
	v_xor_b32_e32 v19, 0x80000000, v21
	v_mov_b32_e32 v4, v21
	ds_write_b64 v7, v[18:19]
.LBB52_428:
	s_or_b64 exec, exec, s[14:15]
	s_waitcnt lgkmcnt(0)
	s_barrier
	s_barrier
	s_and_saveexec_b64 s[14:15], s[6:7]
; %bb.429:
	v_lshlrev_b32_e32 v18, 3, v5
	v_lshl_or_b32 v18, v6, 9, v18
	ds_write_b64 v18, v[3:4] offset:21824
; %bb.430:
	s_or_b64 exec, exec, s[14:15]
	s_waitcnt lgkmcnt(0)
	s_barrier
	s_barrier
	s_and_saveexec_b64 s[14:15], vcc
	s_cbranch_execz .LBB52_432
; %bb.431:
	s_movk_i32 s16, 0x140
	v_mov_b32_e32 v22, 0
	v_add_u32_e64 v18, s16, 0
	ds_read_b64 v[3:4], v22 offset:21320
	ds_read2st64_b64 v[18:21], v18 offset0:40 offset1:41
	s_waitcnt lgkmcnt(0)
	v_mul_f32_e32 v23, v4, v19
	v_mul_f32_e32 v19, v3, v19
	v_fma_f32 v23, v3, v18, -v23
	v_fmac_f32_e32 v19, v4, v18
	v_mul_f32_e32 v3, v19, v21
	v_mul_f32_e32 v4, v23, v21
	v_fma_f32 v3, v23, v20, -v3
	v_fmac_f32_e32 v4, v19, v20
	ds_write_b64 v22, v[3:4] offset:21312
.LBB52_432:
	s_or_b64 exec, exec, s[14:15]
	v_mov_b32_e32 v4, 0
	v_mov_b32_e32 v3, 0
	s_waitcnt lgkmcnt(0)
	s_barrier
	buffer_wbinvl1_vol
	s_and_saveexec_b64 s[16:17], s[10:11]
	s_cbranch_execz .LBB52_442
; %bb.433:
	v_lshlrev_b32_e32 v18, 3, v12
	v_lshlrev_b32_e32 v19, 9, v13
	ds_read_b64 v[3:4], v18 offset:20736
	ds_read_b64 v[20:21], v19 offset:20800
	v_cmp_gt_u32_e64 s[14:15], 56, v8
	s_waitcnt lgkmcnt(0)
	v_mul_f32_e32 v22, v21, v4
	v_mul_f32_e32 v4, v20, v4
	v_fma_f32 v20, v20, v3, -v22
	v_fmac_f32_e32 v4, v21, v3
	v_add_f32_e32 v3, 0, v20
	v_add_f32_e32 v4, 0, v4
	s_and_saveexec_b64 s[20:21], s[14:15]
	s_cbranch_execnz .LBB52_1070
; %bb.434:
	s_or_b64 exec, exec, s[20:21]
	v_cmp_gt_u32_e64 s[14:15], 48, v8
	s_and_saveexec_b64 s[20:21], s[14:15]
	s_cbranch_execnz .LBB52_1071
.LBB52_435:
	s_or_b64 exec, exec, s[20:21]
	v_cmp_gt_u32_e64 s[14:15], 40, v8
	s_and_saveexec_b64 s[20:21], s[14:15]
	s_cbranch_execnz .LBB52_1072
.LBB52_436:
	s_or_b64 exec, exec, s[20:21]
	v_cmp_gt_u32_e64 s[14:15], 32, v8
	s_and_saveexec_b64 s[20:21], s[14:15]
	s_cbranch_execnz .LBB52_1073
.LBB52_437:
	s_or_b64 exec, exec, s[20:21]
	v_cmp_gt_u32_e64 s[14:15], 24, v8
	s_and_saveexec_b64 s[20:21], s[14:15]
	s_cbranch_execnz .LBB52_1074
.LBB52_438:
	s_or_b64 exec, exec, s[20:21]
	s_and_saveexec_b64 s[14:15], s[18:19]
	s_cbranch_execnz .LBB52_1075
.LBB52_439:
	s_or_b64 exec, exec, s[14:15]
	v_cmp_gt_u32_e64 s[14:15], 8, v8
	s_and_saveexec_b64 s[20:21], s[14:15]
	s_cbranch_execz .LBB52_441
.LBB52_440:
	v_lshlrev_b32_e32 v18, 3, v0
	v_mov_b32_e32 v20, 0
	ds_read_b64 v[18:19], v18 offset:24320
	ds_read_b64 v[20:21], v20 offset:24440
	s_waitcnt lgkmcnt(0)
	v_mul_f32_e32 v22, v21, v19
	v_mul_f32_e32 v19, v20, v19
	v_fma_f32 v20, v20, v18, -v22
	v_fmac_f32_e32 v19, v21, v18
	v_add_f32_e32 v3, v3, v20
	v_add_f32_e32 v4, v4, v19
.LBB52_441:
	s_or_b64 exec, exec, s[20:21]
.LBB52_442:
	s_or_b64 exec, exec, s[16:17]
	s_and_saveexec_b64 s[14:15], s[60:61]
	s_cbranch_execz .LBB52_444
; %bb.443:
	v_mov_b32_e32 v18, 0
	ds_read_b64 v[18:19], v18 offset:20280
	s_waitcnt lgkmcnt(0)
	v_mul_f32_e32 v20, v4, v19
	v_mul_f32_e32 v21, v3, v19
	v_fma_f32 v3, v3, v18, -v20
	v_fmac_f32_e32 v21, v4, v18
	v_xor_b32_e32 v18, 0x80000000, v3
	v_xor_b32_e32 v19, 0x80000000, v21
	v_mov_b32_e32 v4, v21
	ds_write_b64 v14, v[18:19]
.LBB52_444:
	s_or_b64 exec, exec, s[14:15]
	s_waitcnt lgkmcnt(0)
	s_barrier
	s_and_saveexec_b64 s[14:15], s[62:63]
	s_cbranch_execz .LBB52_446
; %bb.445:
	v_lshlrev_b32_e32 v18, 3, v12
	ds_read_b64 v[18:19], v18 offset:20224
	ds_read_b64 v[20:21], v14
	s_waitcnt lgkmcnt(0)
	v_mul_f32_e32 v22, v21, v19
	v_mul_f32_e32 v19, v20, v19
	v_fma_f32 v20, v20, v18, -v22
	v_fmac_f32_e32 v19, v21, v18
	v_sub_f32_e32 v3, v3, v20
	v_sub_f32_e32 v4, v4, v19
.LBB52_446:
	s_or_b64 exec, exec, s[14:15]
	s_barrier
	s_and_saveexec_b64 s[14:15], s[64:65]
	s_cbranch_execz .LBB52_448
; %bb.447:
	v_mov_b32_e32 v18, 0
	ds_read_b64 v[18:19], v18 offset:19760
	s_waitcnt lgkmcnt(0)
	v_mul_f32_e32 v20, v4, v19
	v_mul_f32_e32 v21, v3, v19
	v_fma_f32 v3, v3, v18, -v20
	v_fmac_f32_e32 v21, v4, v18
	v_xor_b32_e32 v18, 0x80000000, v3
	v_xor_b32_e32 v19, 0x80000000, v21
	v_mov_b32_e32 v4, v21
	ds_write_b64 v14, v[18:19]
.LBB52_448:
	s_or_b64 exec, exec, s[14:15]
	s_waitcnt lgkmcnt(0)
	s_barrier
	s_and_saveexec_b64 s[14:15], s[66:67]
	s_cbranch_execz .LBB52_450
; %bb.449:
	v_lshlrev_b32_e32 v18, 3, v12
	ds_read_b64 v[18:19], v18 offset:19712
	ds_read_b64 v[20:21], v14
	s_waitcnt lgkmcnt(0)
	v_mul_f32_e32 v22, v21, v19
	v_mul_f32_e32 v19, v20, v19
	v_fma_f32 v20, v20, v18, -v22
	v_fmac_f32_e32 v19, v21, v18
	v_sub_f32_e32 v3, v3, v20
	v_sub_f32_e32 v4, v4, v19
.LBB52_450:
	s_or_b64 exec, exec, s[14:15]
	s_barrier
	;; [unrolled: 34-line block ×6, first 2 shown]
	s_and_saveexec_b64 s[14:15], s[84:85]
	s_cbranch_execz .LBB52_468
; %bb.467:
	v_mov_b32_e32 v18, 0
	ds_read_b64 v[18:19], v18 offset:17160
	s_waitcnt lgkmcnt(0)
	v_mul_f32_e32 v20, v4, v19
	v_mul_f32_e32 v21, v3, v19
	v_fma_f32 v3, v3, v18, -v20
	v_fmac_f32_e32 v21, v4, v18
	v_xor_b32_e32 v18, 0x80000000, v3
	v_xor_b32_e32 v19, 0x80000000, v21
	v_mov_b32_e32 v4, v21
	ds_write_b64 v14, v[18:19]
.LBB52_468:
	s_or_b64 exec, exec, s[14:15]
	s_waitcnt lgkmcnt(0)
	s_barrier
	s_and_saveexec_b64 s[14:15], s[58:59]
	s_cbranch_execz .LBB52_470
; %bb.469:
	v_mov_b32_e32 v18, 0
	ds_read_b64 v[18:19], v18 offset:17152
	ds_read_b64 v[20:21], v14
	s_waitcnt lgkmcnt(0)
	v_mul_f32_e32 v22, v21, v19
	v_mul_f32_e32 v19, v20, v19
	v_fma_f32 v20, v20, v18, -v22
	v_fmac_f32_e32 v19, v21, v18
	v_sub_f32_e32 v3, v3, v20
	v_sub_f32_e32 v4, v4, v19
.LBB52_470:
	s_or_b64 exec, exec, s[14:15]
	s_barrier
	s_and_saveexec_b64 s[14:15], s[58:59]
	s_cbranch_execz .LBB52_472
; %bb.471:
	v_mov_b32_e32 v18, 0
	ds_read_b64 v[18:19], v18 offset:16640
	s_waitcnt lgkmcnt(0)
	v_mul_f32_e32 v20, v4, v19
	v_mul_f32_e32 v21, v3, v19
	v_fma_f32 v3, v3, v18, -v20
	v_fmac_f32_e32 v21, v4, v18
	v_xor_b32_e32 v18, 0x80000000, v3
	v_xor_b32_e32 v19, 0x80000000, v21
	v_mov_b32_e32 v4, v21
	ds_write_b64 v14, v[18:19]
.LBB52_472:
	s_or_b64 exec, exec, s[14:15]
	s_waitcnt lgkmcnt(0)
	s_barrier
	s_barrier
	s_and_saveexec_b64 s[14:15], s[10:11]
; %bb.473:
	v_lshlrev_b32_e32 v18, 3, v12
	v_lshl_or_b32 v18, v13, 9, v18
	ds_write_b64 v18, v[3:4] offset:20736
; %bb.474:
	s_or_b64 exec, exec, s[14:15]
	s_waitcnt lgkmcnt(0)
	s_barrier
	s_barrier
	s_and_saveexec_b64 s[14:15], vcc
	s_cbranch_execz .LBB52_476
; %bb.475:
	s_movk_i32 s16, 0x130
	v_mov_b32_e32 v22, 0
	v_add_u32_e64 v18, s16, 0
	ds_read_b64 v[3:4], v22 offset:20280
	ds_read2st64_b64 v[18:21], v18 offset0:38 offset1:39
	s_waitcnt lgkmcnt(0)
	v_mul_f32_e32 v23, v4, v19
	v_mul_f32_e32 v19, v3, v19
	v_fma_f32 v23, v3, v18, -v23
	v_fmac_f32_e32 v19, v4, v18
	v_mul_f32_e32 v3, v19, v21
	v_mul_f32_e32 v4, v23, v21
	v_fma_f32 v3, v23, v20, -v3
	v_fmac_f32_e32 v4, v19, v20
	ds_write_b64 v22, v[3:4] offset:20272
.LBB52_476:
	s_or_b64 exec, exec, s[14:15]
	v_mov_b32_e32 v3, 0
	v_mov_b32_e32 v4, 0
	s_waitcnt lgkmcnt(0)
	s_barrier
	buffer_wbinvl1_vol
	s_and_saveexec_b64 s[16:17], s[6:7]
	s_cbranch_execz .LBB52_480
; %bb.477:
	v_lshlrev_b32_e32 v3, 3, v5
	v_lshlrev_b32_e32 v18, 9, v6
	ds_read_b64 v[3:4], v3 offset:19744
	ds_read_b64 v[18:19], v18 offset:19760
	v_cmp_gt_u32_e64 s[14:15], 2, v8
	s_waitcnt lgkmcnt(0)
	v_mul_f32_e32 v20, v19, v4
	v_mul_f32_e32 v4, v18, v4
	v_fma_f32 v18, v18, v3, -v20
	v_fmac_f32_e32 v4, v19, v3
	v_add_f32_e32 v3, 0, v18
	v_add_f32_e32 v4, 0, v4
	s_and_saveexec_b64 s[20:21], s[14:15]
	s_cbranch_execz .LBB52_479
; %bb.478:
	v_lshlrev_b32_e32 v18, 3, v0
	v_mov_b32_e32 v20, 0
	ds_read_b64 v[18:19], v18 offset:20256
	ds_read_b64 v[20:21], v20 offset:20280
	s_waitcnt lgkmcnt(0)
	v_mul_f32_e32 v22, v21, v19
	v_mul_f32_e32 v19, v20, v19
	v_fma_f32 v20, v20, v18, -v22
	v_fmac_f32_e32 v19, v21, v18
	v_add_f32_e32 v3, v3, v20
	v_add_f32_e32 v4, v4, v19
.LBB52_479:
	s_or_b64 exec, exec, s[20:21]
.LBB52_480:
	s_or_b64 exec, exec, s[16:17]
	s_and_saveexec_b64 s[14:15], s[36:37]
	s_cbranch_execz .LBB52_482
; %bb.481:
	v_mov_b32_e32 v18, 0
	ds_read_b64 v[18:19], v18 offset:19240
	s_waitcnt lgkmcnt(0)
	v_mul_f32_e32 v20, v4, v19
	v_mul_f32_e32 v21, v3, v19
	v_fma_f32 v3, v3, v18, -v20
	v_fmac_f32_e32 v21, v4, v18
	v_xor_b32_e32 v18, 0x80000000, v3
	v_xor_b32_e32 v19, 0x80000000, v21
	v_mov_b32_e32 v4, v21
	ds_write_b64 v7, v[18:19]
.LBB52_482:
	s_or_b64 exec, exec, s[14:15]
	s_waitcnt lgkmcnt(0)
	s_barrier
	s_and_saveexec_b64 s[14:15], s[34:35]
	s_cbranch_execz .LBB52_484
; %bb.483:
	v_mov_b32_e32 v18, 0
	ds_read_b64 v[18:19], v18 offset:19232
	ds_read_b64 v[20:21], v7
	s_waitcnt lgkmcnt(0)
	v_mul_f32_e32 v22, v21, v19
	v_mul_f32_e32 v19, v20, v19
	v_fma_f32 v20, v20, v18, -v22
	v_fmac_f32_e32 v19, v21, v18
	v_sub_f32_e32 v3, v3, v20
	v_sub_f32_e32 v4, v4, v19
.LBB52_484:
	s_or_b64 exec, exec, s[14:15]
	s_barrier
	s_and_saveexec_b64 s[14:15], s[34:35]
	s_cbranch_execz .LBB52_486
; %bb.485:
	v_mov_b32_e32 v18, 0
	ds_read_b64 v[18:19], v18 offset:18720
	s_waitcnt lgkmcnt(0)
	v_mul_f32_e32 v20, v4, v19
	v_mul_f32_e32 v21, v3, v19
	v_fma_f32 v3, v3, v18, -v20
	v_fmac_f32_e32 v21, v4, v18
	v_xor_b32_e32 v18, 0x80000000, v3
	v_xor_b32_e32 v19, 0x80000000, v21
	v_mov_b32_e32 v4, v21
	ds_write_b64 v7, v[18:19]
.LBB52_486:
	s_or_b64 exec, exec, s[14:15]
	s_waitcnt lgkmcnt(0)
	s_barrier
	s_barrier
	s_and_saveexec_b64 s[14:15], s[6:7]
; %bb.487:
	v_lshlrev_b32_e32 v18, 3, v5
	v_lshl_or_b32 v18, v6, 9, v18
	ds_write_b64 v18, v[3:4] offset:19744
; %bb.488:
	s_or_b64 exec, exec, s[14:15]
	s_waitcnt lgkmcnt(0)
	s_barrier
	s_barrier
	s_and_saveexec_b64 s[14:15], vcc
	s_cbranch_execz .LBB52_490
; %bb.489:
	s_movk_i32 s16, 0x120
	v_mov_b32_e32 v22, 0
	v_add_u32_e64 v18, s16, 0
	ds_read_b64 v[3:4], v22 offset:19240
	ds_read2st64_b64 v[18:21], v18 offset0:36 offset1:37
	s_waitcnt lgkmcnt(0)
	v_mul_f32_e32 v23, v4, v19
	v_mul_f32_e32 v19, v3, v19
	v_fma_f32 v23, v3, v18, -v23
	v_fmac_f32_e32 v19, v4, v18
	v_mul_f32_e32 v3, v19, v21
	v_mul_f32_e32 v4, v23, v21
	v_fma_f32 v3, v23, v20, -v3
	v_fmac_f32_e32 v4, v19, v20
	ds_write_b64 v22, v[3:4] offset:19232
.LBB52_490:
	s_or_b64 exec, exec, s[14:15]
	v_mov_b32_e32 v4, 0
	v_mov_b32_e32 v3, 0
	s_waitcnt lgkmcnt(0)
	s_barrier
	buffer_wbinvl1_vol
	s_and_saveexec_b64 s[16:17], s[18:19]
	s_cbranch_execz .LBB52_496
; %bb.491:
	v_lshlrev_b32_e32 v18, 3, v9
	v_lshlrev_b32_e32 v19, 9, v10
	ds_read_b64 v[3:4], v18 offset:18688
	ds_read_b64 v[20:21], v19 offset:18720
	v_cmp_gt_u32_e64 s[14:15], 12, v8
	s_waitcnt lgkmcnt(0)
	v_mul_f32_e32 v22, v21, v4
	v_mul_f32_e32 v4, v20, v4
	v_fma_f32 v20, v20, v3, -v22
	v_fmac_f32_e32 v4, v21, v3
	v_add_f32_e32 v3, 0, v20
	v_add_f32_e32 v4, 0, v4
	s_and_saveexec_b64 s[20:21], s[14:15]
	s_cbranch_execnz .LBB52_1076
; %bb.492:
	s_or_b64 exec, exec, s[20:21]
	v_cmp_gt_u32_e64 s[14:15], 8, v8
	s_and_saveexec_b64 s[20:21], s[14:15]
	s_cbranch_execnz .LBB52_1077
.LBB52_493:
	s_or_b64 exec, exec, s[20:21]
	v_cmp_gt_u32_e64 s[14:15], 4, v8
	s_and_saveexec_b64 s[20:21], s[14:15]
	s_cbranch_execz .LBB52_495
.LBB52_494:
	v_lshlrev_b32_e32 v18, 3, v0
	v_mov_b32_e32 v20, 0
	ds_read_b64 v[18:19], v18 offset:20224
	ds_read_b64 v[20:21], v20 offset:20280
	s_waitcnt lgkmcnt(0)
	v_mul_f32_e32 v22, v21, v19
	v_mul_f32_e32 v19, v20, v19
	v_fma_f32 v20, v20, v18, -v22
	v_fmac_f32_e32 v19, v21, v18
	v_add_f32_e32 v3, v3, v20
	v_add_f32_e32 v4, v4, v19
.LBB52_495:
	s_or_b64 exec, exec, s[20:21]
.LBB52_496:
	s_or_b64 exec, exec, s[16:17]
	s_and_saveexec_b64 s[14:15], s[42:43]
	s_cbranch_execz .LBB52_498
; %bb.497:
	v_mov_b32_e32 v18, 0
	ds_read_b64 v[18:19], v18 offset:18200
	s_waitcnt lgkmcnt(0)
	v_mul_f32_e32 v20, v4, v19
	v_mul_f32_e32 v21, v3, v19
	v_fma_f32 v3, v3, v18, -v20
	v_fmac_f32_e32 v21, v4, v18
	v_xor_b32_e32 v18, 0x80000000, v3
	v_xor_b32_e32 v19, 0x80000000, v21
	v_mov_b32_e32 v4, v21
	ds_write_b64 v11, v[18:19]
.LBB52_498:
	s_or_b64 exec, exec, s[14:15]
	s_waitcnt lgkmcnt(0)
	s_barrier
	s_and_saveexec_b64 s[14:15], s[44:45]
	s_cbranch_execz .LBB52_500
; %bb.499:
	v_lshlrev_b32_e32 v18, 3, v9
	ds_read_b64 v[18:19], v18 offset:18176
	ds_read_b64 v[20:21], v11
	s_waitcnt lgkmcnt(0)
	v_mul_f32_e32 v22, v21, v19
	v_mul_f32_e32 v19, v20, v19
	v_fma_f32 v20, v20, v18, -v22
	v_fmac_f32_e32 v19, v21, v18
	v_sub_f32_e32 v3, v3, v20
	v_sub_f32_e32 v4, v4, v19
.LBB52_500:
	s_or_b64 exec, exec, s[14:15]
	s_barrier
	s_and_saveexec_b64 s[14:15], s[52:53]
	s_cbranch_execz .LBB52_502
; %bb.501:
	v_mov_b32_e32 v18, 0
	ds_read_b64 v[18:19], v18 offset:17680
	s_waitcnt lgkmcnt(0)
	v_mul_f32_e32 v20, v4, v19
	v_mul_f32_e32 v21, v3, v19
	v_fma_f32 v3, v3, v18, -v20
	v_fmac_f32_e32 v21, v4, v18
	v_xor_b32_e32 v18, 0x80000000, v3
	v_xor_b32_e32 v19, 0x80000000, v21
	v_mov_b32_e32 v4, v21
	ds_write_b64 v11, v[18:19]
.LBB52_502:
	s_or_b64 exec, exec, s[14:15]
	s_waitcnt lgkmcnt(0)
	s_barrier
	s_and_saveexec_b64 s[14:15], s[54:55]
	s_cbranch_execz .LBB52_504
; %bb.503:
	v_lshlrev_b32_e32 v18, 3, v9
	ds_read_b64 v[18:19], v18 offset:17664
	ds_read_b64 v[20:21], v11
	s_waitcnt lgkmcnt(0)
	v_mul_f32_e32 v22, v21, v19
	v_mul_f32_e32 v19, v20, v19
	v_fma_f32 v20, v20, v18, -v22
	v_fmac_f32_e32 v19, v21, v18
	v_sub_f32_e32 v3, v3, v20
	v_sub_f32_e32 v4, v4, v19
.LBB52_504:
	s_or_b64 exec, exec, s[14:15]
	s_barrier
	s_and_saveexec_b64 s[14:15], s[56:57]
	s_cbranch_execz .LBB52_506
; %bb.505:
	v_mov_b32_e32 v18, 0
	ds_read_b64 v[18:19], v18 offset:17160
	s_waitcnt lgkmcnt(0)
	v_mul_f32_e32 v20, v4, v19
	v_mul_f32_e32 v21, v3, v19
	v_fma_f32 v3, v3, v18, -v20
	v_fmac_f32_e32 v21, v4, v18
	v_xor_b32_e32 v18, 0x80000000, v3
	v_xor_b32_e32 v19, 0x80000000, v21
	v_mov_b32_e32 v4, v21
	ds_write_b64 v11, v[18:19]
.LBB52_506:
	s_or_b64 exec, exec, s[14:15]
	s_waitcnt lgkmcnt(0)
	s_barrier
	s_and_saveexec_b64 s[14:15], s[38:39]
	s_cbranch_execz .LBB52_508
; %bb.507:
	v_mov_b32_e32 v18, 0
	ds_read_b64 v[18:19], v18 offset:17152
	ds_read_b64 v[20:21], v11
	s_waitcnt lgkmcnt(0)
	v_mul_f32_e32 v22, v21, v19
	v_mul_f32_e32 v19, v20, v19
	v_fma_f32 v20, v20, v18, -v22
	v_fmac_f32_e32 v19, v21, v18
	v_sub_f32_e32 v3, v3, v20
	v_sub_f32_e32 v4, v4, v19
.LBB52_508:
	s_or_b64 exec, exec, s[14:15]
	s_barrier
	s_and_saveexec_b64 s[14:15], s[38:39]
	s_cbranch_execz .LBB52_510
; %bb.509:
	v_mov_b32_e32 v18, 0
	ds_read_b64 v[18:19], v18 offset:16640
	s_waitcnt lgkmcnt(0)
	v_mul_f32_e32 v20, v4, v19
	v_mul_f32_e32 v21, v3, v19
	v_fma_f32 v3, v3, v18, -v20
	v_fmac_f32_e32 v21, v4, v18
	v_xor_b32_e32 v18, 0x80000000, v3
	v_xor_b32_e32 v19, 0x80000000, v21
	v_mov_b32_e32 v4, v21
	ds_write_b64 v11, v[18:19]
.LBB52_510:
	s_or_b64 exec, exec, s[14:15]
	s_waitcnt lgkmcnt(0)
	s_barrier
	s_barrier
	s_and_saveexec_b64 s[14:15], s[18:19]
; %bb.511:
	v_lshlrev_b32_e32 v18, 3, v9
	v_lshl_or_b32 v18, v10, 9, v18
	ds_write_b64 v18, v[3:4] offset:18688
; %bb.512:
	s_or_b64 exec, exec, s[14:15]
	s_waitcnt lgkmcnt(0)
	s_barrier
	s_barrier
	s_and_saveexec_b64 s[14:15], vcc
	s_cbranch_execz .LBB52_514
; %bb.513:
	s_movk_i32 s16, 0x110
	v_mov_b32_e32 v22, 0
	v_add_u32_e64 v18, s16, 0
	ds_read_b64 v[3:4], v22 offset:18200
	ds_read2st64_b64 v[18:21], v18 offset0:34 offset1:35
	s_waitcnt lgkmcnt(0)
	v_mul_f32_e32 v23, v4, v19
	v_mul_f32_e32 v19, v3, v19
	v_fma_f32 v23, v3, v18, -v23
	v_fmac_f32_e32 v19, v4, v18
	v_mul_f32_e32 v3, v19, v21
	v_mul_f32_e32 v4, v23, v21
	v_fma_f32 v3, v23, v20, -v3
	v_fmac_f32_e32 v4, v19, v20
	ds_write_b64 v22, v[3:4] offset:18192
.LBB52_514:
	s_or_b64 exec, exec, s[14:15]
	v_mov_b32_e32 v3, 0
	v_mov_b32_e32 v4, 0
	s_waitcnt lgkmcnt(0)
	s_barrier
	buffer_wbinvl1_vol
	s_and_saveexec_b64 s[16:17], s[6:7]
	s_cbranch_execz .LBB52_518
; %bb.515:
	v_lshlrev_b32_e32 v3, 3, v5
	v_lshlrev_b32_e32 v18, 9, v6
	ds_read_b64 v[3:4], v3 offset:17664
	ds_read_b64 v[18:19], v18 offset:17680
	v_cmp_gt_u32_e64 s[14:15], 2, v8
	s_waitcnt lgkmcnt(0)
	v_mul_f32_e32 v20, v19, v4
	v_mul_f32_e32 v4, v18, v4
	v_fma_f32 v18, v18, v3, -v20
	v_fmac_f32_e32 v4, v19, v3
	v_add_f32_e32 v3, 0, v18
	v_add_f32_e32 v4, 0, v4
	s_and_saveexec_b64 s[20:21], s[14:15]
	s_cbranch_execz .LBB52_517
; %bb.516:
	v_lshlrev_b32_e32 v18, 3, v0
	v_mov_b32_e32 v20, 0
	ds_read_b64 v[18:19], v18 offset:18176
	ds_read_b64 v[20:21], v20 offset:18200
	s_waitcnt lgkmcnt(0)
	v_mul_f32_e32 v22, v21, v19
	v_mul_f32_e32 v19, v20, v19
	v_fma_f32 v20, v20, v18, -v22
	v_fmac_f32_e32 v19, v21, v18
	v_add_f32_e32 v3, v3, v20
	v_add_f32_e32 v4, v4, v19
.LBB52_517:
	s_or_b64 exec, exec, s[20:21]
.LBB52_518:
	s_or_b64 exec, exec, s[16:17]
	s_and_saveexec_b64 s[14:15], s[36:37]
	s_cbranch_execz .LBB52_520
; %bb.519:
	v_mov_b32_e32 v18, 0
	ds_read_b64 v[18:19], v18 offset:17160
	s_waitcnt lgkmcnt(0)
	v_mul_f32_e32 v20, v4, v19
	v_mul_f32_e32 v21, v3, v19
	v_fma_f32 v3, v3, v18, -v20
	v_fmac_f32_e32 v21, v4, v18
	v_xor_b32_e32 v18, 0x80000000, v3
	v_xor_b32_e32 v19, 0x80000000, v21
	v_mov_b32_e32 v4, v21
	ds_write_b64 v7, v[18:19]
.LBB52_520:
	s_or_b64 exec, exec, s[14:15]
	s_waitcnt lgkmcnt(0)
	s_barrier
	s_and_saveexec_b64 s[14:15], s[34:35]
	s_cbranch_execz .LBB52_522
; %bb.521:
	v_mov_b32_e32 v18, 0
	ds_read_b64 v[18:19], v18 offset:17152
	ds_read_b64 v[20:21], v7
	s_waitcnt lgkmcnt(0)
	v_mul_f32_e32 v22, v21, v19
	v_mul_f32_e32 v19, v20, v19
	v_fma_f32 v20, v20, v18, -v22
	v_fmac_f32_e32 v19, v21, v18
	v_sub_f32_e32 v3, v3, v20
	v_sub_f32_e32 v4, v4, v19
.LBB52_522:
	s_or_b64 exec, exec, s[14:15]
	s_barrier
	s_and_saveexec_b64 s[14:15], s[34:35]
	s_cbranch_execz .LBB52_524
; %bb.523:
	v_mov_b32_e32 v18, 0
	ds_read_b64 v[18:19], v18 offset:16640
	s_waitcnt lgkmcnt(0)
	v_mul_f32_e32 v20, v4, v19
	v_mul_f32_e32 v21, v3, v19
	v_fma_f32 v3, v3, v18, -v20
	v_fmac_f32_e32 v21, v4, v18
	v_xor_b32_e32 v18, 0x80000000, v3
	v_xor_b32_e32 v19, 0x80000000, v21
	v_mov_b32_e32 v4, v21
	ds_write_b64 v7, v[18:19]
.LBB52_524:
	s_or_b64 exec, exec, s[14:15]
	s_waitcnt lgkmcnt(0)
	s_barrier
	s_barrier
	s_and_saveexec_b64 s[14:15], s[6:7]
; %bb.525:
	v_lshlrev_b32_e32 v18, 3, v5
	v_lshl_or_b32 v18, v6, 9, v18
	ds_write_b64 v18, v[3:4] offset:17664
; %bb.526:
	s_or_b64 exec, exec, s[14:15]
	s_waitcnt lgkmcnt(0)
	s_barrier
	s_barrier
	s_and_saveexec_b64 s[14:15], vcc
	s_cbranch_execz .LBB52_528
; %bb.527:
	s_movk_i32 s16, 0x100
	v_mov_b32_e32 v22, 0
	v_add_u32_e64 v18, s16, 0
	ds_read_b64 v[3:4], v22 offset:17160
	ds_read2st64_b64 v[18:21], v18 offset0:32 offset1:33
	s_waitcnt lgkmcnt(0)
	v_mul_f32_e32 v23, v4, v19
	v_mul_f32_e32 v19, v3, v19
	v_fma_f32 v23, v3, v18, -v23
	v_fmac_f32_e32 v19, v4, v18
	v_mul_f32_e32 v3, v19, v21
	v_mul_f32_e32 v4, v23, v21
	v_fma_f32 v3, v23, v20, -v3
	v_fmac_f32_e32 v4, v19, v20
	ds_write_b64 v22, v[3:4] offset:17152
.LBB52_528:
	s_or_b64 exec, exec, s[14:15]
	s_movk_i32 s14, 0x3ff
	v_lshrrev_b32_e32 v20, 5, v8
	v_cmp_lt_u32_e64 s[16:17], s14, v8
	s_movk_i32 s14, 0x400
	v_and_b32_e32 v18, 31, v0
	v_sub_u32_e32 v19, 31, v20
	v_cmp_gt_u32_e64 s[14:15], s14, v8
	v_mov_b32_e32 v4, 0
	v_mov_b32_e32 v3, 0
	s_waitcnt lgkmcnt(0)
	s_barrier
	buffer_wbinvl1_vol
	s_and_saveexec_b64 s[28:29], s[14:15]
	s_cbranch_execz .LBB52_590
; %bb.529:
	v_lshlrev_b32_e32 v21, 3, v18
	v_lshlrev_b32_e32 v22, 9, v19
	ds_read_b64 v[3:4], v21 offset:16384
	ds_read_b64 v[23:24], v22 offset:16640
	s_movk_i32 s20, 0x3e0
	v_cmp_gt_u32_e64 s[20:21], s20, v8
	s_waitcnt lgkmcnt(0)
	v_mul_f32_e32 v25, v24, v4
	v_mul_f32_e32 v4, v23, v4
	v_fma_f32 v23, v23, v3, -v25
	v_fmac_f32_e32 v4, v24, v3
	v_add_f32_e32 v3, 0, v23
	v_add_f32_e32 v4, 0, v4
	s_and_saveexec_b64 s[86:87], s[20:21]
	s_cbranch_execz .LBB52_531
; %bb.530:
	ds_read_b64 v[23:24], v21 offset:16896
	ds_read_b64 v[25:26], v22 offset:16648
	s_waitcnt lgkmcnt(0)
	v_mul_f32_e32 v27, v26, v24
	v_mul_f32_e32 v24, v25, v24
	v_fma_f32 v25, v25, v23, -v27
	v_fmac_f32_e32 v24, v26, v23
	v_add_f32_e32 v3, v3, v25
	v_add_f32_e32 v4, v4, v24
.LBB52_531:
	s_or_b64 exec, exec, s[86:87]
	s_movk_i32 s20, 0x3c0
	v_cmp_gt_u32_e64 s[20:21], s20, v8
	s_and_saveexec_b64 s[86:87], s[20:21]
	s_cbranch_execz .LBB52_533
; %bb.532:
	ds_read_b64 v[23:24], v21 offset:17408
	ds_read_b64 v[25:26], v22 offset:16656
	s_waitcnt lgkmcnt(0)
	v_mul_f32_e32 v27, v26, v24
	v_mul_f32_e32 v24, v25, v24
	v_fma_f32 v25, v25, v23, -v27
	v_fmac_f32_e32 v24, v26, v23
	v_add_f32_e32 v3, v3, v25
	v_add_f32_e32 v4, v4, v24
.LBB52_533:
	s_or_b64 exec, exec, s[86:87]
	s_movk_i32 s20, 0x3a0
	v_cmp_gt_u32_e64 s[20:21], s20, v8
	;; [unrolled: 16-line block ×22, first 2 shown]
	s_and_saveexec_b64 s[86:87], s[20:21]
	s_cbranch_execz .LBB52_575
; %bb.574:
	ds_read_b64 v[23:24], v21 offset:28160
	ds_read_b64 v[25:26], v22 offset:16824
	s_waitcnt lgkmcnt(0)
	v_mul_f32_e32 v27, v26, v24
	v_mul_f32_e32 v24, v25, v24
	v_fma_f32 v25, v25, v23, -v27
	v_fmac_f32_e32 v24, v26, v23
	v_add_f32_e32 v3, v3, v25
	v_add_f32_e32 v4, v4, v24
.LBB52_575:
	s_or_b64 exec, exec, s[86:87]
	s_and_saveexec_b64 s[20:21], s[12:13]
	s_cbranch_execz .LBB52_577
; %bb.576:
	ds_read_b64 v[23:24], v21 offset:28672
	ds_read_b64 v[25:26], v22 offset:16832
	s_waitcnt lgkmcnt(0)
	v_mul_f32_e32 v27, v26, v24
	v_mul_f32_e32 v24, v25, v24
	v_fma_f32 v25, v25, v23, -v27
	v_fmac_f32_e32 v24, v26, v23
	v_add_f32_e32 v3, v3, v25
	v_add_f32_e32 v4, v4, v24
.LBB52_577:
	s_or_b64 exec, exec, s[20:21]
	s_movk_i32 s20, 0xe0
	v_cmp_gt_u32_e64 s[20:21], s20, v8
	s_and_saveexec_b64 s[86:87], s[20:21]
	s_cbranch_execz .LBB52_579
; %bb.578:
	ds_read_b64 v[23:24], v21 offset:29184
	ds_read_b64 v[25:26], v22 offset:16840
	s_waitcnt lgkmcnt(0)
	v_mul_f32_e32 v27, v26, v24
	v_mul_f32_e32 v24, v25, v24
	v_fma_f32 v25, v25, v23, -v27
	v_fmac_f32_e32 v24, v26, v23
	v_add_f32_e32 v3, v3, v25
	v_add_f32_e32 v4, v4, v24
.LBB52_579:
	s_or_b64 exec, exec, s[86:87]
	s_movk_i32 s20, 0xc0
	v_cmp_gt_u32_e64 s[20:21], s20, v8
	;; [unrolled: 16-line block ×5, first 2 shown]
	s_and_saveexec_b64 s[86:87], s[20:21]
	s_cbranch_execnz .LBB52_1078
; %bb.586:
	s_or_b64 exec, exec, s[86:87]
	s_and_saveexec_b64 s[20:21], s[10:11]
	s_cbranch_execnz .LBB52_1079
.LBB52_587:
	s_or_b64 exec, exec, s[20:21]
	v_cmp_gt_u32_e64 s[20:21], 32, v8
	s_and_saveexec_b64 s[86:87], s[20:21]
	s_cbranch_execz .LBB52_589
.LBB52_588:
	ds_read_b64 v[23:24], v21 offset:32256
	ds_read_b64 v[21:22], v22 offset:16888
	s_waitcnt lgkmcnt(0)
	v_mul_f32_e32 v25, v22, v24
	v_mul_f32_e32 v24, v21, v24
	v_fma_f32 v21, v21, v23, -v25
	v_fmac_f32_e32 v24, v22, v23
	v_add_f32_e32 v3, v3, v21
	v_add_f32_e32 v4, v4, v24
.LBB52_589:
	s_or_b64 exec, exec, s[86:87]
.LBB52_590:
	s_or_b64 exec, exec, s[28:29]
	v_mov_b32_e32 v21, 0x8000
	s_movk_i32 s20, 0x208
	v_lshlrev_b32_e32 v22, 9, v18
	v_mov_b32_e32 v23, 0x3c00
	v_lshl_add_u32 v20, v20, 3, v21
	v_mul_u32_u24_e32 v21, 0x208, v18
	v_sub_u32_e32 v22, 0, v22
	v_mad_u32_u24 v23, v18, s20, v23
	s_mov_b32 s28, 31
	s_xor_b64 s[20:21], s[16:17], -1
	s_branch .LBB52_592
.LBB52_591:                             ;   in Loop: Header=BB52_592 Depth=1
	s_or_b64 exec, exec, s[16:17]
	s_add_i32 s28, s28, -2
	s_cmp_eq_u32 s29, 0
	v_add_u32_e32 v22, 0xfffffc00, v22
	s_barrier
	s_cbranch_scc1 .LBB52_600
.LBB52_592:                             ; =>This Inner Loop Header: Depth=1
	s_movk_i32 s16, 0xc200
	v_cmp_eq_u32_e64 s[16:17], s16, v22
	s_and_b64 s[86:87], s[20:21], s[16:17]
	s_and_saveexec_b64 s[16:17], s[86:87]
	s_cbranch_execz .LBB52_594
; %bb.593:                              ;   in Loop: Header=BB52_592 Depth=1
	ds_read_b64 v[24:25], v21
	s_waitcnt lgkmcnt(0)
	v_mul_f32_e32 v26, v4, v25
	v_mul_f32_e32 v27, v3, v25
	v_fma_f32 v3, v3, v24, -v26
	v_fmac_f32_e32 v27, v4, v24
	v_xor_b32_e32 v24, 0x80000000, v3
	v_xor_b32_e32 v25, 0x80000000, v27
	v_mov_b32_e32 v4, v27
	ds_write_b64 v20, v[24:25]
.LBB52_594:                             ;   in Loop: Header=BB52_592 Depth=1
	s_or_b64 exec, exec, s[16:17]
	v_cmp_gt_u32_e64 s[16:17], s28, v18
	s_and_b64 s[86:87], s[20:21], s[16:17]
	v_add_u32_e32 v24, v23, v22
	s_waitcnt lgkmcnt(0)
	s_barrier
	s_and_saveexec_b64 s[16:17], s[86:87]
	s_cbranch_execz .LBB52_596
; %bb.595:                              ;   in Loop: Header=BB52_592 Depth=1
	ds_read_b64 v[25:26], v24 offset:512
	ds_read_b64 v[27:28], v20
	s_waitcnt lgkmcnt(0)
	v_mul_f32_e32 v29, v28, v26
	v_mul_f32_e32 v26, v27, v26
	v_fma_f32 v27, v27, v25, -v29
	v_fmac_f32_e32 v26, v28, v25
	v_sub_f32_e32 v3, v3, v27
	v_sub_f32_e32 v4, v4, v26
.LBB52_596:                             ;   in Loop: Header=BB52_592 Depth=1
	s_or_b64 exec, exec, s[16:17]
	s_add_i32 s29, s28, -1
	v_cmp_eq_u32_e64 s[16:17], s29, v18
	s_and_b64 s[86:87], s[20:21], s[16:17]
	s_barrier
	s_and_saveexec_b64 s[16:17], s[86:87]
	s_cbranch_execz .LBB52_598
; %bb.597:                              ;   in Loop: Header=BB52_592 Depth=1
	ds_read_b64 v[25:26], v21
	s_waitcnt lgkmcnt(0)
	v_mul_f32_e32 v27, v4, v26
	v_mul_f32_e32 v28, v3, v26
	v_fma_f32 v3, v3, v25, -v27
	v_fmac_f32_e32 v28, v4, v25
	v_xor_b32_e32 v25, 0x80000000, v3
	v_xor_b32_e32 v26, 0x80000000, v28
	v_mov_b32_e32 v4, v28
	ds_write_b64 v20, v[25:26]
.LBB52_598:                             ;   in Loop: Header=BB52_592 Depth=1
	s_or_b64 exec, exec, s[16:17]
	v_cmp_gt_u32_e64 s[16:17], s29, v18
	s_and_b64 s[86:87], s[20:21], s[16:17]
	s_waitcnt lgkmcnt(0)
	s_barrier
	s_and_saveexec_b64 s[16:17], s[86:87]
	s_cbranch_execz .LBB52_591
; %bb.599:                              ;   in Loop: Header=BB52_592 Depth=1
	ds_read_b64 v[24:25], v24
	ds_read_b64 v[26:27], v20
	s_waitcnt lgkmcnt(0)
	v_mul_f32_e32 v28, v27, v25
	v_mul_f32_e32 v25, v26, v25
	v_fma_f32 v26, v26, v24, -v28
	v_fmac_f32_e32 v25, v27, v24
	v_sub_f32_e32 v3, v3, v26
	v_sub_f32_e32 v4, v4, v25
	s_branch .LBB52_591
.LBB52_600:
	s_and_saveexec_b64 s[16:17], s[14:15]
; %bb.601:
	v_lshlrev_b32_e32 v18, 3, v18
	v_lshl_or_b32 v18, v19, 9, v18
	ds_write_b64 v18, v[3:4] offset:16384
; %bb.602:
	s_or_b64 exec, exec, s[16:17]
	s_waitcnt lgkmcnt(0)
	s_barrier
	s_barrier
	s_and_saveexec_b64 s[14:15], vcc
	s_cbranch_execz .LBB52_604
; %bb.603:
	s_movk_i32 s16, 0xf0
	v_mov_b32_e32 v22, 0
	v_add_u32_e64 v18, s16, 0
	ds_read_b64 v[3:4], v22 offset:16120
	ds_read2st64_b64 v[18:21], v18 offset0:30 offset1:31
	s_waitcnt lgkmcnt(0)
	v_mul_f32_e32 v23, v4, v19
	v_mul_f32_e32 v19, v3, v19
	v_fma_f32 v23, v3, v18, -v23
	v_fmac_f32_e32 v19, v4, v18
	v_mul_f32_e32 v3, v19, v21
	v_mul_f32_e32 v4, v23, v21
	v_fma_f32 v3, v23, v20, -v3
	v_fmac_f32_e32 v4, v19, v20
	ds_write_b64 v22, v[3:4] offset:16112
.LBB52_604:
	s_or_b64 exec, exec, s[14:15]
	v_mov_b32_e32 v3, 0
	v_mov_b32_e32 v4, 0
	s_waitcnt lgkmcnt(0)
	s_barrier
	buffer_wbinvl1_vol
	s_and_saveexec_b64 s[16:17], s[6:7]
	s_cbranch_execz .LBB52_608
; %bb.605:
	v_lshlrev_b32_e32 v3, 3, v5
	v_lshlrev_b32_e32 v18, 9, v6
	ds_read_b64 v[3:4], v3 offset:15584
	ds_read_b64 v[18:19], v18 offset:15600
	v_cmp_gt_u32_e64 s[14:15], 2, v8
	s_waitcnt lgkmcnt(0)
	v_mul_f32_e32 v20, v19, v4
	v_mul_f32_e32 v4, v18, v4
	v_fma_f32 v18, v18, v3, -v20
	v_fmac_f32_e32 v4, v19, v3
	v_add_f32_e32 v3, 0, v18
	v_add_f32_e32 v4, 0, v4
	s_and_saveexec_b64 s[20:21], s[14:15]
	s_cbranch_execz .LBB52_607
; %bb.606:
	v_lshlrev_b32_e32 v18, 3, v0
	v_mov_b32_e32 v20, 0
	ds_read_b64 v[18:19], v18 offset:16096
	ds_read_b64 v[20:21], v20 offset:16120
	s_waitcnt lgkmcnt(0)
	v_mul_f32_e32 v22, v21, v19
	v_mul_f32_e32 v19, v20, v19
	v_fma_f32 v20, v20, v18, -v22
	v_fmac_f32_e32 v19, v21, v18
	v_add_f32_e32 v3, v3, v20
	v_add_f32_e32 v4, v4, v19
.LBB52_607:
	s_or_b64 exec, exec, s[20:21]
.LBB52_608:
	s_or_b64 exec, exec, s[16:17]
	s_and_saveexec_b64 s[14:15], s[36:37]
	s_cbranch_execz .LBB52_610
; %bb.609:
	v_mov_b32_e32 v18, 0
	ds_read_b64 v[18:19], v18 offset:15080
	s_waitcnt lgkmcnt(0)
	v_mul_f32_e32 v20, v4, v19
	v_mul_f32_e32 v21, v3, v19
	v_fma_f32 v3, v3, v18, -v20
	v_fmac_f32_e32 v21, v4, v18
	v_xor_b32_e32 v18, 0x80000000, v3
	v_xor_b32_e32 v19, 0x80000000, v21
	v_mov_b32_e32 v4, v21
	ds_write_b64 v7, v[18:19]
.LBB52_610:
	s_or_b64 exec, exec, s[14:15]
	s_waitcnt lgkmcnt(0)
	s_barrier
	s_and_saveexec_b64 s[14:15], s[34:35]
	s_cbranch_execz .LBB52_612
; %bb.611:
	v_mov_b32_e32 v18, 0
	ds_read_b64 v[18:19], v18 offset:15072
	ds_read_b64 v[20:21], v7
	s_waitcnt lgkmcnt(0)
	v_mul_f32_e32 v22, v21, v19
	v_mul_f32_e32 v19, v20, v19
	v_fma_f32 v20, v20, v18, -v22
	v_fmac_f32_e32 v19, v21, v18
	v_sub_f32_e32 v3, v3, v20
	v_sub_f32_e32 v4, v4, v19
.LBB52_612:
	s_or_b64 exec, exec, s[14:15]
	s_barrier
	s_and_saveexec_b64 s[14:15], s[34:35]
	s_cbranch_execz .LBB52_614
; %bb.613:
	v_mov_b32_e32 v18, 0
	ds_read_b64 v[18:19], v18 offset:14560
	s_waitcnt lgkmcnt(0)
	v_mul_f32_e32 v20, v4, v19
	v_mul_f32_e32 v21, v3, v19
	v_fma_f32 v3, v3, v18, -v20
	v_fmac_f32_e32 v21, v4, v18
	v_xor_b32_e32 v18, 0x80000000, v3
	v_xor_b32_e32 v19, 0x80000000, v21
	v_mov_b32_e32 v4, v21
	ds_write_b64 v7, v[18:19]
.LBB52_614:
	s_or_b64 exec, exec, s[14:15]
	s_waitcnt lgkmcnt(0)
	s_barrier
	s_barrier
	s_and_saveexec_b64 s[14:15], s[6:7]
; %bb.615:
	v_lshlrev_b32_e32 v18, 3, v5
	v_lshl_or_b32 v18, v6, 9, v18
	ds_write_b64 v18, v[3:4] offset:15584
; %bb.616:
	s_or_b64 exec, exec, s[14:15]
	s_waitcnt lgkmcnt(0)
	s_barrier
	s_barrier
	s_and_saveexec_b64 s[14:15], vcc
	s_cbranch_execz .LBB52_618
; %bb.617:
	s_movk_i32 s16, 0xe0
	v_mov_b32_e32 v22, 0
	v_add_u32_e64 v18, s16, 0
	ds_read_b64 v[3:4], v22 offset:15080
	ds_read2st64_b64 v[18:21], v18 offset0:28 offset1:29
	s_waitcnt lgkmcnt(0)
	v_mul_f32_e32 v23, v4, v19
	v_mul_f32_e32 v19, v3, v19
	v_fma_f32 v23, v3, v18, -v23
	v_fmac_f32_e32 v19, v4, v18
	v_mul_f32_e32 v3, v19, v21
	v_mul_f32_e32 v4, v23, v21
	v_fma_f32 v3, v23, v20, -v3
	v_fmac_f32_e32 v4, v19, v20
	ds_write_b64 v22, v[3:4] offset:15072
.LBB52_618:
	s_or_b64 exec, exec, s[14:15]
	v_mov_b32_e32 v4, 0
	v_mov_b32_e32 v3, 0
	s_waitcnt lgkmcnt(0)
	s_barrier
	buffer_wbinvl1_vol
	s_and_saveexec_b64 s[16:17], s[18:19]
	s_cbranch_execz .LBB52_624
; %bb.619:
	v_lshlrev_b32_e32 v18, 3, v9
	v_lshlrev_b32_e32 v19, 9, v10
	ds_read_b64 v[3:4], v18 offset:14528
	ds_read_b64 v[20:21], v19 offset:14560
	v_cmp_gt_u32_e64 s[14:15], 12, v8
	s_waitcnt lgkmcnt(0)
	v_mul_f32_e32 v22, v21, v4
	v_mul_f32_e32 v4, v20, v4
	v_fma_f32 v20, v20, v3, -v22
	v_fmac_f32_e32 v4, v21, v3
	v_add_f32_e32 v3, 0, v20
	v_add_f32_e32 v4, 0, v4
	s_and_saveexec_b64 s[20:21], s[14:15]
	s_cbranch_execnz .LBB52_1080
; %bb.620:
	s_or_b64 exec, exec, s[20:21]
	v_cmp_gt_u32_e64 s[14:15], 8, v8
	s_and_saveexec_b64 s[20:21], s[14:15]
	s_cbranch_execnz .LBB52_1081
.LBB52_621:
	s_or_b64 exec, exec, s[20:21]
	v_cmp_gt_u32_e64 s[14:15], 4, v8
	s_and_saveexec_b64 s[20:21], s[14:15]
	s_cbranch_execz .LBB52_623
.LBB52_622:
	v_lshlrev_b32_e32 v18, 3, v0
	v_mov_b32_e32 v20, 0
	ds_read_b64 v[18:19], v18 offset:16064
	ds_read_b64 v[20:21], v20 offset:16120
	s_waitcnt lgkmcnt(0)
	v_mul_f32_e32 v22, v21, v19
	v_mul_f32_e32 v19, v20, v19
	v_fma_f32 v20, v20, v18, -v22
	v_fmac_f32_e32 v19, v21, v18
	v_add_f32_e32 v3, v3, v20
	v_add_f32_e32 v4, v4, v19
.LBB52_623:
	s_or_b64 exec, exec, s[20:21]
.LBB52_624:
	s_or_b64 exec, exec, s[16:17]
	s_and_saveexec_b64 s[14:15], s[42:43]
	s_cbranch_execz .LBB52_626
; %bb.625:
	v_mov_b32_e32 v18, 0
	ds_read_b64 v[18:19], v18 offset:14040
	s_waitcnt lgkmcnt(0)
	v_mul_f32_e32 v20, v4, v19
	v_mul_f32_e32 v21, v3, v19
	v_fma_f32 v3, v3, v18, -v20
	v_fmac_f32_e32 v21, v4, v18
	v_xor_b32_e32 v18, 0x80000000, v3
	v_xor_b32_e32 v19, 0x80000000, v21
	v_mov_b32_e32 v4, v21
	ds_write_b64 v11, v[18:19]
.LBB52_626:
	s_or_b64 exec, exec, s[14:15]
	s_waitcnt lgkmcnt(0)
	s_barrier
	s_and_saveexec_b64 s[14:15], s[44:45]
	s_cbranch_execz .LBB52_628
; %bb.627:
	v_lshlrev_b32_e32 v18, 3, v9
	ds_read_b64 v[18:19], v18 offset:14016
	ds_read_b64 v[20:21], v11
	s_waitcnt lgkmcnt(0)
	v_mul_f32_e32 v22, v21, v19
	v_mul_f32_e32 v19, v20, v19
	v_fma_f32 v20, v20, v18, -v22
	v_fmac_f32_e32 v19, v21, v18
	v_sub_f32_e32 v3, v3, v20
	v_sub_f32_e32 v4, v4, v19
.LBB52_628:
	s_or_b64 exec, exec, s[14:15]
	s_barrier
	s_and_saveexec_b64 s[14:15], s[52:53]
	s_cbranch_execz .LBB52_630
; %bb.629:
	v_mov_b32_e32 v18, 0
	ds_read_b64 v[18:19], v18 offset:13520
	s_waitcnt lgkmcnt(0)
	v_mul_f32_e32 v20, v4, v19
	v_mul_f32_e32 v21, v3, v19
	v_fma_f32 v3, v3, v18, -v20
	v_fmac_f32_e32 v21, v4, v18
	v_xor_b32_e32 v18, 0x80000000, v3
	v_xor_b32_e32 v19, 0x80000000, v21
	v_mov_b32_e32 v4, v21
	ds_write_b64 v11, v[18:19]
.LBB52_630:
	s_or_b64 exec, exec, s[14:15]
	s_waitcnt lgkmcnt(0)
	s_barrier
	s_and_saveexec_b64 s[14:15], s[54:55]
	s_cbranch_execz .LBB52_632
; %bb.631:
	v_lshlrev_b32_e32 v18, 3, v9
	ds_read_b64 v[18:19], v18 offset:13504
	ds_read_b64 v[20:21], v11
	s_waitcnt lgkmcnt(0)
	v_mul_f32_e32 v22, v21, v19
	v_mul_f32_e32 v19, v20, v19
	v_fma_f32 v20, v20, v18, -v22
	v_fmac_f32_e32 v19, v21, v18
	v_sub_f32_e32 v3, v3, v20
	v_sub_f32_e32 v4, v4, v19
.LBB52_632:
	s_or_b64 exec, exec, s[14:15]
	s_barrier
	s_and_saveexec_b64 s[14:15], s[56:57]
	s_cbranch_execz .LBB52_634
; %bb.633:
	v_mov_b32_e32 v18, 0
	ds_read_b64 v[18:19], v18 offset:13000
	s_waitcnt lgkmcnt(0)
	v_mul_f32_e32 v20, v4, v19
	v_mul_f32_e32 v21, v3, v19
	v_fma_f32 v3, v3, v18, -v20
	v_fmac_f32_e32 v21, v4, v18
	v_xor_b32_e32 v18, 0x80000000, v3
	v_xor_b32_e32 v19, 0x80000000, v21
	v_mov_b32_e32 v4, v21
	ds_write_b64 v11, v[18:19]
.LBB52_634:
	s_or_b64 exec, exec, s[14:15]
	s_waitcnt lgkmcnt(0)
	s_barrier
	s_and_saveexec_b64 s[14:15], s[38:39]
	s_cbranch_execz .LBB52_636
; %bb.635:
	v_mov_b32_e32 v18, 0
	ds_read_b64 v[18:19], v18 offset:12992
	ds_read_b64 v[20:21], v11
	s_waitcnt lgkmcnt(0)
	v_mul_f32_e32 v22, v21, v19
	v_mul_f32_e32 v19, v20, v19
	v_fma_f32 v20, v20, v18, -v22
	v_fmac_f32_e32 v19, v21, v18
	v_sub_f32_e32 v3, v3, v20
	v_sub_f32_e32 v4, v4, v19
.LBB52_636:
	s_or_b64 exec, exec, s[14:15]
	s_barrier
	s_and_saveexec_b64 s[14:15], s[38:39]
	s_cbranch_execz .LBB52_638
; %bb.637:
	v_mov_b32_e32 v18, 0
	ds_read_b64 v[18:19], v18 offset:12480
	s_waitcnt lgkmcnt(0)
	v_mul_f32_e32 v20, v4, v19
	v_mul_f32_e32 v21, v3, v19
	v_fma_f32 v3, v3, v18, -v20
	v_fmac_f32_e32 v21, v4, v18
	v_xor_b32_e32 v18, 0x80000000, v3
	v_xor_b32_e32 v19, 0x80000000, v21
	v_mov_b32_e32 v4, v21
	ds_write_b64 v11, v[18:19]
.LBB52_638:
	s_or_b64 exec, exec, s[14:15]
	s_waitcnt lgkmcnt(0)
	s_barrier
	s_barrier
	s_and_saveexec_b64 s[14:15], s[18:19]
; %bb.639:
	v_lshlrev_b32_e32 v18, 3, v9
	v_lshl_or_b32 v18, v10, 9, v18
	ds_write_b64 v18, v[3:4] offset:14528
; %bb.640:
	s_or_b64 exec, exec, s[14:15]
	s_waitcnt lgkmcnt(0)
	s_barrier
	s_barrier
	s_and_saveexec_b64 s[14:15], vcc
	s_cbranch_execz .LBB52_642
; %bb.641:
	s_movk_i32 s16, 0xd0
	v_mov_b32_e32 v22, 0
	v_add_u32_e64 v18, s16, 0
	ds_read_b64 v[3:4], v22 offset:14040
	ds_read2st64_b64 v[18:21], v18 offset0:26 offset1:27
	s_waitcnt lgkmcnt(0)
	v_mul_f32_e32 v23, v4, v19
	v_mul_f32_e32 v19, v3, v19
	v_fma_f32 v23, v3, v18, -v23
	v_fmac_f32_e32 v19, v4, v18
	v_mul_f32_e32 v3, v19, v21
	v_mul_f32_e32 v4, v23, v21
	v_fma_f32 v3, v23, v20, -v3
	v_fmac_f32_e32 v4, v19, v20
	ds_write_b64 v22, v[3:4] offset:14032
.LBB52_642:
	s_or_b64 exec, exec, s[14:15]
	v_mov_b32_e32 v3, 0
	v_mov_b32_e32 v4, 0
	s_waitcnt lgkmcnt(0)
	s_barrier
	buffer_wbinvl1_vol
	s_and_saveexec_b64 s[16:17], s[6:7]
	s_cbranch_execz .LBB52_646
; %bb.643:
	v_lshlrev_b32_e32 v3, 3, v5
	v_lshlrev_b32_e32 v18, 9, v6
	ds_read_b64 v[3:4], v3 offset:13504
	ds_read_b64 v[18:19], v18 offset:13520
	v_cmp_gt_u32_e64 s[14:15], 2, v8
	s_waitcnt lgkmcnt(0)
	v_mul_f32_e32 v20, v19, v4
	v_mul_f32_e32 v4, v18, v4
	v_fma_f32 v18, v18, v3, -v20
	v_fmac_f32_e32 v4, v19, v3
	v_add_f32_e32 v3, 0, v18
	v_add_f32_e32 v4, 0, v4
	s_and_saveexec_b64 s[20:21], s[14:15]
	s_cbranch_execz .LBB52_645
; %bb.644:
	v_lshlrev_b32_e32 v18, 3, v0
	v_mov_b32_e32 v20, 0
	ds_read_b64 v[18:19], v18 offset:14016
	ds_read_b64 v[20:21], v20 offset:14040
	s_waitcnt lgkmcnt(0)
	v_mul_f32_e32 v22, v21, v19
	v_mul_f32_e32 v19, v20, v19
	v_fma_f32 v20, v20, v18, -v22
	v_fmac_f32_e32 v19, v21, v18
	v_add_f32_e32 v3, v3, v20
	v_add_f32_e32 v4, v4, v19
.LBB52_645:
	s_or_b64 exec, exec, s[20:21]
.LBB52_646:
	s_or_b64 exec, exec, s[16:17]
	s_and_saveexec_b64 s[14:15], s[36:37]
	s_cbranch_execz .LBB52_648
; %bb.647:
	v_mov_b32_e32 v18, 0
	ds_read_b64 v[18:19], v18 offset:13000
	s_waitcnt lgkmcnt(0)
	v_mul_f32_e32 v20, v4, v19
	v_mul_f32_e32 v21, v3, v19
	v_fma_f32 v3, v3, v18, -v20
	v_fmac_f32_e32 v21, v4, v18
	v_xor_b32_e32 v18, 0x80000000, v3
	v_xor_b32_e32 v19, 0x80000000, v21
	v_mov_b32_e32 v4, v21
	ds_write_b64 v7, v[18:19]
.LBB52_648:
	s_or_b64 exec, exec, s[14:15]
	s_waitcnt lgkmcnt(0)
	s_barrier
	s_and_saveexec_b64 s[14:15], s[34:35]
	s_cbranch_execz .LBB52_650
; %bb.649:
	v_mov_b32_e32 v18, 0
	ds_read_b64 v[18:19], v18 offset:12992
	ds_read_b64 v[20:21], v7
	s_waitcnt lgkmcnt(0)
	v_mul_f32_e32 v22, v21, v19
	v_mul_f32_e32 v19, v20, v19
	v_fma_f32 v20, v20, v18, -v22
	v_fmac_f32_e32 v19, v21, v18
	v_sub_f32_e32 v3, v3, v20
	v_sub_f32_e32 v4, v4, v19
.LBB52_650:
	s_or_b64 exec, exec, s[14:15]
	s_barrier
	s_and_saveexec_b64 s[14:15], s[34:35]
	s_cbranch_execz .LBB52_652
; %bb.651:
	v_mov_b32_e32 v18, 0
	ds_read_b64 v[18:19], v18 offset:12480
	s_waitcnt lgkmcnt(0)
	v_mul_f32_e32 v20, v4, v19
	v_mul_f32_e32 v21, v3, v19
	v_fma_f32 v3, v3, v18, -v20
	v_fmac_f32_e32 v21, v4, v18
	v_xor_b32_e32 v18, 0x80000000, v3
	v_xor_b32_e32 v19, 0x80000000, v21
	v_mov_b32_e32 v4, v21
	ds_write_b64 v7, v[18:19]
.LBB52_652:
	s_or_b64 exec, exec, s[14:15]
	s_waitcnt lgkmcnt(0)
	s_barrier
	s_barrier
	s_and_saveexec_b64 s[14:15], s[6:7]
; %bb.653:
	v_lshlrev_b32_e32 v18, 3, v5
	v_lshl_or_b32 v18, v6, 9, v18
	ds_write_b64 v18, v[3:4] offset:13504
; %bb.654:
	s_or_b64 exec, exec, s[14:15]
	s_waitcnt lgkmcnt(0)
	s_barrier
	s_barrier
	s_and_saveexec_b64 s[14:15], vcc
	s_cbranch_execz .LBB52_656
; %bb.655:
	s_movk_i32 s16, 0xc0
	v_mov_b32_e32 v22, 0
	v_add_u32_e64 v18, s16, 0
	ds_read_b64 v[3:4], v22 offset:13000
	ds_read2st64_b64 v[18:21], v18 offset0:24 offset1:25
	s_waitcnt lgkmcnt(0)
	v_mul_f32_e32 v23, v4, v19
	v_mul_f32_e32 v19, v3, v19
	v_fma_f32 v23, v3, v18, -v23
	v_fmac_f32_e32 v19, v4, v18
	v_mul_f32_e32 v3, v19, v21
	v_mul_f32_e32 v4, v23, v21
	v_fma_f32 v3, v23, v20, -v3
	v_fmac_f32_e32 v4, v19, v20
	ds_write_b64 v22, v[3:4] offset:12992
.LBB52_656:
	s_or_b64 exec, exec, s[14:15]
	v_mov_b32_e32 v4, 0
	v_mov_b32_e32 v3, 0
	s_waitcnt lgkmcnt(0)
	s_barrier
	buffer_wbinvl1_vol
	s_and_saveexec_b64 s[16:17], s[10:11]
	s_cbranch_execz .LBB52_666
; %bb.657:
	v_lshlrev_b32_e32 v18, 3, v12
	v_lshlrev_b32_e32 v19, 9, v13
	ds_read_b64 v[3:4], v18 offset:12416
	ds_read_b64 v[20:21], v19 offset:12480
	v_cmp_gt_u32_e64 s[14:15], 56, v8
	s_waitcnt lgkmcnt(0)
	v_mul_f32_e32 v22, v21, v4
	v_mul_f32_e32 v4, v20, v4
	v_fma_f32 v20, v20, v3, -v22
	v_fmac_f32_e32 v4, v21, v3
	v_add_f32_e32 v3, 0, v20
	v_add_f32_e32 v4, 0, v4
	s_and_saveexec_b64 s[20:21], s[14:15]
	s_cbranch_execnz .LBB52_1082
; %bb.658:
	s_or_b64 exec, exec, s[20:21]
	v_cmp_gt_u32_e64 s[14:15], 48, v8
	s_and_saveexec_b64 s[20:21], s[14:15]
	s_cbranch_execnz .LBB52_1083
.LBB52_659:
	s_or_b64 exec, exec, s[20:21]
	v_cmp_gt_u32_e64 s[14:15], 40, v8
	s_and_saveexec_b64 s[20:21], s[14:15]
	s_cbranch_execnz .LBB52_1084
.LBB52_660:
	s_or_b64 exec, exec, s[20:21]
	v_cmp_gt_u32_e64 s[14:15], 32, v8
	s_and_saveexec_b64 s[20:21], s[14:15]
	s_cbranch_execnz .LBB52_1085
.LBB52_661:
	s_or_b64 exec, exec, s[20:21]
	v_cmp_gt_u32_e64 s[14:15], 24, v8
	s_and_saveexec_b64 s[20:21], s[14:15]
	s_cbranch_execnz .LBB52_1086
.LBB52_662:
	s_or_b64 exec, exec, s[20:21]
	s_and_saveexec_b64 s[14:15], s[18:19]
	s_cbranch_execnz .LBB52_1087
.LBB52_663:
	s_or_b64 exec, exec, s[14:15]
	v_cmp_gt_u32_e64 s[14:15], 8, v8
	s_and_saveexec_b64 s[20:21], s[14:15]
	s_cbranch_execz .LBB52_665
.LBB52_664:
	v_lshlrev_b32_e32 v18, 3, v0
	v_mov_b32_e32 v20, 0
	ds_read_b64 v[18:19], v18 offset:16000
	ds_read_b64 v[20:21], v20 offset:16120
	s_waitcnt lgkmcnt(0)
	v_mul_f32_e32 v22, v21, v19
	v_mul_f32_e32 v19, v20, v19
	v_fma_f32 v20, v20, v18, -v22
	v_fmac_f32_e32 v19, v21, v18
	v_add_f32_e32 v3, v3, v20
	v_add_f32_e32 v4, v4, v19
.LBB52_665:
	s_or_b64 exec, exec, s[20:21]
.LBB52_666:
	s_or_b64 exec, exec, s[16:17]
	s_and_saveexec_b64 s[14:15], s[60:61]
	s_cbranch_execz .LBB52_668
; %bb.667:
	v_mov_b32_e32 v18, 0
	ds_read_b64 v[18:19], v18 offset:11960
	s_waitcnt lgkmcnt(0)
	v_mul_f32_e32 v20, v4, v19
	v_mul_f32_e32 v21, v3, v19
	v_fma_f32 v3, v3, v18, -v20
	v_fmac_f32_e32 v21, v4, v18
	v_xor_b32_e32 v18, 0x80000000, v3
	v_xor_b32_e32 v19, 0x80000000, v21
	v_mov_b32_e32 v4, v21
	ds_write_b64 v14, v[18:19]
.LBB52_668:
	s_or_b64 exec, exec, s[14:15]
	s_waitcnt lgkmcnt(0)
	s_barrier
	s_and_saveexec_b64 s[14:15], s[62:63]
	s_cbranch_execz .LBB52_670
; %bb.669:
	v_lshlrev_b32_e32 v18, 3, v12
	ds_read_b64 v[18:19], v18 offset:11904
	ds_read_b64 v[20:21], v14
	s_waitcnt lgkmcnt(0)
	v_mul_f32_e32 v22, v21, v19
	v_mul_f32_e32 v19, v20, v19
	v_fma_f32 v20, v20, v18, -v22
	v_fmac_f32_e32 v19, v21, v18
	v_sub_f32_e32 v3, v3, v20
	v_sub_f32_e32 v4, v4, v19
.LBB52_670:
	s_or_b64 exec, exec, s[14:15]
	s_barrier
	s_and_saveexec_b64 s[14:15], s[64:65]
	s_cbranch_execz .LBB52_672
; %bb.671:
	v_mov_b32_e32 v18, 0
	ds_read_b64 v[18:19], v18 offset:11440
	s_waitcnt lgkmcnt(0)
	v_mul_f32_e32 v20, v4, v19
	v_mul_f32_e32 v21, v3, v19
	v_fma_f32 v3, v3, v18, -v20
	v_fmac_f32_e32 v21, v4, v18
	v_xor_b32_e32 v18, 0x80000000, v3
	v_xor_b32_e32 v19, 0x80000000, v21
	v_mov_b32_e32 v4, v21
	ds_write_b64 v14, v[18:19]
.LBB52_672:
	s_or_b64 exec, exec, s[14:15]
	s_waitcnt lgkmcnt(0)
	s_barrier
	s_and_saveexec_b64 s[14:15], s[66:67]
	s_cbranch_execz .LBB52_674
; %bb.673:
	v_lshlrev_b32_e32 v18, 3, v12
	ds_read_b64 v[18:19], v18 offset:11392
	ds_read_b64 v[20:21], v14
	s_waitcnt lgkmcnt(0)
	v_mul_f32_e32 v22, v21, v19
	v_mul_f32_e32 v19, v20, v19
	v_fma_f32 v20, v20, v18, -v22
	v_fmac_f32_e32 v19, v21, v18
	v_sub_f32_e32 v3, v3, v20
	v_sub_f32_e32 v4, v4, v19
.LBB52_674:
	s_or_b64 exec, exec, s[14:15]
	s_barrier
	;; [unrolled: 34-line block ×6, first 2 shown]
	s_and_saveexec_b64 s[14:15], s[84:85]
	s_cbranch_execz .LBB52_692
; %bb.691:
	v_mov_b32_e32 v18, 0
	ds_read_b64 v[18:19], v18 offset:8840
	s_waitcnt lgkmcnt(0)
	v_mul_f32_e32 v20, v4, v19
	v_mul_f32_e32 v21, v3, v19
	v_fma_f32 v3, v3, v18, -v20
	v_fmac_f32_e32 v21, v4, v18
	v_xor_b32_e32 v18, 0x80000000, v3
	v_xor_b32_e32 v19, 0x80000000, v21
	v_mov_b32_e32 v4, v21
	ds_write_b64 v14, v[18:19]
.LBB52_692:
	s_or_b64 exec, exec, s[14:15]
	s_waitcnt lgkmcnt(0)
	s_barrier
	s_and_saveexec_b64 s[14:15], s[58:59]
	s_cbranch_execz .LBB52_694
; %bb.693:
	v_mov_b32_e32 v18, 0
	ds_read_b64 v[18:19], v18 offset:8832
	ds_read_b64 v[20:21], v14
	s_waitcnt lgkmcnt(0)
	v_mul_f32_e32 v22, v21, v19
	v_mul_f32_e32 v19, v20, v19
	v_fma_f32 v20, v20, v18, -v22
	v_fmac_f32_e32 v19, v21, v18
	v_sub_f32_e32 v3, v3, v20
	v_sub_f32_e32 v4, v4, v19
.LBB52_694:
	s_or_b64 exec, exec, s[14:15]
	s_barrier
	s_and_saveexec_b64 s[14:15], s[58:59]
	s_cbranch_execz .LBB52_696
; %bb.695:
	v_mov_b32_e32 v18, 0
	ds_read_b64 v[18:19], v18 offset:8320
	s_waitcnt lgkmcnt(0)
	v_mul_f32_e32 v20, v4, v19
	v_mul_f32_e32 v21, v3, v19
	v_fma_f32 v3, v3, v18, -v20
	v_fmac_f32_e32 v21, v4, v18
	v_xor_b32_e32 v18, 0x80000000, v3
	v_xor_b32_e32 v19, 0x80000000, v21
	v_mov_b32_e32 v4, v21
	ds_write_b64 v14, v[18:19]
.LBB52_696:
	s_or_b64 exec, exec, s[14:15]
	s_waitcnt lgkmcnt(0)
	s_barrier
	s_barrier
	s_and_saveexec_b64 s[14:15], s[10:11]
; %bb.697:
	v_lshlrev_b32_e32 v18, 3, v12
	v_lshl_or_b32 v18, v13, 9, v18
	ds_write_b64 v18, v[3:4] offset:12416
; %bb.698:
	s_or_b64 exec, exec, s[14:15]
	s_waitcnt lgkmcnt(0)
	s_barrier
	s_barrier
	s_and_saveexec_b64 s[14:15], vcc
	s_cbranch_execz .LBB52_700
; %bb.699:
	s_movk_i32 s16, 0xb0
	v_mov_b32_e32 v22, 0
	v_add_u32_e64 v18, s16, 0
	ds_read_b64 v[3:4], v22 offset:11960
	ds_read2st64_b64 v[18:21], v18 offset0:22 offset1:23
	s_waitcnt lgkmcnt(0)
	v_mul_f32_e32 v23, v4, v19
	v_mul_f32_e32 v19, v3, v19
	v_fma_f32 v23, v3, v18, -v23
	v_fmac_f32_e32 v19, v4, v18
	v_mul_f32_e32 v3, v19, v21
	v_mul_f32_e32 v4, v23, v21
	v_fma_f32 v3, v23, v20, -v3
	v_fmac_f32_e32 v4, v19, v20
	ds_write_b64 v22, v[3:4] offset:11952
.LBB52_700:
	s_or_b64 exec, exec, s[14:15]
	v_mov_b32_e32 v3, 0
	v_mov_b32_e32 v4, 0
	s_waitcnt lgkmcnt(0)
	s_barrier
	buffer_wbinvl1_vol
	s_and_saveexec_b64 s[16:17], s[6:7]
	s_cbranch_execz .LBB52_704
; %bb.701:
	v_lshlrev_b32_e32 v3, 3, v5
	v_lshlrev_b32_e32 v18, 9, v6
	ds_read_b64 v[3:4], v3 offset:11424
	ds_read_b64 v[18:19], v18 offset:11440
	v_cmp_gt_u32_e64 s[14:15], 2, v8
	s_waitcnt lgkmcnt(0)
	v_mul_f32_e32 v20, v19, v4
	v_mul_f32_e32 v4, v18, v4
	v_fma_f32 v18, v18, v3, -v20
	v_fmac_f32_e32 v4, v19, v3
	v_add_f32_e32 v3, 0, v18
	v_add_f32_e32 v4, 0, v4
	s_and_saveexec_b64 s[20:21], s[14:15]
	s_cbranch_execz .LBB52_703
; %bb.702:
	v_lshlrev_b32_e32 v18, 3, v0
	v_mov_b32_e32 v20, 0
	ds_read_b64 v[18:19], v18 offset:11936
	ds_read_b64 v[20:21], v20 offset:11960
	s_waitcnt lgkmcnt(0)
	v_mul_f32_e32 v22, v21, v19
	v_mul_f32_e32 v19, v20, v19
	v_fma_f32 v20, v20, v18, -v22
	v_fmac_f32_e32 v19, v21, v18
	v_add_f32_e32 v3, v3, v20
	v_add_f32_e32 v4, v4, v19
.LBB52_703:
	s_or_b64 exec, exec, s[20:21]
.LBB52_704:
	s_or_b64 exec, exec, s[16:17]
	s_and_saveexec_b64 s[14:15], s[36:37]
	s_cbranch_execz .LBB52_706
; %bb.705:
	v_mov_b32_e32 v18, 0
	ds_read_b64 v[18:19], v18 offset:10920
	s_waitcnt lgkmcnt(0)
	v_mul_f32_e32 v20, v4, v19
	v_mul_f32_e32 v21, v3, v19
	v_fma_f32 v3, v3, v18, -v20
	v_fmac_f32_e32 v21, v4, v18
	v_xor_b32_e32 v18, 0x80000000, v3
	v_xor_b32_e32 v19, 0x80000000, v21
	v_mov_b32_e32 v4, v21
	ds_write_b64 v7, v[18:19]
.LBB52_706:
	s_or_b64 exec, exec, s[14:15]
	s_waitcnt lgkmcnt(0)
	s_barrier
	s_and_saveexec_b64 s[14:15], s[34:35]
	s_cbranch_execz .LBB52_708
; %bb.707:
	v_mov_b32_e32 v18, 0
	ds_read_b64 v[18:19], v18 offset:10912
	ds_read_b64 v[20:21], v7
	s_waitcnt lgkmcnt(0)
	v_mul_f32_e32 v22, v21, v19
	v_mul_f32_e32 v19, v20, v19
	v_fma_f32 v20, v20, v18, -v22
	v_fmac_f32_e32 v19, v21, v18
	v_sub_f32_e32 v3, v3, v20
	v_sub_f32_e32 v4, v4, v19
.LBB52_708:
	s_or_b64 exec, exec, s[14:15]
	s_barrier
	s_and_saveexec_b64 s[14:15], s[34:35]
	s_cbranch_execz .LBB52_710
; %bb.709:
	v_mov_b32_e32 v18, 0
	ds_read_b64 v[18:19], v18 offset:10400
	s_waitcnt lgkmcnt(0)
	v_mul_f32_e32 v20, v4, v19
	v_mul_f32_e32 v21, v3, v19
	v_fma_f32 v3, v3, v18, -v20
	v_fmac_f32_e32 v21, v4, v18
	v_xor_b32_e32 v18, 0x80000000, v3
	v_xor_b32_e32 v19, 0x80000000, v21
	v_mov_b32_e32 v4, v21
	ds_write_b64 v7, v[18:19]
.LBB52_710:
	s_or_b64 exec, exec, s[14:15]
	s_waitcnt lgkmcnt(0)
	s_barrier
	s_barrier
	s_and_saveexec_b64 s[14:15], s[6:7]
; %bb.711:
	v_lshlrev_b32_e32 v18, 3, v5
	v_lshl_or_b32 v18, v6, 9, v18
	ds_write_b64 v18, v[3:4] offset:11424
; %bb.712:
	s_or_b64 exec, exec, s[14:15]
	s_waitcnt lgkmcnt(0)
	s_barrier
	s_barrier
	s_and_saveexec_b64 s[14:15], vcc
	s_cbranch_execz .LBB52_714
; %bb.713:
	s_movk_i32 s16, 0xa0
	v_mov_b32_e32 v22, 0
	v_add_u32_e64 v18, s16, 0
	ds_read_b64 v[3:4], v22 offset:10920
	ds_read2st64_b64 v[18:21], v18 offset0:20 offset1:21
	s_waitcnt lgkmcnt(0)
	v_mul_f32_e32 v23, v4, v19
	v_mul_f32_e32 v19, v3, v19
	v_fma_f32 v23, v3, v18, -v23
	v_fmac_f32_e32 v19, v4, v18
	v_mul_f32_e32 v3, v19, v21
	v_mul_f32_e32 v4, v23, v21
	v_fma_f32 v3, v23, v20, -v3
	v_fmac_f32_e32 v4, v19, v20
	ds_write_b64 v22, v[3:4] offset:10912
.LBB52_714:
	s_or_b64 exec, exec, s[14:15]
	v_mov_b32_e32 v4, 0
	v_mov_b32_e32 v3, 0
	s_waitcnt lgkmcnt(0)
	s_barrier
	buffer_wbinvl1_vol
	s_and_saveexec_b64 s[16:17], s[18:19]
	s_cbranch_execz .LBB52_720
; %bb.715:
	v_lshlrev_b32_e32 v18, 3, v9
	v_lshlrev_b32_e32 v19, 9, v10
	ds_read_b64 v[3:4], v18 offset:10368
	ds_read_b64 v[20:21], v19 offset:10400
	v_cmp_gt_u32_e64 s[14:15], 12, v8
	s_waitcnt lgkmcnt(0)
	v_mul_f32_e32 v22, v21, v4
	v_mul_f32_e32 v4, v20, v4
	v_fma_f32 v20, v20, v3, -v22
	v_fmac_f32_e32 v4, v21, v3
	v_add_f32_e32 v3, 0, v20
	v_add_f32_e32 v4, 0, v4
	s_and_saveexec_b64 s[20:21], s[14:15]
	s_cbranch_execnz .LBB52_1088
; %bb.716:
	s_or_b64 exec, exec, s[20:21]
	v_cmp_gt_u32_e64 s[14:15], 8, v8
	s_and_saveexec_b64 s[20:21], s[14:15]
	s_cbranch_execnz .LBB52_1089
.LBB52_717:
	s_or_b64 exec, exec, s[20:21]
	v_cmp_gt_u32_e64 s[14:15], 4, v8
	s_and_saveexec_b64 s[20:21], s[14:15]
	s_cbranch_execz .LBB52_719
.LBB52_718:
	v_lshlrev_b32_e32 v18, 3, v0
	v_mov_b32_e32 v20, 0
	ds_read_b64 v[18:19], v18 offset:11904
	ds_read_b64 v[20:21], v20 offset:11960
	s_waitcnt lgkmcnt(0)
	v_mul_f32_e32 v22, v21, v19
	v_mul_f32_e32 v19, v20, v19
	v_fma_f32 v20, v20, v18, -v22
	v_fmac_f32_e32 v19, v21, v18
	v_add_f32_e32 v3, v3, v20
	v_add_f32_e32 v4, v4, v19
.LBB52_719:
	s_or_b64 exec, exec, s[20:21]
.LBB52_720:
	s_or_b64 exec, exec, s[16:17]
	s_and_saveexec_b64 s[14:15], s[42:43]
	s_cbranch_execz .LBB52_722
; %bb.721:
	v_mov_b32_e32 v18, 0
	ds_read_b64 v[18:19], v18 offset:9880
	s_waitcnt lgkmcnt(0)
	v_mul_f32_e32 v20, v4, v19
	v_mul_f32_e32 v21, v3, v19
	v_fma_f32 v3, v3, v18, -v20
	v_fmac_f32_e32 v21, v4, v18
	v_xor_b32_e32 v18, 0x80000000, v3
	v_xor_b32_e32 v19, 0x80000000, v21
	v_mov_b32_e32 v4, v21
	ds_write_b64 v11, v[18:19]
.LBB52_722:
	s_or_b64 exec, exec, s[14:15]
	s_waitcnt lgkmcnt(0)
	s_barrier
	s_and_saveexec_b64 s[14:15], s[44:45]
	s_cbranch_execz .LBB52_724
; %bb.723:
	v_lshlrev_b32_e32 v18, 3, v9
	ds_read_b64 v[18:19], v18 offset:9856
	ds_read_b64 v[20:21], v11
	s_waitcnt lgkmcnt(0)
	v_mul_f32_e32 v22, v21, v19
	v_mul_f32_e32 v19, v20, v19
	v_fma_f32 v20, v20, v18, -v22
	v_fmac_f32_e32 v19, v21, v18
	v_sub_f32_e32 v3, v3, v20
	v_sub_f32_e32 v4, v4, v19
.LBB52_724:
	s_or_b64 exec, exec, s[14:15]
	s_barrier
	s_and_saveexec_b64 s[14:15], s[52:53]
	s_cbranch_execz .LBB52_726
; %bb.725:
	v_mov_b32_e32 v18, 0
	ds_read_b64 v[18:19], v18 offset:9360
	s_waitcnt lgkmcnt(0)
	v_mul_f32_e32 v20, v4, v19
	v_mul_f32_e32 v21, v3, v19
	v_fma_f32 v3, v3, v18, -v20
	v_fmac_f32_e32 v21, v4, v18
	v_xor_b32_e32 v18, 0x80000000, v3
	v_xor_b32_e32 v19, 0x80000000, v21
	v_mov_b32_e32 v4, v21
	ds_write_b64 v11, v[18:19]
.LBB52_726:
	s_or_b64 exec, exec, s[14:15]
	s_waitcnt lgkmcnt(0)
	s_barrier
	s_and_saveexec_b64 s[14:15], s[54:55]
	s_cbranch_execz .LBB52_728
; %bb.727:
	v_lshlrev_b32_e32 v18, 3, v9
	ds_read_b64 v[18:19], v18 offset:9344
	ds_read_b64 v[20:21], v11
	s_waitcnt lgkmcnt(0)
	v_mul_f32_e32 v22, v21, v19
	v_mul_f32_e32 v19, v20, v19
	v_fma_f32 v20, v20, v18, -v22
	v_fmac_f32_e32 v19, v21, v18
	v_sub_f32_e32 v3, v3, v20
	v_sub_f32_e32 v4, v4, v19
.LBB52_728:
	s_or_b64 exec, exec, s[14:15]
	s_barrier
	s_and_saveexec_b64 s[14:15], s[56:57]
	s_cbranch_execz .LBB52_730
; %bb.729:
	v_mov_b32_e32 v18, 0
	ds_read_b64 v[18:19], v18 offset:8840
	s_waitcnt lgkmcnt(0)
	v_mul_f32_e32 v20, v4, v19
	v_mul_f32_e32 v21, v3, v19
	v_fma_f32 v3, v3, v18, -v20
	v_fmac_f32_e32 v21, v4, v18
	v_xor_b32_e32 v18, 0x80000000, v3
	v_xor_b32_e32 v19, 0x80000000, v21
	v_mov_b32_e32 v4, v21
	ds_write_b64 v11, v[18:19]
.LBB52_730:
	s_or_b64 exec, exec, s[14:15]
	s_waitcnt lgkmcnt(0)
	s_barrier
	s_and_saveexec_b64 s[14:15], s[38:39]
	s_cbranch_execz .LBB52_732
; %bb.731:
	v_mov_b32_e32 v18, 0
	ds_read_b64 v[18:19], v18 offset:8832
	ds_read_b64 v[20:21], v11
	s_waitcnt lgkmcnt(0)
	v_mul_f32_e32 v22, v21, v19
	v_mul_f32_e32 v19, v20, v19
	v_fma_f32 v20, v20, v18, -v22
	v_fmac_f32_e32 v19, v21, v18
	v_sub_f32_e32 v3, v3, v20
	v_sub_f32_e32 v4, v4, v19
.LBB52_732:
	s_or_b64 exec, exec, s[14:15]
	s_barrier
	s_and_saveexec_b64 s[14:15], s[38:39]
	s_cbranch_execz .LBB52_734
; %bb.733:
	v_mov_b32_e32 v18, 0
	ds_read_b64 v[18:19], v18 offset:8320
	s_waitcnt lgkmcnt(0)
	v_mul_f32_e32 v20, v4, v19
	v_mul_f32_e32 v21, v3, v19
	v_fma_f32 v3, v3, v18, -v20
	v_fmac_f32_e32 v21, v4, v18
	v_xor_b32_e32 v18, 0x80000000, v3
	v_xor_b32_e32 v19, 0x80000000, v21
	v_mov_b32_e32 v4, v21
	ds_write_b64 v11, v[18:19]
.LBB52_734:
	s_or_b64 exec, exec, s[14:15]
	s_waitcnt lgkmcnt(0)
	s_barrier
	s_barrier
	s_and_saveexec_b64 s[14:15], s[18:19]
; %bb.735:
	v_lshlrev_b32_e32 v18, 3, v9
	v_lshl_or_b32 v18, v10, 9, v18
	ds_write_b64 v18, v[3:4] offset:10368
; %bb.736:
	s_or_b64 exec, exec, s[14:15]
	s_waitcnt lgkmcnt(0)
	s_barrier
	s_barrier
	s_and_saveexec_b64 s[14:15], vcc
	s_cbranch_execz .LBB52_738
; %bb.737:
	s_movk_i32 s16, 0x90
	v_mov_b32_e32 v22, 0
	v_add_u32_e64 v18, s16, 0
	ds_read_b64 v[3:4], v22 offset:9880
	ds_read2st64_b64 v[18:21], v18 offset0:18 offset1:19
	s_waitcnt lgkmcnt(0)
	v_mul_f32_e32 v23, v4, v19
	v_mul_f32_e32 v19, v3, v19
	v_fma_f32 v23, v3, v18, -v23
	v_fmac_f32_e32 v19, v4, v18
	v_mul_f32_e32 v3, v19, v21
	v_mul_f32_e32 v4, v23, v21
	v_fma_f32 v3, v23, v20, -v3
	v_fmac_f32_e32 v4, v19, v20
	ds_write_b64 v22, v[3:4] offset:9872
.LBB52_738:
	s_or_b64 exec, exec, s[14:15]
	v_mov_b32_e32 v3, 0
	v_mov_b32_e32 v4, 0
	s_waitcnt lgkmcnt(0)
	s_barrier
	buffer_wbinvl1_vol
	s_and_saveexec_b64 s[16:17], s[6:7]
	s_cbranch_execz .LBB52_742
; %bb.739:
	v_lshlrev_b32_e32 v3, 3, v5
	v_lshlrev_b32_e32 v18, 9, v6
	ds_read_b64 v[3:4], v3 offset:9344
	ds_read_b64 v[18:19], v18 offset:9360
	v_cmp_gt_u32_e64 s[14:15], 2, v8
	s_waitcnt lgkmcnt(0)
	v_mul_f32_e32 v20, v19, v4
	v_mul_f32_e32 v4, v18, v4
	v_fma_f32 v18, v18, v3, -v20
	v_fmac_f32_e32 v4, v19, v3
	v_add_f32_e32 v3, 0, v18
	v_add_f32_e32 v4, 0, v4
	s_and_saveexec_b64 s[20:21], s[14:15]
	s_cbranch_execz .LBB52_741
; %bb.740:
	v_lshlrev_b32_e32 v18, 3, v0
	v_mov_b32_e32 v20, 0
	ds_read_b64 v[18:19], v18 offset:9856
	ds_read_b64 v[20:21], v20 offset:9880
	s_waitcnt lgkmcnt(0)
	v_mul_f32_e32 v22, v21, v19
	v_mul_f32_e32 v19, v20, v19
	v_fma_f32 v20, v20, v18, -v22
	v_fmac_f32_e32 v19, v21, v18
	v_add_f32_e32 v3, v3, v20
	v_add_f32_e32 v4, v4, v19
.LBB52_741:
	s_or_b64 exec, exec, s[20:21]
.LBB52_742:
	s_or_b64 exec, exec, s[16:17]
	s_and_saveexec_b64 s[14:15], s[36:37]
	s_cbranch_execz .LBB52_744
; %bb.743:
	v_mov_b32_e32 v18, 0
	ds_read_b64 v[18:19], v18 offset:8840
	s_waitcnt lgkmcnt(0)
	v_mul_f32_e32 v20, v4, v19
	v_mul_f32_e32 v21, v3, v19
	v_fma_f32 v3, v3, v18, -v20
	v_fmac_f32_e32 v21, v4, v18
	v_xor_b32_e32 v18, 0x80000000, v3
	v_xor_b32_e32 v19, 0x80000000, v21
	v_mov_b32_e32 v4, v21
	ds_write_b64 v7, v[18:19]
.LBB52_744:
	s_or_b64 exec, exec, s[14:15]
	s_waitcnt lgkmcnt(0)
	s_barrier
	s_and_saveexec_b64 s[14:15], s[34:35]
	s_cbranch_execz .LBB52_746
; %bb.745:
	v_mov_b32_e32 v18, 0
	ds_read_b64 v[18:19], v18 offset:8832
	ds_read_b64 v[20:21], v7
	s_waitcnt lgkmcnt(0)
	v_mul_f32_e32 v22, v21, v19
	v_mul_f32_e32 v19, v20, v19
	v_fma_f32 v20, v20, v18, -v22
	v_fmac_f32_e32 v19, v21, v18
	v_sub_f32_e32 v3, v3, v20
	v_sub_f32_e32 v4, v4, v19
.LBB52_746:
	s_or_b64 exec, exec, s[14:15]
	s_barrier
	s_and_saveexec_b64 s[14:15], s[34:35]
	s_cbranch_execz .LBB52_748
; %bb.747:
	v_mov_b32_e32 v18, 0
	ds_read_b64 v[18:19], v18 offset:8320
	s_waitcnt lgkmcnt(0)
	v_mul_f32_e32 v20, v4, v19
	v_mul_f32_e32 v21, v3, v19
	v_fma_f32 v3, v3, v18, -v20
	v_fmac_f32_e32 v21, v4, v18
	v_xor_b32_e32 v18, 0x80000000, v3
	v_xor_b32_e32 v19, 0x80000000, v21
	v_mov_b32_e32 v4, v21
	ds_write_b64 v7, v[18:19]
.LBB52_748:
	s_or_b64 exec, exec, s[14:15]
	s_waitcnt lgkmcnt(0)
	s_barrier
	s_barrier
	s_and_saveexec_b64 s[14:15], s[6:7]
; %bb.749:
	v_lshlrev_b32_e32 v18, 3, v5
	v_lshl_or_b32 v18, v6, 9, v18
	ds_write_b64 v18, v[3:4] offset:9344
; %bb.750:
	s_or_b64 exec, exec, s[14:15]
	s_waitcnt lgkmcnt(0)
	s_barrier
	s_barrier
	s_and_saveexec_b64 s[14:15], vcc
	s_cbranch_execz .LBB52_752
; %bb.751:
	s_movk_i32 s16, 0x80
	v_mov_b32_e32 v22, 0
	v_add_u32_e64 v18, s16, 0
	ds_read_b64 v[3:4], v22 offset:8840
	ds_read2st64_b64 v[18:21], v18 offset0:16 offset1:17
	s_waitcnt lgkmcnt(0)
	v_mul_f32_e32 v23, v4, v19
	v_mul_f32_e32 v19, v3, v19
	v_fma_f32 v23, v3, v18, -v23
	v_fmac_f32_e32 v19, v4, v18
	v_mul_f32_e32 v3, v19, v21
	v_mul_f32_e32 v4, v23, v21
	v_fma_f32 v3, v23, v20, -v3
	v_fmac_f32_e32 v4, v19, v20
	ds_write_b64 v22, v[3:4] offset:8832
.LBB52_752:
	s_or_b64 exec, exec, s[14:15]
	v_mov_b32_e32 v4, 0
	v_mov_b32_e32 v3, 0
	s_waitcnt lgkmcnt(0)
	s_barrier
	buffer_wbinvl1_vol
	s_and_saveexec_b64 s[16:17], s[12:13]
	s_cbranch_execz .LBB52_780
; %bb.753:
	v_lshlrev_b32_e32 v18, 3, v15
	v_lshlrev_b32_e32 v19, 9, v16
	ds_read_b64 v[3:4], v18 offset:8192
	ds_read_b64 v[20:21], v19 offset:8320
	s_movk_i32 s14, 0xf0
	v_cmp_gt_u32_e64 s[14:15], s14, v8
	s_waitcnt lgkmcnt(0)
	v_mul_f32_e32 v22, v21, v4
	v_mul_f32_e32 v4, v20, v4
	v_fma_f32 v20, v20, v3, -v22
	v_fmac_f32_e32 v4, v21, v3
	v_add_f32_e32 v3, 0, v20
	v_add_f32_e32 v4, 0, v4
	s_and_saveexec_b64 s[20:21], s[14:15]
	s_cbranch_execz .LBB52_755
; %bb.754:
	ds_read_b64 v[20:21], v18 offset:8704
	ds_read_b64 v[22:23], v19 offset:8328
	s_waitcnt lgkmcnt(0)
	v_mul_f32_e32 v24, v23, v21
	v_mul_f32_e32 v21, v22, v21
	v_fma_f32 v22, v22, v20, -v24
	v_fmac_f32_e32 v21, v23, v20
	v_add_f32_e32 v3, v3, v22
	v_add_f32_e32 v4, v4, v21
.LBB52_755:
	s_or_b64 exec, exec, s[20:21]
	s_movk_i32 s14, 0xe0
	v_cmp_gt_u32_e64 s[14:15], s14, v8
	s_and_saveexec_b64 s[20:21], s[14:15]
	s_cbranch_execz .LBB52_757
; %bb.756:
	ds_read_b64 v[20:21], v18 offset:9216
	ds_read_b64 v[22:23], v19 offset:8336
	s_waitcnt lgkmcnt(0)
	v_mul_f32_e32 v24, v23, v21
	v_mul_f32_e32 v21, v22, v21
	v_fma_f32 v22, v22, v20, -v24
	v_fmac_f32_e32 v21, v23, v20
	v_add_f32_e32 v3, v3, v22
	v_add_f32_e32 v4, v4, v21
.LBB52_757:
	s_or_b64 exec, exec, s[20:21]
	s_movk_i32 s14, 0xd0
	v_cmp_gt_u32_e64 s[14:15], s14, v8
	;; [unrolled: 16-line block ×10, first 2 shown]
	s_and_saveexec_b64 s[20:21], s[14:15]
	s_cbranch_execnz .LBB52_1090
; %bb.774:
	s_or_b64 exec, exec, s[20:21]
	s_and_saveexec_b64 s[14:15], s[10:11]
	s_cbranch_execnz .LBB52_1091
.LBB52_775:
	s_or_b64 exec, exec, s[14:15]
	v_cmp_gt_u32_e64 s[14:15], 48, v8
	s_and_saveexec_b64 s[20:21], s[14:15]
	s_cbranch_execnz .LBB52_1092
.LBB52_776:
	s_or_b64 exec, exec, s[20:21]
	v_cmp_gt_u32_e64 s[14:15], 32, v8
	s_and_saveexec_b64 s[20:21], s[14:15]
	s_cbranch_execnz .LBB52_1093
.LBB52_777:
	s_or_b64 exec, exec, s[20:21]
	v_cmp_gt_u32_e64 s[14:15], 16, v8
	s_and_saveexec_b64 s[20:21], s[14:15]
	s_cbranch_execz .LBB52_779
.LBB52_778:
	v_lshlrev_b32_e32 v18, 3, v0
	v_mov_b32_e32 v20, 0
	ds_read_b64 v[18:19], v18 offset:15872
	ds_read_b64 v[20:21], v20 offset:16120
	s_waitcnt lgkmcnt(0)
	v_mul_f32_e32 v22, v21, v19
	v_mul_f32_e32 v19, v20, v19
	v_fma_f32 v20, v20, v18, -v22
	v_fmac_f32_e32 v19, v21, v18
	v_add_f32_e32 v3, v3, v20
	v_add_f32_e32 v4, v4, v19
.LBB52_779:
	s_or_b64 exec, exec, s[20:21]
.LBB52_780:
	s_or_b64 exec, exec, s[16:17]
	s_mov_b64 s[14:15], exec
	v_readlane_b32 s16, v30, 3
	v_readlane_b32 s17, v30, 4
	s_and_b64 s[16:17], s[14:15], s[16:17]
	s_mov_b64 exec, s[16:17]
	s_cbranch_execz .LBB52_782
; %bb.781:
	v_mov_b32_e32 v18, 0
	ds_read_b64 v[18:19], v18 offset:7800
	s_waitcnt lgkmcnt(0)
	v_mul_f32_e32 v20, v4, v19
	v_mul_f32_e32 v21, v3, v19
	v_fma_f32 v3, v3, v18, -v20
	v_fmac_f32_e32 v21, v4, v18
	v_xor_b32_e32 v18, 0x80000000, v3
	v_xor_b32_e32 v19, 0x80000000, v21
	v_mov_b32_e32 v4, v21
	ds_write_b64 v17, v[18:19]
.LBB52_782:
	s_or_b64 exec, exec, s[14:15]
	s_waitcnt lgkmcnt(0)
	s_barrier
	s_mov_b64 s[14:15], exec
	v_readlane_b32 s16, v30, 5
	v_readlane_b32 s17, v30, 6
	s_and_b64 s[16:17], s[14:15], s[16:17]
	s_mov_b64 exec, s[16:17]
	s_cbranch_execz .LBB52_784
; %bb.783:
	v_lshlrev_b32_e32 v18, 3, v15
	ds_read_b64 v[18:19], v18 offset:7680
	ds_read_b64 v[20:21], v17
	s_waitcnt lgkmcnt(0)
	v_mul_f32_e32 v22, v21, v19
	v_mul_f32_e32 v19, v20, v19
	v_fma_f32 v20, v20, v18, -v22
	v_fmac_f32_e32 v19, v21, v18
	v_sub_f32_e32 v3, v3, v20
	v_sub_f32_e32 v4, v4, v19
.LBB52_784:
	s_or_b64 exec, exec, s[14:15]
	s_barrier
	s_mov_b64 s[14:15], exec
	v_readlane_b32 s16, v30, 7
	v_readlane_b32 s17, v30, 8
	s_and_b64 s[16:17], s[14:15], s[16:17]
	s_mov_b64 exec, s[16:17]
	s_cbranch_execz .LBB52_786
; %bb.785:
	v_mov_b32_e32 v18, 0
	ds_read_b64 v[18:19], v18 offset:7280
	s_waitcnt lgkmcnt(0)
	v_mul_f32_e32 v20, v4, v19
	v_mul_f32_e32 v21, v3, v19
	v_fma_f32 v3, v3, v18, -v20
	v_fmac_f32_e32 v21, v4, v18
	v_xor_b32_e32 v18, 0x80000000, v3
	v_xor_b32_e32 v19, 0x80000000, v21
	v_mov_b32_e32 v4, v21
	ds_write_b64 v17, v[18:19]
.LBB52_786:
	s_or_b64 exec, exec, s[14:15]
	s_waitcnt lgkmcnt(0)
	s_barrier
	s_mov_b64 s[14:15], exec
	v_readlane_b32 s16, v30, 9
	v_readlane_b32 s17, v30, 10
	s_and_b64 s[16:17], s[14:15], s[16:17]
	s_mov_b64 exec, s[16:17]
	s_cbranch_execz .LBB52_788
; %bb.787:
	v_lshlrev_b32_e32 v18, 3, v15
	ds_read_b64 v[18:19], v18 offset:7168
	ds_read_b64 v[20:21], v17
	s_waitcnt lgkmcnt(0)
	v_mul_f32_e32 v22, v21, v19
	v_mul_f32_e32 v19, v20, v19
	v_fma_f32 v20, v20, v18, -v22
	v_fmac_f32_e32 v19, v21, v18
	v_sub_f32_e32 v3, v3, v20
	v_sub_f32_e32 v4, v4, v19
.LBB52_788:
	s_or_b64 exec, exec, s[14:15]
	s_barrier
	;; [unrolled: 42-line block ×13, first 2 shown]
	s_and_saveexec_b64 s[14:15], s[92:93]
	s_cbranch_execz .LBB52_834
; %bb.833:
	v_mov_b32_e32 v18, 0
	ds_read_b64 v[18:19], v18 offset:1040
	s_waitcnt lgkmcnt(0)
	v_mul_f32_e32 v20, v4, v19
	v_mul_f32_e32 v21, v3, v19
	v_fma_f32 v3, v3, v18, -v20
	v_fmac_f32_e32 v21, v4, v18
	v_xor_b32_e32 v18, 0x80000000, v3
	v_xor_b32_e32 v19, 0x80000000, v21
	v_mov_b32_e32 v4, v21
	ds_write_b64 v17, v[18:19]
.LBB52_834:
	s_or_b64 exec, exec, s[14:15]
	s_waitcnt lgkmcnt(0)
	s_barrier
	s_and_saveexec_b64 s[14:15], s[96:97]
	s_cbranch_execz .LBB52_836
; %bb.835:
	v_lshlrev_b32_e32 v18, 3, v15
	ds_read_b64 v[18:19], v18 offset:1024
	ds_read_b64 v[20:21], v17
	s_waitcnt lgkmcnt(0)
	v_mul_f32_e32 v22, v21, v19
	v_mul_f32_e32 v19, v20, v19
	v_fma_f32 v20, v20, v18, -v22
	v_fmac_f32_e32 v19, v21, v18
	v_sub_f32_e32 v3, v3, v20
	v_sub_f32_e32 v4, v4, v19
.LBB52_836:
	s_or_b64 exec, exec, s[14:15]
	s_barrier
	s_and_saveexec_b64 s[14:15], s[98:99]
	s_cbranch_execz .LBB52_838
; %bb.837:
	v_mov_b32_e32 v18, 0
	ds_read_b64 v[18:19], v18 offset:520
	s_waitcnt lgkmcnt(0)
	v_mul_f32_e32 v20, v4, v19
	v_mul_f32_e32 v21, v3, v19
	v_fma_f32 v3, v3, v18, -v20
	v_fmac_f32_e32 v21, v4, v18
	v_xor_b32_e32 v18, 0x80000000, v3
	v_xor_b32_e32 v19, 0x80000000, v21
	v_mov_b32_e32 v4, v21
	ds_write_b64 v17, v[18:19]
.LBB52_838:
	s_or_b64 exec, exec, s[14:15]
	s_waitcnt lgkmcnt(0)
	s_barrier
	s_and_saveexec_b64 s[14:15], s[94:95]
	s_cbranch_execz .LBB52_840
; %bb.839:
	v_mov_b32_e32 v18, 0
	ds_read_b64 v[18:19], v18 offset:512
	ds_read_b64 v[20:21], v17
	s_waitcnt lgkmcnt(0)
	v_mul_f32_e32 v22, v21, v19
	v_mul_f32_e32 v19, v20, v19
	v_fma_f32 v20, v20, v18, -v22
	v_fmac_f32_e32 v19, v21, v18
	v_sub_f32_e32 v3, v3, v20
	v_sub_f32_e32 v4, v4, v19
.LBB52_840:
	s_or_b64 exec, exec, s[14:15]
	s_barrier
	s_and_saveexec_b64 s[14:15], s[94:95]
	s_cbranch_execz .LBB52_842
; %bb.841:
	v_mov_b32_e32 v18, 0
	ds_read_b64 v[18:19], v18
	s_waitcnt lgkmcnt(0)
	v_mul_f32_e32 v20, v4, v19
	v_mul_f32_e32 v21, v3, v19
	v_fma_f32 v3, v3, v18, -v20
	v_fmac_f32_e32 v21, v4, v18
	v_xor_b32_e32 v18, 0x80000000, v3
	v_xor_b32_e32 v19, 0x80000000, v21
	v_mov_b32_e32 v4, v21
	ds_write_b64 v17, v[18:19]
.LBB52_842:
	s_or_b64 exec, exec, s[14:15]
	s_waitcnt lgkmcnt(0)
	s_barrier
	s_barrier
	s_and_saveexec_b64 s[14:15], s[12:13]
; %bb.843:
	v_lshlrev_b32_e32 v15, 3, v15
	v_lshl_or_b32 v15, v16, 9, v15
	ds_write_b64 v15, v[3:4] offset:8192
; %bb.844:
	s_or_b64 exec, exec, s[14:15]
	s_waitcnt lgkmcnt(0)
	s_barrier
	s_barrier
	s_and_saveexec_b64 s[12:13], vcc
	s_cbranch_execz .LBB52_846
; %bb.845:
	s_movk_i32 s14, 0x70
	v_mov_b32_e32 v19, 0
	v_add_u32_e64 v15, s14, 0
	ds_read_b64 v[3:4], v19 offset:7800
	ds_read2st64_b64 v[15:18], v15 offset0:14 offset1:15
	s_waitcnt lgkmcnt(0)
	v_mul_f32_e32 v20, v4, v16
	v_mul_f32_e32 v16, v3, v16
	v_fma_f32 v20, v3, v15, -v20
	v_fmac_f32_e32 v16, v4, v15
	v_mul_f32_e32 v3, v16, v18
	v_mul_f32_e32 v4, v20, v18
	v_fma_f32 v3, v20, v17, -v3
	v_fmac_f32_e32 v4, v16, v17
	ds_write_b64 v19, v[3:4] offset:7792
.LBB52_846:
	s_or_b64 exec, exec, s[12:13]
	v_mov_b32_e32 v3, 0
	v_mov_b32_e32 v4, 0
	s_waitcnt lgkmcnt(0)
	s_barrier
	buffer_wbinvl1_vol
	s_and_saveexec_b64 s[14:15], s[6:7]
	s_cbranch_execz .LBB52_850
; %bb.847:
	v_lshlrev_b32_e32 v3, 3, v5
	v_lshlrev_b32_e32 v15, 9, v6
	ds_read_b64 v[3:4], v3 offset:7264
	ds_read_b64 v[15:16], v15 offset:7280
	v_cmp_gt_u32_e64 s[12:13], 2, v8
	s_waitcnt lgkmcnt(0)
	v_mul_f32_e32 v17, v16, v4
	v_mul_f32_e32 v4, v15, v4
	v_fma_f32 v15, v15, v3, -v17
	v_fmac_f32_e32 v4, v16, v3
	v_add_f32_e32 v3, 0, v15
	v_add_f32_e32 v4, 0, v4
	s_and_saveexec_b64 s[16:17], s[12:13]
	s_cbranch_execz .LBB52_849
; %bb.848:
	v_lshlrev_b32_e32 v15, 3, v0
	v_mov_b32_e32 v17, 0
	ds_read_b64 v[15:16], v15 offset:7776
	ds_read_b64 v[17:18], v17 offset:7800
	s_waitcnt lgkmcnt(0)
	v_mul_f32_e32 v19, v18, v16
	v_mul_f32_e32 v16, v17, v16
	v_fma_f32 v17, v17, v15, -v19
	v_fmac_f32_e32 v16, v18, v15
	v_add_f32_e32 v3, v3, v17
	v_add_f32_e32 v4, v4, v16
.LBB52_849:
	s_or_b64 exec, exec, s[16:17]
.LBB52_850:
	s_or_b64 exec, exec, s[14:15]
	s_and_saveexec_b64 s[12:13], s[36:37]
	s_cbranch_execz .LBB52_852
; %bb.851:
	v_mov_b32_e32 v15, 0
	ds_read_b64 v[15:16], v15 offset:6760
	s_waitcnt lgkmcnt(0)
	v_mul_f32_e32 v17, v4, v16
	v_mul_f32_e32 v18, v3, v16
	v_fma_f32 v3, v3, v15, -v17
	v_fmac_f32_e32 v18, v4, v15
	v_xor_b32_e32 v15, 0x80000000, v3
	v_xor_b32_e32 v16, 0x80000000, v18
	v_mov_b32_e32 v4, v18
	ds_write_b64 v7, v[15:16]
.LBB52_852:
	s_or_b64 exec, exec, s[12:13]
	s_waitcnt lgkmcnt(0)
	s_barrier
	s_and_saveexec_b64 s[12:13], s[34:35]
	s_cbranch_execz .LBB52_854
; %bb.853:
	v_mov_b32_e32 v15, 0
	ds_read_b64 v[15:16], v15 offset:6752
	ds_read_b64 v[17:18], v7
	s_waitcnt lgkmcnt(0)
	v_mul_f32_e32 v19, v18, v16
	v_mul_f32_e32 v16, v17, v16
	v_fma_f32 v17, v17, v15, -v19
	v_fmac_f32_e32 v16, v18, v15
	v_sub_f32_e32 v3, v3, v17
	v_sub_f32_e32 v4, v4, v16
.LBB52_854:
	s_or_b64 exec, exec, s[12:13]
	s_barrier
	s_and_saveexec_b64 s[12:13], s[34:35]
	s_cbranch_execz .LBB52_856
; %bb.855:
	v_mov_b32_e32 v15, 0
	ds_read_b64 v[15:16], v15 offset:6240
	s_waitcnt lgkmcnt(0)
	v_mul_f32_e32 v17, v4, v16
	v_mul_f32_e32 v18, v3, v16
	v_fma_f32 v3, v3, v15, -v17
	v_fmac_f32_e32 v18, v4, v15
	v_xor_b32_e32 v15, 0x80000000, v3
	v_xor_b32_e32 v16, 0x80000000, v18
	v_mov_b32_e32 v4, v18
	ds_write_b64 v7, v[15:16]
.LBB52_856:
	s_or_b64 exec, exec, s[12:13]
	s_waitcnt lgkmcnt(0)
	s_barrier
	s_barrier
	s_and_saveexec_b64 s[12:13], s[6:7]
; %bb.857:
	v_lshlrev_b32_e32 v15, 3, v5
	v_lshl_or_b32 v15, v6, 9, v15
	ds_write_b64 v15, v[3:4] offset:7264
; %bb.858:
	s_or_b64 exec, exec, s[12:13]
	s_waitcnt lgkmcnt(0)
	s_barrier
	s_barrier
	s_and_saveexec_b64 s[12:13], vcc
	s_cbranch_execz .LBB52_860
; %bb.859:
	s_movk_i32 s14, 0x60
	v_mov_b32_e32 v19, 0
	v_add_u32_e64 v15, s14, 0
	ds_read_b64 v[3:4], v19 offset:6760
	ds_read2st64_b64 v[15:18], v15 offset0:12 offset1:13
	s_waitcnt lgkmcnt(0)
	v_mul_f32_e32 v20, v4, v16
	v_mul_f32_e32 v16, v3, v16
	v_fma_f32 v20, v3, v15, -v20
	v_fmac_f32_e32 v16, v4, v15
	v_mul_f32_e32 v3, v16, v18
	v_mul_f32_e32 v4, v20, v18
	v_fma_f32 v3, v20, v17, -v3
	v_fmac_f32_e32 v4, v16, v17
	ds_write_b64 v19, v[3:4] offset:6752
.LBB52_860:
	s_or_b64 exec, exec, s[12:13]
	v_mov_b32_e32 v4, 0
	v_mov_b32_e32 v3, 0
	s_waitcnt lgkmcnt(0)
	s_barrier
	buffer_wbinvl1_vol
	s_and_saveexec_b64 s[14:15], s[18:19]
	s_cbranch_execz .LBB52_866
; %bb.861:
	v_lshlrev_b32_e32 v15, 3, v9
	v_lshlrev_b32_e32 v16, 9, v10
	ds_read_b64 v[3:4], v15 offset:6208
	ds_read_b64 v[17:18], v16 offset:6240
	v_cmp_gt_u32_e64 s[12:13], 12, v8
	s_waitcnt lgkmcnt(0)
	v_mul_f32_e32 v19, v18, v4
	v_mul_f32_e32 v4, v17, v4
	v_fma_f32 v17, v17, v3, -v19
	v_fmac_f32_e32 v4, v18, v3
	v_add_f32_e32 v3, 0, v17
	v_add_f32_e32 v4, 0, v4
	s_and_saveexec_b64 s[16:17], s[12:13]
	s_cbranch_execnz .LBB52_1094
; %bb.862:
	s_or_b64 exec, exec, s[16:17]
	v_cmp_gt_u32_e64 s[12:13], 8, v8
	s_and_saveexec_b64 s[16:17], s[12:13]
	s_cbranch_execnz .LBB52_1095
.LBB52_863:
	s_or_b64 exec, exec, s[16:17]
	v_cmp_gt_u32_e64 s[12:13], 4, v8
	s_and_saveexec_b64 s[16:17], s[12:13]
	s_cbranch_execz .LBB52_865
.LBB52_864:
	v_lshlrev_b32_e32 v15, 3, v0
	v_mov_b32_e32 v17, 0
	ds_read_b64 v[15:16], v15 offset:7744
	ds_read_b64 v[17:18], v17 offset:7800
	s_waitcnt lgkmcnt(0)
	v_mul_f32_e32 v19, v18, v16
	v_mul_f32_e32 v16, v17, v16
	v_fma_f32 v17, v17, v15, -v19
	v_fmac_f32_e32 v16, v18, v15
	v_add_f32_e32 v3, v3, v17
	v_add_f32_e32 v4, v4, v16
.LBB52_865:
	s_or_b64 exec, exec, s[16:17]
.LBB52_866:
	s_or_b64 exec, exec, s[14:15]
	s_and_saveexec_b64 s[12:13], s[42:43]
	s_cbranch_execz .LBB52_868
; %bb.867:
	v_mov_b32_e32 v15, 0
	ds_read_b64 v[15:16], v15 offset:5720
	s_waitcnt lgkmcnt(0)
	v_mul_f32_e32 v17, v4, v16
	v_mul_f32_e32 v18, v3, v16
	v_fma_f32 v3, v3, v15, -v17
	v_fmac_f32_e32 v18, v4, v15
	v_xor_b32_e32 v15, 0x80000000, v3
	v_xor_b32_e32 v16, 0x80000000, v18
	v_mov_b32_e32 v4, v18
	ds_write_b64 v11, v[15:16]
.LBB52_868:
	s_or_b64 exec, exec, s[12:13]
	s_waitcnt lgkmcnt(0)
	s_barrier
	s_and_saveexec_b64 s[12:13], s[44:45]
	s_cbranch_execz .LBB52_870
; %bb.869:
	v_lshlrev_b32_e32 v15, 3, v9
	ds_read_b64 v[15:16], v15 offset:5696
	ds_read_b64 v[17:18], v11
	s_waitcnt lgkmcnt(0)
	v_mul_f32_e32 v19, v18, v16
	v_mul_f32_e32 v16, v17, v16
	v_fma_f32 v17, v17, v15, -v19
	v_fmac_f32_e32 v16, v18, v15
	v_sub_f32_e32 v3, v3, v17
	v_sub_f32_e32 v4, v4, v16
.LBB52_870:
	s_or_b64 exec, exec, s[12:13]
	s_barrier
	s_and_saveexec_b64 s[12:13], s[52:53]
	s_cbranch_execz .LBB52_872
; %bb.871:
	v_mov_b32_e32 v15, 0
	ds_read_b64 v[15:16], v15 offset:5200
	s_waitcnt lgkmcnt(0)
	v_mul_f32_e32 v17, v4, v16
	v_mul_f32_e32 v18, v3, v16
	v_fma_f32 v3, v3, v15, -v17
	v_fmac_f32_e32 v18, v4, v15
	v_xor_b32_e32 v15, 0x80000000, v3
	v_xor_b32_e32 v16, 0x80000000, v18
	v_mov_b32_e32 v4, v18
	ds_write_b64 v11, v[15:16]
.LBB52_872:
	s_or_b64 exec, exec, s[12:13]
	s_waitcnt lgkmcnt(0)
	s_barrier
	s_and_saveexec_b64 s[12:13], s[54:55]
	s_cbranch_execz .LBB52_874
; %bb.873:
	v_lshlrev_b32_e32 v15, 3, v9
	ds_read_b64 v[15:16], v15 offset:5184
	ds_read_b64 v[17:18], v11
	s_waitcnt lgkmcnt(0)
	v_mul_f32_e32 v19, v18, v16
	v_mul_f32_e32 v16, v17, v16
	v_fma_f32 v17, v17, v15, -v19
	v_fmac_f32_e32 v16, v18, v15
	v_sub_f32_e32 v3, v3, v17
	v_sub_f32_e32 v4, v4, v16
.LBB52_874:
	s_or_b64 exec, exec, s[12:13]
	s_barrier
	s_and_saveexec_b64 s[12:13], s[56:57]
	s_cbranch_execz .LBB52_876
; %bb.875:
	v_mov_b32_e32 v15, 0
	ds_read_b64 v[15:16], v15 offset:4680
	s_waitcnt lgkmcnt(0)
	v_mul_f32_e32 v17, v4, v16
	v_mul_f32_e32 v18, v3, v16
	v_fma_f32 v3, v3, v15, -v17
	v_fmac_f32_e32 v18, v4, v15
	v_xor_b32_e32 v15, 0x80000000, v3
	v_xor_b32_e32 v16, 0x80000000, v18
	v_mov_b32_e32 v4, v18
	ds_write_b64 v11, v[15:16]
.LBB52_876:
	s_or_b64 exec, exec, s[12:13]
	s_waitcnt lgkmcnt(0)
	s_barrier
	s_and_saveexec_b64 s[12:13], s[38:39]
	s_cbranch_execz .LBB52_878
; %bb.877:
	v_mov_b32_e32 v15, 0
	ds_read_b64 v[15:16], v15 offset:4672
	ds_read_b64 v[17:18], v11
	s_waitcnt lgkmcnt(0)
	v_mul_f32_e32 v19, v18, v16
	v_mul_f32_e32 v16, v17, v16
	v_fma_f32 v17, v17, v15, -v19
	v_fmac_f32_e32 v16, v18, v15
	v_sub_f32_e32 v3, v3, v17
	v_sub_f32_e32 v4, v4, v16
.LBB52_878:
	s_or_b64 exec, exec, s[12:13]
	s_barrier
	s_and_saveexec_b64 s[12:13], s[38:39]
	s_cbranch_execz .LBB52_880
; %bb.879:
	v_mov_b32_e32 v15, 0
	ds_read_b64 v[15:16], v15 offset:4160
	s_waitcnt lgkmcnt(0)
	v_mul_f32_e32 v17, v4, v16
	v_mul_f32_e32 v18, v3, v16
	v_fma_f32 v3, v3, v15, -v17
	v_fmac_f32_e32 v18, v4, v15
	v_xor_b32_e32 v15, 0x80000000, v3
	v_xor_b32_e32 v16, 0x80000000, v18
	v_mov_b32_e32 v4, v18
	ds_write_b64 v11, v[15:16]
.LBB52_880:
	s_or_b64 exec, exec, s[12:13]
	s_waitcnt lgkmcnt(0)
	s_barrier
	s_barrier
	s_and_saveexec_b64 s[12:13], s[18:19]
; %bb.881:
	v_lshlrev_b32_e32 v15, 3, v9
	v_lshl_or_b32 v15, v10, 9, v15
	ds_write_b64 v15, v[3:4] offset:6208
; %bb.882:
	s_or_b64 exec, exec, s[12:13]
	s_waitcnt lgkmcnt(0)
	s_barrier
	s_barrier
	s_and_saveexec_b64 s[12:13], vcc
	s_cbranch_execz .LBB52_884
; %bb.883:
	s_movk_i32 s14, 0x50
	v_mov_b32_e32 v19, 0
	v_add_u32_e64 v15, s14, 0
	ds_read_b64 v[3:4], v19 offset:5720
	ds_read2st64_b64 v[15:18], v15 offset0:10 offset1:11
	s_waitcnt lgkmcnt(0)
	v_mul_f32_e32 v20, v4, v16
	v_mul_f32_e32 v16, v3, v16
	v_fma_f32 v20, v3, v15, -v20
	v_fmac_f32_e32 v16, v4, v15
	v_mul_f32_e32 v3, v16, v18
	v_mul_f32_e32 v4, v20, v18
	v_fma_f32 v3, v20, v17, -v3
	v_fmac_f32_e32 v4, v16, v17
	ds_write_b64 v19, v[3:4] offset:5712
.LBB52_884:
	s_or_b64 exec, exec, s[12:13]
	v_mov_b32_e32 v3, 0
	v_mov_b32_e32 v4, 0
	s_waitcnt lgkmcnt(0)
	s_barrier
	buffer_wbinvl1_vol
	s_and_saveexec_b64 s[14:15], s[6:7]
	s_cbranch_execz .LBB52_888
; %bb.885:
	v_lshlrev_b32_e32 v3, 3, v5
	v_lshlrev_b32_e32 v15, 9, v6
	ds_read_b64 v[3:4], v3 offset:5184
	ds_read_b64 v[15:16], v15 offset:5200
	v_cmp_gt_u32_e64 s[12:13], 2, v8
	s_waitcnt lgkmcnt(0)
	v_mul_f32_e32 v17, v16, v4
	v_mul_f32_e32 v4, v15, v4
	v_fma_f32 v15, v15, v3, -v17
	v_fmac_f32_e32 v4, v16, v3
	v_add_f32_e32 v3, 0, v15
	v_add_f32_e32 v4, 0, v4
	s_and_saveexec_b64 s[16:17], s[12:13]
	s_cbranch_execz .LBB52_887
; %bb.886:
	v_lshlrev_b32_e32 v15, 3, v0
	v_mov_b32_e32 v17, 0
	ds_read_b64 v[15:16], v15 offset:5696
	ds_read_b64 v[17:18], v17 offset:5720
	s_waitcnt lgkmcnt(0)
	v_mul_f32_e32 v19, v18, v16
	v_mul_f32_e32 v16, v17, v16
	v_fma_f32 v17, v17, v15, -v19
	v_fmac_f32_e32 v16, v18, v15
	v_add_f32_e32 v3, v3, v17
	v_add_f32_e32 v4, v4, v16
.LBB52_887:
	s_or_b64 exec, exec, s[16:17]
.LBB52_888:
	s_or_b64 exec, exec, s[14:15]
	s_and_saveexec_b64 s[12:13], s[36:37]
	s_cbranch_execz .LBB52_890
; %bb.889:
	v_mov_b32_e32 v15, 0
	ds_read_b64 v[15:16], v15 offset:4680
	s_waitcnt lgkmcnt(0)
	v_mul_f32_e32 v17, v4, v16
	v_mul_f32_e32 v18, v3, v16
	v_fma_f32 v3, v3, v15, -v17
	v_fmac_f32_e32 v18, v4, v15
	v_xor_b32_e32 v15, 0x80000000, v3
	v_xor_b32_e32 v16, 0x80000000, v18
	v_mov_b32_e32 v4, v18
	ds_write_b64 v7, v[15:16]
.LBB52_890:
	s_or_b64 exec, exec, s[12:13]
	s_waitcnt lgkmcnt(0)
	s_barrier
	s_and_saveexec_b64 s[12:13], s[34:35]
	s_cbranch_execz .LBB52_892
; %bb.891:
	v_mov_b32_e32 v15, 0
	ds_read_b64 v[15:16], v15 offset:4672
	ds_read_b64 v[17:18], v7
	s_waitcnt lgkmcnt(0)
	v_mul_f32_e32 v19, v18, v16
	v_mul_f32_e32 v16, v17, v16
	v_fma_f32 v17, v17, v15, -v19
	v_fmac_f32_e32 v16, v18, v15
	v_sub_f32_e32 v3, v3, v17
	v_sub_f32_e32 v4, v4, v16
.LBB52_892:
	s_or_b64 exec, exec, s[12:13]
	s_barrier
	s_and_saveexec_b64 s[12:13], s[34:35]
	s_cbranch_execz .LBB52_894
; %bb.893:
	v_mov_b32_e32 v15, 0
	ds_read_b64 v[15:16], v15 offset:4160
	s_waitcnt lgkmcnt(0)
	v_mul_f32_e32 v17, v4, v16
	v_mul_f32_e32 v18, v3, v16
	v_fma_f32 v3, v3, v15, -v17
	v_fmac_f32_e32 v18, v4, v15
	v_xor_b32_e32 v15, 0x80000000, v3
	v_xor_b32_e32 v16, 0x80000000, v18
	v_mov_b32_e32 v4, v18
	ds_write_b64 v7, v[15:16]
.LBB52_894:
	s_or_b64 exec, exec, s[12:13]
	s_waitcnt lgkmcnt(0)
	s_barrier
	s_barrier
	s_and_saveexec_b64 s[12:13], s[6:7]
; %bb.895:
	v_lshlrev_b32_e32 v15, 3, v5
	v_lshl_or_b32 v15, v6, 9, v15
	ds_write_b64 v15, v[3:4] offset:5184
; %bb.896:
	s_or_b64 exec, exec, s[12:13]
	s_waitcnt lgkmcnt(0)
	s_barrier
	s_barrier
	s_and_saveexec_b64 s[12:13], vcc
	s_cbranch_execz .LBB52_898
; %bb.897:
	v_add_u32_e64 v3, 64, 0
	v_mov_b32_e32 v19, 0
	ds_read2st64_b64 v[15:18], v3 offset0:8 offset1:9
	ds_read_b64 v[3:4], v19 offset:4680
	s_waitcnt lgkmcnt(0)
	v_mul_f32_e32 v20, v4, v16
	v_mul_f32_e32 v16, v3, v16
	v_fma_f32 v20, v3, v15, -v20
	v_fmac_f32_e32 v16, v4, v15
	v_mul_f32_e32 v3, v16, v18
	v_mul_f32_e32 v4, v20, v18
	v_fma_f32 v3, v20, v17, -v3
	v_fmac_f32_e32 v4, v16, v17
	ds_write_b64 v19, v[3:4] offset:4672
.LBB52_898:
	s_or_b64 exec, exec, s[12:13]
	v_mov_b32_e32 v4, 0
	v_mov_b32_e32 v3, 0
	s_waitcnt lgkmcnt(0)
	s_barrier
	buffer_wbinvl1_vol
	s_and_saveexec_b64 s[14:15], s[10:11]
	s_cbranch_execz .LBB52_908
; %bb.899:
	v_lshlrev_b32_e32 v15, 3, v12
	v_lshlrev_b32_e32 v16, 9, v13
	ds_read_b64 v[3:4], v15 offset:4096
	ds_read_b64 v[17:18], v16 offset:4160
	v_cmp_gt_u32_e64 s[12:13], 56, v8
	s_waitcnt lgkmcnt(0)
	v_mul_f32_e32 v19, v18, v4
	v_mul_f32_e32 v4, v17, v4
	v_fma_f32 v17, v17, v3, -v19
	v_fmac_f32_e32 v4, v18, v3
	v_add_f32_e32 v3, 0, v17
	v_add_f32_e32 v4, 0, v4
	s_and_saveexec_b64 s[16:17], s[12:13]
	s_cbranch_execnz .LBB52_1096
; %bb.900:
	s_or_b64 exec, exec, s[16:17]
	v_cmp_gt_u32_e64 s[12:13], 48, v8
	s_and_saveexec_b64 s[16:17], s[12:13]
	s_cbranch_execnz .LBB52_1097
.LBB52_901:
	s_or_b64 exec, exec, s[16:17]
	v_cmp_gt_u32_e64 s[12:13], 40, v8
	s_and_saveexec_b64 s[16:17], s[12:13]
	s_cbranch_execnz .LBB52_1098
.LBB52_902:
	s_or_b64 exec, exec, s[16:17]
	v_cmp_gt_u32_e64 s[12:13], 32, v8
	s_and_saveexec_b64 s[16:17], s[12:13]
	s_cbranch_execnz .LBB52_1099
.LBB52_903:
	s_or_b64 exec, exec, s[16:17]
	v_cmp_gt_u32_e64 s[12:13], 24, v8
	s_and_saveexec_b64 s[16:17], s[12:13]
	s_cbranch_execnz .LBB52_1100
.LBB52_904:
	s_or_b64 exec, exec, s[16:17]
	s_and_saveexec_b64 s[12:13], s[18:19]
	s_cbranch_execnz .LBB52_1101
.LBB52_905:
	s_or_b64 exec, exec, s[12:13]
	v_cmp_gt_u32_e64 s[12:13], 8, v8
	s_and_saveexec_b64 s[16:17], s[12:13]
	s_cbranch_execz .LBB52_907
.LBB52_906:
	v_lshlrev_b32_e32 v15, 3, v0
	v_mov_b32_e32 v17, 0
	ds_read_b64 v[15:16], v15 offset:7680
	ds_read_b64 v[17:18], v17 offset:7800
	s_waitcnt lgkmcnt(0)
	v_mul_f32_e32 v19, v18, v16
	v_mul_f32_e32 v16, v17, v16
	v_fma_f32 v17, v17, v15, -v19
	v_fmac_f32_e32 v16, v18, v15
	v_add_f32_e32 v3, v3, v17
	v_add_f32_e32 v4, v4, v16
.LBB52_907:
	s_or_b64 exec, exec, s[16:17]
.LBB52_908:
	s_or_b64 exec, exec, s[14:15]
	s_and_saveexec_b64 s[12:13], s[60:61]
	s_cbranch_execz .LBB52_910
; %bb.909:
	v_mov_b32_e32 v15, 0
	ds_read_b64 v[15:16], v15 offset:3640
	s_waitcnt lgkmcnt(0)
	v_mul_f32_e32 v17, v4, v16
	v_mul_f32_e32 v18, v3, v16
	v_fma_f32 v3, v3, v15, -v17
	v_fmac_f32_e32 v18, v4, v15
	v_xor_b32_e32 v15, 0x80000000, v3
	v_xor_b32_e32 v16, 0x80000000, v18
	v_mov_b32_e32 v4, v18
	ds_write_b64 v14, v[15:16]
.LBB52_910:
	s_or_b64 exec, exec, s[12:13]
	s_waitcnt lgkmcnt(0)
	s_barrier
	s_and_saveexec_b64 s[12:13], s[62:63]
	s_load_dword s20, s[4:5], 0x6c
	v_readlane_b32 s60, v30, 2
	s_cbranch_execz .LBB52_912
; %bb.911:
	v_lshlrev_b32_e32 v15, 3, v12
	ds_read_b64 v[15:16], v15 offset:3584
	ds_read_b64 v[17:18], v14
	s_waitcnt lgkmcnt(0)
	v_mul_f32_e32 v19, v18, v16
	v_mul_f32_e32 v16, v17, v16
	v_fma_f32 v17, v17, v15, -v19
	v_fmac_f32_e32 v16, v18, v15
	v_sub_f32_e32 v3, v3, v17
	v_sub_f32_e32 v4, v4, v16
.LBB52_912:
	s_or_b64 exec, exec, s[12:13]
	s_waitcnt lgkmcnt(0)
	s_barrier
	s_and_saveexec_b64 s[12:13], s[64:65]
	s_cbranch_execz .LBB52_914
; %bb.913:
	v_mov_b32_e32 v15, 0
	ds_read_b64 v[15:16], v15 offset:3120
	s_waitcnt lgkmcnt(0)
	v_mul_f32_e32 v17, v4, v16
	v_mul_f32_e32 v18, v3, v16
	v_fma_f32 v3, v3, v15, -v17
	v_fmac_f32_e32 v18, v4, v15
	v_xor_b32_e32 v15, 0x80000000, v3
	v_xor_b32_e32 v16, 0x80000000, v18
	v_mov_b32_e32 v4, v18
	ds_write_b64 v14, v[15:16]
.LBB52_914:
	s_or_b64 exec, exec, s[12:13]
	s_waitcnt lgkmcnt(0)
	s_barrier
	s_and_saveexec_b64 s[12:13], s[66:67]
	s_cbranch_execz .LBB52_916
; %bb.915:
	v_lshlrev_b32_e32 v15, 3, v12
	ds_read_b64 v[15:16], v15 offset:3072
	ds_read_b64 v[17:18], v14
	s_waitcnt lgkmcnt(0)
	v_mul_f32_e32 v19, v18, v16
	v_mul_f32_e32 v16, v17, v16
	v_fma_f32 v17, v17, v15, -v19
	v_fmac_f32_e32 v16, v18, v15
	v_sub_f32_e32 v3, v3, v17
	v_sub_f32_e32 v4, v4, v16
.LBB52_916:
	s_or_b64 exec, exec, s[12:13]
	s_barrier
	s_and_saveexec_b64 s[12:13], s[68:69]
	s_cbranch_execz .LBB52_918
; %bb.917:
	v_mov_b32_e32 v15, 0
	ds_read_b64 v[15:16], v15 offset:2600
	s_waitcnt lgkmcnt(0)
	v_mul_f32_e32 v17, v4, v16
	v_mul_f32_e32 v18, v3, v16
	v_fma_f32 v3, v3, v15, -v17
	v_fmac_f32_e32 v18, v4, v15
	v_xor_b32_e32 v15, 0x80000000, v3
	v_xor_b32_e32 v16, 0x80000000, v18
	v_mov_b32_e32 v4, v18
	ds_write_b64 v14, v[15:16]
.LBB52_918:
	s_or_b64 exec, exec, s[12:13]
	s_waitcnt lgkmcnt(0)
	s_barrier
	s_and_saveexec_b64 s[12:13], s[70:71]
	s_cbranch_execz .LBB52_920
; %bb.919:
	v_lshlrev_b32_e32 v15, 3, v12
	ds_read_b64 v[15:16], v15 offset:2560
	ds_read_b64 v[17:18], v14
	s_waitcnt lgkmcnt(0)
	v_mul_f32_e32 v19, v18, v16
	v_mul_f32_e32 v16, v17, v16
	v_fma_f32 v17, v17, v15, -v19
	v_fmac_f32_e32 v16, v18, v15
	v_sub_f32_e32 v3, v3, v17
	v_sub_f32_e32 v4, v4, v16
.LBB52_920:
	s_or_b64 exec, exec, s[12:13]
	;; [unrolled: 34-line block ×5, first 2 shown]
	s_barrier
	s_and_saveexec_b64 s[12:13], s[84:85]
	s_cbranch_execz .LBB52_934
; %bb.933:
	v_mov_b32_e32 v15, 0
	ds_read_b64 v[15:16], v15 offset:520
	s_waitcnt lgkmcnt(0)
	v_mul_f32_e32 v17, v4, v16
	v_mul_f32_e32 v18, v3, v16
	v_fma_f32 v3, v3, v15, -v17
	v_fmac_f32_e32 v18, v4, v15
	v_xor_b32_e32 v15, 0x80000000, v3
	v_xor_b32_e32 v16, 0x80000000, v18
	v_mov_b32_e32 v4, v18
	ds_write_b64 v14, v[15:16]
.LBB52_934:
	s_or_b64 exec, exec, s[12:13]
	s_waitcnt lgkmcnt(0)
	s_barrier
	s_and_saveexec_b64 s[12:13], s[58:59]
	s_cbranch_execz .LBB52_936
; %bb.935:
	v_mov_b32_e32 v15, 0
	ds_read_b64 v[15:16], v15 offset:512
	ds_read_b64 v[17:18], v14
	s_waitcnt lgkmcnt(0)
	v_mul_f32_e32 v19, v18, v16
	v_mul_f32_e32 v16, v17, v16
	v_fma_f32 v17, v17, v15, -v19
	v_fmac_f32_e32 v16, v18, v15
	v_sub_f32_e32 v3, v3, v17
	v_sub_f32_e32 v4, v4, v16
.LBB52_936:
	s_or_b64 exec, exec, s[12:13]
	s_barrier
	s_and_saveexec_b64 s[12:13], s[58:59]
	s_cbranch_execz .LBB52_938
; %bb.937:
	v_mov_b32_e32 v15, 0
	ds_read_b64 v[15:16], v15
	s_waitcnt lgkmcnt(0)
	v_mul_f32_e32 v17, v4, v16
	v_mul_f32_e32 v18, v3, v16
	v_fma_f32 v3, v3, v15, -v17
	v_fmac_f32_e32 v18, v4, v15
	v_xor_b32_e32 v15, 0x80000000, v3
	v_xor_b32_e32 v16, 0x80000000, v18
	v_mov_b32_e32 v4, v18
	ds_write_b64 v14, v[15:16]
.LBB52_938:
	s_or_b64 exec, exec, s[12:13]
	s_waitcnt lgkmcnt(0)
	s_barrier
	s_barrier
	s_and_saveexec_b64 s[12:13], s[10:11]
; %bb.939:
	v_lshlrev_b32_e32 v12, 3, v12
	v_lshl_or_b32 v12, v13, 9, v12
	ds_write_b64 v12, v[3:4] offset:4096
; %bb.940:
	s_or_b64 exec, exec, s[12:13]
	s_waitcnt lgkmcnt(0)
	s_barrier
	s_barrier
	s_and_saveexec_b64 s[10:11], vcc
	s_cbranch_execz .LBB52_942
; %bb.941:
	v_add_u32_e64 v3, 48, 0
	v_mov_b32_e32 v16, 0
	ds_read2st64_b64 v[12:15], v3 offset0:6 offset1:7
	ds_read_b64 v[3:4], v16 offset:3640
	s_waitcnt lgkmcnt(0)
	v_mul_f32_e32 v17, v4, v13
	v_mul_f32_e32 v13, v3, v13
	v_fma_f32 v17, v3, v12, -v17
	v_fmac_f32_e32 v13, v4, v12
	v_mul_f32_e32 v3, v13, v15
	v_mul_f32_e32 v4, v17, v15
	v_fma_f32 v3, v17, v14, -v3
	v_fmac_f32_e32 v4, v13, v14
	ds_write_b64 v16, v[3:4] offset:3632
.LBB52_942:
	s_or_b64 exec, exec, s[10:11]
	v_mov_b32_e32 v3, 0
	v_mov_b32_e32 v4, 0
	s_waitcnt lgkmcnt(0)
	s_barrier
	buffer_wbinvl1_vol
	s_and_saveexec_b64 s[12:13], s[6:7]
	s_cbranch_execz .LBB52_946
; %bb.943:
	v_lshlrev_b32_e32 v3, 3, v5
	v_lshlrev_b32_e32 v12, 9, v6
	ds_read_b64 v[3:4], v3 offset:3104
	ds_read_b64 v[12:13], v12 offset:3120
	v_cmp_gt_u32_e64 s[10:11], 2, v8
	s_waitcnt lgkmcnt(0)
	v_mul_f32_e32 v14, v13, v4
	v_mul_f32_e32 v4, v12, v4
	v_fma_f32 v12, v12, v3, -v14
	v_fmac_f32_e32 v4, v13, v3
	v_add_f32_e32 v3, 0, v12
	v_add_f32_e32 v4, 0, v4
	s_and_saveexec_b64 s[14:15], s[10:11]
	s_cbranch_execz .LBB52_945
; %bb.944:
	v_lshlrev_b32_e32 v12, 3, v0
	v_mov_b32_e32 v14, 0
	ds_read_b64 v[12:13], v12 offset:3616
	ds_read_b64 v[14:15], v14 offset:3640
	s_waitcnt lgkmcnt(0)
	v_mul_f32_e32 v16, v15, v13
	v_mul_f32_e32 v13, v14, v13
	v_fma_f32 v14, v14, v12, -v16
	v_fmac_f32_e32 v13, v15, v12
	v_add_f32_e32 v3, v3, v14
	v_add_f32_e32 v4, v4, v13
.LBB52_945:
	s_or_b64 exec, exec, s[14:15]
.LBB52_946:
	s_or_b64 exec, exec, s[12:13]
	s_and_saveexec_b64 s[10:11], s[36:37]
	s_cbranch_execz .LBB52_948
; %bb.947:
	v_mov_b32_e32 v12, 0
	ds_read_b64 v[12:13], v12 offset:2600
	s_waitcnt lgkmcnt(0)
	v_mul_f32_e32 v14, v4, v13
	v_mul_f32_e32 v15, v3, v13
	v_fma_f32 v3, v3, v12, -v14
	v_fmac_f32_e32 v15, v4, v12
	v_xor_b32_e32 v12, 0x80000000, v3
	v_xor_b32_e32 v13, 0x80000000, v15
	v_mov_b32_e32 v4, v15
	ds_write_b64 v7, v[12:13]
.LBB52_948:
	s_or_b64 exec, exec, s[10:11]
	s_waitcnt lgkmcnt(0)
	s_barrier
	s_and_saveexec_b64 s[10:11], s[34:35]
	s_cbranch_execz .LBB52_950
; %bb.949:
	v_mov_b32_e32 v12, 0
	ds_read_b64 v[12:13], v12 offset:2592
	ds_read_b64 v[14:15], v7
	s_waitcnt lgkmcnt(0)
	v_mul_f32_e32 v16, v15, v13
	v_mul_f32_e32 v13, v14, v13
	v_fma_f32 v14, v14, v12, -v16
	v_fmac_f32_e32 v13, v15, v12
	v_sub_f32_e32 v3, v3, v14
	v_sub_f32_e32 v4, v4, v13
.LBB52_950:
	s_or_b64 exec, exec, s[10:11]
	s_barrier
	s_and_saveexec_b64 s[10:11], s[34:35]
	s_cbranch_execz .LBB52_952
; %bb.951:
	v_mov_b32_e32 v12, 0
	ds_read_b64 v[12:13], v12 offset:2080
	s_waitcnt lgkmcnt(0)
	v_mul_f32_e32 v14, v4, v13
	v_mul_f32_e32 v15, v3, v13
	v_fma_f32 v3, v3, v12, -v14
	v_fmac_f32_e32 v15, v4, v12
	v_xor_b32_e32 v12, 0x80000000, v3
	v_xor_b32_e32 v13, 0x80000000, v15
	v_mov_b32_e32 v4, v15
	ds_write_b64 v7, v[12:13]
.LBB52_952:
	s_or_b64 exec, exec, s[10:11]
	s_waitcnt lgkmcnt(0)
	s_barrier
	s_barrier
	s_and_saveexec_b64 s[10:11], s[6:7]
; %bb.953:
	v_lshlrev_b32_e32 v12, 3, v5
	v_lshl_or_b32 v12, v6, 9, v12
	ds_write_b64 v12, v[3:4] offset:3104
; %bb.954:
	s_or_b64 exec, exec, s[10:11]
	s_waitcnt lgkmcnt(0)
	s_barrier
	s_barrier
	s_and_saveexec_b64 s[10:11], vcc
	s_cbranch_execz .LBB52_956
; %bb.955:
	v_add_u32_e64 v3, 32, 0
	v_mov_b32_e32 v16, 0
	ds_read2st64_b64 v[12:15], v3 offset0:4 offset1:5
	ds_read_b64 v[3:4], v16 offset:2600
	s_waitcnt lgkmcnt(0)
	v_mul_f32_e32 v17, v4, v13
	v_mul_f32_e32 v13, v3, v13
	v_fma_f32 v17, v3, v12, -v17
	v_fmac_f32_e32 v13, v4, v12
	v_mul_f32_e32 v3, v13, v15
	v_mul_f32_e32 v4, v17, v15
	v_fma_f32 v3, v17, v14, -v3
	v_fmac_f32_e32 v4, v13, v14
	ds_write_b64 v16, v[3:4] offset:2592
.LBB52_956:
	s_or_b64 exec, exec, s[10:11]
	v_mov_b32_e32 v4, 0
	v_mov_b32_e32 v3, 0
	s_waitcnt lgkmcnt(0)
	s_barrier
	buffer_wbinvl1_vol
	s_and_saveexec_b64 s[12:13], s[18:19]
	s_cbranch_execz .LBB52_962
; %bb.957:
	v_lshlrev_b32_e32 v12, 3, v9
	v_lshlrev_b32_e32 v13, 9, v10
	ds_read_b64 v[3:4], v12 offset:2048
	ds_read_b64 v[14:15], v13 offset:2080
	v_cmp_gt_u32_e64 s[10:11], 12, v8
	s_waitcnt lgkmcnt(0)
	v_mul_f32_e32 v16, v15, v4
	v_mul_f32_e32 v4, v14, v4
	v_fma_f32 v14, v14, v3, -v16
	v_fmac_f32_e32 v4, v15, v3
	v_add_f32_e32 v3, 0, v14
	v_add_f32_e32 v4, 0, v4
	s_and_saveexec_b64 s[14:15], s[10:11]
	s_cbranch_execnz .LBB52_1102
; %bb.958:
	s_or_b64 exec, exec, s[14:15]
	v_cmp_gt_u32_e64 s[10:11], 8, v8
	s_and_saveexec_b64 s[14:15], s[10:11]
	s_cbranch_execnz .LBB52_1103
.LBB52_959:
	s_or_b64 exec, exec, s[14:15]
	v_cmp_gt_u32_e64 s[10:11], 4, v8
	s_and_saveexec_b64 s[14:15], s[10:11]
	s_cbranch_execz .LBB52_961
.LBB52_960:
	v_lshlrev_b32_e32 v12, 3, v0
	v_mov_b32_e32 v14, 0
	ds_read_b64 v[12:13], v12 offset:3584
	ds_read_b64 v[14:15], v14 offset:3640
	s_waitcnt lgkmcnt(0)
	v_mul_f32_e32 v16, v15, v13
	v_mul_f32_e32 v13, v14, v13
	v_fma_f32 v14, v14, v12, -v16
	v_fmac_f32_e32 v13, v15, v12
	v_add_f32_e32 v3, v3, v14
	v_add_f32_e32 v4, v4, v13
.LBB52_961:
	s_or_b64 exec, exec, s[14:15]
.LBB52_962:
	s_or_b64 exec, exec, s[12:13]
	s_and_saveexec_b64 s[10:11], s[42:43]
	s_cbranch_execz .LBB52_964
; %bb.963:
	v_mov_b32_e32 v12, 0
	ds_read_b64 v[12:13], v12 offset:1560
	s_waitcnt lgkmcnt(0)
	v_mul_f32_e32 v14, v4, v13
	v_mul_f32_e32 v15, v3, v13
	v_fma_f32 v3, v3, v12, -v14
	v_fmac_f32_e32 v15, v4, v12
	v_xor_b32_e32 v12, 0x80000000, v3
	v_xor_b32_e32 v13, 0x80000000, v15
	v_mov_b32_e32 v4, v15
	ds_write_b64 v11, v[12:13]
.LBB52_964:
	s_or_b64 exec, exec, s[10:11]
	s_waitcnt lgkmcnt(0)
	s_barrier
	s_and_saveexec_b64 s[10:11], s[44:45]
	s_cbranch_execz .LBB52_966
; %bb.965:
	v_lshlrev_b32_e32 v12, 3, v9
	ds_read_b64 v[12:13], v12 offset:1536
	ds_read_b64 v[14:15], v11
	s_waitcnt lgkmcnt(0)
	v_mul_f32_e32 v16, v15, v13
	v_mul_f32_e32 v13, v14, v13
	v_fma_f32 v14, v14, v12, -v16
	v_fmac_f32_e32 v13, v15, v12
	v_sub_f32_e32 v3, v3, v14
	v_sub_f32_e32 v4, v4, v13
.LBB52_966:
	s_or_b64 exec, exec, s[10:11]
	s_barrier
	s_and_saveexec_b64 s[10:11], s[52:53]
	s_cbranch_execz .LBB52_968
; %bb.967:
	v_mov_b32_e32 v12, 0
	ds_read_b64 v[12:13], v12 offset:1040
	s_waitcnt lgkmcnt(0)
	v_mul_f32_e32 v14, v4, v13
	v_mul_f32_e32 v15, v3, v13
	v_fma_f32 v3, v3, v12, -v14
	v_fmac_f32_e32 v15, v4, v12
	v_xor_b32_e32 v12, 0x80000000, v3
	v_xor_b32_e32 v13, 0x80000000, v15
	v_mov_b32_e32 v4, v15
	ds_write_b64 v11, v[12:13]
.LBB52_968:
	s_or_b64 exec, exec, s[10:11]
	s_waitcnt lgkmcnt(0)
	s_barrier
	s_and_saveexec_b64 s[10:11], s[54:55]
	s_cbranch_execz .LBB52_970
; %bb.969:
	v_lshlrev_b32_e32 v12, 3, v9
	ds_read_b64 v[12:13], v12 offset:1024
	ds_read_b64 v[14:15], v11
	s_waitcnt lgkmcnt(0)
	v_mul_f32_e32 v16, v15, v13
	v_mul_f32_e32 v13, v14, v13
	v_fma_f32 v14, v14, v12, -v16
	v_fmac_f32_e32 v13, v15, v12
	v_sub_f32_e32 v3, v3, v14
	v_sub_f32_e32 v4, v4, v13
.LBB52_970:
	s_or_b64 exec, exec, s[10:11]
	s_barrier
	s_and_saveexec_b64 s[10:11], s[56:57]
	s_cbranch_execz .LBB52_972
; %bb.971:
	v_mov_b32_e32 v12, 0
	ds_read_b64 v[12:13], v12 offset:520
	s_waitcnt lgkmcnt(0)
	v_mul_f32_e32 v14, v4, v13
	v_mul_f32_e32 v15, v3, v13
	v_fma_f32 v3, v3, v12, -v14
	v_fmac_f32_e32 v15, v4, v12
	v_xor_b32_e32 v12, 0x80000000, v3
	v_xor_b32_e32 v13, 0x80000000, v15
	v_mov_b32_e32 v4, v15
	ds_write_b64 v11, v[12:13]
.LBB52_972:
	s_or_b64 exec, exec, s[10:11]
	s_waitcnt lgkmcnt(0)
	s_barrier
	s_and_saveexec_b64 s[10:11], s[38:39]
	s_cbranch_execz .LBB52_974
; %bb.973:
	v_mov_b32_e32 v12, 0
	ds_read_b64 v[12:13], v12 offset:512
	ds_read_b64 v[14:15], v11
	s_waitcnt lgkmcnt(0)
	v_mul_f32_e32 v16, v15, v13
	v_mul_f32_e32 v13, v14, v13
	v_fma_f32 v14, v14, v12, -v16
	v_fmac_f32_e32 v13, v15, v12
	v_sub_f32_e32 v3, v3, v14
	v_sub_f32_e32 v4, v4, v13
.LBB52_974:
	s_or_b64 exec, exec, s[10:11]
	s_barrier
	s_and_saveexec_b64 s[10:11], s[38:39]
	s_cbranch_execz .LBB52_976
; %bb.975:
	v_mov_b32_e32 v12, 0
	ds_read_b64 v[12:13], v12
	s_waitcnt lgkmcnt(0)
	v_mul_f32_e32 v14, v4, v13
	v_mul_f32_e32 v15, v3, v13
	v_fma_f32 v3, v3, v12, -v14
	v_fmac_f32_e32 v15, v4, v12
	v_xor_b32_e32 v12, 0x80000000, v3
	v_xor_b32_e32 v13, 0x80000000, v15
	v_mov_b32_e32 v4, v15
	ds_write_b64 v11, v[12:13]
.LBB52_976:
	s_or_b64 exec, exec, s[10:11]
	s_waitcnt lgkmcnt(0)
	s_barrier
	s_barrier
	s_and_saveexec_b64 s[10:11], s[18:19]
; %bb.977:
	v_lshlrev_b32_e32 v9, 3, v9
	v_lshl_or_b32 v9, v10, 9, v9
	ds_write_b64 v9, v[3:4] offset:2048
; %bb.978:
	s_or_b64 exec, exec, s[10:11]
	s_waitcnt lgkmcnt(0)
	s_barrier
	s_barrier
	s_and_saveexec_b64 s[10:11], vcc
	s_cbranch_execz .LBB52_980
; %bb.979:
	v_mov_b32_e32 v13, 0
	ds_read2_b64 v[9:12], v13 offset0:130 offset1:194
	ds_read_b64 v[3:4], v13 offset:1560
	s_waitcnt lgkmcnt(0)
	v_mul_f32_e32 v14, v4, v10
	v_mul_f32_e32 v10, v3, v10
	v_fma_f32 v3, v3, v9, -v14
	v_fmac_f32_e32 v10, v4, v9
	v_mul_f32_e32 v9, v10, v12
	v_mul_f32_e32 v4, v3, v12
	v_fma_f32 v3, v3, v11, -v9
	v_fmac_f32_e32 v4, v10, v11
	ds_write_b64 v13, v[3:4] offset:1552
.LBB52_980:
	s_or_b64 exec, exec, s[10:11]
	v_mov_b32_e32 v3, 0
	v_mov_b32_e32 v4, 0
	s_waitcnt lgkmcnt(0)
	s_barrier
	buffer_wbinvl1_vol
	s_and_saveexec_b64 s[12:13], s[6:7]
	s_cbranch_execz .LBB52_984
; %bb.981:
	v_lshlrev_b32_e32 v3, 3, v5
	v_lshlrev_b32_e32 v9, 9, v6
	ds_read_b64 v[3:4], v3 offset:1024
	ds_read_b64 v[9:10], v9 offset:1040
	v_cmp_gt_u32_e64 s[10:11], 2, v8
	s_waitcnt lgkmcnt(0)
	v_mul_f32_e32 v11, v10, v4
	v_mul_f32_e32 v4, v9, v4
	v_fma_f32 v9, v9, v3, -v11
	v_fmac_f32_e32 v4, v10, v3
	v_add_f32_e32 v3, 0, v9
	v_add_f32_e32 v4, 0, v4
	s_and_saveexec_b64 s[14:15], s[10:11]
	s_cbranch_execz .LBB52_983
; %bb.982:
	v_lshlrev_b32_e32 v8, 3, v0
	v_mov_b32_e32 v10, 0
	ds_read_b64 v[8:9], v8 offset:1536
	ds_read_b64 v[10:11], v10 offset:1560
	s_waitcnt lgkmcnt(0)
	v_mul_f32_e32 v12, v11, v9
	v_mul_f32_e32 v9, v10, v9
	v_fma_f32 v10, v10, v8, -v12
	v_fmac_f32_e32 v9, v11, v8
	v_add_f32_e32 v3, v3, v10
	v_add_f32_e32 v4, v4, v9
.LBB52_983:
	s_or_b64 exec, exec, s[14:15]
.LBB52_984:
	s_or_b64 exec, exec, s[12:13]
	s_and_saveexec_b64 s[10:11], s[36:37]
	s_cbranch_execz .LBB52_986
; %bb.985:
	v_mov_b32_e32 v8, 0
	ds_read_b64 v[8:9], v8 offset:520
	s_waitcnt lgkmcnt(0)
	v_mul_f32_e32 v10, v4, v9
	v_mul_f32_e32 v11, v3, v9
	v_fma_f32 v3, v3, v8, -v10
	v_fmac_f32_e32 v11, v4, v8
	v_xor_b32_e32 v8, 0x80000000, v3
	v_xor_b32_e32 v9, 0x80000000, v11
	v_mov_b32_e32 v4, v11
	ds_write_b64 v7, v[8:9]
.LBB52_986:
	s_or_b64 exec, exec, s[10:11]
	s_waitcnt lgkmcnt(0)
	s_barrier
	s_and_saveexec_b64 s[10:11], s[34:35]
	s_cbranch_execz .LBB52_988
; %bb.987:
	v_mov_b32_e32 v8, 0
	ds_read_b64 v[8:9], v8 offset:512
	ds_read_b64 v[10:11], v7
	s_waitcnt lgkmcnt(0)
	v_mul_f32_e32 v12, v11, v9
	v_mul_f32_e32 v9, v10, v9
	v_fma_f32 v10, v10, v8, -v12
	v_fmac_f32_e32 v9, v11, v8
	v_sub_f32_e32 v3, v3, v10
	v_sub_f32_e32 v4, v4, v9
.LBB52_988:
	s_or_b64 exec, exec, s[10:11]
	s_barrier
	s_and_saveexec_b64 s[10:11], s[34:35]
	s_cbranch_execz .LBB52_990
; %bb.989:
	v_mov_b32_e32 v8, 0
	ds_read_b64 v[8:9], v8
	s_waitcnt lgkmcnt(0)
	v_mul_f32_e32 v10, v4, v9
	v_mul_f32_e32 v11, v3, v9
	v_fma_f32 v3, v3, v8, -v10
	v_fmac_f32_e32 v11, v4, v8
	v_xor_b32_e32 v8, 0x80000000, v3
	v_xor_b32_e32 v9, 0x80000000, v11
	v_mov_b32_e32 v4, v11
	ds_write_b64 v7, v[8:9]
.LBB52_990:
	s_or_b64 exec, exec, s[10:11]
	s_waitcnt lgkmcnt(0)
	s_barrier
	s_barrier
	s_and_saveexec_b64 s[10:11], s[6:7]
; %bb.991:
	v_lshlrev_b32_e32 v5, 3, v5
	v_lshl_or_b32 v5, v6, 9, v5
	ds_write_b64 v5, v[3:4] offset:1024
; %bb.992:
	s_or_b64 exec, exec, s[10:11]
	s_waitcnt lgkmcnt(0)
	s_barrier
	s_barrier
	s_and_saveexec_b64 s[6:7], vcc
	s_cbranch_execz .LBB52_994
; %bb.993:
	v_mov_b32_e32 v9, 0
	ds_read2st64_b64 v[3:6], v9 offset1:1
	ds_read_b64 v[7:8], v9 offset:520
	s_waitcnt lgkmcnt(0)
	v_mul_f32_e32 v10, v8, v4
	v_mul_f32_e32 v11, v7, v4
	v_fma_f32 v7, v7, v3, -v10
	v_fmac_f32_e32 v11, v8, v3
	v_mul_f32_e32 v3, v11, v6
	v_mul_f32_e32 v4, v7, v6
	v_fma_f32 v3, v7, v5, -v3
	v_fmac_f32_e32 v4, v11, v5
	ds_write_b64 v9, v[3:4] offset:512
.LBB52_994:
	s_or_b64 exec, exec, s[6:7]
.LBB52_995:
	s_load_dwordx4 s[16:19], s[4:5], 0x48
	v_cmp_le_i32_e32 vcc, s88, v0
	v_mov_b32_e32 v3, 0
	v_add_u32_e32 v5, s33, v0
	v_mov_b32_e32 v4, 0
	s_waitcnt lgkmcnt(0)
	s_mul_i32 s5, s17, s22
	s_mul_hi_u32 s6, s16, s22
	s_mul_i32 s4, s16, s22
	s_add_i32 s5, s6, s5
	s_lshl_b64 s[4:5], s[4:5], 3
	s_add_u32 s6, s46, s4
	s_addc_u32 s7, s47, s5
	s_lshl_b64 s[4:5], s[48:49], 3
	s_add_u32 s42, s6, s4
	s_addc_u32 s43, s7, s5
	s_and_b64 s[16:17], vcc, s[26:27]
	v_cmp_eq_u32_e64 s[4:5], 0, v2
	s_xor_b64 s[6:7], s[16:17], -1
	s_and_b64 s[10:11], s[4:5], s[6:7]
	s_barrier
	s_and_saveexec_b64 s[6:7], s[10:11]
	s_cbranch_execz .LBB52_997
; %bb.996:
	v_ashrrev_i32_e32 v6, 31, v5
	v_mul_lo_u32 v7, s51, v5
	v_mad_u64_u32 v[3:4], s[10:11], s50, v5, 0
	v_mul_lo_u32 v6, s50, v6
	v_readlane_b32 s10, v30, 0
	v_readlane_b32 s11, v30, 1
	v_add3_u32 v4, v4, v6, v7
	v_lshlrev_b64 v[3:4], 3, v[3:4]
	v_mov_b32_e32 v6, s43
	v_add_co_u32_e32 v3, vcc, s42, v3
	v_addc_co_u32_e32 v4, vcc, v6, v4, vcc
	global_load_dwordx2 v[6:7], v[3:4], off
	s_waitcnt vmcnt(0)
	v_mul_f32_e32 v3, s10, v6
	v_mul_f32_e32 v4, s10, v7
	v_fma_f32 v3, s11, v7, -v3
	v_fma_f32 v4, v6, -s11, -v4
.LBB52_997:
	s_or_b64 exec, exec, s[6:7]
	s_and_b32 s6, 0xffff, s20
	v_mad_u32_u24 v8, v2, s6, v0
	s_cmp_lt_i32 s8, 1
	v_cmp_eq_u32_e64 s[6:7], 0, v8
	s_cbranch_scc1 .LBB52_1016
; %bb.998:
	s_lshl_b64 s[10:11], s[22:23], 2
	v_ashrrev_i32_e32 v6, 31, v5
	s_add_u32 s28, s18, s10
	s_addc_u32 s29, s19, s11
	v_cmp_gt_i32_e64 s[10:11], s24, v5
	v_lshlrev_b64 v[5:6], 3, v[5:6]
	v_mov_b32_e32 v7, 0xa000
	s_mov_b64 s[20:21], src_private_base
	v_lshl_add_u32 v9, v8, 3, v7
	v_lshl_or_b32 v10, v2, 3, v7
	v_mov_b32_e32 v7, s90
	v_add_co_u32_e32 v11, vcc, s89, v5
	s_mul_i32 s14, s41, 0x180
	s_mul_hi_u32 s15, s40, 0x180
	s_mov_b32 s20, 0
	v_cmp_gt_u32_e64 s[12:13], 64, v8
	s_add_i32 s91, s91, 1
	v_addc_co_u32_e32 v12, vcc, v7, v6, vcc
	s_lshl_b64 s[34:35], s[40:41], 7
	s_lshl_b64 s[36:37], s[40:41], 8
	s_add_i32 s44, s15, s14
	s_mul_i32 s45, s40, 0x180
	v_mov_b32_e32 v15, -1
	v_mov_b32_e32 v5, 0
	v_mov_b32_e32 v13, 0
	;; [unrolled: 1-line block ×5, first 2 shown]
	s_branch .LBB52_1000
.LBB52_999:                             ;   in Loop: Header=BB52_1000 Depth=1
	s_or_b64 exec, exec, s[38:39]
	s_add_i32 s20, s20, 1
	s_cmp_eq_u32 s20, s8
	s_cbranch_scc1 .LBB52_1016
.LBB52_1000:                            ; =>This Loop Header: Depth=1
                                        ;     Child Loop BB52_1002 Depth 2
	v_cmp_gt_i32_e32 vcc, s20, v15
	s_and_b64 s[38:39], s[6:7], vcc
	s_and_saveexec_b64 s[14:15], s[38:39]
	s_cbranch_execz .LBB52_1003
; %bb.1001:                             ;   in Loop: Header=BB52_1000 Depth=1
	global_load_dword v15, v5, s[28:29]
	s_waitcnt vmcnt(0)
	v_cmp_le_i32_e32 vcc, s20, v15
	s_cbranch_vccnz .LBB52_1003
.LBB52_1002:                            ;   Parent Loop BB52_1000 Depth=1
                                        ; =>  This Inner Loop Header: Depth=2
	buffer_wbinvl1_vol
	global_load_dword v15, v5, s[28:29]
	s_waitcnt vmcnt(0)
	v_cmp_gt_i32_e32 vcc, s20, v15
	s_cbranch_vccnz .LBB52_1002
.LBB52_1003:                            ;   in Loop: Header=BB52_1000 Depth=1
	s_or_b64 exec, exec, s[14:15]
	s_sub_i32 s46, s9, s20
	s_lshl_b32 s47, s46, 6
	buffer_wbinvl1_vol
	s_barrier
	s_and_saveexec_b64 s[14:15], s[12:13]
	s_cbranch_execz .LBB52_1008
; %bb.1004:                             ;   in Loop: Header=BB52_1000 Depth=1
	s_ashr_i32 s38, s47, 31
	v_mov_b32_e32 v7, s38
	v_or_b32_e32 v6, s47, v8
	v_cmp_le_i64_e32 vcc, s[24:25], v[6:7]
	s_and_saveexec_b64 s[38:39], vcc
	s_xor_b64 s[38:39], exec, s[38:39]
; %bb.1005:                             ;   in Loop: Header=BB52_1000 Depth=1
	v_mov_b32_e32 v6, v5
	ds_write_b64 v9, v[5:6]
                                        ; implicit-def: $vgpr6_vgpr7
; %bb.1006:                             ;   in Loop: Header=BB52_1000 Depth=1
	s_andn2_saveexec_b64 s[38:39], s[38:39]
	s_cbranch_execz .LBB52_1008
; %bb.1007:                             ;   in Loop: Header=BB52_1000 Depth=1
	v_mul_lo_u32 v18, v7, s50
	v_mul_lo_u32 v19, v6, s51
	v_mad_u64_u32 v[6:7], s[38:39], v6, s50, 0
	v_add3_u32 v7, v7, v19, v18
	v_lshlrev_b64 v[6:7], 3, v[6:7]
	v_mov_b32_e32 v18, s43
	v_add_co_u32_e32 v6, vcc, s42, v6
	v_addc_co_u32_e32 v7, vcc, v18, v7, vcc
	global_load_dwordx2 v[6:7], v[6:7], off
	s_waitcnt vmcnt(0)
	ds_write_b64 v9, v[6:7]
.LBB52_1008:                            ;   in Loop: Header=BB52_1000 Depth=1
	s_or_b64 exec, exec, s[14:15]
	v_add_u32_e32 v6, s47, v2
	v_ashrrev_i32_e32 v7, 31, v6
	v_mul_lo_u32 v20, s41, v6
	v_mad_u64_u32 v[18:19], s[14:15], s40, v6, 0
	v_mul_lo_u32 v7, s40, v7
	s_cmp_eq_u32 s46, s91
	s_cselect_b64 vcc, -1, 0
	s_waitcnt lgkmcnt(0)
	v_add3_u32 v19, v19, v7, v20
	v_lshlrev_b64 v[18:19], 3, v[18:19]
	s_barrier
	v_add_co_u32_e64 v7, s[14:15], v11, v18
	v_addc_co_u32_e64 v18, s[14:15], v12, v19, s[14:15]
	v_cmp_gt_i32_e64 s[14:15], s24, v6
	s_and_b64 s[38:39], s[10:11], s[14:15]
	s_and_saveexec_b64 s[14:15], s[38:39]
	s_cbranch_execz .LBB52_1010
; %bb.1009:                             ;   in Loop: Header=BB52_1000 Depth=1
	v_mov_b32_e32 v19, s21
	v_cndmask_b32_e32 v20, v18, v19, vcc
	v_cndmask_b32_e32 v19, v7, v13, vcc
	flat_load_dwordx2 v[19:20], v[19:20]
	ds_read_b64 v[21:22], v10
	s_waitcnt vmcnt(0) lgkmcnt(0)
	v_mul_f32_e32 v23, v22, v20
	v_mul_f32_e32 v20, v21, v20
	v_fma_f32 v21, v21, v19, -v23
	v_fmac_f32_e32 v20, v22, v19
	v_add_f32_e32 v3, v3, v21
	v_add_f32_e32 v4, v4, v20
.LBB52_1010:                            ;   in Loop: Header=BB52_1000 Depth=1
	s_or_b64 exec, exec, s[14:15]
	v_add_u32_e32 v19, 16, v6
	v_cmp_gt_i32_e64 s[14:15], s24, v19
	s_and_b64 s[14:15], s[10:11], s[14:15]
	s_and_saveexec_b64 s[38:39], s[14:15]
	s_cbranch_execz .LBB52_1012
; %bb.1011:                             ;   in Loop: Header=BB52_1000 Depth=1
	v_mov_b32_e32 v19, s35
	v_add_co_u32_e64 v21, s[14:15], s34, v7
	v_addc_co_u32_e64 v19, s[14:15], v18, v19, s[14:15]
	v_mov_b32_e32 v20, s21
	v_cndmask_b32_e32 v20, v19, v20, vcc
	v_cndmask_b32_e32 v19, v21, v14, vcc
	flat_load_dwordx2 v[19:20], v[19:20]
	ds_read_b64 v[21:22], v10 offset:128
	s_waitcnt vmcnt(0) lgkmcnt(0)
	v_mul_f32_e32 v23, v22, v20
	v_mul_f32_e32 v20, v21, v20
	v_fma_f32 v21, v21, v19, -v23
	v_fmac_f32_e32 v20, v22, v19
	v_add_f32_e32 v3, v3, v21
	v_add_f32_e32 v4, v4, v20
.LBB52_1012:                            ;   in Loop: Header=BB52_1000 Depth=1
	s_or_b64 exec, exec, s[38:39]
	v_add_u32_e32 v19, 32, v6
	v_cmp_gt_i32_e64 s[14:15], s24, v19
	s_and_b64 s[14:15], s[10:11], s[14:15]
	s_and_saveexec_b64 s[38:39], s[14:15]
	s_cbranch_execz .LBB52_1014
; %bb.1013:                             ;   in Loop: Header=BB52_1000 Depth=1
	v_mov_b32_e32 v19, s37
	v_add_co_u32_e64 v21, s[14:15], s36, v7
	v_addc_co_u32_e64 v19, s[14:15], v18, v19, s[14:15]
	v_mov_b32_e32 v20, s21
	v_cndmask_b32_e32 v20, v19, v20, vcc
	v_cndmask_b32_e32 v19, v21, v16, vcc
	flat_load_dwordx2 v[19:20], v[19:20]
	ds_read_b64 v[21:22], v10 offset:256
	s_waitcnt vmcnt(0) lgkmcnt(0)
	v_mul_f32_e32 v23, v22, v20
	v_mul_f32_e32 v20, v21, v20
	v_fma_f32 v21, v21, v19, -v23
	v_fmac_f32_e32 v20, v22, v19
	v_add_f32_e32 v3, v3, v21
	v_add_f32_e32 v4, v4, v20
.LBB52_1014:                            ;   in Loop: Header=BB52_1000 Depth=1
	s_or_b64 exec, exec, s[38:39]
	v_add_u32_e32 v6, 48, v6
	v_cmp_gt_i32_e64 s[14:15], s24, v6
	s_and_b64 s[14:15], s[10:11], s[14:15]
	s_and_saveexec_b64 s[38:39], s[14:15]
	s_cbranch_execz .LBB52_999
; %bb.1015:                             ;   in Loop: Header=BB52_1000 Depth=1
	v_mov_b32_e32 v6, s44
	v_add_co_u32_e64 v19, s[14:15], s45, v7
	v_addc_co_u32_e64 v6, s[14:15], v18, v6, s[14:15]
	v_mov_b32_e32 v7, s21
	v_cndmask_b32_e32 v7, v6, v7, vcc
	v_cndmask_b32_e32 v6, v19, v17, vcc
	flat_load_dwordx2 v[6:7], v[6:7]
	ds_read_b64 v[18:19], v10 offset:384
	s_waitcnt vmcnt(0) lgkmcnt(0)
	v_mul_f32_e32 v20, v19, v7
	v_mul_f32_e32 v7, v18, v7
	v_fma_f32 v18, v18, v6, -v20
	v_fmac_f32_e32 v7, v19, v6
	v_add_f32_e32 v3, v3, v18
	v_add_f32_e32 v4, v4, v7
	s_branch .LBB52_999
.LBB52_1016:
	s_xor_b64 s[6:7], s[26:27], -1
	s_xor_b64 s[8:9], s[30:31], -1
	v_lshlrev_b32_e32 v1, 3, v1
	ds_write_b64 v1, v[3:4] offset:32768
	s_waitcnt lgkmcnt(0)
	s_barrier
	s_and_saveexec_b64 s[10:11], s[4:5]
	s_cbranch_execz .LBB52_1018
; %bb.1017:
	v_lshlrev_b32_e32 v7, 3, v0
	ds_read2st64_b64 v[9:12], v7 offset0:65 offset1:66
	ds_read2st64_b64 v[13:16], v7 offset0:67 offset1:68
	ds_read_b64 v[17:18], v7 offset:40448
	s_waitcnt lgkmcnt(2)
	v_add_f32_e32 v3, v3, v9
	v_add_f32_e32 v4, v4, v10
	;; [unrolled: 1-line block ×4, first 2 shown]
	ds_read2st64_b64 v[3:6], v7 offset0:69 offset1:70
	s_waitcnt lgkmcnt(2)
	v_add_f32_e32 v9, v9, v13
	v_add_f32_e32 v10, v10, v14
	;; [unrolled: 1-line block ×4, first 2 shown]
	s_waitcnt lgkmcnt(0)
	v_add_f32_e32 v3, v9, v3
	ds_read2st64_b64 v[9:12], v7 offset0:71 offset1:72
	v_add_f32_e32 v4, v13, v4
	v_add_f32_e32 v13, v3, v5
	;; [unrolled: 1-line block ×3, first 2 shown]
	ds_read2st64_b64 v[3:6], v7 offset0:73 offset1:74
	s_waitcnt lgkmcnt(1)
	v_add_f32_e32 v9, v13, v9
	v_add_f32_e32 v10, v14, v10
	;; [unrolled: 1-line block ×4, first 2 shown]
	s_waitcnt lgkmcnt(0)
	v_add_f32_e32 v3, v9, v3
	ds_read2st64_b64 v[9:12], v7 offset0:75 offset1:76
	v_add_f32_e32 v4, v13, v4
	v_add_f32_e32 v13, v3, v5
	v_add_f32_e32 v14, v4, v6
	ds_read2st64_b64 v[3:6], v7 offset0:77 offset1:78
	s_waitcnt lgkmcnt(1)
	v_add_f32_e32 v7, v13, v9
	v_add_f32_e32 v9, v14, v10
	;; [unrolled: 1-line block ×4, first 2 shown]
	s_waitcnt lgkmcnt(0)
	v_add_f32_e32 v3, v7, v3
	v_add_f32_e32 v4, v9, v4
	;; [unrolled: 1-line block ×6, first 2 shown]
	v_cndmask_b32_e64 v3, -v3, 0, s[16:17]
	v_cndmask_b32_e64 v4, -v4, 0, s[16:17]
.LBB52_1018:
	s_or_b64 exec, exec, s[10:11]
	s_andn2_b64 vcc, exec, s[8:9]
	s_cbranch_vccnz .LBB52_1031
; %bb.1019:
	v_mov_b32_e32 v5, 0xa000
	v_lshl_or_b32 v7, v2, 3, v5
	s_and_saveexec_b64 s[8:9], s[4:5]
; %bb.1020:
	v_lshl_add_u32 v5, v0, 3, v7
	ds_write_b64 v5, v[3:4]
; %bb.1021:
	s_or_b64 exec, exec, s[8:9]
	v_cmp_le_u32_e32 vcc, v0, v2
	v_mov_b32_e32 v5, 0
	v_mov_b32_e32 v6, 0
	s_waitcnt lgkmcnt(0)
	s_barrier
	s_and_saveexec_b64 s[8:9], vcc
	s_cbranch_execz .LBB52_1023
; %bb.1022:
	ds_read_b64 v[5:6], v1
	ds_read_b64 v[9:10], v7
	s_waitcnt lgkmcnt(0)
	v_mul_f32_e32 v11, v10, v6
	v_mul_f32_e32 v6, v9, v6
	v_fma_f32 v9, v9, v5, -v11
	v_fmac_f32_e32 v6, v10, v5
	v_add_f32_e32 v5, 0, v9
	v_add_f32_e32 v6, 0, v6
.LBB52_1023:
	s_or_b64 exec, exec, s[8:9]
	v_add_u32_e32 v9, 16, v2
	v_cmp_le_u32_e32 vcc, v0, v9
	s_and_saveexec_b64 s[8:9], vcc
	s_cbranch_execz .LBB52_1025
; %bb.1024:
	ds_read_b64 v[9:10], v1 offset:8192
	ds_read_b64 v[11:12], v7 offset:128
	s_waitcnt lgkmcnt(0)
	v_mul_f32_e32 v13, v12, v10
	v_mul_f32_e32 v10, v11, v10
	v_fma_f32 v11, v11, v9, -v13
	v_fmac_f32_e32 v10, v12, v9
	v_add_f32_e32 v5, v5, v11
	v_add_f32_e32 v6, v6, v10
.LBB52_1025:
	s_or_b64 exec, exec, s[8:9]
	v_add_u32_e32 v9, 32, v2
	v_cmp_le_u32_e32 vcc, v0, v9
	s_and_saveexec_b64 s[8:9], vcc
	s_cbranch_execz .LBB52_1027
; %bb.1026:
	ds_read_b64 v[9:10], v1 offset:16384
	ds_read_b64 v[11:12], v7 offset:256
	s_waitcnt lgkmcnt(0)
	v_mul_f32_e32 v13, v12, v10
	v_mul_f32_e32 v10, v11, v10
	v_fma_f32 v11, v11, v9, -v13
	v_fmac_f32_e32 v10, v12, v9
	v_add_f32_e32 v5, v5, v11
	v_add_f32_e32 v6, v6, v10
.LBB52_1027:
	s_or_b64 exec, exec, s[8:9]
	v_add_u32_e32 v2, 48, v2
	v_add_u32_e32 v9, 0x8000, v1
	v_cmp_le_u32_e32 vcc, v0, v2
	s_and_saveexec_b64 s[8:9], vcc
	s_cbranch_execz .LBB52_1029
; %bb.1028:
	ds_read_b64 v[1:2], v1 offset:24576
	ds_read_b64 v[10:11], v7 offset:384
	s_waitcnt lgkmcnt(0)
	v_mul_f32_e32 v7, v11, v2
	v_mul_f32_e32 v2, v10, v2
	v_fma_f32 v7, v10, v1, -v7
	v_fmac_f32_e32 v2, v11, v1
	v_add_f32_e32 v5, v5, v7
	v_add_f32_e32 v6, v6, v2
.LBB52_1029:
	s_or_b64 exec, exec, s[8:9]
	s_mov_b64 s[10:11], 0
	s_mov_b64 s[8:9], 0
	ds_write_b64 v9, v[5:6]
	s_waitcnt lgkmcnt(0)
	s_barrier
                                        ; implicit-def: $vgpr1
                                        ; implicit-def: $vgpr2
	s_and_saveexec_b64 s[12:13], s[4:5]
	s_cbranch_execz .LBB52_1050
; %bb.1030:
	v_lshlrev_b32_e32 v1, 3, v0
	ds_read2st64_b64 v[9:12], v1 offset0:65 offset1:66
	ds_read2st64_b64 v[13:16], v1 offset0:67 offset1:68
	ds_read_b64 v[17:18], v1 offset:40448
	s_mov_b64 s[8:9], exec
	s_waitcnt lgkmcnt(2)
	v_add_f32_e32 v2, v5, v9
	v_add_f32_e32 v5, v6, v10
	v_add_f32_e32 v2, v2, v11
	v_add_f32_e32 v5, v5, v12
	ds_read2st64_b64 v[9:12], v1 offset0:69 offset1:70
	s_waitcnt lgkmcnt(2)
	v_add_f32_e32 v2, v2, v13
	v_add_f32_e32 v5, v5, v14
	v_add_f32_e32 v2, v2, v15
	v_add_f32_e32 v5, v5, v16
	ds_read2st64_b64 v[13:16], v1 offset0:71 offset1:72
	;; [unrolled: 6-line block ×5, first 2 shown]
	s_waitcnt lgkmcnt(1)
	v_add_f32_e32 v1, v2, v13
	v_add_f32_e32 v2, v5, v14
	;; [unrolled: 1-line block ×4, first 2 shown]
	s_waitcnt lgkmcnt(0)
	v_add_f32_e32 v1, v1, v9
	v_add_f32_e32 v2, v2, v10
	;; [unrolled: 1-line block ×6, first 2 shown]
	s_or_b64 exec, exec, s[12:13]
	s_and_b64 vcc, exec, s[10:11]
	s_cbranch_vccnz .LBB52_1032
	s_branch .LBB52_1051
.LBB52_1031:
	s_mov_b64 s[8:9], 0
                                        ; implicit-def: $vgpr1
                                        ; implicit-def: $vgpr2
	s_cbranch_execz .LBB52_1051
.LBB52_1032:
	s_movk_i32 s10, 0x208
	v_lshlrev_b32_e32 v2, 9, v0
	v_mov_b32_e32 v5, 0x7c00
	v_mul_u32_u24_e32 v1, 0x208, v0
	v_sub_u32_e32 v2, 0, v2
	v_mad_u32_u24 v5, v0, s10, v5
	s_mov_b32 s12, 63
	s_movk_i32 s13, 0x8200
	v_mov_b32_e32 v6, 0
	s_branch .LBB52_1034
.LBB52_1033:                            ;   in Loop: Header=BB52_1034 Depth=1
	s_or_b64 exec, exec, s[10:11]
	s_add_i32 s12, s12, -2
	s_cmp_lg_u32 s14, 0
	v_add_u32_e32 v2, 0xfffffc00, v2
	s_barrier
	s_cbranch_scc0 .LBB52_1042
.LBB52_1034:                            ; =>This Inner Loop Header: Depth=1
	v_cmp_eq_u32_e32 vcc, s13, v2
	s_and_b64 s[14:15], s[4:5], vcc
	s_and_saveexec_b64 s[10:11], s[14:15]
	s_cbranch_execz .LBB52_1036
; %bb.1035:                             ;   in Loop: Header=BB52_1034 Depth=1
	ds_read_b64 v[9:10], v1
	s_waitcnt lgkmcnt(0)
	v_mul_f32_e32 v7, v4, v10
	v_mul_f32_e32 v11, v3, v10
	v_fma_f32 v10, v3, v9, -v7
	v_fmac_f32_e32 v11, v4, v9
	v_mov_b32_e32 v3, v10
	v_mov_b32_e32 v4, v11
	ds_write_b64 v6, v[10:11] offset:41472
.LBB52_1036:                            ;   in Loop: Header=BB52_1034 Depth=1
	s_or_b64 exec, exec, s[10:11]
	v_cmp_gt_u32_e32 vcc, s12, v0
	s_and_b64 s[14:15], s[4:5], vcc
	v_add_u32_e32 v7, v5, v2
	s_waitcnt lgkmcnt(0)
	s_barrier
	s_and_saveexec_b64 s[10:11], s[14:15]
	s_cbranch_execz .LBB52_1038
; %bb.1037:                             ;   in Loop: Header=BB52_1034 Depth=1
	ds_read_b64 v[9:10], v7 offset:512
	ds_read_b64 v[11:12], v6 offset:41472
	s_waitcnt lgkmcnt(0)
	v_mul_f32_e32 v13, v12, v10
	v_mul_f32_e32 v10, v11, v10
	v_fma_f32 v11, v11, v9, -v13
	v_fmac_f32_e32 v10, v12, v9
	v_add_f32_e32 v3, v3, v11
	v_add_f32_e32 v4, v4, v10
.LBB52_1038:                            ;   in Loop: Header=BB52_1034 Depth=1
	s_or_b64 exec, exec, s[10:11]
	s_add_i32 s14, s12, -1
	v_cmp_eq_u32_e32 vcc, s14, v0
	s_and_b64 s[16:17], s[4:5], vcc
	s_barrier
	s_and_saveexec_b64 s[10:11], s[16:17]
	s_cbranch_execz .LBB52_1040
; %bb.1039:                             ;   in Loop: Header=BB52_1034 Depth=1
	ds_read_b64 v[9:10], v1
	s_waitcnt lgkmcnt(0)
	v_mul_f32_e32 v12, v4, v10
	v_mul_f32_e32 v11, v3, v10
	v_fma_f32 v10, v3, v9, -v12
	v_fmac_f32_e32 v11, v4, v9
	v_mov_b32_e32 v3, v10
	v_mov_b32_e32 v4, v11
	ds_write_b64 v6, v[10:11] offset:41472
.LBB52_1040:                            ;   in Loop: Header=BB52_1034 Depth=1
	s_or_b64 exec, exec, s[10:11]
	v_cmp_gt_u32_e32 vcc, s14, v0
	s_and_b64 s[16:17], s[4:5], vcc
	s_waitcnt lgkmcnt(0)
	s_barrier
	s_and_saveexec_b64 s[10:11], s[16:17]
	s_cbranch_execz .LBB52_1033
; %bb.1041:                             ;   in Loop: Header=BB52_1034 Depth=1
	ds_read_b64 v[9:10], v7
	ds_read_b64 v[11:12], v6 offset:41472
	s_waitcnt lgkmcnt(0)
	v_mul_f32_e32 v7, v12, v10
	v_mul_f32_e32 v10, v11, v10
	v_fma_f32 v7, v11, v9, -v7
	v_fmac_f32_e32 v10, v12, v9
	v_add_f32_e32 v3, v3, v7
	v_add_f32_e32 v4, v4, v10
	s_branch .LBB52_1033
.LBB52_1042:
	s_mov_b64 s[10:11], -1
	s_and_b64 vcc, exec, s[6:7]
	s_cbranch_vccnz .LBB52_1052
; %bb.1043:
	s_andn2_b64 vcc, exec, s[10:11]
	s_cbranch_vccz .LBB52_1053
.LBB52_1044:
	s_and_saveexec_b64 s[4:5], s[8:9]
	s_cbranch_execz .LBB52_1046
.LBB52_1045:
	v_mov_b32_e32 v0, s60
	v_add_co_u32_e32 v1, vcc, s33, v8
	v_addc_co_u32_e32 v0, vcc, 0, v0, vcc
	v_mul_lo_u32 v2, v0, s50
	v_mul_lo_u32 v5, v1, s51
	v_mad_u64_u32 v[0:1], s[6:7], v1, s50, 0
	v_add3_u32 v1, v1, v5, v2
	v_lshlrev_b64 v[0:1], 3, v[0:1]
	v_mov_b32_e32 v2, s43
	v_add_co_u32_e32 v0, vcc, s42, v0
	v_addc_co_u32_e32 v1, vcc, v2, v1, vcc
	global_store_dwordx2 v[0:1], v[3:4], off
.LBB52_1046:
	s_or_b64 exec, exec, s[4:5]
	v_cmp_eq_u32_e32 vcc, 0, v8
	s_waitcnt vmcnt(0)
	buffer_wbinvl1_vol
	s_barrier
	s_and_saveexec_b64 s[4:5], vcc
	s_cbranch_execz .LBB52_1048
; %bb.1047:
	s_lshl_b64 s[6:7], s[22:23], 2
	s_add_u32 s6, s18, s6
	s_addc_u32 s7, s19, s7
	v_mov_b32_e32 v0, 0
	global_load_dword v1, v0, s[6:7]
	s_waitcnt vmcnt(0)
	v_add_u32_e32 v1, 1, v1
	global_store_dword v0, v1, s[6:7]
.LBB52_1048:
	s_or_b64 exec, exec, s[4:5]
	s_waitcnt vmcnt(0)
	buffer_wbinvl1_vol
	s_endpgm
.LBB52_1049:
                                        ; implicit-def: $sgpr33
	s_cbranch_execnz .LBB52_18
	s_branch .LBB52_19
.LBB52_1050:
	s_or_b64 exec, exec, s[12:13]
	s_and_b64 vcc, exec, s[10:11]
	s_cbranch_vccnz .LBB52_1032
.LBB52_1051:
	v_mov_b32_e32 v4, v1
	v_mov_b32_e32 v3, v2
	s_and_saveexec_b64 s[4:5], s[8:9]
	s_cbranch_execnz .LBB52_1045
	s_branch .LBB52_1046
.LBB52_1052:
	s_andn2_b64 s[6:7], s[8:9], exec
	s_and_b64 s[8:9], s[4:5], exec
	s_or_b64 s[8:9], s[6:7], s[8:9]
	s_cbranch_execnz .LBB52_1044
.LBB52_1053:
	v_cmp_gt_i32_e32 vcc, s88, v0
	s_and_b64 s[4:5], s[4:5], vcc
	s_andn2_b64 s[6:7], s[8:9], exec
	s_and_b64 s[4:5], s[4:5], exec
	s_or_b64 s[8:9], s[6:7], s[4:5]
	s_and_saveexec_b64 s[4:5], s[8:9]
	s_cbranch_execnz .LBB52_1045
	s_branch .LBB52_1046
.LBB52_1054:
	ds_read_b64 v[14:15], v12 offset:31680
	ds_read_b64 v[16:17], v13 offset:31208
	s_waitcnt lgkmcnt(0)
	v_mul_f32_e32 v18, v17, v15
	v_mul_f32_e32 v15, v16, v15
	v_fma_f32 v16, v16, v14, -v18
	v_fmac_f32_e32 v15, v17, v14
	v_add_f32_e32 v3, v3, v16
	v_add_f32_e32 v4, v4, v15
	s_or_b64 exec, exec, s[16:17]
	v_cmp_gt_u32_e64 s[12:13], 8, v8
	s_and_saveexec_b64 s[16:17], s[12:13]
	s_cbranch_execz .LBB52_155
.LBB52_1055:
	ds_read_b64 v[14:15], v12 offset:32192
	ds_read_b64 v[12:13], v13 offset:31216
	s_waitcnt lgkmcnt(0)
	v_mul_f32_e32 v16, v13, v15
	v_mul_f32_e32 v15, v12, v15
	v_fma_f32 v12, v12, v14, -v16
	v_fmac_f32_e32 v15, v13, v14
	v_add_f32_e32 v3, v3, v12
	v_add_f32_e32 v4, v4, v15
	s_or_b64 exec, exec, s[16:17]
	v_cmp_gt_u32_e64 s[12:13], 4, v8
	s_and_saveexec_b64 s[16:17], s[12:13]
	s_cbranch_execnz .LBB52_156
	s_branch .LBB52_157
.LBB52_1056:
	ds_read_b64 v[17:18], v15 offset:29568
	ds_read_b64 v[19:20], v16 offset:29128
	s_waitcnt lgkmcnt(0)
	v_mul_f32_e32 v21, v20, v18
	v_mul_f32_e32 v18, v19, v18
	v_fma_f32 v19, v19, v17, -v21
	v_fmac_f32_e32 v18, v20, v17
	v_add_f32_e32 v3, v3, v19
	v_add_f32_e32 v4, v4, v18
	s_or_b64 exec, exec, s[20:21]
	v_cmp_gt_u32_e64 s[14:15], 48, v8
	s_and_saveexec_b64 s[20:21], s[14:15]
	s_cbranch_execz .LBB52_193
.LBB52_1057:
	ds_read_b64 v[17:18], v15 offset:30080
	ds_read_b64 v[19:20], v16 offset:29136
	s_waitcnt lgkmcnt(0)
	v_mul_f32_e32 v21, v20, v18
	v_mul_f32_e32 v18, v19, v18
	v_fma_f32 v19, v19, v17, -v21
	v_fmac_f32_e32 v18, v20, v17
	v_add_f32_e32 v3, v3, v19
	v_add_f32_e32 v4, v4, v18
	s_or_b64 exec, exec, s[20:21]
	v_cmp_gt_u32_e64 s[14:15], 40, v8
	s_and_saveexec_b64 s[20:21], s[14:15]
	s_cbranch_execz .LBB52_194
.LBB52_1058:
	ds_read_b64 v[17:18], v15 offset:30592
	ds_read_b64 v[19:20], v16 offset:29144
	s_waitcnt lgkmcnt(0)
	v_mul_f32_e32 v21, v20, v18
	v_mul_f32_e32 v18, v19, v18
	v_fma_f32 v19, v19, v17, -v21
	v_fmac_f32_e32 v18, v20, v17
	v_add_f32_e32 v3, v3, v19
	v_add_f32_e32 v4, v4, v18
	s_or_b64 exec, exec, s[20:21]
	v_cmp_gt_u32_e64 s[14:15], 32, v8
	s_and_saveexec_b64 s[20:21], s[14:15]
	s_cbranch_execz .LBB52_195
.LBB52_1059:
	ds_read_b64 v[17:18], v15 offset:31104
	ds_read_b64 v[19:20], v16 offset:29152
	s_waitcnt lgkmcnt(0)
	v_mul_f32_e32 v21, v20, v18
	v_mul_f32_e32 v18, v19, v18
	v_fma_f32 v19, v19, v17, -v21
	v_fmac_f32_e32 v18, v20, v17
	v_add_f32_e32 v3, v3, v19
	v_add_f32_e32 v4, v4, v18
	s_or_b64 exec, exec, s[20:21]
	v_cmp_gt_u32_e64 s[14:15], 24, v8
	s_and_saveexec_b64 s[20:21], s[14:15]
	s_cbranch_execz .LBB52_196
.LBB52_1060:
	ds_read_b64 v[17:18], v15 offset:31616
	ds_read_b64 v[19:20], v16 offset:29160
	s_waitcnt lgkmcnt(0)
	v_mul_f32_e32 v21, v20, v18
	v_mul_f32_e32 v18, v19, v18
	v_fma_f32 v19, v19, v17, -v21
	v_fmac_f32_e32 v18, v20, v17
	v_add_f32_e32 v3, v3, v19
	v_add_f32_e32 v4, v4, v18
	s_or_b64 exec, exec, s[20:21]
	s_and_saveexec_b64 s[14:15], s[18:19]
	s_cbranch_execz .LBB52_197
.LBB52_1061:
	ds_read_b64 v[17:18], v15 offset:32128
	ds_read_b64 v[15:16], v16 offset:29168
	s_waitcnt lgkmcnt(0)
	v_mul_f32_e32 v19, v16, v18
	v_mul_f32_e32 v18, v15, v18
	v_fma_f32 v15, v15, v17, -v19
	v_fmac_f32_e32 v18, v16, v17
	v_add_f32_e32 v3, v3, v15
	v_add_f32_e32 v4, v4, v18
	s_or_b64 exec, exec, s[14:15]
	v_cmp_gt_u32_e64 s[14:15], 8, v8
	s_and_saveexec_b64 s[20:21], s[14:15]
	s_cbranch_execnz .LBB52_198
	s_branch .LBB52_199
.LBB52_1062:
	ds_read_b64 v[17:18], v15 offset:27520
	ds_read_b64 v[19:20], v16 offset:27048
	s_waitcnt lgkmcnt(0)
	v_mul_f32_e32 v21, v20, v18
	v_mul_f32_e32 v18, v19, v18
	v_fma_f32 v19, v19, v17, -v21
	v_fmac_f32_e32 v18, v20, v17
	v_add_f32_e32 v3, v3, v19
	v_add_f32_e32 v4, v4, v18
	s_or_b64 exec, exec, s[16:17]
	v_cmp_gt_u32_e64 s[12:13], 8, v8
	s_and_saveexec_b64 s[16:17], s[12:13]
	s_cbranch_execz .LBB52_251
.LBB52_1063:
	ds_read_b64 v[17:18], v15 offset:28032
	ds_read_b64 v[15:16], v16 offset:27056
	s_waitcnt lgkmcnt(0)
	v_mul_f32_e32 v19, v16, v18
	v_mul_f32_e32 v18, v15, v18
	v_fma_f32 v15, v15, v17, -v19
	v_fmac_f32_e32 v18, v16, v17
	v_add_f32_e32 v3, v3, v15
	v_add_f32_e32 v4, v4, v18
	s_or_b64 exec, exec, s[16:17]
	v_cmp_gt_u32_e64 s[12:13], 4, v8
	s_and_saveexec_b64 s[16:17], s[12:13]
	s_cbranch_execnz .LBB52_252
	s_branch .LBB52_253
.LBB52_1064:
	ds_read_b64 v[20:21], v18 offset:30464
	ds_read_b64 v[22:23], v19 offset:25048
	s_waitcnt lgkmcnt(0)
	v_mul_f32_e32 v24, v23, v21
	v_mul_f32_e32 v21, v22, v21
	v_fma_f32 v22, v22, v20, -v24
	v_fmac_f32_e32 v21, v23, v20
	v_add_f32_e32 v3, v3, v22
	v_add_f32_e32 v4, v4, v21
	s_or_b64 exec, exec, s[28:29]
	s_and_saveexec_b64 s[16:17], s[10:11]
	s_cbranch_execz .LBB52_309
.LBB52_1065:
	ds_read_b64 v[20:21], v18 offset:30976
	ds_read_b64 v[22:23], v19 offset:25056
	s_waitcnt lgkmcnt(0)
	v_mul_f32_e32 v24, v23, v21
	v_mul_f32_e32 v21, v22, v21
	v_fma_f32 v22, v22, v20, -v24
	v_fmac_f32_e32 v21, v23, v20
	v_add_f32_e32 v3, v3, v22
	v_add_f32_e32 v4, v4, v21
	s_or_b64 exec, exec, s[16:17]
	v_cmp_gt_u32_e64 s[16:17], 48, v8
	s_and_saveexec_b64 s[28:29], s[16:17]
	s_cbranch_execz .LBB52_310
.LBB52_1066:
	ds_read_b64 v[20:21], v18 offset:31488
	ds_read_b64 v[22:23], v19 offset:25064
	s_waitcnt lgkmcnt(0)
	v_mul_f32_e32 v24, v23, v21
	v_mul_f32_e32 v21, v22, v21
	v_fma_f32 v22, v22, v20, -v24
	v_fmac_f32_e32 v21, v23, v20
	v_add_f32_e32 v3, v3, v22
	v_add_f32_e32 v4, v4, v21
	s_or_b64 exec, exec, s[28:29]
	v_cmp_gt_u32_e64 s[16:17], 32, v8
	s_and_saveexec_b64 s[28:29], s[16:17]
	s_cbranch_execz .LBB52_311
.LBB52_1067:
	ds_read_b64 v[20:21], v18 offset:32000
	ds_read_b64 v[18:19], v19 offset:25072
	s_waitcnt lgkmcnt(0)
	v_mul_f32_e32 v22, v19, v21
	v_mul_f32_e32 v21, v18, v21
	v_fma_f32 v18, v18, v20, -v22
	v_fmac_f32_e32 v21, v19, v20
	v_add_f32_e32 v3, v3, v18
	v_add_f32_e32 v4, v4, v21
	s_or_b64 exec, exec, s[28:29]
	v_cmp_gt_u32_e64 s[16:17], 16, v8
	s_and_saveexec_b64 s[28:29], s[16:17]
	s_cbranch_execnz .LBB52_312
	s_branch .LBB52_313
.LBB52_1068:
	ds_read_b64 v[20:21], v18 offset:23360
	ds_read_b64 v[22:23], v19 offset:22888
	s_waitcnt lgkmcnt(0)
	v_mul_f32_e32 v24, v23, v21
	v_mul_f32_e32 v21, v22, v21
	v_fma_f32 v22, v22, v20, -v24
	v_fmac_f32_e32 v21, v23, v20
	v_add_f32_e32 v3, v3, v22
	v_add_f32_e32 v4, v4, v21
	s_or_b64 exec, exec, s[20:21]
	v_cmp_gt_u32_e64 s[14:15], 8, v8
	s_and_saveexec_b64 s[20:21], s[14:15]
	s_cbranch_execz .LBB52_397
.LBB52_1069:
	ds_read_b64 v[20:21], v18 offset:23872
	ds_read_b64 v[18:19], v19 offset:22896
	s_waitcnt lgkmcnt(0)
	v_mul_f32_e32 v22, v19, v21
	v_mul_f32_e32 v21, v18, v21
	v_fma_f32 v18, v18, v20, -v22
	v_fmac_f32_e32 v21, v19, v20
	v_add_f32_e32 v3, v3, v18
	v_add_f32_e32 v4, v4, v21
	s_or_b64 exec, exec, s[20:21]
	v_cmp_gt_u32_e64 s[14:15], 4, v8
	s_and_saveexec_b64 s[20:21], s[14:15]
	s_cbranch_execnz .LBB52_398
	s_branch .LBB52_399
.LBB52_1070:
	ds_read_b64 v[20:21], v18 offset:21248
	ds_read_b64 v[22:23], v19 offset:20808
	s_waitcnt lgkmcnt(0)
	v_mul_f32_e32 v24, v23, v21
	v_mul_f32_e32 v21, v22, v21
	v_fma_f32 v22, v22, v20, -v24
	v_fmac_f32_e32 v21, v23, v20
	v_add_f32_e32 v3, v3, v22
	v_add_f32_e32 v4, v4, v21
	s_or_b64 exec, exec, s[20:21]
	v_cmp_gt_u32_e64 s[14:15], 48, v8
	s_and_saveexec_b64 s[20:21], s[14:15]
	s_cbranch_execz .LBB52_435
.LBB52_1071:
	ds_read_b64 v[20:21], v18 offset:21760
	ds_read_b64 v[22:23], v19 offset:20816
	s_waitcnt lgkmcnt(0)
	v_mul_f32_e32 v24, v23, v21
	v_mul_f32_e32 v21, v22, v21
	v_fma_f32 v22, v22, v20, -v24
	v_fmac_f32_e32 v21, v23, v20
	v_add_f32_e32 v3, v3, v22
	v_add_f32_e32 v4, v4, v21
	s_or_b64 exec, exec, s[20:21]
	v_cmp_gt_u32_e64 s[14:15], 40, v8
	s_and_saveexec_b64 s[20:21], s[14:15]
	s_cbranch_execz .LBB52_436
.LBB52_1072:
	ds_read_b64 v[20:21], v18 offset:22272
	ds_read_b64 v[22:23], v19 offset:20824
	s_waitcnt lgkmcnt(0)
	v_mul_f32_e32 v24, v23, v21
	v_mul_f32_e32 v21, v22, v21
	v_fma_f32 v22, v22, v20, -v24
	v_fmac_f32_e32 v21, v23, v20
	v_add_f32_e32 v3, v3, v22
	v_add_f32_e32 v4, v4, v21
	s_or_b64 exec, exec, s[20:21]
	v_cmp_gt_u32_e64 s[14:15], 32, v8
	s_and_saveexec_b64 s[20:21], s[14:15]
	s_cbranch_execz .LBB52_437
.LBB52_1073:
	ds_read_b64 v[20:21], v18 offset:22784
	ds_read_b64 v[22:23], v19 offset:20832
	s_waitcnt lgkmcnt(0)
	v_mul_f32_e32 v24, v23, v21
	v_mul_f32_e32 v21, v22, v21
	v_fma_f32 v22, v22, v20, -v24
	v_fmac_f32_e32 v21, v23, v20
	v_add_f32_e32 v3, v3, v22
	v_add_f32_e32 v4, v4, v21
	s_or_b64 exec, exec, s[20:21]
	v_cmp_gt_u32_e64 s[14:15], 24, v8
	s_and_saveexec_b64 s[20:21], s[14:15]
	s_cbranch_execz .LBB52_438
.LBB52_1074:
	ds_read_b64 v[20:21], v18 offset:23296
	ds_read_b64 v[22:23], v19 offset:20840
	s_waitcnt lgkmcnt(0)
	v_mul_f32_e32 v24, v23, v21
	v_mul_f32_e32 v21, v22, v21
	v_fma_f32 v22, v22, v20, -v24
	v_fmac_f32_e32 v21, v23, v20
	v_add_f32_e32 v3, v3, v22
	v_add_f32_e32 v4, v4, v21
	s_or_b64 exec, exec, s[20:21]
	s_and_saveexec_b64 s[14:15], s[18:19]
	s_cbranch_execz .LBB52_439
.LBB52_1075:
	ds_read_b64 v[20:21], v18 offset:23808
	ds_read_b64 v[18:19], v19 offset:20848
	s_waitcnt lgkmcnt(0)
	v_mul_f32_e32 v22, v19, v21
	v_mul_f32_e32 v21, v18, v21
	v_fma_f32 v18, v18, v20, -v22
	v_fmac_f32_e32 v21, v19, v20
	v_add_f32_e32 v3, v3, v18
	v_add_f32_e32 v4, v4, v21
	s_or_b64 exec, exec, s[14:15]
	v_cmp_gt_u32_e64 s[14:15], 8, v8
	s_and_saveexec_b64 s[20:21], s[14:15]
	s_cbranch_execnz .LBB52_440
	s_branch .LBB52_441
.LBB52_1076:
	ds_read_b64 v[20:21], v18 offset:19200
	ds_read_b64 v[22:23], v19 offset:18728
	s_waitcnt lgkmcnt(0)
	v_mul_f32_e32 v24, v23, v21
	v_mul_f32_e32 v21, v22, v21
	v_fma_f32 v22, v22, v20, -v24
	v_fmac_f32_e32 v21, v23, v20
	v_add_f32_e32 v3, v3, v22
	v_add_f32_e32 v4, v4, v21
	s_or_b64 exec, exec, s[20:21]
	v_cmp_gt_u32_e64 s[14:15], 8, v8
	s_and_saveexec_b64 s[20:21], s[14:15]
	s_cbranch_execz .LBB52_493
.LBB52_1077:
	ds_read_b64 v[20:21], v18 offset:19712
	ds_read_b64 v[18:19], v19 offset:18736
	s_waitcnt lgkmcnt(0)
	v_mul_f32_e32 v22, v19, v21
	v_mul_f32_e32 v21, v18, v21
	v_fma_f32 v18, v18, v20, -v22
	v_fmac_f32_e32 v21, v19, v20
	v_add_f32_e32 v3, v3, v18
	v_add_f32_e32 v4, v4, v21
	s_or_b64 exec, exec, s[20:21]
	v_cmp_gt_u32_e64 s[14:15], 4, v8
	s_and_saveexec_b64 s[20:21], s[14:15]
	s_cbranch_execnz .LBB52_494
	s_branch .LBB52_495
.LBB52_1078:
	ds_read_b64 v[23:24], v21 offset:31232
	ds_read_b64 v[25:26], v22 offset:16872
	s_waitcnt lgkmcnt(0)
	v_mul_f32_e32 v27, v26, v24
	v_mul_f32_e32 v24, v25, v24
	v_fma_f32 v25, v25, v23, -v27
	v_fmac_f32_e32 v24, v26, v23
	v_add_f32_e32 v3, v3, v25
	v_add_f32_e32 v4, v4, v24
	s_or_b64 exec, exec, s[86:87]
	s_and_saveexec_b64 s[20:21], s[10:11]
	s_cbranch_execz .LBB52_587
.LBB52_1079:
	ds_read_b64 v[23:24], v21 offset:31744
	ds_read_b64 v[25:26], v22 offset:16880
	s_waitcnt lgkmcnt(0)
	v_mul_f32_e32 v27, v26, v24
	v_mul_f32_e32 v24, v25, v24
	v_fma_f32 v25, v25, v23, -v27
	v_fmac_f32_e32 v24, v26, v23
	v_add_f32_e32 v3, v3, v25
	v_add_f32_e32 v4, v4, v24
	s_or_b64 exec, exec, s[20:21]
	v_cmp_gt_u32_e64 s[20:21], 32, v8
	s_and_saveexec_b64 s[86:87], s[20:21]
	s_cbranch_execnz .LBB52_588
	s_branch .LBB52_589
.LBB52_1080:
	ds_read_b64 v[20:21], v18 offset:15040
	ds_read_b64 v[22:23], v19 offset:14568
	s_waitcnt lgkmcnt(0)
	v_mul_f32_e32 v24, v23, v21
	v_mul_f32_e32 v21, v22, v21
	v_fma_f32 v22, v22, v20, -v24
	v_fmac_f32_e32 v21, v23, v20
	v_add_f32_e32 v3, v3, v22
	v_add_f32_e32 v4, v4, v21
	s_or_b64 exec, exec, s[20:21]
	v_cmp_gt_u32_e64 s[14:15], 8, v8
	s_and_saveexec_b64 s[20:21], s[14:15]
	s_cbranch_execz .LBB52_621
.LBB52_1081:
	ds_read_b64 v[20:21], v18 offset:15552
	ds_read_b64 v[18:19], v19 offset:14576
	s_waitcnt lgkmcnt(0)
	v_mul_f32_e32 v22, v19, v21
	v_mul_f32_e32 v21, v18, v21
	v_fma_f32 v18, v18, v20, -v22
	v_fmac_f32_e32 v21, v19, v20
	v_add_f32_e32 v3, v3, v18
	v_add_f32_e32 v4, v4, v21
	s_or_b64 exec, exec, s[20:21]
	v_cmp_gt_u32_e64 s[14:15], 4, v8
	s_and_saveexec_b64 s[20:21], s[14:15]
	s_cbranch_execnz .LBB52_622
	s_branch .LBB52_623
.LBB52_1082:
	ds_read_b64 v[20:21], v18 offset:12928
	ds_read_b64 v[22:23], v19 offset:12488
	s_waitcnt lgkmcnt(0)
	v_mul_f32_e32 v24, v23, v21
	v_mul_f32_e32 v21, v22, v21
	v_fma_f32 v22, v22, v20, -v24
	v_fmac_f32_e32 v21, v23, v20
	v_add_f32_e32 v3, v3, v22
	v_add_f32_e32 v4, v4, v21
	s_or_b64 exec, exec, s[20:21]
	v_cmp_gt_u32_e64 s[14:15], 48, v8
	s_and_saveexec_b64 s[20:21], s[14:15]
	s_cbranch_execz .LBB52_659
.LBB52_1083:
	ds_read_b64 v[20:21], v18 offset:13440
	ds_read_b64 v[22:23], v19 offset:12496
	s_waitcnt lgkmcnt(0)
	v_mul_f32_e32 v24, v23, v21
	v_mul_f32_e32 v21, v22, v21
	v_fma_f32 v22, v22, v20, -v24
	v_fmac_f32_e32 v21, v23, v20
	v_add_f32_e32 v3, v3, v22
	v_add_f32_e32 v4, v4, v21
	s_or_b64 exec, exec, s[20:21]
	v_cmp_gt_u32_e64 s[14:15], 40, v8
	s_and_saveexec_b64 s[20:21], s[14:15]
	s_cbranch_execz .LBB52_660
.LBB52_1084:
	ds_read_b64 v[20:21], v18 offset:13952
	ds_read_b64 v[22:23], v19 offset:12504
	s_waitcnt lgkmcnt(0)
	v_mul_f32_e32 v24, v23, v21
	v_mul_f32_e32 v21, v22, v21
	v_fma_f32 v22, v22, v20, -v24
	v_fmac_f32_e32 v21, v23, v20
	v_add_f32_e32 v3, v3, v22
	v_add_f32_e32 v4, v4, v21
	s_or_b64 exec, exec, s[20:21]
	v_cmp_gt_u32_e64 s[14:15], 32, v8
	s_and_saveexec_b64 s[20:21], s[14:15]
	s_cbranch_execz .LBB52_661
.LBB52_1085:
	ds_read_b64 v[20:21], v18 offset:14464
	ds_read_b64 v[22:23], v19 offset:12512
	s_waitcnt lgkmcnt(0)
	v_mul_f32_e32 v24, v23, v21
	v_mul_f32_e32 v21, v22, v21
	v_fma_f32 v22, v22, v20, -v24
	v_fmac_f32_e32 v21, v23, v20
	v_add_f32_e32 v3, v3, v22
	v_add_f32_e32 v4, v4, v21
	s_or_b64 exec, exec, s[20:21]
	v_cmp_gt_u32_e64 s[14:15], 24, v8
	s_and_saveexec_b64 s[20:21], s[14:15]
	s_cbranch_execz .LBB52_662
.LBB52_1086:
	ds_read_b64 v[20:21], v18 offset:14976
	ds_read_b64 v[22:23], v19 offset:12520
	s_waitcnt lgkmcnt(0)
	v_mul_f32_e32 v24, v23, v21
	v_mul_f32_e32 v21, v22, v21
	v_fma_f32 v22, v22, v20, -v24
	v_fmac_f32_e32 v21, v23, v20
	v_add_f32_e32 v3, v3, v22
	v_add_f32_e32 v4, v4, v21
	s_or_b64 exec, exec, s[20:21]
	s_and_saveexec_b64 s[14:15], s[18:19]
	s_cbranch_execz .LBB52_663
.LBB52_1087:
	ds_read_b64 v[20:21], v18 offset:15488
	ds_read_b64 v[18:19], v19 offset:12528
	s_waitcnt lgkmcnt(0)
	v_mul_f32_e32 v22, v19, v21
	v_mul_f32_e32 v21, v18, v21
	v_fma_f32 v18, v18, v20, -v22
	v_fmac_f32_e32 v21, v19, v20
	v_add_f32_e32 v3, v3, v18
	v_add_f32_e32 v4, v4, v21
	s_or_b64 exec, exec, s[14:15]
	v_cmp_gt_u32_e64 s[14:15], 8, v8
	s_and_saveexec_b64 s[20:21], s[14:15]
	s_cbranch_execnz .LBB52_664
	s_branch .LBB52_665
.LBB52_1088:
	ds_read_b64 v[20:21], v18 offset:10880
	ds_read_b64 v[22:23], v19 offset:10408
	s_waitcnt lgkmcnt(0)
	v_mul_f32_e32 v24, v23, v21
	v_mul_f32_e32 v21, v22, v21
	v_fma_f32 v22, v22, v20, -v24
	v_fmac_f32_e32 v21, v23, v20
	v_add_f32_e32 v3, v3, v22
	v_add_f32_e32 v4, v4, v21
	s_or_b64 exec, exec, s[20:21]
	v_cmp_gt_u32_e64 s[14:15], 8, v8
	s_and_saveexec_b64 s[20:21], s[14:15]
	s_cbranch_execz .LBB52_717
.LBB52_1089:
	ds_read_b64 v[20:21], v18 offset:11392
	ds_read_b64 v[18:19], v19 offset:10416
	s_waitcnt lgkmcnt(0)
	v_mul_f32_e32 v22, v19, v21
	v_mul_f32_e32 v21, v18, v21
	v_fma_f32 v18, v18, v20, -v22
	v_fmac_f32_e32 v21, v19, v20
	v_add_f32_e32 v3, v3, v18
	v_add_f32_e32 v4, v4, v21
	s_or_b64 exec, exec, s[20:21]
	v_cmp_gt_u32_e64 s[14:15], 4, v8
	s_and_saveexec_b64 s[20:21], s[14:15]
	s_cbranch_execnz .LBB52_718
	s_branch .LBB52_719
.LBB52_1090:
	ds_read_b64 v[20:21], v18 offset:13824
	ds_read_b64 v[22:23], v19 offset:8408
	s_waitcnt lgkmcnt(0)
	v_mul_f32_e32 v24, v23, v21
	v_mul_f32_e32 v21, v22, v21
	v_fma_f32 v22, v22, v20, -v24
	v_fmac_f32_e32 v21, v23, v20
	v_add_f32_e32 v3, v3, v22
	v_add_f32_e32 v4, v4, v21
	s_or_b64 exec, exec, s[20:21]
	s_and_saveexec_b64 s[14:15], s[10:11]
	s_cbranch_execz .LBB52_775
.LBB52_1091:
	ds_read_b64 v[20:21], v18 offset:14336
	ds_read_b64 v[22:23], v19 offset:8416
	s_waitcnt lgkmcnt(0)
	v_mul_f32_e32 v24, v23, v21
	v_mul_f32_e32 v21, v22, v21
	v_fma_f32 v22, v22, v20, -v24
	v_fmac_f32_e32 v21, v23, v20
	v_add_f32_e32 v3, v3, v22
	v_add_f32_e32 v4, v4, v21
	s_or_b64 exec, exec, s[14:15]
	v_cmp_gt_u32_e64 s[14:15], 48, v8
	s_and_saveexec_b64 s[20:21], s[14:15]
	s_cbranch_execz .LBB52_776
.LBB52_1092:
	ds_read_b64 v[20:21], v18 offset:14848
	ds_read_b64 v[22:23], v19 offset:8424
	s_waitcnt lgkmcnt(0)
	v_mul_f32_e32 v24, v23, v21
	v_mul_f32_e32 v21, v22, v21
	v_fma_f32 v22, v22, v20, -v24
	v_fmac_f32_e32 v21, v23, v20
	v_add_f32_e32 v3, v3, v22
	v_add_f32_e32 v4, v4, v21
	s_or_b64 exec, exec, s[20:21]
	v_cmp_gt_u32_e64 s[14:15], 32, v8
	s_and_saveexec_b64 s[20:21], s[14:15]
	s_cbranch_execz .LBB52_777
.LBB52_1093:
	ds_read_b64 v[20:21], v18 offset:15360
	ds_read_b64 v[18:19], v19 offset:8432
	s_waitcnt lgkmcnt(0)
	v_mul_f32_e32 v22, v19, v21
	v_mul_f32_e32 v21, v18, v21
	v_fma_f32 v18, v18, v20, -v22
	v_fmac_f32_e32 v21, v19, v20
	v_add_f32_e32 v3, v3, v18
	v_add_f32_e32 v4, v4, v21
	s_or_b64 exec, exec, s[20:21]
	v_cmp_gt_u32_e64 s[14:15], 16, v8
	s_and_saveexec_b64 s[20:21], s[14:15]
	s_cbranch_execnz .LBB52_778
	s_branch .LBB52_779
.LBB52_1094:
	ds_read_b64 v[17:18], v15 offset:6720
	ds_read_b64 v[19:20], v16 offset:6248
	s_waitcnt lgkmcnt(0)
	v_mul_f32_e32 v21, v20, v18
	v_mul_f32_e32 v18, v19, v18
	v_fma_f32 v19, v19, v17, -v21
	v_fmac_f32_e32 v18, v20, v17
	v_add_f32_e32 v3, v3, v19
	v_add_f32_e32 v4, v4, v18
	s_or_b64 exec, exec, s[16:17]
	v_cmp_gt_u32_e64 s[12:13], 8, v8
	s_and_saveexec_b64 s[16:17], s[12:13]
	s_cbranch_execz .LBB52_863
.LBB52_1095:
	ds_read_b64 v[17:18], v15 offset:7232
	ds_read_b64 v[15:16], v16 offset:6256
	s_waitcnt lgkmcnt(0)
	v_mul_f32_e32 v19, v16, v18
	v_mul_f32_e32 v18, v15, v18
	v_fma_f32 v15, v15, v17, -v19
	v_fmac_f32_e32 v18, v16, v17
	v_add_f32_e32 v3, v3, v15
	v_add_f32_e32 v4, v4, v18
	s_or_b64 exec, exec, s[16:17]
	v_cmp_gt_u32_e64 s[12:13], 4, v8
	s_and_saveexec_b64 s[16:17], s[12:13]
	s_cbranch_execnz .LBB52_864
	s_branch .LBB52_865
.LBB52_1096:
	ds_read_b64 v[17:18], v15 offset:4608
	ds_read_b64 v[19:20], v16 offset:4168
	s_waitcnt lgkmcnt(0)
	v_mul_f32_e32 v21, v20, v18
	v_mul_f32_e32 v18, v19, v18
	v_fma_f32 v19, v19, v17, -v21
	v_fmac_f32_e32 v18, v20, v17
	v_add_f32_e32 v3, v3, v19
	v_add_f32_e32 v4, v4, v18
	s_or_b64 exec, exec, s[16:17]
	v_cmp_gt_u32_e64 s[12:13], 48, v8
	s_and_saveexec_b64 s[16:17], s[12:13]
	s_cbranch_execz .LBB52_901
.LBB52_1097:
	ds_read_b64 v[17:18], v15 offset:5120
	ds_read_b64 v[19:20], v16 offset:4176
	s_waitcnt lgkmcnt(0)
	v_mul_f32_e32 v21, v20, v18
	v_mul_f32_e32 v18, v19, v18
	v_fma_f32 v19, v19, v17, -v21
	v_fmac_f32_e32 v18, v20, v17
	v_add_f32_e32 v3, v3, v19
	v_add_f32_e32 v4, v4, v18
	s_or_b64 exec, exec, s[16:17]
	v_cmp_gt_u32_e64 s[12:13], 40, v8
	s_and_saveexec_b64 s[16:17], s[12:13]
	s_cbranch_execz .LBB52_902
.LBB52_1098:
	ds_read_b64 v[17:18], v15 offset:5632
	ds_read_b64 v[19:20], v16 offset:4184
	s_waitcnt lgkmcnt(0)
	v_mul_f32_e32 v21, v20, v18
	v_mul_f32_e32 v18, v19, v18
	v_fma_f32 v19, v19, v17, -v21
	v_fmac_f32_e32 v18, v20, v17
	v_add_f32_e32 v3, v3, v19
	v_add_f32_e32 v4, v4, v18
	s_or_b64 exec, exec, s[16:17]
	v_cmp_gt_u32_e64 s[12:13], 32, v8
	s_and_saveexec_b64 s[16:17], s[12:13]
	s_cbranch_execz .LBB52_903
.LBB52_1099:
	ds_read_b64 v[17:18], v15 offset:6144
	ds_read_b64 v[19:20], v16 offset:4192
	s_waitcnt lgkmcnt(0)
	v_mul_f32_e32 v21, v20, v18
	v_mul_f32_e32 v18, v19, v18
	v_fma_f32 v19, v19, v17, -v21
	v_fmac_f32_e32 v18, v20, v17
	v_add_f32_e32 v3, v3, v19
	v_add_f32_e32 v4, v4, v18
	s_or_b64 exec, exec, s[16:17]
	v_cmp_gt_u32_e64 s[12:13], 24, v8
	s_and_saveexec_b64 s[16:17], s[12:13]
	s_cbranch_execz .LBB52_904
.LBB52_1100:
	ds_read_b64 v[17:18], v15 offset:6656
	ds_read_b64 v[19:20], v16 offset:4200
	s_waitcnt lgkmcnt(0)
	v_mul_f32_e32 v21, v20, v18
	v_mul_f32_e32 v18, v19, v18
	v_fma_f32 v19, v19, v17, -v21
	v_fmac_f32_e32 v18, v20, v17
	v_add_f32_e32 v3, v3, v19
	v_add_f32_e32 v4, v4, v18
	s_or_b64 exec, exec, s[16:17]
	s_and_saveexec_b64 s[12:13], s[18:19]
	s_cbranch_execz .LBB52_905
.LBB52_1101:
	ds_read_b64 v[17:18], v15 offset:7168
	ds_read_b64 v[15:16], v16 offset:4208
	s_waitcnt lgkmcnt(0)
	v_mul_f32_e32 v19, v16, v18
	v_mul_f32_e32 v18, v15, v18
	v_fma_f32 v15, v15, v17, -v19
	v_fmac_f32_e32 v18, v16, v17
	v_add_f32_e32 v3, v3, v15
	v_add_f32_e32 v4, v4, v18
	s_or_b64 exec, exec, s[12:13]
	v_cmp_gt_u32_e64 s[12:13], 8, v8
	s_and_saveexec_b64 s[16:17], s[12:13]
	s_cbranch_execnz .LBB52_906
	s_branch .LBB52_907
.LBB52_1102:
	ds_read_b64 v[14:15], v12 offset:2560
	ds_read_b64 v[16:17], v13 offset:2088
	s_waitcnt lgkmcnt(0)
	v_mul_f32_e32 v18, v17, v15
	v_mul_f32_e32 v15, v16, v15
	v_fma_f32 v16, v16, v14, -v18
	v_fmac_f32_e32 v15, v17, v14
	v_add_f32_e32 v3, v3, v16
	v_add_f32_e32 v4, v4, v15
	s_or_b64 exec, exec, s[14:15]
	v_cmp_gt_u32_e64 s[10:11], 8, v8
	s_and_saveexec_b64 s[14:15], s[10:11]
	s_cbranch_execz .LBB52_959
.LBB52_1103:
	ds_read_b64 v[14:15], v12 offset:3072
	ds_read_b64 v[12:13], v13 offset:2096
	s_waitcnt lgkmcnt(0)
	v_mul_f32_e32 v16, v13, v15
	v_mul_f32_e32 v15, v12, v15
	v_fma_f32 v12, v12, v14, -v16
	v_fmac_f32_e32 v15, v13, v14
	v_add_f32_e32 v3, v3, v12
	v_add_f32_e32 v4, v4, v15
	s_or_b64 exec, exec, s[14:15]
	v_cmp_gt_u32_e64 s[10:11], 4, v8
	s_and_saveexec_b64 s[14:15], s[10:11]
	s_cbranch_execnz .LBB52_960
	s_branch .LBB52_961
	.section	.rodata,"a",@progbits
	.p2align	6, 0x0
	.amdhsa_kernel _ZL19rocblas_trsv_deviceILi64ELi16ELb0ELb0ELb0ELb0E19rocblas_complex_numIfEPKS1_S3_PS1_EviT7_lllT6_T8_lllPii
		.amdhsa_group_segment_fixed_size 41480
		.amdhsa_private_segment_fixed_size 48
		.amdhsa_kernarg_size 352
		.amdhsa_user_sgpr_count 8
		.amdhsa_user_sgpr_private_segment_buffer 1
		.amdhsa_user_sgpr_dispatch_ptr 0
		.amdhsa_user_sgpr_queue_ptr 0
		.amdhsa_user_sgpr_kernarg_segment_ptr 1
		.amdhsa_user_sgpr_dispatch_id 0
		.amdhsa_user_sgpr_flat_scratch_init 1
		.amdhsa_user_sgpr_private_segment_size 0
		.amdhsa_uses_dynamic_stack 0
		.amdhsa_system_sgpr_private_segment_wavefront_offset 1
		.amdhsa_system_sgpr_workgroup_id_x 1
		.amdhsa_system_sgpr_workgroup_id_y 0
		.amdhsa_system_sgpr_workgroup_id_z 1
		.amdhsa_system_sgpr_workgroup_info 0
		.amdhsa_system_vgpr_workitem_id 1
		.amdhsa_next_free_vgpr 49
		.amdhsa_next_free_sgpr 100
		.amdhsa_reserve_vcc 1
		.amdhsa_reserve_flat_scratch 1
		.amdhsa_float_round_mode_32 0
		.amdhsa_float_round_mode_16_64 0
		.amdhsa_float_denorm_mode_32 3
		.amdhsa_float_denorm_mode_16_64 3
		.amdhsa_dx10_clamp 1
		.amdhsa_ieee_mode 1
		.amdhsa_fp16_overflow 0
		.amdhsa_exception_fp_ieee_invalid_op 0
		.amdhsa_exception_fp_denorm_src 0
		.amdhsa_exception_fp_ieee_div_zero 0
		.amdhsa_exception_fp_ieee_overflow 0
		.amdhsa_exception_fp_ieee_underflow 0
		.amdhsa_exception_fp_ieee_inexact 0
		.amdhsa_exception_int_div_zero 0
	.end_amdhsa_kernel
	.section	.text._ZL19rocblas_trsv_deviceILi64ELi16ELb0ELb0ELb0ELb0E19rocblas_complex_numIfEPKS1_S3_PS1_EviT7_lllT6_T8_lllPii,"axG",@progbits,_ZL19rocblas_trsv_deviceILi64ELi16ELb0ELb0ELb0ELb0E19rocblas_complex_numIfEPKS1_S3_PS1_EviT7_lllT6_T8_lllPii,comdat
.Lfunc_end52:
	.size	_ZL19rocblas_trsv_deviceILi64ELi16ELb0ELb0ELb0ELb0E19rocblas_complex_numIfEPKS1_S3_PS1_EviT7_lllT6_T8_lllPii, .Lfunc_end52-_ZL19rocblas_trsv_deviceILi64ELi16ELb0ELb0ELb0ELb0E19rocblas_complex_numIfEPKS1_S3_PS1_EviT7_lllT6_T8_lllPii
                                        ; -- End function
	.set _ZL19rocblas_trsv_deviceILi64ELi16ELb0ELb0ELb0ELb0E19rocblas_complex_numIfEPKS1_S3_PS1_EviT7_lllT6_T8_lllPii.num_vgpr, 31
	.set _ZL19rocblas_trsv_deviceILi64ELi16ELb0ELb0ELb0ELb0E19rocblas_complex_numIfEPKS1_S3_PS1_EviT7_lllT6_T8_lllPii.num_agpr, 0
	.set _ZL19rocblas_trsv_deviceILi64ELi16ELb0ELb0ELb0ELb0E19rocblas_complex_numIfEPKS1_S3_PS1_EviT7_lllT6_T8_lllPii.numbered_sgpr, 100
	.set _ZL19rocblas_trsv_deviceILi64ELi16ELb0ELb0ELb0ELb0E19rocblas_complex_numIfEPKS1_S3_PS1_EviT7_lllT6_T8_lllPii.num_named_barrier, 0
	.set _ZL19rocblas_trsv_deviceILi64ELi16ELb0ELb0ELb0ELb0E19rocblas_complex_numIfEPKS1_S3_PS1_EviT7_lllT6_T8_lllPii.private_seg_size, 48
	.set _ZL19rocblas_trsv_deviceILi64ELi16ELb0ELb0ELb0ELb0E19rocblas_complex_numIfEPKS1_S3_PS1_EviT7_lllT6_T8_lllPii.uses_vcc, 1
	.set _ZL19rocblas_trsv_deviceILi64ELi16ELb0ELb0ELb0ELb0E19rocblas_complex_numIfEPKS1_S3_PS1_EviT7_lllT6_T8_lllPii.uses_flat_scratch, 1
	.set _ZL19rocblas_trsv_deviceILi64ELi16ELb0ELb0ELb0ELb0E19rocblas_complex_numIfEPKS1_S3_PS1_EviT7_lllT6_T8_lllPii.has_dyn_sized_stack, 0
	.set _ZL19rocblas_trsv_deviceILi64ELi16ELb0ELb0ELb0ELb0E19rocblas_complex_numIfEPKS1_S3_PS1_EviT7_lllT6_T8_lllPii.has_recursion, 0
	.set _ZL19rocblas_trsv_deviceILi64ELi16ELb0ELb0ELb0ELb0E19rocblas_complex_numIfEPKS1_S3_PS1_EviT7_lllT6_T8_lllPii.has_indirect_call, 0
	.section	.AMDGPU.csdata,"",@progbits
; Kernel info:
; codeLenInByte = 45640
; TotalNumSgprs: 106
; NumVgprs: 31
; ScratchSize: 48
; MemoryBound: 1
; FloatMode: 240
; IeeeMode: 1
; LDSByteSize: 41480 bytes/workgroup (compile time only)
; SGPRBlocks: 13
; VGPRBlocks: 12
; NumSGPRsForWavesPerEU: 106
; NumVGPRsForWavesPerEU: 49
; Occupancy: 4
; WaveLimiterHint : 0
; COMPUTE_PGM_RSRC2:SCRATCH_EN: 1
; COMPUTE_PGM_RSRC2:USER_SGPR: 8
; COMPUTE_PGM_RSRC2:TRAP_HANDLER: 0
; COMPUTE_PGM_RSRC2:TGID_X_EN: 1
; COMPUTE_PGM_RSRC2:TGID_Y_EN: 0
; COMPUTE_PGM_RSRC2:TGID_Z_EN: 1
; COMPUTE_PGM_RSRC2:TIDIG_COMP_CNT: 1
	.section	.text._ZL19rocblas_trsv_deviceILi64ELi16ELb0ELb1ELb0ELb0E19rocblas_complex_numIfEPKS1_S3_PS1_EviT7_lllT6_T8_lllPii,"axG",@progbits,_ZL19rocblas_trsv_deviceILi64ELi16ELb0ELb1ELb0ELb0E19rocblas_complex_numIfEPKS1_S3_PS1_EviT7_lllT6_T8_lllPii,comdat
	.globl	_ZL19rocblas_trsv_deviceILi64ELi16ELb0ELb1ELb0ELb0E19rocblas_complex_numIfEPKS1_S3_PS1_EviT7_lllT6_T8_lllPii ; -- Begin function _ZL19rocblas_trsv_deviceILi64ELi16ELb0ELb1ELb0ELb0E19rocblas_complex_numIfEPKS1_S3_PS1_EviT7_lllT6_T8_lllPii
	.p2align	8
	.type	_ZL19rocblas_trsv_deviceILi64ELi16ELb0ELb1ELb0ELb0E19rocblas_complex_numIfEPKS1_S3_PS1_EviT7_lllT6_T8_lllPii,@function
_ZL19rocblas_trsv_deviceILi64ELi16ELb0ELb1ELb0ELb0E19rocblas_complex_numIfEPKS1_S3_PS1_EviT7_lllT6_T8_lllPii: ; @_ZL19rocblas_trsv_deviceILi64ELi16ELb0ELb1ELb0ELb0E19rocblas_complex_numIfEPKS1_S3_PS1_EviT7_lllT6_T8_lllPii
; %bb.0:
	s_mov_b32 s26, s9
	s_load_dwordx16 s[36:51], s[4:5], 0x8
	s_load_dword s9, s[4:5], 0x0
	s_add_u32 flat_scratch_lo, s6, s10
	s_addc_u32 flat_scratch_hi, s7, 0
	s_add_u32 s0, s0, s10
	s_waitcnt lgkmcnt(0)
	s_mul_i32 s6, s43, s26
	s_mul_hi_u32 s7, s42, s26
	s_addc_u32 s1, s1, 0
	s_add_i32 s7, s7, s6
	s_mul_i32 s6, s42, s26
	s_lshl_b64 s[6:7], s[6:7], 3
	s_add_u32 s10, s36, s6
	s_load_dwordx2 s[24:25], s[44:45], 0x0
	s_load_dword s93, s[4:5], 0x6c
	s_addc_u32 s11, s37, s7
	s_lshl_b64 s[6:7], s[38:39], 3
	s_add_u32 s31, s10, s6
	s_mov_b32 s27, 0
	s_addc_u32 s92, s11, s7
	v_mov_b32_e32 v2, v1
	s_cmp_eq_u32 s8, 0
	s_mov_b32 s33, s27
	s_cbranch_scc1 .LBB53_18
; %bb.1:
	s_lshl_b32 s33, s8, 6
	v_add_u32_e32 v1, s33, v0
	v_ashrrev_i32_e32 v3, 31, v1
	v_mul_lo_u32 v7, s40, v3
	v_mul_lo_u32 v8, s41, v1
	v_mad_u64_u32 v[3:4], s[6:7], s40, v1, 0
	v_add_u32_e32 v5, s33, v2
	v_subrev_u32_e32 v5, 64, v5
	v_add3_u32 v4, v4, v7, v8
	v_lshlrev_b64 v[3:4], 3, v[3:4]
	v_ashrrev_i32_e32 v6, 31, v5
	v_mov_b32_e32 v7, s92
	v_add_co_u32_e64 v8, s[6:7], s31, v3
	v_addc_co_u32_e64 v7, s[6:7], v7, v4, s[6:7]
	v_lshlrev_b64 v[3:4], 3, v[5:6]
	v_cmp_gt_i32_e32 vcc, s9, v1
	v_add_co_u32_e64 v3, s[6:7], v8, v3
	v_addc_co_u32_e64 v4, s[6:7], v7, v4, s[6:7]
	v_max_i32_e32 v1, v5, v1
	v_cmp_le_i32_e64 s[6:7], s9, v1
	s_waitcnt lgkmcnt(0)
	s_barrier
	s_and_saveexec_b64 s[10:11], s[6:7]
	s_xor_b64 s[6:7], exec, s[10:11]
	s_cbranch_execz .LBB53_3
; %bb.2:
	v_mov_b32_e32 v1, 0
	buffer_store_dword v1, off, s[0:3], 0
	buffer_store_dword v1, off, s[0:3], 0 offset:4
.LBB53_3:
	s_andn2_saveexec_b64 s[6:7], s[6:7]
	s_cbranch_execz .LBB53_5
; %bb.4:
	global_load_dwordx2 v[6:7], v[3:4], off
	s_waitcnt vmcnt(0)
	buffer_store_dword v7, off, s[0:3], 0 offset:4
	buffer_store_dword v6, off, s[0:3], 0
.LBB53_5:
	s_or_b64 exec, exec, s[6:7]
	v_add_u32_e32 v1, 16, v5
	v_cmp_le_i32_e64 s[6:7], s9, v1
	s_xor_b64 s[10:11], vcc, -1
	s_or_b64 s[6:7], s[6:7], s[10:11]
	s_waitcnt vmcnt(0)
	s_barrier
	s_and_saveexec_b64 s[12:13], s[6:7]
	s_xor_b64 s[6:7], exec, s[12:13]
	s_cbranch_execz .LBB53_7
; %bb.6:
	v_mov_b32_e32 v1, 0
	buffer_store_dword v1, off, s[0:3], 0 offset:8
	buffer_store_dword v1, off, s[0:3], 0 offset:12
.LBB53_7:
	s_andn2_saveexec_b64 s[6:7], s[6:7]
	s_cbranch_execz .LBB53_9
; %bb.8:
	global_load_dwordx2 v[6:7], v[3:4], off offset:128
	s_waitcnt vmcnt(0)
	buffer_store_dword v7, off, s[0:3], 0 offset:12
	buffer_store_dword v6, off, s[0:3], 0 offset:8
.LBB53_9:
	s_or_b64 exec, exec, s[6:7]
	v_add_u32_e32 v1, 32, v5
	v_cmp_le_i32_e32 vcc, s9, v1
	s_or_b64 s[6:7], vcc, s[10:11]
	s_waitcnt vmcnt(0)
	s_barrier
	s_and_saveexec_b64 s[12:13], s[6:7]
	s_xor_b64 s[6:7], exec, s[12:13]
	s_cbranch_execz .LBB53_11
; %bb.10:
	v_mov_b32_e32 v1, 0
	buffer_store_dword v1, off, s[0:3], 0 offset:16
	buffer_store_dword v1, off, s[0:3], 0 offset:20
.LBB53_11:
	s_andn2_saveexec_b64 s[6:7], s[6:7]
	s_cbranch_execz .LBB53_13
; %bb.12:
	global_load_dwordx2 v[6:7], v[3:4], off offset:256
	s_waitcnt vmcnt(0)
	buffer_store_dword v7, off, s[0:3], 0 offset:20
	buffer_store_dword v6, off, s[0:3], 0 offset:16
.LBB53_13:
	s_or_b64 exec, exec, s[6:7]
	v_add_u32_e32 v1, 48, v5
	v_cmp_le_i32_e32 vcc, s9, v1
	s_or_b64 s[6:7], vcc, s[10:11]
	s_waitcnt vmcnt(0)
	s_barrier
	s_and_saveexec_b64 s[10:11], s[6:7]
	s_xor_b64 s[6:7], exec, s[10:11]
	s_cbranch_execz .LBB53_15
; %bb.14:
	v_mov_b32_e32 v1, 0
	buffer_store_dword v1, off, s[0:3], 0 offset:24
	buffer_store_dword v1, off, s[0:3], 0 offset:28
                                        ; implicit-def: $vgpr3_vgpr4
.LBB53_15:
	s_andn2_saveexec_b64 s[6:7], s[6:7]
	s_cbranch_execz .LBB53_17
; %bb.16:
	global_load_dwordx2 v[3:4], v[3:4], off offset:384
	s_waitcnt vmcnt(0)
	buffer_store_dword v4, off, s[0:3], 0 offset:28
	buffer_store_dword v3, off, s[0:3], 0 offset:24
.LBB53_17:
	s_or_b64 exec, exec, s[6:7]
.LBB53_18:
	s_ashr_i32 s6, s9, 31
	s_lshr_b32 s6, s6, 26
	s_add_i32 s6, s9, s6
	s_andn2_b32 s6, s6, 63
	s_sub_i32 s30, s9, s6
	s_add_i32 s6, s9, -1
	s_ashr_i32 s7, s6, 31
	s_lshr_b32 s7, s7, 26
	s_add_i32 s6, s6, s7
	s_ashr_i32 s6, s6, 6
	s_cmp_eq_u32 s6, s8
	s_cselect_b64 s[6:7], -1, 0
	s_cmp_lg_u32 s30, 0
	s_cselect_b64 s[10:11], -1, 0
	s_and_b64 s[28:29], s[10:11], s[6:7]
	s_cmp_lt_i32 s8, 5
	s_cselect_b64 s[12:13], -1, 0
	s_or_b64 s[6:7], s[12:13], s[28:29]
	s_ashr_i32 s44, s33, 31
	s_add_u32 s14, s40, 1
	v_mov_b32_e32 v1, 0
	v_mov_b32_e32 v3, s33
	v_mad_u64_u32 v[3:4], s[10:11], s14, v3, v[0:1]
	s_addc_u32 s15, s41, 0
	s_mul_i32 s10, s14, s44
	s_mul_i32 s15, s15, s33
	v_lshlrev_b32_e32 v9, 6, v0
	s_add_i32 s10, s10, s15
	s_mov_b64 s[16:17], -1
	v_add_u32_e32 v4, s10, v4
	s_and_b64 vcc, exec, s[28:29]
	v_add_u32_e32 v10, v2, v9
	v_cmp_le_u32_e64 s[10:11], v2, v0
	v_lshl_add_u32 v1, v2, 6, v0
	s_cbranch_vccnz .LBB53_76
; %bb.19:
	v_mad_u64_u32 v[5:6], s[14:15], s40, v2, v[3:4]
	v_cndmask_b32_e64 v11, v1, v10, s[12:13]
	v_mad_u64_u32 v[6:7], s[14:15], s41, v2, v[6:7]
	s_and_saveexec_b64 s[12:13], s[10:11]
	s_xor_b64 s[10:11], exec, s[12:13]
	s_cbranch_execz .LBB53_31
; %bb.20:
	v_cmp_ne_u32_e32 vcc, v0, v2
	s_and_saveexec_b64 s[12:13], vcc
	s_xor_b64 s[12:13], exec, s[12:13]
	s_cbranch_execz .LBB53_24
; %bb.21:
	v_or_b32_e32 v5, v2, v0
	v_cmp_gt_u32_e32 vcc, 64, v5
	s_and_saveexec_b64 s[14:15], vcc
; %bb.22:
	v_mov_b32_e32 v5, 0
	v_lshlrev_b32_e32 v7, 3, v11
	v_mov_b32_e32 v6, v5
	ds_write_b64 v7, v[5:6]
; %bb.23:
	s_or_b64 exec, exec, s[14:15]
                                        ; implicit-def: $vgpr11
                                        ; implicit-def: $vgpr5_vgpr6
.LBB53_24:
	s_andn2_saveexec_b64 s[12:13], s[12:13]
	s_cbranch_execz .LBB53_30
; %bb.25:
	v_lshlrev_b64 v[5:6], 3, v[5:6]
	v_mov_b32_e32 v7, s92
	v_add_co_u32_e32 v5, vcc, s31, v5
	v_addc_co_u32_e32 v6, vcc, v7, v6, vcc
	global_load_dwordx2 v[5:6], v[5:6], off
                                        ; implicit-def: $vgpr7
	s_waitcnt vmcnt(0)
	v_cmp_ngt_f32_e64 s[14:15], |v5|, |v6|
	s_and_saveexec_b64 s[16:17], s[14:15]
	s_xor_b64 s[14:15], exec, s[16:17]
	s_cbranch_execz .LBB53_27
; %bb.26:
	v_div_scale_f32 v7, s[16:17], v6, v6, v5
	v_div_scale_f32 v8, vcc, v5, v6, v5
	v_rcp_f32_e32 v12, v7
	v_fma_f32 v13, -v7, v12, 1.0
	v_fmac_f32_e32 v12, v13, v12
	v_mul_f32_e32 v13, v8, v12
	v_fma_f32 v14, -v7, v13, v8
	v_fmac_f32_e32 v13, v14, v12
	v_fma_f32 v7, -v7, v13, v8
	v_div_fmas_f32 v7, v7, v12, v13
	v_div_fixup_f32 v7, v7, v6, v5
	v_fmac_f32_e32 v6, v5, v7
	v_div_scale_f32 v5, s[16:17], v6, v6, 1.0
	v_div_scale_f32 v8, vcc, 1.0, v6, 1.0
	v_rcp_f32_e32 v12, v5
	v_fma_f32 v13, -v5, v12, 1.0
	v_fmac_f32_e32 v12, v13, v12
	v_mul_f32_e32 v13, v8, v12
	v_fma_f32 v14, -v5, v13, v8
	v_fmac_f32_e32 v13, v14, v12
	v_fma_f32 v5, -v5, v13, v8
	v_div_fmas_f32 v5, v5, v12, v13
	v_div_fixup_f32 v5, v5, v6, 1.0
	v_mul_f32_e32 v7, v7, v5
	v_xor_b32_e32 v8, 0x80000000, v5
                                        ; implicit-def: $vgpr5_vgpr6
.LBB53_27:
	s_andn2_saveexec_b64 s[14:15], s[14:15]
	s_cbranch_execz .LBB53_29
; %bb.28:
	v_div_scale_f32 v7, s[16:17], v5, v5, v6
	v_div_scale_f32 v8, vcc, v6, v5, v6
	v_rcp_f32_e32 v12, v7
	v_fma_f32 v13, -v7, v12, 1.0
	v_fmac_f32_e32 v12, v13, v12
	v_mul_f32_e32 v13, v8, v12
	v_fma_f32 v14, -v7, v13, v8
	v_fmac_f32_e32 v13, v14, v12
	v_fma_f32 v7, -v7, v13, v8
	v_div_fmas_f32 v7, v7, v12, v13
	v_div_fixup_f32 v8, v7, v5, v6
	v_fmac_f32_e32 v5, v6, v8
	v_div_scale_f32 v6, s[16:17], v5, v5, 1.0
	v_div_scale_f32 v7, vcc, 1.0, v5, 1.0
	v_rcp_f32_e32 v12, v6
	v_fma_f32 v13, -v6, v12, 1.0
	v_fmac_f32_e32 v12, v13, v12
	v_mul_f32_e32 v13, v7, v12
	v_fma_f32 v14, -v6, v13, v7
	v_fmac_f32_e32 v13, v14, v12
	v_fma_f32 v6, -v6, v13, v7
	v_div_fmas_f32 v6, v6, v12, v13
	v_div_fixup_f32 v7, v6, v5, 1.0
	v_mul_f32_e64 v8, v8, -v7
.LBB53_29:
	s_or_b64 exec, exec, s[14:15]
	v_lshlrev_b32_e32 v5, 3, v11
	ds_write_b64 v5, v[7:8]
.LBB53_30:
	s_or_b64 exec, exec, s[12:13]
                                        ; implicit-def: $vgpr5_vgpr6
                                        ; implicit-def: $vgpr11
.LBB53_31:
	s_andn2_saveexec_b64 s[10:11], s[10:11]
	s_cbranch_execz .LBB53_33
; %bb.32:
	v_lshlrev_b64 v[5:6], 3, v[5:6]
	v_mov_b32_e32 v7, s92
	v_add_co_u32_e32 v5, vcc, s31, v5
	v_addc_co_u32_e32 v6, vcc, v7, v6, vcc
	global_load_dwordx2 v[5:6], v[5:6], off
	v_lshlrev_b32_e32 v7, 3, v11
	s_waitcnt vmcnt(0)
	v_xor_b32_e32 v5, 0x80000000, v5
	v_xor_b32_e32 v6, 0x80000000, v6
	ds_write_b64 v7, v[5:6]
.LBB53_33:
	s_or_b64 exec, exec, s[10:11]
	v_add_u32_e32 v7, 16, v2
	v_mad_u64_u32 v[5:6], s[10:11], s40, v7, v[3:4]
	v_lshl_add_u32 v8, v7, 6, v0
	v_cmp_le_u32_e32 vcc, v7, v0
	v_mad_u64_u32 v[12:13], s[10:11], s41, v7, v[6:7]
	v_add_u32_e32 v6, v7, v9
	v_cndmask_b32_e64 v11, v8, v6, s[6:7]
	v_mov_b32_e32 v6, v12
	s_and_saveexec_b64 s[10:11], vcc
	s_xor_b64 s[10:11], exec, s[10:11]
	s_cbranch_execz .LBB53_45
; %bb.34:
	v_cmp_ne_u32_e32 vcc, v0, v7
	s_and_saveexec_b64 s[12:13], vcc
	s_xor_b64 s[12:13], exec, s[12:13]
	s_cbranch_execz .LBB53_38
; %bb.35:
	v_or_b32_e32 v5, v7, v0
	v_cmp_gt_u32_e32 vcc, 64, v5
	s_and_saveexec_b64 s[14:15], vcc
; %bb.36:
	v_mov_b32_e32 v5, 0
	v_lshlrev_b32_e32 v7, 3, v11
	v_mov_b32_e32 v6, v5
	ds_write_b64 v7, v[5:6]
; %bb.37:
	s_or_b64 exec, exec, s[14:15]
                                        ; implicit-def: $vgpr11
                                        ; implicit-def: $vgpr5_vgpr6
.LBB53_38:
	s_andn2_saveexec_b64 s[12:13], s[12:13]
	s_cbranch_execz .LBB53_44
; %bb.39:
	v_lshlrev_b64 v[5:6], 3, v[5:6]
	v_mov_b32_e32 v7, s92
	v_add_co_u32_e32 v5, vcc, s31, v5
	v_addc_co_u32_e32 v6, vcc, v7, v6, vcc
	global_load_dwordx2 v[5:6], v[5:6], off
                                        ; implicit-def: $vgpr7
	s_waitcnt vmcnt(0)
	v_cmp_ngt_f32_e64 s[14:15], |v5|, |v6|
	s_and_saveexec_b64 s[16:17], s[14:15]
	s_xor_b64 s[14:15], exec, s[16:17]
	s_cbranch_execz .LBB53_41
; %bb.40:
	v_div_scale_f32 v7, s[16:17], v6, v6, v5
	v_div_scale_f32 v8, vcc, v5, v6, v5
	v_rcp_f32_e32 v12, v7
	v_fma_f32 v13, -v7, v12, 1.0
	v_fmac_f32_e32 v12, v13, v12
	v_mul_f32_e32 v13, v8, v12
	v_fma_f32 v14, -v7, v13, v8
	v_fmac_f32_e32 v13, v14, v12
	v_fma_f32 v7, -v7, v13, v8
	v_div_fmas_f32 v7, v7, v12, v13
	v_div_fixup_f32 v7, v7, v6, v5
	v_fmac_f32_e32 v6, v5, v7
	v_div_scale_f32 v5, s[16:17], v6, v6, 1.0
	v_div_scale_f32 v8, vcc, 1.0, v6, 1.0
	v_rcp_f32_e32 v12, v5
	v_fma_f32 v13, -v5, v12, 1.0
	v_fmac_f32_e32 v12, v13, v12
	v_mul_f32_e32 v13, v8, v12
	v_fma_f32 v14, -v5, v13, v8
	v_fmac_f32_e32 v13, v14, v12
	v_fma_f32 v5, -v5, v13, v8
	v_div_fmas_f32 v5, v5, v12, v13
	v_div_fixup_f32 v5, v5, v6, 1.0
	v_mul_f32_e32 v7, v7, v5
	v_xor_b32_e32 v8, 0x80000000, v5
                                        ; implicit-def: $vgpr5_vgpr6
.LBB53_41:
	s_andn2_saveexec_b64 s[14:15], s[14:15]
	s_cbranch_execz .LBB53_43
; %bb.42:
	v_div_scale_f32 v7, s[16:17], v5, v5, v6
	v_div_scale_f32 v8, vcc, v6, v5, v6
	v_rcp_f32_e32 v12, v7
	v_fma_f32 v13, -v7, v12, 1.0
	v_fmac_f32_e32 v12, v13, v12
	v_mul_f32_e32 v13, v8, v12
	v_fma_f32 v14, -v7, v13, v8
	v_fmac_f32_e32 v13, v14, v12
	v_fma_f32 v7, -v7, v13, v8
	v_div_fmas_f32 v7, v7, v12, v13
	v_div_fixup_f32 v8, v7, v5, v6
	v_fmac_f32_e32 v5, v6, v8
	v_div_scale_f32 v6, s[16:17], v5, v5, 1.0
	v_div_scale_f32 v7, vcc, 1.0, v5, 1.0
	v_rcp_f32_e32 v12, v6
	v_fma_f32 v13, -v6, v12, 1.0
	v_fmac_f32_e32 v12, v13, v12
	v_mul_f32_e32 v13, v7, v12
	v_fma_f32 v14, -v6, v13, v7
	v_fmac_f32_e32 v13, v14, v12
	v_fma_f32 v6, -v6, v13, v7
	v_div_fmas_f32 v6, v6, v12, v13
	v_div_fixup_f32 v7, v6, v5, 1.0
	v_mul_f32_e64 v8, v8, -v7
.LBB53_43:
	s_or_b64 exec, exec, s[14:15]
	v_lshlrev_b32_e32 v5, 3, v11
	ds_write_b64 v5, v[7:8]
.LBB53_44:
	s_or_b64 exec, exec, s[12:13]
                                        ; implicit-def: $vgpr5_vgpr6
                                        ; implicit-def: $vgpr11
.LBB53_45:
	s_andn2_saveexec_b64 s[10:11], s[10:11]
	s_cbranch_execz .LBB53_47
; %bb.46:
	v_lshlrev_b64 v[5:6], 3, v[5:6]
	v_mov_b32_e32 v7, s92
	v_add_co_u32_e32 v5, vcc, s31, v5
	v_addc_co_u32_e32 v6, vcc, v7, v6, vcc
	global_load_dwordx2 v[5:6], v[5:6], off
	v_lshlrev_b32_e32 v7, 3, v11
	s_waitcnt vmcnt(0)
	v_xor_b32_e32 v5, 0x80000000, v5
	v_xor_b32_e32 v6, 0x80000000, v6
	ds_write_b64 v7, v[5:6]
.LBB53_47:
	s_or_b64 exec, exec, s[10:11]
	v_add_u32_e32 v7, 32, v2
	v_mad_u64_u32 v[5:6], s[10:11], s40, v7, v[3:4]
	v_lshl_add_u32 v8, v7, 6, v0
	v_cmp_le_u32_e32 vcc, v7, v0
	v_mad_u64_u32 v[12:13], s[10:11], s41, v7, v[6:7]
	v_add_u32_e32 v6, v7, v9
	v_cndmask_b32_e64 v11, v8, v6, s[6:7]
	v_mov_b32_e32 v6, v12
	s_and_saveexec_b64 s[10:11], vcc
	s_xor_b64 s[10:11], exec, s[10:11]
	s_cbranch_execz .LBB53_59
; %bb.48:
	v_cmp_ne_u32_e32 vcc, v0, v7
	s_and_saveexec_b64 s[12:13], vcc
	s_xor_b64 s[12:13], exec, s[12:13]
	s_cbranch_execz .LBB53_52
; %bb.49:
	v_or_b32_e32 v5, v7, v0
	v_cmp_gt_u32_e32 vcc, 64, v5
	s_and_saveexec_b64 s[14:15], vcc
; %bb.50:
	v_mov_b32_e32 v5, 0
	v_lshlrev_b32_e32 v7, 3, v11
	v_mov_b32_e32 v6, v5
	ds_write_b64 v7, v[5:6]
; %bb.51:
	s_or_b64 exec, exec, s[14:15]
                                        ; implicit-def: $vgpr11
                                        ; implicit-def: $vgpr5_vgpr6
.LBB53_52:
	s_andn2_saveexec_b64 s[12:13], s[12:13]
	s_cbranch_execz .LBB53_58
; %bb.53:
	v_lshlrev_b64 v[5:6], 3, v[5:6]
	v_mov_b32_e32 v7, s92
	v_add_co_u32_e32 v5, vcc, s31, v5
	v_addc_co_u32_e32 v6, vcc, v7, v6, vcc
	global_load_dwordx2 v[5:6], v[5:6], off
                                        ; implicit-def: $vgpr7
	s_waitcnt vmcnt(0)
	v_cmp_ngt_f32_e64 s[14:15], |v5|, |v6|
	s_and_saveexec_b64 s[16:17], s[14:15]
	s_xor_b64 s[14:15], exec, s[16:17]
	s_cbranch_execz .LBB53_55
; %bb.54:
	v_div_scale_f32 v7, s[16:17], v6, v6, v5
	v_div_scale_f32 v8, vcc, v5, v6, v5
	v_rcp_f32_e32 v12, v7
	v_fma_f32 v13, -v7, v12, 1.0
	v_fmac_f32_e32 v12, v13, v12
	v_mul_f32_e32 v13, v8, v12
	v_fma_f32 v14, -v7, v13, v8
	v_fmac_f32_e32 v13, v14, v12
	v_fma_f32 v7, -v7, v13, v8
	v_div_fmas_f32 v7, v7, v12, v13
	v_div_fixup_f32 v7, v7, v6, v5
	v_fmac_f32_e32 v6, v5, v7
	v_div_scale_f32 v5, s[16:17], v6, v6, 1.0
	v_div_scale_f32 v8, vcc, 1.0, v6, 1.0
	v_rcp_f32_e32 v12, v5
	v_fma_f32 v13, -v5, v12, 1.0
	v_fmac_f32_e32 v12, v13, v12
	v_mul_f32_e32 v13, v8, v12
	v_fma_f32 v14, -v5, v13, v8
	v_fmac_f32_e32 v13, v14, v12
	v_fma_f32 v5, -v5, v13, v8
	v_div_fmas_f32 v5, v5, v12, v13
	v_div_fixup_f32 v5, v5, v6, 1.0
	v_mul_f32_e32 v7, v7, v5
	v_xor_b32_e32 v8, 0x80000000, v5
                                        ; implicit-def: $vgpr5_vgpr6
.LBB53_55:
	s_andn2_saveexec_b64 s[14:15], s[14:15]
	s_cbranch_execz .LBB53_57
; %bb.56:
	v_div_scale_f32 v7, s[16:17], v5, v5, v6
	v_div_scale_f32 v8, vcc, v6, v5, v6
	v_rcp_f32_e32 v12, v7
	v_fma_f32 v13, -v7, v12, 1.0
	v_fmac_f32_e32 v12, v13, v12
	v_mul_f32_e32 v13, v8, v12
	v_fma_f32 v14, -v7, v13, v8
	v_fmac_f32_e32 v13, v14, v12
	v_fma_f32 v7, -v7, v13, v8
	v_div_fmas_f32 v7, v7, v12, v13
	v_div_fixup_f32 v8, v7, v5, v6
	v_fmac_f32_e32 v5, v6, v8
	v_div_scale_f32 v6, s[16:17], v5, v5, 1.0
	v_div_scale_f32 v7, vcc, 1.0, v5, 1.0
	v_rcp_f32_e32 v12, v6
	v_fma_f32 v13, -v6, v12, 1.0
	v_fmac_f32_e32 v12, v13, v12
	v_mul_f32_e32 v13, v7, v12
	v_fma_f32 v14, -v6, v13, v7
	v_fmac_f32_e32 v13, v14, v12
	v_fma_f32 v6, -v6, v13, v7
	v_div_fmas_f32 v6, v6, v12, v13
	v_div_fixup_f32 v7, v6, v5, 1.0
	v_mul_f32_e64 v8, v8, -v7
.LBB53_57:
	s_or_b64 exec, exec, s[14:15]
	v_lshlrev_b32_e32 v5, 3, v11
	ds_write_b64 v5, v[7:8]
.LBB53_58:
	s_or_b64 exec, exec, s[12:13]
                                        ; implicit-def: $vgpr5_vgpr6
                                        ; implicit-def: $vgpr11
.LBB53_59:
	s_andn2_saveexec_b64 s[10:11], s[10:11]
	s_cbranch_execz .LBB53_61
; %bb.60:
	v_lshlrev_b64 v[5:6], 3, v[5:6]
	v_mov_b32_e32 v7, s92
	v_add_co_u32_e32 v5, vcc, s31, v5
	v_addc_co_u32_e32 v6, vcc, v7, v6, vcc
	global_load_dwordx2 v[5:6], v[5:6], off
	v_lshlrev_b32_e32 v7, 3, v11
	s_waitcnt vmcnt(0)
	v_xor_b32_e32 v5, 0x80000000, v5
	v_xor_b32_e32 v6, 0x80000000, v6
	ds_write_b64 v7, v[5:6]
.LBB53_61:
	s_or_b64 exec, exec, s[10:11]
	v_add_u32_e32 v7, 48, v2
	v_mad_u64_u32 v[5:6], s[10:11], s40, v7, v[3:4]
	v_lshl_add_u32 v8, v7, 6, v0
	v_cmp_le_u32_e32 vcc, v7, v0
	v_mad_u64_u32 v[12:13], s[10:11], s41, v7, v[6:7]
	v_add_u32_e32 v6, v7, v9
	v_cndmask_b32_e64 v11, v8, v6, s[6:7]
	v_mov_b32_e32 v6, v12
	s_and_saveexec_b64 s[10:11], vcc
	s_xor_b64 s[10:11], exec, s[10:11]
	s_cbranch_execz .LBB53_73
; %bb.62:
	v_cmp_ne_u32_e32 vcc, v0, v7
	s_and_saveexec_b64 s[12:13], vcc
	s_xor_b64 s[12:13], exec, s[12:13]
	s_cbranch_execz .LBB53_66
; %bb.63:
	v_or_b32_e32 v5, v7, v0
	v_cmp_gt_u32_e32 vcc, 64, v5
	s_and_saveexec_b64 s[14:15], vcc
; %bb.64:
	v_mov_b32_e32 v5, 0
	v_lshlrev_b32_e32 v7, 3, v11
	v_mov_b32_e32 v6, v5
	ds_write_b64 v7, v[5:6]
; %bb.65:
	s_or_b64 exec, exec, s[14:15]
                                        ; implicit-def: $vgpr11
                                        ; implicit-def: $vgpr5_vgpr6
.LBB53_66:
	s_andn2_saveexec_b64 s[12:13], s[12:13]
	s_cbranch_execz .LBB53_72
; %bb.67:
	v_lshlrev_b64 v[5:6], 3, v[5:6]
	v_mov_b32_e32 v7, s92
	v_add_co_u32_e32 v5, vcc, s31, v5
	v_addc_co_u32_e32 v6, vcc, v7, v6, vcc
	global_load_dwordx2 v[5:6], v[5:6], off
                                        ; implicit-def: $vgpr7
	s_waitcnt vmcnt(0)
	v_cmp_ngt_f32_e64 s[14:15], |v5|, |v6|
	s_and_saveexec_b64 s[16:17], s[14:15]
	s_xor_b64 s[14:15], exec, s[16:17]
	s_cbranch_execz .LBB53_69
; %bb.68:
	v_div_scale_f32 v7, s[16:17], v6, v6, v5
	v_div_scale_f32 v8, vcc, v5, v6, v5
	v_rcp_f32_e32 v12, v7
	v_fma_f32 v13, -v7, v12, 1.0
	v_fmac_f32_e32 v12, v13, v12
	v_mul_f32_e32 v13, v8, v12
	v_fma_f32 v14, -v7, v13, v8
	v_fmac_f32_e32 v13, v14, v12
	v_fma_f32 v7, -v7, v13, v8
	v_div_fmas_f32 v7, v7, v12, v13
	v_div_fixup_f32 v7, v7, v6, v5
	v_fmac_f32_e32 v6, v5, v7
	v_div_scale_f32 v5, s[16:17], v6, v6, 1.0
	v_div_scale_f32 v8, vcc, 1.0, v6, 1.0
	v_rcp_f32_e32 v12, v5
	v_fma_f32 v13, -v5, v12, 1.0
	v_fmac_f32_e32 v12, v13, v12
	v_mul_f32_e32 v13, v8, v12
	v_fma_f32 v14, -v5, v13, v8
	v_fmac_f32_e32 v13, v14, v12
	v_fma_f32 v5, -v5, v13, v8
	v_div_fmas_f32 v5, v5, v12, v13
	v_div_fixup_f32 v5, v5, v6, 1.0
	v_mul_f32_e32 v7, v7, v5
	v_xor_b32_e32 v8, 0x80000000, v5
                                        ; implicit-def: $vgpr5_vgpr6
.LBB53_69:
	s_andn2_saveexec_b64 s[14:15], s[14:15]
	s_cbranch_execz .LBB53_71
; %bb.70:
	v_div_scale_f32 v7, s[16:17], v5, v5, v6
	v_div_scale_f32 v8, vcc, v6, v5, v6
	v_rcp_f32_e32 v12, v7
	v_fma_f32 v13, -v7, v12, 1.0
	v_fmac_f32_e32 v12, v13, v12
	v_mul_f32_e32 v13, v8, v12
	v_fma_f32 v14, -v7, v13, v8
	v_fmac_f32_e32 v13, v14, v12
	v_fma_f32 v7, -v7, v13, v8
	v_div_fmas_f32 v7, v7, v12, v13
	v_div_fixup_f32 v8, v7, v5, v6
	v_fmac_f32_e32 v5, v6, v8
	v_div_scale_f32 v6, s[16:17], v5, v5, 1.0
	v_div_scale_f32 v7, vcc, 1.0, v5, 1.0
	v_rcp_f32_e32 v12, v6
	v_fma_f32 v13, -v6, v12, 1.0
	v_fmac_f32_e32 v12, v13, v12
	v_mul_f32_e32 v13, v7, v12
	v_fma_f32 v14, -v6, v13, v7
	v_fmac_f32_e32 v13, v14, v12
	v_fma_f32 v6, -v6, v13, v7
	v_div_fmas_f32 v6, v6, v12, v13
	v_div_fixup_f32 v7, v6, v5, 1.0
	v_mul_f32_e64 v8, v8, -v7
.LBB53_71:
	s_or_b64 exec, exec, s[14:15]
	v_lshlrev_b32_e32 v5, 3, v11
	ds_write_b64 v5, v[7:8]
.LBB53_72:
	s_or_b64 exec, exec, s[12:13]
                                        ; implicit-def: $vgpr5_vgpr6
                                        ; implicit-def: $vgpr11
.LBB53_73:
	s_andn2_saveexec_b64 s[10:11], s[10:11]
	s_cbranch_execz .LBB53_75
; %bb.74:
	v_lshlrev_b64 v[5:6], 3, v[5:6]
	v_mov_b32_e32 v7, s92
	v_add_co_u32_e32 v5, vcc, s31, v5
	v_addc_co_u32_e32 v6, vcc, v7, v6, vcc
	global_load_dwordx2 v[5:6], v[5:6], off
	v_lshlrev_b32_e32 v7, 3, v11
	s_waitcnt vmcnt(0)
	v_xor_b32_e32 v5, 0x80000000, v5
	v_xor_b32_e32 v6, 0x80000000, v6
	ds_write_b64 v7, v[5:6]
.LBB53_75:
	s_or_b64 exec, exec, s[10:11]
	s_mov_b64 s[16:17], 0
.LBB53_76:
	s_xor_b64 s[14:15], s[6:7], -1
	s_and_b64 vcc, exec, s[16:17]
	s_cbranch_vccz .LBB53_134
; %bb.77:
	v_mad_u64_u32 v[5:6], s[10:11], s40, v2, v[3:4]
	v_cmp_le_u32_e32 vcc, v2, v0
	v_cmp_gt_i32_e64 s[10:11], s30, v0
	v_mad_u64_u32 v[6:7], s[12:13], s41, v2, v[6:7]
	v_max_i32_e32 v7, v2, v0
	v_cmp_le_i32_e64 s[12:13], s30, v7
	s_or_b64 s[12:13], s[12:13], vcc
	s_and_saveexec_b64 s[16:17], s[12:13]
	s_xor_b64 s[12:13], exec, s[16:17]
	s_cbranch_execz .LBB53_89
; %bb.78:
	v_cmp_ne_u32_e32 vcc, v0, v2
	s_xor_b64 s[16:17], s[10:11], -1
	s_or_b64 s[16:17], s[16:17], vcc
	s_and_saveexec_b64 s[18:19], s[16:17]
	s_xor_b64 s[16:17], exec, s[18:19]
	s_cbranch_execz .LBB53_82
; %bb.79:
	v_or_b32_e32 v5, v2, v0
	v_cmp_gt_u32_e32 vcc, 64, v5
	s_and_saveexec_b64 s[18:19], vcc
; %bb.80:
	v_mov_b32_e32 v5, 0
	v_lshlrev_b32_e32 v7, 3, v10
	v_mov_b32_e32 v6, v5
	ds_write_b64 v7, v[5:6]
; %bb.81:
	s_or_b64 exec, exec, s[18:19]
                                        ; implicit-def: $vgpr10
                                        ; implicit-def: $vgpr5_vgpr6
.LBB53_82:
	s_andn2_saveexec_b64 s[16:17], s[16:17]
	s_cbranch_execz .LBB53_88
; %bb.83:
	v_lshlrev_b64 v[5:6], 3, v[5:6]
	v_mov_b32_e32 v7, s92
	v_add_co_u32_e32 v5, vcc, s31, v5
	v_addc_co_u32_e32 v6, vcc, v7, v6, vcc
	global_load_dwordx2 v[5:6], v[5:6], off
                                        ; implicit-def: $vgpr7
	s_waitcnt vmcnt(0)
	v_cmp_ngt_f32_e64 s[18:19], |v5|, |v6|
	s_and_saveexec_b64 s[20:21], s[18:19]
	s_xor_b64 s[18:19], exec, s[20:21]
	s_cbranch_execz .LBB53_85
; %bb.84:
	v_div_scale_f32 v7, s[20:21], v6, v6, v5
	v_div_scale_f32 v8, vcc, v5, v6, v5
	v_rcp_f32_e32 v11, v7
	v_fma_f32 v12, -v7, v11, 1.0
	v_fmac_f32_e32 v11, v12, v11
	v_mul_f32_e32 v12, v8, v11
	v_fma_f32 v13, -v7, v12, v8
	v_fmac_f32_e32 v12, v13, v11
	v_fma_f32 v7, -v7, v12, v8
	v_div_fmas_f32 v7, v7, v11, v12
	v_div_fixup_f32 v7, v7, v6, v5
	v_fmac_f32_e32 v6, v5, v7
	v_div_scale_f32 v5, s[20:21], v6, v6, 1.0
	v_div_scale_f32 v8, vcc, 1.0, v6, 1.0
	v_rcp_f32_e32 v11, v5
	v_fma_f32 v12, -v5, v11, 1.0
	v_fmac_f32_e32 v11, v12, v11
	v_mul_f32_e32 v12, v8, v11
	v_fma_f32 v13, -v5, v12, v8
	v_fmac_f32_e32 v12, v13, v11
	v_fma_f32 v5, -v5, v12, v8
	v_div_fmas_f32 v5, v5, v11, v12
	v_div_fixup_f32 v5, v5, v6, 1.0
	v_mul_f32_e32 v7, v7, v5
	v_xor_b32_e32 v8, 0x80000000, v5
                                        ; implicit-def: $vgpr5_vgpr6
.LBB53_85:
	s_andn2_saveexec_b64 s[18:19], s[18:19]
	s_cbranch_execz .LBB53_87
; %bb.86:
	v_div_scale_f32 v7, s[20:21], v5, v5, v6
	v_div_scale_f32 v8, vcc, v6, v5, v6
	v_rcp_f32_e32 v11, v7
	v_fma_f32 v12, -v7, v11, 1.0
	v_fmac_f32_e32 v11, v12, v11
	v_mul_f32_e32 v12, v8, v11
	v_fma_f32 v13, -v7, v12, v8
	v_fmac_f32_e32 v12, v13, v11
	v_fma_f32 v7, -v7, v12, v8
	v_div_fmas_f32 v7, v7, v11, v12
	v_div_fixup_f32 v8, v7, v5, v6
	v_fmac_f32_e32 v5, v6, v8
	v_div_scale_f32 v6, s[20:21], v5, v5, 1.0
	v_div_scale_f32 v7, vcc, 1.0, v5, 1.0
	v_rcp_f32_e32 v11, v6
	v_fma_f32 v12, -v6, v11, 1.0
	v_fmac_f32_e32 v11, v12, v11
	v_mul_f32_e32 v12, v7, v11
	v_fma_f32 v13, -v6, v12, v7
	v_fmac_f32_e32 v12, v13, v11
	v_fma_f32 v6, -v6, v12, v7
	v_div_fmas_f32 v6, v6, v11, v12
	v_div_fixup_f32 v7, v6, v5, 1.0
	v_mul_f32_e64 v8, v8, -v7
.LBB53_87:
	s_or_b64 exec, exec, s[18:19]
	v_lshlrev_b32_e32 v5, 3, v10
	ds_write_b64 v5, v[7:8]
.LBB53_88:
	s_or_b64 exec, exec, s[16:17]
                                        ; implicit-def: $vgpr5_vgpr6
                                        ; implicit-def: $vgpr10
.LBB53_89:
	s_andn2_saveexec_b64 s[12:13], s[12:13]
	s_cbranch_execz .LBB53_91
; %bb.90:
	v_lshlrev_b64 v[5:6], 3, v[5:6]
	v_mov_b32_e32 v7, s92
	v_add_co_u32_e32 v5, vcc, s31, v5
	v_addc_co_u32_e32 v6, vcc, v7, v6, vcc
	global_load_dwordx2 v[5:6], v[5:6], off
	v_lshlrev_b32_e32 v7, 3, v10
	s_waitcnt vmcnt(0)
	v_xor_b32_e32 v5, 0x80000000, v5
	v_xor_b32_e32 v6, 0x80000000, v6
	ds_write_b64 v7, v[5:6]
.LBB53_91:
	s_or_b64 exec, exec, s[12:13]
	v_add_u32_e32 v7, 16, v2
	v_mad_u64_u32 v[5:6], s[12:13], s40, v7, v[3:4]
	v_cmp_gt_u32_e32 vcc, v7, v0
	v_add_u32_e32 v8, v7, v9
	v_mad_u64_u32 v[11:12], s[12:13], s41, v7, v[6:7]
	v_cmp_gt_i32_e64 s[12:13], s30, v7
	s_and_b64 s[12:13], vcc, s[12:13]
	v_lshl_add_u32 v6, v7, 6, v0
	s_and_b64 s[12:13], s[10:11], s[12:13]
	v_cndmask_b32_e64 v10, v6, v8, s[6:7]
	v_mov_b32_e32 v6, v11
	s_xor_b64 s[12:13], s[12:13], -1
	s_and_saveexec_b64 s[16:17], s[12:13]
	s_xor_b64 s[12:13], exec, s[16:17]
	s_cbranch_execz .LBB53_103
; %bb.92:
	v_cmp_ne_u32_e32 vcc, v0, v7
	s_xor_b64 s[16:17], s[10:11], -1
	s_or_b64 s[16:17], s[16:17], vcc
	s_and_saveexec_b64 s[18:19], s[16:17]
	s_xor_b64 s[16:17], exec, s[18:19]
	s_cbranch_execz .LBB53_96
; %bb.93:
	v_or_b32_e32 v5, v7, v0
	v_cmp_gt_u32_e32 vcc, 64, v5
	s_and_saveexec_b64 s[18:19], vcc
; %bb.94:
	v_mov_b32_e32 v5, 0
	v_lshlrev_b32_e32 v7, 3, v10
	v_mov_b32_e32 v6, v5
	ds_write_b64 v7, v[5:6]
; %bb.95:
	s_or_b64 exec, exec, s[18:19]
                                        ; implicit-def: $vgpr10
                                        ; implicit-def: $vgpr5_vgpr6
.LBB53_96:
	s_andn2_saveexec_b64 s[16:17], s[16:17]
	s_cbranch_execz .LBB53_102
; %bb.97:
	v_lshlrev_b64 v[5:6], 3, v[5:6]
	v_mov_b32_e32 v7, s92
	v_add_co_u32_e32 v5, vcc, s31, v5
	v_addc_co_u32_e32 v6, vcc, v7, v6, vcc
	global_load_dwordx2 v[5:6], v[5:6], off
                                        ; implicit-def: $vgpr7
	s_waitcnt vmcnt(0)
	v_cmp_ngt_f32_e64 s[18:19], |v5|, |v6|
	s_and_saveexec_b64 s[20:21], s[18:19]
	s_xor_b64 s[18:19], exec, s[20:21]
	s_cbranch_execz .LBB53_99
; %bb.98:
	v_div_scale_f32 v7, s[20:21], v6, v6, v5
	v_div_scale_f32 v8, vcc, v5, v6, v5
	v_rcp_f32_e32 v11, v7
	v_fma_f32 v12, -v7, v11, 1.0
	v_fmac_f32_e32 v11, v12, v11
	v_mul_f32_e32 v12, v8, v11
	v_fma_f32 v13, -v7, v12, v8
	v_fmac_f32_e32 v12, v13, v11
	v_fma_f32 v7, -v7, v12, v8
	v_div_fmas_f32 v7, v7, v11, v12
	v_div_fixup_f32 v7, v7, v6, v5
	v_fmac_f32_e32 v6, v5, v7
	v_div_scale_f32 v5, s[20:21], v6, v6, 1.0
	v_div_scale_f32 v8, vcc, 1.0, v6, 1.0
	v_rcp_f32_e32 v11, v5
	v_fma_f32 v12, -v5, v11, 1.0
	v_fmac_f32_e32 v11, v12, v11
	v_mul_f32_e32 v12, v8, v11
	v_fma_f32 v13, -v5, v12, v8
	v_fmac_f32_e32 v12, v13, v11
	v_fma_f32 v5, -v5, v12, v8
	v_div_fmas_f32 v5, v5, v11, v12
	v_div_fixup_f32 v5, v5, v6, 1.0
	v_mul_f32_e32 v7, v7, v5
	v_xor_b32_e32 v8, 0x80000000, v5
                                        ; implicit-def: $vgpr5_vgpr6
.LBB53_99:
	s_andn2_saveexec_b64 s[18:19], s[18:19]
	s_cbranch_execz .LBB53_101
; %bb.100:
	v_div_scale_f32 v7, s[20:21], v5, v5, v6
	v_div_scale_f32 v8, vcc, v6, v5, v6
	v_rcp_f32_e32 v11, v7
	v_fma_f32 v12, -v7, v11, 1.0
	v_fmac_f32_e32 v11, v12, v11
	v_mul_f32_e32 v12, v8, v11
	v_fma_f32 v13, -v7, v12, v8
	v_fmac_f32_e32 v12, v13, v11
	v_fma_f32 v7, -v7, v12, v8
	v_div_fmas_f32 v7, v7, v11, v12
	v_div_fixup_f32 v8, v7, v5, v6
	v_fmac_f32_e32 v5, v6, v8
	v_div_scale_f32 v6, s[20:21], v5, v5, 1.0
	v_div_scale_f32 v7, vcc, 1.0, v5, 1.0
	v_rcp_f32_e32 v11, v6
	v_fma_f32 v12, -v6, v11, 1.0
	v_fmac_f32_e32 v11, v12, v11
	v_mul_f32_e32 v12, v7, v11
	v_fma_f32 v13, -v6, v12, v7
	v_fmac_f32_e32 v12, v13, v11
	v_fma_f32 v6, -v6, v12, v7
	v_div_fmas_f32 v6, v6, v11, v12
	v_div_fixup_f32 v7, v6, v5, 1.0
	v_mul_f32_e64 v8, v8, -v7
.LBB53_101:
	s_or_b64 exec, exec, s[18:19]
	v_lshlrev_b32_e32 v5, 3, v10
	ds_write_b64 v5, v[7:8]
.LBB53_102:
	s_or_b64 exec, exec, s[16:17]
                                        ; implicit-def: $vgpr5_vgpr6
                                        ; implicit-def: $vgpr10
.LBB53_103:
	s_andn2_saveexec_b64 s[12:13], s[12:13]
	s_cbranch_execz .LBB53_105
; %bb.104:
	v_lshlrev_b64 v[5:6], 3, v[5:6]
	v_mov_b32_e32 v7, s92
	v_add_co_u32_e32 v5, vcc, s31, v5
	v_addc_co_u32_e32 v6, vcc, v7, v6, vcc
	global_load_dwordx2 v[5:6], v[5:6], off
	v_lshlrev_b32_e32 v7, 3, v10
	s_waitcnt vmcnt(0)
	v_xor_b32_e32 v5, 0x80000000, v5
	v_xor_b32_e32 v6, 0x80000000, v6
	ds_write_b64 v7, v[5:6]
.LBB53_105:
	s_or_b64 exec, exec, s[12:13]
	v_add_u32_e32 v7, 32, v2
	v_mad_u64_u32 v[5:6], s[12:13], s40, v7, v[3:4]
	v_cmp_gt_u32_e32 vcc, v7, v0
	v_add_u32_e32 v8, v7, v9
	v_mad_u64_u32 v[11:12], s[12:13], s41, v7, v[6:7]
	v_cmp_gt_i32_e64 s[12:13], s30, v7
	s_and_b64 s[12:13], vcc, s[12:13]
	v_lshl_add_u32 v6, v7, 6, v0
	s_and_b64 s[12:13], s[10:11], s[12:13]
	v_cndmask_b32_e64 v10, v6, v8, s[6:7]
	v_mov_b32_e32 v6, v11
	s_xor_b64 s[12:13], s[12:13], -1
	s_and_saveexec_b64 s[16:17], s[12:13]
	s_xor_b64 s[12:13], exec, s[16:17]
	s_cbranch_execz .LBB53_117
; %bb.106:
	v_cmp_ne_u32_e32 vcc, v0, v7
	s_xor_b64 s[16:17], s[10:11], -1
	s_or_b64 s[16:17], s[16:17], vcc
	s_and_saveexec_b64 s[18:19], s[16:17]
	s_xor_b64 s[16:17], exec, s[18:19]
	s_cbranch_execz .LBB53_110
; %bb.107:
	v_or_b32_e32 v5, v7, v0
	v_cmp_gt_u32_e32 vcc, 64, v5
	s_and_saveexec_b64 s[18:19], vcc
; %bb.108:
	v_mov_b32_e32 v5, 0
	v_lshlrev_b32_e32 v7, 3, v10
	v_mov_b32_e32 v6, v5
	ds_write_b64 v7, v[5:6]
; %bb.109:
	s_or_b64 exec, exec, s[18:19]
                                        ; implicit-def: $vgpr10
                                        ; implicit-def: $vgpr5_vgpr6
.LBB53_110:
	s_andn2_saveexec_b64 s[16:17], s[16:17]
	s_cbranch_execz .LBB53_116
; %bb.111:
	v_lshlrev_b64 v[5:6], 3, v[5:6]
	v_mov_b32_e32 v7, s92
	v_add_co_u32_e32 v5, vcc, s31, v5
	v_addc_co_u32_e32 v6, vcc, v7, v6, vcc
	global_load_dwordx2 v[5:6], v[5:6], off
                                        ; implicit-def: $vgpr7
	s_waitcnt vmcnt(0)
	v_cmp_ngt_f32_e64 s[18:19], |v5|, |v6|
	s_and_saveexec_b64 s[20:21], s[18:19]
	s_xor_b64 s[18:19], exec, s[20:21]
	s_cbranch_execz .LBB53_113
; %bb.112:
	v_div_scale_f32 v7, s[20:21], v6, v6, v5
	v_div_scale_f32 v8, vcc, v5, v6, v5
	v_rcp_f32_e32 v11, v7
	v_fma_f32 v12, -v7, v11, 1.0
	v_fmac_f32_e32 v11, v12, v11
	v_mul_f32_e32 v12, v8, v11
	v_fma_f32 v13, -v7, v12, v8
	v_fmac_f32_e32 v12, v13, v11
	v_fma_f32 v7, -v7, v12, v8
	v_div_fmas_f32 v7, v7, v11, v12
	v_div_fixup_f32 v7, v7, v6, v5
	v_fmac_f32_e32 v6, v5, v7
	v_div_scale_f32 v5, s[20:21], v6, v6, 1.0
	v_div_scale_f32 v8, vcc, 1.0, v6, 1.0
	v_rcp_f32_e32 v11, v5
	v_fma_f32 v12, -v5, v11, 1.0
	v_fmac_f32_e32 v11, v12, v11
	v_mul_f32_e32 v12, v8, v11
	v_fma_f32 v13, -v5, v12, v8
	v_fmac_f32_e32 v12, v13, v11
	v_fma_f32 v5, -v5, v12, v8
	v_div_fmas_f32 v5, v5, v11, v12
	v_div_fixup_f32 v5, v5, v6, 1.0
	v_mul_f32_e32 v7, v7, v5
	v_xor_b32_e32 v8, 0x80000000, v5
                                        ; implicit-def: $vgpr5_vgpr6
.LBB53_113:
	s_andn2_saveexec_b64 s[18:19], s[18:19]
	s_cbranch_execz .LBB53_115
; %bb.114:
	v_div_scale_f32 v7, s[20:21], v5, v5, v6
	v_div_scale_f32 v8, vcc, v6, v5, v6
	v_rcp_f32_e32 v11, v7
	v_fma_f32 v12, -v7, v11, 1.0
	v_fmac_f32_e32 v11, v12, v11
	v_mul_f32_e32 v12, v8, v11
	v_fma_f32 v13, -v7, v12, v8
	v_fmac_f32_e32 v12, v13, v11
	v_fma_f32 v7, -v7, v12, v8
	v_div_fmas_f32 v7, v7, v11, v12
	v_div_fixup_f32 v8, v7, v5, v6
	v_fmac_f32_e32 v5, v6, v8
	v_div_scale_f32 v6, s[20:21], v5, v5, 1.0
	v_div_scale_f32 v7, vcc, 1.0, v5, 1.0
	v_rcp_f32_e32 v11, v6
	v_fma_f32 v12, -v6, v11, 1.0
	v_fmac_f32_e32 v11, v12, v11
	v_mul_f32_e32 v12, v7, v11
	v_fma_f32 v13, -v6, v12, v7
	v_fmac_f32_e32 v12, v13, v11
	v_fma_f32 v6, -v6, v12, v7
	v_div_fmas_f32 v6, v6, v11, v12
	v_div_fixup_f32 v7, v6, v5, 1.0
	v_mul_f32_e64 v8, v8, -v7
.LBB53_115:
	s_or_b64 exec, exec, s[18:19]
	v_lshlrev_b32_e32 v5, 3, v10
	ds_write_b64 v5, v[7:8]
.LBB53_116:
	s_or_b64 exec, exec, s[16:17]
                                        ; implicit-def: $vgpr5_vgpr6
                                        ; implicit-def: $vgpr10
.LBB53_117:
	s_andn2_saveexec_b64 s[12:13], s[12:13]
	s_cbranch_execz .LBB53_119
; %bb.118:
	v_lshlrev_b64 v[5:6], 3, v[5:6]
	v_mov_b32_e32 v7, s92
	v_add_co_u32_e32 v5, vcc, s31, v5
	v_addc_co_u32_e32 v6, vcc, v7, v6, vcc
	global_load_dwordx2 v[5:6], v[5:6], off
	v_lshlrev_b32_e32 v7, 3, v10
	s_waitcnt vmcnt(0)
	v_xor_b32_e32 v5, 0x80000000, v5
	v_xor_b32_e32 v6, 0x80000000, v6
	ds_write_b64 v7, v[5:6]
.LBB53_119:
	s_or_b64 exec, exec, s[12:13]
	v_add_u32_e32 v5, 48, v2
	v_mad_u64_u32 v[3:4], s[12:13], s40, v5, v[3:4]
	v_add_u32_e32 v8, v5, v9
	v_cmp_gt_u32_e32 vcc, v5, v0
	v_mad_u64_u32 v[6:7], s[12:13], s41, v5, v[4:5]
	v_lshl_add_u32 v4, v5, 6, v0
	v_cndmask_b32_e64 v7, v4, v8, s[6:7]
	v_cmp_gt_i32_e64 s[6:7], s30, v5
	s_and_b64 s[6:7], vcc, s[6:7]
	s_and_b64 s[6:7], s[10:11], s[6:7]
	v_mov_b32_e32 v4, v6
	s_xor_b64 s[6:7], s[6:7], -1
	s_and_saveexec_b64 s[12:13], s[6:7]
	s_xor_b64 s[6:7], exec, s[12:13]
	s_cbranch_execz .LBB53_131
; %bb.120:
	v_cmp_ne_u32_e32 vcc, v0, v5
	s_xor_b64 s[10:11], s[10:11], -1
	s_or_b64 s[10:11], s[10:11], vcc
	s_and_saveexec_b64 s[12:13], s[10:11]
	s_xor_b64 s[10:11], exec, s[12:13]
	s_cbranch_execz .LBB53_124
; %bb.121:
	v_or_b32_e32 v3, v5, v0
	v_cmp_gt_u32_e32 vcc, 64, v3
	s_and_saveexec_b64 s[12:13], vcc
; %bb.122:
	v_mov_b32_e32 v3, 0
	v_lshlrev_b32_e32 v5, 3, v7
	v_mov_b32_e32 v4, v3
	ds_write_b64 v5, v[3:4]
; %bb.123:
	s_or_b64 exec, exec, s[12:13]
                                        ; implicit-def: $vgpr7
                                        ; implicit-def: $vgpr3_vgpr4
.LBB53_124:
	s_andn2_saveexec_b64 s[10:11], s[10:11]
	s_cbranch_execz .LBB53_130
; %bb.125:
	v_lshlrev_b64 v[3:4], 3, v[3:4]
	v_mov_b32_e32 v5, s92
	v_add_co_u32_e32 v3, vcc, s31, v3
	v_addc_co_u32_e32 v4, vcc, v5, v4, vcc
	global_load_dwordx2 v[3:4], v[3:4], off
                                        ; implicit-def: $vgpr5
	s_waitcnt vmcnt(0)
	v_cmp_ngt_f32_e64 s[12:13], |v3|, |v4|
	s_and_saveexec_b64 s[16:17], s[12:13]
	s_xor_b64 s[12:13], exec, s[16:17]
	s_cbranch_execz .LBB53_127
; %bb.126:
	v_div_scale_f32 v5, s[16:17], v4, v4, v3
	v_div_scale_f32 v6, vcc, v3, v4, v3
	v_rcp_f32_e32 v8, v5
	v_fma_f32 v9, -v5, v8, 1.0
	v_fmac_f32_e32 v8, v9, v8
	v_mul_f32_e32 v9, v6, v8
	v_fma_f32 v10, -v5, v9, v6
	v_fmac_f32_e32 v9, v10, v8
	v_fma_f32 v5, -v5, v9, v6
	v_div_fmas_f32 v5, v5, v8, v9
	v_div_fixup_f32 v5, v5, v4, v3
	v_fmac_f32_e32 v4, v3, v5
	v_div_scale_f32 v3, s[16:17], v4, v4, 1.0
	v_div_scale_f32 v6, vcc, 1.0, v4, 1.0
	v_rcp_f32_e32 v8, v3
	v_fma_f32 v9, -v3, v8, 1.0
	v_fmac_f32_e32 v8, v9, v8
	v_mul_f32_e32 v9, v6, v8
	v_fma_f32 v10, -v3, v9, v6
	v_fmac_f32_e32 v9, v10, v8
	v_fma_f32 v3, -v3, v9, v6
	v_div_fmas_f32 v3, v3, v8, v9
	v_div_fixup_f32 v3, v3, v4, 1.0
	v_mul_f32_e32 v5, v5, v3
	v_xor_b32_e32 v6, 0x80000000, v3
                                        ; implicit-def: $vgpr3_vgpr4
.LBB53_127:
	s_andn2_saveexec_b64 s[12:13], s[12:13]
	s_cbranch_execz .LBB53_129
; %bb.128:
	v_div_scale_f32 v5, s[16:17], v3, v3, v4
	v_div_scale_f32 v6, vcc, v4, v3, v4
	v_rcp_f32_e32 v8, v5
	v_fma_f32 v9, -v5, v8, 1.0
	v_fmac_f32_e32 v8, v9, v8
	v_mul_f32_e32 v9, v6, v8
	v_fma_f32 v10, -v5, v9, v6
	v_fmac_f32_e32 v9, v10, v8
	v_fma_f32 v5, -v5, v9, v6
	v_div_fmas_f32 v5, v5, v8, v9
	v_div_fixup_f32 v6, v5, v3, v4
	v_fmac_f32_e32 v3, v4, v6
	v_div_scale_f32 v4, s[16:17], v3, v3, 1.0
	v_div_scale_f32 v5, vcc, 1.0, v3, 1.0
	v_rcp_f32_e32 v8, v4
	v_fma_f32 v9, -v4, v8, 1.0
	v_fmac_f32_e32 v8, v9, v8
	v_mul_f32_e32 v9, v5, v8
	v_fma_f32 v10, -v4, v9, v5
	v_fmac_f32_e32 v9, v10, v8
	v_fma_f32 v4, -v4, v9, v5
	v_div_fmas_f32 v4, v4, v8, v9
	v_div_fixup_f32 v5, v4, v3, 1.0
	v_mul_f32_e64 v6, v6, -v5
.LBB53_129:
	s_or_b64 exec, exec, s[12:13]
	v_lshlrev_b32_e32 v3, 3, v7
	ds_write_b64 v3, v[5:6]
.LBB53_130:
	s_or_b64 exec, exec, s[10:11]
                                        ; implicit-def: $vgpr3_vgpr4
                                        ; implicit-def: $vgpr7
.LBB53_131:
	s_andn2_saveexec_b64 s[6:7], s[6:7]
	s_cbranch_execz .LBB53_133
; %bb.132:
	v_lshlrev_b64 v[3:4], 3, v[3:4]
	v_mov_b32_e32 v5, s92
	v_add_co_u32_e32 v3, vcc, s31, v3
	v_addc_co_u32_e32 v4, vcc, v5, v4, vcc
	global_load_dwordx2 v[3:4], v[3:4], off
	v_lshlrev_b32_e32 v5, 3, v7
	s_waitcnt vmcnt(0)
	v_xor_b32_e32 v3, 0x80000000, v3
	v_xor_b32_e32 v4, 0x80000000, v4
	ds_write_b64 v5, v[3:4]
.LBB53_133:
	s_or_b64 exec, exec, s[6:7]
.LBB53_134:
	v_cndmask_b32_e64 v3, 0, 1, s[14:15]
	v_cmp_ne_u32_e64 s[64:65], 1, v3
	s_andn2_b64 vcc, exec, s[14:15]
	s_waitcnt vmcnt(0) lgkmcnt(0)
	s_barrier
	s_cbranch_vccnz .LBB53_1056
; %bb.135:
	v_or_b32_e32 v3, v0, v2
	v_cmp_eq_u32_e32 vcc, 0, v3
	s_and_saveexec_b64 s[6:7], vcc
	s_cbranch_execz .LBB53_137
; %bb.136:
	s_movk_i32 s10, 0x1f0
	v_mov_b32_e32 v3, 0
	v_add_u32_e64 v4, s10, 0
	ds_read_b64 v[7:8], v3 offset:32760
	ds_read2st64_b64 v[3:6], v4 offset0:62 offset1:63
	s_movk_i32 s10, 0x7800
	s_waitcnt lgkmcnt(0)
	v_mul_f32_e32 v10, v7, v4
	v_mul_f32_e32 v9, v8, v4
	v_fmac_f32_e32 v10, v8, v3
	v_fma_f32 v4, v7, v3, -v9
	v_mul_f32_e32 v3, v10, v6
	v_fma_f32 v3, v4, v5, -v3
	v_mul_f32_e32 v4, v4, v6
	v_fmac_f32_e32 v4, v10, v5
	v_add_u32_e64 v5, s10, 0
	ds_write2_b64 v5, v[3:4], v[3:4] offset0:191 offset1:254
.LBB53_137:
	s_or_b64 exec, exec, s[6:7]
	v_lshlrev_b32_e32 v3, 6, v2
	v_add_u32_e32 v8, v3, v0
	v_and_b32_e32 v4, v3, v0
	v_xor_b32_e32 v3, v3, v0
	v_lshrrev_b16_e32 v3, 1, v3
	v_add_u16_e32 v7, v4, v3
	v_and_b32_e32 v5, 1, v0
	v_sub_u32_e32 v6, 1, v7
	v_cmp_lt_u32_e64 s[10:11], 3, v8
	v_cmp_gt_u32_e64 s[22:23], 4, v8
	v_mov_b32_e32 v3, 0
	v_mov_b32_e32 v4, 0
	s_waitcnt lgkmcnt(0)
	s_barrier
	buffer_wbinvl1_vol
	s_and_saveexec_b64 s[6:7], s[22:23]
	s_cbranch_execz .LBB53_141
; %bb.138:
	v_lshlrev_b32_e32 v3, 3, v5
	v_lshlrev_b32_e32 v9, 9, v6
	ds_read_b64 v[3:4], v3 offset:32224
	ds_read_b64 v[9:10], v9 offset:32240
	v_cmp_gt_u32_e64 s[12:13], 2, v8
	s_waitcnt lgkmcnt(0)
	v_mul_f32_e32 v11, v10, v4
	v_mul_f32_e32 v4, v9, v4
	v_fma_f32 v9, v9, v3, -v11
	v_fmac_f32_e32 v4, v10, v3
	v_add_f32_e32 v3, 0, v9
	v_add_f32_e32 v4, 0, v4
	s_and_saveexec_b64 s[14:15], s[12:13]
	s_cbranch_execz .LBB53_140
; %bb.139:
	v_lshlrev_b32_e32 v9, 3, v0
	v_mov_b32_e32 v11, 0
	ds_read_b64 v[9:10], v9 offset:32736
	ds_read_b64 v[11:12], v11 offset:32760
	s_waitcnt lgkmcnt(0)
	v_mul_f32_e32 v13, v12, v10
	v_mul_f32_e32 v10, v11, v10
	v_fma_f32 v11, v11, v9, -v13
	v_fmac_f32_e32 v10, v12, v9
	v_add_f32_e32 v3, v3, v11
	v_add_f32_e32 v4, v4, v10
.LBB53_140:
	s_or_b64 exec, exec, s[14:15]
.LBB53_141:
	s_or_b64 exec, exec, s[6:7]
	v_mov_b32_e32 v9, 0x8000
	v_cmp_ne_u32_e64 s[12:13], 0, v5
	s_xor_b64 s[6:7], s[10:11], -1
	v_lshl_add_u32 v7, v7, 3, v9
	s_and_b64 s[36:37], s[12:13], s[6:7]
	s_and_saveexec_b64 s[10:11], s[36:37]
	s_cbranch_execz .LBB53_143
; %bb.142:
	v_mov_b32_e32 v9, 0
	ds_read_b64 v[9:10], v9 offset:31720
	s_waitcnt lgkmcnt(0)
	v_mul_f32_e32 v11, v4, v10
	v_mul_f32_e32 v12, v3, v10
	v_fma_f32 v3, v3, v9, -v11
	v_fmac_f32_e32 v12, v4, v9
	v_xor_b32_e32 v9, 0x80000000, v3
	v_xor_b32_e32 v10, 0x80000000, v12
	v_mov_b32_e32 v4, v12
	ds_write_b64 v7, v[9:10]
.LBB53_143:
	s_or_b64 exec, exec, s[10:11]
	v_cmp_eq_u32_e64 s[10:11], 0, v5
	s_and_b64 s[34:35], s[10:11], s[6:7]
	s_waitcnt lgkmcnt(0)
	s_barrier
	s_and_saveexec_b64 s[6:7], s[34:35]
	s_cbranch_execz .LBB53_145
; %bb.144:
	v_mov_b32_e32 v9, 0
	ds_read_b64 v[9:10], v9 offset:31712
	ds_read_b64 v[11:12], v7
	s_waitcnt lgkmcnt(0)
	v_mul_f32_e32 v13, v12, v10
	v_mul_f32_e32 v10, v11, v10
	v_fma_f32 v11, v11, v9, -v13
	v_fmac_f32_e32 v10, v12, v9
	v_sub_f32_e32 v3, v3, v11
	v_sub_f32_e32 v4, v4, v10
.LBB53_145:
	s_or_b64 exec, exec, s[6:7]
	s_barrier
	s_and_saveexec_b64 s[6:7], s[34:35]
	s_cbranch_execz .LBB53_147
; %bb.146:
	v_mov_b32_e32 v9, 0
	ds_read_b64 v[9:10], v9 offset:31200
	s_waitcnt lgkmcnt(0)
	v_mul_f32_e32 v11, v4, v10
	v_mul_f32_e32 v12, v3, v10
	v_fma_f32 v3, v3, v9, -v11
	v_fmac_f32_e32 v12, v4, v9
	v_xor_b32_e32 v9, 0x80000000, v3
	v_xor_b32_e32 v10, 0x80000000, v12
	v_mov_b32_e32 v4, v12
	ds_write_b64 v7, v[9:10]
.LBB53_147:
	s_or_b64 exec, exec, s[6:7]
	s_waitcnt lgkmcnt(0)
	s_barrier
	s_barrier
	s_and_saveexec_b64 s[6:7], s[22:23]
; %bb.148:
	v_lshlrev_b32_e32 v9, 3, v5
	v_lshl_or_b32 v9, v6, 9, v9
	ds_write_b64 v9, v[3:4] offset:32224
; %bb.149:
	s_or_b64 exec, exec, s[6:7]
	v_cmp_eq_u32_e64 s[16:17], 0, v2
	v_cmp_gt_u32_e64 s[10:11], 2, v0
	s_and_b64 s[38:39], s[16:17], s[10:11]
	s_waitcnt lgkmcnt(0)
	s_barrier
	s_barrier
	s_and_saveexec_b64 s[6:7], s[38:39]
	s_cbranch_execz .LBB53_151
; %bb.150:
	v_lshlrev_b32_e32 v9, 3, v0
	s_movk_i32 s10, 0x1f8
	v_mad_u32_u24 v10, v0, s10, v9
	ds_read_b64 v[3:4], v10 offset:32224
	s_waitcnt lgkmcnt(0)
	ds_write_b64 v9, v[3:4] offset:31216
	ds_read_b64 v[3:4], v10 offset:32232
	s_waitcnt lgkmcnt(0)
	ds_write_b64 v9, v[3:4] offset:31728
.LBB53_151:
	s_or_b64 exec, exec, s[6:7]
	s_waitcnt lgkmcnt(0)
	s_barrier
	s_and_saveexec_b64 s[6:7], vcc
	s_cbranch_execz .LBB53_153
; %bb.152:
	s_movk_i32 s10, 0x1e0
	v_mov_b32_e32 v3, 0
	v_add_u32_e64 v9, s10, 0
	ds_read_b64 v[3:4], v3 offset:31720
	ds_read2st64_b64 v[9:12], v9 offset0:60 offset1:61
	s_movk_i32 s10, 0x7800
	s_waitcnt lgkmcnt(0)
	v_mul_f32_e32 v13, v4, v10
	v_mul_f32_e32 v10, v3, v10
	v_fma_f32 v13, v3, v9, -v13
	v_fmac_f32_e32 v10, v4, v9
	v_mul_f32_e32 v3, v10, v12
	v_mul_f32_e32 v4, v13, v12
	v_fma_f32 v3, v13, v11, -v3
	v_fmac_f32_e32 v4, v10, v11
	v_add_u32_e64 v9, s10, 0
	ds_write2_b64 v9, v[3:4], v[3:4] offset0:61 offset1:124
.LBB53_153:
	s_or_b64 exec, exec, s[6:7]
	v_lshrrev_b32_e32 v11, 2, v8
	v_and_b32_e32 v9, 3, v0
	v_sub_u32_e32 v10, 3, v11
	v_cmp_lt_u32_e64 s[12:13], 15, v8
	v_cmp_gt_u32_e64 s[10:11], 16, v8
	v_mov_b32_e32 v4, 0
	v_mov_b32_e32 v3, 0
	s_waitcnt lgkmcnt(0)
	s_barrier
	buffer_wbinvl1_vol
	s_and_saveexec_b64 s[6:7], s[10:11]
	s_cbranch_execz .LBB53_159
; %bb.154:
	v_lshlrev_b32_e32 v12, 3, v9
	v_lshlrev_b32_e32 v13, 9, v10
	ds_read_b64 v[3:4], v12 offset:31168
	ds_read_b64 v[14:15], v13 offset:31200
	v_cmp_gt_u32_e64 s[14:15], 12, v8
	s_waitcnt lgkmcnt(0)
	v_mul_f32_e32 v16, v15, v4
	v_mul_f32_e32 v4, v14, v4
	v_fma_f32 v14, v14, v3, -v16
	v_fmac_f32_e32 v4, v15, v3
	v_add_f32_e32 v3, 0, v14
	v_add_f32_e32 v4, 0, v4
	s_and_saveexec_b64 s[18:19], s[14:15]
	s_cbranch_execnz .LBB53_1116
; %bb.155:
	s_or_b64 exec, exec, s[18:19]
	v_cmp_gt_u32_e64 s[14:15], 8, v8
	s_and_saveexec_b64 s[18:19], s[14:15]
	s_cbranch_execnz .LBB53_1117
.LBB53_156:
	s_or_b64 exec, exec, s[18:19]
	v_cmp_gt_u32_e64 s[14:15], 4, v8
	s_and_saveexec_b64 s[18:19], s[14:15]
	s_cbranch_execz .LBB53_158
.LBB53_157:
	v_lshlrev_b32_e32 v12, 3, v0
	v_mov_b32_e32 v14, 0
	ds_read_b64 v[12:13], v12 offset:32704
	ds_read_b64 v[14:15], v14 offset:32760
	s_waitcnt lgkmcnt(0)
	v_mul_f32_e32 v16, v15, v13
	v_mul_f32_e32 v13, v14, v13
	v_fma_f32 v14, v14, v12, -v16
	v_fmac_f32_e32 v13, v15, v12
	v_add_f32_e32 v3, v3, v14
	v_add_f32_e32 v4, v4, v13
.LBB53_158:
	s_or_b64 exec, exec, s[18:19]
.LBB53_159:
                                        ; implicit-def: $vgpr30 : SGPR spill to VGPR lane
	v_writelane_b32 v30, s44, 0
	s_or_b64 exec, exec, s[6:7]
	v_mov_b32_e32 v12, 0x8000
	v_cmp_eq_u32_e64 s[14:15], 3, v9
	s_xor_b64 s[6:7], s[12:13], -1
	v_lshl_add_u32 v11, v11, 3, v12
	s_and_b64 s[44:45], s[14:15], s[6:7]
	s_and_saveexec_b64 s[12:13], s[44:45]
	s_cbranch_execz .LBB53_161
; %bb.160:
	v_mov_b32_e32 v12, 0
	ds_read_b64 v[12:13], v12 offset:30680
	s_waitcnt lgkmcnt(0)
	v_mul_f32_e32 v14, v4, v13
	v_mul_f32_e32 v15, v3, v13
	v_fma_f32 v3, v3, v12, -v14
	v_fmac_f32_e32 v15, v4, v12
	v_xor_b32_e32 v12, 0x80000000, v3
	v_xor_b32_e32 v13, 0x80000000, v15
	v_mov_b32_e32 v4, v15
	ds_write_b64 v11, v[12:13]
.LBB53_161:
	s_or_b64 exec, exec, s[12:13]
	v_cmp_ne_u32_e64 s[12:13], 3, v9
	s_and_b64 s[52:53], s[12:13], s[6:7]
	s_waitcnt lgkmcnt(0)
	s_barrier
	s_and_saveexec_b64 s[12:13], s[52:53]
	s_cbranch_execz .LBB53_163
; %bb.162:
	v_lshlrev_b32_e32 v12, 3, v9
	ds_read_b64 v[12:13], v12 offset:30656
	ds_read_b64 v[14:15], v11
	s_waitcnt lgkmcnt(0)
	v_mul_f32_e32 v16, v15, v13
	v_mul_f32_e32 v13, v14, v13
	v_fma_f32 v14, v14, v12, -v16
	v_fmac_f32_e32 v13, v15, v12
	v_sub_f32_e32 v3, v3, v14
	v_sub_f32_e32 v4, v4, v13
.LBB53_163:
	s_or_b64 exec, exec, s[12:13]
	v_cmp_eq_u32_e64 s[12:13], 2, v9
	s_and_b64 s[54:55], s[12:13], s[6:7]
	s_barrier
	s_and_saveexec_b64 s[12:13], s[54:55]
	s_cbranch_execz .LBB53_165
; %bb.164:
	v_mov_b32_e32 v12, 0
	ds_read_b64 v[12:13], v12 offset:30160
	s_waitcnt lgkmcnt(0)
	v_mul_f32_e32 v14, v4, v13
	v_mul_f32_e32 v15, v3, v13
	v_fma_f32 v3, v3, v12, -v14
	v_fmac_f32_e32 v15, v4, v12
	v_xor_b32_e32 v12, 0x80000000, v3
	v_xor_b32_e32 v13, 0x80000000, v15
	v_mov_b32_e32 v4, v15
	ds_write_b64 v11, v[12:13]
.LBB53_165:
	s_or_b64 exec, exec, s[12:13]
	v_cmp_gt_u32_e64 s[12:13], 2, v9
	s_and_b64 s[56:57], s[12:13], s[6:7]
	s_waitcnt lgkmcnt(0)
	s_barrier
	s_and_saveexec_b64 s[12:13], s[56:57]
	s_cbranch_execz .LBB53_167
; %bb.166:
	v_lshlrev_b32_e32 v12, 3, v9
	ds_read_b64 v[12:13], v12 offset:30144
	ds_read_b64 v[14:15], v11
	s_waitcnt lgkmcnt(0)
	v_mul_f32_e32 v16, v15, v13
	v_mul_f32_e32 v13, v14, v13
	v_fma_f32 v14, v14, v12, -v16
	v_fmac_f32_e32 v13, v15, v12
	v_sub_f32_e32 v3, v3, v14
	v_sub_f32_e32 v4, v4, v13
.LBB53_167:
	s_or_b64 exec, exec, s[12:13]
	v_cmp_eq_u32_e64 s[12:13], 1, v9
	s_and_b64 s[58:59], s[12:13], s[6:7]
	s_barrier
	s_and_saveexec_b64 s[12:13], s[58:59]
	s_cbranch_execz .LBB53_169
; %bb.168:
	v_mov_b32_e32 v12, 0
	ds_read_b64 v[12:13], v12 offset:29640
	s_waitcnt lgkmcnt(0)
	v_mul_f32_e32 v14, v4, v13
	v_mul_f32_e32 v15, v3, v13
	v_fma_f32 v3, v3, v12, -v14
	v_fmac_f32_e32 v15, v4, v12
	v_xor_b32_e32 v12, 0x80000000, v3
	v_xor_b32_e32 v13, 0x80000000, v15
	v_mov_b32_e32 v4, v15
	ds_write_b64 v11, v[12:13]
.LBB53_169:
	s_or_b64 exec, exec, s[12:13]
	v_cmp_eq_u32_e64 s[12:13], 0, v9
	s_and_b64 s[42:43], s[12:13], s[6:7]
	s_waitcnt lgkmcnt(0)
	s_barrier
	s_and_saveexec_b64 s[6:7], s[42:43]
	s_cbranch_execz .LBB53_171
; %bb.170:
	v_mov_b32_e32 v12, 0
	ds_read_b64 v[12:13], v12 offset:29632
	ds_read_b64 v[14:15], v11
	s_waitcnt lgkmcnt(0)
	v_mul_f32_e32 v16, v15, v13
	v_mul_f32_e32 v13, v14, v13
	v_fma_f32 v14, v14, v12, -v16
	v_fmac_f32_e32 v13, v15, v12
	v_sub_f32_e32 v3, v3, v14
	v_sub_f32_e32 v4, v4, v13
.LBB53_171:
	s_or_b64 exec, exec, s[6:7]
	s_barrier
	s_and_saveexec_b64 s[6:7], s[42:43]
	s_cbranch_execz .LBB53_173
; %bb.172:
	v_mov_b32_e32 v12, 0
	ds_read_b64 v[12:13], v12 offset:29120
	s_waitcnt lgkmcnt(0)
	v_mul_f32_e32 v14, v4, v13
	v_mul_f32_e32 v15, v3, v13
	v_fma_f32 v3, v3, v12, -v14
	v_fmac_f32_e32 v15, v4, v12
	v_xor_b32_e32 v12, 0x80000000, v3
	v_xor_b32_e32 v13, 0x80000000, v15
	v_mov_b32_e32 v4, v15
	ds_write_b64 v11, v[12:13]
.LBB53_173:
	s_or_b64 exec, exec, s[6:7]
	s_waitcnt lgkmcnt(0)
	s_barrier
	s_barrier
	s_and_saveexec_b64 s[6:7], s[10:11]
; %bb.174:
	v_lshlrev_b32_e32 v12, 3, v9
	v_lshl_or_b32 v12, v10, 9, v12
	ds_write_b64 v12, v[3:4] offset:31168
; %bb.175:
	s_or_b64 exec, exec, s[6:7]
	v_cmp_gt_u32_e64 s[12:13], 4, v0
	s_and_b64 s[60:61], s[16:17], s[12:13]
	s_waitcnt lgkmcnt(0)
	s_barrier
	s_barrier
	s_and_saveexec_b64 s[6:7], s[60:61]
	s_cbranch_execz .LBB53_177
; %bb.176:
	v_lshlrev_b32_e32 v12, 9, v0
	ds_read_b64 v[3:4], v12 offset:31168
	s_movk_i32 s12, 0xfe08
	v_mad_i32_i24 v13, v0, s12, v12
	s_waitcnt lgkmcnt(0)
	ds_write_b64 v13, v[3:4] offset:29152
	ds_read_b64 v[3:4], v12 offset:31176
	s_waitcnt lgkmcnt(0)
	ds_write_b64 v13, v[3:4] offset:29664
	ds_read_b64 v[3:4], v12 offset:31184
	;; [unrolled: 3-line block ×3, first 2 shown]
	s_waitcnt lgkmcnt(0)
	ds_write_b64 v13, v[3:4] offset:30688
.LBB53_177:
	s_or_b64 exec, exec, s[6:7]
	s_waitcnt lgkmcnt(0)
	s_barrier
	s_and_saveexec_b64 s[6:7], vcc
	s_cbranch_execz .LBB53_179
; %bb.178:
	s_movk_i32 s12, 0x1d0
	v_mov_b32_e32 v3, 0
	v_add_u32_e64 v12, s12, 0
	ds_read_b64 v[3:4], v3 offset:30680
	ds_read2st64_b64 v[12:15], v12 offset0:58 offset1:59
	s_movk_i32 s12, 0x7000
	s_waitcnt lgkmcnt(0)
	v_mul_f32_e32 v16, v4, v13
	v_mul_f32_e32 v13, v3, v13
	v_fma_f32 v16, v3, v12, -v16
	v_fmac_f32_e32 v13, v4, v12
	v_mul_f32_e32 v3, v13, v15
	v_mul_f32_e32 v4, v16, v15
	v_fma_f32 v3, v16, v14, -v3
	v_fmac_f32_e32 v4, v13, v14
	v_add_u32_e64 v12, s12, 0
	ds_write2_b64 v12, v[3:4], v[3:4] offset0:187 offset1:250
.LBB53_179:
	s_or_b64 exec, exec, s[6:7]
	v_mov_b32_e32 v3, 0
	v_mov_b32_e32 v4, 0
	s_waitcnt lgkmcnt(0)
	s_barrier
	buffer_wbinvl1_vol
	s_and_saveexec_b64 s[6:7], s[22:23]
	s_cbranch_execz .LBB53_183
; %bb.180:
	v_lshlrev_b32_e32 v3, 3, v5
	v_lshlrev_b32_e32 v12, 9, v6
	ds_read_b64 v[3:4], v3 offset:30144
	ds_read_b64 v[12:13], v12 offset:30160
	v_cmp_gt_u32_e64 s[12:13], 2, v8
	s_waitcnt lgkmcnt(0)
	v_mul_f32_e32 v14, v13, v4
	v_mul_f32_e32 v4, v12, v4
	v_fma_f32 v12, v12, v3, -v14
	v_fmac_f32_e32 v4, v13, v3
	v_add_f32_e32 v3, 0, v12
	v_add_f32_e32 v4, 0, v4
	s_and_saveexec_b64 s[14:15], s[12:13]
	s_cbranch_execz .LBB53_182
; %bb.181:
	v_lshlrev_b32_e32 v12, 3, v0
	v_mov_b32_e32 v14, 0
	ds_read_b64 v[12:13], v12 offset:30656
	ds_read_b64 v[14:15], v14 offset:30680
	s_waitcnt lgkmcnt(0)
	v_mul_f32_e32 v16, v15, v13
	v_mul_f32_e32 v13, v14, v13
	v_fma_f32 v14, v14, v12, -v16
	v_fmac_f32_e32 v13, v15, v12
	v_add_f32_e32 v3, v3, v14
	v_add_f32_e32 v4, v4, v13
.LBB53_182:
	s_or_b64 exec, exec, s[14:15]
.LBB53_183:
	s_or_b64 exec, exec, s[6:7]
	s_and_saveexec_b64 s[6:7], s[36:37]
	s_cbranch_execz .LBB53_185
; %bb.184:
	v_mov_b32_e32 v12, 0
	ds_read_b64 v[12:13], v12 offset:29640
	s_waitcnt lgkmcnt(0)
	v_mul_f32_e32 v14, v4, v13
	v_mul_f32_e32 v15, v3, v13
	v_fma_f32 v3, v3, v12, -v14
	v_fmac_f32_e32 v15, v4, v12
	v_xor_b32_e32 v12, 0x80000000, v3
	v_xor_b32_e32 v13, 0x80000000, v15
	v_mov_b32_e32 v4, v15
	ds_write_b64 v7, v[12:13]
.LBB53_185:
	s_or_b64 exec, exec, s[6:7]
	s_waitcnt lgkmcnt(0)
	s_barrier
	s_and_saveexec_b64 s[6:7], s[34:35]
	s_cbranch_execz .LBB53_187
; %bb.186:
	v_mov_b32_e32 v12, 0
	ds_read_b64 v[12:13], v12 offset:29632
	ds_read_b64 v[14:15], v7
	s_waitcnt lgkmcnt(0)
	v_mul_f32_e32 v16, v15, v13
	v_mul_f32_e32 v13, v14, v13
	v_fma_f32 v14, v14, v12, -v16
	v_fmac_f32_e32 v13, v15, v12
	v_sub_f32_e32 v3, v3, v14
	v_sub_f32_e32 v4, v4, v13
.LBB53_187:
	s_or_b64 exec, exec, s[6:7]
	s_barrier
	s_and_saveexec_b64 s[6:7], s[34:35]
	s_cbranch_execz .LBB53_189
; %bb.188:
	v_mov_b32_e32 v12, 0
	ds_read_b64 v[12:13], v12 offset:29120
	s_waitcnt lgkmcnt(0)
	v_mul_f32_e32 v14, v4, v13
	v_mul_f32_e32 v15, v3, v13
	v_fma_f32 v3, v3, v12, -v14
	v_fmac_f32_e32 v15, v4, v12
	v_xor_b32_e32 v12, 0x80000000, v3
	v_xor_b32_e32 v13, 0x80000000, v15
	v_mov_b32_e32 v4, v15
	ds_write_b64 v7, v[12:13]
.LBB53_189:
	s_or_b64 exec, exec, s[6:7]
	s_waitcnt lgkmcnt(0)
	s_barrier
	s_barrier
	s_and_saveexec_b64 s[6:7], s[22:23]
; %bb.190:
	v_lshlrev_b32_e32 v12, 3, v5
	v_lshl_or_b32 v12, v6, 9, v12
	ds_write_b64 v12, v[3:4] offset:30144
; %bb.191:
	s_or_b64 exec, exec, s[6:7]
	s_waitcnt lgkmcnt(0)
	s_barrier
	s_barrier
	s_and_saveexec_b64 s[6:7], s[38:39]
	s_cbranch_execz .LBB53_193
; %bb.192:
	v_lshlrev_b32_e32 v12, 3, v0
	s_movk_i32 s12, 0x1f8
	v_mad_u32_u24 v13, v0, s12, v12
	ds_read_b64 v[3:4], v13 offset:30144
	s_waitcnt lgkmcnt(0)
	ds_write_b64 v12, v[3:4] offset:29136
	ds_read_b64 v[3:4], v13 offset:30152
	s_waitcnt lgkmcnt(0)
	ds_write_b64 v12, v[3:4] offset:29648
.LBB53_193:
	s_or_b64 exec, exec, s[6:7]
	s_waitcnt lgkmcnt(0)
	s_barrier
	s_and_saveexec_b64 s[6:7], vcc
	s_cbranch_execz .LBB53_195
; %bb.194:
	s_movk_i32 s12, 0x1c0
	v_mov_b32_e32 v3, 0
	v_add_u32_e64 v12, s12, 0
	ds_read_b64 v[3:4], v3 offset:29640
	ds_read2st64_b64 v[12:15], v12 offset0:56 offset1:57
	s_movk_i32 s12, 0x7000
	s_waitcnt lgkmcnt(0)
	v_mul_f32_e32 v16, v4, v13
	v_mul_f32_e32 v13, v3, v13
	v_fma_f32 v16, v3, v12, -v16
	v_fmac_f32_e32 v13, v4, v12
	v_mul_f32_e32 v3, v13, v15
	v_mul_f32_e32 v4, v16, v15
	v_fma_f32 v3, v16, v14, -v3
	v_fmac_f32_e32 v4, v13, v14
	v_add_u32_e64 v12, s12, 0
	ds_write2_b64 v12, v[3:4], v[3:4] offset0:57 offset1:120
.LBB53_195:
	s_or_b64 exec, exec, s[6:7]
	v_lshrrev_b32_e32 v14, 3, v8
	v_and_b32_e32 v12, 7, v0
	v_sub_u32_e32 v13, 7, v14
	v_cmp_lt_u32_e64 s[14:15], 63, v8
	v_cmp_gt_u32_e64 s[12:13], 64, v8
	v_mov_b32_e32 v4, 0
	v_mov_b32_e32 v3, 0
	s_waitcnt lgkmcnt(0)
	s_barrier
	buffer_wbinvl1_vol
	s_and_saveexec_b64 s[6:7], s[12:13]
	s_cbranch_execz .LBB53_205
; %bb.196:
	v_lshlrev_b32_e32 v15, 3, v12
	v_lshlrev_b32_e32 v16, 9, v13
	ds_read_b64 v[3:4], v15 offset:29056
	ds_read_b64 v[17:18], v16 offset:29120
	v_cmp_gt_u32_e64 s[18:19], 56, v8
	s_waitcnt lgkmcnt(0)
	v_mul_f32_e32 v19, v18, v4
	v_mul_f32_e32 v4, v17, v4
	v_fma_f32 v17, v17, v3, -v19
	v_fmac_f32_e32 v4, v18, v3
	v_add_f32_e32 v3, 0, v17
	v_add_f32_e32 v4, 0, v4
	s_and_saveexec_b64 s[20:21], s[18:19]
	s_cbranch_execnz .LBB53_1118
; %bb.197:
	s_or_b64 exec, exec, s[20:21]
	v_cmp_gt_u32_e64 s[18:19], 48, v8
	s_and_saveexec_b64 s[20:21], s[18:19]
	s_cbranch_execnz .LBB53_1119
.LBB53_198:
	s_or_b64 exec, exec, s[20:21]
	v_cmp_gt_u32_e64 s[18:19], 40, v8
	s_and_saveexec_b64 s[20:21], s[18:19]
	s_cbranch_execnz .LBB53_1120
.LBB53_199:
	s_or_b64 exec, exec, s[20:21]
	v_cmp_gt_u32_e64 s[18:19], 32, v8
	s_and_saveexec_b64 s[20:21], s[18:19]
	s_cbranch_execnz .LBB53_1121
.LBB53_200:
	s_or_b64 exec, exec, s[20:21]
	v_cmp_gt_u32_e64 s[18:19], 24, v8
	s_and_saveexec_b64 s[20:21], s[18:19]
	s_cbranch_execnz .LBB53_1122
.LBB53_201:
	s_or_b64 exec, exec, s[20:21]
	s_and_saveexec_b64 s[18:19], s[10:11]
	s_cbranch_execnz .LBB53_1123
.LBB53_202:
	s_or_b64 exec, exec, s[18:19]
	v_cmp_gt_u32_e64 s[18:19], 8, v8
	s_and_saveexec_b64 s[20:21], s[18:19]
	s_cbranch_execz .LBB53_204
.LBB53_203:
	v_lshlrev_b32_e32 v15, 3, v0
	v_mov_b32_e32 v17, 0
	ds_read_b64 v[15:16], v15 offset:32640
	ds_read_b64 v[17:18], v17 offset:32760
	s_waitcnt lgkmcnt(0)
	v_mul_f32_e32 v19, v18, v16
	v_mul_f32_e32 v16, v17, v16
	v_fma_f32 v17, v17, v15, -v19
	v_fmac_f32_e32 v16, v18, v15
	v_add_f32_e32 v3, v3, v17
	v_add_f32_e32 v4, v4, v16
.LBB53_204:
	s_or_b64 exec, exec, s[20:21]
.LBB53_205:
	v_writelane_b32 v30, s64, 1
	v_writelane_b32 v30, s65, 2
	;; [unrolled: 1-line block ×4, first 2 shown]
	s_or_b64 exec, exec, s[6:7]
	v_mov_b32_e32 v15, 0x8000
	v_cmp_eq_u32_e64 s[18:19], 7, v12
	s_xor_b64 s[6:7], s[14:15], -1
	v_lshl_add_u32 v14, v14, 3, v15
	s_and_b64 s[64:65], s[18:19], s[6:7]
	s_and_saveexec_b64 s[14:15], s[64:65]
	s_cbranch_execz .LBB53_207
; %bb.206:
	v_mov_b32_e32 v15, 0
	ds_read_b64 v[15:16], v15 offset:28600
	s_waitcnt lgkmcnt(0)
	v_mul_f32_e32 v17, v4, v16
	v_mul_f32_e32 v18, v3, v16
	v_fma_f32 v3, v3, v15, -v17
	v_fmac_f32_e32 v18, v4, v15
	v_xor_b32_e32 v15, 0x80000000, v3
	v_xor_b32_e32 v16, 0x80000000, v18
	v_mov_b32_e32 v4, v18
	ds_write_b64 v14, v[15:16]
.LBB53_207:
	s_or_b64 exec, exec, s[14:15]
	v_cmp_ne_u32_e64 s[14:15], 7, v12
	s_and_b64 s[66:67], s[14:15], s[6:7]
	s_waitcnt lgkmcnt(0)
	s_barrier
	s_and_saveexec_b64 s[14:15], s[66:67]
	s_cbranch_execz .LBB53_209
; %bb.208:
	v_lshlrev_b32_e32 v15, 3, v12
	ds_read_b64 v[15:16], v15 offset:28544
	ds_read_b64 v[17:18], v14
	s_waitcnt lgkmcnt(0)
	v_mul_f32_e32 v19, v18, v16
	v_mul_f32_e32 v16, v17, v16
	v_fma_f32 v17, v17, v15, -v19
	v_fmac_f32_e32 v16, v18, v15
	v_sub_f32_e32 v3, v3, v17
	v_sub_f32_e32 v4, v4, v16
.LBB53_209:
	s_or_b64 exec, exec, s[14:15]
	v_cmp_eq_u32_e64 s[14:15], 6, v12
	s_and_b64 s[68:69], s[14:15], s[6:7]
	s_barrier
	s_and_saveexec_b64 s[14:15], s[68:69]
	s_cbranch_execz .LBB53_211
; %bb.210:
	v_mov_b32_e32 v15, 0
	ds_read_b64 v[15:16], v15 offset:28080
	s_waitcnt lgkmcnt(0)
	v_mul_f32_e32 v17, v4, v16
	v_mul_f32_e32 v18, v3, v16
	v_fma_f32 v3, v3, v15, -v17
	v_fmac_f32_e32 v18, v4, v15
	v_xor_b32_e32 v15, 0x80000000, v3
	v_xor_b32_e32 v16, 0x80000000, v18
	v_mov_b32_e32 v4, v18
	ds_write_b64 v14, v[15:16]
.LBB53_211:
	s_or_b64 exec, exec, s[14:15]
	v_cmp_gt_u32_e64 s[14:15], 6, v12
	s_and_b64 s[70:71], s[14:15], s[6:7]
	s_waitcnt lgkmcnt(0)
	s_barrier
	s_and_saveexec_b64 s[14:15], s[70:71]
	s_cbranch_execz .LBB53_213
; %bb.212:
	v_lshlrev_b32_e32 v15, 3, v12
	ds_read_b64 v[15:16], v15 offset:28032
	ds_read_b64 v[17:18], v14
	s_waitcnt lgkmcnt(0)
	v_mul_f32_e32 v19, v18, v16
	v_mul_f32_e32 v16, v17, v16
	v_fma_f32 v17, v17, v15, -v19
	v_fmac_f32_e32 v16, v18, v15
	v_sub_f32_e32 v3, v3, v17
	v_sub_f32_e32 v4, v4, v16
.LBB53_213:
	s_or_b64 exec, exec, s[14:15]
	v_cmp_eq_u32_e64 s[14:15], 5, v12
	s_and_b64 s[72:73], s[14:15], s[6:7]
	s_barrier
	s_and_saveexec_b64 s[14:15], s[72:73]
	s_cbranch_execz .LBB53_215
; %bb.214:
	v_mov_b32_e32 v15, 0
	ds_read_b64 v[15:16], v15 offset:27560
	s_waitcnt lgkmcnt(0)
	v_mul_f32_e32 v17, v4, v16
	v_mul_f32_e32 v18, v3, v16
	v_fma_f32 v3, v3, v15, -v17
	v_fmac_f32_e32 v18, v4, v15
	v_xor_b32_e32 v15, 0x80000000, v3
	v_xor_b32_e32 v16, 0x80000000, v18
	v_mov_b32_e32 v4, v18
	ds_write_b64 v14, v[15:16]
.LBB53_215:
	s_or_b64 exec, exec, s[14:15]
	v_cmp_gt_u32_e64 s[14:15], 5, v12
	;; [unrolled: 38-line block ×5, first 2 shown]
	s_and_b64 s[86:87], s[14:15], s[6:7]
	s_waitcnt lgkmcnt(0)
	s_barrier
	s_and_saveexec_b64 s[14:15], s[86:87]
	s_cbranch_execz .LBB53_229
; %bb.228:
	v_lshlrev_b32_e32 v15, 3, v12
	ds_read_b64 v[15:16], v15 offset:25984
	ds_read_b64 v[17:18], v14
	s_waitcnt lgkmcnt(0)
	v_mul_f32_e32 v19, v18, v16
	v_mul_f32_e32 v16, v17, v16
	v_fma_f32 v17, v17, v15, -v19
	v_fmac_f32_e32 v16, v18, v15
	v_sub_f32_e32 v3, v3, v17
	v_sub_f32_e32 v4, v4, v16
.LBB53_229:
	s_or_b64 exec, exec, s[14:15]
	v_cmp_eq_u32_e64 s[14:15], 1, v12
	s_and_b64 s[88:89], s[14:15], s[6:7]
	s_barrier
	s_and_saveexec_b64 s[14:15], s[88:89]
	s_cbranch_execz .LBB53_231
; %bb.230:
	v_mov_b32_e32 v15, 0
	ds_read_b64 v[15:16], v15 offset:25480
	s_waitcnt lgkmcnt(0)
	v_mul_f32_e32 v17, v4, v16
	v_mul_f32_e32 v18, v3, v16
	v_fma_f32 v3, v3, v15, -v17
	v_fmac_f32_e32 v18, v4, v15
	v_xor_b32_e32 v15, 0x80000000, v3
	v_xor_b32_e32 v16, 0x80000000, v18
	v_mov_b32_e32 v4, v18
	ds_write_b64 v14, v[15:16]
.LBB53_231:
	s_or_b64 exec, exec, s[14:15]
	v_cmp_eq_u32_e64 s[14:15], 0, v12
	s_and_b64 s[62:63], s[14:15], s[6:7]
	s_waitcnt lgkmcnt(0)
	s_barrier
	s_and_saveexec_b64 s[6:7], s[62:63]
	s_cbranch_execz .LBB53_233
; %bb.232:
	v_mov_b32_e32 v15, 0
	ds_read_b64 v[15:16], v15 offset:25472
	ds_read_b64 v[17:18], v14
	s_waitcnt lgkmcnt(0)
	v_mul_f32_e32 v19, v18, v16
	v_mul_f32_e32 v16, v17, v16
	v_fma_f32 v17, v17, v15, -v19
	v_fmac_f32_e32 v16, v18, v15
	v_sub_f32_e32 v3, v3, v17
	v_sub_f32_e32 v4, v4, v16
.LBB53_233:
	s_or_b64 exec, exec, s[6:7]
	s_barrier
	s_and_saveexec_b64 s[6:7], s[62:63]
	s_cbranch_execz .LBB53_235
; %bb.234:
	v_mov_b32_e32 v15, 0
	ds_read_b64 v[15:16], v15 offset:24960
	s_waitcnt lgkmcnt(0)
	v_mul_f32_e32 v17, v4, v16
	v_mul_f32_e32 v18, v3, v16
	v_fma_f32 v3, v3, v15, -v17
	v_fmac_f32_e32 v18, v4, v15
	v_xor_b32_e32 v15, 0x80000000, v3
	v_xor_b32_e32 v16, 0x80000000, v18
	v_mov_b32_e32 v4, v18
	ds_write_b64 v14, v[15:16]
.LBB53_235:
	s_or_b64 exec, exec, s[6:7]
	s_waitcnt lgkmcnt(0)
	s_barrier
	s_barrier
	s_and_saveexec_b64 s[6:7], s[12:13]
; %bb.236:
	v_lshlrev_b32_e32 v15, 3, v12
	v_lshl_or_b32 v15, v13, 9, v15
	ds_write_b64 v15, v[3:4] offset:29056
; %bb.237:
	s_or_b64 exec, exec, s[6:7]
	v_cmp_gt_u32_e64 s[14:15], 8, v0
	s_and_b64 s[90:91], s[16:17], s[14:15]
	s_waitcnt lgkmcnt(0)
	s_barrier
	s_barrier
	s_and_saveexec_b64 s[6:7], s[90:91]
	s_cbranch_execz .LBB53_239
; %bb.238:
	v_lshlrev_b32_e32 v15, 9, v0
	ds_read_b64 v[3:4], v15 offset:29056
	s_movk_i32 s14, 0xfe08
	v_mad_i32_i24 v16, v0, s14, v15
	s_waitcnt lgkmcnt(0)
	ds_write_b64 v16, v[3:4] offset:25024
	ds_read_b64 v[3:4], v15 offset:29064
	s_waitcnt lgkmcnt(0)
	ds_write_b64 v16, v[3:4] offset:25536
	ds_read_b64 v[3:4], v15 offset:29072
	;; [unrolled: 3-line block ×7, first 2 shown]
	s_waitcnt lgkmcnt(0)
	ds_write_b64 v16, v[3:4] offset:28608
.LBB53_239:
	s_or_b64 exec, exec, s[6:7]
	s_waitcnt lgkmcnt(0)
	s_barrier
	s_and_saveexec_b64 s[6:7], vcc
	s_cbranch_execz .LBB53_241
; %bb.240:
	s_movk_i32 s14, 0x1b0
	v_mov_b32_e32 v3, 0
	v_add_u32_e64 v15, s14, 0
	ds_read_b64 v[3:4], v3 offset:28600
	ds_read2st64_b64 v[15:18], v15 offset0:54 offset1:55
	s_movk_i32 s14, 0x6800
	s_waitcnt lgkmcnt(0)
	v_mul_f32_e32 v19, v4, v16
	v_mul_f32_e32 v16, v3, v16
	v_fma_f32 v19, v3, v15, -v19
	v_fmac_f32_e32 v16, v4, v15
	v_mul_f32_e32 v3, v16, v18
	v_mul_f32_e32 v4, v19, v18
	v_fma_f32 v3, v19, v17, -v3
	v_fmac_f32_e32 v4, v16, v17
	v_add_u32_e64 v15, s14, 0
	ds_write2_b64 v15, v[3:4], v[3:4] offset0:183 offset1:246
.LBB53_241:
	s_or_b64 exec, exec, s[6:7]
	v_mov_b32_e32 v3, 0
	v_mov_b32_e32 v4, 0
	s_waitcnt lgkmcnt(0)
	s_barrier
	buffer_wbinvl1_vol
	s_and_saveexec_b64 s[6:7], s[22:23]
	s_cbranch_execz .LBB53_245
; %bb.242:
	v_lshlrev_b32_e32 v3, 3, v5
	v_lshlrev_b32_e32 v15, 9, v6
	ds_read_b64 v[3:4], v3 offset:28064
	ds_read_b64 v[15:16], v15 offset:28080
	v_cmp_gt_u32_e64 s[14:15], 2, v8
	s_waitcnt lgkmcnt(0)
	v_mul_f32_e32 v17, v16, v4
	v_mul_f32_e32 v4, v15, v4
	v_fma_f32 v15, v15, v3, -v17
	v_fmac_f32_e32 v4, v16, v3
	v_add_f32_e32 v3, 0, v15
	v_add_f32_e32 v4, 0, v4
	s_and_saveexec_b64 s[18:19], s[14:15]
	s_cbranch_execz .LBB53_244
; %bb.243:
	v_lshlrev_b32_e32 v15, 3, v0
	v_mov_b32_e32 v17, 0
	ds_read_b64 v[15:16], v15 offset:28576
	ds_read_b64 v[17:18], v17 offset:28600
	s_waitcnt lgkmcnt(0)
	v_mul_f32_e32 v19, v18, v16
	v_mul_f32_e32 v16, v17, v16
	v_fma_f32 v17, v17, v15, -v19
	v_fmac_f32_e32 v16, v18, v15
	v_add_f32_e32 v3, v3, v17
	v_add_f32_e32 v4, v4, v16
.LBB53_244:
	s_or_b64 exec, exec, s[18:19]
.LBB53_245:
	s_or_b64 exec, exec, s[6:7]
	s_and_saveexec_b64 s[6:7], s[36:37]
	s_cbranch_execz .LBB53_247
; %bb.246:
	v_mov_b32_e32 v15, 0
	ds_read_b64 v[15:16], v15 offset:27560
	s_waitcnt lgkmcnt(0)
	v_mul_f32_e32 v17, v4, v16
	v_mul_f32_e32 v18, v3, v16
	v_fma_f32 v3, v3, v15, -v17
	v_fmac_f32_e32 v18, v4, v15
	v_xor_b32_e32 v15, 0x80000000, v3
	v_xor_b32_e32 v16, 0x80000000, v18
	v_mov_b32_e32 v4, v18
	ds_write_b64 v7, v[15:16]
.LBB53_247:
	s_or_b64 exec, exec, s[6:7]
	s_waitcnt lgkmcnt(0)
	s_barrier
	s_and_saveexec_b64 s[6:7], s[34:35]
	s_cbranch_execz .LBB53_249
; %bb.248:
	v_mov_b32_e32 v15, 0
	ds_read_b64 v[15:16], v15 offset:27552
	ds_read_b64 v[17:18], v7
	s_waitcnt lgkmcnt(0)
	v_mul_f32_e32 v19, v18, v16
	v_mul_f32_e32 v16, v17, v16
	v_fma_f32 v17, v17, v15, -v19
	v_fmac_f32_e32 v16, v18, v15
	v_sub_f32_e32 v3, v3, v17
	v_sub_f32_e32 v4, v4, v16
.LBB53_249:
	s_or_b64 exec, exec, s[6:7]
	s_barrier
	s_and_saveexec_b64 s[6:7], s[34:35]
	s_cbranch_execz .LBB53_251
; %bb.250:
	v_mov_b32_e32 v15, 0
	ds_read_b64 v[15:16], v15 offset:27040
	s_waitcnt lgkmcnt(0)
	v_mul_f32_e32 v17, v4, v16
	v_mul_f32_e32 v18, v3, v16
	v_fma_f32 v3, v3, v15, -v17
	v_fmac_f32_e32 v18, v4, v15
	v_xor_b32_e32 v15, 0x80000000, v3
	v_xor_b32_e32 v16, 0x80000000, v18
	v_mov_b32_e32 v4, v18
	ds_write_b64 v7, v[15:16]
.LBB53_251:
	s_or_b64 exec, exec, s[6:7]
	s_waitcnt lgkmcnt(0)
	s_barrier
	s_barrier
	s_and_saveexec_b64 s[6:7], s[22:23]
; %bb.252:
	v_lshlrev_b32_e32 v15, 3, v5
	v_lshl_or_b32 v15, v6, 9, v15
	ds_write_b64 v15, v[3:4] offset:28064
; %bb.253:
	s_or_b64 exec, exec, s[6:7]
	s_waitcnt lgkmcnt(0)
	s_barrier
	s_barrier
	s_and_saveexec_b64 s[6:7], s[38:39]
	s_cbranch_execz .LBB53_255
; %bb.254:
	v_lshlrev_b32_e32 v15, 3, v0
	s_movk_i32 s14, 0x1f8
	v_mad_u32_u24 v16, v0, s14, v15
	ds_read_b64 v[3:4], v16 offset:28064
	s_waitcnt lgkmcnt(0)
	ds_write_b64 v15, v[3:4] offset:27056
	ds_read_b64 v[3:4], v16 offset:28072
	s_waitcnt lgkmcnt(0)
	ds_write_b64 v15, v[3:4] offset:27568
.LBB53_255:
	s_or_b64 exec, exec, s[6:7]
	s_waitcnt lgkmcnt(0)
	s_barrier
	s_and_saveexec_b64 s[6:7], vcc
	s_cbranch_execz .LBB53_257
; %bb.256:
	s_movk_i32 s14, 0x1a0
	v_mov_b32_e32 v3, 0
	v_add_u32_e64 v15, s14, 0
	ds_read_b64 v[3:4], v3 offset:27560
	ds_read2st64_b64 v[15:18], v15 offset0:52 offset1:53
	s_movk_i32 s14, 0x6800
	s_waitcnt lgkmcnt(0)
	v_mul_f32_e32 v19, v4, v16
	v_mul_f32_e32 v16, v3, v16
	v_fma_f32 v19, v3, v15, -v19
	v_fmac_f32_e32 v16, v4, v15
	v_mul_f32_e32 v3, v16, v18
	v_mul_f32_e32 v4, v19, v18
	v_fma_f32 v3, v19, v17, -v3
	v_fmac_f32_e32 v4, v16, v17
	v_add_u32_e64 v15, s14, 0
	ds_write2_b64 v15, v[3:4], v[3:4] offset0:53 offset1:116
.LBB53_257:
	s_or_b64 exec, exec, s[6:7]
	v_mov_b32_e32 v4, 0
	v_mov_b32_e32 v3, 0
	s_waitcnt lgkmcnt(0)
	s_barrier
	buffer_wbinvl1_vol
	s_and_saveexec_b64 s[6:7], s[10:11]
	s_cbranch_execz .LBB53_263
; %bb.258:
	v_lshlrev_b32_e32 v15, 3, v9
	v_lshlrev_b32_e32 v16, 9, v10
	ds_read_b64 v[3:4], v15 offset:27008
	ds_read_b64 v[17:18], v16 offset:27040
	v_cmp_gt_u32_e64 s[14:15], 12, v8
	s_waitcnt lgkmcnt(0)
	v_mul_f32_e32 v19, v18, v4
	v_mul_f32_e32 v4, v17, v4
	v_fma_f32 v17, v17, v3, -v19
	v_fmac_f32_e32 v4, v18, v3
	v_add_f32_e32 v3, 0, v17
	v_add_f32_e32 v4, 0, v4
	s_and_saveexec_b64 s[18:19], s[14:15]
	s_cbranch_execnz .LBB53_1124
; %bb.259:
	s_or_b64 exec, exec, s[18:19]
	v_cmp_gt_u32_e64 s[14:15], 8, v8
	s_and_saveexec_b64 s[18:19], s[14:15]
	s_cbranch_execnz .LBB53_1125
.LBB53_260:
	s_or_b64 exec, exec, s[18:19]
	v_cmp_gt_u32_e64 s[14:15], 4, v8
	s_and_saveexec_b64 s[18:19], s[14:15]
	s_cbranch_execz .LBB53_262
.LBB53_261:
	v_lshlrev_b32_e32 v15, 3, v0
	v_mov_b32_e32 v17, 0
	ds_read_b64 v[15:16], v15 offset:28544
	ds_read_b64 v[17:18], v17 offset:28600
	s_waitcnt lgkmcnt(0)
	v_mul_f32_e32 v19, v18, v16
	v_mul_f32_e32 v16, v17, v16
	v_fma_f32 v17, v17, v15, -v19
	v_fmac_f32_e32 v16, v18, v15
	v_add_f32_e32 v3, v3, v17
	v_add_f32_e32 v4, v4, v16
.LBB53_262:
	s_or_b64 exec, exec, s[18:19]
.LBB53_263:
	s_or_b64 exec, exec, s[6:7]
	s_and_saveexec_b64 s[6:7], s[44:45]
	s_cbranch_execz .LBB53_265
; %bb.264:
	v_mov_b32_e32 v15, 0
	ds_read_b64 v[15:16], v15 offset:26520
	s_waitcnt lgkmcnt(0)
	v_mul_f32_e32 v17, v4, v16
	v_mul_f32_e32 v18, v3, v16
	v_fma_f32 v3, v3, v15, -v17
	v_fmac_f32_e32 v18, v4, v15
	v_xor_b32_e32 v15, 0x80000000, v3
	v_xor_b32_e32 v16, 0x80000000, v18
	v_mov_b32_e32 v4, v18
	ds_write_b64 v11, v[15:16]
.LBB53_265:
	s_or_b64 exec, exec, s[6:7]
	s_waitcnt lgkmcnt(0)
	s_barrier
	s_and_saveexec_b64 s[6:7], s[52:53]
	s_cbranch_execz .LBB53_267
; %bb.266:
	v_lshlrev_b32_e32 v15, 3, v9
	ds_read_b64 v[15:16], v15 offset:26496
	ds_read_b64 v[17:18], v11
	s_waitcnt lgkmcnt(0)
	v_mul_f32_e32 v19, v18, v16
	v_mul_f32_e32 v16, v17, v16
	v_fma_f32 v17, v17, v15, -v19
	v_fmac_f32_e32 v16, v18, v15
	v_sub_f32_e32 v3, v3, v17
	v_sub_f32_e32 v4, v4, v16
.LBB53_267:
	s_or_b64 exec, exec, s[6:7]
	s_barrier
	s_and_saveexec_b64 s[6:7], s[54:55]
	s_cbranch_execz .LBB53_269
; %bb.268:
	v_mov_b32_e32 v15, 0
	ds_read_b64 v[15:16], v15 offset:26000
	s_waitcnt lgkmcnt(0)
	v_mul_f32_e32 v17, v4, v16
	v_mul_f32_e32 v18, v3, v16
	v_fma_f32 v3, v3, v15, -v17
	v_fmac_f32_e32 v18, v4, v15
	v_xor_b32_e32 v15, 0x80000000, v3
	v_xor_b32_e32 v16, 0x80000000, v18
	v_mov_b32_e32 v4, v18
	ds_write_b64 v11, v[15:16]
.LBB53_269:
	s_or_b64 exec, exec, s[6:7]
	s_waitcnt lgkmcnt(0)
	s_barrier
	s_and_saveexec_b64 s[6:7], s[56:57]
	s_cbranch_execz .LBB53_271
; %bb.270:
	v_lshlrev_b32_e32 v15, 3, v9
	ds_read_b64 v[15:16], v15 offset:25984
	ds_read_b64 v[17:18], v11
	s_waitcnt lgkmcnt(0)
	v_mul_f32_e32 v19, v18, v16
	v_mul_f32_e32 v16, v17, v16
	v_fma_f32 v17, v17, v15, -v19
	v_fmac_f32_e32 v16, v18, v15
	v_sub_f32_e32 v3, v3, v17
	v_sub_f32_e32 v4, v4, v16
.LBB53_271:
	s_or_b64 exec, exec, s[6:7]
	s_barrier
	s_and_saveexec_b64 s[6:7], s[58:59]
	s_cbranch_execz .LBB53_273
; %bb.272:
	v_mov_b32_e32 v15, 0
	ds_read_b64 v[15:16], v15 offset:25480
	s_waitcnt lgkmcnt(0)
	v_mul_f32_e32 v17, v4, v16
	v_mul_f32_e32 v18, v3, v16
	v_fma_f32 v3, v3, v15, -v17
	v_fmac_f32_e32 v18, v4, v15
	v_xor_b32_e32 v15, 0x80000000, v3
	v_xor_b32_e32 v16, 0x80000000, v18
	v_mov_b32_e32 v4, v18
	ds_write_b64 v11, v[15:16]
.LBB53_273:
	s_or_b64 exec, exec, s[6:7]
	s_waitcnt lgkmcnt(0)
	s_barrier
	s_and_saveexec_b64 s[6:7], s[42:43]
	s_cbranch_execz .LBB53_275
; %bb.274:
	v_mov_b32_e32 v15, 0
	ds_read_b64 v[15:16], v15 offset:25472
	ds_read_b64 v[17:18], v11
	s_waitcnt lgkmcnt(0)
	v_mul_f32_e32 v19, v18, v16
	v_mul_f32_e32 v16, v17, v16
	v_fma_f32 v17, v17, v15, -v19
	v_fmac_f32_e32 v16, v18, v15
	v_sub_f32_e32 v3, v3, v17
	v_sub_f32_e32 v4, v4, v16
.LBB53_275:
	s_or_b64 exec, exec, s[6:7]
	s_barrier
	s_and_saveexec_b64 s[6:7], s[42:43]
	s_cbranch_execz .LBB53_277
; %bb.276:
	v_mov_b32_e32 v15, 0
	ds_read_b64 v[15:16], v15 offset:24960
	s_waitcnt lgkmcnt(0)
	v_mul_f32_e32 v17, v4, v16
	v_mul_f32_e32 v18, v3, v16
	v_fma_f32 v3, v3, v15, -v17
	v_fmac_f32_e32 v18, v4, v15
	v_xor_b32_e32 v15, 0x80000000, v3
	v_xor_b32_e32 v16, 0x80000000, v18
	v_mov_b32_e32 v4, v18
	ds_write_b64 v11, v[15:16]
.LBB53_277:
	s_or_b64 exec, exec, s[6:7]
	s_waitcnt lgkmcnt(0)
	s_barrier
	s_barrier
	s_and_saveexec_b64 s[6:7], s[10:11]
; %bb.278:
	v_lshlrev_b32_e32 v15, 3, v9
	v_lshl_or_b32 v15, v10, 9, v15
	ds_write_b64 v15, v[3:4] offset:27008
; %bb.279:
	s_or_b64 exec, exec, s[6:7]
	s_waitcnt lgkmcnt(0)
	s_barrier
	s_barrier
	s_and_saveexec_b64 s[6:7], s[60:61]
	s_cbranch_execz .LBB53_281
; %bb.280:
	v_lshlrev_b32_e32 v15, 9, v0
	ds_read_b64 v[3:4], v15 offset:27008
	s_movk_i32 s14, 0xfe08
	v_mad_i32_i24 v16, v0, s14, v15
	s_waitcnt lgkmcnt(0)
	ds_write_b64 v16, v[3:4] offset:24992
	ds_read_b64 v[3:4], v15 offset:27016
	s_waitcnt lgkmcnt(0)
	ds_write_b64 v16, v[3:4] offset:25504
	ds_read_b64 v[3:4], v15 offset:27024
	;; [unrolled: 3-line block ×3, first 2 shown]
	s_waitcnt lgkmcnt(0)
	ds_write_b64 v16, v[3:4] offset:26528
.LBB53_281:
	s_or_b64 exec, exec, s[6:7]
	s_waitcnt lgkmcnt(0)
	s_barrier
	s_and_saveexec_b64 s[6:7], vcc
	s_cbranch_execz .LBB53_283
; %bb.282:
	s_movk_i32 s14, 0x190
	v_mov_b32_e32 v3, 0
	v_add_u32_e64 v15, s14, 0
	ds_read_b64 v[3:4], v3 offset:26520
	ds_read2st64_b64 v[15:18], v15 offset0:50 offset1:51
	s_movk_i32 s14, 0x6000
	s_waitcnt lgkmcnt(0)
	v_mul_f32_e32 v19, v4, v16
	v_mul_f32_e32 v16, v3, v16
	v_fma_f32 v19, v3, v15, -v19
	v_fmac_f32_e32 v16, v4, v15
	v_mul_f32_e32 v3, v16, v18
	v_mul_f32_e32 v4, v19, v18
	v_fma_f32 v3, v19, v17, -v3
	v_fmac_f32_e32 v4, v16, v17
	v_add_u32_e64 v15, s14, 0
	ds_write2_b64 v15, v[3:4], v[3:4] offset0:179 offset1:242
.LBB53_283:
	s_or_b64 exec, exec, s[6:7]
	v_mov_b32_e32 v3, 0
	v_mov_b32_e32 v4, 0
	s_waitcnt lgkmcnt(0)
	s_barrier
	buffer_wbinvl1_vol
	s_and_saveexec_b64 s[6:7], s[22:23]
	s_cbranch_execz .LBB53_287
; %bb.284:
	v_lshlrev_b32_e32 v3, 3, v5
	v_lshlrev_b32_e32 v15, 9, v6
	ds_read_b64 v[3:4], v3 offset:25984
	ds_read_b64 v[15:16], v15 offset:26000
	v_cmp_gt_u32_e64 s[14:15], 2, v8
	s_waitcnt lgkmcnt(0)
	v_mul_f32_e32 v17, v16, v4
	v_mul_f32_e32 v4, v15, v4
	v_fma_f32 v15, v15, v3, -v17
	v_fmac_f32_e32 v4, v16, v3
	v_add_f32_e32 v3, 0, v15
	v_add_f32_e32 v4, 0, v4
	s_and_saveexec_b64 s[18:19], s[14:15]
	s_cbranch_execz .LBB53_286
; %bb.285:
	v_lshlrev_b32_e32 v15, 3, v0
	v_mov_b32_e32 v17, 0
	ds_read_b64 v[15:16], v15 offset:26496
	ds_read_b64 v[17:18], v17 offset:26520
	s_waitcnt lgkmcnt(0)
	v_mul_f32_e32 v19, v18, v16
	v_mul_f32_e32 v16, v17, v16
	v_fma_f32 v17, v17, v15, -v19
	v_fmac_f32_e32 v16, v18, v15
	v_add_f32_e32 v3, v3, v17
	v_add_f32_e32 v4, v4, v16
.LBB53_286:
	s_or_b64 exec, exec, s[18:19]
.LBB53_287:
	s_or_b64 exec, exec, s[6:7]
	s_and_saveexec_b64 s[6:7], s[36:37]
	s_cbranch_execz .LBB53_289
; %bb.288:
	v_mov_b32_e32 v15, 0
	ds_read_b64 v[15:16], v15 offset:25480
	s_waitcnt lgkmcnt(0)
	v_mul_f32_e32 v17, v4, v16
	v_mul_f32_e32 v18, v3, v16
	v_fma_f32 v3, v3, v15, -v17
	v_fmac_f32_e32 v18, v4, v15
	v_xor_b32_e32 v15, 0x80000000, v3
	v_xor_b32_e32 v16, 0x80000000, v18
	v_mov_b32_e32 v4, v18
	ds_write_b64 v7, v[15:16]
.LBB53_289:
	s_or_b64 exec, exec, s[6:7]
	s_waitcnt lgkmcnt(0)
	s_barrier
	s_and_saveexec_b64 s[6:7], s[34:35]
	s_cbranch_execz .LBB53_291
; %bb.290:
	v_mov_b32_e32 v15, 0
	ds_read_b64 v[15:16], v15 offset:25472
	ds_read_b64 v[17:18], v7
	s_waitcnt lgkmcnt(0)
	v_mul_f32_e32 v19, v18, v16
	v_mul_f32_e32 v16, v17, v16
	v_fma_f32 v17, v17, v15, -v19
	v_fmac_f32_e32 v16, v18, v15
	v_sub_f32_e32 v3, v3, v17
	v_sub_f32_e32 v4, v4, v16
.LBB53_291:
	s_or_b64 exec, exec, s[6:7]
	s_barrier
	s_and_saveexec_b64 s[6:7], s[34:35]
	s_cbranch_execz .LBB53_293
; %bb.292:
	v_mov_b32_e32 v15, 0
	ds_read_b64 v[15:16], v15 offset:24960
	s_waitcnt lgkmcnt(0)
	v_mul_f32_e32 v17, v4, v16
	v_mul_f32_e32 v18, v3, v16
	v_fma_f32 v3, v3, v15, -v17
	v_fmac_f32_e32 v18, v4, v15
	v_xor_b32_e32 v15, 0x80000000, v3
	v_xor_b32_e32 v16, 0x80000000, v18
	v_mov_b32_e32 v4, v18
	ds_write_b64 v7, v[15:16]
.LBB53_293:
	s_or_b64 exec, exec, s[6:7]
	s_waitcnt lgkmcnt(0)
	s_barrier
	s_barrier
	s_and_saveexec_b64 s[6:7], s[22:23]
; %bb.294:
	v_lshlrev_b32_e32 v15, 3, v5
	v_lshl_or_b32 v15, v6, 9, v15
	ds_write_b64 v15, v[3:4] offset:25984
; %bb.295:
	s_or_b64 exec, exec, s[6:7]
	s_waitcnt lgkmcnt(0)
	s_barrier
	s_barrier
	s_and_saveexec_b64 s[6:7], s[38:39]
	s_cbranch_execz .LBB53_297
; %bb.296:
	v_lshlrev_b32_e32 v15, 3, v0
	s_movk_i32 s14, 0x1f8
	v_mad_u32_u24 v16, v0, s14, v15
	ds_read_b64 v[3:4], v16 offset:25984
	s_waitcnt lgkmcnt(0)
	ds_write_b64 v15, v[3:4] offset:24976
	ds_read_b64 v[3:4], v16 offset:25992
	s_waitcnt lgkmcnt(0)
	ds_write_b64 v15, v[3:4] offset:25488
.LBB53_297:
	s_or_b64 exec, exec, s[6:7]
	s_waitcnt lgkmcnt(0)
	s_barrier
	s_and_saveexec_b64 s[6:7], vcc
	s_cbranch_execz .LBB53_299
; %bb.298:
	s_movk_i32 s14, 0x180
	v_mov_b32_e32 v3, 0
	v_add_u32_e64 v15, s14, 0
	ds_read_b64 v[3:4], v3 offset:25480
	ds_read2st64_b64 v[15:18], v15 offset0:48 offset1:49
	s_movk_i32 s14, 0x6000
	s_waitcnt lgkmcnt(0)
	v_mul_f32_e32 v19, v4, v16
	v_mul_f32_e32 v16, v3, v16
	v_fma_f32 v19, v3, v15, -v19
	v_fmac_f32_e32 v16, v4, v15
	v_mul_f32_e32 v3, v16, v18
	v_mul_f32_e32 v4, v19, v18
	v_fma_f32 v3, v19, v17, -v3
	v_fmac_f32_e32 v4, v16, v17
	v_add_u32_e64 v15, s14, 0
	ds_write2_b64 v15, v[3:4], v[3:4] offset0:49 offset1:112
.LBB53_299:
	s_or_b64 exec, exec, s[6:7]
	s_movk_i32 s6, 0xff
	v_lshrrev_b32_e32 v17, 4, v8
	v_cmp_lt_u32_e64 s[18:19], s6, v8
	s_movk_i32 s6, 0x100
	v_and_b32_e32 v15, 15, v0
	v_sub_u32_e32 v16, 15, v17
	v_cmp_gt_u32_e64 s[14:15], s6, v8
	v_mov_b32_e32 v4, 0
	v_mov_b32_e32 v3, 0
	s_waitcnt lgkmcnt(0)
	s_barrier
	buffer_wbinvl1_vol
	s_and_saveexec_b64 s[6:7], s[14:15]
	s_cbranch_execz .LBB53_327
; %bb.300:
	v_lshlrev_b32_e32 v18, 3, v15
	v_lshlrev_b32_e32 v19, 9, v16
	ds_read_b64 v[3:4], v18 offset:24832
	ds_read_b64 v[20:21], v19 offset:24960
	s_movk_i32 s20, 0xf0
	v_cmp_gt_u32_e64 s[20:21], s20, v8
	s_waitcnt lgkmcnt(0)
	v_mul_f32_e32 v22, v21, v4
	v_mul_f32_e32 v4, v20, v4
	v_fma_f32 v20, v20, v3, -v22
	v_fmac_f32_e32 v4, v21, v3
	v_add_f32_e32 v3, 0, v20
	v_add_f32_e32 v4, 0, v4
	s_and_saveexec_b64 s[24:25], s[20:21]
	s_cbranch_execz .LBB53_302
; %bb.301:
	ds_read_b64 v[20:21], v18 offset:25344
	ds_read_b64 v[22:23], v19 offset:24968
	s_waitcnt lgkmcnt(0)
	v_mul_f32_e32 v24, v23, v21
	v_mul_f32_e32 v21, v22, v21
	v_fma_f32 v22, v22, v20, -v24
	v_fmac_f32_e32 v21, v23, v20
	v_add_f32_e32 v3, v3, v22
	v_add_f32_e32 v4, v4, v21
.LBB53_302:
	s_or_b64 exec, exec, s[24:25]
	s_movk_i32 s20, 0xe0
	v_cmp_gt_u32_e64 s[20:21], s20, v8
	s_and_saveexec_b64 s[24:25], s[20:21]
	s_cbranch_execz .LBB53_304
; %bb.303:
	ds_read_b64 v[20:21], v18 offset:25856
	ds_read_b64 v[22:23], v19 offset:24976
	s_waitcnt lgkmcnt(0)
	v_mul_f32_e32 v24, v23, v21
	v_mul_f32_e32 v21, v22, v21
	v_fma_f32 v22, v22, v20, -v24
	v_fmac_f32_e32 v21, v23, v20
	v_add_f32_e32 v3, v3, v22
	v_add_f32_e32 v4, v4, v21
.LBB53_304:
	s_or_b64 exec, exec, s[24:25]
	s_movk_i32 s20, 0xd0
	v_cmp_gt_u32_e64 s[20:21], s20, v8
	;; [unrolled: 16-line block ×10, first 2 shown]
	s_and_saveexec_b64 s[24:25], s[20:21]
	s_cbranch_execnz .LBB53_1126
; %bb.321:
	s_or_b64 exec, exec, s[24:25]
	s_and_saveexec_b64 s[20:21], s[12:13]
	s_cbranch_execnz .LBB53_1127
.LBB53_322:
	s_or_b64 exec, exec, s[20:21]
	v_cmp_gt_u32_e64 s[20:21], 48, v8
	s_and_saveexec_b64 s[24:25], s[20:21]
	s_cbranch_execnz .LBB53_1128
.LBB53_323:
	s_or_b64 exec, exec, s[24:25]
	v_cmp_gt_u32_e64 s[20:21], 32, v8
	s_and_saveexec_b64 s[24:25], s[20:21]
	s_cbranch_execnz .LBB53_1129
.LBB53_324:
	s_or_b64 exec, exec, s[24:25]
	v_cmp_gt_u32_e64 s[20:21], 16, v8
	s_and_saveexec_b64 s[24:25], s[20:21]
	s_cbranch_execz .LBB53_326
.LBB53_325:
	v_lshlrev_b32_e32 v18, 3, v0
	v_mov_b32_e32 v20, 0
	ds_read_b64 v[18:19], v18 offset:32512
	ds_read_b64 v[20:21], v20 offset:32760
	s_waitcnt lgkmcnt(0)
	v_mul_f32_e32 v22, v21, v19
	v_mul_f32_e32 v19, v20, v19
	v_fma_f32 v20, v20, v18, -v22
	v_fmac_f32_e32 v19, v21, v18
	v_add_f32_e32 v3, v3, v20
	v_add_f32_e32 v4, v4, v19
.LBB53_326:
	s_or_b64 exec, exec, s[24:25]
.LBB53_327:
	s_or_b64 exec, exec, s[6:7]
	v_mov_b32_e32 v18, 0x8000
	v_lshl_add_u32 v17, v17, 3, v18
	v_cmp_eq_u32_e64 s[20:21], 15, v15
	s_xor_b64 s[24:25], s[18:19], -1
	s_and_b64 s[18:19], s[20:21], s[24:25]
	s_mov_b64 s[6:7], exec
	v_writelane_b32 v30, s18, 5
	v_writelane_b32 v30, s19, 6
	s_and_b64 s[18:19], s[6:7], s[18:19]
	s_mov_b64 exec, s[18:19]
	s_cbranch_execz .LBB53_329
; %bb.328:
	v_mov_b32_e32 v18, 0
	ds_read_b64 v[18:19], v18 offset:24440
	s_waitcnt lgkmcnt(0)
	v_mul_f32_e32 v20, v4, v19
	v_mul_f32_e32 v21, v3, v19
	v_fma_f32 v3, v3, v18, -v20
	v_fmac_f32_e32 v21, v4, v18
	v_xor_b32_e32 v18, 0x80000000, v3
	v_xor_b32_e32 v19, 0x80000000, v21
	v_mov_b32_e32 v4, v21
	ds_write_b64 v17, v[18:19]
.LBB53_329:
	s_or_b64 exec, exec, s[6:7]
	v_cmp_ne_u32_e64 s[18:19], 15, v15
	s_waitcnt lgkmcnt(0)
	s_barrier
	s_and_b64 s[18:19], s[18:19], s[24:25]
	s_mov_b64 s[6:7], exec
	v_writelane_b32 v30, s18, 7
	v_writelane_b32 v30, s19, 8
	s_and_b64 s[18:19], s[6:7], s[18:19]
	s_mov_b64 exec, s[18:19]
	s_cbranch_execz .LBB53_331
; %bb.330:
	v_lshlrev_b32_e32 v18, 3, v15
	ds_read_b64 v[18:19], v18 offset:24320
	ds_read_b64 v[20:21], v17
	s_waitcnt lgkmcnt(0)
	v_mul_f32_e32 v22, v21, v19
	v_mul_f32_e32 v19, v20, v19
	v_fma_f32 v20, v20, v18, -v22
	v_fmac_f32_e32 v19, v21, v18
	v_sub_f32_e32 v3, v3, v20
	v_sub_f32_e32 v4, v4, v19
.LBB53_331:
	s_or_b64 exec, exec, s[6:7]
	v_cmp_eq_u32_e64 s[18:19], 14, v15
	s_barrier
	s_and_b64 s[18:19], s[18:19], s[24:25]
	s_mov_b64 s[6:7], exec
	v_writelane_b32 v30, s18, 9
	v_writelane_b32 v30, s19, 10
	s_and_b64 s[18:19], s[6:7], s[18:19]
	s_mov_b64 exec, s[18:19]
	s_cbranch_execz .LBB53_333
; %bb.332:
	v_mov_b32_e32 v18, 0
	ds_read_b64 v[18:19], v18 offset:23920
	s_waitcnt lgkmcnt(0)
	v_mul_f32_e32 v20, v4, v19
	v_mul_f32_e32 v21, v3, v19
	v_fma_f32 v3, v3, v18, -v20
	v_fmac_f32_e32 v21, v4, v18
	v_xor_b32_e32 v18, 0x80000000, v3
	v_xor_b32_e32 v19, 0x80000000, v21
	v_mov_b32_e32 v4, v21
	ds_write_b64 v17, v[18:19]
.LBB53_333:
	s_or_b64 exec, exec, s[6:7]
	v_cmp_gt_u32_e64 s[18:19], 14, v15
	s_waitcnt lgkmcnt(0)
	s_barrier
	s_and_b64 s[18:19], s[18:19], s[24:25]
	s_mov_b64 s[6:7], exec
	v_writelane_b32 v30, s18, 11
	v_writelane_b32 v30, s19, 12
	s_and_b64 s[18:19], s[6:7], s[18:19]
	s_mov_b64 exec, s[18:19]
	s_cbranch_execz .LBB53_335
; %bb.334:
	v_lshlrev_b32_e32 v18, 3, v15
	ds_read_b64 v[18:19], v18 offset:23808
	ds_read_b64 v[20:21], v17
	s_waitcnt lgkmcnt(0)
	v_mul_f32_e32 v22, v21, v19
	v_mul_f32_e32 v19, v20, v19
	v_fma_f32 v20, v20, v18, -v22
	v_fmac_f32_e32 v19, v21, v18
	v_sub_f32_e32 v3, v3, v20
	v_sub_f32_e32 v4, v4, v19
.LBB53_335:
	s_or_b64 exec, exec, s[6:7]
	v_cmp_eq_u32_e64 s[18:19], 13, v15
	s_barrier
	s_and_b64 s[18:19], s[18:19], s[24:25]
	s_mov_b64 s[6:7], exec
	v_writelane_b32 v30, s18, 13
	v_writelane_b32 v30, s19, 14
	s_and_b64 s[18:19], s[6:7], s[18:19]
	s_mov_b64 exec, s[18:19]
	s_cbranch_execz .LBB53_337
; %bb.336:
	v_mov_b32_e32 v18, 0
	ds_read_b64 v[18:19], v18 offset:23400
	s_waitcnt lgkmcnt(0)
	v_mul_f32_e32 v20, v4, v19
	v_mul_f32_e32 v21, v3, v19
	v_fma_f32 v3, v3, v18, -v20
	v_fmac_f32_e32 v21, v4, v18
	v_xor_b32_e32 v18, 0x80000000, v3
	v_xor_b32_e32 v19, 0x80000000, v21
	v_mov_b32_e32 v4, v21
	ds_write_b64 v17, v[18:19]
.LBB53_337:
	s_or_b64 exec, exec, s[6:7]
	v_cmp_gt_u32_e64 s[18:19], 13, v15
	;; [unrolled: 46-line block ×13, first 2 shown]
	s_waitcnt lgkmcnt(0)
	s_barrier
	s_and_b64 s[18:19], s[18:19], s[24:25]
	s_mov_b64 s[6:7], exec
	v_writelane_b32 v30, s18, 59
	v_writelane_b32 v30, s19, 60
	s_and_b64 s[18:19], s[6:7], s[18:19]
	s_mov_b64 exec, s[18:19]
	s_cbranch_execz .LBB53_383
; %bb.382:
	v_lshlrev_b32_e32 v18, 3, v15
	ds_read_b64 v[18:19], v18 offset:17664
	ds_read_b64 v[20:21], v17
	s_waitcnt lgkmcnt(0)
	v_mul_f32_e32 v22, v21, v19
	v_mul_f32_e32 v19, v20, v19
	v_fma_f32 v20, v20, v18, -v22
	v_fmac_f32_e32 v19, v21, v18
	v_sub_f32_e32 v3, v3, v20
	v_sub_f32_e32 v4, v4, v19
.LBB53_383:
	s_or_b64 exec, exec, s[6:7]
	v_cmp_eq_u32_e64 s[18:19], 1, v15
	s_barrier
	s_and_b64 s[18:19], s[18:19], s[24:25]
	s_mov_b64 s[6:7], exec
	v_writelane_b32 v30, s18, 61
	v_writelane_b32 v30, s19, 62
	s_and_b64 s[18:19], s[6:7], s[18:19]
	s_mov_b64 exec, s[18:19]
	s_cbranch_execz .LBB53_385
; %bb.384:
	v_mov_b32_e32 v18, 0
	ds_read_b64 v[18:19], v18 offset:17160
	s_waitcnt lgkmcnt(0)
	v_mul_f32_e32 v20, v4, v19
	v_mul_f32_e32 v21, v3, v19
	v_fma_f32 v3, v3, v18, -v20
	v_fmac_f32_e32 v21, v4, v18
	v_xor_b32_e32 v18, 0x80000000, v3
	v_xor_b32_e32 v19, 0x80000000, v21
	v_mov_b32_e32 v4, v21
	ds_write_b64 v17, v[18:19]
.LBB53_385:
	s_or_b64 exec, exec, s[6:7]
	v_cmp_eq_u32_e64 s[18:19], 0, v15
	s_and_b64 s[94:95], s[18:19], s[24:25]
	s_waitcnt lgkmcnt(0)
	s_barrier
	s_and_saveexec_b64 s[6:7], s[94:95]
	s_cbranch_execz .LBB53_387
; %bb.386:
	v_mov_b32_e32 v18, 0
	ds_read_b64 v[18:19], v18 offset:17152
	ds_read_b64 v[20:21], v17
	s_waitcnt lgkmcnt(0)
	v_mul_f32_e32 v22, v21, v19
	v_mul_f32_e32 v19, v20, v19
	v_fma_f32 v20, v20, v18, -v22
	v_fmac_f32_e32 v19, v21, v18
	v_sub_f32_e32 v3, v3, v20
	v_sub_f32_e32 v4, v4, v19
.LBB53_387:
	s_or_b64 exec, exec, s[6:7]
	s_barrier
	s_and_saveexec_b64 s[6:7], s[94:95]
	s_cbranch_execz .LBB53_389
; %bb.388:
	v_mov_b32_e32 v18, 0
	ds_read_b64 v[18:19], v18 offset:16640
	s_waitcnt lgkmcnt(0)
	v_mul_f32_e32 v20, v4, v19
	v_mul_f32_e32 v21, v3, v19
	v_fma_f32 v3, v3, v18, -v20
	v_fmac_f32_e32 v21, v4, v18
	v_xor_b32_e32 v18, 0x80000000, v3
	v_xor_b32_e32 v19, 0x80000000, v21
	v_mov_b32_e32 v4, v21
	ds_write_b64 v17, v[18:19]
.LBB53_389:
	s_or_b64 exec, exec, s[6:7]
	s_waitcnt lgkmcnt(0)
	s_barrier
	s_barrier
	s_and_saveexec_b64 s[6:7], s[14:15]
; %bb.390:
	v_lshlrev_b32_e32 v18, 3, v15
	v_lshl_or_b32 v18, v16, 9, v18
	ds_write_b64 v18, v[3:4] offset:24832
; %bb.391:
	s_or_b64 exec, exec, s[6:7]
	v_cmp_gt_u32_e64 s[18:19], 16, v0
	s_and_b64 s[96:97], s[16:17], s[18:19]
	s_waitcnt lgkmcnt(0)
	s_barrier
	s_barrier
	s_and_saveexec_b64 s[6:7], s[96:97]
	s_cbranch_execz .LBB53_393
; %bb.392:
	v_lshlrev_b32_e32 v18, 9, v0
	ds_read_b64 v[3:4], v18 offset:24832
	s_movk_i32 s18, 0xfe08
	v_mad_i32_i24 v19, v0, s18, v18
	s_waitcnt lgkmcnt(0)
	ds_write_b64 v19, v[3:4] offset:16768
	ds_read_b64 v[3:4], v18 offset:24840
	s_waitcnt lgkmcnt(0)
	ds_write_b64 v19, v[3:4] offset:17280
	ds_read_b64 v[3:4], v18 offset:24848
	s_waitcnt lgkmcnt(0)
	ds_write_b64 v19, v[3:4] offset:17792
	ds_read_b64 v[3:4], v18 offset:24856
	s_waitcnt lgkmcnt(0)
	ds_write_b64 v19, v[3:4] offset:18304
	ds_read_b64 v[3:4], v18 offset:24864
	s_waitcnt lgkmcnt(0)
	ds_write_b64 v19, v[3:4] offset:18816
	ds_read_b64 v[3:4], v18 offset:24872
	s_waitcnt lgkmcnt(0)
	ds_write_b64 v19, v[3:4] offset:19328
	ds_read_b64 v[3:4], v18 offset:24880
	s_waitcnt lgkmcnt(0)
	ds_write_b64 v19, v[3:4] offset:19840
	ds_read_b64 v[3:4], v18 offset:24888
	s_waitcnt lgkmcnt(0)
	ds_write_b64 v19, v[3:4] offset:20352
	ds_read_b64 v[3:4], v18 offset:24896
	s_waitcnt lgkmcnt(0)
	ds_write_b64 v19, v[3:4] offset:20864
	ds_read_b64 v[3:4], v18 offset:24904
	s_waitcnt lgkmcnt(0)
	ds_write_b64 v19, v[3:4] offset:21376
	ds_read_b64 v[3:4], v18 offset:24912
	s_waitcnt lgkmcnt(0)
	ds_write_b64 v19, v[3:4] offset:21888
	ds_read_b64 v[3:4], v18 offset:24920
	s_waitcnt lgkmcnt(0)
	ds_write_b64 v19, v[3:4] offset:22400
	ds_read_b64 v[3:4], v18 offset:24928
	s_waitcnt lgkmcnt(0)
	ds_write_b64 v19, v[3:4] offset:22912
	ds_read_b64 v[3:4], v18 offset:24936
	s_waitcnt lgkmcnt(0)
	ds_write_b64 v19, v[3:4] offset:23424
	ds_read_b64 v[3:4], v18 offset:24944
	s_waitcnt lgkmcnt(0)
	ds_write_b64 v19, v[3:4] offset:23936
	ds_read_b64 v[3:4], v18 offset:24952
	s_waitcnt lgkmcnt(0)
	ds_write_b64 v19, v[3:4] offset:24448
.LBB53_393:
	s_or_b64 exec, exec, s[6:7]
	s_waitcnt lgkmcnt(0)
	s_barrier
	s_and_saveexec_b64 s[6:7], vcc
	s_cbranch_execz .LBB53_395
; %bb.394:
	s_movk_i32 s18, 0x170
	v_mov_b32_e32 v3, 0
	v_add_u32_e64 v18, s18, 0
	ds_read_b64 v[3:4], v3 offset:24440
	ds_read2st64_b64 v[18:21], v18 offset0:46 offset1:47
	s_movk_i32 s18, 0x5800
	s_waitcnt lgkmcnt(0)
	v_mul_f32_e32 v22, v4, v19
	v_mul_f32_e32 v19, v3, v19
	v_fma_f32 v22, v3, v18, -v22
	v_fmac_f32_e32 v19, v4, v18
	v_mul_f32_e32 v3, v19, v21
	v_mul_f32_e32 v4, v22, v21
	v_fma_f32 v3, v22, v20, -v3
	v_fmac_f32_e32 v4, v19, v20
	v_add_u32_e64 v18, s18, 0
	ds_write2_b64 v18, v[3:4], v[3:4] offset0:175 offset1:238
.LBB53_395:
	s_or_b64 exec, exec, s[6:7]
	v_mov_b32_e32 v3, 0
	v_mov_b32_e32 v4, 0
	s_waitcnt lgkmcnt(0)
	s_barrier
	buffer_wbinvl1_vol
	s_and_saveexec_b64 s[6:7], s[22:23]
	s_cbranch_execz .LBB53_399
; %bb.396:
	v_lshlrev_b32_e32 v3, 3, v5
	v_lshlrev_b32_e32 v18, 9, v6
	ds_read_b64 v[3:4], v3 offset:23904
	ds_read_b64 v[18:19], v18 offset:23920
	v_cmp_gt_u32_e64 s[18:19], 2, v8
	s_waitcnt lgkmcnt(0)
	v_mul_f32_e32 v20, v19, v4
	v_mul_f32_e32 v4, v18, v4
	v_fma_f32 v18, v18, v3, -v20
	v_fmac_f32_e32 v4, v19, v3
	v_add_f32_e32 v3, 0, v18
	v_add_f32_e32 v4, 0, v4
	s_and_saveexec_b64 s[20:21], s[18:19]
	s_cbranch_execz .LBB53_398
; %bb.397:
	v_lshlrev_b32_e32 v18, 3, v0
	v_mov_b32_e32 v20, 0
	ds_read_b64 v[18:19], v18 offset:24416
	ds_read_b64 v[20:21], v20 offset:24440
	s_waitcnt lgkmcnt(0)
	v_mul_f32_e32 v22, v21, v19
	v_mul_f32_e32 v19, v20, v19
	v_fma_f32 v20, v20, v18, -v22
	v_fmac_f32_e32 v19, v21, v18
	v_add_f32_e32 v3, v3, v20
	v_add_f32_e32 v4, v4, v19
.LBB53_398:
	s_or_b64 exec, exec, s[20:21]
.LBB53_399:
	s_or_b64 exec, exec, s[6:7]
	s_and_saveexec_b64 s[6:7], s[36:37]
	s_cbranch_execz .LBB53_401
; %bb.400:
	v_mov_b32_e32 v18, 0
	ds_read_b64 v[18:19], v18 offset:23400
	s_waitcnt lgkmcnt(0)
	v_mul_f32_e32 v20, v4, v19
	v_mul_f32_e32 v21, v3, v19
	v_fma_f32 v3, v3, v18, -v20
	v_fmac_f32_e32 v21, v4, v18
	v_xor_b32_e32 v18, 0x80000000, v3
	v_xor_b32_e32 v19, 0x80000000, v21
	v_mov_b32_e32 v4, v21
	ds_write_b64 v7, v[18:19]
.LBB53_401:
	s_or_b64 exec, exec, s[6:7]
	s_waitcnt lgkmcnt(0)
	s_barrier
	s_and_saveexec_b64 s[6:7], s[34:35]
	s_cbranch_execz .LBB53_403
; %bb.402:
	v_mov_b32_e32 v18, 0
	ds_read_b64 v[18:19], v18 offset:23392
	ds_read_b64 v[20:21], v7
	s_waitcnt lgkmcnt(0)
	v_mul_f32_e32 v22, v21, v19
	v_mul_f32_e32 v19, v20, v19
	v_fma_f32 v20, v20, v18, -v22
	v_fmac_f32_e32 v19, v21, v18
	v_sub_f32_e32 v3, v3, v20
	v_sub_f32_e32 v4, v4, v19
.LBB53_403:
	s_or_b64 exec, exec, s[6:7]
	s_barrier
	s_and_saveexec_b64 s[6:7], s[34:35]
	s_cbranch_execz .LBB53_405
; %bb.404:
	v_mov_b32_e32 v18, 0
	ds_read_b64 v[18:19], v18 offset:22880
	s_waitcnt lgkmcnt(0)
	v_mul_f32_e32 v20, v4, v19
	v_mul_f32_e32 v21, v3, v19
	v_fma_f32 v3, v3, v18, -v20
	v_fmac_f32_e32 v21, v4, v18
	v_xor_b32_e32 v18, 0x80000000, v3
	v_xor_b32_e32 v19, 0x80000000, v21
	v_mov_b32_e32 v4, v21
	ds_write_b64 v7, v[18:19]
.LBB53_405:
	s_or_b64 exec, exec, s[6:7]
	s_waitcnt lgkmcnt(0)
	s_barrier
	s_barrier
	s_and_saveexec_b64 s[6:7], s[22:23]
; %bb.406:
	v_lshlrev_b32_e32 v18, 3, v5
	v_lshl_or_b32 v18, v6, 9, v18
	ds_write_b64 v18, v[3:4] offset:23904
; %bb.407:
	s_or_b64 exec, exec, s[6:7]
	s_waitcnt lgkmcnt(0)
	s_barrier
	s_barrier
	s_and_saveexec_b64 s[6:7], s[38:39]
	s_cbranch_execz .LBB53_409
; %bb.408:
	v_lshlrev_b32_e32 v18, 3, v0
	s_movk_i32 s18, 0x1f8
	v_mad_u32_u24 v19, v0, s18, v18
	ds_read_b64 v[3:4], v19 offset:23904
	s_waitcnt lgkmcnt(0)
	ds_write_b64 v18, v[3:4] offset:22896
	ds_read_b64 v[3:4], v19 offset:23912
	s_waitcnt lgkmcnt(0)
	ds_write_b64 v18, v[3:4] offset:23408
.LBB53_409:
	s_or_b64 exec, exec, s[6:7]
	s_waitcnt lgkmcnt(0)
	s_barrier
	s_and_saveexec_b64 s[6:7], vcc
	s_cbranch_execz .LBB53_411
; %bb.410:
	s_movk_i32 s18, 0x160
	v_mov_b32_e32 v3, 0
	v_add_u32_e64 v18, s18, 0
	ds_read_b64 v[3:4], v3 offset:23400
	ds_read2st64_b64 v[18:21], v18 offset0:44 offset1:45
	s_movk_i32 s18, 0x5800
	s_waitcnt lgkmcnt(0)
	v_mul_f32_e32 v22, v4, v19
	v_mul_f32_e32 v19, v3, v19
	v_fma_f32 v22, v3, v18, -v22
	v_fmac_f32_e32 v19, v4, v18
	v_mul_f32_e32 v3, v19, v21
	v_mul_f32_e32 v4, v22, v21
	v_fma_f32 v3, v22, v20, -v3
	v_fmac_f32_e32 v4, v19, v20
	v_add_u32_e64 v18, s18, 0
	ds_write2_b64 v18, v[3:4], v[3:4] offset0:45 offset1:108
.LBB53_411:
	s_or_b64 exec, exec, s[6:7]
	v_mov_b32_e32 v4, 0
	v_mov_b32_e32 v3, 0
	s_waitcnt lgkmcnt(0)
	s_barrier
	buffer_wbinvl1_vol
	s_and_saveexec_b64 s[6:7], s[10:11]
	s_cbranch_execz .LBB53_417
; %bb.412:
	v_lshlrev_b32_e32 v18, 3, v9
	v_lshlrev_b32_e32 v19, 9, v10
	ds_read_b64 v[3:4], v18 offset:22848
	ds_read_b64 v[20:21], v19 offset:22880
	v_cmp_gt_u32_e64 s[18:19], 12, v8
	s_waitcnt lgkmcnt(0)
	v_mul_f32_e32 v22, v21, v4
	v_mul_f32_e32 v4, v20, v4
	v_fma_f32 v20, v20, v3, -v22
	v_fmac_f32_e32 v4, v21, v3
	v_add_f32_e32 v3, 0, v20
	v_add_f32_e32 v4, 0, v4
	s_and_saveexec_b64 s[20:21], s[18:19]
	s_cbranch_execnz .LBB53_1130
; %bb.413:
	s_or_b64 exec, exec, s[20:21]
	v_cmp_gt_u32_e64 s[18:19], 8, v8
	s_and_saveexec_b64 s[20:21], s[18:19]
	s_cbranch_execnz .LBB53_1131
.LBB53_414:
	s_or_b64 exec, exec, s[20:21]
	v_cmp_gt_u32_e64 s[18:19], 4, v8
	s_and_saveexec_b64 s[20:21], s[18:19]
	s_cbranch_execz .LBB53_416
.LBB53_415:
	v_lshlrev_b32_e32 v18, 3, v0
	v_mov_b32_e32 v20, 0
	ds_read_b64 v[18:19], v18 offset:24384
	ds_read_b64 v[20:21], v20 offset:24440
	s_waitcnt lgkmcnt(0)
	v_mul_f32_e32 v22, v21, v19
	v_mul_f32_e32 v19, v20, v19
	v_fma_f32 v20, v20, v18, -v22
	v_fmac_f32_e32 v19, v21, v18
	v_add_f32_e32 v3, v3, v20
	v_add_f32_e32 v4, v4, v19
.LBB53_416:
	s_or_b64 exec, exec, s[20:21]
.LBB53_417:
	s_or_b64 exec, exec, s[6:7]
	s_and_saveexec_b64 s[6:7], s[44:45]
	s_cbranch_execz .LBB53_419
; %bb.418:
	v_mov_b32_e32 v18, 0
	ds_read_b64 v[18:19], v18 offset:22360
	s_waitcnt lgkmcnt(0)
	v_mul_f32_e32 v20, v4, v19
	v_mul_f32_e32 v21, v3, v19
	v_fma_f32 v3, v3, v18, -v20
	v_fmac_f32_e32 v21, v4, v18
	v_xor_b32_e32 v18, 0x80000000, v3
	v_xor_b32_e32 v19, 0x80000000, v21
	v_mov_b32_e32 v4, v21
	ds_write_b64 v11, v[18:19]
.LBB53_419:
	s_or_b64 exec, exec, s[6:7]
	s_waitcnt lgkmcnt(0)
	s_barrier
	s_and_saveexec_b64 s[6:7], s[52:53]
	s_cbranch_execz .LBB53_421
; %bb.420:
	v_lshlrev_b32_e32 v18, 3, v9
	ds_read_b64 v[18:19], v18 offset:22336
	ds_read_b64 v[20:21], v11
	s_waitcnt lgkmcnt(0)
	v_mul_f32_e32 v22, v21, v19
	v_mul_f32_e32 v19, v20, v19
	v_fma_f32 v20, v20, v18, -v22
	v_fmac_f32_e32 v19, v21, v18
	v_sub_f32_e32 v3, v3, v20
	v_sub_f32_e32 v4, v4, v19
.LBB53_421:
	s_or_b64 exec, exec, s[6:7]
	s_barrier
	s_and_saveexec_b64 s[6:7], s[54:55]
	s_cbranch_execz .LBB53_423
; %bb.422:
	v_mov_b32_e32 v18, 0
	ds_read_b64 v[18:19], v18 offset:21840
	s_waitcnt lgkmcnt(0)
	v_mul_f32_e32 v20, v4, v19
	v_mul_f32_e32 v21, v3, v19
	v_fma_f32 v3, v3, v18, -v20
	v_fmac_f32_e32 v21, v4, v18
	v_xor_b32_e32 v18, 0x80000000, v3
	v_xor_b32_e32 v19, 0x80000000, v21
	v_mov_b32_e32 v4, v21
	ds_write_b64 v11, v[18:19]
.LBB53_423:
	s_or_b64 exec, exec, s[6:7]
	s_waitcnt lgkmcnt(0)
	s_barrier
	s_and_saveexec_b64 s[6:7], s[56:57]
	s_cbranch_execz .LBB53_425
; %bb.424:
	v_lshlrev_b32_e32 v18, 3, v9
	ds_read_b64 v[18:19], v18 offset:21824
	ds_read_b64 v[20:21], v11
	s_waitcnt lgkmcnt(0)
	v_mul_f32_e32 v22, v21, v19
	v_mul_f32_e32 v19, v20, v19
	v_fma_f32 v20, v20, v18, -v22
	v_fmac_f32_e32 v19, v21, v18
	v_sub_f32_e32 v3, v3, v20
	v_sub_f32_e32 v4, v4, v19
.LBB53_425:
	s_or_b64 exec, exec, s[6:7]
	s_barrier
	s_and_saveexec_b64 s[6:7], s[58:59]
	s_cbranch_execz .LBB53_427
; %bb.426:
	v_mov_b32_e32 v18, 0
	ds_read_b64 v[18:19], v18 offset:21320
	s_waitcnt lgkmcnt(0)
	v_mul_f32_e32 v20, v4, v19
	v_mul_f32_e32 v21, v3, v19
	v_fma_f32 v3, v3, v18, -v20
	v_fmac_f32_e32 v21, v4, v18
	v_xor_b32_e32 v18, 0x80000000, v3
	v_xor_b32_e32 v19, 0x80000000, v21
	v_mov_b32_e32 v4, v21
	ds_write_b64 v11, v[18:19]
.LBB53_427:
	s_or_b64 exec, exec, s[6:7]
	s_waitcnt lgkmcnt(0)
	s_barrier
	s_and_saveexec_b64 s[6:7], s[42:43]
	s_cbranch_execz .LBB53_429
; %bb.428:
	v_mov_b32_e32 v18, 0
	ds_read_b64 v[18:19], v18 offset:21312
	ds_read_b64 v[20:21], v11
	s_waitcnt lgkmcnt(0)
	v_mul_f32_e32 v22, v21, v19
	v_mul_f32_e32 v19, v20, v19
	v_fma_f32 v20, v20, v18, -v22
	v_fmac_f32_e32 v19, v21, v18
	v_sub_f32_e32 v3, v3, v20
	v_sub_f32_e32 v4, v4, v19
.LBB53_429:
	s_or_b64 exec, exec, s[6:7]
	s_barrier
	s_and_saveexec_b64 s[6:7], s[42:43]
	s_cbranch_execz .LBB53_431
; %bb.430:
	v_mov_b32_e32 v18, 0
	ds_read_b64 v[18:19], v18 offset:20800
	s_waitcnt lgkmcnt(0)
	v_mul_f32_e32 v20, v4, v19
	v_mul_f32_e32 v21, v3, v19
	v_fma_f32 v3, v3, v18, -v20
	v_fmac_f32_e32 v21, v4, v18
	v_xor_b32_e32 v18, 0x80000000, v3
	v_xor_b32_e32 v19, 0x80000000, v21
	v_mov_b32_e32 v4, v21
	ds_write_b64 v11, v[18:19]
.LBB53_431:
	s_or_b64 exec, exec, s[6:7]
	s_waitcnt lgkmcnt(0)
	s_barrier
	s_barrier
	s_and_saveexec_b64 s[6:7], s[10:11]
; %bb.432:
	v_lshlrev_b32_e32 v18, 3, v9
	v_lshl_or_b32 v18, v10, 9, v18
	ds_write_b64 v18, v[3:4] offset:22848
; %bb.433:
	s_or_b64 exec, exec, s[6:7]
	s_waitcnt lgkmcnt(0)
	s_barrier
	s_barrier
	s_and_saveexec_b64 s[6:7], s[60:61]
	s_cbranch_execz .LBB53_435
; %bb.434:
	v_lshlrev_b32_e32 v18, 9, v0
	ds_read_b64 v[3:4], v18 offset:22848
	s_movk_i32 s18, 0xfe08
	v_mad_i32_i24 v19, v0, s18, v18
	s_waitcnt lgkmcnt(0)
	ds_write_b64 v19, v[3:4] offset:20832
	ds_read_b64 v[3:4], v18 offset:22856
	s_waitcnt lgkmcnt(0)
	ds_write_b64 v19, v[3:4] offset:21344
	ds_read_b64 v[3:4], v18 offset:22864
	;; [unrolled: 3-line block ×3, first 2 shown]
	s_waitcnt lgkmcnt(0)
	ds_write_b64 v19, v[3:4] offset:22368
.LBB53_435:
	s_or_b64 exec, exec, s[6:7]
	s_waitcnt lgkmcnt(0)
	s_barrier
	s_and_saveexec_b64 s[6:7], vcc
	s_cbranch_execz .LBB53_437
; %bb.436:
	s_movk_i32 s18, 0x150
	v_mov_b32_e32 v3, 0
	v_add_u32_e64 v18, s18, 0
	ds_read_b64 v[3:4], v3 offset:22360
	ds_read2st64_b64 v[18:21], v18 offset0:42 offset1:43
	s_movk_i32 s18, 0x5000
	s_waitcnt lgkmcnt(0)
	v_mul_f32_e32 v22, v4, v19
	v_mul_f32_e32 v19, v3, v19
	v_fma_f32 v22, v3, v18, -v22
	v_fmac_f32_e32 v19, v4, v18
	v_mul_f32_e32 v3, v19, v21
	v_mul_f32_e32 v4, v22, v21
	v_fma_f32 v3, v22, v20, -v3
	v_fmac_f32_e32 v4, v19, v20
	v_add_u32_e64 v18, s18, 0
	ds_write2_b64 v18, v[3:4], v[3:4] offset0:171 offset1:234
.LBB53_437:
	s_or_b64 exec, exec, s[6:7]
	v_mov_b32_e32 v3, 0
	v_mov_b32_e32 v4, 0
	s_waitcnt lgkmcnt(0)
	s_barrier
	buffer_wbinvl1_vol
	s_and_saveexec_b64 s[6:7], s[22:23]
	s_cbranch_execz .LBB53_441
; %bb.438:
	v_lshlrev_b32_e32 v3, 3, v5
	v_lshlrev_b32_e32 v18, 9, v6
	ds_read_b64 v[3:4], v3 offset:21824
	ds_read_b64 v[18:19], v18 offset:21840
	v_cmp_gt_u32_e64 s[18:19], 2, v8
	s_waitcnt lgkmcnt(0)
	v_mul_f32_e32 v20, v19, v4
	v_mul_f32_e32 v4, v18, v4
	v_fma_f32 v18, v18, v3, -v20
	v_fmac_f32_e32 v4, v19, v3
	v_add_f32_e32 v3, 0, v18
	v_add_f32_e32 v4, 0, v4
	s_and_saveexec_b64 s[20:21], s[18:19]
	s_cbranch_execz .LBB53_440
; %bb.439:
	v_lshlrev_b32_e32 v18, 3, v0
	v_mov_b32_e32 v20, 0
	ds_read_b64 v[18:19], v18 offset:22336
	ds_read_b64 v[20:21], v20 offset:22360
	s_waitcnt lgkmcnt(0)
	v_mul_f32_e32 v22, v21, v19
	v_mul_f32_e32 v19, v20, v19
	v_fma_f32 v20, v20, v18, -v22
	v_fmac_f32_e32 v19, v21, v18
	v_add_f32_e32 v3, v3, v20
	v_add_f32_e32 v4, v4, v19
.LBB53_440:
	s_or_b64 exec, exec, s[20:21]
.LBB53_441:
	s_or_b64 exec, exec, s[6:7]
	s_and_saveexec_b64 s[6:7], s[36:37]
	s_cbranch_execz .LBB53_443
; %bb.442:
	v_mov_b32_e32 v18, 0
	ds_read_b64 v[18:19], v18 offset:21320
	s_waitcnt lgkmcnt(0)
	v_mul_f32_e32 v20, v4, v19
	v_mul_f32_e32 v21, v3, v19
	v_fma_f32 v3, v3, v18, -v20
	v_fmac_f32_e32 v21, v4, v18
	v_xor_b32_e32 v18, 0x80000000, v3
	v_xor_b32_e32 v19, 0x80000000, v21
	v_mov_b32_e32 v4, v21
	ds_write_b64 v7, v[18:19]
.LBB53_443:
	s_or_b64 exec, exec, s[6:7]
	s_waitcnt lgkmcnt(0)
	s_barrier
	s_and_saveexec_b64 s[6:7], s[34:35]
	s_cbranch_execz .LBB53_445
; %bb.444:
	v_mov_b32_e32 v18, 0
	ds_read_b64 v[18:19], v18 offset:21312
	ds_read_b64 v[20:21], v7
	s_waitcnt lgkmcnt(0)
	v_mul_f32_e32 v22, v21, v19
	v_mul_f32_e32 v19, v20, v19
	v_fma_f32 v20, v20, v18, -v22
	v_fmac_f32_e32 v19, v21, v18
	v_sub_f32_e32 v3, v3, v20
	v_sub_f32_e32 v4, v4, v19
.LBB53_445:
	s_or_b64 exec, exec, s[6:7]
	s_barrier
	s_and_saveexec_b64 s[6:7], s[34:35]
	s_cbranch_execz .LBB53_447
; %bb.446:
	v_mov_b32_e32 v18, 0
	ds_read_b64 v[18:19], v18 offset:20800
	s_waitcnt lgkmcnt(0)
	v_mul_f32_e32 v20, v4, v19
	v_mul_f32_e32 v21, v3, v19
	v_fma_f32 v3, v3, v18, -v20
	v_fmac_f32_e32 v21, v4, v18
	v_xor_b32_e32 v18, 0x80000000, v3
	v_xor_b32_e32 v19, 0x80000000, v21
	v_mov_b32_e32 v4, v21
	ds_write_b64 v7, v[18:19]
.LBB53_447:
	s_or_b64 exec, exec, s[6:7]
	s_waitcnt lgkmcnt(0)
	s_barrier
	s_barrier
	s_and_saveexec_b64 s[6:7], s[22:23]
; %bb.448:
	v_lshlrev_b32_e32 v18, 3, v5
	v_lshl_or_b32 v18, v6, 9, v18
	ds_write_b64 v18, v[3:4] offset:21824
; %bb.449:
	s_or_b64 exec, exec, s[6:7]
	s_waitcnt lgkmcnt(0)
	s_barrier
	s_barrier
	s_and_saveexec_b64 s[6:7], s[38:39]
	s_cbranch_execz .LBB53_451
; %bb.450:
	v_lshlrev_b32_e32 v18, 3, v0
	s_movk_i32 s18, 0x1f8
	v_mad_u32_u24 v19, v0, s18, v18
	ds_read_b64 v[3:4], v19 offset:21824
	s_waitcnt lgkmcnt(0)
	ds_write_b64 v18, v[3:4] offset:20816
	ds_read_b64 v[3:4], v19 offset:21832
	s_waitcnt lgkmcnt(0)
	ds_write_b64 v18, v[3:4] offset:21328
.LBB53_451:
	s_or_b64 exec, exec, s[6:7]
	s_waitcnt lgkmcnt(0)
	s_barrier
	s_and_saveexec_b64 s[6:7], vcc
	s_cbranch_execz .LBB53_453
; %bb.452:
	s_movk_i32 s18, 0x140
	v_mov_b32_e32 v3, 0
	v_add_u32_e64 v18, s18, 0
	ds_read_b64 v[3:4], v3 offset:21320
	ds_read2st64_b64 v[18:21], v18 offset0:40 offset1:41
	s_movk_i32 s18, 0x5000
	s_waitcnt lgkmcnt(0)
	v_mul_f32_e32 v22, v4, v19
	v_mul_f32_e32 v19, v3, v19
	v_fma_f32 v22, v3, v18, -v22
	v_fmac_f32_e32 v19, v4, v18
	v_mul_f32_e32 v3, v19, v21
	v_mul_f32_e32 v4, v22, v21
	v_fma_f32 v3, v22, v20, -v3
	v_fmac_f32_e32 v4, v19, v20
	v_add_u32_e64 v18, s18, 0
	ds_write2_b64 v18, v[3:4], v[3:4] offset0:41 offset1:104
.LBB53_453:
	s_or_b64 exec, exec, s[6:7]
	v_mov_b32_e32 v4, 0
	v_mov_b32_e32 v3, 0
	s_waitcnt lgkmcnt(0)
	s_barrier
	buffer_wbinvl1_vol
	s_and_saveexec_b64 s[6:7], s[12:13]
	s_cbranch_execz .LBB53_463
; %bb.454:
	v_lshlrev_b32_e32 v18, 3, v12
	v_lshlrev_b32_e32 v19, 9, v13
	ds_read_b64 v[3:4], v18 offset:20736
	ds_read_b64 v[20:21], v19 offset:20800
	v_cmp_gt_u32_e64 s[18:19], 56, v8
	s_waitcnt lgkmcnt(0)
	v_mul_f32_e32 v22, v21, v4
	v_mul_f32_e32 v4, v20, v4
	v_fma_f32 v20, v20, v3, -v22
	v_fmac_f32_e32 v4, v21, v3
	v_add_f32_e32 v3, 0, v20
	v_add_f32_e32 v4, 0, v4
	s_and_saveexec_b64 s[20:21], s[18:19]
	s_cbranch_execnz .LBB53_1132
; %bb.455:
	s_or_b64 exec, exec, s[20:21]
	v_cmp_gt_u32_e64 s[18:19], 48, v8
	s_and_saveexec_b64 s[20:21], s[18:19]
	s_cbranch_execnz .LBB53_1133
.LBB53_456:
	s_or_b64 exec, exec, s[20:21]
	v_cmp_gt_u32_e64 s[18:19], 40, v8
	s_and_saveexec_b64 s[20:21], s[18:19]
	s_cbranch_execnz .LBB53_1134
.LBB53_457:
	s_or_b64 exec, exec, s[20:21]
	v_cmp_gt_u32_e64 s[18:19], 32, v8
	s_and_saveexec_b64 s[20:21], s[18:19]
	s_cbranch_execnz .LBB53_1135
.LBB53_458:
	s_or_b64 exec, exec, s[20:21]
	v_cmp_gt_u32_e64 s[18:19], 24, v8
	s_and_saveexec_b64 s[20:21], s[18:19]
	s_cbranch_execnz .LBB53_1136
.LBB53_459:
	s_or_b64 exec, exec, s[20:21]
	s_and_saveexec_b64 s[18:19], s[10:11]
	s_cbranch_execnz .LBB53_1137
.LBB53_460:
	s_or_b64 exec, exec, s[18:19]
	v_cmp_gt_u32_e64 s[18:19], 8, v8
	s_and_saveexec_b64 s[20:21], s[18:19]
	s_cbranch_execz .LBB53_462
.LBB53_461:
	v_lshlrev_b32_e32 v18, 3, v0
	v_mov_b32_e32 v20, 0
	ds_read_b64 v[18:19], v18 offset:24320
	ds_read_b64 v[20:21], v20 offset:24440
	s_waitcnt lgkmcnt(0)
	v_mul_f32_e32 v22, v21, v19
	v_mul_f32_e32 v19, v20, v19
	v_fma_f32 v20, v20, v18, -v22
	v_fmac_f32_e32 v19, v21, v18
	v_add_f32_e32 v3, v3, v20
	v_add_f32_e32 v4, v4, v19
.LBB53_462:
	s_or_b64 exec, exec, s[20:21]
.LBB53_463:
	s_or_b64 exec, exec, s[6:7]
	s_and_saveexec_b64 s[6:7], s[64:65]
	s_cbranch_execz .LBB53_465
; %bb.464:
	v_mov_b32_e32 v18, 0
	ds_read_b64 v[18:19], v18 offset:20280
	s_waitcnt lgkmcnt(0)
	v_mul_f32_e32 v20, v4, v19
	v_mul_f32_e32 v21, v3, v19
	v_fma_f32 v3, v3, v18, -v20
	v_fmac_f32_e32 v21, v4, v18
	v_xor_b32_e32 v18, 0x80000000, v3
	v_xor_b32_e32 v19, 0x80000000, v21
	v_mov_b32_e32 v4, v21
	ds_write_b64 v14, v[18:19]
.LBB53_465:
	s_or_b64 exec, exec, s[6:7]
	s_waitcnt lgkmcnt(0)
	s_barrier
	s_and_saveexec_b64 s[6:7], s[66:67]
	s_cbranch_execz .LBB53_467
; %bb.466:
	v_lshlrev_b32_e32 v18, 3, v12
	ds_read_b64 v[18:19], v18 offset:20224
	ds_read_b64 v[20:21], v14
	s_waitcnt lgkmcnt(0)
	v_mul_f32_e32 v22, v21, v19
	v_mul_f32_e32 v19, v20, v19
	v_fma_f32 v20, v20, v18, -v22
	v_fmac_f32_e32 v19, v21, v18
	v_sub_f32_e32 v3, v3, v20
	v_sub_f32_e32 v4, v4, v19
.LBB53_467:
	s_or_b64 exec, exec, s[6:7]
	s_barrier
	s_and_saveexec_b64 s[6:7], s[68:69]
	s_cbranch_execz .LBB53_469
; %bb.468:
	v_mov_b32_e32 v18, 0
	ds_read_b64 v[18:19], v18 offset:19760
	s_waitcnt lgkmcnt(0)
	v_mul_f32_e32 v20, v4, v19
	v_mul_f32_e32 v21, v3, v19
	v_fma_f32 v3, v3, v18, -v20
	v_fmac_f32_e32 v21, v4, v18
	v_xor_b32_e32 v18, 0x80000000, v3
	v_xor_b32_e32 v19, 0x80000000, v21
	v_mov_b32_e32 v4, v21
	ds_write_b64 v14, v[18:19]
.LBB53_469:
	s_or_b64 exec, exec, s[6:7]
	s_waitcnt lgkmcnt(0)
	s_barrier
	s_and_saveexec_b64 s[6:7], s[70:71]
	s_cbranch_execz .LBB53_471
; %bb.470:
	v_lshlrev_b32_e32 v18, 3, v12
	ds_read_b64 v[18:19], v18 offset:19712
	ds_read_b64 v[20:21], v14
	s_waitcnt lgkmcnt(0)
	v_mul_f32_e32 v22, v21, v19
	v_mul_f32_e32 v19, v20, v19
	v_fma_f32 v20, v20, v18, -v22
	v_fmac_f32_e32 v19, v21, v18
	v_sub_f32_e32 v3, v3, v20
	v_sub_f32_e32 v4, v4, v19
.LBB53_471:
	s_or_b64 exec, exec, s[6:7]
	s_barrier
	;; [unrolled: 34-line block ×6, first 2 shown]
	s_and_saveexec_b64 s[6:7], s[88:89]
	s_cbranch_execz .LBB53_489
; %bb.488:
	v_mov_b32_e32 v18, 0
	ds_read_b64 v[18:19], v18 offset:17160
	s_waitcnt lgkmcnt(0)
	v_mul_f32_e32 v20, v4, v19
	v_mul_f32_e32 v21, v3, v19
	v_fma_f32 v3, v3, v18, -v20
	v_fmac_f32_e32 v21, v4, v18
	v_xor_b32_e32 v18, 0x80000000, v3
	v_xor_b32_e32 v19, 0x80000000, v21
	v_mov_b32_e32 v4, v21
	ds_write_b64 v14, v[18:19]
.LBB53_489:
	s_or_b64 exec, exec, s[6:7]
	s_waitcnt lgkmcnt(0)
	s_barrier
	s_and_saveexec_b64 s[6:7], s[62:63]
	s_cbranch_execz .LBB53_491
; %bb.490:
	v_mov_b32_e32 v18, 0
	ds_read_b64 v[18:19], v18 offset:17152
	ds_read_b64 v[20:21], v14
	s_waitcnt lgkmcnt(0)
	v_mul_f32_e32 v22, v21, v19
	v_mul_f32_e32 v19, v20, v19
	v_fma_f32 v20, v20, v18, -v22
	v_fmac_f32_e32 v19, v21, v18
	v_sub_f32_e32 v3, v3, v20
	v_sub_f32_e32 v4, v4, v19
.LBB53_491:
	s_or_b64 exec, exec, s[6:7]
	s_barrier
	s_and_saveexec_b64 s[6:7], s[62:63]
	s_cbranch_execz .LBB53_493
; %bb.492:
	v_mov_b32_e32 v18, 0
	ds_read_b64 v[18:19], v18 offset:16640
	s_waitcnt lgkmcnt(0)
	v_mul_f32_e32 v20, v4, v19
	v_mul_f32_e32 v21, v3, v19
	v_fma_f32 v3, v3, v18, -v20
	v_fmac_f32_e32 v21, v4, v18
	v_xor_b32_e32 v18, 0x80000000, v3
	v_xor_b32_e32 v19, 0x80000000, v21
	v_mov_b32_e32 v4, v21
	ds_write_b64 v14, v[18:19]
.LBB53_493:
	s_or_b64 exec, exec, s[6:7]
	s_waitcnt lgkmcnt(0)
	s_barrier
	s_barrier
	s_and_saveexec_b64 s[6:7], s[12:13]
; %bb.494:
	v_lshlrev_b32_e32 v18, 3, v12
	v_lshl_or_b32 v18, v13, 9, v18
	ds_write_b64 v18, v[3:4] offset:20736
; %bb.495:
	s_or_b64 exec, exec, s[6:7]
	s_waitcnt lgkmcnt(0)
	s_barrier
	s_barrier
	s_and_saveexec_b64 s[6:7], s[90:91]
	s_cbranch_execz .LBB53_497
; %bb.496:
	v_lshlrev_b32_e32 v18, 9, v0
	ds_read_b64 v[3:4], v18 offset:20736
	s_movk_i32 s18, 0xfe08
	v_mad_i32_i24 v19, v0, s18, v18
	s_waitcnt lgkmcnt(0)
	ds_write_b64 v19, v[3:4] offset:16704
	ds_read_b64 v[3:4], v18 offset:20744
	s_waitcnt lgkmcnt(0)
	ds_write_b64 v19, v[3:4] offset:17216
	ds_read_b64 v[3:4], v18 offset:20752
	;; [unrolled: 3-line block ×7, first 2 shown]
	s_waitcnt lgkmcnt(0)
	ds_write_b64 v19, v[3:4] offset:20288
.LBB53_497:
	s_or_b64 exec, exec, s[6:7]
	s_waitcnt lgkmcnt(0)
	s_barrier
	s_and_saveexec_b64 s[6:7], vcc
	s_cbranch_execz .LBB53_499
; %bb.498:
	s_movk_i32 s18, 0x130
	v_mov_b32_e32 v3, 0
	v_add_u32_e64 v18, s18, 0
	ds_read_b64 v[3:4], v3 offset:20280
	ds_read2st64_b64 v[18:21], v18 offset0:38 offset1:39
	s_movk_i32 s18, 0x4800
	s_waitcnt lgkmcnt(0)
	v_mul_f32_e32 v22, v4, v19
	v_mul_f32_e32 v19, v3, v19
	v_fma_f32 v22, v3, v18, -v22
	v_fmac_f32_e32 v19, v4, v18
	v_mul_f32_e32 v3, v19, v21
	v_mul_f32_e32 v4, v22, v21
	v_fma_f32 v3, v22, v20, -v3
	v_fmac_f32_e32 v4, v19, v20
	v_add_u32_e64 v18, s18, 0
	ds_write2_b64 v18, v[3:4], v[3:4] offset0:167 offset1:230
.LBB53_499:
	s_or_b64 exec, exec, s[6:7]
	v_mov_b32_e32 v3, 0
	v_mov_b32_e32 v4, 0
	s_waitcnt lgkmcnt(0)
	s_barrier
	buffer_wbinvl1_vol
	s_and_saveexec_b64 s[6:7], s[22:23]
	s_cbranch_execz .LBB53_503
; %bb.500:
	v_lshlrev_b32_e32 v3, 3, v5
	v_lshlrev_b32_e32 v18, 9, v6
	ds_read_b64 v[3:4], v3 offset:19744
	ds_read_b64 v[18:19], v18 offset:19760
	v_cmp_gt_u32_e64 s[18:19], 2, v8
	s_waitcnt lgkmcnt(0)
	v_mul_f32_e32 v20, v19, v4
	v_mul_f32_e32 v4, v18, v4
	v_fma_f32 v18, v18, v3, -v20
	v_fmac_f32_e32 v4, v19, v3
	v_add_f32_e32 v3, 0, v18
	v_add_f32_e32 v4, 0, v4
	s_and_saveexec_b64 s[20:21], s[18:19]
	s_cbranch_execz .LBB53_502
; %bb.501:
	v_lshlrev_b32_e32 v18, 3, v0
	v_mov_b32_e32 v20, 0
	ds_read_b64 v[18:19], v18 offset:20256
	ds_read_b64 v[20:21], v20 offset:20280
	s_waitcnt lgkmcnt(0)
	v_mul_f32_e32 v22, v21, v19
	v_mul_f32_e32 v19, v20, v19
	v_fma_f32 v20, v20, v18, -v22
	v_fmac_f32_e32 v19, v21, v18
	v_add_f32_e32 v3, v3, v20
	v_add_f32_e32 v4, v4, v19
.LBB53_502:
	s_or_b64 exec, exec, s[20:21]
.LBB53_503:
	s_or_b64 exec, exec, s[6:7]
	s_and_saveexec_b64 s[6:7], s[36:37]
	s_cbranch_execz .LBB53_505
; %bb.504:
	v_mov_b32_e32 v18, 0
	ds_read_b64 v[18:19], v18 offset:19240
	s_waitcnt lgkmcnt(0)
	v_mul_f32_e32 v20, v4, v19
	v_mul_f32_e32 v21, v3, v19
	v_fma_f32 v3, v3, v18, -v20
	v_fmac_f32_e32 v21, v4, v18
	v_xor_b32_e32 v18, 0x80000000, v3
	v_xor_b32_e32 v19, 0x80000000, v21
	v_mov_b32_e32 v4, v21
	ds_write_b64 v7, v[18:19]
.LBB53_505:
	s_or_b64 exec, exec, s[6:7]
	s_waitcnt lgkmcnt(0)
	s_barrier
	s_and_saveexec_b64 s[6:7], s[34:35]
	s_cbranch_execz .LBB53_507
; %bb.506:
	v_mov_b32_e32 v18, 0
	ds_read_b64 v[18:19], v18 offset:19232
	ds_read_b64 v[20:21], v7
	s_waitcnt lgkmcnt(0)
	v_mul_f32_e32 v22, v21, v19
	v_mul_f32_e32 v19, v20, v19
	v_fma_f32 v20, v20, v18, -v22
	v_fmac_f32_e32 v19, v21, v18
	v_sub_f32_e32 v3, v3, v20
	v_sub_f32_e32 v4, v4, v19
.LBB53_507:
	s_or_b64 exec, exec, s[6:7]
	s_barrier
	s_and_saveexec_b64 s[6:7], s[34:35]
	s_cbranch_execz .LBB53_509
; %bb.508:
	v_mov_b32_e32 v18, 0
	ds_read_b64 v[18:19], v18 offset:18720
	s_waitcnt lgkmcnt(0)
	v_mul_f32_e32 v20, v4, v19
	v_mul_f32_e32 v21, v3, v19
	v_fma_f32 v3, v3, v18, -v20
	v_fmac_f32_e32 v21, v4, v18
	v_xor_b32_e32 v18, 0x80000000, v3
	v_xor_b32_e32 v19, 0x80000000, v21
	v_mov_b32_e32 v4, v21
	ds_write_b64 v7, v[18:19]
.LBB53_509:
	s_or_b64 exec, exec, s[6:7]
	s_waitcnt lgkmcnt(0)
	s_barrier
	s_barrier
	s_and_saveexec_b64 s[6:7], s[22:23]
; %bb.510:
	v_lshlrev_b32_e32 v18, 3, v5
	v_lshl_or_b32 v18, v6, 9, v18
	ds_write_b64 v18, v[3:4] offset:19744
; %bb.511:
	s_or_b64 exec, exec, s[6:7]
	s_waitcnt lgkmcnt(0)
	s_barrier
	s_barrier
	s_and_saveexec_b64 s[6:7], s[38:39]
	s_cbranch_execz .LBB53_513
; %bb.512:
	v_lshlrev_b32_e32 v18, 3, v0
	s_movk_i32 s18, 0x1f8
	v_mad_u32_u24 v19, v0, s18, v18
	ds_read_b64 v[3:4], v19 offset:19744
	s_waitcnt lgkmcnt(0)
	ds_write_b64 v18, v[3:4] offset:18736
	ds_read_b64 v[3:4], v19 offset:19752
	s_waitcnt lgkmcnt(0)
	ds_write_b64 v18, v[3:4] offset:19248
.LBB53_513:
	s_or_b64 exec, exec, s[6:7]
	s_waitcnt lgkmcnt(0)
	s_barrier
	s_and_saveexec_b64 s[6:7], vcc
	s_cbranch_execz .LBB53_515
; %bb.514:
	s_movk_i32 s18, 0x120
	v_mov_b32_e32 v3, 0
	v_add_u32_e64 v18, s18, 0
	ds_read_b64 v[3:4], v3 offset:19240
	ds_read2st64_b64 v[18:21], v18 offset0:36 offset1:37
	s_movk_i32 s18, 0x4800
	s_waitcnt lgkmcnt(0)
	v_mul_f32_e32 v22, v4, v19
	v_mul_f32_e32 v19, v3, v19
	v_fma_f32 v22, v3, v18, -v22
	v_fmac_f32_e32 v19, v4, v18
	v_mul_f32_e32 v3, v19, v21
	v_mul_f32_e32 v4, v22, v21
	v_fma_f32 v3, v22, v20, -v3
	v_fmac_f32_e32 v4, v19, v20
	v_add_u32_e64 v18, s18, 0
	ds_write2_b64 v18, v[3:4], v[3:4] offset0:37 offset1:100
.LBB53_515:
	s_or_b64 exec, exec, s[6:7]
	v_mov_b32_e32 v4, 0
	v_mov_b32_e32 v3, 0
	s_waitcnt lgkmcnt(0)
	s_barrier
	buffer_wbinvl1_vol
	s_and_saveexec_b64 s[6:7], s[10:11]
	s_cbranch_execz .LBB53_521
; %bb.516:
	v_lshlrev_b32_e32 v18, 3, v9
	v_lshlrev_b32_e32 v19, 9, v10
	ds_read_b64 v[3:4], v18 offset:18688
	ds_read_b64 v[20:21], v19 offset:18720
	v_cmp_gt_u32_e64 s[18:19], 12, v8
	s_waitcnt lgkmcnt(0)
	v_mul_f32_e32 v22, v21, v4
	v_mul_f32_e32 v4, v20, v4
	v_fma_f32 v20, v20, v3, -v22
	v_fmac_f32_e32 v4, v21, v3
	v_add_f32_e32 v3, 0, v20
	v_add_f32_e32 v4, 0, v4
	s_and_saveexec_b64 s[20:21], s[18:19]
	s_cbranch_execnz .LBB53_1138
; %bb.517:
	s_or_b64 exec, exec, s[20:21]
	v_cmp_gt_u32_e64 s[18:19], 8, v8
	s_and_saveexec_b64 s[20:21], s[18:19]
	s_cbranch_execnz .LBB53_1139
.LBB53_518:
	s_or_b64 exec, exec, s[20:21]
	v_cmp_gt_u32_e64 s[18:19], 4, v8
	s_and_saveexec_b64 s[20:21], s[18:19]
	s_cbranch_execz .LBB53_520
.LBB53_519:
	v_lshlrev_b32_e32 v18, 3, v0
	v_mov_b32_e32 v20, 0
	ds_read_b64 v[18:19], v18 offset:20224
	ds_read_b64 v[20:21], v20 offset:20280
	s_waitcnt lgkmcnt(0)
	v_mul_f32_e32 v22, v21, v19
	v_mul_f32_e32 v19, v20, v19
	v_fma_f32 v20, v20, v18, -v22
	v_fmac_f32_e32 v19, v21, v18
	v_add_f32_e32 v3, v3, v20
	v_add_f32_e32 v4, v4, v19
.LBB53_520:
	s_or_b64 exec, exec, s[20:21]
.LBB53_521:
	s_or_b64 exec, exec, s[6:7]
	s_and_saveexec_b64 s[6:7], s[44:45]
	s_cbranch_execz .LBB53_523
; %bb.522:
	v_mov_b32_e32 v18, 0
	ds_read_b64 v[18:19], v18 offset:18200
	s_waitcnt lgkmcnt(0)
	v_mul_f32_e32 v20, v4, v19
	v_mul_f32_e32 v21, v3, v19
	v_fma_f32 v3, v3, v18, -v20
	v_fmac_f32_e32 v21, v4, v18
	v_xor_b32_e32 v18, 0x80000000, v3
	v_xor_b32_e32 v19, 0x80000000, v21
	v_mov_b32_e32 v4, v21
	ds_write_b64 v11, v[18:19]
.LBB53_523:
	s_or_b64 exec, exec, s[6:7]
	s_waitcnt lgkmcnt(0)
	s_barrier
	s_and_saveexec_b64 s[6:7], s[52:53]
	s_cbranch_execz .LBB53_525
; %bb.524:
	v_lshlrev_b32_e32 v18, 3, v9
	ds_read_b64 v[18:19], v18 offset:18176
	ds_read_b64 v[20:21], v11
	s_waitcnt lgkmcnt(0)
	v_mul_f32_e32 v22, v21, v19
	v_mul_f32_e32 v19, v20, v19
	v_fma_f32 v20, v20, v18, -v22
	v_fmac_f32_e32 v19, v21, v18
	v_sub_f32_e32 v3, v3, v20
	v_sub_f32_e32 v4, v4, v19
.LBB53_525:
	s_or_b64 exec, exec, s[6:7]
	s_barrier
	s_and_saveexec_b64 s[6:7], s[54:55]
	s_cbranch_execz .LBB53_527
; %bb.526:
	v_mov_b32_e32 v18, 0
	ds_read_b64 v[18:19], v18 offset:17680
	s_waitcnt lgkmcnt(0)
	v_mul_f32_e32 v20, v4, v19
	v_mul_f32_e32 v21, v3, v19
	v_fma_f32 v3, v3, v18, -v20
	v_fmac_f32_e32 v21, v4, v18
	v_xor_b32_e32 v18, 0x80000000, v3
	v_xor_b32_e32 v19, 0x80000000, v21
	v_mov_b32_e32 v4, v21
	ds_write_b64 v11, v[18:19]
.LBB53_527:
	s_or_b64 exec, exec, s[6:7]
	s_waitcnt lgkmcnt(0)
	s_barrier
	s_and_saveexec_b64 s[6:7], s[56:57]
	s_cbranch_execz .LBB53_529
; %bb.528:
	v_lshlrev_b32_e32 v18, 3, v9
	ds_read_b64 v[18:19], v18 offset:17664
	ds_read_b64 v[20:21], v11
	s_waitcnt lgkmcnt(0)
	v_mul_f32_e32 v22, v21, v19
	v_mul_f32_e32 v19, v20, v19
	v_fma_f32 v20, v20, v18, -v22
	v_fmac_f32_e32 v19, v21, v18
	v_sub_f32_e32 v3, v3, v20
	v_sub_f32_e32 v4, v4, v19
.LBB53_529:
	s_or_b64 exec, exec, s[6:7]
	s_barrier
	s_and_saveexec_b64 s[6:7], s[58:59]
	s_cbranch_execz .LBB53_531
; %bb.530:
	v_mov_b32_e32 v18, 0
	ds_read_b64 v[18:19], v18 offset:17160
	s_waitcnt lgkmcnt(0)
	v_mul_f32_e32 v20, v4, v19
	v_mul_f32_e32 v21, v3, v19
	v_fma_f32 v3, v3, v18, -v20
	v_fmac_f32_e32 v21, v4, v18
	v_xor_b32_e32 v18, 0x80000000, v3
	v_xor_b32_e32 v19, 0x80000000, v21
	v_mov_b32_e32 v4, v21
	ds_write_b64 v11, v[18:19]
.LBB53_531:
	s_or_b64 exec, exec, s[6:7]
	s_waitcnt lgkmcnt(0)
	s_barrier
	s_and_saveexec_b64 s[6:7], s[42:43]
	s_cbranch_execz .LBB53_533
; %bb.532:
	v_mov_b32_e32 v18, 0
	ds_read_b64 v[18:19], v18 offset:17152
	ds_read_b64 v[20:21], v11
	s_waitcnt lgkmcnt(0)
	v_mul_f32_e32 v22, v21, v19
	v_mul_f32_e32 v19, v20, v19
	v_fma_f32 v20, v20, v18, -v22
	v_fmac_f32_e32 v19, v21, v18
	v_sub_f32_e32 v3, v3, v20
	v_sub_f32_e32 v4, v4, v19
.LBB53_533:
	s_or_b64 exec, exec, s[6:7]
	s_barrier
	s_and_saveexec_b64 s[6:7], s[42:43]
	s_cbranch_execz .LBB53_535
; %bb.534:
	v_mov_b32_e32 v18, 0
	ds_read_b64 v[18:19], v18 offset:16640
	s_waitcnt lgkmcnt(0)
	v_mul_f32_e32 v20, v4, v19
	v_mul_f32_e32 v21, v3, v19
	v_fma_f32 v3, v3, v18, -v20
	v_fmac_f32_e32 v21, v4, v18
	v_xor_b32_e32 v18, 0x80000000, v3
	v_xor_b32_e32 v19, 0x80000000, v21
	v_mov_b32_e32 v4, v21
	ds_write_b64 v11, v[18:19]
.LBB53_535:
	s_or_b64 exec, exec, s[6:7]
	s_waitcnt lgkmcnt(0)
	s_barrier
	s_barrier
	s_and_saveexec_b64 s[6:7], s[10:11]
; %bb.536:
	v_lshlrev_b32_e32 v18, 3, v9
	v_lshl_or_b32 v18, v10, 9, v18
	ds_write_b64 v18, v[3:4] offset:18688
; %bb.537:
	s_or_b64 exec, exec, s[6:7]
	s_waitcnt lgkmcnt(0)
	s_barrier
	s_barrier
	s_and_saveexec_b64 s[6:7], s[60:61]
	s_cbranch_execz .LBB53_539
; %bb.538:
	v_lshlrev_b32_e32 v18, 9, v0
	ds_read_b64 v[3:4], v18 offset:18688
	s_movk_i32 s18, 0xfe08
	v_mad_i32_i24 v19, v0, s18, v18
	s_waitcnt lgkmcnt(0)
	ds_write_b64 v19, v[3:4] offset:16672
	ds_read_b64 v[3:4], v18 offset:18696
	s_waitcnt lgkmcnt(0)
	ds_write_b64 v19, v[3:4] offset:17184
	ds_read_b64 v[3:4], v18 offset:18704
	;; [unrolled: 3-line block ×3, first 2 shown]
	s_waitcnt lgkmcnt(0)
	ds_write_b64 v19, v[3:4] offset:18208
.LBB53_539:
	s_or_b64 exec, exec, s[6:7]
	s_waitcnt lgkmcnt(0)
	s_barrier
	s_and_saveexec_b64 s[6:7], vcc
	s_cbranch_execz .LBB53_541
; %bb.540:
	s_movk_i32 s18, 0x110
	v_mov_b32_e32 v3, 0
	v_add_u32_e64 v18, s18, 0
	ds_read_b64 v[3:4], v3 offset:18200
	ds_read2st64_b64 v[18:21], v18 offset0:34 offset1:35
	s_movk_i32 s18, 0x4000
	s_waitcnt lgkmcnt(0)
	v_mul_f32_e32 v22, v4, v19
	v_mul_f32_e32 v19, v3, v19
	v_fma_f32 v22, v3, v18, -v22
	v_fmac_f32_e32 v19, v4, v18
	v_mul_f32_e32 v3, v19, v21
	v_mul_f32_e32 v4, v22, v21
	v_fma_f32 v3, v22, v20, -v3
	v_fmac_f32_e32 v4, v19, v20
	v_add_u32_e64 v18, s18, 0
	ds_write2_b64 v18, v[3:4], v[3:4] offset0:163 offset1:226
.LBB53_541:
	s_or_b64 exec, exec, s[6:7]
	v_mov_b32_e32 v3, 0
	v_mov_b32_e32 v4, 0
	s_waitcnt lgkmcnt(0)
	s_barrier
	buffer_wbinvl1_vol
	s_and_saveexec_b64 s[6:7], s[22:23]
	s_cbranch_execz .LBB53_545
; %bb.542:
	v_lshlrev_b32_e32 v3, 3, v5
	v_lshlrev_b32_e32 v18, 9, v6
	ds_read_b64 v[3:4], v3 offset:17664
	ds_read_b64 v[18:19], v18 offset:17680
	v_cmp_gt_u32_e64 s[18:19], 2, v8
	s_waitcnt lgkmcnt(0)
	v_mul_f32_e32 v20, v19, v4
	v_mul_f32_e32 v4, v18, v4
	v_fma_f32 v18, v18, v3, -v20
	v_fmac_f32_e32 v4, v19, v3
	v_add_f32_e32 v3, 0, v18
	v_add_f32_e32 v4, 0, v4
	s_and_saveexec_b64 s[20:21], s[18:19]
	s_cbranch_execz .LBB53_544
; %bb.543:
	v_lshlrev_b32_e32 v18, 3, v0
	v_mov_b32_e32 v20, 0
	ds_read_b64 v[18:19], v18 offset:18176
	ds_read_b64 v[20:21], v20 offset:18200
	s_waitcnt lgkmcnt(0)
	v_mul_f32_e32 v22, v21, v19
	v_mul_f32_e32 v19, v20, v19
	v_fma_f32 v20, v20, v18, -v22
	v_fmac_f32_e32 v19, v21, v18
	v_add_f32_e32 v3, v3, v20
	v_add_f32_e32 v4, v4, v19
.LBB53_544:
	s_or_b64 exec, exec, s[20:21]
.LBB53_545:
	s_or_b64 exec, exec, s[6:7]
	s_and_saveexec_b64 s[6:7], s[36:37]
	s_cbranch_execz .LBB53_547
; %bb.546:
	v_mov_b32_e32 v18, 0
	ds_read_b64 v[18:19], v18 offset:17160
	s_waitcnt lgkmcnt(0)
	v_mul_f32_e32 v20, v4, v19
	v_mul_f32_e32 v21, v3, v19
	v_fma_f32 v3, v3, v18, -v20
	v_fmac_f32_e32 v21, v4, v18
	v_xor_b32_e32 v18, 0x80000000, v3
	v_xor_b32_e32 v19, 0x80000000, v21
	v_mov_b32_e32 v4, v21
	ds_write_b64 v7, v[18:19]
.LBB53_547:
	s_or_b64 exec, exec, s[6:7]
	s_waitcnt lgkmcnt(0)
	s_barrier
	s_and_saveexec_b64 s[6:7], s[34:35]
	s_cbranch_execz .LBB53_549
; %bb.548:
	v_mov_b32_e32 v18, 0
	ds_read_b64 v[18:19], v18 offset:17152
	ds_read_b64 v[20:21], v7
	s_waitcnt lgkmcnt(0)
	v_mul_f32_e32 v22, v21, v19
	v_mul_f32_e32 v19, v20, v19
	v_fma_f32 v20, v20, v18, -v22
	v_fmac_f32_e32 v19, v21, v18
	v_sub_f32_e32 v3, v3, v20
	v_sub_f32_e32 v4, v4, v19
.LBB53_549:
	s_or_b64 exec, exec, s[6:7]
	s_barrier
	s_and_saveexec_b64 s[6:7], s[34:35]
	s_cbranch_execz .LBB53_551
; %bb.550:
	v_mov_b32_e32 v18, 0
	ds_read_b64 v[18:19], v18 offset:16640
	s_waitcnt lgkmcnt(0)
	v_mul_f32_e32 v20, v4, v19
	v_mul_f32_e32 v21, v3, v19
	v_fma_f32 v3, v3, v18, -v20
	v_fmac_f32_e32 v21, v4, v18
	v_xor_b32_e32 v18, 0x80000000, v3
	v_xor_b32_e32 v19, 0x80000000, v21
	v_mov_b32_e32 v4, v21
	ds_write_b64 v7, v[18:19]
.LBB53_551:
	s_or_b64 exec, exec, s[6:7]
	s_waitcnt lgkmcnt(0)
	s_barrier
	s_barrier
	s_and_saveexec_b64 s[6:7], s[22:23]
; %bb.552:
	v_lshlrev_b32_e32 v18, 3, v5
	v_lshl_or_b32 v18, v6, 9, v18
	ds_write_b64 v18, v[3:4] offset:17664
; %bb.553:
	s_or_b64 exec, exec, s[6:7]
	s_waitcnt lgkmcnt(0)
	s_barrier
	s_barrier
	s_and_saveexec_b64 s[6:7], s[38:39]
	s_cbranch_execz .LBB53_555
; %bb.554:
	v_lshlrev_b32_e32 v18, 3, v0
	s_movk_i32 s18, 0x1f8
	v_mad_u32_u24 v19, v0, s18, v18
	ds_read_b64 v[3:4], v19 offset:17664
	s_waitcnt lgkmcnt(0)
	ds_write_b64 v18, v[3:4] offset:16656
	ds_read_b64 v[3:4], v19 offset:17672
	s_waitcnt lgkmcnt(0)
	ds_write_b64 v18, v[3:4] offset:17168
.LBB53_555:
	s_or_b64 exec, exec, s[6:7]
	s_waitcnt lgkmcnt(0)
	s_barrier
	s_and_saveexec_b64 s[6:7], vcc
	s_cbranch_execz .LBB53_557
; %bb.556:
	s_movk_i32 s18, 0x100
	v_mov_b32_e32 v3, 0
	v_add_u32_e64 v18, s18, 0
	ds_read_b64 v[3:4], v3 offset:17160
	ds_read2st64_b64 v[18:21], v18 offset0:32 offset1:33
	s_movk_i32 s18, 0x4000
	s_waitcnt lgkmcnt(0)
	v_mul_f32_e32 v22, v4, v19
	v_mul_f32_e32 v19, v3, v19
	v_fma_f32 v22, v3, v18, -v22
	v_fmac_f32_e32 v19, v4, v18
	v_mul_f32_e32 v3, v19, v21
	v_mul_f32_e32 v4, v22, v21
	v_fma_f32 v3, v22, v20, -v3
	v_fmac_f32_e32 v4, v19, v20
	v_add_u32_e64 v18, s18, 0
	ds_write2_b64 v18, v[3:4], v[3:4] offset0:33 offset1:96
.LBB53_557:
	s_or_b64 exec, exec, s[6:7]
	s_movk_i32 s6, 0x3ff
	v_lshrrev_b32_e32 v20, 5, v8
	v_cmp_lt_u32_e64 s[20:21], s6, v8
	s_movk_i32 s6, 0x400
	v_and_b32_e32 v18, 31, v0
	v_sub_u32_e32 v19, 31, v20
	v_cmp_gt_u32_e64 s[18:19], s6, v8
	v_mov_b32_e32 v4, 0
	v_mov_b32_e32 v3, 0
	s_waitcnt lgkmcnt(0)
	s_barrier
	buffer_wbinvl1_vol
	s_and_saveexec_b64 s[6:7], s[18:19]
	s_cbranch_execz .LBB53_619
; %bb.558:
	v_lshlrev_b32_e32 v21, 3, v18
	v_lshlrev_b32_e32 v22, 9, v19
	ds_read_b64 v[3:4], v21 offset:16384
	ds_read_b64 v[23:24], v22 offset:16640
	s_movk_i32 s24, 0x3e0
	v_cmp_gt_u32_e64 s[24:25], s24, v8
	s_waitcnt lgkmcnt(0)
	v_mul_f32_e32 v25, v24, v4
	v_mul_f32_e32 v4, v23, v4
	v_fma_f32 v23, v23, v3, -v25
	v_fmac_f32_e32 v4, v24, v3
	v_add_f32_e32 v3, 0, v23
	v_add_f32_e32 v4, 0, v4
	s_and_saveexec_b64 s[98:99], s[24:25]
	s_cbranch_execz .LBB53_560
; %bb.559:
	ds_read_b64 v[23:24], v21 offset:16896
	ds_read_b64 v[25:26], v22 offset:16648
	s_waitcnt lgkmcnt(0)
	v_mul_f32_e32 v27, v26, v24
	v_mul_f32_e32 v24, v25, v24
	v_fma_f32 v25, v25, v23, -v27
	v_fmac_f32_e32 v24, v26, v23
	v_add_f32_e32 v3, v3, v25
	v_add_f32_e32 v4, v4, v24
.LBB53_560:
	s_or_b64 exec, exec, s[98:99]
	s_movk_i32 s24, 0x3c0
	v_cmp_gt_u32_e64 s[24:25], s24, v8
	s_and_saveexec_b64 s[98:99], s[24:25]
	s_cbranch_execz .LBB53_562
; %bb.561:
	ds_read_b64 v[23:24], v21 offset:17408
	ds_read_b64 v[25:26], v22 offset:16656
	s_waitcnt lgkmcnt(0)
	v_mul_f32_e32 v27, v26, v24
	v_mul_f32_e32 v24, v25, v24
	v_fma_f32 v25, v25, v23, -v27
	v_fmac_f32_e32 v24, v26, v23
	v_add_f32_e32 v3, v3, v25
	v_add_f32_e32 v4, v4, v24
.LBB53_562:
	s_or_b64 exec, exec, s[98:99]
	s_movk_i32 s24, 0x3a0
	v_cmp_gt_u32_e64 s[24:25], s24, v8
	;; [unrolled: 16-line block ×22, first 2 shown]
	s_and_saveexec_b64 s[98:99], s[24:25]
	s_cbranch_execz .LBB53_604
; %bb.603:
	ds_read_b64 v[23:24], v21 offset:28160
	ds_read_b64 v[25:26], v22 offset:16824
	s_waitcnt lgkmcnt(0)
	v_mul_f32_e32 v27, v26, v24
	v_mul_f32_e32 v24, v25, v24
	v_fma_f32 v25, v25, v23, -v27
	v_fmac_f32_e32 v24, v26, v23
	v_add_f32_e32 v3, v3, v25
	v_add_f32_e32 v4, v4, v24
.LBB53_604:
	s_or_b64 exec, exec, s[98:99]
	s_and_saveexec_b64 s[24:25], s[14:15]
	s_cbranch_execz .LBB53_606
; %bb.605:
	ds_read_b64 v[23:24], v21 offset:28672
	ds_read_b64 v[25:26], v22 offset:16832
	s_waitcnt lgkmcnt(0)
	v_mul_f32_e32 v27, v26, v24
	v_mul_f32_e32 v24, v25, v24
	v_fma_f32 v25, v25, v23, -v27
	v_fmac_f32_e32 v24, v26, v23
	v_add_f32_e32 v3, v3, v25
	v_add_f32_e32 v4, v4, v24
.LBB53_606:
	s_or_b64 exec, exec, s[24:25]
	s_movk_i32 s24, 0xe0
	v_cmp_gt_u32_e64 s[24:25], s24, v8
	s_and_saveexec_b64 s[98:99], s[24:25]
	s_cbranch_execz .LBB53_608
; %bb.607:
	ds_read_b64 v[23:24], v21 offset:29184
	ds_read_b64 v[25:26], v22 offset:16840
	s_waitcnt lgkmcnt(0)
	v_mul_f32_e32 v27, v26, v24
	v_mul_f32_e32 v24, v25, v24
	v_fma_f32 v25, v25, v23, -v27
	v_fmac_f32_e32 v24, v26, v23
	v_add_f32_e32 v3, v3, v25
	v_add_f32_e32 v4, v4, v24
.LBB53_608:
	s_or_b64 exec, exec, s[98:99]
	s_movk_i32 s24, 0xc0
	v_cmp_gt_u32_e64 s[24:25], s24, v8
	;; [unrolled: 16-line block ×5, first 2 shown]
	s_and_saveexec_b64 s[98:99], s[24:25]
	s_cbranch_execnz .LBB53_1140
; %bb.615:
	s_or_b64 exec, exec, s[98:99]
	s_and_saveexec_b64 s[24:25], s[12:13]
	s_cbranch_execnz .LBB53_1141
.LBB53_616:
	s_or_b64 exec, exec, s[24:25]
	v_cmp_gt_u32_e64 s[24:25], 32, v8
	s_and_saveexec_b64 s[98:99], s[24:25]
	s_cbranch_execz .LBB53_618
.LBB53_617:
	ds_read_b64 v[23:24], v21 offset:32256
	ds_read_b64 v[21:22], v22 offset:16888
	s_waitcnt lgkmcnt(0)
	v_mul_f32_e32 v25, v22, v24
	v_mul_f32_e32 v24, v21, v24
	v_fma_f32 v21, v21, v23, -v25
	v_fmac_f32_e32 v24, v22, v23
	v_add_f32_e32 v3, v3, v21
	v_add_f32_e32 v4, v4, v24
.LBB53_618:
	s_or_b64 exec, exec, s[98:99]
.LBB53_619:
	s_or_b64 exec, exec, s[6:7]
	v_mov_b32_e32 v21, 0x8000
	s_movk_i32 s6, 0x208
	v_lshlrev_b32_e32 v22, 9, v18
	v_mov_b32_e32 v23, 0x3c00
	v_lshl_add_u32 v20, v20, 3, v21
	v_mul_u32_u24_e32 v21, 0x208, v18
	v_sub_u32_e32 v22, 0, v22
	v_mad_u32_u24 v23, v18, s6, v23
	s_mov_b32 s24, 31
	s_xor_b64 s[6:7], s[20:21], -1
	s_branch .LBB53_621
.LBB53_620:                             ;   in Loop: Header=BB53_621 Depth=1
	s_or_b64 exec, exec, s[20:21]
	s_add_i32 s24, s24, -2
	s_cmp_eq_u32 s25, 0
	v_add_u32_e32 v22, 0xfffffc00, v22
	s_barrier
	s_cbranch_scc1 .LBB53_629
.LBB53_621:                             ; =>This Inner Loop Header: Depth=1
	s_movk_i32 s20, 0xc200
	v_cmp_eq_u32_e64 s[20:21], s20, v22
	s_and_b64 s[98:99], s[6:7], s[20:21]
	s_and_saveexec_b64 s[20:21], s[98:99]
	s_cbranch_execz .LBB53_623
; %bb.622:                              ;   in Loop: Header=BB53_621 Depth=1
	ds_read_b64 v[24:25], v21
	s_waitcnt lgkmcnt(0)
	v_mul_f32_e32 v26, v4, v25
	v_mul_f32_e32 v27, v3, v25
	v_fma_f32 v3, v3, v24, -v26
	v_fmac_f32_e32 v27, v4, v24
	v_xor_b32_e32 v24, 0x80000000, v3
	v_xor_b32_e32 v25, 0x80000000, v27
	v_mov_b32_e32 v4, v27
	ds_write_b64 v20, v[24:25]
.LBB53_623:                             ;   in Loop: Header=BB53_621 Depth=1
	s_or_b64 exec, exec, s[20:21]
	v_cmp_gt_u32_e64 s[20:21], s24, v18
	s_and_b64 s[98:99], s[6:7], s[20:21]
	v_add_u32_e32 v24, v23, v22
	s_waitcnt lgkmcnt(0)
	s_barrier
	s_and_saveexec_b64 s[20:21], s[98:99]
	s_cbranch_execz .LBB53_625
; %bb.624:                              ;   in Loop: Header=BB53_621 Depth=1
	ds_read_b64 v[25:26], v24 offset:512
	ds_read_b64 v[27:28], v20
	s_waitcnt lgkmcnt(0)
	v_mul_f32_e32 v29, v28, v26
	v_mul_f32_e32 v26, v27, v26
	v_fma_f32 v27, v27, v25, -v29
	v_fmac_f32_e32 v26, v28, v25
	v_sub_f32_e32 v3, v3, v27
	v_sub_f32_e32 v4, v4, v26
.LBB53_625:                             ;   in Loop: Header=BB53_621 Depth=1
	s_or_b64 exec, exec, s[20:21]
	s_add_i32 s25, s24, -1
	v_cmp_eq_u32_e64 s[20:21], s25, v18
	s_and_b64 s[98:99], s[6:7], s[20:21]
	s_barrier
	s_and_saveexec_b64 s[20:21], s[98:99]
	s_cbranch_execz .LBB53_627
; %bb.626:                              ;   in Loop: Header=BB53_621 Depth=1
	ds_read_b64 v[25:26], v21
	s_waitcnt lgkmcnt(0)
	v_mul_f32_e32 v27, v4, v26
	v_mul_f32_e32 v28, v3, v26
	v_fma_f32 v3, v3, v25, -v27
	v_fmac_f32_e32 v28, v4, v25
	v_xor_b32_e32 v25, 0x80000000, v3
	v_xor_b32_e32 v26, 0x80000000, v28
	v_mov_b32_e32 v4, v28
	ds_write_b64 v20, v[25:26]
.LBB53_627:                             ;   in Loop: Header=BB53_621 Depth=1
	s_or_b64 exec, exec, s[20:21]
	v_cmp_gt_u32_e64 s[20:21], s25, v18
	s_and_b64 s[98:99], s[6:7], s[20:21]
	s_waitcnt lgkmcnt(0)
	s_barrier
	s_and_saveexec_b64 s[20:21], s[98:99]
	s_cbranch_execz .LBB53_620
; %bb.628:                              ;   in Loop: Header=BB53_621 Depth=1
	ds_read_b64 v[24:25], v24
	ds_read_b64 v[26:27], v20
	s_waitcnt lgkmcnt(0)
	v_mul_f32_e32 v28, v27, v25
	v_mul_f32_e32 v25, v26, v25
	v_fma_f32 v26, v26, v24, -v28
	v_fmac_f32_e32 v25, v27, v24
	v_sub_f32_e32 v3, v3, v26
	v_sub_f32_e32 v4, v4, v25
	s_branch .LBB53_620
.LBB53_629:
	s_and_saveexec_b64 s[6:7], s[18:19]
; %bb.630:
	v_lshlrev_b32_e32 v18, 3, v18
	v_lshl_or_b32 v18, v19, 9, v18
	ds_write_b64 v18, v[3:4] offset:16384
; %bb.631:
	s_or_b64 exec, exec, s[6:7]
	v_cmp_gt_u32_e64 s[18:19], 32, v0
	s_and_b64 s[16:17], s[16:17], s[18:19]
	s_waitcnt lgkmcnt(0)
	s_barrier
	s_barrier
	s_and_saveexec_b64 s[6:7], s[16:17]
	s_cbranch_execz .LBB53_633
; %bb.632:
	v_lshlrev_b32_e32 v18, 9, v0
	ds_read_b64 v[3:4], v18 offset:16384
	s_movk_i32 s16, 0xfe08
	v_mad_i32_i24 v19, v0, s16, v18
	s_waitcnt lgkmcnt(0)
	ds_write_b64 v19, v[3:4] offset:256
	ds_read_b64 v[3:4], v18 offset:16392
	s_waitcnt lgkmcnt(0)
	ds_write_b64 v19, v[3:4] offset:768
	ds_read_b64 v[3:4], v18 offset:16400
	;; [unrolled: 3-line block ×31, first 2 shown]
	s_waitcnt lgkmcnt(0)
	ds_write_b64 v19, v[3:4] offset:16128
.LBB53_633:
	s_or_b64 exec, exec, s[6:7]
	s_waitcnt lgkmcnt(0)
	s_barrier
	s_and_saveexec_b64 s[6:7], vcc
	s_cbranch_execz .LBB53_635
; %bb.634:
	s_movk_i32 s16, 0xf0
	v_mov_b32_e32 v3, 0
	v_add_u32_e64 v18, s16, 0
	ds_read_b64 v[3:4], v3 offset:16120
	ds_read2st64_b64 v[18:21], v18 offset0:30 offset1:31
	s_movk_i32 s16, 0x3800
	s_waitcnt lgkmcnt(0)
	v_mul_f32_e32 v22, v4, v19
	v_mul_f32_e32 v19, v3, v19
	v_fma_f32 v22, v3, v18, -v22
	v_fmac_f32_e32 v19, v4, v18
	v_mul_f32_e32 v3, v19, v21
	v_mul_f32_e32 v4, v22, v21
	v_fma_f32 v3, v22, v20, -v3
	v_fmac_f32_e32 v4, v19, v20
	v_add_u32_e64 v18, s16, 0
	ds_write2_b64 v18, v[3:4], v[3:4] offset0:159 offset1:222
.LBB53_635:
	s_or_b64 exec, exec, s[6:7]
	v_mov_b32_e32 v3, 0
	v_mov_b32_e32 v4, 0
	s_waitcnt lgkmcnt(0)
	s_barrier
	buffer_wbinvl1_vol
	s_and_saveexec_b64 s[6:7], s[22:23]
	s_cbranch_execz .LBB53_639
; %bb.636:
	v_lshlrev_b32_e32 v3, 3, v5
	v_lshlrev_b32_e32 v18, 9, v6
	ds_read_b64 v[3:4], v3 offset:15584
	ds_read_b64 v[18:19], v18 offset:15600
	v_cmp_gt_u32_e64 s[16:17], 2, v8
	s_waitcnt lgkmcnt(0)
	v_mul_f32_e32 v20, v19, v4
	v_mul_f32_e32 v4, v18, v4
	v_fma_f32 v18, v18, v3, -v20
	v_fmac_f32_e32 v4, v19, v3
	v_add_f32_e32 v3, 0, v18
	v_add_f32_e32 v4, 0, v4
	s_and_saveexec_b64 s[18:19], s[16:17]
	s_cbranch_execz .LBB53_638
; %bb.637:
	v_lshlrev_b32_e32 v18, 3, v0
	v_mov_b32_e32 v20, 0
	ds_read_b64 v[18:19], v18 offset:16096
	ds_read_b64 v[20:21], v20 offset:16120
	s_waitcnt lgkmcnt(0)
	v_mul_f32_e32 v22, v21, v19
	v_mul_f32_e32 v19, v20, v19
	v_fma_f32 v20, v20, v18, -v22
	v_fmac_f32_e32 v19, v21, v18
	v_add_f32_e32 v3, v3, v20
	v_add_f32_e32 v4, v4, v19
.LBB53_638:
	s_or_b64 exec, exec, s[18:19]
.LBB53_639:
	s_or_b64 exec, exec, s[6:7]
	s_and_saveexec_b64 s[6:7], s[36:37]
	s_cbranch_execz .LBB53_641
; %bb.640:
	v_mov_b32_e32 v18, 0
	ds_read_b64 v[18:19], v18 offset:15080
	s_waitcnt lgkmcnt(0)
	v_mul_f32_e32 v20, v4, v19
	v_mul_f32_e32 v21, v3, v19
	v_fma_f32 v3, v3, v18, -v20
	v_fmac_f32_e32 v21, v4, v18
	v_xor_b32_e32 v18, 0x80000000, v3
	v_xor_b32_e32 v19, 0x80000000, v21
	v_mov_b32_e32 v4, v21
	ds_write_b64 v7, v[18:19]
.LBB53_641:
	s_or_b64 exec, exec, s[6:7]
	s_waitcnt lgkmcnt(0)
	s_barrier
	s_and_saveexec_b64 s[6:7], s[34:35]
	s_cbranch_execz .LBB53_643
; %bb.642:
	v_mov_b32_e32 v18, 0
	ds_read_b64 v[18:19], v18 offset:15072
	ds_read_b64 v[20:21], v7
	s_waitcnt lgkmcnt(0)
	v_mul_f32_e32 v22, v21, v19
	v_mul_f32_e32 v19, v20, v19
	v_fma_f32 v20, v20, v18, -v22
	v_fmac_f32_e32 v19, v21, v18
	v_sub_f32_e32 v3, v3, v20
	v_sub_f32_e32 v4, v4, v19
.LBB53_643:
	s_or_b64 exec, exec, s[6:7]
	s_barrier
	s_and_saveexec_b64 s[6:7], s[34:35]
	s_cbranch_execz .LBB53_645
; %bb.644:
	v_mov_b32_e32 v18, 0
	ds_read_b64 v[18:19], v18 offset:14560
	s_waitcnt lgkmcnt(0)
	v_mul_f32_e32 v20, v4, v19
	v_mul_f32_e32 v21, v3, v19
	v_fma_f32 v3, v3, v18, -v20
	v_fmac_f32_e32 v21, v4, v18
	v_xor_b32_e32 v18, 0x80000000, v3
	v_xor_b32_e32 v19, 0x80000000, v21
	v_mov_b32_e32 v4, v21
	ds_write_b64 v7, v[18:19]
.LBB53_645:
	s_or_b64 exec, exec, s[6:7]
	s_waitcnt lgkmcnt(0)
	s_barrier
	s_barrier
	s_and_saveexec_b64 s[6:7], s[22:23]
; %bb.646:
	v_lshlrev_b32_e32 v18, 3, v5
	v_lshl_or_b32 v18, v6, 9, v18
	ds_write_b64 v18, v[3:4] offset:15584
; %bb.647:
	s_or_b64 exec, exec, s[6:7]
	s_waitcnt lgkmcnt(0)
	s_barrier
	s_barrier
	s_and_saveexec_b64 s[6:7], s[38:39]
	s_cbranch_execz .LBB53_649
; %bb.648:
	v_lshlrev_b32_e32 v18, 3, v0
	s_movk_i32 s16, 0x1f8
	v_mad_u32_u24 v19, v0, s16, v18
	ds_read_b64 v[3:4], v19 offset:15584
	s_waitcnt lgkmcnt(0)
	ds_write_b64 v18, v[3:4] offset:14576
	ds_read_b64 v[3:4], v19 offset:15592
	s_waitcnt lgkmcnt(0)
	ds_write_b64 v18, v[3:4] offset:15088
.LBB53_649:
	s_or_b64 exec, exec, s[6:7]
	s_waitcnt lgkmcnt(0)
	s_barrier
	s_and_saveexec_b64 s[6:7], vcc
	s_cbranch_execz .LBB53_651
; %bb.650:
	s_movk_i32 s16, 0xe0
	v_mov_b32_e32 v3, 0
	v_add_u32_e64 v18, s16, 0
	ds_read_b64 v[3:4], v3 offset:15080
	ds_read2st64_b64 v[18:21], v18 offset0:28 offset1:29
	s_movk_i32 s16, 0x3800
	s_waitcnt lgkmcnt(0)
	v_mul_f32_e32 v22, v4, v19
	v_mul_f32_e32 v19, v3, v19
	v_fma_f32 v22, v3, v18, -v22
	v_fmac_f32_e32 v19, v4, v18
	v_mul_f32_e32 v3, v19, v21
	v_mul_f32_e32 v4, v22, v21
	v_fma_f32 v3, v22, v20, -v3
	v_fmac_f32_e32 v4, v19, v20
	v_add_u32_e64 v18, s16, 0
	ds_write2_b64 v18, v[3:4], v[3:4] offset0:29 offset1:92
.LBB53_651:
	s_or_b64 exec, exec, s[6:7]
	v_mov_b32_e32 v4, 0
	v_mov_b32_e32 v3, 0
	s_waitcnt lgkmcnt(0)
	s_barrier
	buffer_wbinvl1_vol
	s_and_saveexec_b64 s[6:7], s[10:11]
	s_cbranch_execz .LBB53_657
; %bb.652:
	v_lshlrev_b32_e32 v18, 3, v9
	v_lshlrev_b32_e32 v19, 9, v10
	ds_read_b64 v[3:4], v18 offset:14528
	ds_read_b64 v[20:21], v19 offset:14560
	v_cmp_gt_u32_e64 s[16:17], 12, v8
	s_waitcnt lgkmcnt(0)
	v_mul_f32_e32 v22, v21, v4
	v_mul_f32_e32 v4, v20, v4
	v_fma_f32 v20, v20, v3, -v22
	v_fmac_f32_e32 v4, v21, v3
	v_add_f32_e32 v3, 0, v20
	v_add_f32_e32 v4, 0, v4
	s_and_saveexec_b64 s[18:19], s[16:17]
	s_cbranch_execnz .LBB53_1142
; %bb.653:
	s_or_b64 exec, exec, s[18:19]
	v_cmp_gt_u32_e64 s[16:17], 8, v8
	s_and_saveexec_b64 s[18:19], s[16:17]
	s_cbranch_execnz .LBB53_1143
.LBB53_654:
	s_or_b64 exec, exec, s[18:19]
	v_cmp_gt_u32_e64 s[16:17], 4, v8
	s_and_saveexec_b64 s[18:19], s[16:17]
	s_cbranch_execz .LBB53_656
.LBB53_655:
	v_lshlrev_b32_e32 v18, 3, v0
	v_mov_b32_e32 v20, 0
	ds_read_b64 v[18:19], v18 offset:16064
	ds_read_b64 v[20:21], v20 offset:16120
	s_waitcnt lgkmcnt(0)
	v_mul_f32_e32 v22, v21, v19
	v_mul_f32_e32 v19, v20, v19
	v_fma_f32 v20, v20, v18, -v22
	v_fmac_f32_e32 v19, v21, v18
	v_add_f32_e32 v3, v3, v20
	v_add_f32_e32 v4, v4, v19
.LBB53_656:
	s_or_b64 exec, exec, s[18:19]
.LBB53_657:
	s_or_b64 exec, exec, s[6:7]
	s_and_saveexec_b64 s[6:7], s[44:45]
	s_cbranch_execz .LBB53_659
; %bb.658:
	v_mov_b32_e32 v18, 0
	ds_read_b64 v[18:19], v18 offset:14040
	s_waitcnt lgkmcnt(0)
	v_mul_f32_e32 v20, v4, v19
	v_mul_f32_e32 v21, v3, v19
	v_fma_f32 v3, v3, v18, -v20
	v_fmac_f32_e32 v21, v4, v18
	v_xor_b32_e32 v18, 0x80000000, v3
	v_xor_b32_e32 v19, 0x80000000, v21
	v_mov_b32_e32 v4, v21
	ds_write_b64 v11, v[18:19]
.LBB53_659:
	s_or_b64 exec, exec, s[6:7]
	s_waitcnt lgkmcnt(0)
	s_barrier
	s_and_saveexec_b64 s[6:7], s[52:53]
	s_cbranch_execz .LBB53_661
; %bb.660:
	v_lshlrev_b32_e32 v18, 3, v9
	ds_read_b64 v[18:19], v18 offset:14016
	ds_read_b64 v[20:21], v11
	s_waitcnt lgkmcnt(0)
	v_mul_f32_e32 v22, v21, v19
	v_mul_f32_e32 v19, v20, v19
	v_fma_f32 v20, v20, v18, -v22
	v_fmac_f32_e32 v19, v21, v18
	v_sub_f32_e32 v3, v3, v20
	v_sub_f32_e32 v4, v4, v19
.LBB53_661:
	s_or_b64 exec, exec, s[6:7]
	s_barrier
	s_and_saveexec_b64 s[6:7], s[54:55]
	s_cbranch_execz .LBB53_663
; %bb.662:
	v_mov_b32_e32 v18, 0
	ds_read_b64 v[18:19], v18 offset:13520
	s_waitcnt lgkmcnt(0)
	v_mul_f32_e32 v20, v4, v19
	v_mul_f32_e32 v21, v3, v19
	v_fma_f32 v3, v3, v18, -v20
	v_fmac_f32_e32 v21, v4, v18
	v_xor_b32_e32 v18, 0x80000000, v3
	v_xor_b32_e32 v19, 0x80000000, v21
	v_mov_b32_e32 v4, v21
	ds_write_b64 v11, v[18:19]
.LBB53_663:
	s_or_b64 exec, exec, s[6:7]
	s_waitcnt lgkmcnt(0)
	s_barrier
	s_and_saveexec_b64 s[6:7], s[56:57]
	s_cbranch_execz .LBB53_665
; %bb.664:
	v_lshlrev_b32_e32 v18, 3, v9
	ds_read_b64 v[18:19], v18 offset:13504
	ds_read_b64 v[20:21], v11
	s_waitcnt lgkmcnt(0)
	v_mul_f32_e32 v22, v21, v19
	v_mul_f32_e32 v19, v20, v19
	v_fma_f32 v20, v20, v18, -v22
	v_fmac_f32_e32 v19, v21, v18
	v_sub_f32_e32 v3, v3, v20
	v_sub_f32_e32 v4, v4, v19
.LBB53_665:
	s_or_b64 exec, exec, s[6:7]
	s_barrier
	s_and_saveexec_b64 s[6:7], s[58:59]
	s_cbranch_execz .LBB53_667
; %bb.666:
	v_mov_b32_e32 v18, 0
	ds_read_b64 v[18:19], v18 offset:13000
	s_waitcnt lgkmcnt(0)
	v_mul_f32_e32 v20, v4, v19
	v_mul_f32_e32 v21, v3, v19
	v_fma_f32 v3, v3, v18, -v20
	v_fmac_f32_e32 v21, v4, v18
	v_xor_b32_e32 v18, 0x80000000, v3
	v_xor_b32_e32 v19, 0x80000000, v21
	v_mov_b32_e32 v4, v21
	ds_write_b64 v11, v[18:19]
.LBB53_667:
	s_or_b64 exec, exec, s[6:7]
	s_waitcnt lgkmcnt(0)
	s_barrier
	s_and_saveexec_b64 s[6:7], s[42:43]
	s_cbranch_execz .LBB53_669
; %bb.668:
	v_mov_b32_e32 v18, 0
	ds_read_b64 v[18:19], v18 offset:12992
	ds_read_b64 v[20:21], v11
	s_waitcnt lgkmcnt(0)
	v_mul_f32_e32 v22, v21, v19
	v_mul_f32_e32 v19, v20, v19
	v_fma_f32 v20, v20, v18, -v22
	v_fmac_f32_e32 v19, v21, v18
	v_sub_f32_e32 v3, v3, v20
	v_sub_f32_e32 v4, v4, v19
.LBB53_669:
	s_or_b64 exec, exec, s[6:7]
	s_barrier
	s_and_saveexec_b64 s[6:7], s[42:43]
	s_cbranch_execz .LBB53_671
; %bb.670:
	v_mov_b32_e32 v18, 0
	ds_read_b64 v[18:19], v18 offset:12480
	s_waitcnt lgkmcnt(0)
	v_mul_f32_e32 v20, v4, v19
	v_mul_f32_e32 v21, v3, v19
	v_fma_f32 v3, v3, v18, -v20
	v_fmac_f32_e32 v21, v4, v18
	v_xor_b32_e32 v18, 0x80000000, v3
	v_xor_b32_e32 v19, 0x80000000, v21
	v_mov_b32_e32 v4, v21
	ds_write_b64 v11, v[18:19]
.LBB53_671:
	s_or_b64 exec, exec, s[6:7]
	s_waitcnt lgkmcnt(0)
	s_barrier
	s_barrier
	s_and_saveexec_b64 s[6:7], s[10:11]
; %bb.672:
	v_lshlrev_b32_e32 v18, 3, v9
	v_lshl_or_b32 v18, v10, 9, v18
	ds_write_b64 v18, v[3:4] offset:14528
; %bb.673:
	s_or_b64 exec, exec, s[6:7]
	s_waitcnt lgkmcnt(0)
	s_barrier
	s_barrier
	s_and_saveexec_b64 s[6:7], s[60:61]
	s_cbranch_execz .LBB53_675
; %bb.674:
	v_lshlrev_b32_e32 v18, 9, v0
	ds_read_b64 v[3:4], v18 offset:14528
	s_movk_i32 s16, 0xfe08
	v_mad_i32_i24 v19, v0, s16, v18
	s_waitcnt lgkmcnt(0)
	ds_write_b64 v19, v[3:4] offset:12512
	ds_read_b64 v[3:4], v18 offset:14536
	s_waitcnt lgkmcnt(0)
	ds_write_b64 v19, v[3:4] offset:13024
	ds_read_b64 v[3:4], v18 offset:14544
	s_waitcnt lgkmcnt(0)
	ds_write_b64 v19, v[3:4] offset:13536
	ds_read_b64 v[3:4], v18 offset:14552
	s_waitcnt lgkmcnt(0)
	ds_write_b64 v19, v[3:4] offset:14048
.LBB53_675:
	s_or_b64 exec, exec, s[6:7]
	s_waitcnt lgkmcnt(0)
	s_barrier
	s_and_saveexec_b64 s[6:7], vcc
	s_cbranch_execz .LBB53_677
; %bb.676:
	s_movk_i32 s16, 0xd0
	v_mov_b32_e32 v3, 0
	v_add_u32_e64 v18, s16, 0
	ds_read_b64 v[3:4], v3 offset:14040
	ds_read2st64_b64 v[18:21], v18 offset0:26 offset1:27
	s_movk_i32 s16, 0x3000
	s_waitcnt lgkmcnt(0)
	v_mul_f32_e32 v22, v4, v19
	v_mul_f32_e32 v19, v3, v19
	v_fma_f32 v22, v3, v18, -v22
	v_fmac_f32_e32 v19, v4, v18
	v_mul_f32_e32 v3, v19, v21
	v_mul_f32_e32 v4, v22, v21
	v_fma_f32 v3, v22, v20, -v3
	v_fmac_f32_e32 v4, v19, v20
	v_add_u32_e64 v18, s16, 0
	ds_write2_b64 v18, v[3:4], v[3:4] offset0:155 offset1:218
.LBB53_677:
	s_or_b64 exec, exec, s[6:7]
	v_mov_b32_e32 v3, 0
	v_mov_b32_e32 v4, 0
	s_waitcnt lgkmcnt(0)
	s_barrier
	buffer_wbinvl1_vol
	s_and_saveexec_b64 s[6:7], s[22:23]
	s_cbranch_execz .LBB53_681
; %bb.678:
	v_lshlrev_b32_e32 v3, 3, v5
	v_lshlrev_b32_e32 v18, 9, v6
	ds_read_b64 v[3:4], v3 offset:13504
	ds_read_b64 v[18:19], v18 offset:13520
	v_cmp_gt_u32_e64 s[16:17], 2, v8
	s_waitcnt lgkmcnt(0)
	v_mul_f32_e32 v20, v19, v4
	v_mul_f32_e32 v4, v18, v4
	v_fma_f32 v18, v18, v3, -v20
	v_fmac_f32_e32 v4, v19, v3
	v_add_f32_e32 v3, 0, v18
	v_add_f32_e32 v4, 0, v4
	s_and_saveexec_b64 s[18:19], s[16:17]
	s_cbranch_execz .LBB53_680
; %bb.679:
	v_lshlrev_b32_e32 v18, 3, v0
	v_mov_b32_e32 v20, 0
	ds_read_b64 v[18:19], v18 offset:14016
	ds_read_b64 v[20:21], v20 offset:14040
	s_waitcnt lgkmcnt(0)
	v_mul_f32_e32 v22, v21, v19
	v_mul_f32_e32 v19, v20, v19
	v_fma_f32 v20, v20, v18, -v22
	v_fmac_f32_e32 v19, v21, v18
	v_add_f32_e32 v3, v3, v20
	v_add_f32_e32 v4, v4, v19
.LBB53_680:
	s_or_b64 exec, exec, s[18:19]
.LBB53_681:
	s_or_b64 exec, exec, s[6:7]
	s_and_saveexec_b64 s[6:7], s[36:37]
	s_cbranch_execz .LBB53_683
; %bb.682:
	v_mov_b32_e32 v18, 0
	ds_read_b64 v[18:19], v18 offset:13000
	s_waitcnt lgkmcnt(0)
	v_mul_f32_e32 v20, v4, v19
	v_mul_f32_e32 v21, v3, v19
	v_fma_f32 v3, v3, v18, -v20
	v_fmac_f32_e32 v21, v4, v18
	v_xor_b32_e32 v18, 0x80000000, v3
	v_xor_b32_e32 v19, 0x80000000, v21
	v_mov_b32_e32 v4, v21
	ds_write_b64 v7, v[18:19]
.LBB53_683:
	s_or_b64 exec, exec, s[6:7]
	s_waitcnt lgkmcnt(0)
	s_barrier
	s_and_saveexec_b64 s[6:7], s[34:35]
	s_cbranch_execz .LBB53_685
; %bb.684:
	v_mov_b32_e32 v18, 0
	ds_read_b64 v[18:19], v18 offset:12992
	ds_read_b64 v[20:21], v7
	s_waitcnt lgkmcnt(0)
	v_mul_f32_e32 v22, v21, v19
	v_mul_f32_e32 v19, v20, v19
	v_fma_f32 v20, v20, v18, -v22
	v_fmac_f32_e32 v19, v21, v18
	v_sub_f32_e32 v3, v3, v20
	v_sub_f32_e32 v4, v4, v19
.LBB53_685:
	s_or_b64 exec, exec, s[6:7]
	s_barrier
	s_and_saveexec_b64 s[6:7], s[34:35]
	s_cbranch_execz .LBB53_687
; %bb.686:
	v_mov_b32_e32 v18, 0
	ds_read_b64 v[18:19], v18 offset:12480
	s_waitcnt lgkmcnt(0)
	v_mul_f32_e32 v20, v4, v19
	v_mul_f32_e32 v21, v3, v19
	v_fma_f32 v3, v3, v18, -v20
	v_fmac_f32_e32 v21, v4, v18
	v_xor_b32_e32 v18, 0x80000000, v3
	v_xor_b32_e32 v19, 0x80000000, v21
	v_mov_b32_e32 v4, v21
	ds_write_b64 v7, v[18:19]
.LBB53_687:
	s_or_b64 exec, exec, s[6:7]
	s_waitcnt lgkmcnt(0)
	s_barrier
	s_barrier
	s_and_saveexec_b64 s[6:7], s[22:23]
; %bb.688:
	v_lshlrev_b32_e32 v18, 3, v5
	v_lshl_or_b32 v18, v6, 9, v18
	ds_write_b64 v18, v[3:4] offset:13504
; %bb.689:
	s_or_b64 exec, exec, s[6:7]
	s_waitcnt lgkmcnt(0)
	s_barrier
	s_barrier
	s_and_saveexec_b64 s[6:7], s[38:39]
	s_cbranch_execz .LBB53_691
; %bb.690:
	v_lshlrev_b32_e32 v18, 3, v0
	s_movk_i32 s16, 0x1f8
	v_mad_u32_u24 v19, v0, s16, v18
	ds_read_b64 v[3:4], v19 offset:13504
	s_waitcnt lgkmcnt(0)
	ds_write_b64 v18, v[3:4] offset:12496
	ds_read_b64 v[3:4], v19 offset:13512
	s_waitcnt lgkmcnt(0)
	ds_write_b64 v18, v[3:4] offset:13008
.LBB53_691:
	s_or_b64 exec, exec, s[6:7]
	s_waitcnt lgkmcnt(0)
	s_barrier
	s_and_saveexec_b64 s[6:7], vcc
	s_cbranch_execz .LBB53_693
; %bb.692:
	s_movk_i32 s16, 0xc0
	v_mov_b32_e32 v3, 0
	v_add_u32_e64 v18, s16, 0
	ds_read_b64 v[3:4], v3 offset:13000
	ds_read2st64_b64 v[18:21], v18 offset0:24 offset1:25
	s_movk_i32 s16, 0x3000
	s_waitcnt lgkmcnt(0)
	v_mul_f32_e32 v22, v4, v19
	v_mul_f32_e32 v19, v3, v19
	v_fma_f32 v22, v3, v18, -v22
	v_fmac_f32_e32 v19, v4, v18
	v_mul_f32_e32 v3, v19, v21
	v_mul_f32_e32 v4, v22, v21
	v_fma_f32 v3, v22, v20, -v3
	v_fmac_f32_e32 v4, v19, v20
	v_add_u32_e64 v18, s16, 0
	ds_write2_b64 v18, v[3:4], v[3:4] offset0:25 offset1:88
.LBB53_693:
	s_or_b64 exec, exec, s[6:7]
	v_mov_b32_e32 v4, 0
	v_mov_b32_e32 v3, 0
	s_waitcnt lgkmcnt(0)
	s_barrier
	buffer_wbinvl1_vol
	s_and_saveexec_b64 s[6:7], s[12:13]
	s_cbranch_execz .LBB53_703
; %bb.694:
	v_lshlrev_b32_e32 v18, 3, v12
	v_lshlrev_b32_e32 v19, 9, v13
	ds_read_b64 v[3:4], v18 offset:12416
	ds_read_b64 v[20:21], v19 offset:12480
	v_cmp_gt_u32_e64 s[16:17], 56, v8
	s_waitcnt lgkmcnt(0)
	v_mul_f32_e32 v22, v21, v4
	v_mul_f32_e32 v4, v20, v4
	v_fma_f32 v20, v20, v3, -v22
	v_fmac_f32_e32 v4, v21, v3
	v_add_f32_e32 v3, 0, v20
	v_add_f32_e32 v4, 0, v4
	s_and_saveexec_b64 s[18:19], s[16:17]
	s_cbranch_execnz .LBB53_1144
; %bb.695:
	s_or_b64 exec, exec, s[18:19]
	v_cmp_gt_u32_e64 s[16:17], 48, v8
	s_and_saveexec_b64 s[18:19], s[16:17]
	s_cbranch_execnz .LBB53_1145
.LBB53_696:
	s_or_b64 exec, exec, s[18:19]
	v_cmp_gt_u32_e64 s[16:17], 40, v8
	s_and_saveexec_b64 s[18:19], s[16:17]
	s_cbranch_execnz .LBB53_1146
.LBB53_697:
	s_or_b64 exec, exec, s[18:19]
	v_cmp_gt_u32_e64 s[16:17], 32, v8
	s_and_saveexec_b64 s[18:19], s[16:17]
	s_cbranch_execnz .LBB53_1147
.LBB53_698:
	s_or_b64 exec, exec, s[18:19]
	v_cmp_gt_u32_e64 s[16:17], 24, v8
	s_and_saveexec_b64 s[18:19], s[16:17]
	s_cbranch_execnz .LBB53_1148
.LBB53_699:
	s_or_b64 exec, exec, s[18:19]
	s_and_saveexec_b64 s[16:17], s[10:11]
	s_cbranch_execnz .LBB53_1149
.LBB53_700:
	s_or_b64 exec, exec, s[16:17]
	v_cmp_gt_u32_e64 s[16:17], 8, v8
	s_and_saveexec_b64 s[18:19], s[16:17]
	s_cbranch_execz .LBB53_702
.LBB53_701:
	v_lshlrev_b32_e32 v18, 3, v0
	v_mov_b32_e32 v20, 0
	ds_read_b64 v[18:19], v18 offset:16000
	ds_read_b64 v[20:21], v20 offset:16120
	s_waitcnt lgkmcnt(0)
	v_mul_f32_e32 v22, v21, v19
	v_mul_f32_e32 v19, v20, v19
	v_fma_f32 v20, v20, v18, -v22
	v_fmac_f32_e32 v19, v21, v18
	v_add_f32_e32 v3, v3, v20
	v_add_f32_e32 v4, v4, v19
.LBB53_702:
	s_or_b64 exec, exec, s[18:19]
.LBB53_703:
	s_or_b64 exec, exec, s[6:7]
	s_and_saveexec_b64 s[6:7], s[64:65]
	s_cbranch_execz .LBB53_705
; %bb.704:
	v_mov_b32_e32 v18, 0
	ds_read_b64 v[18:19], v18 offset:11960
	s_waitcnt lgkmcnt(0)
	v_mul_f32_e32 v20, v4, v19
	v_mul_f32_e32 v21, v3, v19
	v_fma_f32 v3, v3, v18, -v20
	v_fmac_f32_e32 v21, v4, v18
	v_xor_b32_e32 v18, 0x80000000, v3
	v_xor_b32_e32 v19, 0x80000000, v21
	v_mov_b32_e32 v4, v21
	ds_write_b64 v14, v[18:19]
.LBB53_705:
	s_or_b64 exec, exec, s[6:7]
	s_waitcnt lgkmcnt(0)
	s_barrier
	s_and_saveexec_b64 s[6:7], s[66:67]
	s_cbranch_execz .LBB53_707
; %bb.706:
	v_lshlrev_b32_e32 v18, 3, v12
	ds_read_b64 v[18:19], v18 offset:11904
	ds_read_b64 v[20:21], v14
	s_waitcnt lgkmcnt(0)
	v_mul_f32_e32 v22, v21, v19
	v_mul_f32_e32 v19, v20, v19
	v_fma_f32 v20, v20, v18, -v22
	v_fmac_f32_e32 v19, v21, v18
	v_sub_f32_e32 v3, v3, v20
	v_sub_f32_e32 v4, v4, v19
.LBB53_707:
	s_or_b64 exec, exec, s[6:7]
	s_barrier
	s_and_saveexec_b64 s[6:7], s[68:69]
	s_cbranch_execz .LBB53_709
; %bb.708:
	v_mov_b32_e32 v18, 0
	ds_read_b64 v[18:19], v18 offset:11440
	s_waitcnt lgkmcnt(0)
	v_mul_f32_e32 v20, v4, v19
	v_mul_f32_e32 v21, v3, v19
	v_fma_f32 v3, v3, v18, -v20
	v_fmac_f32_e32 v21, v4, v18
	v_xor_b32_e32 v18, 0x80000000, v3
	v_xor_b32_e32 v19, 0x80000000, v21
	v_mov_b32_e32 v4, v21
	ds_write_b64 v14, v[18:19]
.LBB53_709:
	s_or_b64 exec, exec, s[6:7]
	s_waitcnt lgkmcnt(0)
	s_barrier
	s_and_saveexec_b64 s[6:7], s[70:71]
	s_cbranch_execz .LBB53_711
; %bb.710:
	v_lshlrev_b32_e32 v18, 3, v12
	ds_read_b64 v[18:19], v18 offset:11392
	ds_read_b64 v[20:21], v14
	s_waitcnt lgkmcnt(0)
	v_mul_f32_e32 v22, v21, v19
	v_mul_f32_e32 v19, v20, v19
	v_fma_f32 v20, v20, v18, -v22
	v_fmac_f32_e32 v19, v21, v18
	v_sub_f32_e32 v3, v3, v20
	v_sub_f32_e32 v4, v4, v19
.LBB53_711:
	s_or_b64 exec, exec, s[6:7]
	s_barrier
	;; [unrolled: 34-line block ×6, first 2 shown]
	s_and_saveexec_b64 s[6:7], s[88:89]
	s_cbranch_execz .LBB53_729
; %bb.728:
	v_mov_b32_e32 v18, 0
	ds_read_b64 v[18:19], v18 offset:8840
	s_waitcnt lgkmcnt(0)
	v_mul_f32_e32 v20, v4, v19
	v_mul_f32_e32 v21, v3, v19
	v_fma_f32 v3, v3, v18, -v20
	v_fmac_f32_e32 v21, v4, v18
	v_xor_b32_e32 v18, 0x80000000, v3
	v_xor_b32_e32 v19, 0x80000000, v21
	v_mov_b32_e32 v4, v21
	ds_write_b64 v14, v[18:19]
.LBB53_729:
	s_or_b64 exec, exec, s[6:7]
	s_waitcnt lgkmcnt(0)
	s_barrier
	s_and_saveexec_b64 s[6:7], s[62:63]
	s_cbranch_execz .LBB53_731
; %bb.730:
	v_mov_b32_e32 v18, 0
	ds_read_b64 v[18:19], v18 offset:8832
	ds_read_b64 v[20:21], v14
	s_waitcnt lgkmcnt(0)
	v_mul_f32_e32 v22, v21, v19
	v_mul_f32_e32 v19, v20, v19
	v_fma_f32 v20, v20, v18, -v22
	v_fmac_f32_e32 v19, v21, v18
	v_sub_f32_e32 v3, v3, v20
	v_sub_f32_e32 v4, v4, v19
.LBB53_731:
	s_or_b64 exec, exec, s[6:7]
	s_barrier
	s_and_saveexec_b64 s[6:7], s[62:63]
	s_cbranch_execz .LBB53_733
; %bb.732:
	v_mov_b32_e32 v18, 0
	ds_read_b64 v[18:19], v18 offset:8320
	s_waitcnt lgkmcnt(0)
	v_mul_f32_e32 v20, v4, v19
	v_mul_f32_e32 v21, v3, v19
	v_fma_f32 v3, v3, v18, -v20
	v_fmac_f32_e32 v21, v4, v18
	v_xor_b32_e32 v18, 0x80000000, v3
	v_xor_b32_e32 v19, 0x80000000, v21
	v_mov_b32_e32 v4, v21
	ds_write_b64 v14, v[18:19]
.LBB53_733:
	s_or_b64 exec, exec, s[6:7]
	s_waitcnt lgkmcnt(0)
	s_barrier
	s_barrier
	s_and_saveexec_b64 s[6:7], s[12:13]
; %bb.734:
	v_lshlrev_b32_e32 v18, 3, v12
	v_lshl_or_b32 v18, v13, 9, v18
	ds_write_b64 v18, v[3:4] offset:12416
; %bb.735:
	s_or_b64 exec, exec, s[6:7]
	s_waitcnt lgkmcnt(0)
	s_barrier
	s_barrier
	s_and_saveexec_b64 s[6:7], s[90:91]
	s_cbranch_execz .LBB53_737
; %bb.736:
	v_lshlrev_b32_e32 v18, 9, v0
	ds_read_b64 v[3:4], v18 offset:12416
	s_movk_i32 s16, 0xfe08
	v_mad_i32_i24 v19, v0, s16, v18
	s_waitcnt lgkmcnt(0)
	ds_write_b64 v19, v[3:4] offset:8384
	ds_read_b64 v[3:4], v18 offset:12424
	s_waitcnt lgkmcnt(0)
	ds_write_b64 v19, v[3:4] offset:8896
	ds_read_b64 v[3:4], v18 offset:12432
	;; [unrolled: 3-line block ×7, first 2 shown]
	s_waitcnt lgkmcnt(0)
	ds_write_b64 v19, v[3:4] offset:11968
.LBB53_737:
	s_or_b64 exec, exec, s[6:7]
	s_waitcnt lgkmcnt(0)
	s_barrier
	s_and_saveexec_b64 s[6:7], vcc
	s_cbranch_execz .LBB53_739
; %bb.738:
	s_movk_i32 s16, 0xb0
	v_mov_b32_e32 v3, 0
	v_add_u32_e64 v18, s16, 0
	ds_read_b64 v[3:4], v3 offset:11960
	ds_read2st64_b64 v[18:21], v18 offset0:22 offset1:23
	s_movk_i32 s16, 0x2800
	s_waitcnt lgkmcnt(0)
	v_mul_f32_e32 v22, v4, v19
	v_mul_f32_e32 v19, v3, v19
	v_fma_f32 v22, v3, v18, -v22
	v_fmac_f32_e32 v19, v4, v18
	v_mul_f32_e32 v3, v19, v21
	v_mul_f32_e32 v4, v22, v21
	v_fma_f32 v3, v22, v20, -v3
	v_fmac_f32_e32 v4, v19, v20
	v_add_u32_e64 v18, s16, 0
	ds_write2_b64 v18, v[3:4], v[3:4] offset0:151 offset1:214
.LBB53_739:
	s_or_b64 exec, exec, s[6:7]
	v_mov_b32_e32 v3, 0
	v_mov_b32_e32 v4, 0
	s_waitcnt lgkmcnt(0)
	s_barrier
	buffer_wbinvl1_vol
	s_and_saveexec_b64 s[6:7], s[22:23]
	s_cbranch_execz .LBB53_743
; %bb.740:
	v_lshlrev_b32_e32 v3, 3, v5
	v_lshlrev_b32_e32 v18, 9, v6
	ds_read_b64 v[3:4], v3 offset:11424
	ds_read_b64 v[18:19], v18 offset:11440
	v_cmp_gt_u32_e64 s[16:17], 2, v8
	s_waitcnt lgkmcnt(0)
	v_mul_f32_e32 v20, v19, v4
	v_mul_f32_e32 v4, v18, v4
	v_fma_f32 v18, v18, v3, -v20
	v_fmac_f32_e32 v4, v19, v3
	v_add_f32_e32 v3, 0, v18
	v_add_f32_e32 v4, 0, v4
	s_and_saveexec_b64 s[18:19], s[16:17]
	s_cbranch_execz .LBB53_742
; %bb.741:
	v_lshlrev_b32_e32 v18, 3, v0
	v_mov_b32_e32 v20, 0
	ds_read_b64 v[18:19], v18 offset:11936
	ds_read_b64 v[20:21], v20 offset:11960
	s_waitcnt lgkmcnt(0)
	v_mul_f32_e32 v22, v21, v19
	v_mul_f32_e32 v19, v20, v19
	v_fma_f32 v20, v20, v18, -v22
	v_fmac_f32_e32 v19, v21, v18
	v_add_f32_e32 v3, v3, v20
	v_add_f32_e32 v4, v4, v19
.LBB53_742:
	s_or_b64 exec, exec, s[18:19]
.LBB53_743:
	s_or_b64 exec, exec, s[6:7]
	s_and_saveexec_b64 s[6:7], s[36:37]
	s_cbranch_execz .LBB53_745
; %bb.744:
	v_mov_b32_e32 v18, 0
	ds_read_b64 v[18:19], v18 offset:10920
	s_waitcnt lgkmcnt(0)
	v_mul_f32_e32 v20, v4, v19
	v_mul_f32_e32 v21, v3, v19
	v_fma_f32 v3, v3, v18, -v20
	v_fmac_f32_e32 v21, v4, v18
	v_xor_b32_e32 v18, 0x80000000, v3
	v_xor_b32_e32 v19, 0x80000000, v21
	v_mov_b32_e32 v4, v21
	ds_write_b64 v7, v[18:19]
.LBB53_745:
	s_or_b64 exec, exec, s[6:7]
	s_waitcnt lgkmcnt(0)
	s_barrier
	s_and_saveexec_b64 s[6:7], s[34:35]
	s_cbranch_execz .LBB53_747
; %bb.746:
	v_mov_b32_e32 v18, 0
	ds_read_b64 v[18:19], v18 offset:10912
	ds_read_b64 v[20:21], v7
	s_waitcnt lgkmcnt(0)
	v_mul_f32_e32 v22, v21, v19
	v_mul_f32_e32 v19, v20, v19
	v_fma_f32 v20, v20, v18, -v22
	v_fmac_f32_e32 v19, v21, v18
	v_sub_f32_e32 v3, v3, v20
	v_sub_f32_e32 v4, v4, v19
.LBB53_747:
	s_or_b64 exec, exec, s[6:7]
	s_barrier
	s_and_saveexec_b64 s[6:7], s[34:35]
	s_cbranch_execz .LBB53_749
; %bb.748:
	v_mov_b32_e32 v18, 0
	ds_read_b64 v[18:19], v18 offset:10400
	s_waitcnt lgkmcnt(0)
	v_mul_f32_e32 v20, v4, v19
	v_mul_f32_e32 v21, v3, v19
	v_fma_f32 v3, v3, v18, -v20
	v_fmac_f32_e32 v21, v4, v18
	v_xor_b32_e32 v18, 0x80000000, v3
	v_xor_b32_e32 v19, 0x80000000, v21
	v_mov_b32_e32 v4, v21
	ds_write_b64 v7, v[18:19]
.LBB53_749:
	s_or_b64 exec, exec, s[6:7]
	s_waitcnt lgkmcnt(0)
	s_barrier
	s_barrier
	s_and_saveexec_b64 s[6:7], s[22:23]
; %bb.750:
	v_lshlrev_b32_e32 v18, 3, v5
	v_lshl_or_b32 v18, v6, 9, v18
	ds_write_b64 v18, v[3:4] offset:11424
; %bb.751:
	s_or_b64 exec, exec, s[6:7]
	s_waitcnt lgkmcnt(0)
	s_barrier
	s_barrier
	s_and_saveexec_b64 s[6:7], s[38:39]
	s_cbranch_execz .LBB53_753
; %bb.752:
	v_lshlrev_b32_e32 v18, 3, v0
	s_movk_i32 s16, 0x1f8
	v_mad_u32_u24 v19, v0, s16, v18
	ds_read_b64 v[3:4], v19 offset:11424
	s_waitcnt lgkmcnt(0)
	ds_write_b64 v18, v[3:4] offset:10416
	ds_read_b64 v[3:4], v19 offset:11432
	s_waitcnt lgkmcnt(0)
	ds_write_b64 v18, v[3:4] offset:10928
.LBB53_753:
	s_or_b64 exec, exec, s[6:7]
	s_waitcnt lgkmcnt(0)
	s_barrier
	s_and_saveexec_b64 s[6:7], vcc
	s_cbranch_execz .LBB53_755
; %bb.754:
	s_movk_i32 s16, 0xa0
	v_mov_b32_e32 v3, 0
	v_add_u32_e64 v18, s16, 0
	ds_read_b64 v[3:4], v3 offset:10920
	ds_read2st64_b64 v[18:21], v18 offset0:20 offset1:21
	s_movk_i32 s16, 0x2800
	s_waitcnt lgkmcnt(0)
	v_mul_f32_e32 v22, v4, v19
	v_mul_f32_e32 v19, v3, v19
	v_fma_f32 v22, v3, v18, -v22
	v_fmac_f32_e32 v19, v4, v18
	v_mul_f32_e32 v3, v19, v21
	v_mul_f32_e32 v4, v22, v21
	v_fma_f32 v3, v22, v20, -v3
	v_fmac_f32_e32 v4, v19, v20
	v_add_u32_e64 v18, s16, 0
	ds_write2_b64 v18, v[3:4], v[3:4] offset0:21 offset1:84
.LBB53_755:
	s_or_b64 exec, exec, s[6:7]
	v_mov_b32_e32 v4, 0
	v_mov_b32_e32 v3, 0
	s_waitcnt lgkmcnt(0)
	s_barrier
	buffer_wbinvl1_vol
	s_and_saveexec_b64 s[6:7], s[10:11]
	s_cbranch_execz .LBB53_761
; %bb.756:
	v_lshlrev_b32_e32 v18, 3, v9
	v_lshlrev_b32_e32 v19, 9, v10
	ds_read_b64 v[3:4], v18 offset:10368
	ds_read_b64 v[20:21], v19 offset:10400
	v_cmp_gt_u32_e64 s[16:17], 12, v8
	s_waitcnt lgkmcnt(0)
	v_mul_f32_e32 v22, v21, v4
	v_mul_f32_e32 v4, v20, v4
	v_fma_f32 v20, v20, v3, -v22
	v_fmac_f32_e32 v4, v21, v3
	v_add_f32_e32 v3, 0, v20
	v_add_f32_e32 v4, 0, v4
	s_and_saveexec_b64 s[18:19], s[16:17]
	s_cbranch_execnz .LBB53_1150
; %bb.757:
	s_or_b64 exec, exec, s[18:19]
	v_cmp_gt_u32_e64 s[16:17], 8, v8
	s_and_saveexec_b64 s[18:19], s[16:17]
	s_cbranch_execnz .LBB53_1151
.LBB53_758:
	s_or_b64 exec, exec, s[18:19]
	v_cmp_gt_u32_e64 s[16:17], 4, v8
	s_and_saveexec_b64 s[18:19], s[16:17]
	s_cbranch_execz .LBB53_760
.LBB53_759:
	v_lshlrev_b32_e32 v18, 3, v0
	v_mov_b32_e32 v20, 0
	ds_read_b64 v[18:19], v18 offset:11904
	ds_read_b64 v[20:21], v20 offset:11960
	s_waitcnt lgkmcnt(0)
	v_mul_f32_e32 v22, v21, v19
	v_mul_f32_e32 v19, v20, v19
	v_fma_f32 v20, v20, v18, -v22
	v_fmac_f32_e32 v19, v21, v18
	v_add_f32_e32 v3, v3, v20
	v_add_f32_e32 v4, v4, v19
.LBB53_760:
	s_or_b64 exec, exec, s[18:19]
.LBB53_761:
	s_or_b64 exec, exec, s[6:7]
	s_and_saveexec_b64 s[6:7], s[44:45]
	s_cbranch_execz .LBB53_763
; %bb.762:
	v_mov_b32_e32 v18, 0
	ds_read_b64 v[18:19], v18 offset:9880
	s_waitcnt lgkmcnt(0)
	v_mul_f32_e32 v20, v4, v19
	v_mul_f32_e32 v21, v3, v19
	v_fma_f32 v3, v3, v18, -v20
	v_fmac_f32_e32 v21, v4, v18
	v_xor_b32_e32 v18, 0x80000000, v3
	v_xor_b32_e32 v19, 0x80000000, v21
	v_mov_b32_e32 v4, v21
	ds_write_b64 v11, v[18:19]
.LBB53_763:
	s_or_b64 exec, exec, s[6:7]
	s_waitcnt lgkmcnt(0)
	s_barrier
	s_and_saveexec_b64 s[6:7], s[52:53]
	s_cbranch_execz .LBB53_765
; %bb.764:
	v_lshlrev_b32_e32 v18, 3, v9
	ds_read_b64 v[18:19], v18 offset:9856
	ds_read_b64 v[20:21], v11
	s_waitcnt lgkmcnt(0)
	v_mul_f32_e32 v22, v21, v19
	v_mul_f32_e32 v19, v20, v19
	v_fma_f32 v20, v20, v18, -v22
	v_fmac_f32_e32 v19, v21, v18
	v_sub_f32_e32 v3, v3, v20
	v_sub_f32_e32 v4, v4, v19
.LBB53_765:
	s_or_b64 exec, exec, s[6:7]
	s_barrier
	s_and_saveexec_b64 s[6:7], s[54:55]
	s_cbranch_execz .LBB53_767
; %bb.766:
	v_mov_b32_e32 v18, 0
	ds_read_b64 v[18:19], v18 offset:9360
	s_waitcnt lgkmcnt(0)
	v_mul_f32_e32 v20, v4, v19
	v_mul_f32_e32 v21, v3, v19
	v_fma_f32 v3, v3, v18, -v20
	v_fmac_f32_e32 v21, v4, v18
	v_xor_b32_e32 v18, 0x80000000, v3
	v_xor_b32_e32 v19, 0x80000000, v21
	v_mov_b32_e32 v4, v21
	ds_write_b64 v11, v[18:19]
.LBB53_767:
	s_or_b64 exec, exec, s[6:7]
	s_waitcnt lgkmcnt(0)
	s_barrier
	s_and_saveexec_b64 s[6:7], s[56:57]
	s_cbranch_execz .LBB53_769
; %bb.768:
	v_lshlrev_b32_e32 v18, 3, v9
	ds_read_b64 v[18:19], v18 offset:9344
	ds_read_b64 v[20:21], v11
	s_waitcnt lgkmcnt(0)
	v_mul_f32_e32 v22, v21, v19
	v_mul_f32_e32 v19, v20, v19
	v_fma_f32 v20, v20, v18, -v22
	v_fmac_f32_e32 v19, v21, v18
	v_sub_f32_e32 v3, v3, v20
	v_sub_f32_e32 v4, v4, v19
.LBB53_769:
	s_or_b64 exec, exec, s[6:7]
	s_barrier
	s_and_saveexec_b64 s[6:7], s[58:59]
	s_cbranch_execz .LBB53_771
; %bb.770:
	v_mov_b32_e32 v18, 0
	ds_read_b64 v[18:19], v18 offset:8840
	s_waitcnt lgkmcnt(0)
	v_mul_f32_e32 v20, v4, v19
	v_mul_f32_e32 v21, v3, v19
	v_fma_f32 v3, v3, v18, -v20
	v_fmac_f32_e32 v21, v4, v18
	v_xor_b32_e32 v18, 0x80000000, v3
	v_xor_b32_e32 v19, 0x80000000, v21
	v_mov_b32_e32 v4, v21
	ds_write_b64 v11, v[18:19]
.LBB53_771:
	s_or_b64 exec, exec, s[6:7]
	s_waitcnt lgkmcnt(0)
	s_barrier
	s_and_saveexec_b64 s[6:7], s[42:43]
	s_cbranch_execz .LBB53_773
; %bb.772:
	v_mov_b32_e32 v18, 0
	ds_read_b64 v[18:19], v18 offset:8832
	ds_read_b64 v[20:21], v11
	s_waitcnt lgkmcnt(0)
	v_mul_f32_e32 v22, v21, v19
	v_mul_f32_e32 v19, v20, v19
	v_fma_f32 v20, v20, v18, -v22
	v_fmac_f32_e32 v19, v21, v18
	v_sub_f32_e32 v3, v3, v20
	v_sub_f32_e32 v4, v4, v19
.LBB53_773:
	s_or_b64 exec, exec, s[6:7]
	s_barrier
	s_and_saveexec_b64 s[6:7], s[42:43]
	s_cbranch_execz .LBB53_775
; %bb.774:
	v_mov_b32_e32 v18, 0
	ds_read_b64 v[18:19], v18 offset:8320
	s_waitcnt lgkmcnt(0)
	v_mul_f32_e32 v20, v4, v19
	v_mul_f32_e32 v21, v3, v19
	v_fma_f32 v3, v3, v18, -v20
	v_fmac_f32_e32 v21, v4, v18
	v_xor_b32_e32 v18, 0x80000000, v3
	v_xor_b32_e32 v19, 0x80000000, v21
	v_mov_b32_e32 v4, v21
	ds_write_b64 v11, v[18:19]
.LBB53_775:
	s_or_b64 exec, exec, s[6:7]
	s_waitcnt lgkmcnt(0)
	s_barrier
	s_barrier
	s_and_saveexec_b64 s[6:7], s[10:11]
; %bb.776:
	v_lshlrev_b32_e32 v18, 3, v9
	v_lshl_or_b32 v18, v10, 9, v18
	ds_write_b64 v18, v[3:4] offset:10368
; %bb.777:
	s_or_b64 exec, exec, s[6:7]
	s_waitcnt lgkmcnt(0)
	s_barrier
	s_barrier
	s_and_saveexec_b64 s[6:7], s[60:61]
	s_cbranch_execz .LBB53_779
; %bb.778:
	v_lshlrev_b32_e32 v18, 9, v0
	ds_read_b64 v[3:4], v18 offset:10368
	s_movk_i32 s16, 0xfe08
	v_mad_i32_i24 v19, v0, s16, v18
	s_waitcnt lgkmcnt(0)
	ds_write_b64 v19, v[3:4] offset:8352
	ds_read_b64 v[3:4], v18 offset:10376
	s_waitcnt lgkmcnt(0)
	ds_write_b64 v19, v[3:4] offset:8864
	ds_read_b64 v[3:4], v18 offset:10384
	;; [unrolled: 3-line block ×3, first 2 shown]
	s_waitcnt lgkmcnt(0)
	ds_write_b64 v19, v[3:4] offset:9888
.LBB53_779:
	s_or_b64 exec, exec, s[6:7]
	s_waitcnt lgkmcnt(0)
	s_barrier
	s_and_saveexec_b64 s[6:7], vcc
	s_cbranch_execz .LBB53_781
; %bb.780:
	s_movk_i32 s16, 0x90
	v_mov_b32_e32 v3, 0
	v_add_u32_e64 v18, s16, 0
	ds_read_b64 v[3:4], v3 offset:9880
	ds_read2st64_b64 v[18:21], v18 offset0:18 offset1:19
	s_movk_i32 s16, 0x2000
	s_waitcnt lgkmcnt(0)
	v_mul_f32_e32 v22, v4, v19
	v_mul_f32_e32 v19, v3, v19
	v_fma_f32 v22, v3, v18, -v22
	v_fmac_f32_e32 v19, v4, v18
	v_mul_f32_e32 v3, v19, v21
	v_mul_f32_e32 v4, v22, v21
	v_fma_f32 v3, v22, v20, -v3
	v_fmac_f32_e32 v4, v19, v20
	v_add_u32_e64 v18, s16, 0
	ds_write2_b64 v18, v[3:4], v[3:4] offset0:147 offset1:210
.LBB53_781:
	s_or_b64 exec, exec, s[6:7]
	v_mov_b32_e32 v3, 0
	v_mov_b32_e32 v4, 0
	s_waitcnt lgkmcnt(0)
	s_barrier
	buffer_wbinvl1_vol
	s_and_saveexec_b64 s[6:7], s[22:23]
	s_cbranch_execz .LBB53_785
; %bb.782:
	v_lshlrev_b32_e32 v3, 3, v5
	v_lshlrev_b32_e32 v18, 9, v6
	ds_read_b64 v[3:4], v3 offset:9344
	ds_read_b64 v[18:19], v18 offset:9360
	v_cmp_gt_u32_e64 s[16:17], 2, v8
	s_waitcnt lgkmcnt(0)
	v_mul_f32_e32 v20, v19, v4
	v_mul_f32_e32 v4, v18, v4
	v_fma_f32 v18, v18, v3, -v20
	v_fmac_f32_e32 v4, v19, v3
	v_add_f32_e32 v3, 0, v18
	v_add_f32_e32 v4, 0, v4
	s_and_saveexec_b64 s[18:19], s[16:17]
	s_cbranch_execz .LBB53_784
; %bb.783:
	v_lshlrev_b32_e32 v18, 3, v0
	v_mov_b32_e32 v20, 0
	ds_read_b64 v[18:19], v18 offset:9856
	ds_read_b64 v[20:21], v20 offset:9880
	s_waitcnt lgkmcnt(0)
	v_mul_f32_e32 v22, v21, v19
	v_mul_f32_e32 v19, v20, v19
	v_fma_f32 v20, v20, v18, -v22
	v_fmac_f32_e32 v19, v21, v18
	v_add_f32_e32 v3, v3, v20
	v_add_f32_e32 v4, v4, v19
.LBB53_784:
	s_or_b64 exec, exec, s[18:19]
.LBB53_785:
	s_or_b64 exec, exec, s[6:7]
	s_and_saveexec_b64 s[6:7], s[36:37]
	s_cbranch_execz .LBB53_787
; %bb.786:
	v_mov_b32_e32 v18, 0
	ds_read_b64 v[18:19], v18 offset:8840
	s_waitcnt lgkmcnt(0)
	v_mul_f32_e32 v20, v4, v19
	v_mul_f32_e32 v21, v3, v19
	v_fma_f32 v3, v3, v18, -v20
	v_fmac_f32_e32 v21, v4, v18
	v_xor_b32_e32 v18, 0x80000000, v3
	v_xor_b32_e32 v19, 0x80000000, v21
	v_mov_b32_e32 v4, v21
	ds_write_b64 v7, v[18:19]
.LBB53_787:
	s_or_b64 exec, exec, s[6:7]
	s_waitcnt lgkmcnt(0)
	s_barrier
	s_and_saveexec_b64 s[6:7], s[34:35]
	s_cbranch_execz .LBB53_789
; %bb.788:
	v_mov_b32_e32 v18, 0
	ds_read_b64 v[18:19], v18 offset:8832
	ds_read_b64 v[20:21], v7
	s_waitcnt lgkmcnt(0)
	v_mul_f32_e32 v22, v21, v19
	v_mul_f32_e32 v19, v20, v19
	v_fma_f32 v20, v20, v18, -v22
	v_fmac_f32_e32 v19, v21, v18
	v_sub_f32_e32 v3, v3, v20
	v_sub_f32_e32 v4, v4, v19
.LBB53_789:
	s_or_b64 exec, exec, s[6:7]
	s_barrier
	s_and_saveexec_b64 s[6:7], s[34:35]
	s_cbranch_execz .LBB53_791
; %bb.790:
	v_mov_b32_e32 v18, 0
	ds_read_b64 v[18:19], v18 offset:8320
	s_waitcnt lgkmcnt(0)
	v_mul_f32_e32 v20, v4, v19
	v_mul_f32_e32 v21, v3, v19
	v_fma_f32 v3, v3, v18, -v20
	v_fmac_f32_e32 v21, v4, v18
	v_xor_b32_e32 v18, 0x80000000, v3
	v_xor_b32_e32 v19, 0x80000000, v21
	v_mov_b32_e32 v4, v21
	ds_write_b64 v7, v[18:19]
.LBB53_791:
	s_or_b64 exec, exec, s[6:7]
	s_waitcnt lgkmcnt(0)
	s_barrier
	s_barrier
	s_and_saveexec_b64 s[6:7], s[22:23]
; %bb.792:
	v_lshlrev_b32_e32 v18, 3, v5
	v_lshl_or_b32 v18, v6, 9, v18
	ds_write_b64 v18, v[3:4] offset:9344
; %bb.793:
	s_or_b64 exec, exec, s[6:7]
	s_waitcnt lgkmcnt(0)
	s_barrier
	s_barrier
	s_and_saveexec_b64 s[6:7], s[38:39]
	s_cbranch_execz .LBB53_795
; %bb.794:
	v_lshlrev_b32_e32 v18, 3, v0
	s_movk_i32 s16, 0x1f8
	v_mad_u32_u24 v19, v0, s16, v18
	ds_read_b64 v[3:4], v19 offset:9344
	s_waitcnt lgkmcnt(0)
	ds_write_b64 v18, v[3:4] offset:8336
	ds_read_b64 v[3:4], v19 offset:9352
	s_waitcnt lgkmcnt(0)
	ds_write_b64 v18, v[3:4] offset:8848
.LBB53_795:
	s_or_b64 exec, exec, s[6:7]
	s_waitcnt lgkmcnt(0)
	s_barrier
	s_and_saveexec_b64 s[6:7], vcc
	s_cbranch_execz .LBB53_797
; %bb.796:
	s_movk_i32 s16, 0x80
	v_mov_b32_e32 v3, 0
	v_add_u32_e64 v18, s16, 0
	ds_read_b64 v[3:4], v3 offset:8840
	ds_read2st64_b64 v[18:21], v18 offset0:16 offset1:17
	s_movk_i32 s16, 0x2000
	s_waitcnt lgkmcnt(0)
	v_mul_f32_e32 v22, v4, v19
	v_mul_f32_e32 v19, v3, v19
	v_fma_f32 v22, v3, v18, -v22
	v_fmac_f32_e32 v19, v4, v18
	v_mul_f32_e32 v3, v19, v21
	v_mul_f32_e32 v4, v22, v21
	v_fma_f32 v3, v22, v20, -v3
	v_fmac_f32_e32 v4, v19, v20
	v_add_u32_e64 v18, s16, 0
	ds_write2_b64 v18, v[3:4], v[3:4] offset0:17 offset1:80
.LBB53_797:
	s_or_b64 exec, exec, s[6:7]
	v_mov_b32_e32 v4, 0
	v_mov_b32_e32 v3, 0
	s_waitcnt lgkmcnt(0)
	s_barrier
	buffer_wbinvl1_vol
	s_and_saveexec_b64 s[6:7], s[14:15]
	s_cbranch_execz .LBB53_825
; %bb.798:
	v_lshlrev_b32_e32 v18, 3, v15
	v_lshlrev_b32_e32 v19, 9, v16
	ds_read_b64 v[3:4], v18 offset:8192
	ds_read_b64 v[20:21], v19 offset:8320
	s_movk_i32 s16, 0xf0
	v_cmp_gt_u32_e64 s[16:17], s16, v8
	s_waitcnt lgkmcnt(0)
	v_mul_f32_e32 v22, v21, v4
	v_mul_f32_e32 v4, v20, v4
	v_fma_f32 v20, v20, v3, -v22
	v_fmac_f32_e32 v4, v21, v3
	v_add_f32_e32 v3, 0, v20
	v_add_f32_e32 v4, 0, v4
	s_and_saveexec_b64 s[18:19], s[16:17]
	s_cbranch_execz .LBB53_800
; %bb.799:
	ds_read_b64 v[20:21], v18 offset:8704
	ds_read_b64 v[22:23], v19 offset:8328
	s_waitcnt lgkmcnt(0)
	v_mul_f32_e32 v24, v23, v21
	v_mul_f32_e32 v21, v22, v21
	v_fma_f32 v22, v22, v20, -v24
	v_fmac_f32_e32 v21, v23, v20
	v_add_f32_e32 v3, v3, v22
	v_add_f32_e32 v4, v4, v21
.LBB53_800:
	s_or_b64 exec, exec, s[18:19]
	s_movk_i32 s16, 0xe0
	v_cmp_gt_u32_e64 s[16:17], s16, v8
	s_and_saveexec_b64 s[18:19], s[16:17]
	s_cbranch_execz .LBB53_802
; %bb.801:
	ds_read_b64 v[20:21], v18 offset:9216
	ds_read_b64 v[22:23], v19 offset:8336
	s_waitcnt lgkmcnt(0)
	v_mul_f32_e32 v24, v23, v21
	v_mul_f32_e32 v21, v22, v21
	v_fma_f32 v22, v22, v20, -v24
	v_fmac_f32_e32 v21, v23, v20
	v_add_f32_e32 v3, v3, v22
	v_add_f32_e32 v4, v4, v21
.LBB53_802:
	s_or_b64 exec, exec, s[18:19]
	s_movk_i32 s16, 0xd0
	v_cmp_gt_u32_e64 s[16:17], s16, v8
	;; [unrolled: 16-line block ×10, first 2 shown]
	s_and_saveexec_b64 s[18:19], s[16:17]
	s_cbranch_execnz .LBB53_1152
; %bb.819:
	s_or_b64 exec, exec, s[18:19]
	s_and_saveexec_b64 s[16:17], s[12:13]
	s_cbranch_execnz .LBB53_1153
.LBB53_820:
	s_or_b64 exec, exec, s[16:17]
	v_cmp_gt_u32_e64 s[16:17], 48, v8
	s_and_saveexec_b64 s[18:19], s[16:17]
	s_cbranch_execnz .LBB53_1154
.LBB53_821:
	s_or_b64 exec, exec, s[18:19]
	v_cmp_gt_u32_e64 s[16:17], 32, v8
	s_and_saveexec_b64 s[18:19], s[16:17]
	s_cbranch_execnz .LBB53_1155
.LBB53_822:
	s_or_b64 exec, exec, s[18:19]
	v_cmp_gt_u32_e64 s[16:17], 16, v8
	s_and_saveexec_b64 s[18:19], s[16:17]
	s_cbranch_execz .LBB53_824
.LBB53_823:
	v_lshlrev_b32_e32 v18, 3, v0
	v_mov_b32_e32 v20, 0
	ds_read_b64 v[18:19], v18 offset:15872
	ds_read_b64 v[20:21], v20 offset:16120
	s_waitcnt lgkmcnt(0)
	v_mul_f32_e32 v22, v21, v19
	v_mul_f32_e32 v19, v20, v19
	v_fma_f32 v20, v20, v18, -v22
	v_fmac_f32_e32 v19, v21, v18
	v_add_f32_e32 v3, v3, v20
	v_add_f32_e32 v4, v4, v19
.LBB53_824:
	s_or_b64 exec, exec, s[18:19]
.LBB53_825:
	s_or_b64 exec, exec, s[6:7]
	s_mov_b64 s[6:7], exec
	v_readlane_b32 s16, v30, 5
	v_readlane_b32 s17, v30, 6
	s_and_b64 s[16:17], s[6:7], s[16:17]
	s_mov_b64 exec, s[16:17]
	s_cbranch_execz .LBB53_827
; %bb.826:
	v_mov_b32_e32 v18, 0
	ds_read_b64 v[18:19], v18 offset:7800
	s_waitcnt lgkmcnt(0)
	v_mul_f32_e32 v20, v4, v19
	v_mul_f32_e32 v21, v3, v19
	v_fma_f32 v3, v3, v18, -v20
	v_fmac_f32_e32 v21, v4, v18
	v_xor_b32_e32 v18, 0x80000000, v3
	v_xor_b32_e32 v19, 0x80000000, v21
	v_mov_b32_e32 v4, v21
	ds_write_b64 v17, v[18:19]
.LBB53_827:
	s_or_b64 exec, exec, s[6:7]
	s_waitcnt lgkmcnt(0)
	s_barrier
	s_mov_b64 s[6:7], exec
	v_readlane_b32 s16, v30, 7
	v_readlane_b32 s17, v30, 8
	s_and_b64 s[16:17], s[6:7], s[16:17]
	s_mov_b64 exec, s[16:17]
	s_cbranch_execz .LBB53_829
; %bb.828:
	v_lshlrev_b32_e32 v18, 3, v15
	ds_read_b64 v[18:19], v18 offset:7680
	ds_read_b64 v[20:21], v17
	s_waitcnt lgkmcnt(0)
	v_mul_f32_e32 v22, v21, v19
	v_mul_f32_e32 v19, v20, v19
	v_fma_f32 v20, v20, v18, -v22
	v_fmac_f32_e32 v19, v21, v18
	v_sub_f32_e32 v3, v3, v20
	v_sub_f32_e32 v4, v4, v19
.LBB53_829:
	s_or_b64 exec, exec, s[6:7]
	s_barrier
	s_mov_b64 s[6:7], exec
	v_readlane_b32 s16, v30, 9
	v_readlane_b32 s17, v30, 10
	s_and_b64 s[16:17], s[6:7], s[16:17]
	s_mov_b64 exec, s[16:17]
	s_cbranch_execz .LBB53_831
; %bb.830:
	v_mov_b32_e32 v18, 0
	ds_read_b64 v[18:19], v18 offset:7280
	s_waitcnt lgkmcnt(0)
	v_mul_f32_e32 v20, v4, v19
	v_mul_f32_e32 v21, v3, v19
	v_fma_f32 v3, v3, v18, -v20
	v_fmac_f32_e32 v21, v4, v18
	v_xor_b32_e32 v18, 0x80000000, v3
	v_xor_b32_e32 v19, 0x80000000, v21
	v_mov_b32_e32 v4, v21
	ds_write_b64 v17, v[18:19]
.LBB53_831:
	s_or_b64 exec, exec, s[6:7]
	s_waitcnt lgkmcnt(0)
	s_barrier
	s_mov_b64 s[6:7], exec
	v_readlane_b32 s16, v30, 11
	v_readlane_b32 s17, v30, 12
	s_and_b64 s[16:17], s[6:7], s[16:17]
	s_mov_b64 exec, s[16:17]
	s_cbranch_execz .LBB53_833
; %bb.832:
	v_lshlrev_b32_e32 v18, 3, v15
	ds_read_b64 v[18:19], v18 offset:7168
	ds_read_b64 v[20:21], v17
	s_waitcnt lgkmcnt(0)
	v_mul_f32_e32 v22, v21, v19
	v_mul_f32_e32 v19, v20, v19
	v_fma_f32 v20, v20, v18, -v22
	v_fmac_f32_e32 v19, v21, v18
	v_sub_f32_e32 v3, v3, v20
	v_sub_f32_e32 v4, v4, v19
.LBB53_833:
	s_or_b64 exec, exec, s[6:7]
	s_barrier
	;; [unrolled: 42-line block ×14, first 2 shown]
	s_mov_b64 s[6:7], exec
	v_readlane_b32 s16, v30, 61
	v_readlane_b32 s17, v30, 62
	s_and_b64 s[16:17], s[6:7], s[16:17]
	s_mov_b64 exec, s[16:17]
	s_cbranch_execz .LBB53_883
; %bb.882:
	v_mov_b32_e32 v18, 0
	ds_read_b64 v[18:19], v18 offset:520
	s_waitcnt lgkmcnt(0)
	v_mul_f32_e32 v20, v4, v19
	v_mul_f32_e32 v21, v3, v19
	v_fma_f32 v3, v3, v18, -v20
	v_fmac_f32_e32 v21, v4, v18
	v_xor_b32_e32 v18, 0x80000000, v3
	v_xor_b32_e32 v19, 0x80000000, v21
	v_mov_b32_e32 v4, v21
	ds_write_b64 v17, v[18:19]
.LBB53_883:
	s_or_b64 exec, exec, s[6:7]
	s_waitcnt lgkmcnt(0)
	s_barrier
	s_and_saveexec_b64 s[6:7], s[94:95]
	s_cbranch_execz .LBB53_885
; %bb.884:
	v_mov_b32_e32 v18, 0
	ds_read_b64 v[18:19], v18 offset:512
	ds_read_b64 v[20:21], v17
	s_waitcnt lgkmcnt(0)
	v_mul_f32_e32 v22, v21, v19
	v_mul_f32_e32 v19, v20, v19
	v_fma_f32 v20, v20, v18, -v22
	v_fmac_f32_e32 v19, v21, v18
	v_sub_f32_e32 v3, v3, v20
	v_sub_f32_e32 v4, v4, v19
.LBB53_885:
	s_or_b64 exec, exec, s[6:7]
	s_barrier
	s_and_saveexec_b64 s[6:7], s[94:95]
	s_cbranch_execz .LBB53_887
; %bb.886:
	v_mov_b32_e32 v18, 0
	ds_read_b64 v[18:19], v18
	s_waitcnt lgkmcnt(0)
	v_mul_f32_e32 v20, v4, v19
	v_mul_f32_e32 v21, v3, v19
	v_fma_f32 v3, v3, v18, -v20
	v_fmac_f32_e32 v21, v4, v18
	v_xor_b32_e32 v18, 0x80000000, v3
	v_xor_b32_e32 v19, 0x80000000, v21
	v_mov_b32_e32 v4, v21
	ds_write_b64 v17, v[18:19]
.LBB53_887:
	s_or_b64 exec, exec, s[6:7]
	s_waitcnt lgkmcnt(0)
	s_barrier
	s_barrier
	s_and_saveexec_b64 s[6:7], s[14:15]
; %bb.888:
	v_lshlrev_b32_e32 v15, 3, v15
	v_lshl_or_b32 v15, v16, 9, v15
	ds_write_b64 v15, v[3:4] offset:8192
; %bb.889:
	s_or_b64 exec, exec, s[6:7]
	s_waitcnt lgkmcnt(0)
	s_barrier
	s_barrier
	s_and_saveexec_b64 s[6:7], s[96:97]
	s_cbranch_execz .LBB53_891
; %bb.890:
	v_lshlrev_b32_e32 v15, 9, v0
	ds_read_b64 v[3:4], v15 offset:8192
	s_movk_i32 s14, 0xfe08
	v_mad_i32_i24 v16, v0, s14, v15
	s_waitcnt lgkmcnt(0)
	ds_write_b64 v16, v[3:4] offset:128
	ds_read_b64 v[3:4], v15 offset:8200
	s_waitcnt lgkmcnt(0)
	ds_write_b64 v16, v[3:4] offset:640
	ds_read_b64 v[3:4], v15 offset:8208
	;; [unrolled: 3-line block ×15, first 2 shown]
	s_waitcnt lgkmcnt(0)
	ds_write_b64 v16, v[3:4] offset:7808
.LBB53_891:
	s_or_b64 exec, exec, s[6:7]
	s_waitcnt lgkmcnt(0)
	s_barrier
	s_and_saveexec_b64 s[6:7], vcc
	s_cbranch_execz .LBB53_893
; %bb.892:
	s_movk_i32 s14, 0x70
	v_mov_b32_e32 v3, 0
	v_add_u32_e64 v15, s14, 0
	ds_read_b64 v[3:4], v3 offset:7800
	ds_read2st64_b64 v[15:18], v15 offset0:14 offset1:15
	s_movk_i32 s14, 0x1800
	s_waitcnt lgkmcnt(0)
	v_mul_f32_e32 v19, v4, v16
	v_mul_f32_e32 v16, v3, v16
	v_fma_f32 v19, v3, v15, -v19
	v_fmac_f32_e32 v16, v4, v15
	v_mul_f32_e32 v3, v16, v18
	v_mul_f32_e32 v4, v19, v18
	v_fma_f32 v3, v19, v17, -v3
	v_fmac_f32_e32 v4, v16, v17
	v_add_u32_e64 v15, s14, 0
	ds_write2_b64 v15, v[3:4], v[3:4] offset0:143 offset1:206
.LBB53_893:
	s_or_b64 exec, exec, s[6:7]
	v_mov_b32_e32 v3, 0
	v_mov_b32_e32 v4, 0
	s_waitcnt lgkmcnt(0)
	s_barrier
	buffer_wbinvl1_vol
	s_and_saveexec_b64 s[6:7], s[22:23]
	s_cbranch_execz .LBB53_897
; %bb.894:
	v_lshlrev_b32_e32 v3, 3, v5
	v_lshlrev_b32_e32 v15, 9, v6
	ds_read_b64 v[3:4], v3 offset:7264
	ds_read_b64 v[15:16], v15 offset:7280
	v_cmp_gt_u32_e64 s[14:15], 2, v8
	s_waitcnt lgkmcnt(0)
	v_mul_f32_e32 v17, v16, v4
	v_mul_f32_e32 v4, v15, v4
	v_fma_f32 v15, v15, v3, -v17
	v_fmac_f32_e32 v4, v16, v3
	v_add_f32_e32 v3, 0, v15
	v_add_f32_e32 v4, 0, v4
	s_and_saveexec_b64 s[16:17], s[14:15]
	s_cbranch_execz .LBB53_896
; %bb.895:
	v_lshlrev_b32_e32 v15, 3, v0
	v_mov_b32_e32 v17, 0
	ds_read_b64 v[15:16], v15 offset:7776
	ds_read_b64 v[17:18], v17 offset:7800
	s_waitcnt lgkmcnt(0)
	v_mul_f32_e32 v19, v18, v16
	v_mul_f32_e32 v16, v17, v16
	v_fma_f32 v17, v17, v15, -v19
	v_fmac_f32_e32 v16, v18, v15
	v_add_f32_e32 v3, v3, v17
	v_add_f32_e32 v4, v4, v16
.LBB53_896:
	s_or_b64 exec, exec, s[16:17]
.LBB53_897:
	s_or_b64 exec, exec, s[6:7]
	s_and_saveexec_b64 s[6:7], s[36:37]
	s_cbranch_execz .LBB53_899
; %bb.898:
	v_mov_b32_e32 v15, 0
	ds_read_b64 v[15:16], v15 offset:6760
	s_waitcnt lgkmcnt(0)
	v_mul_f32_e32 v17, v4, v16
	v_mul_f32_e32 v18, v3, v16
	v_fma_f32 v3, v3, v15, -v17
	v_fmac_f32_e32 v18, v4, v15
	v_xor_b32_e32 v15, 0x80000000, v3
	v_xor_b32_e32 v16, 0x80000000, v18
	v_mov_b32_e32 v4, v18
	ds_write_b64 v7, v[15:16]
.LBB53_899:
	s_or_b64 exec, exec, s[6:7]
	s_waitcnt lgkmcnt(0)
	s_barrier
	s_and_saveexec_b64 s[6:7], s[34:35]
	s_cbranch_execz .LBB53_901
; %bb.900:
	v_mov_b32_e32 v15, 0
	ds_read_b64 v[15:16], v15 offset:6752
	ds_read_b64 v[17:18], v7
	s_waitcnt lgkmcnt(0)
	v_mul_f32_e32 v19, v18, v16
	v_mul_f32_e32 v16, v17, v16
	v_fma_f32 v17, v17, v15, -v19
	v_fmac_f32_e32 v16, v18, v15
	v_sub_f32_e32 v3, v3, v17
	v_sub_f32_e32 v4, v4, v16
.LBB53_901:
	s_or_b64 exec, exec, s[6:7]
	s_barrier
	s_and_saveexec_b64 s[6:7], s[34:35]
	s_cbranch_execz .LBB53_903
; %bb.902:
	v_mov_b32_e32 v15, 0
	ds_read_b64 v[15:16], v15 offset:6240
	s_waitcnt lgkmcnt(0)
	v_mul_f32_e32 v17, v4, v16
	v_mul_f32_e32 v18, v3, v16
	v_fma_f32 v3, v3, v15, -v17
	v_fmac_f32_e32 v18, v4, v15
	v_xor_b32_e32 v15, 0x80000000, v3
	v_xor_b32_e32 v16, 0x80000000, v18
	v_mov_b32_e32 v4, v18
	ds_write_b64 v7, v[15:16]
.LBB53_903:
	s_or_b64 exec, exec, s[6:7]
	s_waitcnt lgkmcnt(0)
	s_barrier
	s_barrier
	s_and_saveexec_b64 s[6:7], s[22:23]
; %bb.904:
	v_lshlrev_b32_e32 v15, 3, v5
	v_lshl_or_b32 v15, v6, 9, v15
	ds_write_b64 v15, v[3:4] offset:7264
; %bb.905:
	s_or_b64 exec, exec, s[6:7]
	s_waitcnt lgkmcnt(0)
	s_barrier
	s_barrier
	s_and_saveexec_b64 s[6:7], s[38:39]
	s_cbranch_execz .LBB53_907
; %bb.906:
	v_lshlrev_b32_e32 v15, 3, v0
	s_movk_i32 s14, 0x1f8
	v_mad_u32_u24 v16, v0, s14, v15
	ds_read_b64 v[3:4], v16 offset:7264
	s_waitcnt lgkmcnt(0)
	ds_write_b64 v15, v[3:4] offset:6256
	ds_read_b64 v[3:4], v16 offset:7272
	s_waitcnt lgkmcnt(0)
	ds_write_b64 v15, v[3:4] offset:6768
.LBB53_907:
	s_or_b64 exec, exec, s[6:7]
	s_waitcnt lgkmcnt(0)
	s_barrier
	s_and_saveexec_b64 s[6:7], vcc
	s_cbranch_execz .LBB53_909
; %bb.908:
	s_movk_i32 s14, 0x60
	v_mov_b32_e32 v3, 0
	v_add_u32_e64 v15, s14, 0
	ds_read_b64 v[3:4], v3 offset:6760
	ds_read2st64_b64 v[15:18], v15 offset0:12 offset1:13
	s_movk_i32 s14, 0x1800
	s_waitcnt lgkmcnt(0)
	v_mul_f32_e32 v19, v4, v16
	v_mul_f32_e32 v16, v3, v16
	v_fma_f32 v19, v3, v15, -v19
	v_fmac_f32_e32 v16, v4, v15
	v_mul_f32_e32 v3, v16, v18
	v_mul_f32_e32 v4, v19, v18
	v_fma_f32 v3, v19, v17, -v3
	v_fmac_f32_e32 v4, v16, v17
	v_add_u32_e64 v15, s14, 0
	ds_write2_b64 v15, v[3:4], v[3:4] offset0:13 offset1:76
.LBB53_909:
	s_or_b64 exec, exec, s[6:7]
	v_mov_b32_e32 v4, 0
	v_mov_b32_e32 v3, 0
	s_waitcnt lgkmcnt(0)
	s_barrier
	buffer_wbinvl1_vol
	s_and_saveexec_b64 s[6:7], s[10:11]
	s_cbranch_execz .LBB53_915
; %bb.910:
	v_lshlrev_b32_e32 v15, 3, v9
	v_lshlrev_b32_e32 v16, 9, v10
	ds_read_b64 v[3:4], v15 offset:6208
	ds_read_b64 v[17:18], v16 offset:6240
	v_cmp_gt_u32_e64 s[14:15], 12, v8
	s_waitcnt lgkmcnt(0)
	v_mul_f32_e32 v19, v18, v4
	v_mul_f32_e32 v4, v17, v4
	v_fma_f32 v17, v17, v3, -v19
	v_fmac_f32_e32 v4, v18, v3
	v_add_f32_e32 v3, 0, v17
	v_add_f32_e32 v4, 0, v4
	s_and_saveexec_b64 s[16:17], s[14:15]
	s_cbranch_execnz .LBB53_1156
; %bb.911:
	s_or_b64 exec, exec, s[16:17]
	v_cmp_gt_u32_e64 s[14:15], 8, v8
	s_and_saveexec_b64 s[16:17], s[14:15]
	s_cbranch_execnz .LBB53_1157
.LBB53_912:
	s_or_b64 exec, exec, s[16:17]
	v_cmp_gt_u32_e64 s[14:15], 4, v8
	s_and_saveexec_b64 s[16:17], s[14:15]
	s_cbranch_execz .LBB53_914
.LBB53_913:
	v_lshlrev_b32_e32 v15, 3, v0
	v_mov_b32_e32 v17, 0
	ds_read_b64 v[15:16], v15 offset:7744
	ds_read_b64 v[17:18], v17 offset:7800
	s_waitcnt lgkmcnt(0)
	v_mul_f32_e32 v19, v18, v16
	v_mul_f32_e32 v16, v17, v16
	v_fma_f32 v17, v17, v15, -v19
	v_fmac_f32_e32 v16, v18, v15
	v_add_f32_e32 v3, v3, v17
	v_add_f32_e32 v4, v4, v16
.LBB53_914:
	s_or_b64 exec, exec, s[16:17]
.LBB53_915:
	s_or_b64 exec, exec, s[6:7]
	s_and_saveexec_b64 s[6:7], s[44:45]
	s_cbranch_execz .LBB53_917
; %bb.916:
	v_mov_b32_e32 v15, 0
	ds_read_b64 v[15:16], v15 offset:5720
	s_waitcnt lgkmcnt(0)
	v_mul_f32_e32 v17, v4, v16
	v_mul_f32_e32 v18, v3, v16
	v_fma_f32 v3, v3, v15, -v17
	v_fmac_f32_e32 v18, v4, v15
	v_xor_b32_e32 v15, 0x80000000, v3
	v_xor_b32_e32 v16, 0x80000000, v18
	v_mov_b32_e32 v4, v18
	ds_write_b64 v11, v[15:16]
.LBB53_917:
	s_or_b64 exec, exec, s[6:7]
	s_waitcnt lgkmcnt(0)
	s_barrier
	s_and_saveexec_b64 s[6:7], s[52:53]
	s_cbranch_execz .LBB53_919
; %bb.918:
	v_lshlrev_b32_e32 v15, 3, v9
	ds_read_b64 v[15:16], v15 offset:5696
	ds_read_b64 v[17:18], v11
	s_waitcnt lgkmcnt(0)
	v_mul_f32_e32 v19, v18, v16
	v_mul_f32_e32 v16, v17, v16
	v_fma_f32 v17, v17, v15, -v19
	v_fmac_f32_e32 v16, v18, v15
	v_sub_f32_e32 v3, v3, v17
	v_sub_f32_e32 v4, v4, v16
.LBB53_919:
	s_or_b64 exec, exec, s[6:7]
	s_barrier
	s_and_saveexec_b64 s[6:7], s[54:55]
	s_cbranch_execz .LBB53_921
; %bb.920:
	v_mov_b32_e32 v15, 0
	ds_read_b64 v[15:16], v15 offset:5200
	s_waitcnt lgkmcnt(0)
	v_mul_f32_e32 v17, v4, v16
	v_mul_f32_e32 v18, v3, v16
	v_fma_f32 v3, v3, v15, -v17
	v_fmac_f32_e32 v18, v4, v15
	v_xor_b32_e32 v15, 0x80000000, v3
	v_xor_b32_e32 v16, 0x80000000, v18
	v_mov_b32_e32 v4, v18
	ds_write_b64 v11, v[15:16]
.LBB53_921:
	s_or_b64 exec, exec, s[6:7]
	s_waitcnt lgkmcnt(0)
	s_barrier
	s_and_saveexec_b64 s[6:7], s[56:57]
	s_cbranch_execz .LBB53_923
; %bb.922:
	v_lshlrev_b32_e32 v15, 3, v9
	ds_read_b64 v[15:16], v15 offset:5184
	ds_read_b64 v[17:18], v11
	s_waitcnt lgkmcnt(0)
	v_mul_f32_e32 v19, v18, v16
	v_mul_f32_e32 v16, v17, v16
	v_fma_f32 v17, v17, v15, -v19
	v_fmac_f32_e32 v16, v18, v15
	v_sub_f32_e32 v3, v3, v17
	v_sub_f32_e32 v4, v4, v16
.LBB53_923:
	s_or_b64 exec, exec, s[6:7]
	s_barrier
	s_and_saveexec_b64 s[6:7], s[58:59]
	s_cbranch_execz .LBB53_925
; %bb.924:
	v_mov_b32_e32 v15, 0
	ds_read_b64 v[15:16], v15 offset:4680
	s_waitcnt lgkmcnt(0)
	v_mul_f32_e32 v17, v4, v16
	v_mul_f32_e32 v18, v3, v16
	v_fma_f32 v3, v3, v15, -v17
	v_fmac_f32_e32 v18, v4, v15
	v_xor_b32_e32 v15, 0x80000000, v3
	v_xor_b32_e32 v16, 0x80000000, v18
	v_mov_b32_e32 v4, v18
	ds_write_b64 v11, v[15:16]
.LBB53_925:
	s_or_b64 exec, exec, s[6:7]
	s_waitcnt lgkmcnt(0)
	s_barrier
	s_and_saveexec_b64 s[6:7], s[42:43]
	s_cbranch_execz .LBB53_927
; %bb.926:
	v_mov_b32_e32 v15, 0
	ds_read_b64 v[15:16], v15 offset:4672
	ds_read_b64 v[17:18], v11
	s_waitcnt lgkmcnt(0)
	v_mul_f32_e32 v19, v18, v16
	v_mul_f32_e32 v16, v17, v16
	v_fma_f32 v17, v17, v15, -v19
	v_fmac_f32_e32 v16, v18, v15
	v_sub_f32_e32 v3, v3, v17
	v_sub_f32_e32 v4, v4, v16
.LBB53_927:
	s_or_b64 exec, exec, s[6:7]
	s_barrier
	s_and_saveexec_b64 s[6:7], s[42:43]
	s_cbranch_execz .LBB53_929
; %bb.928:
	v_mov_b32_e32 v15, 0
	ds_read_b64 v[15:16], v15 offset:4160
	s_waitcnt lgkmcnt(0)
	v_mul_f32_e32 v17, v4, v16
	v_mul_f32_e32 v18, v3, v16
	v_fma_f32 v3, v3, v15, -v17
	v_fmac_f32_e32 v18, v4, v15
	v_xor_b32_e32 v15, 0x80000000, v3
	v_xor_b32_e32 v16, 0x80000000, v18
	v_mov_b32_e32 v4, v18
	ds_write_b64 v11, v[15:16]
.LBB53_929:
	s_or_b64 exec, exec, s[6:7]
	s_waitcnt lgkmcnt(0)
	s_barrier
	s_barrier
	s_and_saveexec_b64 s[6:7], s[10:11]
; %bb.930:
	v_lshlrev_b32_e32 v15, 3, v9
	v_lshl_or_b32 v15, v10, 9, v15
	ds_write_b64 v15, v[3:4] offset:6208
; %bb.931:
	s_or_b64 exec, exec, s[6:7]
	s_waitcnt lgkmcnt(0)
	s_barrier
	s_barrier
	s_and_saveexec_b64 s[6:7], s[60:61]
	s_cbranch_execz .LBB53_933
; %bb.932:
	v_lshlrev_b32_e32 v15, 9, v0
	ds_read_b64 v[3:4], v15 offset:6208
	s_movk_i32 s14, 0xfe08
	v_mad_i32_i24 v16, v0, s14, v15
	s_waitcnt lgkmcnt(0)
	ds_write_b64 v16, v[3:4] offset:4192
	ds_read_b64 v[3:4], v15 offset:6216
	s_waitcnt lgkmcnt(0)
	ds_write_b64 v16, v[3:4] offset:4704
	ds_read_b64 v[3:4], v15 offset:6224
	;; [unrolled: 3-line block ×3, first 2 shown]
	s_waitcnt lgkmcnt(0)
	ds_write_b64 v16, v[3:4] offset:5728
.LBB53_933:
	s_or_b64 exec, exec, s[6:7]
	s_waitcnt lgkmcnt(0)
	s_barrier
	s_and_saveexec_b64 s[6:7], vcc
	s_cbranch_execz .LBB53_935
; %bb.934:
	s_movk_i32 s14, 0x50
	v_mov_b32_e32 v3, 0
	v_add_u32_e64 v15, s14, 0
	ds_read_b64 v[3:4], v3 offset:5720
	ds_read2st64_b64 v[15:18], v15 offset0:10 offset1:11
	s_movk_i32 s14, 0x1000
	s_waitcnt lgkmcnt(0)
	v_mul_f32_e32 v19, v4, v16
	v_mul_f32_e32 v16, v3, v16
	v_fma_f32 v19, v3, v15, -v19
	v_fmac_f32_e32 v16, v4, v15
	v_mul_f32_e32 v3, v16, v18
	v_mul_f32_e32 v4, v19, v18
	v_fma_f32 v3, v19, v17, -v3
	v_fmac_f32_e32 v4, v16, v17
	v_add_u32_e64 v15, s14, 0
	ds_write2_b64 v15, v[3:4], v[3:4] offset0:139 offset1:202
.LBB53_935:
	s_or_b64 exec, exec, s[6:7]
	v_mov_b32_e32 v3, 0
	v_mov_b32_e32 v4, 0
	s_waitcnt lgkmcnt(0)
	s_barrier
	buffer_wbinvl1_vol
	s_and_saveexec_b64 s[6:7], s[22:23]
	s_cbranch_execz .LBB53_939
; %bb.936:
	v_lshlrev_b32_e32 v3, 3, v5
	v_lshlrev_b32_e32 v15, 9, v6
	ds_read_b64 v[3:4], v3 offset:5184
	ds_read_b64 v[15:16], v15 offset:5200
	v_cmp_gt_u32_e64 s[14:15], 2, v8
	s_waitcnt lgkmcnt(0)
	v_mul_f32_e32 v17, v16, v4
	v_mul_f32_e32 v4, v15, v4
	v_fma_f32 v15, v15, v3, -v17
	v_fmac_f32_e32 v4, v16, v3
	v_add_f32_e32 v3, 0, v15
	v_add_f32_e32 v4, 0, v4
	s_and_saveexec_b64 s[16:17], s[14:15]
	s_cbranch_execz .LBB53_938
; %bb.937:
	v_lshlrev_b32_e32 v15, 3, v0
	v_mov_b32_e32 v17, 0
	ds_read_b64 v[15:16], v15 offset:5696
	ds_read_b64 v[17:18], v17 offset:5720
	s_waitcnt lgkmcnt(0)
	v_mul_f32_e32 v19, v18, v16
	v_mul_f32_e32 v16, v17, v16
	v_fma_f32 v17, v17, v15, -v19
	v_fmac_f32_e32 v16, v18, v15
	v_add_f32_e32 v3, v3, v17
	v_add_f32_e32 v4, v4, v16
.LBB53_938:
	s_or_b64 exec, exec, s[16:17]
.LBB53_939:
	s_or_b64 exec, exec, s[6:7]
	s_and_saveexec_b64 s[6:7], s[36:37]
	s_cbranch_execz .LBB53_941
; %bb.940:
	v_mov_b32_e32 v15, 0
	ds_read_b64 v[15:16], v15 offset:4680
	s_waitcnt lgkmcnt(0)
	v_mul_f32_e32 v17, v4, v16
	v_mul_f32_e32 v18, v3, v16
	v_fma_f32 v3, v3, v15, -v17
	v_fmac_f32_e32 v18, v4, v15
	v_xor_b32_e32 v15, 0x80000000, v3
	v_xor_b32_e32 v16, 0x80000000, v18
	v_mov_b32_e32 v4, v18
	ds_write_b64 v7, v[15:16]
.LBB53_941:
	s_or_b64 exec, exec, s[6:7]
	s_waitcnt lgkmcnt(0)
	s_barrier
	s_and_saveexec_b64 s[6:7], s[34:35]
	s_cbranch_execz .LBB53_943
; %bb.942:
	v_mov_b32_e32 v15, 0
	ds_read_b64 v[15:16], v15 offset:4672
	ds_read_b64 v[17:18], v7
	s_waitcnt lgkmcnt(0)
	v_mul_f32_e32 v19, v18, v16
	v_mul_f32_e32 v16, v17, v16
	v_fma_f32 v17, v17, v15, -v19
	v_fmac_f32_e32 v16, v18, v15
	v_sub_f32_e32 v3, v3, v17
	v_sub_f32_e32 v4, v4, v16
.LBB53_943:
	s_or_b64 exec, exec, s[6:7]
	s_barrier
	s_and_saveexec_b64 s[6:7], s[34:35]
	s_cbranch_execz .LBB53_945
; %bb.944:
	v_mov_b32_e32 v15, 0
	ds_read_b64 v[15:16], v15 offset:4160
	s_waitcnt lgkmcnt(0)
	v_mul_f32_e32 v17, v4, v16
	v_mul_f32_e32 v18, v3, v16
	v_fma_f32 v3, v3, v15, -v17
	v_fmac_f32_e32 v18, v4, v15
	v_xor_b32_e32 v15, 0x80000000, v3
	v_xor_b32_e32 v16, 0x80000000, v18
	v_mov_b32_e32 v4, v18
	ds_write_b64 v7, v[15:16]
.LBB53_945:
	s_or_b64 exec, exec, s[6:7]
	s_waitcnt lgkmcnt(0)
	s_barrier
	s_barrier
	s_and_saveexec_b64 s[6:7], s[22:23]
; %bb.946:
	v_lshlrev_b32_e32 v15, 3, v5
	v_lshl_or_b32 v15, v6, 9, v15
	ds_write_b64 v15, v[3:4] offset:5184
; %bb.947:
	s_or_b64 exec, exec, s[6:7]
	s_waitcnt lgkmcnt(0)
	s_barrier
	s_barrier
	s_and_saveexec_b64 s[6:7], s[38:39]
	s_cbranch_execz .LBB53_949
; %bb.948:
	v_lshlrev_b32_e32 v15, 3, v0
	s_movk_i32 s14, 0x1f8
	v_mad_u32_u24 v16, v0, s14, v15
	ds_read_b64 v[3:4], v16 offset:5184
	s_waitcnt lgkmcnt(0)
	ds_write_b64 v15, v[3:4] offset:4176
	ds_read_b64 v[3:4], v16 offset:5192
	s_waitcnt lgkmcnt(0)
	ds_write_b64 v15, v[3:4] offset:4688
.LBB53_949:
	s_or_b64 exec, exec, s[6:7]
	s_waitcnt lgkmcnt(0)
	s_barrier
	s_and_saveexec_b64 s[6:7], vcc
	s_cbranch_execz .LBB53_951
; %bb.950:
	v_mov_b32_e32 v3, 0
	v_add_u32_e64 v4, 64, 0
	ds_read2st64_b64 v[15:18], v4 offset0:8 offset1:9
	ds_read_b64 v[3:4], v3 offset:4680
	s_movk_i32 s14, 0x1000
	s_waitcnt lgkmcnt(0)
	v_mul_f32_e32 v19, v4, v16
	v_mul_f32_e32 v16, v3, v16
	v_fma_f32 v19, v3, v15, -v19
	v_fmac_f32_e32 v16, v4, v15
	v_mul_f32_e32 v3, v16, v18
	v_mul_f32_e32 v4, v19, v18
	v_fma_f32 v3, v19, v17, -v3
	v_fmac_f32_e32 v4, v16, v17
	v_add_u32_e64 v15, s14, 0
	ds_write2_b64 v15, v[3:4], v[3:4] offset0:9 offset1:72
.LBB53_951:
	s_or_b64 exec, exec, s[6:7]
	v_mov_b32_e32 v4, 0
	v_mov_b32_e32 v3, 0
	s_waitcnt lgkmcnt(0)
	s_barrier
	buffer_wbinvl1_vol
	s_and_saveexec_b64 s[6:7], s[12:13]
	s_cbranch_execz .LBB53_961
; %bb.952:
	v_lshlrev_b32_e32 v15, 3, v12
	v_lshlrev_b32_e32 v16, 9, v13
	ds_read_b64 v[3:4], v15 offset:4096
	ds_read_b64 v[17:18], v16 offset:4160
	v_cmp_gt_u32_e64 s[14:15], 56, v8
	s_waitcnt lgkmcnt(0)
	v_mul_f32_e32 v19, v18, v4
	v_mul_f32_e32 v4, v17, v4
	v_fma_f32 v17, v17, v3, -v19
	v_fmac_f32_e32 v4, v18, v3
	v_add_f32_e32 v3, 0, v17
	v_add_f32_e32 v4, 0, v4
	s_and_saveexec_b64 s[16:17], s[14:15]
	s_cbranch_execnz .LBB53_1158
; %bb.953:
	s_or_b64 exec, exec, s[16:17]
	v_cmp_gt_u32_e64 s[14:15], 48, v8
	s_and_saveexec_b64 s[16:17], s[14:15]
	s_cbranch_execnz .LBB53_1159
.LBB53_954:
	s_or_b64 exec, exec, s[16:17]
	v_cmp_gt_u32_e64 s[14:15], 40, v8
	s_and_saveexec_b64 s[16:17], s[14:15]
	s_cbranch_execnz .LBB53_1160
.LBB53_955:
	s_or_b64 exec, exec, s[16:17]
	v_cmp_gt_u32_e64 s[14:15], 32, v8
	s_and_saveexec_b64 s[16:17], s[14:15]
	s_cbranch_execnz .LBB53_1161
.LBB53_956:
	s_or_b64 exec, exec, s[16:17]
	v_cmp_gt_u32_e64 s[14:15], 24, v8
	s_and_saveexec_b64 s[16:17], s[14:15]
	s_cbranch_execnz .LBB53_1162
.LBB53_957:
	s_or_b64 exec, exec, s[16:17]
	s_and_saveexec_b64 s[14:15], s[10:11]
	s_cbranch_execnz .LBB53_1163
.LBB53_958:
	s_or_b64 exec, exec, s[14:15]
	v_cmp_gt_u32_e64 s[14:15], 8, v8
	s_and_saveexec_b64 s[16:17], s[14:15]
	s_cbranch_execz .LBB53_960
.LBB53_959:
	v_lshlrev_b32_e32 v15, 3, v0
	v_mov_b32_e32 v17, 0
	ds_read_b64 v[15:16], v15 offset:7680
	ds_read_b64 v[17:18], v17 offset:7800
	s_waitcnt lgkmcnt(0)
	v_mul_f32_e32 v19, v18, v16
	v_mul_f32_e32 v16, v17, v16
	v_fma_f32 v17, v17, v15, -v19
	v_fmac_f32_e32 v16, v18, v15
	v_add_f32_e32 v3, v3, v17
	v_add_f32_e32 v4, v4, v16
.LBB53_960:
	s_or_b64 exec, exec, s[16:17]
.LBB53_961:
	s_or_b64 exec, exec, s[6:7]
	s_and_saveexec_b64 s[6:7], s[64:65]
	s_cbranch_execz .LBB53_963
; %bb.962:
	v_mov_b32_e32 v15, 0
	ds_read_b64 v[15:16], v15 offset:3640
	s_waitcnt lgkmcnt(0)
	v_mul_f32_e32 v17, v4, v16
	v_mul_f32_e32 v18, v3, v16
	v_fma_f32 v3, v3, v15, -v17
	v_fmac_f32_e32 v18, v4, v15
	v_xor_b32_e32 v15, 0x80000000, v3
	v_xor_b32_e32 v16, 0x80000000, v18
	v_mov_b32_e32 v4, v18
	ds_write_b64 v14, v[15:16]
.LBB53_963:
	s_or_b64 exec, exec, s[6:7]
	s_waitcnt lgkmcnt(0)
	s_barrier
	s_and_saveexec_b64 s[6:7], s[66:67]
	v_readlane_b32 s24, v30, 3
	v_readlane_b32 s64, v30, 1
	;; [unrolled: 1-line block ×4, first 2 shown]
	s_cbranch_execz .LBB53_965
; %bb.964:
	v_lshlrev_b32_e32 v15, 3, v12
	ds_read_b64 v[15:16], v15 offset:3584
	ds_read_b64 v[17:18], v14
	s_waitcnt lgkmcnt(0)
	v_mul_f32_e32 v19, v18, v16
	v_mul_f32_e32 v16, v17, v16
	v_fma_f32 v17, v17, v15, -v19
	v_fmac_f32_e32 v16, v18, v15
	v_sub_f32_e32 v3, v3, v17
	v_sub_f32_e32 v4, v4, v16
.LBB53_965:
	s_or_b64 exec, exec, s[6:7]
	s_barrier
	s_and_saveexec_b64 s[6:7], s[68:69]
	s_cbranch_execz .LBB53_967
; %bb.966:
	v_mov_b32_e32 v15, 0
	ds_read_b64 v[15:16], v15 offset:3120
	s_waitcnt lgkmcnt(0)
	v_mul_f32_e32 v17, v4, v16
	v_mul_f32_e32 v18, v3, v16
	v_fma_f32 v3, v3, v15, -v17
	v_fmac_f32_e32 v18, v4, v15
	v_xor_b32_e32 v15, 0x80000000, v3
	v_xor_b32_e32 v16, 0x80000000, v18
	v_mov_b32_e32 v4, v18
	ds_write_b64 v14, v[15:16]
.LBB53_967:
	s_or_b64 exec, exec, s[6:7]
	s_waitcnt lgkmcnt(0)
	s_barrier
	s_and_saveexec_b64 s[6:7], s[70:71]
	s_cbranch_execz .LBB53_969
; %bb.968:
	v_lshlrev_b32_e32 v15, 3, v12
	ds_read_b64 v[15:16], v15 offset:3072
	ds_read_b64 v[17:18], v14
	s_waitcnt lgkmcnt(0)
	v_mul_f32_e32 v19, v18, v16
	v_mul_f32_e32 v16, v17, v16
	v_fma_f32 v17, v17, v15, -v19
	v_fmac_f32_e32 v16, v18, v15
	v_sub_f32_e32 v3, v3, v17
	v_sub_f32_e32 v4, v4, v16
.LBB53_969:
	s_or_b64 exec, exec, s[6:7]
	s_barrier
	s_and_saveexec_b64 s[6:7], s[72:73]
	s_cbranch_execz .LBB53_971
; %bb.970:
	v_mov_b32_e32 v15, 0
	ds_read_b64 v[15:16], v15 offset:2600
	s_waitcnt lgkmcnt(0)
	v_mul_f32_e32 v17, v4, v16
	v_mul_f32_e32 v18, v3, v16
	v_fma_f32 v3, v3, v15, -v17
	v_fmac_f32_e32 v18, v4, v15
	v_xor_b32_e32 v15, 0x80000000, v3
	v_xor_b32_e32 v16, 0x80000000, v18
	v_mov_b32_e32 v4, v18
	ds_write_b64 v14, v[15:16]
.LBB53_971:
	s_or_b64 exec, exec, s[6:7]
	s_waitcnt lgkmcnt(0)
	s_barrier
	s_and_saveexec_b64 s[6:7], s[74:75]
	s_cbranch_execz .LBB53_973
; %bb.972:
	v_lshlrev_b32_e32 v15, 3, v12
	ds_read_b64 v[15:16], v15 offset:2560
	ds_read_b64 v[17:18], v14
	s_waitcnt lgkmcnt(0)
	v_mul_f32_e32 v19, v18, v16
	v_mul_f32_e32 v16, v17, v16
	v_fma_f32 v17, v17, v15, -v19
	v_fmac_f32_e32 v16, v18, v15
	v_sub_f32_e32 v3, v3, v17
	v_sub_f32_e32 v4, v4, v16
.LBB53_973:
	s_or_b64 exec, exec, s[6:7]
	s_barrier
	s_and_saveexec_b64 s[6:7], s[76:77]
	s_cbranch_execz .LBB53_975
; %bb.974:
	v_mov_b32_e32 v15, 0
	ds_read_b64 v[15:16], v15 offset:2080
	s_waitcnt lgkmcnt(0)
	v_mul_f32_e32 v17, v4, v16
	v_mul_f32_e32 v18, v3, v16
	v_fma_f32 v3, v3, v15, -v17
	v_fmac_f32_e32 v18, v4, v15
	v_xor_b32_e32 v15, 0x80000000, v3
	v_xor_b32_e32 v16, 0x80000000, v18
	v_mov_b32_e32 v4, v18
	ds_write_b64 v14, v[15:16]
.LBB53_975:
	s_or_b64 exec, exec, s[6:7]
	s_waitcnt lgkmcnt(0)
	s_barrier
	s_and_saveexec_b64 s[6:7], s[78:79]
	s_cbranch_execz .LBB53_977
; %bb.976:
	v_lshlrev_b32_e32 v15, 3, v12
	ds_read_b64 v[15:16], v15 offset:2048
	ds_read_b64 v[17:18], v14
	s_waitcnt lgkmcnt(0)
	v_mul_f32_e32 v19, v18, v16
	v_mul_f32_e32 v16, v17, v16
	v_fma_f32 v17, v17, v15, -v19
	v_fmac_f32_e32 v16, v18, v15
	v_sub_f32_e32 v3, v3, v17
	v_sub_f32_e32 v4, v4, v16
.LBB53_977:
	s_or_b64 exec, exec, s[6:7]
	s_barrier
	s_and_saveexec_b64 s[6:7], s[80:81]
	s_cbranch_execz .LBB53_979
; %bb.978:
	v_mov_b32_e32 v15, 0
	ds_read_b64 v[15:16], v15 offset:1560
	s_waitcnt lgkmcnt(0)
	v_mul_f32_e32 v17, v4, v16
	v_mul_f32_e32 v18, v3, v16
	v_fma_f32 v3, v3, v15, -v17
	v_fmac_f32_e32 v18, v4, v15
	v_xor_b32_e32 v15, 0x80000000, v3
	v_xor_b32_e32 v16, 0x80000000, v18
	v_mov_b32_e32 v4, v18
	ds_write_b64 v14, v[15:16]
.LBB53_979:
	s_or_b64 exec, exec, s[6:7]
	s_waitcnt lgkmcnt(0)
	s_barrier
	s_and_saveexec_b64 s[6:7], s[82:83]
	s_cbranch_execz .LBB53_981
; %bb.980:
	v_lshlrev_b32_e32 v15, 3, v12
	ds_read_b64 v[15:16], v15 offset:1536
	ds_read_b64 v[17:18], v14
	s_waitcnt lgkmcnt(0)
	v_mul_f32_e32 v19, v18, v16
	v_mul_f32_e32 v16, v17, v16
	v_fma_f32 v17, v17, v15, -v19
	v_fmac_f32_e32 v16, v18, v15
	v_sub_f32_e32 v3, v3, v17
	v_sub_f32_e32 v4, v4, v16
.LBB53_981:
	s_or_b64 exec, exec, s[6:7]
	s_barrier
	s_and_saveexec_b64 s[6:7], s[84:85]
	s_cbranch_execz .LBB53_983
; %bb.982:
	v_mov_b32_e32 v15, 0
	ds_read_b64 v[15:16], v15 offset:1040
	s_waitcnt lgkmcnt(0)
	v_mul_f32_e32 v17, v4, v16
	v_mul_f32_e32 v18, v3, v16
	v_fma_f32 v3, v3, v15, -v17
	v_fmac_f32_e32 v18, v4, v15
	v_xor_b32_e32 v15, 0x80000000, v3
	v_xor_b32_e32 v16, 0x80000000, v18
	v_mov_b32_e32 v4, v18
	ds_write_b64 v14, v[15:16]
.LBB53_983:
	s_or_b64 exec, exec, s[6:7]
	s_waitcnt lgkmcnt(0)
	s_barrier
	s_and_saveexec_b64 s[6:7], s[86:87]
	s_cbranch_execz .LBB53_985
; %bb.984:
	v_lshlrev_b32_e32 v15, 3, v12
	ds_read_b64 v[15:16], v15 offset:1024
	ds_read_b64 v[17:18], v14
	s_waitcnt lgkmcnt(0)
	v_mul_f32_e32 v19, v18, v16
	v_mul_f32_e32 v16, v17, v16
	v_fma_f32 v17, v17, v15, -v19
	v_fmac_f32_e32 v16, v18, v15
	v_sub_f32_e32 v3, v3, v17
	v_sub_f32_e32 v4, v4, v16
.LBB53_985:
	s_or_b64 exec, exec, s[6:7]
	s_barrier
	s_and_saveexec_b64 s[6:7], s[88:89]
	s_cbranch_execz .LBB53_987
; %bb.986:
	v_mov_b32_e32 v15, 0
	ds_read_b64 v[15:16], v15 offset:520
	s_waitcnt lgkmcnt(0)
	v_mul_f32_e32 v17, v4, v16
	v_mul_f32_e32 v18, v3, v16
	v_fma_f32 v3, v3, v15, -v17
	v_fmac_f32_e32 v18, v4, v15
	v_xor_b32_e32 v15, 0x80000000, v3
	v_xor_b32_e32 v16, 0x80000000, v18
	v_mov_b32_e32 v4, v18
	ds_write_b64 v14, v[15:16]
.LBB53_987:
	s_or_b64 exec, exec, s[6:7]
	s_waitcnt lgkmcnt(0)
	s_barrier
	s_and_saveexec_b64 s[6:7], s[62:63]
	s_cbranch_execz .LBB53_989
; %bb.988:
	v_mov_b32_e32 v15, 0
	ds_read_b64 v[15:16], v15 offset:512
	ds_read_b64 v[17:18], v14
	s_waitcnt lgkmcnt(0)
	v_mul_f32_e32 v19, v18, v16
	v_mul_f32_e32 v16, v17, v16
	v_fma_f32 v17, v17, v15, -v19
	v_fmac_f32_e32 v16, v18, v15
	v_sub_f32_e32 v3, v3, v17
	v_sub_f32_e32 v4, v4, v16
.LBB53_989:
	s_or_b64 exec, exec, s[6:7]
	s_barrier
	s_and_saveexec_b64 s[6:7], s[62:63]
	s_cbranch_execz .LBB53_991
; %bb.990:
	v_mov_b32_e32 v15, 0
	ds_read_b64 v[15:16], v15
	s_waitcnt lgkmcnt(0)
	v_mul_f32_e32 v17, v4, v16
	v_mul_f32_e32 v18, v3, v16
	v_fma_f32 v3, v3, v15, -v17
	v_fmac_f32_e32 v18, v4, v15
	v_xor_b32_e32 v15, 0x80000000, v3
	v_xor_b32_e32 v16, 0x80000000, v18
	v_mov_b32_e32 v4, v18
	ds_write_b64 v14, v[15:16]
.LBB53_991:
	s_or_b64 exec, exec, s[6:7]
	s_waitcnt lgkmcnt(0)
	s_barrier
	s_barrier
	s_and_saveexec_b64 s[6:7], s[12:13]
; %bb.992:
	v_lshlrev_b32_e32 v12, 3, v12
	v_lshl_or_b32 v12, v13, 9, v12
	ds_write_b64 v12, v[3:4] offset:4096
; %bb.993:
	s_or_b64 exec, exec, s[6:7]
	s_waitcnt lgkmcnt(0)
	s_barrier
	s_barrier
	s_and_saveexec_b64 s[6:7], s[90:91]
	s_cbranch_execz .LBB53_995
; %bb.994:
	v_lshlrev_b32_e32 v12, 9, v0
	ds_read_b64 v[3:4], v12 offset:4096
	s_movk_i32 s12, 0xfe08
	v_mad_i32_i24 v13, v0, s12, v12
	s_waitcnt lgkmcnt(0)
	ds_write_b64 v13, v[3:4] offset:64
	ds_read_b64 v[3:4], v12 offset:4104
	s_waitcnt lgkmcnt(0)
	ds_write_b64 v13, v[3:4] offset:576
	ds_read_b64 v[3:4], v12 offset:4112
	;; [unrolled: 3-line block ×7, first 2 shown]
	s_waitcnt lgkmcnt(0)
	ds_write_b64 v13, v[3:4] offset:3648
.LBB53_995:
	s_or_b64 exec, exec, s[6:7]
	s_waitcnt lgkmcnt(0)
	s_barrier
	s_and_saveexec_b64 s[6:7], vcc
	s_cbranch_execz .LBB53_997
; %bb.996:
	v_mov_b32_e32 v3, 0
	v_add_u32_e64 v4, 48, 0
	ds_read2st64_b64 v[12:15], v4 offset0:6 offset1:7
	ds_read_b64 v[3:4], v3 offset:3640
	s_movk_i32 s12, 0x800
	s_waitcnt lgkmcnt(0)
	v_mul_f32_e32 v16, v4, v13
	v_mul_f32_e32 v13, v3, v13
	v_fma_f32 v16, v3, v12, -v16
	v_fmac_f32_e32 v13, v4, v12
	v_mul_f32_e32 v3, v13, v15
	v_mul_f32_e32 v4, v16, v15
	v_fma_f32 v3, v16, v14, -v3
	v_fmac_f32_e32 v4, v13, v14
	v_add_u32_e64 v12, s12, 0
	ds_write2_b64 v12, v[3:4], v[3:4] offset0:135 offset1:198
.LBB53_997:
	s_or_b64 exec, exec, s[6:7]
	v_mov_b32_e32 v3, 0
	v_mov_b32_e32 v4, 0
	s_waitcnt lgkmcnt(0)
	s_barrier
	buffer_wbinvl1_vol
	s_and_saveexec_b64 s[6:7], s[22:23]
	s_cbranch_execz .LBB53_1001
; %bb.998:
	v_lshlrev_b32_e32 v3, 3, v5
	v_lshlrev_b32_e32 v12, 9, v6
	ds_read_b64 v[3:4], v3 offset:3104
	ds_read_b64 v[12:13], v12 offset:3120
	v_cmp_gt_u32_e64 s[12:13], 2, v8
	s_waitcnt lgkmcnt(0)
	v_mul_f32_e32 v14, v13, v4
	v_mul_f32_e32 v4, v12, v4
	v_fma_f32 v12, v12, v3, -v14
	v_fmac_f32_e32 v4, v13, v3
	v_add_f32_e32 v3, 0, v12
	v_add_f32_e32 v4, 0, v4
	s_and_saveexec_b64 s[14:15], s[12:13]
	s_cbranch_execz .LBB53_1000
; %bb.999:
	v_lshlrev_b32_e32 v12, 3, v0
	v_mov_b32_e32 v14, 0
	ds_read_b64 v[12:13], v12 offset:3616
	ds_read_b64 v[14:15], v14 offset:3640
	s_waitcnt lgkmcnt(0)
	v_mul_f32_e32 v16, v15, v13
	v_mul_f32_e32 v13, v14, v13
	v_fma_f32 v14, v14, v12, -v16
	v_fmac_f32_e32 v13, v15, v12
	v_add_f32_e32 v3, v3, v14
	v_add_f32_e32 v4, v4, v13
.LBB53_1000:
	s_or_b64 exec, exec, s[14:15]
.LBB53_1001:
	s_or_b64 exec, exec, s[6:7]
	s_and_saveexec_b64 s[6:7], s[36:37]
	s_cbranch_execz .LBB53_1003
; %bb.1002:
	v_mov_b32_e32 v12, 0
	ds_read_b64 v[12:13], v12 offset:2600
	s_waitcnt lgkmcnt(0)
	v_mul_f32_e32 v14, v4, v13
	v_mul_f32_e32 v15, v3, v13
	v_fma_f32 v3, v3, v12, -v14
	v_fmac_f32_e32 v15, v4, v12
	v_xor_b32_e32 v12, 0x80000000, v3
	v_xor_b32_e32 v13, 0x80000000, v15
	v_mov_b32_e32 v4, v15
	ds_write_b64 v7, v[12:13]
.LBB53_1003:
	s_or_b64 exec, exec, s[6:7]
	s_waitcnt lgkmcnt(0)
	s_barrier
	s_and_saveexec_b64 s[6:7], s[34:35]
	s_cbranch_execz .LBB53_1005
; %bb.1004:
	v_mov_b32_e32 v12, 0
	ds_read_b64 v[12:13], v12 offset:2592
	ds_read_b64 v[14:15], v7
	s_waitcnt lgkmcnt(0)
	v_mul_f32_e32 v16, v15, v13
	v_mul_f32_e32 v13, v14, v13
	v_fma_f32 v14, v14, v12, -v16
	v_fmac_f32_e32 v13, v15, v12
	v_sub_f32_e32 v3, v3, v14
	v_sub_f32_e32 v4, v4, v13
.LBB53_1005:
	s_or_b64 exec, exec, s[6:7]
	s_barrier
	s_and_saveexec_b64 s[6:7], s[34:35]
	s_cbranch_execz .LBB53_1007
; %bb.1006:
	v_mov_b32_e32 v12, 0
	ds_read_b64 v[12:13], v12 offset:2080
	s_waitcnt lgkmcnt(0)
	v_mul_f32_e32 v14, v4, v13
	v_mul_f32_e32 v15, v3, v13
	v_fma_f32 v3, v3, v12, -v14
	v_fmac_f32_e32 v15, v4, v12
	v_xor_b32_e32 v12, 0x80000000, v3
	v_xor_b32_e32 v13, 0x80000000, v15
	v_mov_b32_e32 v4, v15
	ds_write_b64 v7, v[12:13]
.LBB53_1007:
	s_or_b64 exec, exec, s[6:7]
	s_waitcnt lgkmcnt(0)
	s_barrier
	s_barrier
	s_and_saveexec_b64 s[6:7], s[22:23]
; %bb.1008:
	v_lshlrev_b32_e32 v12, 3, v5
	v_lshl_or_b32 v12, v6, 9, v12
	ds_write_b64 v12, v[3:4] offset:3104
; %bb.1009:
	s_or_b64 exec, exec, s[6:7]
	s_waitcnt lgkmcnt(0)
	s_barrier
	s_barrier
	s_and_saveexec_b64 s[6:7], s[38:39]
	s_cbranch_execz .LBB53_1011
; %bb.1010:
	v_lshlrev_b32_e32 v12, 3, v0
	s_movk_i32 s12, 0x1f8
	v_mad_u32_u24 v13, v0, s12, v12
	ds_read_b64 v[3:4], v13 offset:3104
	s_waitcnt lgkmcnt(0)
	ds_write_b64 v12, v[3:4] offset:2096
	ds_read_b64 v[3:4], v13 offset:3112
	s_waitcnt lgkmcnt(0)
	ds_write_b64 v12, v[3:4] offset:2608
.LBB53_1011:
	s_or_b64 exec, exec, s[6:7]
	s_waitcnt lgkmcnt(0)
	s_barrier
	s_and_saveexec_b64 s[6:7], vcc
	s_cbranch_execz .LBB53_1013
; %bb.1012:
	v_mov_b32_e32 v3, 0
	v_add_u32_e64 v4, 32, 0
	ds_read2st64_b64 v[12:15], v4 offset0:4 offset1:5
	ds_read_b64 v[3:4], v3 offset:2600
	s_movk_i32 s12, 0x800
	s_waitcnt lgkmcnt(0)
	v_mul_f32_e32 v16, v4, v13
	v_mul_f32_e32 v13, v3, v13
	v_fma_f32 v16, v3, v12, -v16
	v_fmac_f32_e32 v13, v4, v12
	v_mul_f32_e32 v3, v13, v15
	v_mul_f32_e32 v4, v16, v15
	v_fma_f32 v3, v16, v14, -v3
	v_fmac_f32_e32 v4, v13, v14
	v_add_u32_e64 v12, s12, 0
	ds_write2_b64 v12, v[3:4], v[3:4] offset0:5 offset1:68
.LBB53_1013:
	s_or_b64 exec, exec, s[6:7]
	v_mov_b32_e32 v4, 0
	v_mov_b32_e32 v3, 0
	s_waitcnt lgkmcnt(0)
	s_barrier
	buffer_wbinvl1_vol
	s_and_saveexec_b64 s[6:7], s[10:11]
	s_cbranch_execz .LBB53_1019
; %bb.1014:
	v_lshlrev_b32_e32 v12, 3, v9
	v_lshlrev_b32_e32 v13, 9, v10
	ds_read_b64 v[3:4], v12 offset:2048
	ds_read_b64 v[14:15], v13 offset:2080
	v_cmp_gt_u32_e64 s[12:13], 12, v8
	s_waitcnt lgkmcnt(0)
	v_mul_f32_e32 v16, v15, v4
	v_mul_f32_e32 v4, v14, v4
	v_fma_f32 v14, v14, v3, -v16
	v_fmac_f32_e32 v4, v15, v3
	v_add_f32_e32 v3, 0, v14
	v_add_f32_e32 v4, 0, v4
	s_and_saveexec_b64 s[14:15], s[12:13]
	s_cbranch_execnz .LBB53_1164
; %bb.1015:
	s_or_b64 exec, exec, s[14:15]
	v_cmp_gt_u32_e64 s[12:13], 8, v8
	s_and_saveexec_b64 s[14:15], s[12:13]
	s_cbranch_execnz .LBB53_1165
.LBB53_1016:
	s_or_b64 exec, exec, s[14:15]
	v_cmp_gt_u32_e64 s[12:13], 4, v8
	s_and_saveexec_b64 s[14:15], s[12:13]
	s_cbranch_execz .LBB53_1018
.LBB53_1017:
	v_lshlrev_b32_e32 v12, 3, v0
	v_mov_b32_e32 v14, 0
	ds_read_b64 v[12:13], v12 offset:3584
	ds_read_b64 v[14:15], v14 offset:3640
	s_waitcnt lgkmcnt(0)
	v_mul_f32_e32 v16, v15, v13
	v_mul_f32_e32 v13, v14, v13
	v_fma_f32 v14, v14, v12, -v16
	v_fmac_f32_e32 v13, v15, v12
	v_add_f32_e32 v3, v3, v14
	v_add_f32_e32 v4, v4, v13
.LBB53_1018:
	s_or_b64 exec, exec, s[14:15]
.LBB53_1019:
	s_or_b64 exec, exec, s[6:7]
	s_and_saveexec_b64 s[6:7], s[44:45]
	s_cbranch_execz .LBB53_1021
; %bb.1020:
	v_mov_b32_e32 v12, 0
	ds_read_b64 v[12:13], v12 offset:1560
	s_waitcnt lgkmcnt(0)
	v_mul_f32_e32 v14, v4, v13
	v_mul_f32_e32 v15, v3, v13
	v_fma_f32 v3, v3, v12, -v14
	v_fmac_f32_e32 v15, v4, v12
	v_xor_b32_e32 v12, 0x80000000, v3
	v_xor_b32_e32 v13, 0x80000000, v15
	v_mov_b32_e32 v4, v15
	ds_write_b64 v11, v[12:13]
.LBB53_1021:
	s_or_b64 exec, exec, s[6:7]
	s_waitcnt lgkmcnt(0)
	s_barrier
	s_and_saveexec_b64 s[6:7], s[52:53]
	v_readlane_b32 s44, v30, 0
	s_cbranch_execz .LBB53_1023
; %bb.1022:
	v_lshlrev_b32_e32 v12, 3, v9
	ds_read_b64 v[12:13], v12 offset:1536
	ds_read_b64 v[14:15], v11
	s_waitcnt lgkmcnt(0)
	v_mul_f32_e32 v16, v15, v13
	v_mul_f32_e32 v13, v14, v13
	v_fma_f32 v14, v14, v12, -v16
	v_fmac_f32_e32 v13, v15, v12
	v_sub_f32_e32 v3, v3, v14
	v_sub_f32_e32 v4, v4, v13
.LBB53_1023:
	s_or_b64 exec, exec, s[6:7]
	s_barrier
	s_and_saveexec_b64 s[6:7], s[54:55]
	s_cbranch_execz .LBB53_1025
; %bb.1024:
	v_mov_b32_e32 v12, 0
	ds_read_b64 v[12:13], v12 offset:1040
	s_waitcnt lgkmcnt(0)
	v_mul_f32_e32 v14, v4, v13
	v_mul_f32_e32 v15, v3, v13
	v_fma_f32 v3, v3, v12, -v14
	v_fmac_f32_e32 v15, v4, v12
	v_xor_b32_e32 v12, 0x80000000, v3
	v_xor_b32_e32 v13, 0x80000000, v15
	v_mov_b32_e32 v4, v15
	ds_write_b64 v11, v[12:13]
.LBB53_1025:
	s_or_b64 exec, exec, s[6:7]
	s_waitcnt lgkmcnt(0)
	s_barrier
	s_and_saveexec_b64 s[6:7], s[56:57]
	s_cbranch_execz .LBB53_1027
; %bb.1026:
	v_lshlrev_b32_e32 v12, 3, v9
	ds_read_b64 v[12:13], v12 offset:1024
	ds_read_b64 v[14:15], v11
	s_waitcnt lgkmcnt(0)
	v_mul_f32_e32 v16, v15, v13
	v_mul_f32_e32 v13, v14, v13
	v_fma_f32 v14, v14, v12, -v16
	v_fmac_f32_e32 v13, v15, v12
	v_sub_f32_e32 v3, v3, v14
	v_sub_f32_e32 v4, v4, v13
.LBB53_1027:
	s_or_b64 exec, exec, s[6:7]
	s_barrier
	s_and_saveexec_b64 s[6:7], s[58:59]
	s_cbranch_execz .LBB53_1029
; %bb.1028:
	v_mov_b32_e32 v12, 0
	ds_read_b64 v[12:13], v12 offset:520
	s_waitcnt lgkmcnt(0)
	v_mul_f32_e32 v14, v4, v13
	v_mul_f32_e32 v15, v3, v13
	v_fma_f32 v3, v3, v12, -v14
	v_fmac_f32_e32 v15, v4, v12
	v_xor_b32_e32 v12, 0x80000000, v3
	v_xor_b32_e32 v13, 0x80000000, v15
	v_mov_b32_e32 v4, v15
	ds_write_b64 v11, v[12:13]
.LBB53_1029:
	s_or_b64 exec, exec, s[6:7]
	s_waitcnt lgkmcnt(0)
	s_barrier
	s_and_saveexec_b64 s[6:7], s[42:43]
	s_cbranch_execz .LBB53_1031
; %bb.1030:
	v_mov_b32_e32 v12, 0
	ds_read_b64 v[12:13], v12 offset:512
	ds_read_b64 v[14:15], v11
	s_waitcnt lgkmcnt(0)
	v_mul_f32_e32 v16, v15, v13
	v_mul_f32_e32 v13, v14, v13
	v_fma_f32 v14, v14, v12, -v16
	v_fmac_f32_e32 v13, v15, v12
	v_sub_f32_e32 v3, v3, v14
	v_sub_f32_e32 v4, v4, v13
.LBB53_1031:
	s_or_b64 exec, exec, s[6:7]
	s_barrier
	s_and_saveexec_b64 s[6:7], s[42:43]
	s_cbranch_execz .LBB53_1033
; %bb.1032:
	v_mov_b32_e32 v12, 0
	ds_read_b64 v[12:13], v12
	s_waitcnt lgkmcnt(0)
	v_mul_f32_e32 v14, v4, v13
	v_mul_f32_e32 v15, v3, v13
	v_fma_f32 v3, v3, v12, -v14
	v_fmac_f32_e32 v15, v4, v12
	v_xor_b32_e32 v12, 0x80000000, v3
	v_xor_b32_e32 v13, 0x80000000, v15
	v_mov_b32_e32 v4, v15
	ds_write_b64 v11, v[12:13]
.LBB53_1033:
	s_or_b64 exec, exec, s[6:7]
	s_waitcnt lgkmcnt(0)
	s_barrier
	s_barrier
	s_and_saveexec_b64 s[6:7], s[10:11]
; %bb.1034:
	v_lshlrev_b32_e32 v9, 3, v9
	v_lshl_or_b32 v9, v10, 9, v9
	ds_write_b64 v9, v[3:4] offset:2048
; %bb.1035:
	s_or_b64 exec, exec, s[6:7]
	s_waitcnt lgkmcnt(0)
	s_barrier
	s_barrier
	s_and_saveexec_b64 s[6:7], s[60:61]
	s_cbranch_execz .LBB53_1037
; %bb.1036:
	v_lshlrev_b32_e32 v9, 9, v0
	ds_read_b64 v[3:4], v9 offset:2048
	s_movk_i32 s10, 0xfe08
	v_mad_i32_i24 v10, v0, s10, v9
	s_waitcnt lgkmcnt(0)
	ds_write_b64 v10, v[3:4] offset:32
	ds_read_b64 v[3:4], v9 offset:2056
	s_waitcnt lgkmcnt(0)
	ds_write_b64 v10, v[3:4] offset:544
	ds_read_b64 v[3:4], v9 offset:2064
	;; [unrolled: 3-line block ×3, first 2 shown]
	s_waitcnt lgkmcnt(0)
	ds_write_b64 v10, v[3:4] offset:1568
.LBB53_1037:
	s_or_b64 exec, exec, s[6:7]
	s_waitcnt lgkmcnt(0)
	s_barrier
	s_and_saveexec_b64 s[6:7], vcc
	s_cbranch_execz .LBB53_1039
; %bb.1038:
	v_mov_b32_e32 v13, 0
	ds_read2_b64 v[9:12], v13 offset0:130 offset1:194
	ds_read_b64 v[3:4], v13 offset:1560
	s_waitcnt lgkmcnt(0)
	v_mul_f32_e32 v14, v4, v10
	v_mul_f32_e32 v10, v3, v10
	v_fma_f32 v3, v3, v9, -v14
	v_fmac_f32_e32 v10, v4, v9
	v_mul_f32_e32 v9, v10, v12
	v_mul_f32_e32 v4, v3, v12
	v_fma_f32 v3, v3, v11, -v9
	v_fmac_f32_e32 v4, v10, v11
	ds_write2_b64 v13, v[3:4], v[3:4] offset0:131 offset1:194
.LBB53_1039:
	s_or_b64 exec, exec, s[6:7]
	v_mov_b32_e32 v3, 0
	v_mov_b32_e32 v4, 0
	s_waitcnt lgkmcnt(0)
	s_barrier
	buffer_wbinvl1_vol
	s_and_saveexec_b64 s[6:7], s[22:23]
	s_cbranch_execz .LBB53_1043
; %bb.1040:
	v_lshlrev_b32_e32 v3, 3, v5
	v_lshlrev_b32_e32 v9, 9, v6
	ds_read_b64 v[3:4], v3 offset:1024
	ds_read_b64 v[9:10], v9 offset:1040
	v_cmp_gt_u32_e64 s[10:11], 2, v8
	s_waitcnt lgkmcnt(0)
	v_mul_f32_e32 v11, v10, v4
	v_mul_f32_e32 v4, v9, v4
	v_fma_f32 v9, v9, v3, -v11
	v_fmac_f32_e32 v4, v10, v3
	v_add_f32_e32 v3, 0, v9
	v_add_f32_e32 v4, 0, v4
	s_and_saveexec_b64 s[12:13], s[10:11]
	s_cbranch_execz .LBB53_1042
; %bb.1041:
	v_lshlrev_b32_e32 v8, 3, v0
	v_mov_b32_e32 v10, 0
	ds_read_b64 v[8:9], v8 offset:1536
	ds_read_b64 v[10:11], v10 offset:1560
	s_waitcnt lgkmcnt(0)
	v_mul_f32_e32 v12, v11, v9
	v_mul_f32_e32 v9, v10, v9
	v_fma_f32 v10, v10, v8, -v12
	v_fmac_f32_e32 v9, v11, v8
	v_add_f32_e32 v3, v3, v10
	v_add_f32_e32 v4, v4, v9
.LBB53_1042:
	s_or_b64 exec, exec, s[12:13]
.LBB53_1043:
	s_or_b64 exec, exec, s[6:7]
	s_and_saveexec_b64 s[6:7], s[36:37]
	s_cbranch_execz .LBB53_1045
; %bb.1044:
	v_mov_b32_e32 v8, 0
	ds_read_b64 v[8:9], v8 offset:520
	s_waitcnt lgkmcnt(0)
	v_mul_f32_e32 v10, v4, v9
	v_mul_f32_e32 v11, v3, v9
	v_fma_f32 v3, v3, v8, -v10
	v_fmac_f32_e32 v11, v4, v8
	v_xor_b32_e32 v8, 0x80000000, v3
	v_xor_b32_e32 v9, 0x80000000, v11
	v_mov_b32_e32 v4, v11
	ds_write_b64 v7, v[8:9]
.LBB53_1045:
	s_or_b64 exec, exec, s[6:7]
	s_waitcnt lgkmcnt(0)
	s_barrier
	s_and_saveexec_b64 s[6:7], s[34:35]
	s_cbranch_execz .LBB53_1047
; %bb.1046:
	v_mov_b32_e32 v8, 0
	ds_read_b64 v[8:9], v8 offset:512
	ds_read_b64 v[10:11], v7
	s_waitcnt lgkmcnt(0)
	v_mul_f32_e32 v12, v11, v9
	v_mul_f32_e32 v9, v10, v9
	v_fma_f32 v10, v10, v8, -v12
	v_fmac_f32_e32 v9, v11, v8
	v_sub_f32_e32 v3, v3, v10
	v_sub_f32_e32 v4, v4, v9
.LBB53_1047:
	s_or_b64 exec, exec, s[6:7]
	s_barrier
	s_and_saveexec_b64 s[6:7], s[34:35]
	s_cbranch_execz .LBB53_1049
; %bb.1048:
	v_mov_b32_e32 v8, 0
	ds_read_b64 v[8:9], v8
	s_waitcnt lgkmcnt(0)
	v_mul_f32_e32 v10, v4, v9
	v_mul_f32_e32 v11, v3, v9
	v_fma_f32 v3, v3, v8, -v10
	v_fmac_f32_e32 v11, v4, v8
	v_xor_b32_e32 v8, 0x80000000, v3
	v_xor_b32_e32 v9, 0x80000000, v11
	v_mov_b32_e32 v4, v11
	ds_write_b64 v7, v[8:9]
.LBB53_1049:
	s_or_b64 exec, exec, s[6:7]
	s_waitcnt lgkmcnt(0)
	s_barrier
	s_barrier
	s_and_saveexec_b64 s[6:7], s[22:23]
; %bb.1050:
	v_lshlrev_b32_e32 v5, 3, v5
	v_lshl_or_b32 v5, v6, 9, v5
	ds_write_b64 v5, v[3:4] offset:1024
; %bb.1051:
	s_or_b64 exec, exec, s[6:7]
	s_waitcnt lgkmcnt(0)
	s_barrier
	s_barrier
	s_and_saveexec_b64 s[6:7], s[38:39]
	s_cbranch_execz .LBB53_1053
; %bb.1052:
	v_lshlrev_b32_e32 v5, 3, v0
	s_movk_i32 s10, 0x1f8
	v_mad_u32_u24 v6, v0, s10, v5
	ds_read_b64 v[3:4], v6 offset:1024
	s_waitcnt lgkmcnt(0)
	ds_write_b64 v5, v[3:4] offset:16
	ds_read_b64 v[3:4], v6 offset:1032
	s_waitcnt lgkmcnt(0)
	ds_write_b64 v5, v[3:4] offset:528
.LBB53_1053:
	s_or_b64 exec, exec, s[6:7]
	s_waitcnt lgkmcnt(0)
	s_barrier
	s_and_saveexec_b64 s[6:7], vcc
	s_cbranch_execz .LBB53_1055
; %bb.1054:
	v_mov_b32_e32 v9, 0
	ds_read2st64_b64 v[3:6], v9 offset1:1
	ds_read_b64 v[7:8], v9 offset:520
	s_waitcnt lgkmcnt(0)
	v_mul_f32_e32 v10, v8, v4
	v_mul_f32_e32 v11, v7, v4
	v_fma_f32 v7, v7, v3, -v10
	v_fmac_f32_e32 v11, v8, v3
	v_mul_f32_e32 v3, v11, v6
	v_mul_f32_e32 v4, v7, v6
	v_fma_f32 v3, v7, v5, -v3
	v_fmac_f32_e32 v4, v11, v5
	ds_write2_b64 v9, v[3:4], v[3:4] offset0:1 offset1:64
.LBB53_1055:
	s_or_b64 exec, exec, s[6:7]
.LBB53_1056:
	s_load_dwordx4 s[16:19], s[4:5], 0x48
	v_cmp_le_i32_e32 vcc, s30, v0
	v_mov_b32_e32 v3, 0
	v_add_u32_e32 v5, s33, v0
	v_mov_b32_e32 v4, 0
	s_waitcnt lgkmcnt(0)
	s_mul_i32 s5, s17, s26
	s_mul_hi_u32 s6, s16, s26
	s_mul_i32 s4, s16, s26
	s_add_i32 s5, s6, s5
	s_lshl_b64 s[4:5], s[4:5], 3
	s_add_u32 s6, s46, s4
	s_addc_u32 s7, s47, s5
	s_lshl_b64 s[4:5], s[48:49], 3
	s_add_u32 s34, s6, s4
	s_addc_u32 s35, s7, s5
	s_and_b64 s[20:21], vcc, s[28:29]
	v_cmp_eq_u32_e64 s[4:5], 0, v2
	s_xor_b64 s[6:7], s[20:21], -1
	s_and_b64 s[10:11], s[4:5], s[6:7]
	s_barrier
	s_and_saveexec_b64 s[6:7], s[10:11]
	s_cbranch_execz .LBB53_1058
; %bb.1057:
	v_ashrrev_i32_e32 v6, 31, v5
	v_mul_lo_u32 v7, s51, v5
	v_mad_u64_u32 v[3:4], s[10:11], s50, v5, 0
	v_mul_lo_u32 v6, s50, v6
	v_add3_u32 v4, v4, v6, v7
	v_lshlrev_b64 v[3:4], 3, v[3:4]
	v_mov_b32_e32 v6, s35
	v_add_co_u32_e32 v3, vcc, s34, v3
	v_addc_co_u32_e32 v4, vcc, v6, v4, vcc
	global_load_dwordx2 v[6:7], v[3:4], off
	s_waitcnt vmcnt(0)
	v_mul_f32_e32 v3, s24, v6
	v_mul_f32_e32 v4, s24, v7
	v_fma_f32 v3, s25, v7, -v3
	v_fma_f32 v4, v6, -s25, -v4
.LBB53_1058:
	s_or_b64 exec, exec, s[6:7]
	s_and_b32 s6, 0xffff, s93
	v_mad_u32_u24 v7, v2, s6, v0
	s_cmp_lt_i32 s8, 1
	v_cmp_eq_u32_e64 s[16:17], 0, v7
	s_cbranch_scc1 .LBB53_1077
; %bb.1059:
	v_mad_u64_u32 v[10:11], s[10:11], s40, v5, 0
	v_cmp_gt_i32_e64 s[12:13], s9, v5
	s_mov_b64 s[6:7], src_private_base
	v_mov_b32_e32 v6, v11
	v_mad_u64_u32 v[8:9], s[10:11], s41, v5, v[6:7]
	v_mov_b32_e32 v6, 0xa000
	v_lshl_or_b32 v9, v2, 3, v6
	v_mov_b32_e32 v11, v8
	v_lshl_add_u32 v8, v7, 3, v6
	v_lshlrev_b64 v[5:6], 3, v[10:11]
	s_lshl_b64 s[10:11], s[26:27], 2
	s_add_u32 s22, s18, s10
	v_mov_b32_e32 v11, s92
	v_add_co_u32_e32 v10, vcc, s31, v5
	s_mov_b32 s6, 0
	s_addc_u32 s23, s19, s11
	v_cmp_gt_u32_e64 s[10:11], 64, v7
	s_add_i32 s36, s8, -1
	v_addc_co_u32_e32 v11, vcc, v11, v6, vcc
	v_mov_b32_e32 v14, -1
	v_mov_b32_e32 v6, 0
	v_mov_b32_e32 v12, 0
	;; [unrolled: 1-line block ×5, first 2 shown]
	s_branch .LBB53_1061
.LBB53_1060:                            ;   in Loop: Header=BB53_1061 Depth=1
	s_or_b64 exec, exec, s[24:25]
	s_add_i32 s6, s6, 1
	s_cmp_eq_u32 s6, s8
	s_cbranch_scc1 .LBB53_1077
.LBB53_1061:                            ; =>This Loop Header: Depth=1
                                        ;     Child Loop BB53_1063 Depth 2
	v_cmp_gt_i32_e32 vcc, s6, v14
	s_and_b64 s[24:25], s[16:17], vcc
	s_and_saveexec_b64 s[14:15], s[24:25]
	s_cbranch_execz .LBB53_1064
; %bb.1062:                             ;   in Loop: Header=BB53_1061 Depth=1
	global_load_dword v14, v6, s[22:23]
	s_waitcnt vmcnt(0)
	v_cmp_le_i32_e32 vcc, s6, v14
	s_cbranch_vccnz .LBB53_1064
.LBB53_1063:                            ;   Parent Loop BB53_1061 Depth=1
                                        ; =>  This Inner Loop Header: Depth=2
	buffer_wbinvl1_vol
	global_load_dword v14, v6, s[22:23]
	s_waitcnt vmcnt(0)
	v_cmp_gt_i32_e32 vcc, s6, v14
	s_cbranch_vccnz .LBB53_1063
.LBB53_1064:                            ;   in Loop: Header=BB53_1061 Depth=1
	s_or_b64 exec, exec, s[14:15]
	s_lshl_b32 s31, s6, 6
	buffer_wbinvl1_vol
	s_barrier
	s_and_saveexec_b64 s[14:15], s[10:11]
	s_cbranch_execz .LBB53_1069
; %bb.1065:                             ;   in Loop: Header=BB53_1061 Depth=1
	v_or_b32_e32 v5, s31, v7
	v_cmp_le_i32_e32 vcc, s9, v5
	s_and_saveexec_b64 s[24:25], vcc
	s_xor_b64 s[24:25], exec, s[24:25]
; %bb.1066:                             ;   in Loop: Header=BB53_1061 Depth=1
	v_mov_b32_e32 v5, v6
	ds_write_b64 v8, v[5:6]
                                        ; implicit-def: $vgpr5
; %bb.1067:                             ;   in Loop: Header=BB53_1061 Depth=1
	s_andn2_saveexec_b64 s[24:25], s[24:25]
	s_cbranch_execz .LBB53_1069
; %bb.1068:                             ;   in Loop: Header=BB53_1061 Depth=1
	v_mad_u64_u32 v[17:18], s[24:25], s50, v5, 0
	v_mad_u64_u32 v[18:19], s[24:25], s51, v5, v[18:19]
	v_mov_b32_e32 v5, s35
	v_lshlrev_b64 v[17:18], 3, v[17:18]
	v_add_co_u32_e32 v17, vcc, s34, v17
	v_addc_co_u32_e32 v18, vcc, v5, v18, vcc
	global_load_dwordx2 v[17:18], v[17:18], off
	s_waitcnt vmcnt(0)
	ds_write_b64 v8, v[17:18]
.LBB53_1069:                            ;   in Loop: Header=BB53_1061 Depth=1
	s_or_b64 exec, exec, s[14:15]
	v_add_u32_e32 v5, s31, v2
	v_lshlrev_b64 v[18:19], 3, v[5:6]
	s_cmp_eq_u32 s6, s36
	v_add_co_u32_e32 v18, vcc, v10, v18
	v_addc_co_u32_e32 v17, vcc, v11, v19, vcc
	v_cmp_gt_i32_e32 vcc, s9, v5
	s_cselect_b64 s[14:15], -1, 0
	s_and_b64 s[38:39], vcc, s[12:13]
	s_waitcnt lgkmcnt(0)
	s_barrier
	s_and_saveexec_b64 s[24:25], s[38:39]
	s_cbranch_execz .LBB53_1071
; %bb.1070:                             ;   in Loop: Header=BB53_1061 Depth=1
	v_mov_b32_e32 v19, s7
	v_cndmask_b32_e64 v20, v17, v19, s[14:15]
	v_cndmask_b32_e64 v19, v18, v12, s[14:15]
	flat_load_dwordx2 v[19:20], v[19:20]
	ds_read_b64 v[21:22], v9
	s_waitcnt vmcnt(0) lgkmcnt(0)
	v_mul_f32_e32 v23, v22, v20
	v_mul_f32_e32 v20, v21, v20
	v_fma_f32 v21, v21, v19, -v23
	v_fmac_f32_e32 v20, v22, v19
	v_add_f32_e32 v3, v3, v21
	v_add_f32_e32 v4, v4, v20
.LBB53_1071:                            ;   in Loop: Header=BB53_1061 Depth=1
	s_or_b64 exec, exec, s[24:25]
	v_add_u32_e32 v19, 16, v5
	v_cmp_gt_i32_e32 vcc, s9, v19
	s_and_b64 s[38:39], vcc, s[12:13]
	s_and_saveexec_b64 s[24:25], s[38:39]
	s_cbranch_execz .LBB53_1073
; %bb.1072:                             ;   in Loop: Header=BB53_1061 Depth=1
	v_add_co_u32_e32 v19, vcc, 0x80, v18
	v_addc_co_u32_e32 v20, vcc, 0, v17, vcc
	v_mov_b32_e32 v21, s7
	v_cndmask_b32_e64 v20, v20, v21, s[14:15]
	v_cndmask_b32_e64 v19, v19, v13, s[14:15]
	flat_load_dwordx2 v[19:20], v[19:20]
	ds_read_b64 v[21:22], v9 offset:128
	s_waitcnt vmcnt(0) lgkmcnt(0)
	v_mul_f32_e32 v23, v22, v20
	v_mul_f32_e32 v20, v21, v20
	v_fma_f32 v21, v21, v19, -v23
	v_fmac_f32_e32 v20, v22, v19
	v_add_f32_e32 v3, v3, v21
	v_add_f32_e32 v4, v4, v20
.LBB53_1073:                            ;   in Loop: Header=BB53_1061 Depth=1
	s_or_b64 exec, exec, s[24:25]
	v_add_u32_e32 v19, 32, v5
	v_cmp_gt_i32_e32 vcc, s9, v19
	s_and_b64 s[38:39], vcc, s[12:13]
	s_and_saveexec_b64 s[24:25], s[38:39]
	s_cbranch_execz .LBB53_1075
; %bb.1074:                             ;   in Loop: Header=BB53_1061 Depth=1
	v_add_co_u32_e32 v19, vcc, 0x100, v18
	v_addc_co_u32_e32 v20, vcc, 0, v17, vcc
	v_mov_b32_e32 v21, s7
	v_cndmask_b32_e64 v20, v20, v21, s[14:15]
	v_cndmask_b32_e64 v19, v19, v15, s[14:15]
	flat_load_dwordx2 v[19:20], v[19:20]
	ds_read_b64 v[21:22], v9 offset:256
	s_waitcnt vmcnt(0) lgkmcnt(0)
	v_mul_f32_e32 v23, v22, v20
	v_mul_f32_e32 v20, v21, v20
	v_fma_f32 v21, v21, v19, -v23
	v_fmac_f32_e32 v20, v22, v19
	v_add_f32_e32 v3, v3, v21
	v_add_f32_e32 v4, v4, v20
.LBB53_1075:                            ;   in Loop: Header=BB53_1061 Depth=1
	s_or_b64 exec, exec, s[24:25]
	v_add_u32_e32 v5, 48, v5
	v_cmp_gt_i32_e32 vcc, s9, v5
	s_and_b64 s[38:39], vcc, s[12:13]
	s_and_saveexec_b64 s[24:25], s[38:39]
	s_cbranch_execz .LBB53_1060
; %bb.1076:                             ;   in Loop: Header=BB53_1061 Depth=1
	v_add_co_u32_e32 v5, vcc, 0x180, v18
	v_addc_co_u32_e32 v17, vcc, 0, v17, vcc
	v_mov_b32_e32 v18, s7
	v_cndmask_b32_e64 v18, v17, v18, s[14:15]
	v_cndmask_b32_e64 v17, v5, v16, s[14:15]
	flat_load_dwordx2 v[17:18], v[17:18]
	ds_read_b64 v[19:20], v9 offset:384
	s_waitcnt vmcnt(0) lgkmcnt(0)
	v_mul_f32_e32 v5, v20, v18
	v_mul_f32_e32 v18, v19, v18
	v_fma_f32 v5, v19, v17, -v5
	v_fmac_f32_e32 v18, v20, v17
	v_add_f32_e32 v3, v3, v5
	v_add_f32_e32 v4, v4, v18
	s_branch .LBB53_1060
.LBB53_1077:
	s_xor_b64 s[6:7], s[28:29], -1
	v_lshlrev_b32_e32 v1, 3, v1
	ds_write_b64 v1, v[3:4] offset:32768
	s_waitcnt lgkmcnt(0)
	s_barrier
	s_and_saveexec_b64 s[8:9], s[4:5]
	s_cbranch_execz .LBB53_1079
; %bb.1078:
	v_lshlrev_b32_e32 v18, 3, v0
	ds_read2st64_b64 v[8:11], v18 offset0:65 offset1:66
	ds_read2st64_b64 v[12:15], v18 offset0:67 offset1:68
	ds_read_b64 v[16:17], v18 offset:40448
	s_waitcnt lgkmcnt(2)
	v_add_f32_e32 v3, v3, v8
	v_add_f32_e32 v4, v4, v9
	;; [unrolled: 1-line block ×4, first 2 shown]
	ds_read2st64_b64 v[3:6], v18 offset0:69 offset1:70
	s_waitcnt lgkmcnt(2)
	v_add_f32_e32 v8, v8, v12
	v_add_f32_e32 v9, v9, v13
	;; [unrolled: 1-line block ×4, first 2 shown]
	s_waitcnt lgkmcnt(0)
	v_add_f32_e32 v3, v8, v3
	ds_read2st64_b64 v[8:11], v18 offset0:71 offset1:72
	v_add_f32_e32 v4, v12, v4
	v_add_f32_e32 v12, v3, v5
	;; [unrolled: 1-line block ×3, first 2 shown]
	ds_read2st64_b64 v[3:6], v18 offset0:73 offset1:74
	s_waitcnt lgkmcnt(1)
	v_add_f32_e32 v8, v12, v8
	v_add_f32_e32 v9, v13, v9
	;; [unrolled: 1-line block ×4, first 2 shown]
	s_waitcnt lgkmcnt(0)
	v_add_f32_e32 v3, v8, v3
	ds_read2st64_b64 v[8:11], v18 offset0:75 offset1:76
	v_add_f32_e32 v4, v12, v4
	v_add_f32_e32 v12, v3, v5
	;; [unrolled: 1-line block ×3, first 2 shown]
	ds_read2st64_b64 v[3:6], v18 offset0:77 offset1:78
	s_waitcnt lgkmcnt(1)
	v_add_f32_e32 v8, v12, v8
	v_add_f32_e32 v9, v13, v9
	;; [unrolled: 1-line block ×4, first 2 shown]
	s_waitcnt lgkmcnt(0)
	v_add_f32_e32 v3, v8, v3
	v_add_f32_e32 v4, v9, v4
	;; [unrolled: 1-line block ×6, first 2 shown]
	v_cndmask_b32_e64 v3, -v3, 0, s[20:21]
	v_cndmask_b32_e64 v4, -v4, 0, s[20:21]
.LBB53_1079:
	s_or_b64 exec, exec, s[8:9]
	s_and_b64 vcc, exec, s[64:65]
	s_cbranch_vccnz .LBB53_1092
; %bb.1080:
	v_mov_b32_e32 v5, 0xa000
	v_lshl_or_b32 v8, v2, 3, v5
	s_and_saveexec_b64 s[8:9], s[4:5]
; %bb.1081:
	v_lshl_add_u32 v5, v0, 3, v8
	ds_write_b64 v5, v[3:4]
; %bb.1082:
	s_or_b64 exec, exec, s[8:9]
	v_cmp_le_u32_e32 vcc, v2, v0
	v_mov_b32_e32 v5, 0
	v_mov_b32_e32 v6, 0
	s_waitcnt lgkmcnt(0)
	s_barrier
	s_and_saveexec_b64 s[8:9], vcc
	s_cbranch_execz .LBB53_1084
; %bb.1083:
	ds_read_b64 v[5:6], v1
	ds_read_b64 v[9:10], v8
	s_waitcnt lgkmcnt(0)
	v_mul_f32_e32 v11, v10, v6
	v_mul_f32_e32 v6, v9, v6
	v_fma_f32 v9, v9, v5, -v11
	v_fmac_f32_e32 v6, v10, v5
	v_add_f32_e32 v5, 0, v9
	v_add_f32_e32 v6, 0, v6
.LBB53_1084:
	s_or_b64 exec, exec, s[8:9]
	v_add_u32_e32 v9, 16, v2
	v_cmp_ge_u32_e32 vcc, v0, v9
	s_and_saveexec_b64 s[8:9], vcc
	s_cbranch_execz .LBB53_1086
; %bb.1085:
	ds_read_b64 v[9:10], v1 offset:8192
	ds_read_b64 v[11:12], v8 offset:128
	s_waitcnt lgkmcnt(0)
	v_mul_f32_e32 v13, v12, v10
	v_mul_f32_e32 v10, v11, v10
	v_fma_f32 v11, v11, v9, -v13
	v_fmac_f32_e32 v10, v12, v9
	v_add_f32_e32 v5, v5, v11
	v_add_f32_e32 v6, v6, v10
.LBB53_1086:
	s_or_b64 exec, exec, s[8:9]
	v_add_u32_e32 v9, 32, v2
	v_cmp_ge_u32_e32 vcc, v0, v9
	s_and_saveexec_b64 s[8:9], vcc
	s_cbranch_execz .LBB53_1088
; %bb.1087:
	ds_read_b64 v[9:10], v1 offset:16384
	ds_read_b64 v[11:12], v8 offset:256
	s_waitcnt lgkmcnt(0)
	v_mul_f32_e32 v13, v12, v10
	v_mul_f32_e32 v10, v11, v10
	v_fma_f32 v11, v11, v9, -v13
	v_fmac_f32_e32 v10, v12, v9
	v_add_f32_e32 v5, v5, v11
	v_add_f32_e32 v6, v6, v10
.LBB53_1088:
	s_or_b64 exec, exec, s[8:9]
	v_add_u32_e32 v2, 48, v2
	v_add_u32_e32 v9, 0x8000, v1
	v_cmp_ge_u32_e32 vcc, v0, v2
	s_and_saveexec_b64 s[8:9], vcc
	s_cbranch_execz .LBB53_1090
; %bb.1089:
	ds_read_b64 v[1:2], v1 offset:24576
	ds_read_b64 v[10:11], v8 offset:384
	s_waitcnt lgkmcnt(0)
	v_mul_f32_e32 v8, v11, v2
	v_mul_f32_e32 v2, v10, v2
	v_fma_f32 v8, v10, v1, -v8
	v_fmac_f32_e32 v2, v11, v1
	v_add_f32_e32 v5, v5, v8
	v_add_f32_e32 v6, v6, v2
.LBB53_1090:
	s_or_b64 exec, exec, s[8:9]
	s_mov_b64 s[10:11], 0
	s_mov_b64 s[8:9], 0
	ds_write_b64 v9, v[5:6]
	s_waitcnt lgkmcnt(0)
	s_barrier
                                        ; implicit-def: $vgpr8
                                        ; implicit-def: $vgpr9
                                        ; implicit-def: $vgpr1_vgpr2
	s_and_saveexec_b64 s[12:13], s[4:5]
	s_cbranch_execz .LBB53_1105
; %bb.1091:
	v_lshlrev_b32_e32 v1, 3, v0
	ds_read2st64_b64 v[8:11], v1 offset0:65 offset1:66
	ds_read2st64_b64 v[12:15], v1 offset0:67 offset1:68
	ds_read_b64 v[16:17], v1 offset:40448
	s_mov_b64 s[8:9], exec
	s_waitcnt lgkmcnt(2)
	v_add_f32_e32 v2, v5, v8
	v_add_f32_e32 v5, v6, v9
	v_add_f32_e32 v2, v2, v10
	v_add_f32_e32 v5, v5, v11
	ds_read2st64_b64 v[8:11], v1 offset0:69 offset1:70
	s_waitcnt lgkmcnt(2)
	v_add_f32_e32 v2, v2, v12
	v_add_f32_e32 v5, v5, v13
	v_add_f32_e32 v2, v2, v14
	v_add_f32_e32 v5, v5, v15
	ds_read2st64_b64 v[12:15], v1 offset0:71 offset1:72
	;; [unrolled: 6-line block ×5, first 2 shown]
	s_waitcnt lgkmcnt(1)
	v_add_f32_e32 v1, v2, v12
	v_add_f32_e32 v2, v5, v13
	v_add_u32_e32 v12, s33, v7
	v_add_f32_e32 v5, v1, v14
	v_add_f32_e32 v6, v2, v15
	v_mad_u64_u32 v[1:2], s[14:15], s50, v12, 0
	s_waitcnt lgkmcnt(0)
	v_add_f32_e32 v5, v5, v8
	v_add_f32_e32 v8, v6, v9
	;; [unrolled: 1-line block ×3, first 2 shown]
	v_mad_u64_u32 v[5:6], s[14:15], s51, v12, v[2:3]
	v_add_f32_e32 v2, v8, v11
	v_add_f32_e32 v9, v9, v16
	;; [unrolled: 1-line block ×3, first 2 shown]
	v_mov_b32_e32 v2, v5
	s_or_b64 exec, exec, s[12:13]
	s_and_b64 vcc, exec, s[10:11]
	s_cbranch_vccnz .LBB53_1093
	s_branch .LBB53_1106
.LBB53_1092:
	s_mov_b64 s[8:9], 0
                                        ; implicit-def: $vgpr8
                                        ; implicit-def: $vgpr9
                                        ; implicit-def: $vgpr1_vgpr2
	s_cbranch_execz .LBB53_1106
.LBB53_1093:
	v_mul_u32_u24_e32 v1, 0x208, v0
	v_lshlrev_b32_e32 v2, 9, v0
	v_sub_u32_e32 v2, v1, v2
	s_mov_b32 s12, 0
	v_mov_b32_e32 v5, 0
	v_mov_b32_e32 v6, v0
	s_branch .LBB53_1095
.LBB53_1094:                            ;   in Loop: Header=BB53_1095 Depth=1
	s_or_b64 exec, exec, s[10:11]
	s_add_i32 s12, s12, 2
	v_add_u32_e32 v2, 0x400, v2
	s_cmp_lg_u32 s12, 64
	v_add_u32_e32 v6, -2, v6
	s_barrier
	s_cbranch_scc0 .LBB53_1103
.LBB53_1095:                            ; =>This Inner Loop Header: Depth=1
	v_cmp_eq_u32_e32 vcc, 0, v6
	s_and_b64 s[14:15], s[4:5], vcc
	s_and_saveexec_b64 s[10:11], s[14:15]
	s_cbranch_execz .LBB53_1097
; %bb.1096:                             ;   in Loop: Header=BB53_1095 Depth=1
	ds_read_b64 v[8:9], v1
	s_waitcnt lgkmcnt(0)
	v_mul_f32_e32 v11, v4, v9
	v_mul_f32_e32 v10, v3, v9
	v_fma_f32 v9, v3, v8, -v11
	v_fmac_f32_e32 v10, v4, v8
	v_mov_b32_e32 v3, v9
	v_mov_b32_e32 v4, v10
	ds_write_b64 v5, v[9:10] offset:41472
.LBB53_1097:                            ;   in Loop: Header=BB53_1095 Depth=1
	s_or_b64 exec, exec, s[10:11]
	v_cmp_lt_u32_e32 vcc, s12, v0
	s_and_b64 s[14:15], s[4:5], vcc
	s_waitcnt lgkmcnt(0)
	s_barrier
	s_and_saveexec_b64 s[10:11], s[14:15]
	s_cbranch_execz .LBB53_1099
; %bb.1098:                             ;   in Loop: Header=BB53_1095 Depth=1
	ds_read_b64 v[8:9], v2
	ds_read_b64 v[10:11], v5 offset:41472
	s_waitcnt lgkmcnt(0)
	v_mul_f32_e32 v12, v11, v9
	v_mul_f32_e32 v9, v10, v9
	v_fma_f32 v10, v10, v8, -v12
	v_fmac_f32_e32 v9, v11, v8
	v_add_f32_e32 v3, v3, v10
	v_add_f32_e32 v4, v4, v9
.LBB53_1099:                            ;   in Loop: Header=BB53_1095 Depth=1
	s_or_b64 exec, exec, s[10:11]
	s_or_b32 s13, s12, 1
	v_cmp_eq_u32_e32 vcc, s13, v0
	s_and_b64 s[14:15], s[4:5], vcc
	s_barrier
	s_and_saveexec_b64 s[10:11], s[14:15]
	s_cbranch_execz .LBB53_1101
; %bb.1100:                             ;   in Loop: Header=BB53_1095 Depth=1
	ds_read_b64 v[8:9], v1
	s_waitcnt lgkmcnt(0)
	v_mul_f32_e32 v11, v4, v9
	v_mul_f32_e32 v10, v3, v9
	v_fma_f32 v9, v3, v8, -v11
	v_fmac_f32_e32 v10, v4, v8
	v_mov_b32_e32 v3, v9
	v_mov_b32_e32 v4, v10
	ds_write_b64 v5, v[9:10] offset:41472
.LBB53_1101:                            ;   in Loop: Header=BB53_1095 Depth=1
	s_or_b64 exec, exec, s[10:11]
	v_cmp_lt_u32_e32 vcc, s13, v0
	s_and_b64 s[14:15], s[4:5], vcc
	s_waitcnt lgkmcnt(0)
	s_barrier
	s_and_saveexec_b64 s[10:11], s[14:15]
	s_cbranch_execz .LBB53_1094
; %bb.1102:                             ;   in Loop: Header=BB53_1095 Depth=1
	ds_read_b64 v[8:9], v2 offset:512
	ds_read_b64 v[10:11], v5 offset:41472
	s_waitcnt lgkmcnt(0)
	v_mul_f32_e32 v12, v11, v9
	v_mul_f32_e32 v9, v10, v9
	v_fma_f32 v10, v10, v8, -v12
	v_fmac_f32_e32 v9, v11, v8
	v_add_f32_e32 v3, v3, v10
	v_add_f32_e32 v4, v4, v9
	s_branch .LBB53_1094
.LBB53_1103:
	s_and_b64 vcc, exec, s[6:7]
	s_cbranch_vccz .LBB53_1107
; %bb.1104:
	s_and_b64 s[6:7], s[4:5], exec
	s_cbranch_execz .LBB53_1108
	s_branch .LBB53_1109
.LBB53_1105:
	s_or_b64 exec, exec, s[12:13]
	s_and_b64 vcc, exec, s[10:11]
	s_cbranch_vccnz .LBB53_1093
.LBB53_1106:
	v_mov_b32_e32 v4, v8
	v_mov_b32_e32 v3, v9
	s_and_saveexec_b64 s[4:5], s[8:9]
	s_cbranch_execnz .LBB53_1112
	s_branch .LBB53_1113
.LBB53_1107:
	s_mov_b64 s[6:7], 0
.LBB53_1108:
	v_cmp_gt_i32_e32 vcc, s30, v0
	s_and_b64 s[4:5], s[4:5], vcc
	s_andn2_b64 s[6:7], s[6:7], exec
	s_and_b64 s[4:5], s[4:5], exec
	s_or_b64 s[6:7], s[6:7], s[4:5]
.LBB53_1109:
                                        ; implicit-def: $vgpr1_vgpr2
	s_and_saveexec_b64 s[4:5], s[6:7]
	s_cbranch_execz .LBB53_1111
; %bb.1110:
	v_mov_b32_e32 v0, s44
	v_add_co_u32_e32 v1, vcc, s33, v7
	v_addc_co_u32_e32 v0, vcc, 0, v0, vcc
	v_mul_lo_u32 v0, v0, s50
	v_mul_lo_u32 v5, v1, s51
	v_mad_u64_u32 v[1:2], s[6:7], v1, s50, 0
	s_or_b64 s[8:9], s[8:9], exec
	v_add3_u32 v2, v2, v5, v0
.LBB53_1111:
	s_or_b64 exec, exec, s[4:5]
	s_and_saveexec_b64 s[4:5], s[8:9]
	s_cbranch_execz .LBB53_1113
.LBB53_1112:
	v_lshlrev_b64 v[0:1], 3, v[1:2]
	v_mov_b32_e32 v2, s35
	v_add_co_u32_e32 v0, vcc, s34, v0
	v_addc_co_u32_e32 v1, vcc, v2, v1, vcc
	global_store_dwordx2 v[0:1], v[3:4], off
.LBB53_1113:
	s_or_b64 exec, exec, s[4:5]
	v_cmp_eq_u32_e32 vcc, 0, v7
	s_waitcnt vmcnt(0)
	buffer_wbinvl1_vol
	s_barrier
	s_and_saveexec_b64 s[4:5], vcc
	s_cbranch_execz .LBB53_1115
; %bb.1114:
	s_lshl_b64 s[6:7], s[26:27], 2
	s_add_u32 s6, s18, s6
	s_addc_u32 s7, s19, s7
	v_mov_b32_e32 v0, 0
	global_load_dword v1, v0, s[6:7]
	s_waitcnt vmcnt(0)
	v_add_u32_e32 v1, 1, v1
	global_store_dword v0, v1, s[6:7]
.LBB53_1115:
	s_or_b64 exec, exec, s[4:5]
	s_waitcnt vmcnt(0)
	buffer_wbinvl1_vol
	s_endpgm
.LBB53_1116:
	ds_read_b64 v[14:15], v12 offset:31680
	ds_read_b64 v[16:17], v13 offset:31208
	s_waitcnt lgkmcnt(0)
	v_mul_f32_e32 v18, v17, v15
	v_mul_f32_e32 v15, v16, v15
	v_fma_f32 v16, v16, v14, -v18
	v_fmac_f32_e32 v15, v17, v14
	v_add_f32_e32 v3, v3, v16
	v_add_f32_e32 v4, v4, v15
	s_or_b64 exec, exec, s[18:19]
	v_cmp_gt_u32_e64 s[14:15], 8, v8
	s_and_saveexec_b64 s[18:19], s[14:15]
	s_cbranch_execz .LBB53_156
.LBB53_1117:
	ds_read_b64 v[14:15], v12 offset:32192
	ds_read_b64 v[12:13], v13 offset:31216
	s_waitcnt lgkmcnt(0)
	v_mul_f32_e32 v16, v13, v15
	v_mul_f32_e32 v15, v12, v15
	v_fma_f32 v12, v12, v14, -v16
	v_fmac_f32_e32 v15, v13, v14
	v_add_f32_e32 v3, v3, v12
	v_add_f32_e32 v4, v4, v15
	s_or_b64 exec, exec, s[18:19]
	v_cmp_gt_u32_e64 s[14:15], 4, v8
	s_and_saveexec_b64 s[18:19], s[14:15]
	s_cbranch_execnz .LBB53_157
	s_branch .LBB53_158
.LBB53_1118:
	ds_read_b64 v[17:18], v15 offset:29568
	ds_read_b64 v[19:20], v16 offset:29128
	s_waitcnt lgkmcnt(0)
	v_mul_f32_e32 v21, v20, v18
	v_mul_f32_e32 v18, v19, v18
	v_fma_f32 v19, v19, v17, -v21
	v_fmac_f32_e32 v18, v20, v17
	v_add_f32_e32 v3, v3, v19
	v_add_f32_e32 v4, v4, v18
	s_or_b64 exec, exec, s[20:21]
	v_cmp_gt_u32_e64 s[18:19], 48, v8
	s_and_saveexec_b64 s[20:21], s[18:19]
	s_cbranch_execz .LBB53_198
.LBB53_1119:
	ds_read_b64 v[17:18], v15 offset:30080
	ds_read_b64 v[19:20], v16 offset:29136
	s_waitcnt lgkmcnt(0)
	v_mul_f32_e32 v21, v20, v18
	v_mul_f32_e32 v18, v19, v18
	v_fma_f32 v19, v19, v17, -v21
	v_fmac_f32_e32 v18, v20, v17
	v_add_f32_e32 v3, v3, v19
	v_add_f32_e32 v4, v4, v18
	s_or_b64 exec, exec, s[20:21]
	v_cmp_gt_u32_e64 s[18:19], 40, v8
	s_and_saveexec_b64 s[20:21], s[18:19]
	s_cbranch_execz .LBB53_199
.LBB53_1120:
	ds_read_b64 v[17:18], v15 offset:30592
	ds_read_b64 v[19:20], v16 offset:29144
	s_waitcnt lgkmcnt(0)
	v_mul_f32_e32 v21, v20, v18
	v_mul_f32_e32 v18, v19, v18
	v_fma_f32 v19, v19, v17, -v21
	v_fmac_f32_e32 v18, v20, v17
	v_add_f32_e32 v3, v3, v19
	v_add_f32_e32 v4, v4, v18
	s_or_b64 exec, exec, s[20:21]
	v_cmp_gt_u32_e64 s[18:19], 32, v8
	s_and_saveexec_b64 s[20:21], s[18:19]
	s_cbranch_execz .LBB53_200
.LBB53_1121:
	ds_read_b64 v[17:18], v15 offset:31104
	ds_read_b64 v[19:20], v16 offset:29152
	s_waitcnt lgkmcnt(0)
	v_mul_f32_e32 v21, v20, v18
	v_mul_f32_e32 v18, v19, v18
	v_fma_f32 v19, v19, v17, -v21
	v_fmac_f32_e32 v18, v20, v17
	v_add_f32_e32 v3, v3, v19
	v_add_f32_e32 v4, v4, v18
	s_or_b64 exec, exec, s[20:21]
	v_cmp_gt_u32_e64 s[18:19], 24, v8
	s_and_saveexec_b64 s[20:21], s[18:19]
	s_cbranch_execz .LBB53_201
.LBB53_1122:
	ds_read_b64 v[17:18], v15 offset:31616
	ds_read_b64 v[19:20], v16 offset:29160
	s_waitcnt lgkmcnt(0)
	v_mul_f32_e32 v21, v20, v18
	v_mul_f32_e32 v18, v19, v18
	v_fma_f32 v19, v19, v17, -v21
	v_fmac_f32_e32 v18, v20, v17
	v_add_f32_e32 v3, v3, v19
	v_add_f32_e32 v4, v4, v18
	s_or_b64 exec, exec, s[20:21]
	s_and_saveexec_b64 s[18:19], s[10:11]
	s_cbranch_execz .LBB53_202
.LBB53_1123:
	ds_read_b64 v[17:18], v15 offset:32128
	ds_read_b64 v[15:16], v16 offset:29168
	s_waitcnt lgkmcnt(0)
	v_mul_f32_e32 v19, v16, v18
	v_mul_f32_e32 v18, v15, v18
	v_fma_f32 v15, v15, v17, -v19
	v_fmac_f32_e32 v18, v16, v17
	v_add_f32_e32 v3, v3, v15
	v_add_f32_e32 v4, v4, v18
	s_or_b64 exec, exec, s[18:19]
	v_cmp_gt_u32_e64 s[18:19], 8, v8
	s_and_saveexec_b64 s[20:21], s[18:19]
	s_cbranch_execnz .LBB53_203
	s_branch .LBB53_204
.LBB53_1124:
	ds_read_b64 v[17:18], v15 offset:27520
	ds_read_b64 v[19:20], v16 offset:27048
	s_waitcnt lgkmcnt(0)
	v_mul_f32_e32 v21, v20, v18
	v_mul_f32_e32 v18, v19, v18
	v_fma_f32 v19, v19, v17, -v21
	v_fmac_f32_e32 v18, v20, v17
	v_add_f32_e32 v3, v3, v19
	v_add_f32_e32 v4, v4, v18
	s_or_b64 exec, exec, s[18:19]
	v_cmp_gt_u32_e64 s[14:15], 8, v8
	s_and_saveexec_b64 s[18:19], s[14:15]
	s_cbranch_execz .LBB53_260
.LBB53_1125:
	ds_read_b64 v[17:18], v15 offset:28032
	ds_read_b64 v[15:16], v16 offset:27056
	s_waitcnt lgkmcnt(0)
	v_mul_f32_e32 v19, v16, v18
	v_mul_f32_e32 v18, v15, v18
	v_fma_f32 v15, v15, v17, -v19
	v_fmac_f32_e32 v18, v16, v17
	v_add_f32_e32 v3, v3, v15
	v_add_f32_e32 v4, v4, v18
	s_or_b64 exec, exec, s[18:19]
	v_cmp_gt_u32_e64 s[14:15], 4, v8
	s_and_saveexec_b64 s[18:19], s[14:15]
	s_cbranch_execnz .LBB53_261
	s_branch .LBB53_262
.LBB53_1126:
	ds_read_b64 v[20:21], v18 offset:30464
	ds_read_b64 v[22:23], v19 offset:25048
	s_waitcnt lgkmcnt(0)
	v_mul_f32_e32 v24, v23, v21
	v_mul_f32_e32 v21, v22, v21
	v_fma_f32 v22, v22, v20, -v24
	v_fmac_f32_e32 v21, v23, v20
	v_add_f32_e32 v3, v3, v22
	v_add_f32_e32 v4, v4, v21
	s_or_b64 exec, exec, s[24:25]
	s_and_saveexec_b64 s[20:21], s[12:13]
	s_cbranch_execz .LBB53_322
.LBB53_1127:
	ds_read_b64 v[20:21], v18 offset:30976
	ds_read_b64 v[22:23], v19 offset:25056
	s_waitcnt lgkmcnt(0)
	v_mul_f32_e32 v24, v23, v21
	v_mul_f32_e32 v21, v22, v21
	v_fma_f32 v22, v22, v20, -v24
	v_fmac_f32_e32 v21, v23, v20
	v_add_f32_e32 v3, v3, v22
	v_add_f32_e32 v4, v4, v21
	s_or_b64 exec, exec, s[20:21]
	v_cmp_gt_u32_e64 s[20:21], 48, v8
	s_and_saveexec_b64 s[24:25], s[20:21]
	s_cbranch_execz .LBB53_323
.LBB53_1128:
	ds_read_b64 v[20:21], v18 offset:31488
	ds_read_b64 v[22:23], v19 offset:25064
	s_waitcnt lgkmcnt(0)
	v_mul_f32_e32 v24, v23, v21
	v_mul_f32_e32 v21, v22, v21
	v_fma_f32 v22, v22, v20, -v24
	v_fmac_f32_e32 v21, v23, v20
	v_add_f32_e32 v3, v3, v22
	v_add_f32_e32 v4, v4, v21
	s_or_b64 exec, exec, s[24:25]
	v_cmp_gt_u32_e64 s[20:21], 32, v8
	s_and_saveexec_b64 s[24:25], s[20:21]
	s_cbranch_execz .LBB53_324
.LBB53_1129:
	ds_read_b64 v[20:21], v18 offset:32000
	ds_read_b64 v[18:19], v19 offset:25072
	s_waitcnt lgkmcnt(0)
	v_mul_f32_e32 v22, v19, v21
	v_mul_f32_e32 v21, v18, v21
	v_fma_f32 v18, v18, v20, -v22
	v_fmac_f32_e32 v21, v19, v20
	v_add_f32_e32 v3, v3, v18
	v_add_f32_e32 v4, v4, v21
	s_or_b64 exec, exec, s[24:25]
	v_cmp_gt_u32_e64 s[20:21], 16, v8
	s_and_saveexec_b64 s[24:25], s[20:21]
	s_cbranch_execnz .LBB53_325
	s_branch .LBB53_326
.LBB53_1130:
	ds_read_b64 v[20:21], v18 offset:23360
	ds_read_b64 v[22:23], v19 offset:22888
	s_waitcnt lgkmcnt(0)
	v_mul_f32_e32 v24, v23, v21
	v_mul_f32_e32 v21, v22, v21
	v_fma_f32 v22, v22, v20, -v24
	v_fmac_f32_e32 v21, v23, v20
	v_add_f32_e32 v3, v3, v22
	v_add_f32_e32 v4, v4, v21
	s_or_b64 exec, exec, s[20:21]
	v_cmp_gt_u32_e64 s[18:19], 8, v8
	s_and_saveexec_b64 s[20:21], s[18:19]
	s_cbranch_execz .LBB53_414
.LBB53_1131:
	ds_read_b64 v[20:21], v18 offset:23872
	ds_read_b64 v[18:19], v19 offset:22896
	s_waitcnt lgkmcnt(0)
	v_mul_f32_e32 v22, v19, v21
	v_mul_f32_e32 v21, v18, v21
	v_fma_f32 v18, v18, v20, -v22
	v_fmac_f32_e32 v21, v19, v20
	v_add_f32_e32 v3, v3, v18
	v_add_f32_e32 v4, v4, v21
	s_or_b64 exec, exec, s[20:21]
	v_cmp_gt_u32_e64 s[18:19], 4, v8
	s_and_saveexec_b64 s[20:21], s[18:19]
	s_cbranch_execnz .LBB53_415
	s_branch .LBB53_416
.LBB53_1132:
	ds_read_b64 v[20:21], v18 offset:21248
	ds_read_b64 v[22:23], v19 offset:20808
	s_waitcnt lgkmcnt(0)
	v_mul_f32_e32 v24, v23, v21
	v_mul_f32_e32 v21, v22, v21
	v_fma_f32 v22, v22, v20, -v24
	v_fmac_f32_e32 v21, v23, v20
	v_add_f32_e32 v3, v3, v22
	v_add_f32_e32 v4, v4, v21
	s_or_b64 exec, exec, s[20:21]
	v_cmp_gt_u32_e64 s[18:19], 48, v8
	s_and_saveexec_b64 s[20:21], s[18:19]
	s_cbranch_execz .LBB53_456
.LBB53_1133:
	ds_read_b64 v[20:21], v18 offset:21760
	ds_read_b64 v[22:23], v19 offset:20816
	s_waitcnt lgkmcnt(0)
	v_mul_f32_e32 v24, v23, v21
	v_mul_f32_e32 v21, v22, v21
	v_fma_f32 v22, v22, v20, -v24
	v_fmac_f32_e32 v21, v23, v20
	v_add_f32_e32 v3, v3, v22
	v_add_f32_e32 v4, v4, v21
	s_or_b64 exec, exec, s[20:21]
	v_cmp_gt_u32_e64 s[18:19], 40, v8
	s_and_saveexec_b64 s[20:21], s[18:19]
	s_cbranch_execz .LBB53_457
.LBB53_1134:
	ds_read_b64 v[20:21], v18 offset:22272
	ds_read_b64 v[22:23], v19 offset:20824
	s_waitcnt lgkmcnt(0)
	v_mul_f32_e32 v24, v23, v21
	v_mul_f32_e32 v21, v22, v21
	v_fma_f32 v22, v22, v20, -v24
	v_fmac_f32_e32 v21, v23, v20
	v_add_f32_e32 v3, v3, v22
	v_add_f32_e32 v4, v4, v21
	s_or_b64 exec, exec, s[20:21]
	v_cmp_gt_u32_e64 s[18:19], 32, v8
	s_and_saveexec_b64 s[20:21], s[18:19]
	s_cbranch_execz .LBB53_458
.LBB53_1135:
	ds_read_b64 v[20:21], v18 offset:22784
	ds_read_b64 v[22:23], v19 offset:20832
	s_waitcnt lgkmcnt(0)
	v_mul_f32_e32 v24, v23, v21
	v_mul_f32_e32 v21, v22, v21
	v_fma_f32 v22, v22, v20, -v24
	v_fmac_f32_e32 v21, v23, v20
	v_add_f32_e32 v3, v3, v22
	v_add_f32_e32 v4, v4, v21
	s_or_b64 exec, exec, s[20:21]
	v_cmp_gt_u32_e64 s[18:19], 24, v8
	s_and_saveexec_b64 s[20:21], s[18:19]
	s_cbranch_execz .LBB53_459
.LBB53_1136:
	ds_read_b64 v[20:21], v18 offset:23296
	ds_read_b64 v[22:23], v19 offset:20840
	s_waitcnt lgkmcnt(0)
	v_mul_f32_e32 v24, v23, v21
	v_mul_f32_e32 v21, v22, v21
	v_fma_f32 v22, v22, v20, -v24
	v_fmac_f32_e32 v21, v23, v20
	v_add_f32_e32 v3, v3, v22
	v_add_f32_e32 v4, v4, v21
	s_or_b64 exec, exec, s[20:21]
	s_and_saveexec_b64 s[18:19], s[10:11]
	s_cbranch_execz .LBB53_460
.LBB53_1137:
	ds_read_b64 v[20:21], v18 offset:23808
	ds_read_b64 v[18:19], v19 offset:20848
	s_waitcnt lgkmcnt(0)
	v_mul_f32_e32 v22, v19, v21
	v_mul_f32_e32 v21, v18, v21
	v_fma_f32 v18, v18, v20, -v22
	v_fmac_f32_e32 v21, v19, v20
	v_add_f32_e32 v3, v3, v18
	v_add_f32_e32 v4, v4, v21
	s_or_b64 exec, exec, s[18:19]
	v_cmp_gt_u32_e64 s[18:19], 8, v8
	s_and_saveexec_b64 s[20:21], s[18:19]
	s_cbranch_execnz .LBB53_461
	s_branch .LBB53_462
.LBB53_1138:
	ds_read_b64 v[20:21], v18 offset:19200
	ds_read_b64 v[22:23], v19 offset:18728
	s_waitcnt lgkmcnt(0)
	v_mul_f32_e32 v24, v23, v21
	v_mul_f32_e32 v21, v22, v21
	v_fma_f32 v22, v22, v20, -v24
	v_fmac_f32_e32 v21, v23, v20
	v_add_f32_e32 v3, v3, v22
	v_add_f32_e32 v4, v4, v21
	s_or_b64 exec, exec, s[20:21]
	v_cmp_gt_u32_e64 s[18:19], 8, v8
	s_and_saveexec_b64 s[20:21], s[18:19]
	s_cbranch_execz .LBB53_518
.LBB53_1139:
	ds_read_b64 v[20:21], v18 offset:19712
	ds_read_b64 v[18:19], v19 offset:18736
	s_waitcnt lgkmcnt(0)
	v_mul_f32_e32 v22, v19, v21
	v_mul_f32_e32 v21, v18, v21
	v_fma_f32 v18, v18, v20, -v22
	v_fmac_f32_e32 v21, v19, v20
	v_add_f32_e32 v3, v3, v18
	v_add_f32_e32 v4, v4, v21
	s_or_b64 exec, exec, s[20:21]
	v_cmp_gt_u32_e64 s[18:19], 4, v8
	s_and_saveexec_b64 s[20:21], s[18:19]
	s_cbranch_execnz .LBB53_519
	s_branch .LBB53_520
.LBB53_1140:
	ds_read_b64 v[23:24], v21 offset:31232
	ds_read_b64 v[25:26], v22 offset:16872
	s_waitcnt lgkmcnt(0)
	v_mul_f32_e32 v27, v26, v24
	v_mul_f32_e32 v24, v25, v24
	v_fma_f32 v25, v25, v23, -v27
	v_fmac_f32_e32 v24, v26, v23
	v_add_f32_e32 v3, v3, v25
	v_add_f32_e32 v4, v4, v24
	s_or_b64 exec, exec, s[98:99]
	s_and_saveexec_b64 s[24:25], s[12:13]
	s_cbranch_execz .LBB53_616
.LBB53_1141:
	ds_read_b64 v[23:24], v21 offset:31744
	ds_read_b64 v[25:26], v22 offset:16880
	s_waitcnt lgkmcnt(0)
	v_mul_f32_e32 v27, v26, v24
	v_mul_f32_e32 v24, v25, v24
	v_fma_f32 v25, v25, v23, -v27
	v_fmac_f32_e32 v24, v26, v23
	v_add_f32_e32 v3, v3, v25
	v_add_f32_e32 v4, v4, v24
	s_or_b64 exec, exec, s[24:25]
	v_cmp_gt_u32_e64 s[24:25], 32, v8
	s_and_saveexec_b64 s[98:99], s[24:25]
	s_cbranch_execnz .LBB53_617
	s_branch .LBB53_618
.LBB53_1142:
	ds_read_b64 v[20:21], v18 offset:15040
	ds_read_b64 v[22:23], v19 offset:14568
	s_waitcnt lgkmcnt(0)
	v_mul_f32_e32 v24, v23, v21
	v_mul_f32_e32 v21, v22, v21
	v_fma_f32 v22, v22, v20, -v24
	v_fmac_f32_e32 v21, v23, v20
	v_add_f32_e32 v3, v3, v22
	v_add_f32_e32 v4, v4, v21
	s_or_b64 exec, exec, s[18:19]
	v_cmp_gt_u32_e64 s[16:17], 8, v8
	s_and_saveexec_b64 s[18:19], s[16:17]
	s_cbranch_execz .LBB53_654
.LBB53_1143:
	ds_read_b64 v[20:21], v18 offset:15552
	ds_read_b64 v[18:19], v19 offset:14576
	s_waitcnt lgkmcnt(0)
	v_mul_f32_e32 v22, v19, v21
	v_mul_f32_e32 v21, v18, v21
	v_fma_f32 v18, v18, v20, -v22
	v_fmac_f32_e32 v21, v19, v20
	v_add_f32_e32 v3, v3, v18
	v_add_f32_e32 v4, v4, v21
	s_or_b64 exec, exec, s[18:19]
	v_cmp_gt_u32_e64 s[16:17], 4, v8
	s_and_saveexec_b64 s[18:19], s[16:17]
	s_cbranch_execnz .LBB53_655
	s_branch .LBB53_656
.LBB53_1144:
	ds_read_b64 v[20:21], v18 offset:12928
	ds_read_b64 v[22:23], v19 offset:12488
	s_waitcnt lgkmcnt(0)
	v_mul_f32_e32 v24, v23, v21
	v_mul_f32_e32 v21, v22, v21
	v_fma_f32 v22, v22, v20, -v24
	v_fmac_f32_e32 v21, v23, v20
	v_add_f32_e32 v3, v3, v22
	v_add_f32_e32 v4, v4, v21
	s_or_b64 exec, exec, s[18:19]
	v_cmp_gt_u32_e64 s[16:17], 48, v8
	s_and_saveexec_b64 s[18:19], s[16:17]
	s_cbranch_execz .LBB53_696
.LBB53_1145:
	ds_read_b64 v[20:21], v18 offset:13440
	ds_read_b64 v[22:23], v19 offset:12496
	s_waitcnt lgkmcnt(0)
	v_mul_f32_e32 v24, v23, v21
	v_mul_f32_e32 v21, v22, v21
	v_fma_f32 v22, v22, v20, -v24
	v_fmac_f32_e32 v21, v23, v20
	v_add_f32_e32 v3, v3, v22
	v_add_f32_e32 v4, v4, v21
	s_or_b64 exec, exec, s[18:19]
	v_cmp_gt_u32_e64 s[16:17], 40, v8
	s_and_saveexec_b64 s[18:19], s[16:17]
	s_cbranch_execz .LBB53_697
.LBB53_1146:
	ds_read_b64 v[20:21], v18 offset:13952
	ds_read_b64 v[22:23], v19 offset:12504
	s_waitcnt lgkmcnt(0)
	v_mul_f32_e32 v24, v23, v21
	v_mul_f32_e32 v21, v22, v21
	v_fma_f32 v22, v22, v20, -v24
	v_fmac_f32_e32 v21, v23, v20
	v_add_f32_e32 v3, v3, v22
	v_add_f32_e32 v4, v4, v21
	s_or_b64 exec, exec, s[18:19]
	v_cmp_gt_u32_e64 s[16:17], 32, v8
	s_and_saveexec_b64 s[18:19], s[16:17]
	s_cbranch_execz .LBB53_698
.LBB53_1147:
	ds_read_b64 v[20:21], v18 offset:14464
	ds_read_b64 v[22:23], v19 offset:12512
	s_waitcnt lgkmcnt(0)
	v_mul_f32_e32 v24, v23, v21
	v_mul_f32_e32 v21, v22, v21
	v_fma_f32 v22, v22, v20, -v24
	v_fmac_f32_e32 v21, v23, v20
	v_add_f32_e32 v3, v3, v22
	v_add_f32_e32 v4, v4, v21
	s_or_b64 exec, exec, s[18:19]
	v_cmp_gt_u32_e64 s[16:17], 24, v8
	s_and_saveexec_b64 s[18:19], s[16:17]
	s_cbranch_execz .LBB53_699
.LBB53_1148:
	ds_read_b64 v[20:21], v18 offset:14976
	ds_read_b64 v[22:23], v19 offset:12520
	s_waitcnt lgkmcnt(0)
	v_mul_f32_e32 v24, v23, v21
	v_mul_f32_e32 v21, v22, v21
	v_fma_f32 v22, v22, v20, -v24
	v_fmac_f32_e32 v21, v23, v20
	v_add_f32_e32 v3, v3, v22
	v_add_f32_e32 v4, v4, v21
	s_or_b64 exec, exec, s[18:19]
	s_and_saveexec_b64 s[16:17], s[10:11]
	s_cbranch_execz .LBB53_700
.LBB53_1149:
	ds_read_b64 v[20:21], v18 offset:15488
	ds_read_b64 v[18:19], v19 offset:12528
	s_waitcnt lgkmcnt(0)
	v_mul_f32_e32 v22, v19, v21
	v_mul_f32_e32 v21, v18, v21
	v_fma_f32 v18, v18, v20, -v22
	v_fmac_f32_e32 v21, v19, v20
	v_add_f32_e32 v3, v3, v18
	v_add_f32_e32 v4, v4, v21
	s_or_b64 exec, exec, s[16:17]
	v_cmp_gt_u32_e64 s[16:17], 8, v8
	s_and_saveexec_b64 s[18:19], s[16:17]
	s_cbranch_execnz .LBB53_701
	s_branch .LBB53_702
.LBB53_1150:
	ds_read_b64 v[20:21], v18 offset:10880
	ds_read_b64 v[22:23], v19 offset:10408
	s_waitcnt lgkmcnt(0)
	v_mul_f32_e32 v24, v23, v21
	v_mul_f32_e32 v21, v22, v21
	v_fma_f32 v22, v22, v20, -v24
	v_fmac_f32_e32 v21, v23, v20
	v_add_f32_e32 v3, v3, v22
	v_add_f32_e32 v4, v4, v21
	s_or_b64 exec, exec, s[18:19]
	v_cmp_gt_u32_e64 s[16:17], 8, v8
	s_and_saveexec_b64 s[18:19], s[16:17]
	s_cbranch_execz .LBB53_758
.LBB53_1151:
	ds_read_b64 v[20:21], v18 offset:11392
	ds_read_b64 v[18:19], v19 offset:10416
	s_waitcnt lgkmcnt(0)
	v_mul_f32_e32 v22, v19, v21
	v_mul_f32_e32 v21, v18, v21
	v_fma_f32 v18, v18, v20, -v22
	v_fmac_f32_e32 v21, v19, v20
	v_add_f32_e32 v3, v3, v18
	v_add_f32_e32 v4, v4, v21
	s_or_b64 exec, exec, s[18:19]
	v_cmp_gt_u32_e64 s[16:17], 4, v8
	s_and_saveexec_b64 s[18:19], s[16:17]
	s_cbranch_execnz .LBB53_759
	s_branch .LBB53_760
.LBB53_1152:
	ds_read_b64 v[20:21], v18 offset:13824
	ds_read_b64 v[22:23], v19 offset:8408
	s_waitcnt lgkmcnt(0)
	v_mul_f32_e32 v24, v23, v21
	v_mul_f32_e32 v21, v22, v21
	v_fma_f32 v22, v22, v20, -v24
	v_fmac_f32_e32 v21, v23, v20
	v_add_f32_e32 v3, v3, v22
	v_add_f32_e32 v4, v4, v21
	s_or_b64 exec, exec, s[18:19]
	s_and_saveexec_b64 s[16:17], s[12:13]
	s_cbranch_execz .LBB53_820
.LBB53_1153:
	ds_read_b64 v[20:21], v18 offset:14336
	ds_read_b64 v[22:23], v19 offset:8416
	s_waitcnt lgkmcnt(0)
	v_mul_f32_e32 v24, v23, v21
	v_mul_f32_e32 v21, v22, v21
	v_fma_f32 v22, v22, v20, -v24
	v_fmac_f32_e32 v21, v23, v20
	v_add_f32_e32 v3, v3, v22
	v_add_f32_e32 v4, v4, v21
	s_or_b64 exec, exec, s[16:17]
	v_cmp_gt_u32_e64 s[16:17], 48, v8
	s_and_saveexec_b64 s[18:19], s[16:17]
	s_cbranch_execz .LBB53_821
.LBB53_1154:
	ds_read_b64 v[20:21], v18 offset:14848
	ds_read_b64 v[22:23], v19 offset:8424
	s_waitcnt lgkmcnt(0)
	v_mul_f32_e32 v24, v23, v21
	v_mul_f32_e32 v21, v22, v21
	v_fma_f32 v22, v22, v20, -v24
	v_fmac_f32_e32 v21, v23, v20
	v_add_f32_e32 v3, v3, v22
	v_add_f32_e32 v4, v4, v21
	s_or_b64 exec, exec, s[18:19]
	v_cmp_gt_u32_e64 s[16:17], 32, v8
	s_and_saveexec_b64 s[18:19], s[16:17]
	s_cbranch_execz .LBB53_822
.LBB53_1155:
	ds_read_b64 v[20:21], v18 offset:15360
	ds_read_b64 v[18:19], v19 offset:8432
	s_waitcnt lgkmcnt(0)
	v_mul_f32_e32 v22, v19, v21
	v_mul_f32_e32 v21, v18, v21
	v_fma_f32 v18, v18, v20, -v22
	v_fmac_f32_e32 v21, v19, v20
	v_add_f32_e32 v3, v3, v18
	v_add_f32_e32 v4, v4, v21
	s_or_b64 exec, exec, s[18:19]
	v_cmp_gt_u32_e64 s[16:17], 16, v8
	s_and_saveexec_b64 s[18:19], s[16:17]
	s_cbranch_execnz .LBB53_823
	s_branch .LBB53_824
.LBB53_1156:
	ds_read_b64 v[17:18], v15 offset:6720
	ds_read_b64 v[19:20], v16 offset:6248
	s_waitcnt lgkmcnt(0)
	v_mul_f32_e32 v21, v20, v18
	v_mul_f32_e32 v18, v19, v18
	v_fma_f32 v19, v19, v17, -v21
	v_fmac_f32_e32 v18, v20, v17
	v_add_f32_e32 v3, v3, v19
	v_add_f32_e32 v4, v4, v18
	s_or_b64 exec, exec, s[16:17]
	v_cmp_gt_u32_e64 s[14:15], 8, v8
	s_and_saveexec_b64 s[16:17], s[14:15]
	s_cbranch_execz .LBB53_912
.LBB53_1157:
	ds_read_b64 v[17:18], v15 offset:7232
	ds_read_b64 v[15:16], v16 offset:6256
	s_waitcnt lgkmcnt(0)
	v_mul_f32_e32 v19, v16, v18
	v_mul_f32_e32 v18, v15, v18
	v_fma_f32 v15, v15, v17, -v19
	v_fmac_f32_e32 v18, v16, v17
	v_add_f32_e32 v3, v3, v15
	v_add_f32_e32 v4, v4, v18
	s_or_b64 exec, exec, s[16:17]
	v_cmp_gt_u32_e64 s[14:15], 4, v8
	s_and_saveexec_b64 s[16:17], s[14:15]
	s_cbranch_execnz .LBB53_913
	s_branch .LBB53_914
.LBB53_1158:
	ds_read_b64 v[17:18], v15 offset:4608
	ds_read_b64 v[19:20], v16 offset:4168
	s_waitcnt lgkmcnt(0)
	v_mul_f32_e32 v21, v20, v18
	v_mul_f32_e32 v18, v19, v18
	v_fma_f32 v19, v19, v17, -v21
	v_fmac_f32_e32 v18, v20, v17
	v_add_f32_e32 v3, v3, v19
	v_add_f32_e32 v4, v4, v18
	s_or_b64 exec, exec, s[16:17]
	v_cmp_gt_u32_e64 s[14:15], 48, v8
	s_and_saveexec_b64 s[16:17], s[14:15]
	s_cbranch_execz .LBB53_954
.LBB53_1159:
	ds_read_b64 v[17:18], v15 offset:5120
	ds_read_b64 v[19:20], v16 offset:4176
	s_waitcnt lgkmcnt(0)
	v_mul_f32_e32 v21, v20, v18
	v_mul_f32_e32 v18, v19, v18
	v_fma_f32 v19, v19, v17, -v21
	v_fmac_f32_e32 v18, v20, v17
	v_add_f32_e32 v3, v3, v19
	v_add_f32_e32 v4, v4, v18
	s_or_b64 exec, exec, s[16:17]
	v_cmp_gt_u32_e64 s[14:15], 40, v8
	s_and_saveexec_b64 s[16:17], s[14:15]
	s_cbranch_execz .LBB53_955
.LBB53_1160:
	ds_read_b64 v[17:18], v15 offset:5632
	ds_read_b64 v[19:20], v16 offset:4184
	s_waitcnt lgkmcnt(0)
	v_mul_f32_e32 v21, v20, v18
	v_mul_f32_e32 v18, v19, v18
	v_fma_f32 v19, v19, v17, -v21
	v_fmac_f32_e32 v18, v20, v17
	v_add_f32_e32 v3, v3, v19
	v_add_f32_e32 v4, v4, v18
	s_or_b64 exec, exec, s[16:17]
	v_cmp_gt_u32_e64 s[14:15], 32, v8
	s_and_saveexec_b64 s[16:17], s[14:15]
	s_cbranch_execz .LBB53_956
.LBB53_1161:
	ds_read_b64 v[17:18], v15 offset:6144
	ds_read_b64 v[19:20], v16 offset:4192
	s_waitcnt lgkmcnt(0)
	v_mul_f32_e32 v21, v20, v18
	v_mul_f32_e32 v18, v19, v18
	v_fma_f32 v19, v19, v17, -v21
	v_fmac_f32_e32 v18, v20, v17
	v_add_f32_e32 v3, v3, v19
	v_add_f32_e32 v4, v4, v18
	s_or_b64 exec, exec, s[16:17]
	v_cmp_gt_u32_e64 s[14:15], 24, v8
	s_and_saveexec_b64 s[16:17], s[14:15]
	s_cbranch_execz .LBB53_957
.LBB53_1162:
	ds_read_b64 v[17:18], v15 offset:6656
	ds_read_b64 v[19:20], v16 offset:4200
	s_waitcnt lgkmcnt(0)
	v_mul_f32_e32 v21, v20, v18
	v_mul_f32_e32 v18, v19, v18
	v_fma_f32 v19, v19, v17, -v21
	v_fmac_f32_e32 v18, v20, v17
	v_add_f32_e32 v3, v3, v19
	v_add_f32_e32 v4, v4, v18
	s_or_b64 exec, exec, s[16:17]
	s_and_saveexec_b64 s[14:15], s[10:11]
	s_cbranch_execz .LBB53_958
.LBB53_1163:
	ds_read_b64 v[17:18], v15 offset:7168
	ds_read_b64 v[15:16], v16 offset:4208
	s_waitcnt lgkmcnt(0)
	v_mul_f32_e32 v19, v16, v18
	v_mul_f32_e32 v18, v15, v18
	v_fma_f32 v15, v15, v17, -v19
	v_fmac_f32_e32 v18, v16, v17
	v_add_f32_e32 v3, v3, v15
	v_add_f32_e32 v4, v4, v18
	s_or_b64 exec, exec, s[14:15]
	v_cmp_gt_u32_e64 s[14:15], 8, v8
	s_and_saveexec_b64 s[16:17], s[14:15]
	s_cbranch_execnz .LBB53_959
	s_branch .LBB53_960
.LBB53_1164:
	ds_read_b64 v[14:15], v12 offset:2560
	ds_read_b64 v[16:17], v13 offset:2088
	s_waitcnt lgkmcnt(0)
	v_mul_f32_e32 v18, v17, v15
	v_mul_f32_e32 v15, v16, v15
	v_fma_f32 v16, v16, v14, -v18
	v_fmac_f32_e32 v15, v17, v14
	v_add_f32_e32 v3, v3, v16
	v_add_f32_e32 v4, v4, v15
	s_or_b64 exec, exec, s[14:15]
	v_cmp_gt_u32_e64 s[12:13], 8, v8
	s_and_saveexec_b64 s[14:15], s[12:13]
	s_cbranch_execz .LBB53_1016
.LBB53_1165:
	ds_read_b64 v[14:15], v12 offset:3072
	ds_read_b64 v[12:13], v13 offset:2096
	s_waitcnt lgkmcnt(0)
	v_mul_f32_e32 v16, v13, v15
	v_mul_f32_e32 v15, v12, v15
	v_fma_f32 v12, v12, v14, -v16
	v_fmac_f32_e32 v15, v13, v14
	v_add_f32_e32 v3, v3, v12
	v_add_f32_e32 v4, v4, v15
	s_or_b64 exec, exec, s[14:15]
	v_cmp_gt_u32_e64 s[12:13], 4, v8
	s_and_saveexec_b64 s[14:15], s[12:13]
	s_cbranch_execnz .LBB53_1017
	s_branch .LBB53_1018
	.section	.rodata,"a",@progbits
	.p2align	6, 0x0
	.amdhsa_kernel _ZL19rocblas_trsv_deviceILi64ELi16ELb0ELb1ELb0ELb0E19rocblas_complex_numIfEPKS1_S3_PS1_EviT7_lllT6_T8_lllPii
		.amdhsa_group_segment_fixed_size 41480
		.amdhsa_private_segment_fixed_size 48
		.amdhsa_kernarg_size 352
		.amdhsa_user_sgpr_count 8
		.amdhsa_user_sgpr_private_segment_buffer 1
		.amdhsa_user_sgpr_dispatch_ptr 0
		.amdhsa_user_sgpr_queue_ptr 0
		.amdhsa_user_sgpr_kernarg_segment_ptr 1
		.amdhsa_user_sgpr_dispatch_id 0
		.amdhsa_user_sgpr_flat_scratch_init 1
		.amdhsa_user_sgpr_private_segment_size 0
		.amdhsa_uses_dynamic_stack 0
		.amdhsa_system_sgpr_private_segment_wavefront_offset 1
		.amdhsa_system_sgpr_workgroup_id_x 1
		.amdhsa_system_sgpr_workgroup_id_y 0
		.amdhsa_system_sgpr_workgroup_id_z 1
		.amdhsa_system_sgpr_workgroup_info 0
		.amdhsa_system_vgpr_workitem_id 1
		.amdhsa_next_free_vgpr 49
		.amdhsa_next_free_sgpr 100
		.amdhsa_reserve_vcc 1
		.amdhsa_reserve_flat_scratch 1
		.amdhsa_float_round_mode_32 0
		.amdhsa_float_round_mode_16_64 0
		.amdhsa_float_denorm_mode_32 3
		.amdhsa_float_denorm_mode_16_64 3
		.amdhsa_dx10_clamp 1
		.amdhsa_ieee_mode 1
		.amdhsa_fp16_overflow 0
		.amdhsa_exception_fp_ieee_invalid_op 0
		.amdhsa_exception_fp_denorm_src 0
		.amdhsa_exception_fp_ieee_div_zero 0
		.amdhsa_exception_fp_ieee_overflow 0
		.amdhsa_exception_fp_ieee_underflow 0
		.amdhsa_exception_fp_ieee_inexact 0
		.amdhsa_exception_int_div_zero 0
	.end_amdhsa_kernel
	.section	.text._ZL19rocblas_trsv_deviceILi64ELi16ELb0ELb1ELb0ELb0E19rocblas_complex_numIfEPKS1_S3_PS1_EviT7_lllT6_T8_lllPii,"axG",@progbits,_ZL19rocblas_trsv_deviceILi64ELi16ELb0ELb1ELb0ELb0E19rocblas_complex_numIfEPKS1_S3_PS1_EviT7_lllT6_T8_lllPii,comdat
.Lfunc_end53:
	.size	_ZL19rocblas_trsv_deviceILi64ELi16ELb0ELb1ELb0ELb0E19rocblas_complex_numIfEPKS1_S3_PS1_EviT7_lllT6_T8_lllPii, .Lfunc_end53-_ZL19rocblas_trsv_deviceILi64ELi16ELb0ELb1ELb0ELb0E19rocblas_complex_numIfEPKS1_S3_PS1_EviT7_lllT6_T8_lllPii
                                        ; -- End function
	.set _ZL19rocblas_trsv_deviceILi64ELi16ELb0ELb1ELb0ELb0E19rocblas_complex_numIfEPKS1_S3_PS1_EviT7_lllT6_T8_lllPii.num_vgpr, 31
	.set _ZL19rocblas_trsv_deviceILi64ELi16ELb0ELb1ELb0ELb0E19rocblas_complex_numIfEPKS1_S3_PS1_EviT7_lllT6_T8_lllPii.num_agpr, 0
	.set _ZL19rocblas_trsv_deviceILi64ELi16ELb0ELb1ELb0ELb0E19rocblas_complex_numIfEPKS1_S3_PS1_EviT7_lllT6_T8_lllPii.numbered_sgpr, 100
	.set _ZL19rocblas_trsv_deviceILi64ELi16ELb0ELb1ELb0ELb0E19rocblas_complex_numIfEPKS1_S3_PS1_EviT7_lllT6_T8_lllPii.num_named_barrier, 0
	.set _ZL19rocblas_trsv_deviceILi64ELi16ELb0ELb1ELb0ELb0E19rocblas_complex_numIfEPKS1_S3_PS1_EviT7_lllT6_T8_lllPii.private_seg_size, 48
	.set _ZL19rocblas_trsv_deviceILi64ELi16ELb0ELb1ELb0ELb0E19rocblas_complex_numIfEPKS1_S3_PS1_EviT7_lllT6_T8_lllPii.uses_vcc, 1
	.set _ZL19rocblas_trsv_deviceILi64ELi16ELb0ELb1ELb0ELb0E19rocblas_complex_numIfEPKS1_S3_PS1_EviT7_lllT6_T8_lllPii.uses_flat_scratch, 1
	.set _ZL19rocblas_trsv_deviceILi64ELi16ELb0ELb1ELb0ELb0E19rocblas_complex_numIfEPKS1_S3_PS1_EviT7_lllT6_T8_lllPii.has_dyn_sized_stack, 0
	.set _ZL19rocblas_trsv_deviceILi64ELi16ELb0ELb1ELb0ELb0E19rocblas_complex_numIfEPKS1_S3_PS1_EviT7_lllT6_T8_lllPii.has_recursion, 0
	.set _ZL19rocblas_trsv_deviceILi64ELi16ELb0ELb1ELb0ELb0E19rocblas_complex_numIfEPKS1_S3_PS1_EviT7_lllT6_T8_lllPii.has_indirect_call, 0
	.section	.AMDGPU.csdata,"",@progbits
; Kernel info:
; codeLenInByte = 50464
; TotalNumSgprs: 106
; NumVgprs: 31
; ScratchSize: 48
; MemoryBound: 1
; FloatMode: 240
; IeeeMode: 1
; LDSByteSize: 41480 bytes/workgroup (compile time only)
; SGPRBlocks: 13
; VGPRBlocks: 12
; NumSGPRsForWavesPerEU: 106
; NumVGPRsForWavesPerEU: 49
; Occupancy: 4
; WaveLimiterHint : 0
; COMPUTE_PGM_RSRC2:SCRATCH_EN: 1
; COMPUTE_PGM_RSRC2:USER_SGPR: 8
; COMPUTE_PGM_RSRC2:TRAP_HANDLER: 0
; COMPUTE_PGM_RSRC2:TGID_X_EN: 1
; COMPUTE_PGM_RSRC2:TGID_Y_EN: 0
; COMPUTE_PGM_RSRC2:TGID_Z_EN: 1
; COMPUTE_PGM_RSRC2:TIDIG_COMP_CNT: 1
	.section	.text._ZL19rocblas_trsv_deviceILi64ELi16ELb0ELb1ELb1ELb0E19rocblas_complex_numIfEPKS1_S3_PS1_EviT7_lllT6_T8_lllPii,"axG",@progbits,_ZL19rocblas_trsv_deviceILi64ELi16ELb0ELb1ELb1ELb0E19rocblas_complex_numIfEPKS1_S3_PS1_EviT7_lllT6_T8_lllPii,comdat
	.globl	_ZL19rocblas_trsv_deviceILi64ELi16ELb0ELb1ELb1ELb0E19rocblas_complex_numIfEPKS1_S3_PS1_EviT7_lllT6_T8_lllPii ; -- Begin function _ZL19rocblas_trsv_deviceILi64ELi16ELb0ELb1ELb1ELb0E19rocblas_complex_numIfEPKS1_S3_PS1_EviT7_lllT6_T8_lllPii
	.p2align	8
	.type	_ZL19rocblas_trsv_deviceILi64ELi16ELb0ELb1ELb1ELb0E19rocblas_complex_numIfEPKS1_S3_PS1_EviT7_lllT6_T8_lllPii,@function
_ZL19rocblas_trsv_deviceILi64ELi16ELb0ELb1ELb1ELb0E19rocblas_complex_numIfEPKS1_S3_PS1_EviT7_lllT6_T8_lllPii: ; @_ZL19rocblas_trsv_deviceILi64ELi16ELb0ELb1ELb1ELb0E19rocblas_complex_numIfEPKS1_S3_PS1_EviT7_lllT6_T8_lllPii
; %bb.0:
	s_mov_b32 s22, s7
	s_load_dwordx16 s[36:51], s[4:5], 0x8
	s_load_dword s7, s[4:5], 0x0
	v_mov_b32_e32 v2, v1
	s_mov_b32 s23, 0
	s_waitcnt lgkmcnt(0)
	s_load_dwordx2 s[60:61], s[44:45], 0x0
	s_load_dword s89, s[4:5], 0x6c
	s_mul_i32 s0, s43, s22
	s_mul_hi_u32 s1, s42, s22
	s_add_i32 s1, s1, s0
	s_mul_i32 s0, s42, s22
	s_lshl_b64 s[0:1], s[0:1], 3
	s_add_u32 s2, s36, s0
	s_addc_u32 s3, s37, s1
	s_lshl_b64 s[0:1], s[38:39], 3
	s_add_u32 s27, s2, s0
	s_addc_u32 s88, s3, s1
	s_cmp_eq_u32 s6, 0
	s_cbranch_scc1 .LBB54_10
; %bb.1:
	s_lshl_b32 s33, s6, 6
	v_add_u32_e32 v1, s33, v0
	v_ashrrev_i32_e32 v3, 31, v1
	v_mul_lo_u32 v5, s40, v3
	v_mul_lo_u32 v6, s41, v1
	v_mad_u64_u32 v[3:4], s[0:1], s40, v1, 0
	v_add_u32_e32 v7, s33, v2
	v_subrev_u32_e32 v7, 64, v7
	v_add3_u32 v4, v4, v5, v6
	v_lshlrev_b64 v[3:4], 3, v[3:4]
	v_ashrrev_i32_e32 v8, 31, v7
	v_cmp_gt_i32_e32 vcc, s7, v1
	v_mov_b32_e32 v1, s88
	v_add_co_u32_e64 v5, s[0:1], s27, v3
	v_addc_co_u32_e64 v1, s[0:1], v1, v4, s[0:1]
	v_lshlrev_b64 v[3:4], 3, v[7:8]
	v_mov_b32_e32 v6, 0
	v_add_co_u32_e64 v11, s[0:1], v5, v3
	v_addc_co_u32_e64 v12, s[0:1], v1, v4, s[0:1]
	v_cmp_gt_i32_e64 s[0:1], s7, v7
	s_and_b64 s[2:3], s[0:1], vcc
	v_mov_b32_e32 v3, 0
	v_mov_b32_e32 v5, 0
	s_waitcnt lgkmcnt(0)
	s_barrier
	s_and_saveexec_b64 s[0:1], s[2:3]
	s_cbranch_execz .LBB54_3
; %bb.2:
	global_load_dwordx2 v[5:6], v[11:12], off
.LBB54_3:
	s_or_b64 exec, exec, s[0:1]
	v_add_u32_e32 v1, 16, v7
	v_cmp_gt_i32_e64 s[0:1], s7, v1
	s_and_b64 s[2:3], s[0:1], vcc
	v_mov_b32_e32 v4, 0
	s_waitcnt vmcnt(0)
	s_barrier
	s_and_saveexec_b64 s[0:1], s[2:3]
	s_cbranch_execz .LBB54_5
; %bb.4:
	global_load_dwordx2 v[3:4], v[11:12], off offset:128
.LBB54_5:
	s_or_b64 exec, exec, s[0:1]
	v_add_u32_e32 v1, 32, v7
	v_cmp_gt_i32_e64 s[0:1], s7, v1
	s_and_b64 s[2:3], s[0:1], vcc
	v_mov_b32_e32 v8, 0
	v_mov_b32_e32 v9, 0
	;; [unrolled: 1-line block ×3, first 2 shown]
	s_waitcnt vmcnt(0)
	s_barrier
	s_and_saveexec_b64 s[0:1], s[2:3]
	s_cbranch_execz .LBB54_7
; %bb.6:
	global_load_dwordx2 v[9:10], v[11:12], off offset:256
.LBB54_7:
	s_or_b64 exec, exec, s[0:1]
	v_add_u32_e32 v1, 48, v7
	v_cmp_gt_i32_e64 s[0:1], s7, v1
	s_and_b64 s[2:3], s[0:1], vcc
	v_mov_b32_e32 v7, 0
	s_waitcnt vmcnt(0)
	s_barrier
	s_and_saveexec_b64 s[0:1], s[2:3]
	s_cbranch_execz .LBB54_9
; %bb.8:
	global_load_dwordx2 v[7:8], v[11:12], off offset:384
.LBB54_9:
	s_or_b64 exec, exec, s[0:1]
	s_branch .LBB54_11
.LBB54_10:
                                        ; implicit-def: $vgpr8
                                        ; implicit-def: $vgpr10
                                        ; implicit-def: $vgpr4
                                        ; implicit-def: $vgpr6
	s_mov_b32 s33, s23
.LBB54_11:
	s_ashr_i32 s0, s7, 31
	s_lshr_b32 s0, s0, 26
	s_add_i32 s0, s7, s0
	s_andn2_b32 s0, s0, 63
	s_sub_i32 s26, s7, s0
	s_add_i32 s0, s7, -1
	s_ashr_i32 s1, s0, 31
	s_lshr_b32 s1, s1, 26
	s_add_i32 s0, s0, s1
	s_ashr_i32 s0, s0, 6
	s_cmp_eq_u32 s0, s6
	s_cselect_b64 s[0:1], -1, 0
	s_cmp_lg_u32 s26, 0
	s_cselect_b64 s[2:3], -1, 0
	s_and_b64 s[24:25], s[2:3], s[0:1]
	s_cmp_lt_i32 s6, 5
	s_cselect_b64 s[2:3], -1, 0
	s_or_b64 s[0:1], s[2:3], s[24:25]
	s_ashr_i32 s38, s33, 31
	s_add_u32 s10, s40, 1
	v_mov_b32_e32 v1, 0
	v_mov_b32_e32 v11, s33
	v_mad_u64_u32 v[11:12], s[8:9], s10, v11, v[0:1]
	s_addc_u32 s11, s41, 0
	s_mul_i32 s8, s10, s38
	s_mul_i32 s11, s11, s33
	v_lshlrev_b32_e32 v17, 6, v0
	s_add_i32 s8, s8, s11
	s_mov_b64 s[12:13], -1
	v_add_u32_e32 v12, s8, v12
	s_and_b64 vcc, exec, s[24:25]
	v_add_u32_e32 v18, v2, v17
	v_cmp_le_u32_e64 s[8:9], v2, v0
	v_lshl_add_u32 v1, v2, 6, v0
	s_cbranch_vccnz .LBB54_69
; %bb.12:
	v_mad_u64_u32 v[13:14], s[10:11], s40, v2, v[11:12]
	v_cndmask_b32_e64 v19, v1, v18, s[2:3]
	v_mad_u64_u32 v[14:15], s[10:11], s41, v2, v[14:15]
	s_and_saveexec_b64 s[2:3], s[8:9]
	s_xor_b64 s[2:3], exec, s[2:3]
	s_cbranch_execz .LBB54_24
; %bb.13:
	v_cmp_ne_u32_e32 vcc, v0, v2
	s_and_saveexec_b64 s[8:9], vcc
	s_xor_b64 s[8:9], exec, s[8:9]
	s_cbranch_execz .LBB54_17
; %bb.14:
	v_or_b32_e32 v13, v2, v0
	v_cmp_gt_u32_e32 vcc, 64, v13
	s_and_saveexec_b64 s[10:11], vcc
; %bb.15:
	v_mov_b32_e32 v13, 0
	v_lshlrev_b32_e32 v15, 3, v19
	v_mov_b32_e32 v14, v13
	ds_write_b64 v15, v[13:14]
; %bb.16:
	s_or_b64 exec, exec, s[10:11]
                                        ; implicit-def: $vgpr19
                                        ; implicit-def: $vgpr13_vgpr14
.LBB54_17:
	s_andn2_saveexec_b64 s[8:9], s[8:9]
	s_cbranch_execz .LBB54_23
; %bb.18:
	v_lshlrev_b64 v[13:14], 3, v[13:14]
	v_mov_b32_e32 v15, s88
	v_add_co_u32_e32 v13, vcc, s27, v13
	v_addc_co_u32_e32 v14, vcc, v15, v14, vcc
	global_load_dwordx2 v[13:14], v[13:14], off
                                        ; implicit-def: $vgpr15
	s_waitcnt vmcnt(0)
	v_cmp_ngt_f32_e64 s[10:11], |v13|, |v14|
	s_and_saveexec_b64 s[12:13], s[10:11]
	s_xor_b64 s[10:11], exec, s[12:13]
	s_cbranch_execz .LBB54_20
; %bb.19:
	v_div_scale_f32 v15, s[12:13], -v14, -v14, v13
	v_div_scale_f32 v16, vcc, v13, -v14, v13
	v_rcp_f32_e32 v20, v15
	v_fma_f32 v21, -v15, v20, 1.0
	v_fmac_f32_e32 v20, v21, v20
	v_mul_f32_e32 v21, v16, v20
	v_fma_f32 v22, -v15, v21, v16
	v_fmac_f32_e32 v21, v22, v20
	v_fma_f32 v15, -v15, v21, v16
	v_div_fmas_f32 v15, v15, v20, v21
	v_div_fixup_f32 v15, v15, -v14, v13
	v_fma_f32 v13, v13, v15, -v14
	v_div_scale_f32 v14, s[12:13], v13, v13, 1.0
	v_div_scale_f32 v16, vcc, 1.0, v13, 1.0
	v_rcp_f32_e32 v20, v14
	v_fma_f32 v21, -v14, v20, 1.0
	v_fmac_f32_e32 v20, v21, v20
	v_mul_f32_e32 v21, v16, v20
	v_fma_f32 v22, -v14, v21, v16
	v_fmac_f32_e32 v21, v22, v20
	v_fma_f32 v14, -v14, v21, v16
	v_div_fmas_f32 v14, v14, v20, v21
	v_div_fixup_f32 v13, v14, v13, 1.0
	v_mul_f32_e32 v15, v15, v13
	v_xor_b32_e32 v16, 0x80000000, v13
                                        ; implicit-def: $vgpr13_vgpr14
.LBB54_20:
	s_andn2_saveexec_b64 s[10:11], s[10:11]
	s_cbranch_execz .LBB54_22
; %bb.21:
	v_div_scale_f32 v15, s[12:13], v13, v13, -v14
	v_div_scale_f32 v16, vcc, -v14, v13, -v14
	v_rcp_f32_e32 v20, v15
	v_fma_f32 v21, -v15, v20, 1.0
	v_fmac_f32_e32 v20, v21, v20
	v_mul_f32_e32 v21, v16, v20
	v_fma_f32 v22, -v15, v21, v16
	v_fmac_f32_e32 v21, v22, v20
	v_fma_f32 v15, -v15, v21, v16
	v_div_fmas_f32 v15, v15, v20, v21
	v_div_fixup_f32 v16, v15, v13, -v14
	v_fma_f32 v13, -v14, v16, v13
	v_div_scale_f32 v14, s[12:13], v13, v13, 1.0
	v_div_scale_f32 v15, vcc, 1.0, v13, 1.0
	v_rcp_f32_e32 v20, v14
	v_fma_f32 v21, -v14, v20, 1.0
	v_fmac_f32_e32 v20, v21, v20
	v_mul_f32_e32 v21, v15, v20
	v_fma_f32 v22, -v14, v21, v15
	v_fmac_f32_e32 v21, v22, v20
	v_fma_f32 v14, -v14, v21, v15
	v_div_fmas_f32 v14, v14, v20, v21
	v_div_fixup_f32 v15, v14, v13, 1.0
	v_mul_f32_e64 v16, v16, -v15
.LBB54_22:
	s_or_b64 exec, exec, s[10:11]
	v_lshlrev_b32_e32 v13, 3, v19
	ds_write_b64 v13, v[15:16]
.LBB54_23:
	s_or_b64 exec, exec, s[8:9]
                                        ; implicit-def: $vgpr13_vgpr14
                                        ; implicit-def: $vgpr19
.LBB54_24:
	s_andn2_saveexec_b64 s[2:3], s[2:3]
	s_cbranch_execz .LBB54_26
; %bb.25:
	v_lshlrev_b64 v[13:14], 3, v[13:14]
	v_mov_b32_e32 v15, s88
	v_add_co_u32_e32 v13, vcc, s27, v13
	v_addc_co_u32_e32 v14, vcc, v15, v14, vcc
	global_load_dwordx2 v[13:14], v[13:14], off
	v_lshlrev_b32_e32 v15, 3, v19
	s_waitcnt vmcnt(0)
	v_xor_b32_e32 v13, 0x80000000, v13
	ds_write_b64 v15, v[13:14]
.LBB54_26:
	s_or_b64 exec, exec, s[2:3]
	v_add_u32_e32 v15, 16, v2
	v_mad_u64_u32 v[13:14], s[2:3], s40, v15, v[11:12]
	v_lshl_add_u32 v16, v15, 6, v0
	v_cmp_le_u32_e32 vcc, v15, v0
	v_mad_u64_u32 v[20:21], s[2:3], s41, v15, v[14:15]
	v_add_u32_e32 v14, v15, v17
	v_cndmask_b32_e64 v19, v16, v14, s[0:1]
	v_mov_b32_e32 v14, v20
	s_and_saveexec_b64 s[2:3], vcc
	s_xor_b64 s[2:3], exec, s[2:3]
	s_cbranch_execz .LBB54_38
; %bb.27:
	v_cmp_ne_u32_e32 vcc, v0, v15
	s_and_saveexec_b64 s[8:9], vcc
	s_xor_b64 s[8:9], exec, s[8:9]
	s_cbranch_execz .LBB54_31
; %bb.28:
	v_or_b32_e32 v13, v15, v0
	v_cmp_gt_u32_e32 vcc, 64, v13
	s_and_saveexec_b64 s[10:11], vcc
; %bb.29:
	v_mov_b32_e32 v13, 0
	v_lshlrev_b32_e32 v15, 3, v19
	v_mov_b32_e32 v14, v13
	ds_write_b64 v15, v[13:14]
; %bb.30:
	s_or_b64 exec, exec, s[10:11]
                                        ; implicit-def: $vgpr19
                                        ; implicit-def: $vgpr13_vgpr14
.LBB54_31:
	s_andn2_saveexec_b64 s[8:9], s[8:9]
	s_cbranch_execz .LBB54_37
; %bb.32:
	v_lshlrev_b64 v[13:14], 3, v[13:14]
	v_mov_b32_e32 v15, s88
	v_add_co_u32_e32 v13, vcc, s27, v13
	v_addc_co_u32_e32 v14, vcc, v15, v14, vcc
	global_load_dwordx2 v[13:14], v[13:14], off
                                        ; implicit-def: $vgpr15
	s_waitcnt vmcnt(0)
	v_cmp_ngt_f32_e64 s[10:11], |v13|, |v14|
	s_and_saveexec_b64 s[12:13], s[10:11]
	s_xor_b64 s[10:11], exec, s[12:13]
	s_cbranch_execz .LBB54_34
; %bb.33:
	v_div_scale_f32 v15, s[12:13], -v14, -v14, v13
	v_div_scale_f32 v16, vcc, v13, -v14, v13
	v_rcp_f32_e32 v20, v15
	v_fma_f32 v21, -v15, v20, 1.0
	v_fmac_f32_e32 v20, v21, v20
	v_mul_f32_e32 v21, v16, v20
	v_fma_f32 v22, -v15, v21, v16
	v_fmac_f32_e32 v21, v22, v20
	v_fma_f32 v15, -v15, v21, v16
	v_div_fmas_f32 v15, v15, v20, v21
	v_div_fixup_f32 v15, v15, -v14, v13
	v_fma_f32 v13, v13, v15, -v14
	v_div_scale_f32 v14, s[12:13], v13, v13, 1.0
	v_div_scale_f32 v16, vcc, 1.0, v13, 1.0
	v_rcp_f32_e32 v20, v14
	v_fma_f32 v21, -v14, v20, 1.0
	v_fmac_f32_e32 v20, v21, v20
	v_mul_f32_e32 v21, v16, v20
	v_fma_f32 v22, -v14, v21, v16
	v_fmac_f32_e32 v21, v22, v20
	v_fma_f32 v14, -v14, v21, v16
	v_div_fmas_f32 v14, v14, v20, v21
	v_div_fixup_f32 v13, v14, v13, 1.0
	v_mul_f32_e32 v15, v15, v13
	v_xor_b32_e32 v16, 0x80000000, v13
                                        ; implicit-def: $vgpr13_vgpr14
.LBB54_34:
	s_andn2_saveexec_b64 s[10:11], s[10:11]
	s_cbranch_execz .LBB54_36
; %bb.35:
	v_div_scale_f32 v15, s[12:13], v13, v13, -v14
	v_div_scale_f32 v16, vcc, -v14, v13, -v14
	v_rcp_f32_e32 v20, v15
	v_fma_f32 v21, -v15, v20, 1.0
	v_fmac_f32_e32 v20, v21, v20
	v_mul_f32_e32 v21, v16, v20
	v_fma_f32 v22, -v15, v21, v16
	v_fmac_f32_e32 v21, v22, v20
	v_fma_f32 v15, -v15, v21, v16
	v_div_fmas_f32 v15, v15, v20, v21
	v_div_fixup_f32 v16, v15, v13, -v14
	v_fma_f32 v13, -v14, v16, v13
	v_div_scale_f32 v14, s[12:13], v13, v13, 1.0
	v_div_scale_f32 v15, vcc, 1.0, v13, 1.0
	v_rcp_f32_e32 v20, v14
	v_fma_f32 v21, -v14, v20, 1.0
	v_fmac_f32_e32 v20, v21, v20
	v_mul_f32_e32 v21, v15, v20
	v_fma_f32 v22, -v14, v21, v15
	v_fmac_f32_e32 v21, v22, v20
	v_fma_f32 v14, -v14, v21, v15
	v_div_fmas_f32 v14, v14, v20, v21
	v_div_fixup_f32 v15, v14, v13, 1.0
	v_mul_f32_e64 v16, v16, -v15
.LBB54_36:
	s_or_b64 exec, exec, s[10:11]
	v_lshlrev_b32_e32 v13, 3, v19
	ds_write_b64 v13, v[15:16]
.LBB54_37:
	s_or_b64 exec, exec, s[8:9]
                                        ; implicit-def: $vgpr13_vgpr14
                                        ; implicit-def: $vgpr19
.LBB54_38:
	s_andn2_saveexec_b64 s[2:3], s[2:3]
	s_cbranch_execz .LBB54_40
; %bb.39:
	v_lshlrev_b64 v[13:14], 3, v[13:14]
	v_mov_b32_e32 v15, s88
	v_add_co_u32_e32 v13, vcc, s27, v13
	v_addc_co_u32_e32 v14, vcc, v15, v14, vcc
	global_load_dwordx2 v[13:14], v[13:14], off
	v_lshlrev_b32_e32 v15, 3, v19
	s_waitcnt vmcnt(0)
	v_xor_b32_e32 v13, 0x80000000, v13
	ds_write_b64 v15, v[13:14]
.LBB54_40:
	s_or_b64 exec, exec, s[2:3]
	v_add_u32_e32 v15, 32, v2
	v_mad_u64_u32 v[13:14], s[2:3], s40, v15, v[11:12]
	v_lshl_add_u32 v16, v15, 6, v0
	v_cmp_le_u32_e32 vcc, v15, v0
	v_mad_u64_u32 v[20:21], s[2:3], s41, v15, v[14:15]
	v_add_u32_e32 v14, v15, v17
	v_cndmask_b32_e64 v19, v16, v14, s[0:1]
	v_mov_b32_e32 v14, v20
	s_and_saveexec_b64 s[2:3], vcc
	s_xor_b64 s[2:3], exec, s[2:3]
	s_cbranch_execz .LBB54_52
; %bb.41:
	v_cmp_ne_u32_e32 vcc, v0, v15
	s_and_saveexec_b64 s[8:9], vcc
	s_xor_b64 s[8:9], exec, s[8:9]
	s_cbranch_execz .LBB54_45
; %bb.42:
	v_or_b32_e32 v13, v15, v0
	v_cmp_gt_u32_e32 vcc, 64, v13
	s_and_saveexec_b64 s[10:11], vcc
; %bb.43:
	v_mov_b32_e32 v13, 0
	v_lshlrev_b32_e32 v15, 3, v19
	v_mov_b32_e32 v14, v13
	ds_write_b64 v15, v[13:14]
; %bb.44:
	s_or_b64 exec, exec, s[10:11]
                                        ; implicit-def: $vgpr19
                                        ; implicit-def: $vgpr13_vgpr14
.LBB54_45:
	s_andn2_saveexec_b64 s[8:9], s[8:9]
	s_cbranch_execz .LBB54_51
; %bb.46:
	v_lshlrev_b64 v[13:14], 3, v[13:14]
	v_mov_b32_e32 v15, s88
	v_add_co_u32_e32 v13, vcc, s27, v13
	v_addc_co_u32_e32 v14, vcc, v15, v14, vcc
	global_load_dwordx2 v[13:14], v[13:14], off
                                        ; implicit-def: $vgpr15
	s_waitcnt vmcnt(0)
	v_cmp_ngt_f32_e64 s[10:11], |v13|, |v14|
	s_and_saveexec_b64 s[12:13], s[10:11]
	s_xor_b64 s[10:11], exec, s[12:13]
	s_cbranch_execz .LBB54_48
; %bb.47:
	v_div_scale_f32 v15, s[12:13], -v14, -v14, v13
	v_div_scale_f32 v16, vcc, v13, -v14, v13
	v_rcp_f32_e32 v20, v15
	v_fma_f32 v21, -v15, v20, 1.0
	v_fmac_f32_e32 v20, v21, v20
	v_mul_f32_e32 v21, v16, v20
	v_fma_f32 v22, -v15, v21, v16
	v_fmac_f32_e32 v21, v22, v20
	v_fma_f32 v15, -v15, v21, v16
	v_div_fmas_f32 v15, v15, v20, v21
	v_div_fixup_f32 v15, v15, -v14, v13
	v_fma_f32 v13, v13, v15, -v14
	v_div_scale_f32 v14, s[12:13], v13, v13, 1.0
	v_div_scale_f32 v16, vcc, 1.0, v13, 1.0
	v_rcp_f32_e32 v20, v14
	v_fma_f32 v21, -v14, v20, 1.0
	v_fmac_f32_e32 v20, v21, v20
	v_mul_f32_e32 v21, v16, v20
	v_fma_f32 v22, -v14, v21, v16
	v_fmac_f32_e32 v21, v22, v20
	v_fma_f32 v14, -v14, v21, v16
	v_div_fmas_f32 v14, v14, v20, v21
	v_div_fixup_f32 v13, v14, v13, 1.0
	v_mul_f32_e32 v15, v15, v13
	v_xor_b32_e32 v16, 0x80000000, v13
                                        ; implicit-def: $vgpr13_vgpr14
.LBB54_48:
	s_andn2_saveexec_b64 s[10:11], s[10:11]
	s_cbranch_execz .LBB54_50
; %bb.49:
	v_div_scale_f32 v15, s[12:13], v13, v13, -v14
	v_div_scale_f32 v16, vcc, -v14, v13, -v14
	v_rcp_f32_e32 v20, v15
	v_fma_f32 v21, -v15, v20, 1.0
	v_fmac_f32_e32 v20, v21, v20
	v_mul_f32_e32 v21, v16, v20
	v_fma_f32 v22, -v15, v21, v16
	v_fmac_f32_e32 v21, v22, v20
	v_fma_f32 v15, -v15, v21, v16
	v_div_fmas_f32 v15, v15, v20, v21
	v_div_fixup_f32 v16, v15, v13, -v14
	v_fma_f32 v13, -v14, v16, v13
	v_div_scale_f32 v14, s[12:13], v13, v13, 1.0
	v_div_scale_f32 v15, vcc, 1.0, v13, 1.0
	v_rcp_f32_e32 v20, v14
	v_fma_f32 v21, -v14, v20, 1.0
	v_fmac_f32_e32 v20, v21, v20
	v_mul_f32_e32 v21, v15, v20
	v_fma_f32 v22, -v14, v21, v15
	v_fmac_f32_e32 v21, v22, v20
	v_fma_f32 v14, -v14, v21, v15
	v_div_fmas_f32 v14, v14, v20, v21
	v_div_fixup_f32 v15, v14, v13, 1.0
	v_mul_f32_e64 v16, v16, -v15
.LBB54_50:
	s_or_b64 exec, exec, s[10:11]
	v_lshlrev_b32_e32 v13, 3, v19
	ds_write_b64 v13, v[15:16]
.LBB54_51:
	s_or_b64 exec, exec, s[8:9]
                                        ; implicit-def: $vgpr13_vgpr14
                                        ; implicit-def: $vgpr19
.LBB54_52:
	s_andn2_saveexec_b64 s[2:3], s[2:3]
	s_cbranch_execz .LBB54_54
; %bb.53:
	v_lshlrev_b64 v[13:14], 3, v[13:14]
	v_mov_b32_e32 v15, s88
	v_add_co_u32_e32 v13, vcc, s27, v13
	v_addc_co_u32_e32 v14, vcc, v15, v14, vcc
	global_load_dwordx2 v[13:14], v[13:14], off
	v_lshlrev_b32_e32 v15, 3, v19
	s_waitcnt vmcnt(0)
	v_xor_b32_e32 v13, 0x80000000, v13
	ds_write_b64 v15, v[13:14]
.LBB54_54:
	s_or_b64 exec, exec, s[2:3]
	v_add_u32_e32 v15, 48, v2
	v_mad_u64_u32 v[13:14], s[2:3], s40, v15, v[11:12]
	v_lshl_add_u32 v16, v15, 6, v0
	v_cmp_le_u32_e32 vcc, v15, v0
	v_mad_u64_u32 v[20:21], s[2:3], s41, v15, v[14:15]
	v_add_u32_e32 v14, v15, v17
	v_cndmask_b32_e64 v19, v16, v14, s[0:1]
	v_mov_b32_e32 v14, v20
	s_and_saveexec_b64 s[2:3], vcc
	s_xor_b64 s[2:3], exec, s[2:3]
	s_cbranch_execz .LBB54_66
; %bb.55:
	v_cmp_ne_u32_e32 vcc, v0, v15
	s_and_saveexec_b64 s[8:9], vcc
	s_xor_b64 s[8:9], exec, s[8:9]
	s_cbranch_execz .LBB54_59
; %bb.56:
	v_or_b32_e32 v13, v15, v0
	v_cmp_gt_u32_e32 vcc, 64, v13
	s_and_saveexec_b64 s[10:11], vcc
; %bb.57:
	v_mov_b32_e32 v13, 0
	v_lshlrev_b32_e32 v15, 3, v19
	v_mov_b32_e32 v14, v13
	ds_write_b64 v15, v[13:14]
; %bb.58:
	s_or_b64 exec, exec, s[10:11]
                                        ; implicit-def: $vgpr19
                                        ; implicit-def: $vgpr13_vgpr14
.LBB54_59:
	s_andn2_saveexec_b64 s[8:9], s[8:9]
	s_cbranch_execz .LBB54_65
; %bb.60:
	v_lshlrev_b64 v[13:14], 3, v[13:14]
	v_mov_b32_e32 v15, s88
	v_add_co_u32_e32 v13, vcc, s27, v13
	v_addc_co_u32_e32 v14, vcc, v15, v14, vcc
	global_load_dwordx2 v[13:14], v[13:14], off
                                        ; implicit-def: $vgpr15
	s_waitcnt vmcnt(0)
	v_cmp_ngt_f32_e64 s[10:11], |v13|, |v14|
	s_and_saveexec_b64 s[12:13], s[10:11]
	s_xor_b64 s[10:11], exec, s[12:13]
	s_cbranch_execz .LBB54_62
; %bb.61:
	v_div_scale_f32 v15, s[12:13], -v14, -v14, v13
	v_div_scale_f32 v16, vcc, v13, -v14, v13
	v_rcp_f32_e32 v20, v15
	v_fma_f32 v21, -v15, v20, 1.0
	v_fmac_f32_e32 v20, v21, v20
	v_mul_f32_e32 v21, v16, v20
	v_fma_f32 v22, -v15, v21, v16
	v_fmac_f32_e32 v21, v22, v20
	v_fma_f32 v15, -v15, v21, v16
	v_div_fmas_f32 v15, v15, v20, v21
	v_div_fixup_f32 v15, v15, -v14, v13
	v_fma_f32 v13, v13, v15, -v14
	v_div_scale_f32 v14, s[12:13], v13, v13, 1.0
	v_div_scale_f32 v16, vcc, 1.0, v13, 1.0
	v_rcp_f32_e32 v20, v14
	v_fma_f32 v21, -v14, v20, 1.0
	v_fmac_f32_e32 v20, v21, v20
	v_mul_f32_e32 v21, v16, v20
	v_fma_f32 v22, -v14, v21, v16
	v_fmac_f32_e32 v21, v22, v20
	v_fma_f32 v14, -v14, v21, v16
	v_div_fmas_f32 v14, v14, v20, v21
	v_div_fixup_f32 v13, v14, v13, 1.0
	v_mul_f32_e32 v15, v15, v13
	v_xor_b32_e32 v16, 0x80000000, v13
                                        ; implicit-def: $vgpr13_vgpr14
.LBB54_62:
	s_andn2_saveexec_b64 s[10:11], s[10:11]
	s_cbranch_execz .LBB54_64
; %bb.63:
	v_div_scale_f32 v15, s[12:13], v13, v13, -v14
	v_div_scale_f32 v16, vcc, -v14, v13, -v14
	v_rcp_f32_e32 v20, v15
	v_fma_f32 v21, -v15, v20, 1.0
	v_fmac_f32_e32 v20, v21, v20
	v_mul_f32_e32 v21, v16, v20
	v_fma_f32 v22, -v15, v21, v16
	v_fmac_f32_e32 v21, v22, v20
	v_fma_f32 v15, -v15, v21, v16
	v_div_fmas_f32 v15, v15, v20, v21
	v_div_fixup_f32 v16, v15, v13, -v14
	v_fma_f32 v13, -v14, v16, v13
	v_div_scale_f32 v14, s[12:13], v13, v13, 1.0
	v_div_scale_f32 v15, vcc, 1.0, v13, 1.0
	v_rcp_f32_e32 v20, v14
	v_fma_f32 v21, -v14, v20, 1.0
	v_fmac_f32_e32 v20, v21, v20
	v_mul_f32_e32 v21, v15, v20
	v_fma_f32 v22, -v14, v21, v15
	v_fmac_f32_e32 v21, v22, v20
	v_fma_f32 v14, -v14, v21, v15
	v_div_fmas_f32 v14, v14, v20, v21
	v_div_fixup_f32 v15, v14, v13, 1.0
	v_mul_f32_e64 v16, v16, -v15
.LBB54_64:
	s_or_b64 exec, exec, s[10:11]
	v_lshlrev_b32_e32 v13, 3, v19
	ds_write_b64 v13, v[15:16]
.LBB54_65:
	s_or_b64 exec, exec, s[8:9]
                                        ; implicit-def: $vgpr13_vgpr14
                                        ; implicit-def: $vgpr19
.LBB54_66:
	s_andn2_saveexec_b64 s[2:3], s[2:3]
	s_cbranch_execz .LBB54_68
; %bb.67:
	v_lshlrev_b64 v[13:14], 3, v[13:14]
	v_mov_b32_e32 v15, s88
	v_add_co_u32_e32 v13, vcc, s27, v13
	v_addc_co_u32_e32 v14, vcc, v15, v14, vcc
	global_load_dwordx2 v[13:14], v[13:14], off
	v_lshlrev_b32_e32 v15, 3, v19
	s_waitcnt vmcnt(0)
	v_xor_b32_e32 v13, 0x80000000, v13
	ds_write_b64 v15, v[13:14]
.LBB54_68:
	s_or_b64 exec, exec, s[2:3]
	s_mov_b64 s[12:13], 0
.LBB54_69:
	s_xor_b64 s[10:11], s[0:1], -1
	s_and_b64 vcc, exec, s[12:13]
	s_cbranch_vccz .LBB54_127
; %bb.70:
	v_mad_u64_u32 v[13:14], s[2:3], s40, v2, v[11:12]
	v_cmp_le_u32_e32 vcc, v2, v0
	v_cmp_gt_i32_e64 s[2:3], s26, v0
	v_mad_u64_u32 v[14:15], s[8:9], s41, v2, v[14:15]
	v_max_i32_e32 v15, v2, v0
	v_cmp_le_i32_e64 s[8:9], s26, v15
	s_or_b64 s[8:9], s[8:9], vcc
	s_and_saveexec_b64 s[12:13], s[8:9]
	s_xor_b64 s[8:9], exec, s[12:13]
	s_cbranch_execz .LBB54_82
; %bb.71:
	v_cmp_ne_u32_e32 vcc, v0, v2
	s_xor_b64 s[12:13], s[2:3], -1
	s_or_b64 s[12:13], s[12:13], vcc
	s_and_saveexec_b64 s[14:15], s[12:13]
	s_xor_b64 s[12:13], exec, s[14:15]
	s_cbranch_execz .LBB54_75
; %bb.72:
	v_or_b32_e32 v13, v2, v0
	v_cmp_gt_u32_e32 vcc, 64, v13
	s_and_saveexec_b64 s[14:15], vcc
; %bb.73:
	v_mov_b32_e32 v13, 0
	v_lshlrev_b32_e32 v15, 3, v18
	v_mov_b32_e32 v14, v13
	ds_write_b64 v15, v[13:14]
; %bb.74:
	s_or_b64 exec, exec, s[14:15]
                                        ; implicit-def: $vgpr18
                                        ; implicit-def: $vgpr13_vgpr14
.LBB54_75:
	s_andn2_saveexec_b64 s[12:13], s[12:13]
	s_cbranch_execz .LBB54_81
; %bb.76:
	v_lshlrev_b64 v[13:14], 3, v[13:14]
	v_mov_b32_e32 v15, s88
	v_add_co_u32_e32 v13, vcc, s27, v13
	v_addc_co_u32_e32 v14, vcc, v15, v14, vcc
	global_load_dwordx2 v[13:14], v[13:14], off
                                        ; implicit-def: $vgpr15
	s_waitcnt vmcnt(0)
	v_cmp_ngt_f32_e64 s[14:15], |v13|, |v14|
	s_and_saveexec_b64 s[16:17], s[14:15]
	s_xor_b64 s[14:15], exec, s[16:17]
	s_cbranch_execz .LBB54_78
; %bb.77:
	v_div_scale_f32 v15, s[16:17], -v14, -v14, v13
	v_div_scale_f32 v16, vcc, v13, -v14, v13
	v_rcp_f32_e32 v19, v15
	v_fma_f32 v20, -v15, v19, 1.0
	v_fmac_f32_e32 v19, v20, v19
	v_mul_f32_e32 v20, v16, v19
	v_fma_f32 v21, -v15, v20, v16
	v_fmac_f32_e32 v20, v21, v19
	v_fma_f32 v15, -v15, v20, v16
	v_div_fmas_f32 v15, v15, v19, v20
	v_div_fixup_f32 v15, v15, -v14, v13
	v_fma_f32 v13, v13, v15, -v14
	v_div_scale_f32 v14, s[16:17], v13, v13, 1.0
	v_div_scale_f32 v16, vcc, 1.0, v13, 1.0
	v_rcp_f32_e32 v19, v14
	v_fma_f32 v20, -v14, v19, 1.0
	v_fmac_f32_e32 v19, v20, v19
	v_mul_f32_e32 v20, v16, v19
	v_fma_f32 v21, -v14, v20, v16
	v_fmac_f32_e32 v20, v21, v19
	v_fma_f32 v14, -v14, v20, v16
	v_div_fmas_f32 v14, v14, v19, v20
	v_div_fixup_f32 v13, v14, v13, 1.0
	v_mul_f32_e32 v15, v15, v13
	v_xor_b32_e32 v16, 0x80000000, v13
                                        ; implicit-def: $vgpr13_vgpr14
.LBB54_78:
	s_andn2_saveexec_b64 s[14:15], s[14:15]
	s_cbranch_execz .LBB54_80
; %bb.79:
	v_div_scale_f32 v15, s[16:17], v13, v13, -v14
	v_div_scale_f32 v16, vcc, -v14, v13, -v14
	v_rcp_f32_e32 v19, v15
	v_fma_f32 v20, -v15, v19, 1.0
	v_fmac_f32_e32 v19, v20, v19
	v_mul_f32_e32 v20, v16, v19
	v_fma_f32 v21, -v15, v20, v16
	v_fmac_f32_e32 v20, v21, v19
	v_fma_f32 v15, -v15, v20, v16
	v_div_fmas_f32 v15, v15, v19, v20
	v_div_fixup_f32 v16, v15, v13, -v14
	v_fma_f32 v13, -v14, v16, v13
	v_div_scale_f32 v14, s[16:17], v13, v13, 1.0
	v_div_scale_f32 v15, vcc, 1.0, v13, 1.0
	v_rcp_f32_e32 v19, v14
	v_fma_f32 v20, -v14, v19, 1.0
	v_fmac_f32_e32 v19, v20, v19
	v_mul_f32_e32 v20, v15, v19
	v_fma_f32 v21, -v14, v20, v15
	v_fmac_f32_e32 v20, v21, v19
	v_fma_f32 v14, -v14, v20, v15
	v_div_fmas_f32 v14, v14, v19, v20
	v_div_fixup_f32 v15, v14, v13, 1.0
	v_mul_f32_e64 v16, v16, -v15
.LBB54_80:
	s_or_b64 exec, exec, s[14:15]
	v_lshlrev_b32_e32 v13, 3, v18
	ds_write_b64 v13, v[15:16]
.LBB54_81:
	s_or_b64 exec, exec, s[12:13]
                                        ; implicit-def: $vgpr13_vgpr14
                                        ; implicit-def: $vgpr18
.LBB54_82:
	s_andn2_saveexec_b64 s[8:9], s[8:9]
	s_cbranch_execz .LBB54_84
; %bb.83:
	v_lshlrev_b64 v[13:14], 3, v[13:14]
	v_mov_b32_e32 v15, s88
	v_add_co_u32_e32 v13, vcc, s27, v13
	v_addc_co_u32_e32 v14, vcc, v15, v14, vcc
	global_load_dwordx2 v[13:14], v[13:14], off
	v_lshlrev_b32_e32 v15, 3, v18
	s_waitcnt vmcnt(0)
	v_xor_b32_e32 v13, 0x80000000, v13
	ds_write_b64 v15, v[13:14]
.LBB54_84:
	s_or_b64 exec, exec, s[8:9]
	v_add_u32_e32 v15, 16, v2
	v_mad_u64_u32 v[13:14], s[8:9], s40, v15, v[11:12]
	v_cmp_gt_u32_e32 vcc, v15, v0
	v_add_u32_e32 v16, v15, v17
	v_mad_u64_u32 v[19:20], s[8:9], s41, v15, v[14:15]
	v_cmp_gt_i32_e64 s[8:9], s26, v15
	s_and_b64 s[8:9], vcc, s[8:9]
	v_lshl_add_u32 v14, v15, 6, v0
	s_and_b64 s[8:9], s[2:3], s[8:9]
	v_cndmask_b32_e64 v18, v14, v16, s[0:1]
	v_mov_b32_e32 v14, v19
	s_xor_b64 s[8:9], s[8:9], -1
	s_and_saveexec_b64 s[12:13], s[8:9]
	s_xor_b64 s[8:9], exec, s[12:13]
	s_cbranch_execz .LBB54_96
; %bb.85:
	v_cmp_ne_u32_e32 vcc, v0, v15
	s_xor_b64 s[12:13], s[2:3], -1
	s_or_b64 s[12:13], s[12:13], vcc
	s_and_saveexec_b64 s[14:15], s[12:13]
	s_xor_b64 s[12:13], exec, s[14:15]
	s_cbranch_execz .LBB54_89
; %bb.86:
	v_or_b32_e32 v13, v15, v0
	v_cmp_gt_u32_e32 vcc, 64, v13
	s_and_saveexec_b64 s[14:15], vcc
; %bb.87:
	v_mov_b32_e32 v13, 0
	v_lshlrev_b32_e32 v15, 3, v18
	v_mov_b32_e32 v14, v13
	ds_write_b64 v15, v[13:14]
; %bb.88:
	s_or_b64 exec, exec, s[14:15]
                                        ; implicit-def: $vgpr18
                                        ; implicit-def: $vgpr13_vgpr14
.LBB54_89:
	s_andn2_saveexec_b64 s[12:13], s[12:13]
	s_cbranch_execz .LBB54_95
; %bb.90:
	v_lshlrev_b64 v[13:14], 3, v[13:14]
	v_mov_b32_e32 v15, s88
	v_add_co_u32_e32 v13, vcc, s27, v13
	v_addc_co_u32_e32 v14, vcc, v15, v14, vcc
	global_load_dwordx2 v[13:14], v[13:14], off
                                        ; implicit-def: $vgpr15
	s_waitcnt vmcnt(0)
	v_cmp_ngt_f32_e64 s[14:15], |v13|, |v14|
	s_and_saveexec_b64 s[16:17], s[14:15]
	s_xor_b64 s[14:15], exec, s[16:17]
	s_cbranch_execz .LBB54_92
; %bb.91:
	v_div_scale_f32 v15, s[16:17], -v14, -v14, v13
	v_div_scale_f32 v16, vcc, v13, -v14, v13
	v_rcp_f32_e32 v19, v15
	v_fma_f32 v20, -v15, v19, 1.0
	v_fmac_f32_e32 v19, v20, v19
	v_mul_f32_e32 v20, v16, v19
	v_fma_f32 v21, -v15, v20, v16
	v_fmac_f32_e32 v20, v21, v19
	v_fma_f32 v15, -v15, v20, v16
	v_div_fmas_f32 v15, v15, v19, v20
	v_div_fixup_f32 v15, v15, -v14, v13
	v_fma_f32 v13, v13, v15, -v14
	v_div_scale_f32 v14, s[16:17], v13, v13, 1.0
	v_div_scale_f32 v16, vcc, 1.0, v13, 1.0
	v_rcp_f32_e32 v19, v14
	v_fma_f32 v20, -v14, v19, 1.0
	v_fmac_f32_e32 v19, v20, v19
	v_mul_f32_e32 v20, v16, v19
	v_fma_f32 v21, -v14, v20, v16
	v_fmac_f32_e32 v20, v21, v19
	v_fma_f32 v14, -v14, v20, v16
	v_div_fmas_f32 v14, v14, v19, v20
	v_div_fixup_f32 v13, v14, v13, 1.0
	v_mul_f32_e32 v15, v15, v13
	v_xor_b32_e32 v16, 0x80000000, v13
                                        ; implicit-def: $vgpr13_vgpr14
.LBB54_92:
	s_andn2_saveexec_b64 s[14:15], s[14:15]
	s_cbranch_execz .LBB54_94
; %bb.93:
	v_div_scale_f32 v15, s[16:17], v13, v13, -v14
	v_div_scale_f32 v16, vcc, -v14, v13, -v14
	v_rcp_f32_e32 v19, v15
	v_fma_f32 v20, -v15, v19, 1.0
	v_fmac_f32_e32 v19, v20, v19
	v_mul_f32_e32 v20, v16, v19
	v_fma_f32 v21, -v15, v20, v16
	v_fmac_f32_e32 v20, v21, v19
	v_fma_f32 v15, -v15, v20, v16
	v_div_fmas_f32 v15, v15, v19, v20
	v_div_fixup_f32 v16, v15, v13, -v14
	v_fma_f32 v13, -v14, v16, v13
	v_div_scale_f32 v14, s[16:17], v13, v13, 1.0
	v_div_scale_f32 v15, vcc, 1.0, v13, 1.0
	v_rcp_f32_e32 v19, v14
	v_fma_f32 v20, -v14, v19, 1.0
	v_fmac_f32_e32 v19, v20, v19
	v_mul_f32_e32 v20, v15, v19
	v_fma_f32 v21, -v14, v20, v15
	v_fmac_f32_e32 v20, v21, v19
	v_fma_f32 v14, -v14, v20, v15
	v_div_fmas_f32 v14, v14, v19, v20
	v_div_fixup_f32 v15, v14, v13, 1.0
	v_mul_f32_e64 v16, v16, -v15
.LBB54_94:
	s_or_b64 exec, exec, s[14:15]
	v_lshlrev_b32_e32 v13, 3, v18
	ds_write_b64 v13, v[15:16]
.LBB54_95:
	s_or_b64 exec, exec, s[12:13]
                                        ; implicit-def: $vgpr13_vgpr14
                                        ; implicit-def: $vgpr18
.LBB54_96:
	s_andn2_saveexec_b64 s[8:9], s[8:9]
	s_cbranch_execz .LBB54_98
; %bb.97:
	v_lshlrev_b64 v[13:14], 3, v[13:14]
	v_mov_b32_e32 v15, s88
	v_add_co_u32_e32 v13, vcc, s27, v13
	v_addc_co_u32_e32 v14, vcc, v15, v14, vcc
	global_load_dwordx2 v[13:14], v[13:14], off
	v_lshlrev_b32_e32 v15, 3, v18
	s_waitcnt vmcnt(0)
	v_xor_b32_e32 v13, 0x80000000, v13
	ds_write_b64 v15, v[13:14]
.LBB54_98:
	s_or_b64 exec, exec, s[8:9]
	v_add_u32_e32 v15, 32, v2
	v_mad_u64_u32 v[13:14], s[8:9], s40, v15, v[11:12]
	v_cmp_gt_u32_e32 vcc, v15, v0
	v_add_u32_e32 v16, v15, v17
	v_mad_u64_u32 v[19:20], s[8:9], s41, v15, v[14:15]
	v_cmp_gt_i32_e64 s[8:9], s26, v15
	s_and_b64 s[8:9], vcc, s[8:9]
	v_lshl_add_u32 v14, v15, 6, v0
	s_and_b64 s[8:9], s[2:3], s[8:9]
	v_cndmask_b32_e64 v18, v14, v16, s[0:1]
	v_mov_b32_e32 v14, v19
	s_xor_b64 s[8:9], s[8:9], -1
	s_and_saveexec_b64 s[12:13], s[8:9]
	s_xor_b64 s[8:9], exec, s[12:13]
	s_cbranch_execz .LBB54_110
; %bb.99:
	v_cmp_ne_u32_e32 vcc, v0, v15
	s_xor_b64 s[12:13], s[2:3], -1
	s_or_b64 s[12:13], s[12:13], vcc
	s_and_saveexec_b64 s[14:15], s[12:13]
	s_xor_b64 s[12:13], exec, s[14:15]
	s_cbranch_execz .LBB54_103
; %bb.100:
	v_or_b32_e32 v13, v15, v0
	v_cmp_gt_u32_e32 vcc, 64, v13
	s_and_saveexec_b64 s[14:15], vcc
; %bb.101:
	v_mov_b32_e32 v13, 0
	v_lshlrev_b32_e32 v15, 3, v18
	v_mov_b32_e32 v14, v13
	ds_write_b64 v15, v[13:14]
; %bb.102:
	s_or_b64 exec, exec, s[14:15]
                                        ; implicit-def: $vgpr18
                                        ; implicit-def: $vgpr13_vgpr14
.LBB54_103:
	s_andn2_saveexec_b64 s[12:13], s[12:13]
	s_cbranch_execz .LBB54_109
; %bb.104:
	v_lshlrev_b64 v[13:14], 3, v[13:14]
	v_mov_b32_e32 v15, s88
	v_add_co_u32_e32 v13, vcc, s27, v13
	v_addc_co_u32_e32 v14, vcc, v15, v14, vcc
	global_load_dwordx2 v[13:14], v[13:14], off
                                        ; implicit-def: $vgpr15
	s_waitcnt vmcnt(0)
	v_cmp_ngt_f32_e64 s[14:15], |v13|, |v14|
	s_and_saveexec_b64 s[16:17], s[14:15]
	s_xor_b64 s[14:15], exec, s[16:17]
	s_cbranch_execz .LBB54_106
; %bb.105:
	v_div_scale_f32 v15, s[16:17], -v14, -v14, v13
	v_div_scale_f32 v16, vcc, v13, -v14, v13
	v_rcp_f32_e32 v19, v15
	v_fma_f32 v20, -v15, v19, 1.0
	v_fmac_f32_e32 v19, v20, v19
	v_mul_f32_e32 v20, v16, v19
	v_fma_f32 v21, -v15, v20, v16
	v_fmac_f32_e32 v20, v21, v19
	v_fma_f32 v15, -v15, v20, v16
	v_div_fmas_f32 v15, v15, v19, v20
	v_div_fixup_f32 v15, v15, -v14, v13
	v_fma_f32 v13, v13, v15, -v14
	v_div_scale_f32 v14, s[16:17], v13, v13, 1.0
	v_div_scale_f32 v16, vcc, 1.0, v13, 1.0
	v_rcp_f32_e32 v19, v14
	v_fma_f32 v20, -v14, v19, 1.0
	v_fmac_f32_e32 v19, v20, v19
	v_mul_f32_e32 v20, v16, v19
	v_fma_f32 v21, -v14, v20, v16
	v_fmac_f32_e32 v20, v21, v19
	v_fma_f32 v14, -v14, v20, v16
	v_div_fmas_f32 v14, v14, v19, v20
	v_div_fixup_f32 v13, v14, v13, 1.0
	v_mul_f32_e32 v15, v15, v13
	v_xor_b32_e32 v16, 0x80000000, v13
                                        ; implicit-def: $vgpr13_vgpr14
.LBB54_106:
	s_andn2_saveexec_b64 s[14:15], s[14:15]
	s_cbranch_execz .LBB54_108
; %bb.107:
	v_div_scale_f32 v15, s[16:17], v13, v13, -v14
	v_div_scale_f32 v16, vcc, -v14, v13, -v14
	v_rcp_f32_e32 v19, v15
	v_fma_f32 v20, -v15, v19, 1.0
	v_fmac_f32_e32 v19, v20, v19
	v_mul_f32_e32 v20, v16, v19
	v_fma_f32 v21, -v15, v20, v16
	v_fmac_f32_e32 v20, v21, v19
	v_fma_f32 v15, -v15, v20, v16
	v_div_fmas_f32 v15, v15, v19, v20
	v_div_fixup_f32 v16, v15, v13, -v14
	v_fma_f32 v13, -v14, v16, v13
	v_div_scale_f32 v14, s[16:17], v13, v13, 1.0
	v_div_scale_f32 v15, vcc, 1.0, v13, 1.0
	v_rcp_f32_e32 v19, v14
	v_fma_f32 v20, -v14, v19, 1.0
	v_fmac_f32_e32 v19, v20, v19
	v_mul_f32_e32 v20, v15, v19
	v_fma_f32 v21, -v14, v20, v15
	v_fmac_f32_e32 v20, v21, v19
	v_fma_f32 v14, -v14, v20, v15
	v_div_fmas_f32 v14, v14, v19, v20
	v_div_fixup_f32 v15, v14, v13, 1.0
	v_mul_f32_e64 v16, v16, -v15
.LBB54_108:
	s_or_b64 exec, exec, s[14:15]
	v_lshlrev_b32_e32 v13, 3, v18
	ds_write_b64 v13, v[15:16]
.LBB54_109:
	s_or_b64 exec, exec, s[12:13]
                                        ; implicit-def: $vgpr13_vgpr14
                                        ; implicit-def: $vgpr18
.LBB54_110:
	s_andn2_saveexec_b64 s[8:9], s[8:9]
	s_cbranch_execz .LBB54_112
; %bb.111:
	v_lshlrev_b64 v[13:14], 3, v[13:14]
	v_mov_b32_e32 v15, s88
	v_add_co_u32_e32 v13, vcc, s27, v13
	v_addc_co_u32_e32 v14, vcc, v15, v14, vcc
	global_load_dwordx2 v[13:14], v[13:14], off
	v_lshlrev_b32_e32 v15, 3, v18
	s_waitcnt vmcnt(0)
	v_xor_b32_e32 v13, 0x80000000, v13
	ds_write_b64 v15, v[13:14]
.LBB54_112:
	s_or_b64 exec, exec, s[8:9]
	v_add_u32_e32 v13, 48, v2
	v_mad_u64_u32 v[11:12], s[8:9], s40, v13, v[11:12]
	v_add_u32_e32 v16, v13, v17
	v_cmp_gt_u32_e32 vcc, v13, v0
	v_mad_u64_u32 v[14:15], s[8:9], s41, v13, v[12:13]
	v_lshl_add_u32 v12, v13, 6, v0
	v_cndmask_b32_e64 v15, v12, v16, s[0:1]
	v_cmp_gt_i32_e64 s[0:1], s26, v13
	s_and_b64 s[0:1], vcc, s[0:1]
	s_and_b64 s[0:1], s[2:3], s[0:1]
	v_mov_b32_e32 v12, v14
	s_xor_b64 s[0:1], s[0:1], -1
	s_and_saveexec_b64 s[8:9], s[0:1]
	s_xor_b64 s[0:1], exec, s[8:9]
	s_cbranch_execz .LBB54_124
; %bb.113:
	v_cmp_ne_u32_e32 vcc, v0, v13
	s_xor_b64 s[2:3], s[2:3], -1
	s_or_b64 s[2:3], s[2:3], vcc
	s_and_saveexec_b64 s[8:9], s[2:3]
	s_xor_b64 s[2:3], exec, s[8:9]
	s_cbranch_execz .LBB54_117
; %bb.114:
	v_or_b32_e32 v11, v13, v0
	v_cmp_gt_u32_e32 vcc, 64, v11
	s_and_saveexec_b64 s[8:9], vcc
; %bb.115:
	v_mov_b32_e32 v11, 0
	v_lshlrev_b32_e32 v13, 3, v15
	v_mov_b32_e32 v12, v11
	ds_write_b64 v13, v[11:12]
; %bb.116:
	s_or_b64 exec, exec, s[8:9]
                                        ; implicit-def: $vgpr15
                                        ; implicit-def: $vgpr11_vgpr12
.LBB54_117:
	s_andn2_saveexec_b64 s[2:3], s[2:3]
	s_cbranch_execz .LBB54_123
; %bb.118:
	v_lshlrev_b64 v[11:12], 3, v[11:12]
	v_mov_b32_e32 v13, s88
	v_add_co_u32_e32 v11, vcc, s27, v11
	v_addc_co_u32_e32 v12, vcc, v13, v12, vcc
	global_load_dwordx2 v[11:12], v[11:12], off
                                        ; implicit-def: $vgpr13
	s_waitcnt vmcnt(0)
	v_cmp_ngt_f32_e64 s[8:9], |v11|, |v12|
	s_and_saveexec_b64 s[12:13], s[8:9]
	s_xor_b64 s[8:9], exec, s[12:13]
	s_cbranch_execz .LBB54_120
; %bb.119:
	v_div_scale_f32 v13, s[12:13], -v12, -v12, v11
	v_div_scale_f32 v14, vcc, v11, -v12, v11
	v_rcp_f32_e32 v16, v13
	v_fma_f32 v17, -v13, v16, 1.0
	v_fmac_f32_e32 v16, v17, v16
	v_mul_f32_e32 v17, v14, v16
	v_fma_f32 v18, -v13, v17, v14
	v_fmac_f32_e32 v17, v18, v16
	v_fma_f32 v13, -v13, v17, v14
	v_div_fmas_f32 v13, v13, v16, v17
	v_div_fixup_f32 v13, v13, -v12, v11
	v_fma_f32 v11, v11, v13, -v12
	v_div_scale_f32 v12, s[12:13], v11, v11, 1.0
	v_div_scale_f32 v14, vcc, 1.0, v11, 1.0
	v_rcp_f32_e32 v16, v12
	v_fma_f32 v17, -v12, v16, 1.0
	v_fmac_f32_e32 v16, v17, v16
	v_mul_f32_e32 v17, v14, v16
	v_fma_f32 v18, -v12, v17, v14
	v_fmac_f32_e32 v17, v18, v16
	v_fma_f32 v12, -v12, v17, v14
	v_div_fmas_f32 v12, v12, v16, v17
	v_div_fixup_f32 v11, v12, v11, 1.0
	v_mul_f32_e32 v13, v13, v11
	v_xor_b32_e32 v14, 0x80000000, v11
                                        ; implicit-def: $vgpr11_vgpr12
.LBB54_120:
	s_andn2_saveexec_b64 s[8:9], s[8:9]
	s_cbranch_execz .LBB54_122
; %bb.121:
	v_div_scale_f32 v13, s[12:13], v11, v11, -v12
	v_div_scale_f32 v14, vcc, -v12, v11, -v12
	v_rcp_f32_e32 v16, v13
	v_fma_f32 v17, -v13, v16, 1.0
	v_fmac_f32_e32 v16, v17, v16
	v_mul_f32_e32 v17, v14, v16
	v_fma_f32 v18, -v13, v17, v14
	v_fmac_f32_e32 v17, v18, v16
	v_fma_f32 v13, -v13, v17, v14
	v_div_fmas_f32 v13, v13, v16, v17
	v_div_fixup_f32 v14, v13, v11, -v12
	v_fma_f32 v11, -v12, v14, v11
	v_div_scale_f32 v12, s[12:13], v11, v11, 1.0
	v_div_scale_f32 v13, vcc, 1.0, v11, 1.0
	v_rcp_f32_e32 v16, v12
	v_fma_f32 v17, -v12, v16, 1.0
	v_fmac_f32_e32 v16, v17, v16
	v_mul_f32_e32 v17, v13, v16
	v_fma_f32 v18, -v12, v17, v13
	v_fmac_f32_e32 v17, v18, v16
	v_fma_f32 v12, -v12, v17, v13
	v_div_fmas_f32 v12, v12, v16, v17
	v_div_fixup_f32 v13, v12, v11, 1.0
	v_mul_f32_e64 v14, v14, -v13
.LBB54_122:
	s_or_b64 exec, exec, s[8:9]
	v_lshlrev_b32_e32 v11, 3, v15
	ds_write_b64 v11, v[13:14]
.LBB54_123:
	s_or_b64 exec, exec, s[2:3]
                                        ; implicit-def: $vgpr11_vgpr12
                                        ; implicit-def: $vgpr15
.LBB54_124:
	s_andn2_saveexec_b64 s[0:1], s[0:1]
	s_cbranch_execz .LBB54_126
; %bb.125:
	v_lshlrev_b64 v[11:12], 3, v[11:12]
	v_mov_b32_e32 v13, s88
	v_add_co_u32_e32 v11, vcc, s27, v11
	v_addc_co_u32_e32 v12, vcc, v13, v12, vcc
	global_load_dwordx2 v[11:12], v[11:12], off
	v_lshlrev_b32_e32 v13, 3, v15
	s_waitcnt vmcnt(0)
	v_xor_b32_e32 v11, 0x80000000, v11
	ds_write_b64 v13, v[11:12]
.LBB54_126:
	s_or_b64 exec, exec, s[0:1]
.LBB54_127:
	v_cndmask_b32_e64 v11, 0, 1, s[10:11]
	v_cmp_ne_u32_e64 s[0:1], 1, v11
                                        ; implicit-def: $vgpr38 : SGPR spill to VGPR lane
	s_andn2_b64 vcc, exec, s[10:11]
	v_writelane_b32 v38, s0, 0
	s_waitcnt vmcnt(0) lgkmcnt(0)
	s_barrier
	v_writelane_b32 v38, s1, 1
	s_cbranch_vccnz .LBB54_1049
; %bb.128:
	v_or_b32_e32 v11, v0, v2
	v_cmp_eq_u32_e32 vcc, 0, v11
	s_and_saveexec_b64 s[0:1], vcc
	s_cbranch_execz .LBB54_130
; %bb.129:
	s_movk_i32 s2, 0x1f0
	v_mov_b32_e32 v11, 0
	v_add_u32_e64 v12, s2, 0
	ds_read_b64 v[15:16], v11 offset:32760
	ds_read2st64_b64 v[11:14], v12 offset0:62 offset1:63
	s_movk_i32 s2, 0x7800
	s_waitcnt lgkmcnt(0)
	v_mul_f32_e32 v18, v15, v12
	v_mul_f32_e32 v17, v16, v12
	v_fmac_f32_e32 v18, v16, v11
	v_fma_f32 v12, v15, v11, -v17
	v_mul_f32_e32 v11, v18, v14
	v_fma_f32 v11, v12, v13, -v11
	v_mul_f32_e32 v12, v12, v14
	v_fmac_f32_e32 v12, v18, v13
	v_add_u32_e64 v13, s2, 0
	ds_write2_b64 v13, v[11:12], v[11:12] offset0:191 offset1:254
.LBB54_130:
	s_or_b64 exec, exec, s[0:1]
	v_lshlrev_b32_e32 v11, 6, v2
	v_add_u32_e32 v16, v11, v0
	v_and_b32_e32 v12, v11, v0
	v_xor_b32_e32 v11, v11, v0
	v_lshrrev_b16_e32 v11, 1, v11
	v_add_u16_e32 v15, v12, v11
	v_and_b32_e32 v13, 1, v0
	v_sub_u32_e32 v14, 1, v15
	v_cmp_lt_u32_e64 s[8:9], 3, v16
	v_cmp_gt_u32_e64 s[2:3], 4, v16
	v_mov_b32_e32 v11, 0
	v_mov_b32_e32 v12, 0
	s_waitcnt lgkmcnt(0)
	s_barrier
	buffer_wbinvl1_vol
	s_and_saveexec_b64 s[0:1], s[2:3]
	s_cbranch_execz .LBB54_134
; %bb.131:
	v_lshlrev_b32_e32 v11, 3, v13
	v_lshlrev_b32_e32 v17, 9, v14
	ds_read_b64 v[11:12], v11 offset:32224
	ds_read_b64 v[17:18], v17 offset:32240
	v_cmp_gt_u32_e64 s[10:11], 2, v16
	s_waitcnt lgkmcnt(0)
	v_mul_f32_e32 v19, v18, v12
	v_mul_f32_e32 v12, v17, v12
	v_fma_f32 v17, v17, v11, -v19
	v_fmac_f32_e32 v12, v18, v11
	v_add_f32_e32 v11, 0, v17
	v_add_f32_e32 v12, 0, v12
	s_and_saveexec_b64 s[12:13], s[10:11]
	s_cbranch_execz .LBB54_133
; %bb.132:
	v_lshlrev_b32_e32 v17, 3, v0
	v_mov_b32_e32 v19, 0
	ds_read_b64 v[17:18], v17 offset:32736
	ds_read_b64 v[19:20], v19 offset:32760
	s_waitcnt lgkmcnt(0)
	v_mul_f32_e32 v21, v20, v18
	v_mul_f32_e32 v18, v19, v18
	v_fma_f32 v19, v19, v17, -v21
	v_fmac_f32_e32 v18, v20, v17
	v_add_f32_e32 v11, v11, v19
	v_add_f32_e32 v12, v12, v18
.LBB54_133:
	s_or_b64 exec, exec, s[12:13]
.LBB54_134:
	s_or_b64 exec, exec, s[0:1]
	v_mov_b32_e32 v17, 0x8000
	v_cmp_ne_u32_e64 s[10:11], 0, v13
	s_xor_b64 s[0:1], s[8:9], -1
	v_lshl_add_u32 v15, v15, 3, v17
	s_and_b64 s[30:31], s[10:11], s[0:1]
	s_and_saveexec_b64 s[8:9], s[30:31]
	s_cbranch_execz .LBB54_136
; %bb.135:
	v_mov_b32_e32 v17, 0
	ds_read_b64 v[17:18], v17 offset:31720
	s_waitcnt lgkmcnt(0)
	v_mul_f32_e32 v19, v12, v18
	v_mul_f32_e32 v20, v11, v18
	v_fma_f32 v11, v11, v17, -v19
	v_fmac_f32_e32 v20, v12, v17
	v_xor_b32_e32 v17, 0x80000000, v11
	v_xor_b32_e32 v18, 0x80000000, v20
	v_mov_b32_e32 v12, v20
	ds_write_b64 v15, v[17:18]
.LBB54_136:
	s_or_b64 exec, exec, s[8:9]
	v_cmp_eq_u32_e64 s[8:9], 0, v13
	s_and_b64 s[28:29], s[8:9], s[0:1]
	s_waitcnt lgkmcnt(0)
	s_barrier
	s_and_saveexec_b64 s[0:1], s[28:29]
	s_cbranch_execz .LBB54_138
; %bb.137:
	v_mov_b32_e32 v17, 0
	ds_read_b64 v[17:18], v17 offset:31712
	ds_read_b64 v[19:20], v15
	s_waitcnt lgkmcnt(0)
	v_mul_f32_e32 v21, v20, v18
	v_mul_f32_e32 v18, v19, v18
	v_fma_f32 v19, v19, v17, -v21
	v_fmac_f32_e32 v18, v20, v17
	v_sub_f32_e32 v11, v11, v19
	v_sub_f32_e32 v12, v12, v18
.LBB54_138:
	s_or_b64 exec, exec, s[0:1]
	s_barrier
	s_and_saveexec_b64 s[0:1], s[28:29]
	s_cbranch_execz .LBB54_140
; %bb.139:
	v_mov_b32_e32 v17, 0
	ds_read_b64 v[17:18], v17 offset:31200
	s_waitcnt lgkmcnt(0)
	v_mul_f32_e32 v19, v12, v18
	v_mul_f32_e32 v20, v11, v18
	v_fma_f32 v11, v11, v17, -v19
	v_fmac_f32_e32 v20, v12, v17
	v_xor_b32_e32 v17, 0x80000000, v11
	v_xor_b32_e32 v18, 0x80000000, v20
	v_mov_b32_e32 v12, v20
	ds_write_b64 v15, v[17:18]
.LBB54_140:
	s_or_b64 exec, exec, s[0:1]
	s_waitcnt lgkmcnt(0)
	s_barrier
	s_barrier
	s_and_saveexec_b64 s[0:1], s[2:3]
; %bb.141:
	v_lshlrev_b32_e32 v17, 3, v13
	v_lshl_or_b32 v17, v14, 9, v17
	ds_write_b64 v17, v[11:12] offset:32224
; %bb.142:
	s_or_b64 exec, exec, s[0:1]
	v_cmp_eq_u32_e64 s[12:13], 0, v2
	v_cmp_gt_u32_e64 s[8:9], 2, v0
	s_and_b64 s[34:35], s[12:13], s[8:9]
	s_waitcnt lgkmcnt(0)
	s_barrier
	s_barrier
	s_and_saveexec_b64 s[0:1], s[34:35]
	s_cbranch_execz .LBB54_144
; %bb.143:
	v_lshlrev_b32_e32 v17, 3, v0
	s_movk_i32 s8, 0x1f8
	v_mad_u32_u24 v18, v0, s8, v17
	ds_read_b64 v[11:12], v18 offset:32224
	s_waitcnt lgkmcnt(0)
	ds_write_b64 v17, v[11:12] offset:31216
	ds_read_b64 v[11:12], v18 offset:32232
	s_waitcnt lgkmcnt(0)
	ds_write_b64 v17, v[11:12] offset:31728
.LBB54_144:
	s_or_b64 exec, exec, s[0:1]
	s_waitcnt lgkmcnt(0)
	s_barrier
	s_and_saveexec_b64 s[0:1], vcc
	s_cbranch_execz .LBB54_146
; %bb.145:
	s_movk_i32 s8, 0x1e0
	v_mov_b32_e32 v11, 0
	v_add_u32_e64 v17, s8, 0
	ds_read_b64 v[11:12], v11 offset:31720
	ds_read2st64_b64 v[17:20], v17 offset0:60 offset1:61
	s_movk_i32 s8, 0x7800
	s_waitcnt lgkmcnt(0)
	v_mul_f32_e32 v21, v12, v18
	v_mul_f32_e32 v18, v11, v18
	v_fma_f32 v21, v11, v17, -v21
	v_fmac_f32_e32 v18, v12, v17
	v_mul_f32_e32 v11, v18, v20
	v_mul_f32_e32 v12, v21, v20
	v_fma_f32 v11, v21, v19, -v11
	v_fmac_f32_e32 v12, v18, v19
	v_add_u32_e64 v17, s8, 0
	ds_write2_b64 v17, v[11:12], v[11:12] offset0:61 offset1:124
.LBB54_146:
	s_or_b64 exec, exec, s[0:1]
	v_lshrrev_b32_e32 v19, 2, v16
	v_and_b32_e32 v17, 3, v0
	v_sub_u32_e32 v18, 3, v19
	v_cmp_lt_u32_e64 s[8:9], 15, v16
	v_cmp_gt_u32_e64 s[18:19], 16, v16
	v_mov_b32_e32 v12, 0
	v_mov_b32_e32 v11, 0
	s_waitcnt lgkmcnt(0)
	s_barrier
	buffer_wbinvl1_vol
	s_and_saveexec_b64 s[0:1], s[18:19]
	s_cbranch_execz .LBB54_152
; %bb.147:
	v_lshlrev_b32_e32 v20, 3, v17
	v_lshlrev_b32_e32 v21, 9, v18
	ds_read_b64 v[11:12], v20 offset:31168
	ds_read_b64 v[22:23], v21 offset:31200
	v_cmp_gt_u32_e64 s[10:11], 12, v16
	s_waitcnt lgkmcnt(0)
	v_mul_f32_e32 v24, v23, v12
	v_mul_f32_e32 v12, v22, v12
	v_fma_f32 v22, v22, v11, -v24
	v_fmac_f32_e32 v12, v23, v11
	v_add_f32_e32 v11, 0, v22
	v_add_f32_e32 v12, 0, v12
	s_and_saveexec_b64 s[14:15], s[10:11]
	s_cbranch_execnz .LBB54_1125
; %bb.148:
	s_or_b64 exec, exec, s[14:15]
	v_cmp_gt_u32_e64 s[10:11], 8, v16
	s_and_saveexec_b64 s[14:15], s[10:11]
	s_cbranch_execnz .LBB54_1126
.LBB54_149:
	s_or_b64 exec, exec, s[14:15]
	v_cmp_gt_u32_e64 s[10:11], 4, v16
	s_and_saveexec_b64 s[14:15], s[10:11]
	s_cbranch_execz .LBB54_151
.LBB54_150:
	v_lshlrev_b32_e32 v20, 3, v0
	v_mov_b32_e32 v22, 0
	ds_read_b64 v[20:21], v20 offset:32704
	ds_read_b64 v[22:23], v22 offset:32760
	s_waitcnt lgkmcnt(0)
	v_mul_f32_e32 v24, v23, v21
	v_mul_f32_e32 v21, v22, v21
	v_fma_f32 v22, v22, v20, -v24
	v_fmac_f32_e32 v21, v23, v20
	v_add_f32_e32 v11, v11, v22
	v_add_f32_e32 v12, v12, v21
.LBB54_151:
	s_or_b64 exec, exec, s[14:15]
.LBB54_152:
	v_writelane_b32 v38, s38, 2
	s_or_b64 exec, exec, s[0:1]
	v_mov_b32_e32 v20, 0x8000
	v_cmp_eq_u32_e64 s[10:11], 3, v17
	s_xor_b64 s[0:1], s[8:9], -1
	v_lshl_add_u32 v19, v19, 3, v20
	s_and_b64 s[38:39], s[10:11], s[0:1]
	s_and_saveexec_b64 s[8:9], s[38:39]
	s_cbranch_execz .LBB54_154
; %bb.153:
	v_mov_b32_e32 v20, 0
	ds_read_b64 v[20:21], v20 offset:30680
	s_waitcnt lgkmcnt(0)
	v_mul_f32_e32 v22, v12, v21
	v_mul_f32_e32 v23, v11, v21
	v_fma_f32 v11, v11, v20, -v22
	v_fmac_f32_e32 v23, v12, v20
	v_xor_b32_e32 v20, 0x80000000, v11
	v_xor_b32_e32 v21, 0x80000000, v23
	v_mov_b32_e32 v12, v23
	ds_write_b64 v19, v[20:21]
.LBB54_154:
	s_or_b64 exec, exec, s[8:9]
	v_cmp_ne_u32_e64 s[8:9], 3, v17
	s_and_b64 s[42:43], s[8:9], s[0:1]
	s_waitcnt lgkmcnt(0)
	s_barrier
	s_and_saveexec_b64 s[8:9], s[42:43]
	s_cbranch_execz .LBB54_156
; %bb.155:
	v_lshlrev_b32_e32 v20, 3, v17
	ds_read_b64 v[20:21], v20 offset:30656
	ds_read_b64 v[22:23], v19
	s_waitcnt lgkmcnt(0)
	v_mul_f32_e32 v24, v23, v21
	v_mul_f32_e32 v21, v22, v21
	v_fma_f32 v22, v22, v20, -v24
	v_fmac_f32_e32 v21, v23, v20
	v_sub_f32_e32 v11, v11, v22
	v_sub_f32_e32 v12, v12, v21
.LBB54_156:
	s_or_b64 exec, exec, s[8:9]
	v_cmp_eq_u32_e64 s[8:9], 2, v17
	s_and_b64 s[44:45], s[8:9], s[0:1]
	s_barrier
	s_and_saveexec_b64 s[8:9], s[44:45]
	s_cbranch_execz .LBB54_158
; %bb.157:
	v_mov_b32_e32 v20, 0
	ds_read_b64 v[20:21], v20 offset:30160
	s_waitcnt lgkmcnt(0)
	v_mul_f32_e32 v22, v12, v21
	v_mul_f32_e32 v23, v11, v21
	v_fma_f32 v11, v11, v20, -v22
	v_fmac_f32_e32 v23, v12, v20
	v_xor_b32_e32 v20, 0x80000000, v11
	v_xor_b32_e32 v21, 0x80000000, v23
	v_mov_b32_e32 v12, v23
	ds_write_b64 v19, v[20:21]
.LBB54_158:
	s_or_b64 exec, exec, s[8:9]
	v_cmp_gt_u32_e64 s[8:9], 2, v17
	s_and_b64 s[52:53], s[8:9], s[0:1]
	s_waitcnt lgkmcnt(0)
	s_barrier
	s_and_saveexec_b64 s[8:9], s[52:53]
	s_cbranch_execz .LBB54_160
; %bb.159:
	v_lshlrev_b32_e32 v20, 3, v17
	ds_read_b64 v[20:21], v20 offset:30144
	ds_read_b64 v[22:23], v19
	s_waitcnt lgkmcnt(0)
	v_mul_f32_e32 v24, v23, v21
	v_mul_f32_e32 v21, v22, v21
	v_fma_f32 v22, v22, v20, -v24
	v_fmac_f32_e32 v21, v23, v20
	v_sub_f32_e32 v11, v11, v22
	v_sub_f32_e32 v12, v12, v21
.LBB54_160:
	s_or_b64 exec, exec, s[8:9]
	v_cmp_eq_u32_e64 s[8:9], 1, v17
	s_and_b64 s[54:55], s[8:9], s[0:1]
	s_barrier
	s_and_saveexec_b64 s[8:9], s[54:55]
	s_cbranch_execz .LBB54_162
; %bb.161:
	v_mov_b32_e32 v20, 0
	ds_read_b64 v[20:21], v20 offset:29640
	s_waitcnt lgkmcnt(0)
	v_mul_f32_e32 v22, v12, v21
	v_mul_f32_e32 v23, v11, v21
	v_fma_f32 v11, v11, v20, -v22
	v_fmac_f32_e32 v23, v12, v20
	v_xor_b32_e32 v20, 0x80000000, v11
	v_xor_b32_e32 v21, 0x80000000, v23
	v_mov_b32_e32 v12, v23
	ds_write_b64 v19, v[20:21]
.LBB54_162:
	s_or_b64 exec, exec, s[8:9]
	v_cmp_eq_u32_e64 s[8:9], 0, v17
	s_and_b64 s[36:37], s[8:9], s[0:1]
	s_waitcnt lgkmcnt(0)
	s_barrier
	s_and_saveexec_b64 s[0:1], s[36:37]
	s_cbranch_execz .LBB54_164
; %bb.163:
	v_mov_b32_e32 v20, 0
	ds_read_b64 v[20:21], v20 offset:29632
	ds_read_b64 v[22:23], v19
	s_waitcnt lgkmcnt(0)
	v_mul_f32_e32 v24, v23, v21
	v_mul_f32_e32 v21, v22, v21
	v_fma_f32 v22, v22, v20, -v24
	v_fmac_f32_e32 v21, v23, v20
	v_sub_f32_e32 v11, v11, v22
	v_sub_f32_e32 v12, v12, v21
.LBB54_164:
	s_or_b64 exec, exec, s[0:1]
	s_barrier
	s_and_saveexec_b64 s[0:1], s[36:37]
	s_cbranch_execz .LBB54_166
; %bb.165:
	v_mov_b32_e32 v20, 0
	ds_read_b64 v[20:21], v20 offset:29120
	s_waitcnt lgkmcnt(0)
	v_mul_f32_e32 v22, v12, v21
	v_mul_f32_e32 v23, v11, v21
	v_fma_f32 v11, v11, v20, -v22
	v_fmac_f32_e32 v23, v12, v20
	v_xor_b32_e32 v20, 0x80000000, v11
	v_xor_b32_e32 v21, 0x80000000, v23
	v_mov_b32_e32 v12, v23
	ds_write_b64 v19, v[20:21]
.LBB54_166:
	s_or_b64 exec, exec, s[0:1]
	s_waitcnt lgkmcnt(0)
	s_barrier
	s_barrier
	s_and_saveexec_b64 s[0:1], s[18:19]
; %bb.167:
	v_lshlrev_b32_e32 v20, 3, v17
	v_lshl_or_b32 v20, v18, 9, v20
	ds_write_b64 v20, v[11:12] offset:31168
; %bb.168:
	s_or_b64 exec, exec, s[0:1]
	v_cmp_gt_u32_e64 s[8:9], 4, v0
	s_and_b64 s[56:57], s[12:13], s[8:9]
	s_waitcnt lgkmcnt(0)
	s_barrier
	s_barrier
	s_and_saveexec_b64 s[0:1], s[56:57]
	s_cbranch_execz .LBB54_170
; %bb.169:
	v_lshlrev_b32_e32 v20, 9, v0
	ds_read_b64 v[11:12], v20 offset:31168
	s_movk_i32 s8, 0xfe08
	v_mad_i32_i24 v21, v0, s8, v20
	s_waitcnt lgkmcnt(0)
	ds_write_b64 v21, v[11:12] offset:29152
	ds_read_b64 v[11:12], v20 offset:31176
	s_waitcnt lgkmcnt(0)
	ds_write_b64 v21, v[11:12] offset:29664
	ds_read_b64 v[11:12], v20 offset:31184
	;; [unrolled: 3-line block ×3, first 2 shown]
	s_waitcnt lgkmcnt(0)
	ds_write_b64 v21, v[11:12] offset:30688
.LBB54_170:
	s_or_b64 exec, exec, s[0:1]
	s_waitcnt lgkmcnt(0)
	s_barrier
	s_and_saveexec_b64 s[0:1], vcc
	s_cbranch_execz .LBB54_172
; %bb.171:
	s_movk_i32 s8, 0x1d0
	v_mov_b32_e32 v11, 0
	v_add_u32_e64 v20, s8, 0
	ds_read_b64 v[11:12], v11 offset:30680
	ds_read2st64_b64 v[20:23], v20 offset0:58 offset1:59
	s_movk_i32 s8, 0x7000
	s_waitcnt lgkmcnt(0)
	v_mul_f32_e32 v24, v12, v21
	v_mul_f32_e32 v21, v11, v21
	v_fma_f32 v24, v11, v20, -v24
	v_fmac_f32_e32 v21, v12, v20
	v_mul_f32_e32 v11, v21, v23
	v_mul_f32_e32 v12, v24, v23
	v_fma_f32 v11, v24, v22, -v11
	v_fmac_f32_e32 v12, v21, v22
	v_add_u32_e64 v20, s8, 0
	ds_write2_b64 v20, v[11:12], v[11:12] offset0:187 offset1:250
.LBB54_172:
	s_or_b64 exec, exec, s[0:1]
	v_mov_b32_e32 v11, 0
	v_mov_b32_e32 v12, 0
	s_waitcnt lgkmcnt(0)
	s_barrier
	buffer_wbinvl1_vol
	s_and_saveexec_b64 s[0:1], s[2:3]
	s_cbranch_execz .LBB54_176
; %bb.173:
	v_lshlrev_b32_e32 v11, 3, v13
	v_lshlrev_b32_e32 v20, 9, v14
	ds_read_b64 v[11:12], v11 offset:30144
	ds_read_b64 v[20:21], v20 offset:30160
	v_cmp_gt_u32_e64 s[8:9], 2, v16
	s_waitcnt lgkmcnt(0)
	v_mul_f32_e32 v22, v21, v12
	v_mul_f32_e32 v12, v20, v12
	v_fma_f32 v20, v20, v11, -v22
	v_fmac_f32_e32 v12, v21, v11
	v_add_f32_e32 v11, 0, v20
	v_add_f32_e32 v12, 0, v12
	s_and_saveexec_b64 s[10:11], s[8:9]
	s_cbranch_execz .LBB54_175
; %bb.174:
	v_lshlrev_b32_e32 v20, 3, v0
	v_mov_b32_e32 v22, 0
	ds_read_b64 v[20:21], v20 offset:30656
	ds_read_b64 v[22:23], v22 offset:30680
	s_waitcnt lgkmcnt(0)
	v_mul_f32_e32 v24, v23, v21
	v_mul_f32_e32 v21, v22, v21
	v_fma_f32 v22, v22, v20, -v24
	v_fmac_f32_e32 v21, v23, v20
	v_add_f32_e32 v11, v11, v22
	v_add_f32_e32 v12, v12, v21
.LBB54_175:
	s_or_b64 exec, exec, s[10:11]
.LBB54_176:
	s_or_b64 exec, exec, s[0:1]
	s_and_saveexec_b64 s[0:1], s[30:31]
	s_cbranch_execz .LBB54_178
; %bb.177:
	v_mov_b32_e32 v20, 0
	ds_read_b64 v[20:21], v20 offset:29640
	s_waitcnt lgkmcnt(0)
	v_mul_f32_e32 v22, v12, v21
	v_mul_f32_e32 v23, v11, v21
	v_fma_f32 v11, v11, v20, -v22
	v_fmac_f32_e32 v23, v12, v20
	v_xor_b32_e32 v20, 0x80000000, v11
	v_xor_b32_e32 v21, 0x80000000, v23
	v_mov_b32_e32 v12, v23
	ds_write_b64 v15, v[20:21]
.LBB54_178:
	s_or_b64 exec, exec, s[0:1]
	s_waitcnt lgkmcnt(0)
	s_barrier
	s_and_saveexec_b64 s[0:1], s[28:29]
	s_cbranch_execz .LBB54_180
; %bb.179:
	v_mov_b32_e32 v20, 0
	ds_read_b64 v[20:21], v20 offset:29632
	ds_read_b64 v[22:23], v15
	s_waitcnt lgkmcnt(0)
	v_mul_f32_e32 v24, v23, v21
	v_mul_f32_e32 v21, v22, v21
	v_fma_f32 v22, v22, v20, -v24
	v_fmac_f32_e32 v21, v23, v20
	v_sub_f32_e32 v11, v11, v22
	v_sub_f32_e32 v12, v12, v21
.LBB54_180:
	s_or_b64 exec, exec, s[0:1]
	s_barrier
	s_and_saveexec_b64 s[0:1], s[28:29]
	s_cbranch_execz .LBB54_182
; %bb.181:
	v_mov_b32_e32 v20, 0
	ds_read_b64 v[20:21], v20 offset:29120
	s_waitcnt lgkmcnt(0)
	v_mul_f32_e32 v22, v12, v21
	v_mul_f32_e32 v23, v11, v21
	v_fma_f32 v11, v11, v20, -v22
	v_fmac_f32_e32 v23, v12, v20
	v_xor_b32_e32 v20, 0x80000000, v11
	v_xor_b32_e32 v21, 0x80000000, v23
	v_mov_b32_e32 v12, v23
	ds_write_b64 v15, v[20:21]
.LBB54_182:
	s_or_b64 exec, exec, s[0:1]
	s_waitcnt lgkmcnt(0)
	s_barrier
	s_barrier
	s_and_saveexec_b64 s[0:1], s[2:3]
; %bb.183:
	v_lshlrev_b32_e32 v20, 3, v13
	v_lshl_or_b32 v20, v14, 9, v20
	ds_write_b64 v20, v[11:12] offset:30144
; %bb.184:
	s_or_b64 exec, exec, s[0:1]
	s_waitcnt lgkmcnt(0)
	s_barrier
	s_barrier
	s_and_saveexec_b64 s[0:1], s[34:35]
	s_cbranch_execz .LBB54_186
; %bb.185:
	v_lshlrev_b32_e32 v20, 3, v0
	s_movk_i32 s8, 0x1f8
	v_mad_u32_u24 v21, v0, s8, v20
	ds_read_b64 v[11:12], v21 offset:30144
	s_waitcnt lgkmcnt(0)
	ds_write_b64 v20, v[11:12] offset:29136
	ds_read_b64 v[11:12], v21 offset:30152
	s_waitcnt lgkmcnt(0)
	ds_write_b64 v20, v[11:12] offset:29648
.LBB54_186:
	s_or_b64 exec, exec, s[0:1]
	s_waitcnt lgkmcnt(0)
	s_barrier
	s_and_saveexec_b64 s[0:1], vcc
	s_cbranch_execz .LBB54_188
; %bb.187:
	s_movk_i32 s8, 0x1c0
	v_mov_b32_e32 v11, 0
	v_add_u32_e64 v20, s8, 0
	ds_read_b64 v[11:12], v11 offset:29640
	ds_read2st64_b64 v[20:23], v20 offset0:56 offset1:57
	s_movk_i32 s8, 0x7000
	s_waitcnt lgkmcnt(0)
	v_mul_f32_e32 v24, v12, v21
	v_mul_f32_e32 v21, v11, v21
	v_fma_f32 v24, v11, v20, -v24
	v_fmac_f32_e32 v21, v12, v20
	v_mul_f32_e32 v11, v21, v23
	v_mul_f32_e32 v12, v24, v23
	v_fma_f32 v11, v24, v22, -v11
	v_fmac_f32_e32 v12, v21, v22
	v_add_u32_e64 v20, s8, 0
	ds_write2_b64 v20, v[11:12], v[11:12] offset0:57 offset1:120
.LBB54_188:
	s_or_b64 exec, exec, s[0:1]
	v_lshrrev_b32_e32 v22, 3, v16
	v_and_b32_e32 v20, 7, v0
	v_sub_u32_e32 v21, 7, v22
	v_cmp_lt_u32_e64 s[10:11], 63, v16
	v_cmp_gt_u32_e64 s[8:9], 64, v16
	v_mov_b32_e32 v12, 0
	v_mov_b32_e32 v11, 0
	s_waitcnt lgkmcnt(0)
	s_barrier
	buffer_wbinvl1_vol
	s_and_saveexec_b64 s[0:1], s[8:9]
	s_cbranch_execz .LBB54_198
; %bb.189:
	v_lshlrev_b32_e32 v23, 3, v20
	v_lshlrev_b32_e32 v24, 9, v21
	ds_read_b64 v[11:12], v23 offset:29056
	ds_read_b64 v[25:26], v24 offset:29120
	v_cmp_gt_u32_e64 s[14:15], 56, v16
	s_waitcnt lgkmcnt(0)
	v_mul_f32_e32 v27, v26, v12
	v_mul_f32_e32 v12, v25, v12
	v_fma_f32 v25, v25, v11, -v27
	v_fmac_f32_e32 v12, v26, v11
	v_add_f32_e32 v11, 0, v25
	v_add_f32_e32 v12, 0, v12
	s_and_saveexec_b64 s[16:17], s[14:15]
	s_cbranch_execnz .LBB54_1127
; %bb.190:
	s_or_b64 exec, exec, s[16:17]
	v_cmp_gt_u32_e64 s[14:15], 48, v16
	s_and_saveexec_b64 s[16:17], s[14:15]
	s_cbranch_execnz .LBB54_1128
.LBB54_191:
	s_or_b64 exec, exec, s[16:17]
	v_cmp_gt_u32_e64 s[14:15], 40, v16
	s_and_saveexec_b64 s[16:17], s[14:15]
	s_cbranch_execnz .LBB54_1129
.LBB54_192:
	s_or_b64 exec, exec, s[16:17]
	v_cmp_gt_u32_e64 s[14:15], 32, v16
	s_and_saveexec_b64 s[16:17], s[14:15]
	s_cbranch_execnz .LBB54_1130
.LBB54_193:
	s_or_b64 exec, exec, s[16:17]
	v_cmp_gt_u32_e64 s[14:15], 24, v16
	s_and_saveexec_b64 s[16:17], s[14:15]
	s_cbranch_execnz .LBB54_1131
.LBB54_194:
	s_or_b64 exec, exec, s[16:17]
	s_and_saveexec_b64 s[14:15], s[18:19]
	s_cbranch_execnz .LBB54_1132
.LBB54_195:
	s_or_b64 exec, exec, s[14:15]
	v_cmp_gt_u32_e64 s[14:15], 8, v16
	s_and_saveexec_b64 s[16:17], s[14:15]
	s_cbranch_execz .LBB54_197
.LBB54_196:
	v_lshlrev_b32_e32 v23, 3, v0
	v_mov_b32_e32 v25, 0
	ds_read_b64 v[23:24], v23 offset:32640
	ds_read_b64 v[25:26], v25 offset:32760
	s_waitcnt lgkmcnt(0)
	v_mul_f32_e32 v27, v26, v24
	v_mul_f32_e32 v24, v25, v24
	v_fma_f32 v25, v25, v23, -v27
	v_fmac_f32_e32 v24, v26, v23
	v_add_f32_e32 v11, v11, v25
	v_add_f32_e32 v12, v12, v24
.LBB54_197:
	s_or_b64 exec, exec, s[16:17]
.LBB54_198:
	v_writelane_b32 v38, s60, 3
	v_writelane_b32 v38, s61, 4
	s_or_b64 exec, exec, s[0:1]
	v_mov_b32_e32 v23, 0x8000
	v_cmp_eq_u32_e64 s[14:15], 7, v20
	s_xor_b64 s[0:1], s[10:11], -1
	v_lshl_add_u32 v22, v22, 3, v23
	s_and_b64 s[60:61], s[14:15], s[0:1]
	s_and_saveexec_b64 s[10:11], s[60:61]
	s_cbranch_execz .LBB54_200
; %bb.199:
	v_mov_b32_e32 v23, 0
	ds_read_b64 v[23:24], v23 offset:28600
	s_waitcnt lgkmcnt(0)
	v_mul_f32_e32 v25, v12, v24
	v_mul_f32_e32 v26, v11, v24
	v_fma_f32 v11, v11, v23, -v25
	v_fmac_f32_e32 v26, v12, v23
	v_xor_b32_e32 v23, 0x80000000, v11
	v_xor_b32_e32 v24, 0x80000000, v26
	v_mov_b32_e32 v12, v26
	ds_write_b64 v22, v[23:24]
.LBB54_200:
	s_or_b64 exec, exec, s[10:11]
	v_cmp_ne_u32_e64 s[10:11], 7, v20
	s_and_b64 s[62:63], s[10:11], s[0:1]
	s_waitcnt lgkmcnt(0)
	s_barrier
	s_and_saveexec_b64 s[10:11], s[62:63]
	s_cbranch_execz .LBB54_202
; %bb.201:
	v_lshlrev_b32_e32 v23, 3, v20
	ds_read_b64 v[23:24], v23 offset:28544
	ds_read_b64 v[25:26], v22
	s_waitcnt lgkmcnt(0)
	v_mul_f32_e32 v27, v26, v24
	v_mul_f32_e32 v24, v25, v24
	v_fma_f32 v25, v25, v23, -v27
	v_fmac_f32_e32 v24, v26, v23
	v_sub_f32_e32 v11, v11, v25
	v_sub_f32_e32 v12, v12, v24
.LBB54_202:
	s_or_b64 exec, exec, s[10:11]
	v_cmp_eq_u32_e64 s[10:11], 6, v20
	s_and_b64 s[64:65], s[10:11], s[0:1]
	s_barrier
	s_and_saveexec_b64 s[10:11], s[64:65]
	s_cbranch_execz .LBB54_204
; %bb.203:
	v_mov_b32_e32 v23, 0
	ds_read_b64 v[23:24], v23 offset:28080
	s_waitcnt lgkmcnt(0)
	v_mul_f32_e32 v25, v12, v24
	v_mul_f32_e32 v26, v11, v24
	v_fma_f32 v11, v11, v23, -v25
	v_fmac_f32_e32 v26, v12, v23
	v_xor_b32_e32 v23, 0x80000000, v11
	v_xor_b32_e32 v24, 0x80000000, v26
	v_mov_b32_e32 v12, v26
	ds_write_b64 v22, v[23:24]
.LBB54_204:
	s_or_b64 exec, exec, s[10:11]
	v_cmp_gt_u32_e64 s[10:11], 6, v20
	s_and_b64 s[66:67], s[10:11], s[0:1]
	s_waitcnt lgkmcnt(0)
	s_barrier
	s_and_saveexec_b64 s[10:11], s[66:67]
	s_cbranch_execz .LBB54_206
; %bb.205:
	v_lshlrev_b32_e32 v23, 3, v20
	ds_read_b64 v[23:24], v23 offset:28032
	ds_read_b64 v[25:26], v22
	s_waitcnt lgkmcnt(0)
	v_mul_f32_e32 v27, v26, v24
	v_mul_f32_e32 v24, v25, v24
	v_fma_f32 v25, v25, v23, -v27
	v_fmac_f32_e32 v24, v26, v23
	v_sub_f32_e32 v11, v11, v25
	v_sub_f32_e32 v12, v12, v24
.LBB54_206:
	s_or_b64 exec, exec, s[10:11]
	v_cmp_eq_u32_e64 s[10:11], 5, v20
	s_and_b64 s[68:69], s[10:11], s[0:1]
	s_barrier
	s_and_saveexec_b64 s[10:11], s[68:69]
	s_cbranch_execz .LBB54_208
; %bb.207:
	v_mov_b32_e32 v23, 0
	ds_read_b64 v[23:24], v23 offset:27560
	s_waitcnt lgkmcnt(0)
	v_mul_f32_e32 v25, v12, v24
	v_mul_f32_e32 v26, v11, v24
	v_fma_f32 v11, v11, v23, -v25
	v_fmac_f32_e32 v26, v12, v23
	v_xor_b32_e32 v23, 0x80000000, v11
	v_xor_b32_e32 v24, 0x80000000, v26
	v_mov_b32_e32 v12, v26
	ds_write_b64 v22, v[23:24]
.LBB54_208:
	s_or_b64 exec, exec, s[10:11]
	v_cmp_gt_u32_e64 s[10:11], 5, v20
	;; [unrolled: 38-line block ×5, first 2 shown]
	s_and_b64 s[82:83], s[10:11], s[0:1]
	s_waitcnt lgkmcnt(0)
	s_barrier
	s_and_saveexec_b64 s[10:11], s[82:83]
	s_cbranch_execz .LBB54_222
; %bb.221:
	v_lshlrev_b32_e32 v23, 3, v20
	ds_read_b64 v[23:24], v23 offset:25984
	ds_read_b64 v[25:26], v22
	s_waitcnt lgkmcnt(0)
	v_mul_f32_e32 v27, v26, v24
	v_mul_f32_e32 v24, v25, v24
	v_fma_f32 v25, v25, v23, -v27
	v_fmac_f32_e32 v24, v26, v23
	v_sub_f32_e32 v11, v11, v25
	v_sub_f32_e32 v12, v12, v24
.LBB54_222:
	s_or_b64 exec, exec, s[10:11]
	v_cmp_eq_u32_e64 s[10:11], 1, v20
	s_and_b64 s[84:85], s[10:11], s[0:1]
	s_barrier
	s_and_saveexec_b64 s[10:11], s[84:85]
	s_cbranch_execz .LBB54_224
; %bb.223:
	v_mov_b32_e32 v23, 0
	ds_read_b64 v[23:24], v23 offset:25480
	s_waitcnt lgkmcnt(0)
	v_mul_f32_e32 v25, v12, v24
	v_mul_f32_e32 v26, v11, v24
	v_fma_f32 v11, v11, v23, -v25
	v_fmac_f32_e32 v26, v12, v23
	v_xor_b32_e32 v23, 0x80000000, v11
	v_xor_b32_e32 v24, 0x80000000, v26
	v_mov_b32_e32 v12, v26
	ds_write_b64 v22, v[23:24]
.LBB54_224:
	s_or_b64 exec, exec, s[10:11]
	v_cmp_eq_u32_e64 s[10:11], 0, v20
	s_and_b64 s[58:59], s[10:11], s[0:1]
	s_waitcnt lgkmcnt(0)
	s_barrier
	s_and_saveexec_b64 s[0:1], s[58:59]
	s_cbranch_execz .LBB54_226
; %bb.225:
	v_mov_b32_e32 v23, 0
	ds_read_b64 v[23:24], v23 offset:25472
	ds_read_b64 v[25:26], v22
	s_waitcnt lgkmcnt(0)
	v_mul_f32_e32 v27, v26, v24
	v_mul_f32_e32 v24, v25, v24
	v_fma_f32 v25, v25, v23, -v27
	v_fmac_f32_e32 v24, v26, v23
	v_sub_f32_e32 v11, v11, v25
	v_sub_f32_e32 v12, v12, v24
.LBB54_226:
	s_or_b64 exec, exec, s[0:1]
	s_barrier
	s_and_saveexec_b64 s[0:1], s[58:59]
	s_cbranch_execz .LBB54_228
; %bb.227:
	v_mov_b32_e32 v23, 0
	ds_read_b64 v[23:24], v23 offset:24960
	s_waitcnt lgkmcnt(0)
	v_mul_f32_e32 v25, v12, v24
	v_mul_f32_e32 v26, v11, v24
	v_fma_f32 v11, v11, v23, -v25
	v_fmac_f32_e32 v26, v12, v23
	v_xor_b32_e32 v23, 0x80000000, v11
	v_xor_b32_e32 v24, 0x80000000, v26
	v_mov_b32_e32 v12, v26
	ds_write_b64 v22, v[23:24]
.LBB54_228:
	s_or_b64 exec, exec, s[0:1]
	s_waitcnt lgkmcnt(0)
	s_barrier
	s_barrier
	s_and_saveexec_b64 s[0:1], s[8:9]
; %bb.229:
	v_lshlrev_b32_e32 v23, 3, v20
	v_lshl_or_b32 v23, v21, 9, v23
	ds_write_b64 v23, v[11:12] offset:29056
; %bb.230:
	s_or_b64 exec, exec, s[0:1]
	v_cmp_gt_u32_e64 s[10:11], 8, v0
	s_and_b64 s[86:87], s[12:13], s[10:11]
	s_waitcnt lgkmcnt(0)
	s_barrier
	s_barrier
	s_and_saveexec_b64 s[0:1], s[86:87]
	s_cbranch_execz .LBB54_232
; %bb.231:
	v_lshlrev_b32_e32 v23, 9, v0
	ds_read_b64 v[11:12], v23 offset:29056
	s_movk_i32 s10, 0xfe08
	v_mad_i32_i24 v24, v0, s10, v23
	s_waitcnt lgkmcnt(0)
	ds_write_b64 v24, v[11:12] offset:25024
	ds_read_b64 v[11:12], v23 offset:29064
	s_waitcnt lgkmcnt(0)
	ds_write_b64 v24, v[11:12] offset:25536
	ds_read_b64 v[11:12], v23 offset:29072
	;; [unrolled: 3-line block ×7, first 2 shown]
	s_waitcnt lgkmcnt(0)
	ds_write_b64 v24, v[11:12] offset:28608
.LBB54_232:
	s_or_b64 exec, exec, s[0:1]
	s_waitcnt lgkmcnt(0)
	s_barrier
	s_and_saveexec_b64 s[0:1], vcc
	s_cbranch_execz .LBB54_234
; %bb.233:
	s_movk_i32 s10, 0x1b0
	v_mov_b32_e32 v11, 0
	v_add_u32_e64 v23, s10, 0
	ds_read_b64 v[11:12], v11 offset:28600
	ds_read2st64_b64 v[23:26], v23 offset0:54 offset1:55
	s_movk_i32 s10, 0x6800
	s_waitcnt lgkmcnt(0)
	v_mul_f32_e32 v27, v12, v24
	v_mul_f32_e32 v24, v11, v24
	v_fma_f32 v27, v11, v23, -v27
	v_fmac_f32_e32 v24, v12, v23
	v_mul_f32_e32 v11, v24, v26
	v_mul_f32_e32 v12, v27, v26
	v_fma_f32 v11, v27, v25, -v11
	v_fmac_f32_e32 v12, v24, v25
	v_add_u32_e64 v23, s10, 0
	ds_write2_b64 v23, v[11:12], v[11:12] offset0:183 offset1:246
.LBB54_234:
	s_or_b64 exec, exec, s[0:1]
	v_mov_b32_e32 v11, 0
	v_mov_b32_e32 v12, 0
	s_waitcnt lgkmcnt(0)
	s_barrier
	buffer_wbinvl1_vol
	s_and_saveexec_b64 s[0:1], s[2:3]
	s_cbranch_execz .LBB54_238
; %bb.235:
	v_lshlrev_b32_e32 v11, 3, v13
	v_lshlrev_b32_e32 v23, 9, v14
	ds_read_b64 v[11:12], v11 offset:28064
	ds_read_b64 v[23:24], v23 offset:28080
	v_cmp_gt_u32_e64 s[10:11], 2, v16
	s_waitcnt lgkmcnt(0)
	v_mul_f32_e32 v25, v24, v12
	v_mul_f32_e32 v12, v23, v12
	v_fma_f32 v23, v23, v11, -v25
	v_fmac_f32_e32 v12, v24, v11
	v_add_f32_e32 v11, 0, v23
	v_add_f32_e32 v12, 0, v12
	s_and_saveexec_b64 s[14:15], s[10:11]
	s_cbranch_execz .LBB54_237
; %bb.236:
	v_lshlrev_b32_e32 v23, 3, v0
	v_mov_b32_e32 v25, 0
	ds_read_b64 v[23:24], v23 offset:28576
	ds_read_b64 v[25:26], v25 offset:28600
	s_waitcnt lgkmcnt(0)
	v_mul_f32_e32 v27, v26, v24
	v_mul_f32_e32 v24, v25, v24
	v_fma_f32 v25, v25, v23, -v27
	v_fmac_f32_e32 v24, v26, v23
	v_add_f32_e32 v11, v11, v25
	v_add_f32_e32 v12, v12, v24
.LBB54_237:
	s_or_b64 exec, exec, s[14:15]
.LBB54_238:
	s_or_b64 exec, exec, s[0:1]
	s_and_saveexec_b64 s[0:1], s[30:31]
	s_cbranch_execz .LBB54_240
; %bb.239:
	v_mov_b32_e32 v23, 0
	ds_read_b64 v[23:24], v23 offset:27560
	s_waitcnt lgkmcnt(0)
	v_mul_f32_e32 v25, v12, v24
	v_mul_f32_e32 v26, v11, v24
	v_fma_f32 v11, v11, v23, -v25
	v_fmac_f32_e32 v26, v12, v23
	v_xor_b32_e32 v23, 0x80000000, v11
	v_xor_b32_e32 v24, 0x80000000, v26
	v_mov_b32_e32 v12, v26
	ds_write_b64 v15, v[23:24]
.LBB54_240:
	s_or_b64 exec, exec, s[0:1]
	s_waitcnt lgkmcnt(0)
	s_barrier
	s_and_saveexec_b64 s[0:1], s[28:29]
	s_cbranch_execz .LBB54_242
; %bb.241:
	v_mov_b32_e32 v23, 0
	ds_read_b64 v[23:24], v23 offset:27552
	ds_read_b64 v[25:26], v15
	s_waitcnt lgkmcnt(0)
	v_mul_f32_e32 v27, v26, v24
	v_mul_f32_e32 v24, v25, v24
	v_fma_f32 v25, v25, v23, -v27
	v_fmac_f32_e32 v24, v26, v23
	v_sub_f32_e32 v11, v11, v25
	v_sub_f32_e32 v12, v12, v24
.LBB54_242:
	s_or_b64 exec, exec, s[0:1]
	s_barrier
	s_and_saveexec_b64 s[0:1], s[28:29]
	s_cbranch_execz .LBB54_244
; %bb.243:
	v_mov_b32_e32 v23, 0
	ds_read_b64 v[23:24], v23 offset:27040
	s_waitcnt lgkmcnt(0)
	v_mul_f32_e32 v25, v12, v24
	v_mul_f32_e32 v26, v11, v24
	v_fma_f32 v11, v11, v23, -v25
	v_fmac_f32_e32 v26, v12, v23
	v_xor_b32_e32 v23, 0x80000000, v11
	v_xor_b32_e32 v24, 0x80000000, v26
	v_mov_b32_e32 v12, v26
	ds_write_b64 v15, v[23:24]
.LBB54_244:
	s_or_b64 exec, exec, s[0:1]
	s_waitcnt lgkmcnt(0)
	s_barrier
	s_barrier
	s_and_saveexec_b64 s[0:1], s[2:3]
; %bb.245:
	v_lshlrev_b32_e32 v23, 3, v13
	v_lshl_or_b32 v23, v14, 9, v23
	ds_write_b64 v23, v[11:12] offset:28064
; %bb.246:
	s_or_b64 exec, exec, s[0:1]
	s_waitcnt lgkmcnt(0)
	s_barrier
	s_barrier
	s_and_saveexec_b64 s[0:1], s[34:35]
	s_cbranch_execz .LBB54_248
; %bb.247:
	v_lshlrev_b32_e32 v23, 3, v0
	s_movk_i32 s10, 0x1f8
	v_mad_u32_u24 v24, v0, s10, v23
	ds_read_b64 v[11:12], v24 offset:28064
	s_waitcnt lgkmcnt(0)
	ds_write_b64 v23, v[11:12] offset:27056
	ds_read_b64 v[11:12], v24 offset:28072
	s_waitcnt lgkmcnt(0)
	ds_write_b64 v23, v[11:12] offset:27568
.LBB54_248:
	s_or_b64 exec, exec, s[0:1]
	s_waitcnt lgkmcnt(0)
	s_barrier
	s_and_saveexec_b64 s[0:1], vcc
	s_cbranch_execz .LBB54_250
; %bb.249:
	s_movk_i32 s10, 0x1a0
	v_mov_b32_e32 v11, 0
	v_add_u32_e64 v23, s10, 0
	ds_read_b64 v[11:12], v11 offset:27560
	ds_read2st64_b64 v[23:26], v23 offset0:52 offset1:53
	s_movk_i32 s10, 0x6800
	s_waitcnt lgkmcnt(0)
	v_mul_f32_e32 v27, v12, v24
	v_mul_f32_e32 v24, v11, v24
	v_fma_f32 v27, v11, v23, -v27
	v_fmac_f32_e32 v24, v12, v23
	v_mul_f32_e32 v11, v24, v26
	v_mul_f32_e32 v12, v27, v26
	v_fma_f32 v11, v27, v25, -v11
	v_fmac_f32_e32 v12, v24, v25
	v_add_u32_e64 v23, s10, 0
	ds_write2_b64 v23, v[11:12], v[11:12] offset0:53 offset1:116
.LBB54_250:
	s_or_b64 exec, exec, s[0:1]
	v_mov_b32_e32 v12, 0
	v_mov_b32_e32 v11, 0
	s_waitcnt lgkmcnt(0)
	s_barrier
	buffer_wbinvl1_vol
	s_and_saveexec_b64 s[0:1], s[18:19]
	s_cbranch_execz .LBB54_256
; %bb.251:
	v_lshlrev_b32_e32 v23, 3, v17
	v_lshlrev_b32_e32 v24, 9, v18
	ds_read_b64 v[11:12], v23 offset:27008
	ds_read_b64 v[25:26], v24 offset:27040
	v_cmp_gt_u32_e64 s[10:11], 12, v16
	s_waitcnt lgkmcnt(0)
	v_mul_f32_e32 v27, v26, v12
	v_mul_f32_e32 v12, v25, v12
	v_fma_f32 v25, v25, v11, -v27
	v_fmac_f32_e32 v12, v26, v11
	v_add_f32_e32 v11, 0, v25
	v_add_f32_e32 v12, 0, v12
	s_and_saveexec_b64 s[14:15], s[10:11]
	s_cbranch_execnz .LBB54_1133
; %bb.252:
	s_or_b64 exec, exec, s[14:15]
	v_cmp_gt_u32_e64 s[10:11], 8, v16
	s_and_saveexec_b64 s[14:15], s[10:11]
	s_cbranch_execnz .LBB54_1134
.LBB54_253:
	s_or_b64 exec, exec, s[14:15]
	v_cmp_gt_u32_e64 s[10:11], 4, v16
	s_and_saveexec_b64 s[14:15], s[10:11]
	s_cbranch_execz .LBB54_255
.LBB54_254:
	v_lshlrev_b32_e32 v23, 3, v0
	v_mov_b32_e32 v25, 0
	ds_read_b64 v[23:24], v23 offset:28544
	ds_read_b64 v[25:26], v25 offset:28600
	s_waitcnt lgkmcnt(0)
	v_mul_f32_e32 v27, v26, v24
	v_mul_f32_e32 v24, v25, v24
	v_fma_f32 v25, v25, v23, -v27
	v_fmac_f32_e32 v24, v26, v23
	v_add_f32_e32 v11, v11, v25
	v_add_f32_e32 v12, v12, v24
.LBB54_255:
	s_or_b64 exec, exec, s[14:15]
.LBB54_256:
	s_or_b64 exec, exec, s[0:1]
	s_and_saveexec_b64 s[0:1], s[38:39]
	s_cbranch_execz .LBB54_258
; %bb.257:
	v_mov_b32_e32 v23, 0
	ds_read_b64 v[23:24], v23 offset:26520
	s_waitcnt lgkmcnt(0)
	v_mul_f32_e32 v25, v12, v24
	v_mul_f32_e32 v26, v11, v24
	v_fma_f32 v11, v11, v23, -v25
	v_fmac_f32_e32 v26, v12, v23
	v_xor_b32_e32 v23, 0x80000000, v11
	v_xor_b32_e32 v24, 0x80000000, v26
	v_mov_b32_e32 v12, v26
	ds_write_b64 v19, v[23:24]
.LBB54_258:
	s_or_b64 exec, exec, s[0:1]
	s_waitcnt lgkmcnt(0)
	s_barrier
	s_and_saveexec_b64 s[0:1], s[42:43]
	s_cbranch_execz .LBB54_260
; %bb.259:
	v_lshlrev_b32_e32 v23, 3, v17
	ds_read_b64 v[23:24], v23 offset:26496
	ds_read_b64 v[25:26], v19
	s_waitcnt lgkmcnt(0)
	v_mul_f32_e32 v27, v26, v24
	v_mul_f32_e32 v24, v25, v24
	v_fma_f32 v25, v25, v23, -v27
	v_fmac_f32_e32 v24, v26, v23
	v_sub_f32_e32 v11, v11, v25
	v_sub_f32_e32 v12, v12, v24
.LBB54_260:
	s_or_b64 exec, exec, s[0:1]
	s_barrier
	s_and_saveexec_b64 s[0:1], s[44:45]
	s_cbranch_execz .LBB54_262
; %bb.261:
	v_mov_b32_e32 v23, 0
	ds_read_b64 v[23:24], v23 offset:26000
	s_waitcnt lgkmcnt(0)
	v_mul_f32_e32 v25, v12, v24
	v_mul_f32_e32 v26, v11, v24
	v_fma_f32 v11, v11, v23, -v25
	v_fmac_f32_e32 v26, v12, v23
	v_xor_b32_e32 v23, 0x80000000, v11
	v_xor_b32_e32 v24, 0x80000000, v26
	v_mov_b32_e32 v12, v26
	ds_write_b64 v19, v[23:24]
.LBB54_262:
	s_or_b64 exec, exec, s[0:1]
	s_waitcnt lgkmcnt(0)
	s_barrier
	s_and_saveexec_b64 s[0:1], s[52:53]
	s_cbranch_execz .LBB54_264
; %bb.263:
	v_lshlrev_b32_e32 v23, 3, v17
	ds_read_b64 v[23:24], v23 offset:25984
	ds_read_b64 v[25:26], v19
	s_waitcnt lgkmcnt(0)
	v_mul_f32_e32 v27, v26, v24
	v_mul_f32_e32 v24, v25, v24
	v_fma_f32 v25, v25, v23, -v27
	v_fmac_f32_e32 v24, v26, v23
	v_sub_f32_e32 v11, v11, v25
	v_sub_f32_e32 v12, v12, v24
.LBB54_264:
	s_or_b64 exec, exec, s[0:1]
	s_barrier
	s_and_saveexec_b64 s[0:1], s[54:55]
	s_cbranch_execz .LBB54_266
; %bb.265:
	v_mov_b32_e32 v23, 0
	ds_read_b64 v[23:24], v23 offset:25480
	s_waitcnt lgkmcnt(0)
	v_mul_f32_e32 v25, v12, v24
	v_mul_f32_e32 v26, v11, v24
	v_fma_f32 v11, v11, v23, -v25
	v_fmac_f32_e32 v26, v12, v23
	v_xor_b32_e32 v23, 0x80000000, v11
	v_xor_b32_e32 v24, 0x80000000, v26
	v_mov_b32_e32 v12, v26
	ds_write_b64 v19, v[23:24]
.LBB54_266:
	s_or_b64 exec, exec, s[0:1]
	s_waitcnt lgkmcnt(0)
	s_barrier
	s_and_saveexec_b64 s[0:1], s[36:37]
	s_cbranch_execz .LBB54_268
; %bb.267:
	v_mov_b32_e32 v23, 0
	ds_read_b64 v[23:24], v23 offset:25472
	ds_read_b64 v[25:26], v19
	s_waitcnt lgkmcnt(0)
	v_mul_f32_e32 v27, v26, v24
	v_mul_f32_e32 v24, v25, v24
	v_fma_f32 v25, v25, v23, -v27
	v_fmac_f32_e32 v24, v26, v23
	v_sub_f32_e32 v11, v11, v25
	v_sub_f32_e32 v12, v12, v24
.LBB54_268:
	s_or_b64 exec, exec, s[0:1]
	s_barrier
	s_and_saveexec_b64 s[0:1], s[36:37]
	s_cbranch_execz .LBB54_270
; %bb.269:
	v_mov_b32_e32 v23, 0
	ds_read_b64 v[23:24], v23 offset:24960
	s_waitcnt lgkmcnt(0)
	v_mul_f32_e32 v25, v12, v24
	v_mul_f32_e32 v26, v11, v24
	v_fma_f32 v11, v11, v23, -v25
	v_fmac_f32_e32 v26, v12, v23
	v_xor_b32_e32 v23, 0x80000000, v11
	v_xor_b32_e32 v24, 0x80000000, v26
	v_mov_b32_e32 v12, v26
	ds_write_b64 v19, v[23:24]
.LBB54_270:
	s_or_b64 exec, exec, s[0:1]
	s_waitcnt lgkmcnt(0)
	s_barrier
	s_barrier
	s_and_saveexec_b64 s[0:1], s[18:19]
; %bb.271:
	v_lshlrev_b32_e32 v23, 3, v17
	v_lshl_or_b32 v23, v18, 9, v23
	ds_write_b64 v23, v[11:12] offset:27008
; %bb.272:
	s_or_b64 exec, exec, s[0:1]
	s_waitcnt lgkmcnt(0)
	s_barrier
	s_barrier
	s_and_saveexec_b64 s[0:1], s[56:57]
	s_cbranch_execz .LBB54_274
; %bb.273:
	v_lshlrev_b32_e32 v23, 9, v0
	ds_read_b64 v[11:12], v23 offset:27008
	s_movk_i32 s10, 0xfe08
	v_mad_i32_i24 v24, v0, s10, v23
	s_waitcnt lgkmcnt(0)
	ds_write_b64 v24, v[11:12] offset:24992
	ds_read_b64 v[11:12], v23 offset:27016
	s_waitcnt lgkmcnt(0)
	ds_write_b64 v24, v[11:12] offset:25504
	ds_read_b64 v[11:12], v23 offset:27024
	;; [unrolled: 3-line block ×3, first 2 shown]
	s_waitcnt lgkmcnt(0)
	ds_write_b64 v24, v[11:12] offset:26528
.LBB54_274:
	s_or_b64 exec, exec, s[0:1]
	s_waitcnt lgkmcnt(0)
	s_barrier
	s_and_saveexec_b64 s[0:1], vcc
	s_cbranch_execz .LBB54_276
; %bb.275:
	s_movk_i32 s10, 0x190
	v_mov_b32_e32 v11, 0
	v_add_u32_e64 v23, s10, 0
	ds_read_b64 v[11:12], v11 offset:26520
	ds_read2st64_b64 v[23:26], v23 offset0:50 offset1:51
	s_movk_i32 s10, 0x6000
	s_waitcnt lgkmcnt(0)
	v_mul_f32_e32 v27, v12, v24
	v_mul_f32_e32 v24, v11, v24
	v_fma_f32 v27, v11, v23, -v27
	v_fmac_f32_e32 v24, v12, v23
	v_mul_f32_e32 v11, v24, v26
	v_mul_f32_e32 v12, v27, v26
	v_fma_f32 v11, v27, v25, -v11
	v_fmac_f32_e32 v12, v24, v25
	v_add_u32_e64 v23, s10, 0
	ds_write2_b64 v23, v[11:12], v[11:12] offset0:179 offset1:242
.LBB54_276:
	s_or_b64 exec, exec, s[0:1]
	v_mov_b32_e32 v11, 0
	v_mov_b32_e32 v12, 0
	s_waitcnt lgkmcnt(0)
	s_barrier
	buffer_wbinvl1_vol
	s_and_saveexec_b64 s[0:1], s[2:3]
	s_cbranch_execz .LBB54_280
; %bb.277:
	v_lshlrev_b32_e32 v11, 3, v13
	v_lshlrev_b32_e32 v23, 9, v14
	ds_read_b64 v[11:12], v11 offset:25984
	ds_read_b64 v[23:24], v23 offset:26000
	v_cmp_gt_u32_e64 s[10:11], 2, v16
	s_waitcnt lgkmcnt(0)
	v_mul_f32_e32 v25, v24, v12
	v_mul_f32_e32 v12, v23, v12
	v_fma_f32 v23, v23, v11, -v25
	v_fmac_f32_e32 v12, v24, v11
	v_add_f32_e32 v11, 0, v23
	v_add_f32_e32 v12, 0, v12
	s_and_saveexec_b64 s[14:15], s[10:11]
	s_cbranch_execz .LBB54_279
; %bb.278:
	v_lshlrev_b32_e32 v23, 3, v0
	v_mov_b32_e32 v25, 0
	ds_read_b64 v[23:24], v23 offset:26496
	ds_read_b64 v[25:26], v25 offset:26520
	s_waitcnt lgkmcnt(0)
	v_mul_f32_e32 v27, v26, v24
	v_mul_f32_e32 v24, v25, v24
	v_fma_f32 v25, v25, v23, -v27
	v_fmac_f32_e32 v24, v26, v23
	v_add_f32_e32 v11, v11, v25
	v_add_f32_e32 v12, v12, v24
.LBB54_279:
	s_or_b64 exec, exec, s[14:15]
.LBB54_280:
	s_or_b64 exec, exec, s[0:1]
	s_and_saveexec_b64 s[0:1], s[30:31]
	s_cbranch_execz .LBB54_282
; %bb.281:
	v_mov_b32_e32 v23, 0
	ds_read_b64 v[23:24], v23 offset:25480
	s_waitcnt lgkmcnt(0)
	v_mul_f32_e32 v25, v12, v24
	v_mul_f32_e32 v26, v11, v24
	v_fma_f32 v11, v11, v23, -v25
	v_fmac_f32_e32 v26, v12, v23
	v_xor_b32_e32 v23, 0x80000000, v11
	v_xor_b32_e32 v24, 0x80000000, v26
	v_mov_b32_e32 v12, v26
	ds_write_b64 v15, v[23:24]
.LBB54_282:
	s_or_b64 exec, exec, s[0:1]
	s_waitcnt lgkmcnt(0)
	s_barrier
	s_and_saveexec_b64 s[0:1], s[28:29]
	s_cbranch_execz .LBB54_284
; %bb.283:
	v_mov_b32_e32 v23, 0
	ds_read_b64 v[23:24], v23 offset:25472
	ds_read_b64 v[25:26], v15
	s_waitcnt lgkmcnt(0)
	v_mul_f32_e32 v27, v26, v24
	v_mul_f32_e32 v24, v25, v24
	v_fma_f32 v25, v25, v23, -v27
	v_fmac_f32_e32 v24, v26, v23
	v_sub_f32_e32 v11, v11, v25
	v_sub_f32_e32 v12, v12, v24
.LBB54_284:
	s_or_b64 exec, exec, s[0:1]
	s_barrier
	s_and_saveexec_b64 s[0:1], s[28:29]
	s_cbranch_execz .LBB54_286
; %bb.285:
	v_mov_b32_e32 v23, 0
	ds_read_b64 v[23:24], v23 offset:24960
	s_waitcnt lgkmcnt(0)
	v_mul_f32_e32 v25, v12, v24
	v_mul_f32_e32 v26, v11, v24
	v_fma_f32 v11, v11, v23, -v25
	v_fmac_f32_e32 v26, v12, v23
	v_xor_b32_e32 v23, 0x80000000, v11
	v_xor_b32_e32 v24, 0x80000000, v26
	v_mov_b32_e32 v12, v26
	ds_write_b64 v15, v[23:24]
.LBB54_286:
	s_or_b64 exec, exec, s[0:1]
	s_waitcnt lgkmcnt(0)
	s_barrier
	s_barrier
	s_and_saveexec_b64 s[0:1], s[2:3]
; %bb.287:
	v_lshlrev_b32_e32 v23, 3, v13
	v_lshl_or_b32 v23, v14, 9, v23
	ds_write_b64 v23, v[11:12] offset:25984
; %bb.288:
	s_or_b64 exec, exec, s[0:1]
	s_waitcnt lgkmcnt(0)
	s_barrier
	s_barrier
	s_and_saveexec_b64 s[0:1], s[34:35]
	s_cbranch_execz .LBB54_290
; %bb.289:
	v_lshlrev_b32_e32 v23, 3, v0
	s_movk_i32 s10, 0x1f8
	v_mad_u32_u24 v24, v0, s10, v23
	ds_read_b64 v[11:12], v24 offset:25984
	s_waitcnt lgkmcnt(0)
	ds_write_b64 v23, v[11:12] offset:24976
	ds_read_b64 v[11:12], v24 offset:25992
	s_waitcnt lgkmcnt(0)
	ds_write_b64 v23, v[11:12] offset:25488
.LBB54_290:
	s_or_b64 exec, exec, s[0:1]
	s_waitcnt lgkmcnt(0)
	s_barrier
	s_and_saveexec_b64 s[0:1], vcc
	s_cbranch_execz .LBB54_292
; %bb.291:
	s_movk_i32 s10, 0x180
	v_mov_b32_e32 v11, 0
	v_add_u32_e64 v23, s10, 0
	ds_read_b64 v[11:12], v11 offset:25480
	ds_read2st64_b64 v[23:26], v23 offset0:48 offset1:49
	s_movk_i32 s10, 0x6000
	s_waitcnt lgkmcnt(0)
	v_mul_f32_e32 v27, v12, v24
	v_mul_f32_e32 v24, v11, v24
	v_fma_f32 v27, v11, v23, -v27
	v_fmac_f32_e32 v24, v12, v23
	v_mul_f32_e32 v11, v24, v26
	v_mul_f32_e32 v12, v27, v26
	v_fma_f32 v11, v27, v25, -v11
	v_fmac_f32_e32 v12, v24, v25
	v_add_u32_e64 v23, s10, 0
	ds_write2_b64 v23, v[11:12], v[11:12] offset0:49 offset1:112
.LBB54_292:
	s_or_b64 exec, exec, s[0:1]
	s_movk_i32 s0, 0xff
	v_lshrrev_b32_e32 v25, 4, v16
	v_cmp_lt_u32_e64 s[14:15], s0, v16
	s_movk_i32 s0, 0x100
	v_and_b32_e32 v23, 15, v0
	v_sub_u32_e32 v24, 15, v25
	v_cmp_gt_u32_e64 s[10:11], s0, v16
	v_mov_b32_e32 v12, 0
	v_mov_b32_e32 v11, 0
	s_waitcnt lgkmcnt(0)
	s_barrier
	buffer_wbinvl1_vol
	s_and_saveexec_b64 s[0:1], s[10:11]
	s_cbranch_execz .LBB54_320
; %bb.293:
	v_lshlrev_b32_e32 v26, 3, v23
	v_lshlrev_b32_e32 v27, 9, v24
	ds_read_b64 v[11:12], v26 offset:24832
	ds_read_b64 v[28:29], v27 offset:24960
	s_movk_i32 s16, 0xf0
	v_cmp_gt_u32_e64 s[16:17], s16, v16
	s_waitcnt lgkmcnt(0)
	v_mul_f32_e32 v30, v29, v12
	v_mul_f32_e32 v12, v28, v12
	v_fma_f32 v28, v28, v11, -v30
	v_fmac_f32_e32 v12, v29, v11
	v_add_f32_e32 v11, 0, v28
	v_add_f32_e32 v12, 0, v12
	s_and_saveexec_b64 s[20:21], s[16:17]
	s_cbranch_execz .LBB54_295
; %bb.294:
	ds_read_b64 v[28:29], v26 offset:25344
	ds_read_b64 v[30:31], v27 offset:24968
	s_waitcnt lgkmcnt(0)
	v_mul_f32_e32 v32, v31, v29
	v_mul_f32_e32 v29, v30, v29
	v_fma_f32 v30, v30, v28, -v32
	v_fmac_f32_e32 v29, v31, v28
	v_add_f32_e32 v11, v11, v30
	v_add_f32_e32 v12, v12, v29
.LBB54_295:
	s_or_b64 exec, exec, s[20:21]
	s_movk_i32 s16, 0xe0
	v_cmp_gt_u32_e64 s[16:17], s16, v16
	s_and_saveexec_b64 s[20:21], s[16:17]
	s_cbranch_execz .LBB54_297
; %bb.296:
	ds_read_b64 v[28:29], v26 offset:25856
	ds_read_b64 v[30:31], v27 offset:24976
	s_waitcnt lgkmcnt(0)
	v_mul_f32_e32 v32, v31, v29
	v_mul_f32_e32 v29, v30, v29
	v_fma_f32 v30, v30, v28, -v32
	v_fmac_f32_e32 v29, v31, v28
	v_add_f32_e32 v11, v11, v30
	v_add_f32_e32 v12, v12, v29
.LBB54_297:
	s_or_b64 exec, exec, s[20:21]
	s_movk_i32 s16, 0xd0
	v_cmp_gt_u32_e64 s[16:17], s16, v16
	;; [unrolled: 16-line block ×10, first 2 shown]
	s_and_saveexec_b64 s[20:21], s[16:17]
	s_cbranch_execnz .LBB54_1135
; %bb.314:
	s_or_b64 exec, exec, s[20:21]
	s_and_saveexec_b64 s[16:17], s[8:9]
	s_cbranch_execnz .LBB54_1136
.LBB54_315:
	s_or_b64 exec, exec, s[16:17]
	v_cmp_gt_u32_e64 s[16:17], 48, v16
	s_and_saveexec_b64 s[20:21], s[16:17]
	s_cbranch_execnz .LBB54_1137
.LBB54_316:
	s_or_b64 exec, exec, s[20:21]
	v_cmp_gt_u32_e64 s[16:17], 32, v16
	s_and_saveexec_b64 s[20:21], s[16:17]
	s_cbranch_execnz .LBB54_1138
.LBB54_317:
	s_or_b64 exec, exec, s[20:21]
	v_cmp_gt_u32_e64 s[16:17], 16, v16
	s_and_saveexec_b64 s[20:21], s[16:17]
	s_cbranch_execz .LBB54_319
.LBB54_318:
	v_lshlrev_b32_e32 v26, 3, v0
	v_mov_b32_e32 v28, 0
	ds_read_b64 v[26:27], v26 offset:32512
	ds_read_b64 v[28:29], v28 offset:32760
	s_waitcnt lgkmcnt(0)
	v_mul_f32_e32 v30, v29, v27
	v_mul_f32_e32 v27, v28, v27
	v_fma_f32 v28, v28, v26, -v30
	v_fmac_f32_e32 v27, v29, v26
	v_add_f32_e32 v11, v11, v28
	v_add_f32_e32 v12, v12, v27
.LBB54_319:
	s_or_b64 exec, exec, s[20:21]
.LBB54_320:
	s_or_b64 exec, exec, s[0:1]
	v_mov_b32_e32 v26, 0x8000
	v_lshl_add_u32 v25, v25, 3, v26
	v_cmp_eq_u32_e64 s[16:17], 15, v23
	s_xor_b64 s[20:21], s[14:15], -1
	s_and_b64 s[14:15], s[16:17], s[20:21]
	s_mov_b64 s[0:1], exec
	v_writelane_b32 v38, s14, 5
	v_writelane_b32 v38, s15, 6
	s_and_b64 s[14:15], s[0:1], s[14:15]
	s_mov_b64 exec, s[14:15]
	s_cbranch_execz .LBB54_322
; %bb.321:
	v_mov_b32_e32 v26, 0
	ds_read_b64 v[26:27], v26 offset:24440
	s_waitcnt lgkmcnt(0)
	v_mul_f32_e32 v28, v12, v27
	v_mul_f32_e32 v29, v11, v27
	v_fma_f32 v11, v11, v26, -v28
	v_fmac_f32_e32 v29, v12, v26
	v_xor_b32_e32 v26, 0x80000000, v11
	v_xor_b32_e32 v27, 0x80000000, v29
	v_mov_b32_e32 v12, v29
	ds_write_b64 v25, v[26:27]
.LBB54_322:
	s_or_b64 exec, exec, s[0:1]
	v_cmp_ne_u32_e64 s[14:15], 15, v23
	s_waitcnt lgkmcnt(0)
	s_barrier
	s_and_b64 s[14:15], s[14:15], s[20:21]
	s_mov_b64 s[0:1], exec
	v_writelane_b32 v38, s14, 7
	v_writelane_b32 v38, s15, 8
	s_and_b64 s[14:15], s[0:1], s[14:15]
	s_mov_b64 exec, s[14:15]
	s_cbranch_execz .LBB54_324
; %bb.323:
	v_lshlrev_b32_e32 v26, 3, v23
	ds_read_b64 v[26:27], v26 offset:24320
	ds_read_b64 v[28:29], v25
	s_waitcnt lgkmcnt(0)
	v_mul_f32_e32 v30, v29, v27
	v_mul_f32_e32 v27, v28, v27
	v_fma_f32 v28, v28, v26, -v30
	v_fmac_f32_e32 v27, v29, v26
	v_sub_f32_e32 v11, v11, v28
	v_sub_f32_e32 v12, v12, v27
.LBB54_324:
	s_or_b64 exec, exec, s[0:1]
	v_cmp_eq_u32_e64 s[14:15], 14, v23
	s_barrier
	s_and_b64 s[14:15], s[14:15], s[20:21]
	s_mov_b64 s[0:1], exec
	v_writelane_b32 v38, s14, 9
	v_writelane_b32 v38, s15, 10
	s_and_b64 s[14:15], s[0:1], s[14:15]
	s_mov_b64 exec, s[14:15]
	s_cbranch_execz .LBB54_326
; %bb.325:
	v_mov_b32_e32 v26, 0
	ds_read_b64 v[26:27], v26 offset:23920
	s_waitcnt lgkmcnt(0)
	v_mul_f32_e32 v28, v12, v27
	v_mul_f32_e32 v29, v11, v27
	v_fma_f32 v11, v11, v26, -v28
	v_fmac_f32_e32 v29, v12, v26
	v_xor_b32_e32 v26, 0x80000000, v11
	v_xor_b32_e32 v27, 0x80000000, v29
	v_mov_b32_e32 v12, v29
	ds_write_b64 v25, v[26:27]
.LBB54_326:
	s_or_b64 exec, exec, s[0:1]
	v_cmp_gt_u32_e64 s[14:15], 14, v23
	s_waitcnt lgkmcnt(0)
	s_barrier
	s_and_b64 s[14:15], s[14:15], s[20:21]
	s_mov_b64 s[0:1], exec
	v_writelane_b32 v38, s14, 11
	v_writelane_b32 v38, s15, 12
	s_and_b64 s[14:15], s[0:1], s[14:15]
	s_mov_b64 exec, s[14:15]
	s_cbranch_execz .LBB54_328
; %bb.327:
	v_lshlrev_b32_e32 v26, 3, v23
	ds_read_b64 v[26:27], v26 offset:23808
	ds_read_b64 v[28:29], v25
	s_waitcnt lgkmcnt(0)
	v_mul_f32_e32 v30, v29, v27
	v_mul_f32_e32 v27, v28, v27
	v_fma_f32 v28, v28, v26, -v30
	v_fmac_f32_e32 v27, v29, v26
	v_sub_f32_e32 v11, v11, v28
	v_sub_f32_e32 v12, v12, v27
.LBB54_328:
	s_or_b64 exec, exec, s[0:1]
	v_cmp_eq_u32_e64 s[14:15], 13, v23
	s_barrier
	s_and_b64 s[14:15], s[14:15], s[20:21]
	s_mov_b64 s[0:1], exec
	v_writelane_b32 v38, s14, 13
	v_writelane_b32 v38, s15, 14
	s_and_b64 s[14:15], s[0:1], s[14:15]
	s_mov_b64 exec, s[14:15]
	s_cbranch_execz .LBB54_330
; %bb.329:
	v_mov_b32_e32 v26, 0
	ds_read_b64 v[26:27], v26 offset:23400
	s_waitcnt lgkmcnt(0)
	v_mul_f32_e32 v28, v12, v27
	v_mul_f32_e32 v29, v11, v27
	v_fma_f32 v11, v11, v26, -v28
	v_fmac_f32_e32 v29, v12, v26
	v_xor_b32_e32 v26, 0x80000000, v11
	v_xor_b32_e32 v27, 0x80000000, v29
	v_mov_b32_e32 v12, v29
	ds_write_b64 v25, v[26:27]
.LBB54_330:
	s_or_b64 exec, exec, s[0:1]
	v_cmp_gt_u32_e64 s[14:15], 13, v23
	;; [unrolled: 46-line block ×13, first 2 shown]
	s_waitcnt lgkmcnt(0)
	s_barrier
	s_and_b64 s[14:15], s[14:15], s[20:21]
	s_mov_b64 s[0:1], exec
	v_writelane_b32 v38, s14, 59
	v_writelane_b32 v38, s15, 60
	s_and_b64 s[14:15], s[0:1], s[14:15]
	s_mov_b64 exec, s[14:15]
	s_cbranch_execz .LBB54_376
; %bb.375:
	v_lshlrev_b32_e32 v26, 3, v23
	ds_read_b64 v[26:27], v26 offset:17664
	ds_read_b64 v[28:29], v25
	s_waitcnt lgkmcnt(0)
	v_mul_f32_e32 v30, v29, v27
	v_mul_f32_e32 v27, v28, v27
	v_fma_f32 v28, v28, v26, -v30
	v_fmac_f32_e32 v27, v29, v26
	v_sub_f32_e32 v11, v11, v28
	v_sub_f32_e32 v12, v12, v27
.LBB54_376:
	s_or_b64 exec, exec, s[0:1]
	v_cmp_eq_u32_e64 s[14:15], 1, v23
	s_barrier
	s_and_b64 s[14:15], s[14:15], s[20:21]
	s_mov_b64 s[0:1], exec
	v_writelane_b32 v38, s14, 61
	v_writelane_b32 v38, s15, 62
	s_and_b64 s[14:15], s[0:1], s[14:15]
	s_mov_b64 exec, s[14:15]
	s_cbranch_execz .LBB54_378
; %bb.377:
	v_mov_b32_e32 v26, 0
	ds_read_b64 v[26:27], v26 offset:17160
	s_waitcnt lgkmcnt(0)
	v_mul_f32_e32 v28, v12, v27
	v_mul_f32_e32 v29, v11, v27
	v_fma_f32 v11, v11, v26, -v28
	v_fmac_f32_e32 v29, v12, v26
	v_xor_b32_e32 v26, 0x80000000, v11
	v_xor_b32_e32 v27, 0x80000000, v29
	v_mov_b32_e32 v12, v29
	ds_write_b64 v25, v[26:27]
.LBB54_378:
	s_or_b64 exec, exec, s[0:1]
	v_cmp_eq_u32_e64 s[14:15], 0, v23
	s_and_b64 s[90:91], s[14:15], s[20:21]
	s_waitcnt lgkmcnt(0)
	s_barrier
	s_and_saveexec_b64 s[0:1], s[90:91]
	s_cbranch_execz .LBB54_380
; %bb.379:
	v_mov_b32_e32 v26, 0
	ds_read_b64 v[26:27], v26 offset:17152
	ds_read_b64 v[28:29], v25
	s_waitcnt lgkmcnt(0)
	v_mul_f32_e32 v30, v29, v27
	v_mul_f32_e32 v27, v28, v27
	v_fma_f32 v28, v28, v26, -v30
	v_fmac_f32_e32 v27, v29, v26
	v_sub_f32_e32 v11, v11, v28
	v_sub_f32_e32 v12, v12, v27
.LBB54_380:
	s_or_b64 exec, exec, s[0:1]
	s_barrier
	s_and_saveexec_b64 s[0:1], s[90:91]
	s_cbranch_execz .LBB54_382
; %bb.381:
	v_mov_b32_e32 v26, 0
	ds_read_b64 v[26:27], v26 offset:16640
	s_waitcnt lgkmcnt(0)
	v_mul_f32_e32 v28, v12, v27
	v_mul_f32_e32 v29, v11, v27
	v_fma_f32 v11, v11, v26, -v28
	v_fmac_f32_e32 v29, v12, v26
	v_xor_b32_e32 v26, 0x80000000, v11
	v_xor_b32_e32 v27, 0x80000000, v29
	v_mov_b32_e32 v12, v29
	ds_write_b64 v25, v[26:27]
.LBB54_382:
	s_or_b64 exec, exec, s[0:1]
	s_waitcnt lgkmcnt(0)
	s_barrier
	s_barrier
	s_and_saveexec_b64 s[0:1], s[10:11]
; %bb.383:
	v_lshlrev_b32_e32 v26, 3, v23
	v_lshl_or_b32 v26, v24, 9, v26
	ds_write_b64 v26, v[11:12] offset:24832
; %bb.384:
	s_or_b64 exec, exec, s[0:1]
	v_cmp_gt_u32_e64 s[14:15], 16, v0
	s_and_b64 s[92:93], s[12:13], s[14:15]
	s_waitcnt lgkmcnt(0)
	s_barrier
	s_barrier
	s_and_saveexec_b64 s[0:1], s[92:93]
	s_cbranch_execz .LBB54_386
; %bb.385:
	v_lshlrev_b32_e32 v26, 9, v0
	ds_read_b64 v[11:12], v26 offset:24832
	s_movk_i32 s14, 0xfe08
	v_mad_i32_i24 v27, v0, s14, v26
	s_waitcnt lgkmcnt(0)
	ds_write_b64 v27, v[11:12] offset:16768
	ds_read_b64 v[11:12], v26 offset:24840
	s_waitcnt lgkmcnt(0)
	ds_write_b64 v27, v[11:12] offset:17280
	ds_read_b64 v[11:12], v26 offset:24848
	s_waitcnt lgkmcnt(0)
	ds_write_b64 v27, v[11:12] offset:17792
	ds_read_b64 v[11:12], v26 offset:24856
	s_waitcnt lgkmcnt(0)
	ds_write_b64 v27, v[11:12] offset:18304
	ds_read_b64 v[11:12], v26 offset:24864
	s_waitcnt lgkmcnt(0)
	ds_write_b64 v27, v[11:12] offset:18816
	ds_read_b64 v[11:12], v26 offset:24872
	s_waitcnt lgkmcnt(0)
	ds_write_b64 v27, v[11:12] offset:19328
	ds_read_b64 v[11:12], v26 offset:24880
	s_waitcnt lgkmcnt(0)
	ds_write_b64 v27, v[11:12] offset:19840
	ds_read_b64 v[11:12], v26 offset:24888
	s_waitcnt lgkmcnt(0)
	ds_write_b64 v27, v[11:12] offset:20352
	ds_read_b64 v[11:12], v26 offset:24896
	s_waitcnt lgkmcnt(0)
	ds_write_b64 v27, v[11:12] offset:20864
	ds_read_b64 v[11:12], v26 offset:24904
	s_waitcnt lgkmcnt(0)
	ds_write_b64 v27, v[11:12] offset:21376
	ds_read_b64 v[11:12], v26 offset:24912
	s_waitcnt lgkmcnt(0)
	ds_write_b64 v27, v[11:12] offset:21888
	ds_read_b64 v[11:12], v26 offset:24920
	s_waitcnt lgkmcnt(0)
	ds_write_b64 v27, v[11:12] offset:22400
	ds_read_b64 v[11:12], v26 offset:24928
	s_waitcnt lgkmcnt(0)
	ds_write_b64 v27, v[11:12] offset:22912
	ds_read_b64 v[11:12], v26 offset:24936
	s_waitcnt lgkmcnt(0)
	ds_write_b64 v27, v[11:12] offset:23424
	ds_read_b64 v[11:12], v26 offset:24944
	s_waitcnt lgkmcnt(0)
	ds_write_b64 v27, v[11:12] offset:23936
	ds_read_b64 v[11:12], v26 offset:24952
	s_waitcnt lgkmcnt(0)
	ds_write_b64 v27, v[11:12] offset:24448
.LBB54_386:
	s_or_b64 exec, exec, s[0:1]
	s_waitcnt lgkmcnt(0)
	s_barrier
	s_and_saveexec_b64 s[0:1], vcc
	s_cbranch_execz .LBB54_388
; %bb.387:
	s_movk_i32 s14, 0x170
	v_mov_b32_e32 v11, 0
	v_add_u32_e64 v26, s14, 0
	ds_read_b64 v[11:12], v11 offset:24440
	ds_read2st64_b64 v[26:29], v26 offset0:46 offset1:47
	s_movk_i32 s14, 0x5800
	s_waitcnt lgkmcnt(0)
	v_mul_f32_e32 v30, v12, v27
	v_mul_f32_e32 v27, v11, v27
	v_fma_f32 v30, v11, v26, -v30
	v_fmac_f32_e32 v27, v12, v26
	v_mul_f32_e32 v11, v27, v29
	v_mul_f32_e32 v12, v30, v29
	v_fma_f32 v11, v30, v28, -v11
	v_fmac_f32_e32 v12, v27, v28
	v_add_u32_e64 v26, s14, 0
	ds_write2_b64 v26, v[11:12], v[11:12] offset0:175 offset1:238
.LBB54_388:
	s_or_b64 exec, exec, s[0:1]
	v_mov_b32_e32 v11, 0
	v_mov_b32_e32 v12, 0
	s_waitcnt lgkmcnt(0)
	s_barrier
	buffer_wbinvl1_vol
	s_and_saveexec_b64 s[0:1], s[2:3]
	s_cbranch_execz .LBB54_392
; %bb.389:
	v_lshlrev_b32_e32 v11, 3, v13
	v_lshlrev_b32_e32 v26, 9, v14
	ds_read_b64 v[11:12], v11 offset:23904
	ds_read_b64 v[26:27], v26 offset:23920
	v_cmp_gt_u32_e64 s[14:15], 2, v16
	s_waitcnt lgkmcnt(0)
	v_mul_f32_e32 v28, v27, v12
	v_mul_f32_e32 v12, v26, v12
	v_fma_f32 v26, v26, v11, -v28
	v_fmac_f32_e32 v12, v27, v11
	v_add_f32_e32 v11, 0, v26
	v_add_f32_e32 v12, 0, v12
	s_and_saveexec_b64 s[16:17], s[14:15]
	s_cbranch_execz .LBB54_391
; %bb.390:
	v_lshlrev_b32_e32 v26, 3, v0
	v_mov_b32_e32 v28, 0
	ds_read_b64 v[26:27], v26 offset:24416
	ds_read_b64 v[28:29], v28 offset:24440
	s_waitcnt lgkmcnt(0)
	v_mul_f32_e32 v30, v29, v27
	v_mul_f32_e32 v27, v28, v27
	v_fma_f32 v28, v28, v26, -v30
	v_fmac_f32_e32 v27, v29, v26
	v_add_f32_e32 v11, v11, v28
	v_add_f32_e32 v12, v12, v27
.LBB54_391:
	s_or_b64 exec, exec, s[16:17]
.LBB54_392:
	s_or_b64 exec, exec, s[0:1]
	s_and_saveexec_b64 s[0:1], s[30:31]
	s_cbranch_execz .LBB54_394
; %bb.393:
	v_mov_b32_e32 v26, 0
	ds_read_b64 v[26:27], v26 offset:23400
	s_waitcnt lgkmcnt(0)
	v_mul_f32_e32 v28, v12, v27
	v_mul_f32_e32 v29, v11, v27
	v_fma_f32 v11, v11, v26, -v28
	v_fmac_f32_e32 v29, v12, v26
	v_xor_b32_e32 v26, 0x80000000, v11
	v_xor_b32_e32 v27, 0x80000000, v29
	v_mov_b32_e32 v12, v29
	ds_write_b64 v15, v[26:27]
.LBB54_394:
	s_or_b64 exec, exec, s[0:1]
	s_waitcnt lgkmcnt(0)
	s_barrier
	s_and_saveexec_b64 s[0:1], s[28:29]
	s_cbranch_execz .LBB54_396
; %bb.395:
	v_mov_b32_e32 v26, 0
	ds_read_b64 v[26:27], v26 offset:23392
	ds_read_b64 v[28:29], v15
	s_waitcnt lgkmcnt(0)
	v_mul_f32_e32 v30, v29, v27
	v_mul_f32_e32 v27, v28, v27
	v_fma_f32 v28, v28, v26, -v30
	v_fmac_f32_e32 v27, v29, v26
	v_sub_f32_e32 v11, v11, v28
	v_sub_f32_e32 v12, v12, v27
.LBB54_396:
	s_or_b64 exec, exec, s[0:1]
	s_barrier
	s_and_saveexec_b64 s[0:1], s[28:29]
	s_cbranch_execz .LBB54_398
; %bb.397:
	v_mov_b32_e32 v26, 0
	ds_read_b64 v[26:27], v26 offset:22880
	s_waitcnt lgkmcnt(0)
	v_mul_f32_e32 v28, v12, v27
	v_mul_f32_e32 v29, v11, v27
	v_fma_f32 v11, v11, v26, -v28
	v_fmac_f32_e32 v29, v12, v26
	v_xor_b32_e32 v26, 0x80000000, v11
	v_xor_b32_e32 v27, 0x80000000, v29
	v_mov_b32_e32 v12, v29
	ds_write_b64 v15, v[26:27]
.LBB54_398:
	s_or_b64 exec, exec, s[0:1]
	s_waitcnt lgkmcnt(0)
	s_barrier
	s_barrier
	s_and_saveexec_b64 s[0:1], s[2:3]
; %bb.399:
	v_lshlrev_b32_e32 v26, 3, v13
	v_lshl_or_b32 v26, v14, 9, v26
	ds_write_b64 v26, v[11:12] offset:23904
; %bb.400:
	s_or_b64 exec, exec, s[0:1]
	s_waitcnt lgkmcnt(0)
	s_barrier
	s_barrier
	s_and_saveexec_b64 s[0:1], s[34:35]
	s_cbranch_execz .LBB54_402
; %bb.401:
	v_lshlrev_b32_e32 v26, 3, v0
	s_movk_i32 s14, 0x1f8
	v_mad_u32_u24 v27, v0, s14, v26
	ds_read_b64 v[11:12], v27 offset:23904
	s_waitcnt lgkmcnt(0)
	ds_write_b64 v26, v[11:12] offset:22896
	ds_read_b64 v[11:12], v27 offset:23912
	s_waitcnt lgkmcnt(0)
	ds_write_b64 v26, v[11:12] offset:23408
.LBB54_402:
	s_or_b64 exec, exec, s[0:1]
	s_waitcnt lgkmcnt(0)
	s_barrier
	s_and_saveexec_b64 s[0:1], vcc
	s_cbranch_execz .LBB54_404
; %bb.403:
	s_movk_i32 s14, 0x160
	v_mov_b32_e32 v11, 0
	v_add_u32_e64 v26, s14, 0
	ds_read_b64 v[11:12], v11 offset:23400
	ds_read2st64_b64 v[26:29], v26 offset0:44 offset1:45
	s_movk_i32 s14, 0x5800
	s_waitcnt lgkmcnt(0)
	v_mul_f32_e32 v30, v12, v27
	v_mul_f32_e32 v27, v11, v27
	v_fma_f32 v30, v11, v26, -v30
	v_fmac_f32_e32 v27, v12, v26
	v_mul_f32_e32 v11, v27, v29
	v_mul_f32_e32 v12, v30, v29
	v_fma_f32 v11, v30, v28, -v11
	v_fmac_f32_e32 v12, v27, v28
	v_add_u32_e64 v26, s14, 0
	ds_write2_b64 v26, v[11:12], v[11:12] offset0:45 offset1:108
.LBB54_404:
	s_or_b64 exec, exec, s[0:1]
	v_mov_b32_e32 v12, 0
	v_mov_b32_e32 v11, 0
	s_waitcnt lgkmcnt(0)
	s_barrier
	buffer_wbinvl1_vol
	s_and_saveexec_b64 s[0:1], s[18:19]
	s_cbranch_execz .LBB54_410
; %bb.405:
	v_lshlrev_b32_e32 v26, 3, v17
	v_lshlrev_b32_e32 v27, 9, v18
	ds_read_b64 v[11:12], v26 offset:22848
	ds_read_b64 v[28:29], v27 offset:22880
	v_cmp_gt_u32_e64 s[14:15], 12, v16
	s_waitcnt lgkmcnt(0)
	v_mul_f32_e32 v30, v29, v12
	v_mul_f32_e32 v12, v28, v12
	v_fma_f32 v28, v28, v11, -v30
	v_fmac_f32_e32 v12, v29, v11
	v_add_f32_e32 v11, 0, v28
	v_add_f32_e32 v12, 0, v12
	s_and_saveexec_b64 s[16:17], s[14:15]
	s_cbranch_execnz .LBB54_1139
; %bb.406:
	s_or_b64 exec, exec, s[16:17]
	v_cmp_gt_u32_e64 s[14:15], 8, v16
	s_and_saveexec_b64 s[16:17], s[14:15]
	s_cbranch_execnz .LBB54_1140
.LBB54_407:
	s_or_b64 exec, exec, s[16:17]
	v_cmp_gt_u32_e64 s[14:15], 4, v16
	s_and_saveexec_b64 s[16:17], s[14:15]
	s_cbranch_execz .LBB54_409
.LBB54_408:
	v_lshlrev_b32_e32 v26, 3, v0
	v_mov_b32_e32 v28, 0
	ds_read_b64 v[26:27], v26 offset:24384
	ds_read_b64 v[28:29], v28 offset:24440
	s_waitcnt lgkmcnt(0)
	v_mul_f32_e32 v30, v29, v27
	v_mul_f32_e32 v27, v28, v27
	v_fma_f32 v28, v28, v26, -v30
	v_fmac_f32_e32 v27, v29, v26
	v_add_f32_e32 v11, v11, v28
	v_add_f32_e32 v12, v12, v27
.LBB54_409:
	s_or_b64 exec, exec, s[16:17]
.LBB54_410:
	s_or_b64 exec, exec, s[0:1]
	s_and_saveexec_b64 s[0:1], s[38:39]
	s_cbranch_execz .LBB54_412
; %bb.411:
	v_mov_b32_e32 v26, 0
	ds_read_b64 v[26:27], v26 offset:22360
	s_waitcnt lgkmcnt(0)
	v_mul_f32_e32 v28, v12, v27
	v_mul_f32_e32 v29, v11, v27
	v_fma_f32 v11, v11, v26, -v28
	v_fmac_f32_e32 v29, v12, v26
	v_xor_b32_e32 v26, 0x80000000, v11
	v_xor_b32_e32 v27, 0x80000000, v29
	v_mov_b32_e32 v12, v29
	ds_write_b64 v19, v[26:27]
.LBB54_412:
	s_or_b64 exec, exec, s[0:1]
	s_waitcnt lgkmcnt(0)
	s_barrier
	s_and_saveexec_b64 s[0:1], s[42:43]
	s_cbranch_execz .LBB54_414
; %bb.413:
	v_lshlrev_b32_e32 v26, 3, v17
	ds_read_b64 v[26:27], v26 offset:22336
	ds_read_b64 v[28:29], v19
	s_waitcnt lgkmcnt(0)
	v_mul_f32_e32 v30, v29, v27
	v_mul_f32_e32 v27, v28, v27
	v_fma_f32 v28, v28, v26, -v30
	v_fmac_f32_e32 v27, v29, v26
	v_sub_f32_e32 v11, v11, v28
	v_sub_f32_e32 v12, v12, v27
.LBB54_414:
	s_or_b64 exec, exec, s[0:1]
	s_barrier
	s_and_saveexec_b64 s[0:1], s[44:45]
	s_cbranch_execz .LBB54_416
; %bb.415:
	v_mov_b32_e32 v26, 0
	ds_read_b64 v[26:27], v26 offset:21840
	s_waitcnt lgkmcnt(0)
	v_mul_f32_e32 v28, v12, v27
	v_mul_f32_e32 v29, v11, v27
	v_fma_f32 v11, v11, v26, -v28
	v_fmac_f32_e32 v29, v12, v26
	v_xor_b32_e32 v26, 0x80000000, v11
	v_xor_b32_e32 v27, 0x80000000, v29
	v_mov_b32_e32 v12, v29
	ds_write_b64 v19, v[26:27]
.LBB54_416:
	s_or_b64 exec, exec, s[0:1]
	s_waitcnt lgkmcnt(0)
	s_barrier
	s_and_saveexec_b64 s[0:1], s[52:53]
	s_cbranch_execz .LBB54_418
; %bb.417:
	v_lshlrev_b32_e32 v26, 3, v17
	ds_read_b64 v[26:27], v26 offset:21824
	ds_read_b64 v[28:29], v19
	s_waitcnt lgkmcnt(0)
	v_mul_f32_e32 v30, v29, v27
	v_mul_f32_e32 v27, v28, v27
	v_fma_f32 v28, v28, v26, -v30
	v_fmac_f32_e32 v27, v29, v26
	v_sub_f32_e32 v11, v11, v28
	v_sub_f32_e32 v12, v12, v27
.LBB54_418:
	s_or_b64 exec, exec, s[0:1]
	s_barrier
	s_and_saveexec_b64 s[0:1], s[54:55]
	s_cbranch_execz .LBB54_420
; %bb.419:
	v_mov_b32_e32 v26, 0
	ds_read_b64 v[26:27], v26 offset:21320
	s_waitcnt lgkmcnt(0)
	v_mul_f32_e32 v28, v12, v27
	v_mul_f32_e32 v29, v11, v27
	v_fma_f32 v11, v11, v26, -v28
	v_fmac_f32_e32 v29, v12, v26
	v_xor_b32_e32 v26, 0x80000000, v11
	v_xor_b32_e32 v27, 0x80000000, v29
	v_mov_b32_e32 v12, v29
	ds_write_b64 v19, v[26:27]
.LBB54_420:
	s_or_b64 exec, exec, s[0:1]
	s_waitcnt lgkmcnt(0)
	s_barrier
	s_and_saveexec_b64 s[0:1], s[36:37]
	s_cbranch_execz .LBB54_422
; %bb.421:
	v_mov_b32_e32 v26, 0
	ds_read_b64 v[26:27], v26 offset:21312
	ds_read_b64 v[28:29], v19
	s_waitcnt lgkmcnt(0)
	v_mul_f32_e32 v30, v29, v27
	v_mul_f32_e32 v27, v28, v27
	v_fma_f32 v28, v28, v26, -v30
	v_fmac_f32_e32 v27, v29, v26
	v_sub_f32_e32 v11, v11, v28
	v_sub_f32_e32 v12, v12, v27
.LBB54_422:
	s_or_b64 exec, exec, s[0:1]
	s_barrier
	s_and_saveexec_b64 s[0:1], s[36:37]
	s_cbranch_execz .LBB54_424
; %bb.423:
	v_mov_b32_e32 v26, 0
	ds_read_b64 v[26:27], v26 offset:20800
	s_waitcnt lgkmcnt(0)
	v_mul_f32_e32 v28, v12, v27
	v_mul_f32_e32 v29, v11, v27
	v_fma_f32 v11, v11, v26, -v28
	v_fmac_f32_e32 v29, v12, v26
	v_xor_b32_e32 v26, 0x80000000, v11
	v_xor_b32_e32 v27, 0x80000000, v29
	v_mov_b32_e32 v12, v29
	ds_write_b64 v19, v[26:27]
.LBB54_424:
	s_or_b64 exec, exec, s[0:1]
	s_waitcnt lgkmcnt(0)
	s_barrier
	s_barrier
	s_and_saveexec_b64 s[0:1], s[18:19]
; %bb.425:
	v_lshlrev_b32_e32 v26, 3, v17
	v_lshl_or_b32 v26, v18, 9, v26
	ds_write_b64 v26, v[11:12] offset:22848
; %bb.426:
	s_or_b64 exec, exec, s[0:1]
	s_waitcnt lgkmcnt(0)
	s_barrier
	s_barrier
	s_and_saveexec_b64 s[0:1], s[56:57]
	s_cbranch_execz .LBB54_428
; %bb.427:
	v_lshlrev_b32_e32 v26, 9, v0
	ds_read_b64 v[11:12], v26 offset:22848
	s_movk_i32 s14, 0xfe08
	v_mad_i32_i24 v27, v0, s14, v26
	s_waitcnt lgkmcnt(0)
	ds_write_b64 v27, v[11:12] offset:20832
	ds_read_b64 v[11:12], v26 offset:22856
	s_waitcnt lgkmcnt(0)
	ds_write_b64 v27, v[11:12] offset:21344
	ds_read_b64 v[11:12], v26 offset:22864
	;; [unrolled: 3-line block ×3, first 2 shown]
	s_waitcnt lgkmcnt(0)
	ds_write_b64 v27, v[11:12] offset:22368
.LBB54_428:
	s_or_b64 exec, exec, s[0:1]
	s_waitcnt lgkmcnt(0)
	s_barrier
	s_and_saveexec_b64 s[0:1], vcc
	s_cbranch_execz .LBB54_430
; %bb.429:
	s_movk_i32 s14, 0x150
	v_mov_b32_e32 v11, 0
	v_add_u32_e64 v26, s14, 0
	ds_read_b64 v[11:12], v11 offset:22360
	ds_read2st64_b64 v[26:29], v26 offset0:42 offset1:43
	s_movk_i32 s14, 0x5000
	s_waitcnt lgkmcnt(0)
	v_mul_f32_e32 v30, v12, v27
	v_mul_f32_e32 v27, v11, v27
	v_fma_f32 v30, v11, v26, -v30
	v_fmac_f32_e32 v27, v12, v26
	v_mul_f32_e32 v11, v27, v29
	v_mul_f32_e32 v12, v30, v29
	v_fma_f32 v11, v30, v28, -v11
	v_fmac_f32_e32 v12, v27, v28
	v_add_u32_e64 v26, s14, 0
	ds_write2_b64 v26, v[11:12], v[11:12] offset0:171 offset1:234
.LBB54_430:
	s_or_b64 exec, exec, s[0:1]
	v_mov_b32_e32 v11, 0
	v_mov_b32_e32 v12, 0
	s_waitcnt lgkmcnt(0)
	s_barrier
	buffer_wbinvl1_vol
	s_and_saveexec_b64 s[0:1], s[2:3]
	s_cbranch_execz .LBB54_434
; %bb.431:
	v_lshlrev_b32_e32 v11, 3, v13
	v_lshlrev_b32_e32 v26, 9, v14
	ds_read_b64 v[11:12], v11 offset:21824
	ds_read_b64 v[26:27], v26 offset:21840
	v_cmp_gt_u32_e64 s[14:15], 2, v16
	s_waitcnt lgkmcnt(0)
	v_mul_f32_e32 v28, v27, v12
	v_mul_f32_e32 v12, v26, v12
	v_fma_f32 v26, v26, v11, -v28
	v_fmac_f32_e32 v12, v27, v11
	v_add_f32_e32 v11, 0, v26
	v_add_f32_e32 v12, 0, v12
	s_and_saveexec_b64 s[16:17], s[14:15]
	s_cbranch_execz .LBB54_433
; %bb.432:
	v_lshlrev_b32_e32 v26, 3, v0
	v_mov_b32_e32 v28, 0
	ds_read_b64 v[26:27], v26 offset:22336
	ds_read_b64 v[28:29], v28 offset:22360
	s_waitcnt lgkmcnt(0)
	v_mul_f32_e32 v30, v29, v27
	v_mul_f32_e32 v27, v28, v27
	v_fma_f32 v28, v28, v26, -v30
	v_fmac_f32_e32 v27, v29, v26
	v_add_f32_e32 v11, v11, v28
	v_add_f32_e32 v12, v12, v27
.LBB54_433:
	s_or_b64 exec, exec, s[16:17]
.LBB54_434:
	s_or_b64 exec, exec, s[0:1]
	s_and_saveexec_b64 s[0:1], s[30:31]
	s_cbranch_execz .LBB54_436
; %bb.435:
	v_mov_b32_e32 v26, 0
	ds_read_b64 v[26:27], v26 offset:21320
	s_waitcnt lgkmcnt(0)
	v_mul_f32_e32 v28, v12, v27
	v_mul_f32_e32 v29, v11, v27
	v_fma_f32 v11, v11, v26, -v28
	v_fmac_f32_e32 v29, v12, v26
	v_xor_b32_e32 v26, 0x80000000, v11
	v_xor_b32_e32 v27, 0x80000000, v29
	v_mov_b32_e32 v12, v29
	ds_write_b64 v15, v[26:27]
.LBB54_436:
	s_or_b64 exec, exec, s[0:1]
	s_waitcnt lgkmcnt(0)
	s_barrier
	s_and_saveexec_b64 s[0:1], s[28:29]
	s_cbranch_execz .LBB54_438
; %bb.437:
	v_mov_b32_e32 v26, 0
	ds_read_b64 v[26:27], v26 offset:21312
	ds_read_b64 v[28:29], v15
	s_waitcnt lgkmcnt(0)
	v_mul_f32_e32 v30, v29, v27
	v_mul_f32_e32 v27, v28, v27
	v_fma_f32 v28, v28, v26, -v30
	v_fmac_f32_e32 v27, v29, v26
	v_sub_f32_e32 v11, v11, v28
	v_sub_f32_e32 v12, v12, v27
.LBB54_438:
	s_or_b64 exec, exec, s[0:1]
	s_barrier
	s_and_saveexec_b64 s[0:1], s[28:29]
	s_cbranch_execz .LBB54_440
; %bb.439:
	v_mov_b32_e32 v26, 0
	ds_read_b64 v[26:27], v26 offset:20800
	s_waitcnt lgkmcnt(0)
	v_mul_f32_e32 v28, v12, v27
	v_mul_f32_e32 v29, v11, v27
	v_fma_f32 v11, v11, v26, -v28
	v_fmac_f32_e32 v29, v12, v26
	v_xor_b32_e32 v26, 0x80000000, v11
	v_xor_b32_e32 v27, 0x80000000, v29
	v_mov_b32_e32 v12, v29
	ds_write_b64 v15, v[26:27]
.LBB54_440:
	s_or_b64 exec, exec, s[0:1]
	s_waitcnt lgkmcnt(0)
	s_barrier
	s_barrier
	s_and_saveexec_b64 s[0:1], s[2:3]
; %bb.441:
	v_lshlrev_b32_e32 v26, 3, v13
	v_lshl_or_b32 v26, v14, 9, v26
	ds_write_b64 v26, v[11:12] offset:21824
; %bb.442:
	s_or_b64 exec, exec, s[0:1]
	s_waitcnt lgkmcnt(0)
	s_barrier
	s_barrier
	s_and_saveexec_b64 s[0:1], s[34:35]
	s_cbranch_execz .LBB54_444
; %bb.443:
	v_lshlrev_b32_e32 v26, 3, v0
	s_movk_i32 s14, 0x1f8
	v_mad_u32_u24 v27, v0, s14, v26
	ds_read_b64 v[11:12], v27 offset:21824
	s_waitcnt lgkmcnt(0)
	ds_write_b64 v26, v[11:12] offset:20816
	ds_read_b64 v[11:12], v27 offset:21832
	s_waitcnt lgkmcnt(0)
	ds_write_b64 v26, v[11:12] offset:21328
.LBB54_444:
	s_or_b64 exec, exec, s[0:1]
	s_waitcnt lgkmcnt(0)
	s_barrier
	s_and_saveexec_b64 s[0:1], vcc
	s_cbranch_execz .LBB54_446
; %bb.445:
	s_movk_i32 s14, 0x140
	v_mov_b32_e32 v11, 0
	v_add_u32_e64 v26, s14, 0
	ds_read_b64 v[11:12], v11 offset:21320
	ds_read2st64_b64 v[26:29], v26 offset0:40 offset1:41
	s_movk_i32 s14, 0x5000
	s_waitcnt lgkmcnt(0)
	v_mul_f32_e32 v30, v12, v27
	v_mul_f32_e32 v27, v11, v27
	v_fma_f32 v30, v11, v26, -v30
	v_fmac_f32_e32 v27, v12, v26
	v_mul_f32_e32 v11, v27, v29
	v_mul_f32_e32 v12, v30, v29
	v_fma_f32 v11, v30, v28, -v11
	v_fmac_f32_e32 v12, v27, v28
	v_add_u32_e64 v26, s14, 0
	ds_write2_b64 v26, v[11:12], v[11:12] offset0:41 offset1:104
.LBB54_446:
	s_or_b64 exec, exec, s[0:1]
	v_mov_b32_e32 v12, 0
	v_mov_b32_e32 v11, 0
	s_waitcnt lgkmcnt(0)
	s_barrier
	buffer_wbinvl1_vol
	s_and_saveexec_b64 s[0:1], s[8:9]
	s_cbranch_execz .LBB54_456
; %bb.447:
	v_lshlrev_b32_e32 v26, 3, v20
	v_lshlrev_b32_e32 v27, 9, v21
	ds_read_b64 v[11:12], v26 offset:20736
	ds_read_b64 v[28:29], v27 offset:20800
	v_cmp_gt_u32_e64 s[14:15], 56, v16
	s_waitcnt lgkmcnt(0)
	v_mul_f32_e32 v30, v29, v12
	v_mul_f32_e32 v12, v28, v12
	v_fma_f32 v28, v28, v11, -v30
	v_fmac_f32_e32 v12, v29, v11
	v_add_f32_e32 v11, 0, v28
	v_add_f32_e32 v12, 0, v12
	s_and_saveexec_b64 s[16:17], s[14:15]
	s_cbranch_execnz .LBB54_1141
; %bb.448:
	s_or_b64 exec, exec, s[16:17]
	v_cmp_gt_u32_e64 s[14:15], 48, v16
	s_and_saveexec_b64 s[16:17], s[14:15]
	s_cbranch_execnz .LBB54_1142
.LBB54_449:
	s_or_b64 exec, exec, s[16:17]
	v_cmp_gt_u32_e64 s[14:15], 40, v16
	s_and_saveexec_b64 s[16:17], s[14:15]
	s_cbranch_execnz .LBB54_1143
.LBB54_450:
	s_or_b64 exec, exec, s[16:17]
	v_cmp_gt_u32_e64 s[14:15], 32, v16
	s_and_saveexec_b64 s[16:17], s[14:15]
	s_cbranch_execnz .LBB54_1144
.LBB54_451:
	s_or_b64 exec, exec, s[16:17]
	v_cmp_gt_u32_e64 s[14:15], 24, v16
	s_and_saveexec_b64 s[16:17], s[14:15]
	s_cbranch_execnz .LBB54_1145
.LBB54_452:
	s_or_b64 exec, exec, s[16:17]
	s_and_saveexec_b64 s[14:15], s[18:19]
	s_cbranch_execnz .LBB54_1146
.LBB54_453:
	s_or_b64 exec, exec, s[14:15]
	v_cmp_gt_u32_e64 s[14:15], 8, v16
	s_and_saveexec_b64 s[16:17], s[14:15]
	s_cbranch_execz .LBB54_455
.LBB54_454:
	v_lshlrev_b32_e32 v26, 3, v0
	v_mov_b32_e32 v28, 0
	ds_read_b64 v[26:27], v26 offset:24320
	ds_read_b64 v[28:29], v28 offset:24440
	s_waitcnt lgkmcnt(0)
	v_mul_f32_e32 v30, v29, v27
	v_mul_f32_e32 v27, v28, v27
	v_fma_f32 v28, v28, v26, -v30
	v_fmac_f32_e32 v27, v29, v26
	v_add_f32_e32 v11, v11, v28
	v_add_f32_e32 v12, v12, v27
.LBB54_455:
	s_or_b64 exec, exec, s[16:17]
.LBB54_456:
	s_or_b64 exec, exec, s[0:1]
	s_and_saveexec_b64 s[0:1], s[60:61]
	s_cbranch_execz .LBB54_458
; %bb.457:
	v_mov_b32_e32 v26, 0
	ds_read_b64 v[26:27], v26 offset:20280
	s_waitcnt lgkmcnt(0)
	v_mul_f32_e32 v28, v12, v27
	v_mul_f32_e32 v29, v11, v27
	v_fma_f32 v11, v11, v26, -v28
	v_fmac_f32_e32 v29, v12, v26
	v_xor_b32_e32 v26, 0x80000000, v11
	v_xor_b32_e32 v27, 0x80000000, v29
	v_mov_b32_e32 v12, v29
	ds_write_b64 v22, v[26:27]
.LBB54_458:
	s_or_b64 exec, exec, s[0:1]
	s_waitcnt lgkmcnt(0)
	s_barrier
	s_and_saveexec_b64 s[0:1], s[62:63]
	s_cbranch_execz .LBB54_460
; %bb.459:
	v_lshlrev_b32_e32 v26, 3, v20
	ds_read_b64 v[26:27], v26 offset:20224
	ds_read_b64 v[28:29], v22
	s_waitcnt lgkmcnt(0)
	v_mul_f32_e32 v30, v29, v27
	v_mul_f32_e32 v27, v28, v27
	v_fma_f32 v28, v28, v26, -v30
	v_fmac_f32_e32 v27, v29, v26
	v_sub_f32_e32 v11, v11, v28
	v_sub_f32_e32 v12, v12, v27
.LBB54_460:
	s_or_b64 exec, exec, s[0:1]
	s_barrier
	s_and_saveexec_b64 s[0:1], s[64:65]
	s_cbranch_execz .LBB54_462
; %bb.461:
	v_mov_b32_e32 v26, 0
	ds_read_b64 v[26:27], v26 offset:19760
	s_waitcnt lgkmcnt(0)
	v_mul_f32_e32 v28, v12, v27
	v_mul_f32_e32 v29, v11, v27
	v_fma_f32 v11, v11, v26, -v28
	v_fmac_f32_e32 v29, v12, v26
	v_xor_b32_e32 v26, 0x80000000, v11
	v_xor_b32_e32 v27, 0x80000000, v29
	v_mov_b32_e32 v12, v29
	ds_write_b64 v22, v[26:27]
.LBB54_462:
	s_or_b64 exec, exec, s[0:1]
	s_waitcnt lgkmcnt(0)
	s_barrier
	s_and_saveexec_b64 s[0:1], s[66:67]
	s_cbranch_execz .LBB54_464
; %bb.463:
	v_lshlrev_b32_e32 v26, 3, v20
	ds_read_b64 v[26:27], v26 offset:19712
	ds_read_b64 v[28:29], v22
	s_waitcnt lgkmcnt(0)
	v_mul_f32_e32 v30, v29, v27
	v_mul_f32_e32 v27, v28, v27
	v_fma_f32 v28, v28, v26, -v30
	v_fmac_f32_e32 v27, v29, v26
	v_sub_f32_e32 v11, v11, v28
	v_sub_f32_e32 v12, v12, v27
.LBB54_464:
	s_or_b64 exec, exec, s[0:1]
	s_barrier
	;; [unrolled: 34-line block ×6, first 2 shown]
	s_and_saveexec_b64 s[0:1], s[84:85]
	s_cbranch_execz .LBB54_482
; %bb.481:
	v_mov_b32_e32 v26, 0
	ds_read_b64 v[26:27], v26 offset:17160
	s_waitcnt lgkmcnt(0)
	v_mul_f32_e32 v28, v12, v27
	v_mul_f32_e32 v29, v11, v27
	v_fma_f32 v11, v11, v26, -v28
	v_fmac_f32_e32 v29, v12, v26
	v_xor_b32_e32 v26, 0x80000000, v11
	v_xor_b32_e32 v27, 0x80000000, v29
	v_mov_b32_e32 v12, v29
	ds_write_b64 v22, v[26:27]
.LBB54_482:
	s_or_b64 exec, exec, s[0:1]
	s_waitcnt lgkmcnt(0)
	s_barrier
	s_and_saveexec_b64 s[0:1], s[58:59]
	s_cbranch_execz .LBB54_484
; %bb.483:
	v_mov_b32_e32 v26, 0
	ds_read_b64 v[26:27], v26 offset:17152
	ds_read_b64 v[28:29], v22
	s_waitcnt lgkmcnt(0)
	v_mul_f32_e32 v30, v29, v27
	v_mul_f32_e32 v27, v28, v27
	v_fma_f32 v28, v28, v26, -v30
	v_fmac_f32_e32 v27, v29, v26
	v_sub_f32_e32 v11, v11, v28
	v_sub_f32_e32 v12, v12, v27
.LBB54_484:
	s_or_b64 exec, exec, s[0:1]
	s_barrier
	s_and_saveexec_b64 s[0:1], s[58:59]
	s_cbranch_execz .LBB54_486
; %bb.485:
	v_mov_b32_e32 v26, 0
	ds_read_b64 v[26:27], v26 offset:16640
	s_waitcnt lgkmcnt(0)
	v_mul_f32_e32 v28, v12, v27
	v_mul_f32_e32 v29, v11, v27
	v_fma_f32 v11, v11, v26, -v28
	v_fmac_f32_e32 v29, v12, v26
	v_xor_b32_e32 v26, 0x80000000, v11
	v_xor_b32_e32 v27, 0x80000000, v29
	v_mov_b32_e32 v12, v29
	ds_write_b64 v22, v[26:27]
.LBB54_486:
	s_or_b64 exec, exec, s[0:1]
	s_waitcnt lgkmcnt(0)
	s_barrier
	s_barrier
	s_and_saveexec_b64 s[0:1], s[8:9]
; %bb.487:
	v_lshlrev_b32_e32 v26, 3, v20
	v_lshl_or_b32 v26, v21, 9, v26
	ds_write_b64 v26, v[11:12] offset:20736
; %bb.488:
	s_or_b64 exec, exec, s[0:1]
	s_waitcnt lgkmcnt(0)
	s_barrier
	s_barrier
	s_and_saveexec_b64 s[0:1], s[86:87]
	s_cbranch_execz .LBB54_490
; %bb.489:
	v_lshlrev_b32_e32 v26, 9, v0
	ds_read_b64 v[11:12], v26 offset:20736
	s_movk_i32 s14, 0xfe08
	v_mad_i32_i24 v27, v0, s14, v26
	s_waitcnt lgkmcnt(0)
	ds_write_b64 v27, v[11:12] offset:16704
	ds_read_b64 v[11:12], v26 offset:20744
	s_waitcnt lgkmcnt(0)
	ds_write_b64 v27, v[11:12] offset:17216
	ds_read_b64 v[11:12], v26 offset:20752
	;; [unrolled: 3-line block ×7, first 2 shown]
	s_waitcnt lgkmcnt(0)
	ds_write_b64 v27, v[11:12] offset:20288
.LBB54_490:
	s_or_b64 exec, exec, s[0:1]
	s_waitcnt lgkmcnt(0)
	s_barrier
	s_and_saveexec_b64 s[0:1], vcc
	s_cbranch_execz .LBB54_492
; %bb.491:
	s_movk_i32 s14, 0x130
	v_mov_b32_e32 v11, 0
	v_add_u32_e64 v26, s14, 0
	ds_read_b64 v[11:12], v11 offset:20280
	ds_read2st64_b64 v[26:29], v26 offset0:38 offset1:39
	s_movk_i32 s14, 0x4800
	s_waitcnt lgkmcnt(0)
	v_mul_f32_e32 v30, v12, v27
	v_mul_f32_e32 v27, v11, v27
	v_fma_f32 v30, v11, v26, -v30
	v_fmac_f32_e32 v27, v12, v26
	v_mul_f32_e32 v11, v27, v29
	v_mul_f32_e32 v12, v30, v29
	v_fma_f32 v11, v30, v28, -v11
	v_fmac_f32_e32 v12, v27, v28
	v_add_u32_e64 v26, s14, 0
	ds_write2_b64 v26, v[11:12], v[11:12] offset0:167 offset1:230
.LBB54_492:
	s_or_b64 exec, exec, s[0:1]
	v_mov_b32_e32 v11, 0
	v_mov_b32_e32 v12, 0
	s_waitcnt lgkmcnt(0)
	s_barrier
	buffer_wbinvl1_vol
	s_and_saveexec_b64 s[0:1], s[2:3]
	s_cbranch_execz .LBB54_496
; %bb.493:
	v_lshlrev_b32_e32 v11, 3, v13
	v_lshlrev_b32_e32 v26, 9, v14
	ds_read_b64 v[11:12], v11 offset:19744
	ds_read_b64 v[26:27], v26 offset:19760
	v_cmp_gt_u32_e64 s[14:15], 2, v16
	s_waitcnt lgkmcnt(0)
	v_mul_f32_e32 v28, v27, v12
	v_mul_f32_e32 v12, v26, v12
	v_fma_f32 v26, v26, v11, -v28
	v_fmac_f32_e32 v12, v27, v11
	v_add_f32_e32 v11, 0, v26
	v_add_f32_e32 v12, 0, v12
	s_and_saveexec_b64 s[16:17], s[14:15]
	s_cbranch_execz .LBB54_495
; %bb.494:
	v_lshlrev_b32_e32 v26, 3, v0
	v_mov_b32_e32 v28, 0
	ds_read_b64 v[26:27], v26 offset:20256
	ds_read_b64 v[28:29], v28 offset:20280
	s_waitcnt lgkmcnt(0)
	v_mul_f32_e32 v30, v29, v27
	v_mul_f32_e32 v27, v28, v27
	v_fma_f32 v28, v28, v26, -v30
	v_fmac_f32_e32 v27, v29, v26
	v_add_f32_e32 v11, v11, v28
	v_add_f32_e32 v12, v12, v27
.LBB54_495:
	s_or_b64 exec, exec, s[16:17]
.LBB54_496:
	s_or_b64 exec, exec, s[0:1]
	s_and_saveexec_b64 s[0:1], s[30:31]
	s_cbranch_execz .LBB54_498
; %bb.497:
	v_mov_b32_e32 v26, 0
	ds_read_b64 v[26:27], v26 offset:19240
	s_waitcnt lgkmcnt(0)
	v_mul_f32_e32 v28, v12, v27
	v_mul_f32_e32 v29, v11, v27
	v_fma_f32 v11, v11, v26, -v28
	v_fmac_f32_e32 v29, v12, v26
	v_xor_b32_e32 v26, 0x80000000, v11
	v_xor_b32_e32 v27, 0x80000000, v29
	v_mov_b32_e32 v12, v29
	ds_write_b64 v15, v[26:27]
.LBB54_498:
	s_or_b64 exec, exec, s[0:1]
	s_waitcnt lgkmcnt(0)
	s_barrier
	s_and_saveexec_b64 s[0:1], s[28:29]
	s_cbranch_execz .LBB54_500
; %bb.499:
	v_mov_b32_e32 v26, 0
	ds_read_b64 v[26:27], v26 offset:19232
	ds_read_b64 v[28:29], v15
	s_waitcnt lgkmcnt(0)
	v_mul_f32_e32 v30, v29, v27
	v_mul_f32_e32 v27, v28, v27
	v_fma_f32 v28, v28, v26, -v30
	v_fmac_f32_e32 v27, v29, v26
	v_sub_f32_e32 v11, v11, v28
	v_sub_f32_e32 v12, v12, v27
.LBB54_500:
	s_or_b64 exec, exec, s[0:1]
	s_barrier
	s_and_saveexec_b64 s[0:1], s[28:29]
	s_cbranch_execz .LBB54_502
; %bb.501:
	v_mov_b32_e32 v26, 0
	ds_read_b64 v[26:27], v26 offset:18720
	s_waitcnt lgkmcnt(0)
	v_mul_f32_e32 v28, v12, v27
	v_mul_f32_e32 v29, v11, v27
	v_fma_f32 v11, v11, v26, -v28
	v_fmac_f32_e32 v29, v12, v26
	v_xor_b32_e32 v26, 0x80000000, v11
	v_xor_b32_e32 v27, 0x80000000, v29
	v_mov_b32_e32 v12, v29
	ds_write_b64 v15, v[26:27]
.LBB54_502:
	s_or_b64 exec, exec, s[0:1]
	s_waitcnt lgkmcnt(0)
	s_barrier
	s_barrier
	s_and_saveexec_b64 s[0:1], s[2:3]
; %bb.503:
	v_lshlrev_b32_e32 v26, 3, v13
	v_lshl_or_b32 v26, v14, 9, v26
	ds_write_b64 v26, v[11:12] offset:19744
; %bb.504:
	s_or_b64 exec, exec, s[0:1]
	s_waitcnt lgkmcnt(0)
	s_barrier
	s_barrier
	s_and_saveexec_b64 s[0:1], s[34:35]
	s_cbranch_execz .LBB54_506
; %bb.505:
	v_lshlrev_b32_e32 v26, 3, v0
	s_movk_i32 s14, 0x1f8
	v_mad_u32_u24 v27, v0, s14, v26
	ds_read_b64 v[11:12], v27 offset:19744
	s_waitcnt lgkmcnt(0)
	ds_write_b64 v26, v[11:12] offset:18736
	ds_read_b64 v[11:12], v27 offset:19752
	s_waitcnt lgkmcnt(0)
	ds_write_b64 v26, v[11:12] offset:19248
.LBB54_506:
	s_or_b64 exec, exec, s[0:1]
	s_waitcnt lgkmcnt(0)
	s_barrier
	s_and_saveexec_b64 s[0:1], vcc
	s_cbranch_execz .LBB54_508
; %bb.507:
	s_movk_i32 s14, 0x120
	v_mov_b32_e32 v11, 0
	v_add_u32_e64 v26, s14, 0
	ds_read_b64 v[11:12], v11 offset:19240
	ds_read2st64_b64 v[26:29], v26 offset0:36 offset1:37
	s_movk_i32 s14, 0x4800
	s_waitcnt lgkmcnt(0)
	v_mul_f32_e32 v30, v12, v27
	v_mul_f32_e32 v27, v11, v27
	v_fma_f32 v30, v11, v26, -v30
	v_fmac_f32_e32 v27, v12, v26
	v_mul_f32_e32 v11, v27, v29
	v_mul_f32_e32 v12, v30, v29
	v_fma_f32 v11, v30, v28, -v11
	v_fmac_f32_e32 v12, v27, v28
	v_add_u32_e64 v26, s14, 0
	ds_write2_b64 v26, v[11:12], v[11:12] offset0:37 offset1:100
.LBB54_508:
	s_or_b64 exec, exec, s[0:1]
	v_mov_b32_e32 v12, 0
	v_mov_b32_e32 v11, 0
	s_waitcnt lgkmcnt(0)
	s_barrier
	buffer_wbinvl1_vol
	s_and_saveexec_b64 s[0:1], s[18:19]
	s_cbranch_execz .LBB54_514
; %bb.509:
	v_lshlrev_b32_e32 v26, 3, v17
	v_lshlrev_b32_e32 v27, 9, v18
	ds_read_b64 v[11:12], v26 offset:18688
	ds_read_b64 v[28:29], v27 offset:18720
	v_cmp_gt_u32_e64 s[14:15], 12, v16
	s_waitcnt lgkmcnt(0)
	v_mul_f32_e32 v30, v29, v12
	v_mul_f32_e32 v12, v28, v12
	v_fma_f32 v28, v28, v11, -v30
	v_fmac_f32_e32 v12, v29, v11
	v_add_f32_e32 v11, 0, v28
	v_add_f32_e32 v12, 0, v12
	s_and_saveexec_b64 s[16:17], s[14:15]
	s_cbranch_execnz .LBB54_1147
; %bb.510:
	s_or_b64 exec, exec, s[16:17]
	v_cmp_gt_u32_e64 s[14:15], 8, v16
	s_and_saveexec_b64 s[16:17], s[14:15]
	s_cbranch_execnz .LBB54_1148
.LBB54_511:
	s_or_b64 exec, exec, s[16:17]
	v_cmp_gt_u32_e64 s[14:15], 4, v16
	s_and_saveexec_b64 s[16:17], s[14:15]
	s_cbranch_execz .LBB54_513
.LBB54_512:
	v_lshlrev_b32_e32 v26, 3, v0
	v_mov_b32_e32 v28, 0
	ds_read_b64 v[26:27], v26 offset:20224
	ds_read_b64 v[28:29], v28 offset:20280
	s_waitcnt lgkmcnt(0)
	v_mul_f32_e32 v30, v29, v27
	v_mul_f32_e32 v27, v28, v27
	v_fma_f32 v28, v28, v26, -v30
	v_fmac_f32_e32 v27, v29, v26
	v_add_f32_e32 v11, v11, v28
	v_add_f32_e32 v12, v12, v27
.LBB54_513:
	s_or_b64 exec, exec, s[16:17]
.LBB54_514:
	s_or_b64 exec, exec, s[0:1]
	s_and_saveexec_b64 s[0:1], s[38:39]
	s_cbranch_execz .LBB54_516
; %bb.515:
	v_mov_b32_e32 v26, 0
	ds_read_b64 v[26:27], v26 offset:18200
	s_waitcnt lgkmcnt(0)
	v_mul_f32_e32 v28, v12, v27
	v_mul_f32_e32 v29, v11, v27
	v_fma_f32 v11, v11, v26, -v28
	v_fmac_f32_e32 v29, v12, v26
	v_xor_b32_e32 v26, 0x80000000, v11
	v_xor_b32_e32 v27, 0x80000000, v29
	v_mov_b32_e32 v12, v29
	ds_write_b64 v19, v[26:27]
.LBB54_516:
	s_or_b64 exec, exec, s[0:1]
	s_waitcnt lgkmcnt(0)
	s_barrier
	s_and_saveexec_b64 s[0:1], s[42:43]
	s_cbranch_execz .LBB54_518
; %bb.517:
	v_lshlrev_b32_e32 v26, 3, v17
	ds_read_b64 v[26:27], v26 offset:18176
	ds_read_b64 v[28:29], v19
	s_waitcnt lgkmcnt(0)
	v_mul_f32_e32 v30, v29, v27
	v_mul_f32_e32 v27, v28, v27
	v_fma_f32 v28, v28, v26, -v30
	v_fmac_f32_e32 v27, v29, v26
	v_sub_f32_e32 v11, v11, v28
	v_sub_f32_e32 v12, v12, v27
.LBB54_518:
	s_or_b64 exec, exec, s[0:1]
	s_barrier
	s_and_saveexec_b64 s[0:1], s[44:45]
	s_cbranch_execz .LBB54_520
; %bb.519:
	v_mov_b32_e32 v26, 0
	ds_read_b64 v[26:27], v26 offset:17680
	s_waitcnt lgkmcnt(0)
	v_mul_f32_e32 v28, v12, v27
	v_mul_f32_e32 v29, v11, v27
	v_fma_f32 v11, v11, v26, -v28
	v_fmac_f32_e32 v29, v12, v26
	v_xor_b32_e32 v26, 0x80000000, v11
	v_xor_b32_e32 v27, 0x80000000, v29
	v_mov_b32_e32 v12, v29
	ds_write_b64 v19, v[26:27]
.LBB54_520:
	s_or_b64 exec, exec, s[0:1]
	s_waitcnt lgkmcnt(0)
	s_barrier
	s_and_saveexec_b64 s[0:1], s[52:53]
	s_cbranch_execz .LBB54_522
; %bb.521:
	v_lshlrev_b32_e32 v26, 3, v17
	ds_read_b64 v[26:27], v26 offset:17664
	ds_read_b64 v[28:29], v19
	s_waitcnt lgkmcnt(0)
	v_mul_f32_e32 v30, v29, v27
	v_mul_f32_e32 v27, v28, v27
	v_fma_f32 v28, v28, v26, -v30
	v_fmac_f32_e32 v27, v29, v26
	v_sub_f32_e32 v11, v11, v28
	v_sub_f32_e32 v12, v12, v27
.LBB54_522:
	s_or_b64 exec, exec, s[0:1]
	s_barrier
	s_and_saveexec_b64 s[0:1], s[54:55]
	s_cbranch_execz .LBB54_524
; %bb.523:
	v_mov_b32_e32 v26, 0
	ds_read_b64 v[26:27], v26 offset:17160
	s_waitcnt lgkmcnt(0)
	v_mul_f32_e32 v28, v12, v27
	v_mul_f32_e32 v29, v11, v27
	v_fma_f32 v11, v11, v26, -v28
	v_fmac_f32_e32 v29, v12, v26
	v_xor_b32_e32 v26, 0x80000000, v11
	v_xor_b32_e32 v27, 0x80000000, v29
	v_mov_b32_e32 v12, v29
	ds_write_b64 v19, v[26:27]
.LBB54_524:
	s_or_b64 exec, exec, s[0:1]
	s_waitcnt lgkmcnt(0)
	s_barrier
	s_and_saveexec_b64 s[0:1], s[36:37]
	s_cbranch_execz .LBB54_526
; %bb.525:
	v_mov_b32_e32 v26, 0
	ds_read_b64 v[26:27], v26 offset:17152
	ds_read_b64 v[28:29], v19
	s_waitcnt lgkmcnt(0)
	v_mul_f32_e32 v30, v29, v27
	v_mul_f32_e32 v27, v28, v27
	v_fma_f32 v28, v28, v26, -v30
	v_fmac_f32_e32 v27, v29, v26
	v_sub_f32_e32 v11, v11, v28
	v_sub_f32_e32 v12, v12, v27
.LBB54_526:
	s_or_b64 exec, exec, s[0:1]
	s_barrier
	s_and_saveexec_b64 s[0:1], s[36:37]
	s_cbranch_execz .LBB54_528
; %bb.527:
	v_mov_b32_e32 v26, 0
	ds_read_b64 v[26:27], v26 offset:16640
	s_waitcnt lgkmcnt(0)
	v_mul_f32_e32 v28, v12, v27
	v_mul_f32_e32 v29, v11, v27
	v_fma_f32 v11, v11, v26, -v28
	v_fmac_f32_e32 v29, v12, v26
	v_xor_b32_e32 v26, 0x80000000, v11
	v_xor_b32_e32 v27, 0x80000000, v29
	v_mov_b32_e32 v12, v29
	ds_write_b64 v19, v[26:27]
.LBB54_528:
	s_or_b64 exec, exec, s[0:1]
	s_waitcnt lgkmcnt(0)
	s_barrier
	s_barrier
	s_and_saveexec_b64 s[0:1], s[18:19]
; %bb.529:
	v_lshlrev_b32_e32 v26, 3, v17
	v_lshl_or_b32 v26, v18, 9, v26
	ds_write_b64 v26, v[11:12] offset:18688
; %bb.530:
	s_or_b64 exec, exec, s[0:1]
	s_waitcnt lgkmcnt(0)
	s_barrier
	s_barrier
	s_and_saveexec_b64 s[0:1], s[56:57]
	s_cbranch_execz .LBB54_532
; %bb.531:
	v_lshlrev_b32_e32 v26, 9, v0
	ds_read_b64 v[11:12], v26 offset:18688
	s_movk_i32 s14, 0xfe08
	v_mad_i32_i24 v27, v0, s14, v26
	s_waitcnt lgkmcnt(0)
	ds_write_b64 v27, v[11:12] offset:16672
	ds_read_b64 v[11:12], v26 offset:18696
	s_waitcnt lgkmcnt(0)
	ds_write_b64 v27, v[11:12] offset:17184
	ds_read_b64 v[11:12], v26 offset:18704
	;; [unrolled: 3-line block ×3, first 2 shown]
	s_waitcnt lgkmcnt(0)
	ds_write_b64 v27, v[11:12] offset:18208
.LBB54_532:
	s_or_b64 exec, exec, s[0:1]
	s_waitcnt lgkmcnt(0)
	s_barrier
	s_and_saveexec_b64 s[0:1], vcc
	s_cbranch_execz .LBB54_534
; %bb.533:
	s_movk_i32 s14, 0x110
	v_mov_b32_e32 v11, 0
	v_add_u32_e64 v26, s14, 0
	ds_read_b64 v[11:12], v11 offset:18200
	ds_read2st64_b64 v[26:29], v26 offset0:34 offset1:35
	s_movk_i32 s14, 0x4000
	s_waitcnt lgkmcnt(0)
	v_mul_f32_e32 v30, v12, v27
	v_mul_f32_e32 v27, v11, v27
	v_fma_f32 v30, v11, v26, -v30
	v_fmac_f32_e32 v27, v12, v26
	v_mul_f32_e32 v11, v27, v29
	v_mul_f32_e32 v12, v30, v29
	v_fma_f32 v11, v30, v28, -v11
	v_fmac_f32_e32 v12, v27, v28
	v_add_u32_e64 v26, s14, 0
	ds_write2_b64 v26, v[11:12], v[11:12] offset0:163 offset1:226
.LBB54_534:
	s_or_b64 exec, exec, s[0:1]
	v_mov_b32_e32 v11, 0
	v_mov_b32_e32 v12, 0
	s_waitcnt lgkmcnt(0)
	s_barrier
	buffer_wbinvl1_vol
	s_and_saveexec_b64 s[0:1], s[2:3]
	s_cbranch_execz .LBB54_538
; %bb.535:
	v_lshlrev_b32_e32 v11, 3, v13
	v_lshlrev_b32_e32 v26, 9, v14
	ds_read_b64 v[11:12], v11 offset:17664
	ds_read_b64 v[26:27], v26 offset:17680
	v_cmp_gt_u32_e64 s[14:15], 2, v16
	s_waitcnt lgkmcnt(0)
	v_mul_f32_e32 v28, v27, v12
	v_mul_f32_e32 v12, v26, v12
	v_fma_f32 v26, v26, v11, -v28
	v_fmac_f32_e32 v12, v27, v11
	v_add_f32_e32 v11, 0, v26
	v_add_f32_e32 v12, 0, v12
	s_and_saveexec_b64 s[16:17], s[14:15]
	s_cbranch_execz .LBB54_537
; %bb.536:
	v_lshlrev_b32_e32 v26, 3, v0
	v_mov_b32_e32 v28, 0
	ds_read_b64 v[26:27], v26 offset:18176
	ds_read_b64 v[28:29], v28 offset:18200
	s_waitcnt lgkmcnt(0)
	v_mul_f32_e32 v30, v29, v27
	v_mul_f32_e32 v27, v28, v27
	v_fma_f32 v28, v28, v26, -v30
	v_fmac_f32_e32 v27, v29, v26
	v_add_f32_e32 v11, v11, v28
	v_add_f32_e32 v12, v12, v27
.LBB54_537:
	s_or_b64 exec, exec, s[16:17]
.LBB54_538:
	s_or_b64 exec, exec, s[0:1]
	s_and_saveexec_b64 s[0:1], s[30:31]
	s_cbranch_execz .LBB54_540
; %bb.539:
	v_mov_b32_e32 v26, 0
	ds_read_b64 v[26:27], v26 offset:17160
	s_waitcnt lgkmcnt(0)
	v_mul_f32_e32 v28, v12, v27
	v_mul_f32_e32 v29, v11, v27
	v_fma_f32 v11, v11, v26, -v28
	v_fmac_f32_e32 v29, v12, v26
	v_xor_b32_e32 v26, 0x80000000, v11
	v_xor_b32_e32 v27, 0x80000000, v29
	v_mov_b32_e32 v12, v29
	ds_write_b64 v15, v[26:27]
.LBB54_540:
	s_or_b64 exec, exec, s[0:1]
	s_waitcnt lgkmcnt(0)
	s_barrier
	s_and_saveexec_b64 s[0:1], s[28:29]
	s_cbranch_execz .LBB54_542
; %bb.541:
	v_mov_b32_e32 v26, 0
	ds_read_b64 v[26:27], v26 offset:17152
	ds_read_b64 v[28:29], v15
	s_waitcnt lgkmcnt(0)
	v_mul_f32_e32 v30, v29, v27
	v_mul_f32_e32 v27, v28, v27
	v_fma_f32 v28, v28, v26, -v30
	v_fmac_f32_e32 v27, v29, v26
	v_sub_f32_e32 v11, v11, v28
	v_sub_f32_e32 v12, v12, v27
.LBB54_542:
	s_or_b64 exec, exec, s[0:1]
	s_barrier
	s_and_saveexec_b64 s[0:1], s[28:29]
	s_cbranch_execz .LBB54_544
; %bb.543:
	v_mov_b32_e32 v26, 0
	ds_read_b64 v[26:27], v26 offset:16640
	s_waitcnt lgkmcnt(0)
	v_mul_f32_e32 v28, v12, v27
	v_mul_f32_e32 v29, v11, v27
	v_fma_f32 v11, v11, v26, -v28
	v_fmac_f32_e32 v29, v12, v26
	v_xor_b32_e32 v26, 0x80000000, v11
	v_xor_b32_e32 v27, 0x80000000, v29
	v_mov_b32_e32 v12, v29
	ds_write_b64 v15, v[26:27]
.LBB54_544:
	s_or_b64 exec, exec, s[0:1]
	s_waitcnt lgkmcnt(0)
	s_barrier
	s_barrier
	s_and_saveexec_b64 s[0:1], s[2:3]
; %bb.545:
	v_lshlrev_b32_e32 v26, 3, v13
	v_lshl_or_b32 v26, v14, 9, v26
	ds_write_b64 v26, v[11:12] offset:17664
; %bb.546:
	s_or_b64 exec, exec, s[0:1]
	s_waitcnt lgkmcnt(0)
	s_barrier
	s_barrier
	s_and_saveexec_b64 s[0:1], s[34:35]
	s_cbranch_execz .LBB54_548
; %bb.547:
	v_lshlrev_b32_e32 v26, 3, v0
	s_movk_i32 s14, 0x1f8
	v_mad_u32_u24 v27, v0, s14, v26
	ds_read_b64 v[11:12], v27 offset:17664
	s_waitcnt lgkmcnt(0)
	ds_write_b64 v26, v[11:12] offset:16656
	ds_read_b64 v[11:12], v27 offset:17672
	s_waitcnt lgkmcnt(0)
	ds_write_b64 v26, v[11:12] offset:17168
.LBB54_548:
	s_or_b64 exec, exec, s[0:1]
	s_waitcnt lgkmcnt(0)
	s_barrier
	s_and_saveexec_b64 s[0:1], vcc
	s_cbranch_execz .LBB54_550
; %bb.549:
	s_movk_i32 s14, 0x100
	v_mov_b32_e32 v11, 0
	v_add_u32_e64 v26, s14, 0
	ds_read_b64 v[11:12], v11 offset:17160
	ds_read2st64_b64 v[26:29], v26 offset0:32 offset1:33
	s_movk_i32 s14, 0x4000
	s_waitcnt lgkmcnt(0)
	v_mul_f32_e32 v30, v12, v27
	v_mul_f32_e32 v27, v11, v27
	v_fma_f32 v30, v11, v26, -v30
	v_fmac_f32_e32 v27, v12, v26
	v_mul_f32_e32 v11, v27, v29
	v_mul_f32_e32 v12, v30, v29
	v_fma_f32 v11, v30, v28, -v11
	v_fmac_f32_e32 v12, v27, v28
	v_add_u32_e64 v26, s14, 0
	ds_write2_b64 v26, v[11:12], v[11:12] offset0:33 offset1:96
.LBB54_550:
	s_or_b64 exec, exec, s[0:1]
	s_movk_i32 s0, 0x3ff
	v_lshrrev_b32_e32 v28, 5, v16
	v_cmp_lt_u32_e64 s[16:17], s0, v16
	s_movk_i32 s0, 0x400
	v_and_b32_e32 v26, 31, v0
	v_sub_u32_e32 v27, 31, v28
	v_cmp_gt_u32_e64 s[14:15], s0, v16
	v_mov_b32_e32 v12, 0
	v_mov_b32_e32 v11, 0
	s_waitcnt lgkmcnt(0)
	s_barrier
	buffer_wbinvl1_vol
	s_and_saveexec_b64 s[0:1], s[14:15]
	s_cbranch_execz .LBB54_612
; %bb.551:
	v_lshlrev_b32_e32 v29, 3, v26
	v_lshlrev_b32_e32 v30, 9, v27
	ds_read_b64 v[11:12], v29 offset:16384
	ds_read_b64 v[31:32], v30 offset:16640
	s_movk_i32 s20, 0x3e0
	v_cmp_gt_u32_e64 s[20:21], s20, v16
	s_waitcnt lgkmcnt(0)
	v_mul_f32_e32 v33, v32, v12
	v_mul_f32_e32 v12, v31, v12
	v_fma_f32 v31, v31, v11, -v33
	v_fmac_f32_e32 v12, v32, v11
	v_add_f32_e32 v11, 0, v31
	v_add_f32_e32 v12, 0, v12
	s_and_saveexec_b64 s[94:95], s[20:21]
	s_cbranch_execz .LBB54_553
; %bb.552:
	ds_read_b64 v[31:32], v29 offset:16896
	ds_read_b64 v[33:34], v30 offset:16648
	s_waitcnt lgkmcnt(0)
	v_mul_f32_e32 v35, v34, v32
	v_mul_f32_e32 v32, v33, v32
	v_fma_f32 v33, v33, v31, -v35
	v_fmac_f32_e32 v32, v34, v31
	v_add_f32_e32 v11, v11, v33
	v_add_f32_e32 v12, v12, v32
.LBB54_553:
	s_or_b64 exec, exec, s[94:95]
	s_movk_i32 s20, 0x3c0
	v_cmp_gt_u32_e64 s[20:21], s20, v16
	s_and_saveexec_b64 s[94:95], s[20:21]
	s_cbranch_execz .LBB54_555
; %bb.554:
	ds_read_b64 v[31:32], v29 offset:17408
	ds_read_b64 v[33:34], v30 offset:16656
	s_waitcnt lgkmcnt(0)
	v_mul_f32_e32 v35, v34, v32
	v_mul_f32_e32 v32, v33, v32
	v_fma_f32 v33, v33, v31, -v35
	v_fmac_f32_e32 v32, v34, v31
	v_add_f32_e32 v11, v11, v33
	v_add_f32_e32 v12, v12, v32
.LBB54_555:
	s_or_b64 exec, exec, s[94:95]
	s_movk_i32 s20, 0x3a0
	v_cmp_gt_u32_e64 s[20:21], s20, v16
	;; [unrolled: 16-line block ×22, first 2 shown]
	s_and_saveexec_b64 s[94:95], s[20:21]
	s_cbranch_execz .LBB54_597
; %bb.596:
	ds_read_b64 v[31:32], v29 offset:28160
	ds_read_b64 v[33:34], v30 offset:16824
	s_waitcnt lgkmcnt(0)
	v_mul_f32_e32 v35, v34, v32
	v_mul_f32_e32 v32, v33, v32
	v_fma_f32 v33, v33, v31, -v35
	v_fmac_f32_e32 v32, v34, v31
	v_add_f32_e32 v11, v11, v33
	v_add_f32_e32 v12, v12, v32
.LBB54_597:
	s_or_b64 exec, exec, s[94:95]
	s_and_saveexec_b64 s[20:21], s[10:11]
	s_cbranch_execz .LBB54_599
; %bb.598:
	ds_read_b64 v[31:32], v29 offset:28672
	ds_read_b64 v[33:34], v30 offset:16832
	s_waitcnt lgkmcnt(0)
	v_mul_f32_e32 v35, v34, v32
	v_mul_f32_e32 v32, v33, v32
	v_fma_f32 v33, v33, v31, -v35
	v_fmac_f32_e32 v32, v34, v31
	v_add_f32_e32 v11, v11, v33
	v_add_f32_e32 v12, v12, v32
.LBB54_599:
	s_or_b64 exec, exec, s[20:21]
	s_movk_i32 s20, 0xe0
	v_cmp_gt_u32_e64 s[20:21], s20, v16
	s_and_saveexec_b64 s[94:95], s[20:21]
	s_cbranch_execz .LBB54_601
; %bb.600:
	ds_read_b64 v[31:32], v29 offset:29184
	ds_read_b64 v[33:34], v30 offset:16840
	s_waitcnt lgkmcnt(0)
	v_mul_f32_e32 v35, v34, v32
	v_mul_f32_e32 v32, v33, v32
	v_fma_f32 v33, v33, v31, -v35
	v_fmac_f32_e32 v32, v34, v31
	v_add_f32_e32 v11, v11, v33
	v_add_f32_e32 v12, v12, v32
.LBB54_601:
	s_or_b64 exec, exec, s[94:95]
	s_movk_i32 s20, 0xc0
	v_cmp_gt_u32_e64 s[20:21], s20, v16
	;; [unrolled: 16-line block ×5, first 2 shown]
	s_and_saveexec_b64 s[94:95], s[20:21]
	s_cbranch_execnz .LBB54_1149
; %bb.608:
	s_or_b64 exec, exec, s[94:95]
	s_and_saveexec_b64 s[20:21], s[8:9]
	s_cbranch_execnz .LBB54_1150
.LBB54_609:
	s_or_b64 exec, exec, s[20:21]
	v_cmp_gt_u32_e64 s[20:21], 32, v16
	s_and_saveexec_b64 s[94:95], s[20:21]
	s_cbranch_execz .LBB54_611
.LBB54_610:
	ds_read_b64 v[31:32], v29 offset:32256
	ds_read_b64 v[29:30], v30 offset:16888
	s_waitcnt lgkmcnt(0)
	v_mul_f32_e32 v33, v30, v32
	v_mul_f32_e32 v32, v29, v32
	v_fma_f32 v29, v29, v31, -v33
	v_fmac_f32_e32 v32, v30, v31
	v_add_f32_e32 v11, v11, v29
	v_add_f32_e32 v12, v12, v32
.LBB54_611:
	s_or_b64 exec, exec, s[94:95]
.LBB54_612:
	s_or_b64 exec, exec, s[0:1]
	v_mov_b32_e32 v29, 0x8000
	s_movk_i32 s0, 0x208
	v_lshlrev_b32_e32 v30, 9, v26
	v_mov_b32_e32 v31, 0x3c00
	v_lshl_add_u32 v28, v28, 3, v29
	v_mul_u32_u24_e32 v29, 0x208, v26
	v_sub_u32_e32 v30, 0, v30
	v_mad_u32_u24 v31, v26, s0, v31
	s_mov_b32 s20, 31
	s_xor_b64 s[0:1], s[16:17], -1
	s_branch .LBB54_614
.LBB54_613:                             ;   in Loop: Header=BB54_614 Depth=1
	s_or_b64 exec, exec, s[16:17]
	s_add_i32 s20, s20, -2
	s_cmp_eq_u32 s21, 0
	v_add_u32_e32 v30, 0xfffffc00, v30
	s_barrier
	s_cbranch_scc1 .LBB54_622
.LBB54_614:                             ; =>This Inner Loop Header: Depth=1
	s_movk_i32 s16, 0xc200
	v_cmp_eq_u32_e64 s[16:17], s16, v30
	s_and_b64 s[94:95], s[0:1], s[16:17]
	s_and_saveexec_b64 s[16:17], s[94:95]
	s_cbranch_execz .LBB54_616
; %bb.615:                              ;   in Loop: Header=BB54_614 Depth=1
	ds_read_b64 v[32:33], v29
	s_waitcnt lgkmcnt(0)
	v_mul_f32_e32 v34, v12, v33
	v_mul_f32_e32 v35, v11, v33
	v_fma_f32 v11, v11, v32, -v34
	v_fmac_f32_e32 v35, v12, v32
	v_xor_b32_e32 v32, 0x80000000, v11
	v_xor_b32_e32 v33, 0x80000000, v35
	v_mov_b32_e32 v12, v35
	ds_write_b64 v28, v[32:33]
.LBB54_616:                             ;   in Loop: Header=BB54_614 Depth=1
	s_or_b64 exec, exec, s[16:17]
	v_cmp_gt_u32_e64 s[16:17], s20, v26
	s_and_b64 s[94:95], s[0:1], s[16:17]
	v_add_u32_e32 v32, v31, v30
	s_waitcnt lgkmcnt(0)
	s_barrier
	s_and_saveexec_b64 s[16:17], s[94:95]
	s_cbranch_execz .LBB54_618
; %bb.617:                              ;   in Loop: Header=BB54_614 Depth=1
	ds_read_b64 v[33:34], v32 offset:512
	ds_read_b64 v[35:36], v28
	s_waitcnt lgkmcnt(0)
	v_mul_f32_e32 v37, v36, v34
	v_mul_f32_e32 v34, v35, v34
	v_fma_f32 v35, v35, v33, -v37
	v_fmac_f32_e32 v34, v36, v33
	v_sub_f32_e32 v11, v11, v35
	v_sub_f32_e32 v12, v12, v34
.LBB54_618:                             ;   in Loop: Header=BB54_614 Depth=1
	s_or_b64 exec, exec, s[16:17]
	s_add_i32 s21, s20, -1
	v_cmp_eq_u32_e64 s[16:17], s21, v26
	s_and_b64 s[94:95], s[0:1], s[16:17]
	s_barrier
	s_and_saveexec_b64 s[16:17], s[94:95]
	s_cbranch_execz .LBB54_620
; %bb.619:                              ;   in Loop: Header=BB54_614 Depth=1
	ds_read_b64 v[33:34], v29
	s_waitcnt lgkmcnt(0)
	v_mul_f32_e32 v35, v12, v34
	v_mul_f32_e32 v36, v11, v34
	v_fma_f32 v11, v11, v33, -v35
	v_fmac_f32_e32 v36, v12, v33
	v_xor_b32_e32 v33, 0x80000000, v11
	v_xor_b32_e32 v34, 0x80000000, v36
	v_mov_b32_e32 v12, v36
	ds_write_b64 v28, v[33:34]
.LBB54_620:                             ;   in Loop: Header=BB54_614 Depth=1
	s_or_b64 exec, exec, s[16:17]
	v_cmp_gt_u32_e64 s[16:17], s21, v26
	s_and_b64 s[94:95], s[0:1], s[16:17]
	s_waitcnt lgkmcnt(0)
	s_barrier
	s_and_saveexec_b64 s[16:17], s[94:95]
	s_cbranch_execz .LBB54_613
; %bb.621:                              ;   in Loop: Header=BB54_614 Depth=1
	ds_read_b64 v[32:33], v32
	ds_read_b64 v[34:35], v28
	s_waitcnt lgkmcnt(0)
	v_mul_f32_e32 v36, v35, v33
	v_mul_f32_e32 v33, v34, v33
	v_fma_f32 v34, v34, v32, -v36
	v_fmac_f32_e32 v33, v35, v32
	v_sub_f32_e32 v11, v11, v34
	v_sub_f32_e32 v12, v12, v33
	s_branch .LBB54_613
.LBB54_622:
	s_and_saveexec_b64 s[0:1], s[14:15]
; %bb.623:
	v_lshlrev_b32_e32 v26, 3, v26
	v_lshl_or_b32 v26, v27, 9, v26
	ds_write_b64 v26, v[11:12] offset:16384
; %bb.624:
	s_or_b64 exec, exec, s[0:1]
	v_cmp_gt_u32_e64 s[14:15], 32, v0
	s_and_b64 s[12:13], s[12:13], s[14:15]
	s_waitcnt lgkmcnt(0)
	s_barrier
	s_barrier
	s_and_saveexec_b64 s[0:1], s[12:13]
	s_cbranch_execz .LBB54_626
; %bb.625:
	v_lshlrev_b32_e32 v26, 9, v0
	ds_read_b64 v[11:12], v26 offset:16384
	s_movk_i32 s12, 0xfe08
	v_mad_i32_i24 v27, v0, s12, v26
	s_waitcnt lgkmcnt(0)
	ds_write_b64 v27, v[11:12] offset:256
	ds_read_b64 v[11:12], v26 offset:16392
	s_waitcnt lgkmcnt(0)
	ds_write_b64 v27, v[11:12] offset:768
	ds_read_b64 v[11:12], v26 offset:16400
	;; [unrolled: 3-line block ×31, first 2 shown]
	s_waitcnt lgkmcnt(0)
	ds_write_b64 v27, v[11:12] offset:16128
.LBB54_626:
	s_or_b64 exec, exec, s[0:1]
	s_waitcnt lgkmcnt(0)
	s_barrier
	s_and_saveexec_b64 s[0:1], vcc
	s_cbranch_execz .LBB54_628
; %bb.627:
	s_movk_i32 s12, 0xf0
	v_mov_b32_e32 v11, 0
	v_add_u32_e64 v26, s12, 0
	ds_read_b64 v[11:12], v11 offset:16120
	ds_read2st64_b64 v[26:29], v26 offset0:30 offset1:31
	s_movk_i32 s12, 0x3800
	s_waitcnt lgkmcnt(0)
	v_mul_f32_e32 v30, v12, v27
	v_mul_f32_e32 v27, v11, v27
	v_fma_f32 v30, v11, v26, -v30
	v_fmac_f32_e32 v27, v12, v26
	v_mul_f32_e32 v11, v27, v29
	v_mul_f32_e32 v12, v30, v29
	v_fma_f32 v11, v30, v28, -v11
	v_fmac_f32_e32 v12, v27, v28
	v_add_u32_e64 v26, s12, 0
	ds_write2_b64 v26, v[11:12], v[11:12] offset0:159 offset1:222
.LBB54_628:
	s_or_b64 exec, exec, s[0:1]
	v_mov_b32_e32 v11, 0
	v_mov_b32_e32 v12, 0
	s_waitcnt lgkmcnt(0)
	s_barrier
	buffer_wbinvl1_vol
	s_and_saveexec_b64 s[0:1], s[2:3]
	s_cbranch_execz .LBB54_632
; %bb.629:
	v_lshlrev_b32_e32 v11, 3, v13
	v_lshlrev_b32_e32 v26, 9, v14
	ds_read_b64 v[11:12], v11 offset:15584
	ds_read_b64 v[26:27], v26 offset:15600
	v_cmp_gt_u32_e64 s[12:13], 2, v16
	s_waitcnt lgkmcnt(0)
	v_mul_f32_e32 v28, v27, v12
	v_mul_f32_e32 v12, v26, v12
	v_fma_f32 v26, v26, v11, -v28
	v_fmac_f32_e32 v12, v27, v11
	v_add_f32_e32 v11, 0, v26
	v_add_f32_e32 v12, 0, v12
	s_and_saveexec_b64 s[14:15], s[12:13]
	s_cbranch_execz .LBB54_631
; %bb.630:
	v_lshlrev_b32_e32 v26, 3, v0
	v_mov_b32_e32 v28, 0
	ds_read_b64 v[26:27], v26 offset:16096
	ds_read_b64 v[28:29], v28 offset:16120
	s_waitcnt lgkmcnt(0)
	v_mul_f32_e32 v30, v29, v27
	v_mul_f32_e32 v27, v28, v27
	v_fma_f32 v28, v28, v26, -v30
	v_fmac_f32_e32 v27, v29, v26
	v_add_f32_e32 v11, v11, v28
	v_add_f32_e32 v12, v12, v27
.LBB54_631:
	s_or_b64 exec, exec, s[14:15]
.LBB54_632:
	s_or_b64 exec, exec, s[0:1]
	s_and_saveexec_b64 s[0:1], s[30:31]
	s_cbranch_execz .LBB54_634
; %bb.633:
	v_mov_b32_e32 v26, 0
	ds_read_b64 v[26:27], v26 offset:15080
	s_waitcnt lgkmcnt(0)
	v_mul_f32_e32 v28, v12, v27
	v_mul_f32_e32 v29, v11, v27
	v_fma_f32 v11, v11, v26, -v28
	v_fmac_f32_e32 v29, v12, v26
	v_xor_b32_e32 v26, 0x80000000, v11
	v_xor_b32_e32 v27, 0x80000000, v29
	v_mov_b32_e32 v12, v29
	ds_write_b64 v15, v[26:27]
.LBB54_634:
	s_or_b64 exec, exec, s[0:1]
	s_waitcnt lgkmcnt(0)
	s_barrier
	s_and_saveexec_b64 s[0:1], s[28:29]
	s_cbranch_execz .LBB54_636
; %bb.635:
	v_mov_b32_e32 v26, 0
	ds_read_b64 v[26:27], v26 offset:15072
	ds_read_b64 v[28:29], v15
	s_waitcnt lgkmcnt(0)
	v_mul_f32_e32 v30, v29, v27
	v_mul_f32_e32 v27, v28, v27
	v_fma_f32 v28, v28, v26, -v30
	v_fmac_f32_e32 v27, v29, v26
	v_sub_f32_e32 v11, v11, v28
	v_sub_f32_e32 v12, v12, v27
.LBB54_636:
	s_or_b64 exec, exec, s[0:1]
	s_barrier
	s_and_saveexec_b64 s[0:1], s[28:29]
	s_cbranch_execz .LBB54_638
; %bb.637:
	v_mov_b32_e32 v26, 0
	ds_read_b64 v[26:27], v26 offset:14560
	s_waitcnt lgkmcnt(0)
	v_mul_f32_e32 v28, v12, v27
	v_mul_f32_e32 v29, v11, v27
	v_fma_f32 v11, v11, v26, -v28
	v_fmac_f32_e32 v29, v12, v26
	v_xor_b32_e32 v26, 0x80000000, v11
	v_xor_b32_e32 v27, 0x80000000, v29
	v_mov_b32_e32 v12, v29
	ds_write_b64 v15, v[26:27]
.LBB54_638:
	s_or_b64 exec, exec, s[0:1]
	s_waitcnt lgkmcnt(0)
	s_barrier
	s_barrier
	s_and_saveexec_b64 s[0:1], s[2:3]
; %bb.639:
	v_lshlrev_b32_e32 v26, 3, v13
	v_lshl_or_b32 v26, v14, 9, v26
	ds_write_b64 v26, v[11:12] offset:15584
; %bb.640:
	s_or_b64 exec, exec, s[0:1]
	s_waitcnt lgkmcnt(0)
	s_barrier
	s_barrier
	s_and_saveexec_b64 s[0:1], s[34:35]
	s_cbranch_execz .LBB54_642
; %bb.641:
	v_lshlrev_b32_e32 v26, 3, v0
	s_movk_i32 s12, 0x1f8
	v_mad_u32_u24 v27, v0, s12, v26
	ds_read_b64 v[11:12], v27 offset:15584
	s_waitcnt lgkmcnt(0)
	ds_write_b64 v26, v[11:12] offset:14576
	ds_read_b64 v[11:12], v27 offset:15592
	s_waitcnt lgkmcnt(0)
	ds_write_b64 v26, v[11:12] offset:15088
.LBB54_642:
	s_or_b64 exec, exec, s[0:1]
	s_waitcnt lgkmcnt(0)
	s_barrier
	s_and_saveexec_b64 s[0:1], vcc
	s_cbranch_execz .LBB54_644
; %bb.643:
	s_movk_i32 s12, 0xe0
	v_mov_b32_e32 v11, 0
	v_add_u32_e64 v26, s12, 0
	ds_read_b64 v[11:12], v11 offset:15080
	ds_read2st64_b64 v[26:29], v26 offset0:28 offset1:29
	s_movk_i32 s12, 0x3800
	s_waitcnt lgkmcnt(0)
	v_mul_f32_e32 v30, v12, v27
	v_mul_f32_e32 v27, v11, v27
	v_fma_f32 v30, v11, v26, -v30
	v_fmac_f32_e32 v27, v12, v26
	v_mul_f32_e32 v11, v27, v29
	v_mul_f32_e32 v12, v30, v29
	v_fma_f32 v11, v30, v28, -v11
	v_fmac_f32_e32 v12, v27, v28
	v_add_u32_e64 v26, s12, 0
	ds_write2_b64 v26, v[11:12], v[11:12] offset0:29 offset1:92
.LBB54_644:
	s_or_b64 exec, exec, s[0:1]
	v_mov_b32_e32 v12, 0
	v_mov_b32_e32 v11, 0
	s_waitcnt lgkmcnt(0)
	s_barrier
	buffer_wbinvl1_vol
	s_and_saveexec_b64 s[0:1], s[18:19]
	s_cbranch_execz .LBB54_650
; %bb.645:
	v_lshlrev_b32_e32 v26, 3, v17
	v_lshlrev_b32_e32 v27, 9, v18
	ds_read_b64 v[11:12], v26 offset:14528
	ds_read_b64 v[28:29], v27 offset:14560
	v_cmp_gt_u32_e64 s[12:13], 12, v16
	s_waitcnt lgkmcnt(0)
	v_mul_f32_e32 v30, v29, v12
	v_mul_f32_e32 v12, v28, v12
	v_fma_f32 v28, v28, v11, -v30
	v_fmac_f32_e32 v12, v29, v11
	v_add_f32_e32 v11, 0, v28
	v_add_f32_e32 v12, 0, v12
	s_and_saveexec_b64 s[14:15], s[12:13]
	s_cbranch_execnz .LBB54_1151
; %bb.646:
	s_or_b64 exec, exec, s[14:15]
	v_cmp_gt_u32_e64 s[12:13], 8, v16
	s_and_saveexec_b64 s[14:15], s[12:13]
	s_cbranch_execnz .LBB54_1152
.LBB54_647:
	s_or_b64 exec, exec, s[14:15]
	v_cmp_gt_u32_e64 s[12:13], 4, v16
	s_and_saveexec_b64 s[14:15], s[12:13]
	s_cbranch_execz .LBB54_649
.LBB54_648:
	v_lshlrev_b32_e32 v26, 3, v0
	v_mov_b32_e32 v28, 0
	ds_read_b64 v[26:27], v26 offset:16064
	ds_read_b64 v[28:29], v28 offset:16120
	s_waitcnt lgkmcnt(0)
	v_mul_f32_e32 v30, v29, v27
	v_mul_f32_e32 v27, v28, v27
	v_fma_f32 v28, v28, v26, -v30
	v_fmac_f32_e32 v27, v29, v26
	v_add_f32_e32 v11, v11, v28
	v_add_f32_e32 v12, v12, v27
.LBB54_649:
	s_or_b64 exec, exec, s[14:15]
.LBB54_650:
	s_or_b64 exec, exec, s[0:1]
	s_and_saveexec_b64 s[0:1], s[38:39]
	s_cbranch_execz .LBB54_652
; %bb.651:
	v_mov_b32_e32 v26, 0
	ds_read_b64 v[26:27], v26 offset:14040
	s_waitcnt lgkmcnt(0)
	v_mul_f32_e32 v28, v12, v27
	v_mul_f32_e32 v29, v11, v27
	v_fma_f32 v11, v11, v26, -v28
	v_fmac_f32_e32 v29, v12, v26
	v_xor_b32_e32 v26, 0x80000000, v11
	v_xor_b32_e32 v27, 0x80000000, v29
	v_mov_b32_e32 v12, v29
	ds_write_b64 v19, v[26:27]
.LBB54_652:
	s_or_b64 exec, exec, s[0:1]
	s_waitcnt lgkmcnt(0)
	s_barrier
	s_and_saveexec_b64 s[0:1], s[42:43]
	s_cbranch_execz .LBB54_654
; %bb.653:
	v_lshlrev_b32_e32 v26, 3, v17
	ds_read_b64 v[26:27], v26 offset:14016
	ds_read_b64 v[28:29], v19
	s_waitcnt lgkmcnt(0)
	v_mul_f32_e32 v30, v29, v27
	v_mul_f32_e32 v27, v28, v27
	v_fma_f32 v28, v28, v26, -v30
	v_fmac_f32_e32 v27, v29, v26
	v_sub_f32_e32 v11, v11, v28
	v_sub_f32_e32 v12, v12, v27
.LBB54_654:
	s_or_b64 exec, exec, s[0:1]
	s_barrier
	s_and_saveexec_b64 s[0:1], s[44:45]
	s_cbranch_execz .LBB54_656
; %bb.655:
	v_mov_b32_e32 v26, 0
	ds_read_b64 v[26:27], v26 offset:13520
	s_waitcnt lgkmcnt(0)
	v_mul_f32_e32 v28, v12, v27
	v_mul_f32_e32 v29, v11, v27
	v_fma_f32 v11, v11, v26, -v28
	v_fmac_f32_e32 v29, v12, v26
	v_xor_b32_e32 v26, 0x80000000, v11
	v_xor_b32_e32 v27, 0x80000000, v29
	v_mov_b32_e32 v12, v29
	ds_write_b64 v19, v[26:27]
.LBB54_656:
	s_or_b64 exec, exec, s[0:1]
	s_waitcnt lgkmcnt(0)
	s_barrier
	s_and_saveexec_b64 s[0:1], s[52:53]
	s_cbranch_execz .LBB54_658
; %bb.657:
	v_lshlrev_b32_e32 v26, 3, v17
	ds_read_b64 v[26:27], v26 offset:13504
	ds_read_b64 v[28:29], v19
	s_waitcnt lgkmcnt(0)
	v_mul_f32_e32 v30, v29, v27
	v_mul_f32_e32 v27, v28, v27
	v_fma_f32 v28, v28, v26, -v30
	v_fmac_f32_e32 v27, v29, v26
	v_sub_f32_e32 v11, v11, v28
	v_sub_f32_e32 v12, v12, v27
.LBB54_658:
	s_or_b64 exec, exec, s[0:1]
	s_barrier
	s_and_saveexec_b64 s[0:1], s[54:55]
	s_cbranch_execz .LBB54_660
; %bb.659:
	v_mov_b32_e32 v26, 0
	ds_read_b64 v[26:27], v26 offset:13000
	s_waitcnt lgkmcnt(0)
	v_mul_f32_e32 v28, v12, v27
	v_mul_f32_e32 v29, v11, v27
	v_fma_f32 v11, v11, v26, -v28
	v_fmac_f32_e32 v29, v12, v26
	v_xor_b32_e32 v26, 0x80000000, v11
	v_xor_b32_e32 v27, 0x80000000, v29
	v_mov_b32_e32 v12, v29
	ds_write_b64 v19, v[26:27]
.LBB54_660:
	s_or_b64 exec, exec, s[0:1]
	s_waitcnt lgkmcnt(0)
	s_barrier
	s_and_saveexec_b64 s[0:1], s[36:37]
	s_cbranch_execz .LBB54_662
; %bb.661:
	v_mov_b32_e32 v26, 0
	ds_read_b64 v[26:27], v26 offset:12992
	ds_read_b64 v[28:29], v19
	s_waitcnt lgkmcnt(0)
	v_mul_f32_e32 v30, v29, v27
	v_mul_f32_e32 v27, v28, v27
	v_fma_f32 v28, v28, v26, -v30
	v_fmac_f32_e32 v27, v29, v26
	v_sub_f32_e32 v11, v11, v28
	v_sub_f32_e32 v12, v12, v27
.LBB54_662:
	s_or_b64 exec, exec, s[0:1]
	s_barrier
	s_and_saveexec_b64 s[0:1], s[36:37]
	s_cbranch_execz .LBB54_664
; %bb.663:
	v_mov_b32_e32 v26, 0
	ds_read_b64 v[26:27], v26 offset:12480
	s_waitcnt lgkmcnt(0)
	v_mul_f32_e32 v28, v12, v27
	v_mul_f32_e32 v29, v11, v27
	v_fma_f32 v11, v11, v26, -v28
	v_fmac_f32_e32 v29, v12, v26
	v_xor_b32_e32 v26, 0x80000000, v11
	v_xor_b32_e32 v27, 0x80000000, v29
	v_mov_b32_e32 v12, v29
	ds_write_b64 v19, v[26:27]
.LBB54_664:
	s_or_b64 exec, exec, s[0:1]
	s_waitcnt lgkmcnt(0)
	s_barrier
	s_barrier
	s_and_saveexec_b64 s[0:1], s[18:19]
; %bb.665:
	v_lshlrev_b32_e32 v26, 3, v17
	v_lshl_or_b32 v26, v18, 9, v26
	ds_write_b64 v26, v[11:12] offset:14528
; %bb.666:
	s_or_b64 exec, exec, s[0:1]
	s_waitcnt lgkmcnt(0)
	s_barrier
	s_barrier
	s_and_saveexec_b64 s[0:1], s[56:57]
	s_cbranch_execz .LBB54_668
; %bb.667:
	v_lshlrev_b32_e32 v26, 9, v0
	ds_read_b64 v[11:12], v26 offset:14528
	s_movk_i32 s12, 0xfe08
	v_mad_i32_i24 v27, v0, s12, v26
	s_waitcnt lgkmcnt(0)
	ds_write_b64 v27, v[11:12] offset:12512
	ds_read_b64 v[11:12], v26 offset:14536
	s_waitcnt lgkmcnt(0)
	ds_write_b64 v27, v[11:12] offset:13024
	ds_read_b64 v[11:12], v26 offset:14544
	;; [unrolled: 3-line block ×3, first 2 shown]
	s_waitcnt lgkmcnt(0)
	ds_write_b64 v27, v[11:12] offset:14048
.LBB54_668:
	s_or_b64 exec, exec, s[0:1]
	s_waitcnt lgkmcnt(0)
	s_barrier
	s_and_saveexec_b64 s[0:1], vcc
	s_cbranch_execz .LBB54_670
; %bb.669:
	s_movk_i32 s12, 0xd0
	v_mov_b32_e32 v11, 0
	v_add_u32_e64 v26, s12, 0
	ds_read_b64 v[11:12], v11 offset:14040
	ds_read2st64_b64 v[26:29], v26 offset0:26 offset1:27
	s_movk_i32 s12, 0x3000
	s_waitcnt lgkmcnt(0)
	v_mul_f32_e32 v30, v12, v27
	v_mul_f32_e32 v27, v11, v27
	v_fma_f32 v30, v11, v26, -v30
	v_fmac_f32_e32 v27, v12, v26
	v_mul_f32_e32 v11, v27, v29
	v_mul_f32_e32 v12, v30, v29
	v_fma_f32 v11, v30, v28, -v11
	v_fmac_f32_e32 v12, v27, v28
	v_add_u32_e64 v26, s12, 0
	ds_write2_b64 v26, v[11:12], v[11:12] offset0:155 offset1:218
.LBB54_670:
	s_or_b64 exec, exec, s[0:1]
	v_mov_b32_e32 v11, 0
	v_mov_b32_e32 v12, 0
	s_waitcnt lgkmcnt(0)
	s_barrier
	buffer_wbinvl1_vol
	s_and_saveexec_b64 s[0:1], s[2:3]
	s_cbranch_execz .LBB54_674
; %bb.671:
	v_lshlrev_b32_e32 v11, 3, v13
	v_lshlrev_b32_e32 v26, 9, v14
	ds_read_b64 v[11:12], v11 offset:13504
	ds_read_b64 v[26:27], v26 offset:13520
	v_cmp_gt_u32_e64 s[12:13], 2, v16
	s_waitcnt lgkmcnt(0)
	v_mul_f32_e32 v28, v27, v12
	v_mul_f32_e32 v12, v26, v12
	v_fma_f32 v26, v26, v11, -v28
	v_fmac_f32_e32 v12, v27, v11
	v_add_f32_e32 v11, 0, v26
	v_add_f32_e32 v12, 0, v12
	s_and_saveexec_b64 s[14:15], s[12:13]
	s_cbranch_execz .LBB54_673
; %bb.672:
	v_lshlrev_b32_e32 v26, 3, v0
	v_mov_b32_e32 v28, 0
	ds_read_b64 v[26:27], v26 offset:14016
	ds_read_b64 v[28:29], v28 offset:14040
	s_waitcnt lgkmcnt(0)
	v_mul_f32_e32 v30, v29, v27
	v_mul_f32_e32 v27, v28, v27
	v_fma_f32 v28, v28, v26, -v30
	v_fmac_f32_e32 v27, v29, v26
	v_add_f32_e32 v11, v11, v28
	v_add_f32_e32 v12, v12, v27
.LBB54_673:
	s_or_b64 exec, exec, s[14:15]
.LBB54_674:
	s_or_b64 exec, exec, s[0:1]
	s_and_saveexec_b64 s[0:1], s[30:31]
	s_cbranch_execz .LBB54_676
; %bb.675:
	v_mov_b32_e32 v26, 0
	ds_read_b64 v[26:27], v26 offset:13000
	s_waitcnt lgkmcnt(0)
	v_mul_f32_e32 v28, v12, v27
	v_mul_f32_e32 v29, v11, v27
	v_fma_f32 v11, v11, v26, -v28
	v_fmac_f32_e32 v29, v12, v26
	v_xor_b32_e32 v26, 0x80000000, v11
	v_xor_b32_e32 v27, 0x80000000, v29
	v_mov_b32_e32 v12, v29
	ds_write_b64 v15, v[26:27]
.LBB54_676:
	s_or_b64 exec, exec, s[0:1]
	s_waitcnt lgkmcnt(0)
	s_barrier
	s_and_saveexec_b64 s[0:1], s[28:29]
	s_cbranch_execz .LBB54_678
; %bb.677:
	v_mov_b32_e32 v26, 0
	ds_read_b64 v[26:27], v26 offset:12992
	ds_read_b64 v[28:29], v15
	s_waitcnt lgkmcnt(0)
	v_mul_f32_e32 v30, v29, v27
	v_mul_f32_e32 v27, v28, v27
	v_fma_f32 v28, v28, v26, -v30
	v_fmac_f32_e32 v27, v29, v26
	v_sub_f32_e32 v11, v11, v28
	v_sub_f32_e32 v12, v12, v27
.LBB54_678:
	s_or_b64 exec, exec, s[0:1]
	s_barrier
	s_and_saveexec_b64 s[0:1], s[28:29]
	s_cbranch_execz .LBB54_680
; %bb.679:
	v_mov_b32_e32 v26, 0
	ds_read_b64 v[26:27], v26 offset:12480
	s_waitcnt lgkmcnt(0)
	v_mul_f32_e32 v28, v12, v27
	v_mul_f32_e32 v29, v11, v27
	v_fma_f32 v11, v11, v26, -v28
	v_fmac_f32_e32 v29, v12, v26
	v_xor_b32_e32 v26, 0x80000000, v11
	v_xor_b32_e32 v27, 0x80000000, v29
	v_mov_b32_e32 v12, v29
	ds_write_b64 v15, v[26:27]
.LBB54_680:
	s_or_b64 exec, exec, s[0:1]
	s_waitcnt lgkmcnt(0)
	s_barrier
	s_barrier
	s_and_saveexec_b64 s[0:1], s[2:3]
; %bb.681:
	v_lshlrev_b32_e32 v26, 3, v13
	v_lshl_or_b32 v26, v14, 9, v26
	ds_write_b64 v26, v[11:12] offset:13504
; %bb.682:
	s_or_b64 exec, exec, s[0:1]
	s_waitcnt lgkmcnt(0)
	s_barrier
	s_barrier
	s_and_saveexec_b64 s[0:1], s[34:35]
	s_cbranch_execz .LBB54_684
; %bb.683:
	v_lshlrev_b32_e32 v26, 3, v0
	s_movk_i32 s12, 0x1f8
	v_mad_u32_u24 v27, v0, s12, v26
	ds_read_b64 v[11:12], v27 offset:13504
	s_waitcnt lgkmcnt(0)
	ds_write_b64 v26, v[11:12] offset:12496
	ds_read_b64 v[11:12], v27 offset:13512
	s_waitcnt lgkmcnt(0)
	ds_write_b64 v26, v[11:12] offset:13008
.LBB54_684:
	s_or_b64 exec, exec, s[0:1]
	s_waitcnt lgkmcnt(0)
	s_barrier
	s_and_saveexec_b64 s[0:1], vcc
	s_cbranch_execz .LBB54_686
; %bb.685:
	s_movk_i32 s12, 0xc0
	v_mov_b32_e32 v11, 0
	v_add_u32_e64 v26, s12, 0
	ds_read_b64 v[11:12], v11 offset:13000
	ds_read2st64_b64 v[26:29], v26 offset0:24 offset1:25
	s_movk_i32 s12, 0x3000
	s_waitcnt lgkmcnt(0)
	v_mul_f32_e32 v30, v12, v27
	v_mul_f32_e32 v27, v11, v27
	v_fma_f32 v30, v11, v26, -v30
	v_fmac_f32_e32 v27, v12, v26
	v_mul_f32_e32 v11, v27, v29
	v_mul_f32_e32 v12, v30, v29
	v_fma_f32 v11, v30, v28, -v11
	v_fmac_f32_e32 v12, v27, v28
	v_add_u32_e64 v26, s12, 0
	ds_write2_b64 v26, v[11:12], v[11:12] offset0:25 offset1:88
.LBB54_686:
	s_or_b64 exec, exec, s[0:1]
	v_mov_b32_e32 v12, 0
	v_mov_b32_e32 v11, 0
	s_waitcnt lgkmcnt(0)
	s_barrier
	buffer_wbinvl1_vol
	s_and_saveexec_b64 s[0:1], s[8:9]
	s_cbranch_execz .LBB54_696
; %bb.687:
	v_lshlrev_b32_e32 v26, 3, v20
	v_lshlrev_b32_e32 v27, 9, v21
	ds_read_b64 v[11:12], v26 offset:12416
	ds_read_b64 v[28:29], v27 offset:12480
	v_cmp_gt_u32_e64 s[12:13], 56, v16
	s_waitcnt lgkmcnt(0)
	v_mul_f32_e32 v30, v29, v12
	v_mul_f32_e32 v12, v28, v12
	v_fma_f32 v28, v28, v11, -v30
	v_fmac_f32_e32 v12, v29, v11
	v_add_f32_e32 v11, 0, v28
	v_add_f32_e32 v12, 0, v12
	s_and_saveexec_b64 s[14:15], s[12:13]
	s_cbranch_execnz .LBB54_1153
; %bb.688:
	s_or_b64 exec, exec, s[14:15]
	v_cmp_gt_u32_e64 s[12:13], 48, v16
	s_and_saveexec_b64 s[14:15], s[12:13]
	s_cbranch_execnz .LBB54_1154
.LBB54_689:
	s_or_b64 exec, exec, s[14:15]
	v_cmp_gt_u32_e64 s[12:13], 40, v16
	s_and_saveexec_b64 s[14:15], s[12:13]
	s_cbranch_execnz .LBB54_1155
.LBB54_690:
	s_or_b64 exec, exec, s[14:15]
	v_cmp_gt_u32_e64 s[12:13], 32, v16
	s_and_saveexec_b64 s[14:15], s[12:13]
	s_cbranch_execnz .LBB54_1156
.LBB54_691:
	s_or_b64 exec, exec, s[14:15]
	v_cmp_gt_u32_e64 s[12:13], 24, v16
	s_and_saveexec_b64 s[14:15], s[12:13]
	s_cbranch_execnz .LBB54_1157
.LBB54_692:
	s_or_b64 exec, exec, s[14:15]
	s_and_saveexec_b64 s[12:13], s[18:19]
	s_cbranch_execnz .LBB54_1158
.LBB54_693:
	s_or_b64 exec, exec, s[12:13]
	v_cmp_gt_u32_e64 s[12:13], 8, v16
	s_and_saveexec_b64 s[14:15], s[12:13]
	s_cbranch_execz .LBB54_695
.LBB54_694:
	v_lshlrev_b32_e32 v26, 3, v0
	v_mov_b32_e32 v28, 0
	ds_read_b64 v[26:27], v26 offset:16000
	ds_read_b64 v[28:29], v28 offset:16120
	s_waitcnt lgkmcnt(0)
	v_mul_f32_e32 v30, v29, v27
	v_mul_f32_e32 v27, v28, v27
	v_fma_f32 v28, v28, v26, -v30
	v_fmac_f32_e32 v27, v29, v26
	v_add_f32_e32 v11, v11, v28
	v_add_f32_e32 v12, v12, v27
.LBB54_695:
	s_or_b64 exec, exec, s[14:15]
.LBB54_696:
	s_or_b64 exec, exec, s[0:1]
	s_and_saveexec_b64 s[0:1], s[60:61]
	s_cbranch_execz .LBB54_698
; %bb.697:
	v_mov_b32_e32 v26, 0
	ds_read_b64 v[26:27], v26 offset:11960
	s_waitcnt lgkmcnt(0)
	v_mul_f32_e32 v28, v12, v27
	v_mul_f32_e32 v29, v11, v27
	v_fma_f32 v11, v11, v26, -v28
	v_fmac_f32_e32 v29, v12, v26
	v_xor_b32_e32 v26, 0x80000000, v11
	v_xor_b32_e32 v27, 0x80000000, v29
	v_mov_b32_e32 v12, v29
	ds_write_b64 v22, v[26:27]
.LBB54_698:
	s_or_b64 exec, exec, s[0:1]
	s_waitcnt lgkmcnt(0)
	s_barrier
	s_and_saveexec_b64 s[0:1], s[62:63]
	s_cbranch_execz .LBB54_700
; %bb.699:
	v_lshlrev_b32_e32 v26, 3, v20
	ds_read_b64 v[26:27], v26 offset:11904
	ds_read_b64 v[28:29], v22
	s_waitcnt lgkmcnt(0)
	v_mul_f32_e32 v30, v29, v27
	v_mul_f32_e32 v27, v28, v27
	v_fma_f32 v28, v28, v26, -v30
	v_fmac_f32_e32 v27, v29, v26
	v_sub_f32_e32 v11, v11, v28
	v_sub_f32_e32 v12, v12, v27
.LBB54_700:
	s_or_b64 exec, exec, s[0:1]
	s_barrier
	s_and_saveexec_b64 s[0:1], s[64:65]
	s_cbranch_execz .LBB54_702
; %bb.701:
	v_mov_b32_e32 v26, 0
	ds_read_b64 v[26:27], v26 offset:11440
	s_waitcnt lgkmcnt(0)
	v_mul_f32_e32 v28, v12, v27
	v_mul_f32_e32 v29, v11, v27
	v_fma_f32 v11, v11, v26, -v28
	v_fmac_f32_e32 v29, v12, v26
	v_xor_b32_e32 v26, 0x80000000, v11
	v_xor_b32_e32 v27, 0x80000000, v29
	v_mov_b32_e32 v12, v29
	ds_write_b64 v22, v[26:27]
.LBB54_702:
	s_or_b64 exec, exec, s[0:1]
	s_waitcnt lgkmcnt(0)
	s_barrier
	s_and_saveexec_b64 s[0:1], s[66:67]
	s_cbranch_execz .LBB54_704
; %bb.703:
	v_lshlrev_b32_e32 v26, 3, v20
	ds_read_b64 v[26:27], v26 offset:11392
	ds_read_b64 v[28:29], v22
	s_waitcnt lgkmcnt(0)
	v_mul_f32_e32 v30, v29, v27
	v_mul_f32_e32 v27, v28, v27
	v_fma_f32 v28, v28, v26, -v30
	v_fmac_f32_e32 v27, v29, v26
	v_sub_f32_e32 v11, v11, v28
	v_sub_f32_e32 v12, v12, v27
.LBB54_704:
	s_or_b64 exec, exec, s[0:1]
	s_barrier
	;; [unrolled: 34-line block ×6, first 2 shown]
	s_and_saveexec_b64 s[0:1], s[84:85]
	s_cbranch_execz .LBB54_722
; %bb.721:
	v_mov_b32_e32 v26, 0
	ds_read_b64 v[26:27], v26 offset:8840
	s_waitcnt lgkmcnt(0)
	v_mul_f32_e32 v28, v12, v27
	v_mul_f32_e32 v29, v11, v27
	v_fma_f32 v11, v11, v26, -v28
	v_fmac_f32_e32 v29, v12, v26
	v_xor_b32_e32 v26, 0x80000000, v11
	v_xor_b32_e32 v27, 0x80000000, v29
	v_mov_b32_e32 v12, v29
	ds_write_b64 v22, v[26:27]
.LBB54_722:
	s_or_b64 exec, exec, s[0:1]
	s_waitcnt lgkmcnt(0)
	s_barrier
	s_and_saveexec_b64 s[0:1], s[58:59]
	s_cbranch_execz .LBB54_724
; %bb.723:
	v_mov_b32_e32 v26, 0
	ds_read_b64 v[26:27], v26 offset:8832
	ds_read_b64 v[28:29], v22
	s_waitcnt lgkmcnt(0)
	v_mul_f32_e32 v30, v29, v27
	v_mul_f32_e32 v27, v28, v27
	v_fma_f32 v28, v28, v26, -v30
	v_fmac_f32_e32 v27, v29, v26
	v_sub_f32_e32 v11, v11, v28
	v_sub_f32_e32 v12, v12, v27
.LBB54_724:
	s_or_b64 exec, exec, s[0:1]
	s_barrier
	s_and_saveexec_b64 s[0:1], s[58:59]
	s_cbranch_execz .LBB54_726
; %bb.725:
	v_mov_b32_e32 v26, 0
	ds_read_b64 v[26:27], v26 offset:8320
	s_waitcnt lgkmcnt(0)
	v_mul_f32_e32 v28, v12, v27
	v_mul_f32_e32 v29, v11, v27
	v_fma_f32 v11, v11, v26, -v28
	v_fmac_f32_e32 v29, v12, v26
	v_xor_b32_e32 v26, 0x80000000, v11
	v_xor_b32_e32 v27, 0x80000000, v29
	v_mov_b32_e32 v12, v29
	ds_write_b64 v22, v[26:27]
.LBB54_726:
	s_or_b64 exec, exec, s[0:1]
	s_waitcnt lgkmcnt(0)
	s_barrier
	s_barrier
	s_and_saveexec_b64 s[0:1], s[8:9]
; %bb.727:
	v_lshlrev_b32_e32 v26, 3, v20
	v_lshl_or_b32 v26, v21, 9, v26
	ds_write_b64 v26, v[11:12] offset:12416
; %bb.728:
	s_or_b64 exec, exec, s[0:1]
	s_waitcnt lgkmcnt(0)
	s_barrier
	s_barrier
	s_and_saveexec_b64 s[0:1], s[86:87]
	s_cbranch_execz .LBB54_730
; %bb.729:
	v_lshlrev_b32_e32 v26, 9, v0
	ds_read_b64 v[11:12], v26 offset:12416
	s_movk_i32 s12, 0xfe08
	v_mad_i32_i24 v27, v0, s12, v26
	s_waitcnt lgkmcnt(0)
	ds_write_b64 v27, v[11:12] offset:8384
	ds_read_b64 v[11:12], v26 offset:12424
	s_waitcnt lgkmcnt(0)
	ds_write_b64 v27, v[11:12] offset:8896
	ds_read_b64 v[11:12], v26 offset:12432
	;; [unrolled: 3-line block ×7, first 2 shown]
	s_waitcnt lgkmcnt(0)
	ds_write_b64 v27, v[11:12] offset:11968
.LBB54_730:
	s_or_b64 exec, exec, s[0:1]
	s_waitcnt lgkmcnt(0)
	s_barrier
	s_and_saveexec_b64 s[0:1], vcc
	s_cbranch_execz .LBB54_732
; %bb.731:
	s_movk_i32 s12, 0xb0
	v_mov_b32_e32 v11, 0
	v_add_u32_e64 v26, s12, 0
	ds_read_b64 v[11:12], v11 offset:11960
	ds_read2st64_b64 v[26:29], v26 offset0:22 offset1:23
	s_movk_i32 s12, 0x2800
	s_waitcnt lgkmcnt(0)
	v_mul_f32_e32 v30, v12, v27
	v_mul_f32_e32 v27, v11, v27
	v_fma_f32 v30, v11, v26, -v30
	v_fmac_f32_e32 v27, v12, v26
	v_mul_f32_e32 v11, v27, v29
	v_mul_f32_e32 v12, v30, v29
	v_fma_f32 v11, v30, v28, -v11
	v_fmac_f32_e32 v12, v27, v28
	v_add_u32_e64 v26, s12, 0
	ds_write2_b64 v26, v[11:12], v[11:12] offset0:151 offset1:214
.LBB54_732:
	s_or_b64 exec, exec, s[0:1]
	v_mov_b32_e32 v11, 0
	v_mov_b32_e32 v12, 0
	s_waitcnt lgkmcnt(0)
	s_barrier
	buffer_wbinvl1_vol
	s_and_saveexec_b64 s[0:1], s[2:3]
	s_cbranch_execz .LBB54_736
; %bb.733:
	v_lshlrev_b32_e32 v11, 3, v13
	v_lshlrev_b32_e32 v26, 9, v14
	ds_read_b64 v[11:12], v11 offset:11424
	ds_read_b64 v[26:27], v26 offset:11440
	v_cmp_gt_u32_e64 s[12:13], 2, v16
	s_waitcnt lgkmcnt(0)
	v_mul_f32_e32 v28, v27, v12
	v_mul_f32_e32 v12, v26, v12
	v_fma_f32 v26, v26, v11, -v28
	v_fmac_f32_e32 v12, v27, v11
	v_add_f32_e32 v11, 0, v26
	v_add_f32_e32 v12, 0, v12
	s_and_saveexec_b64 s[14:15], s[12:13]
	s_cbranch_execz .LBB54_735
; %bb.734:
	v_lshlrev_b32_e32 v26, 3, v0
	v_mov_b32_e32 v28, 0
	ds_read_b64 v[26:27], v26 offset:11936
	ds_read_b64 v[28:29], v28 offset:11960
	s_waitcnt lgkmcnt(0)
	v_mul_f32_e32 v30, v29, v27
	v_mul_f32_e32 v27, v28, v27
	v_fma_f32 v28, v28, v26, -v30
	v_fmac_f32_e32 v27, v29, v26
	v_add_f32_e32 v11, v11, v28
	v_add_f32_e32 v12, v12, v27
.LBB54_735:
	s_or_b64 exec, exec, s[14:15]
.LBB54_736:
	s_or_b64 exec, exec, s[0:1]
	s_and_saveexec_b64 s[0:1], s[30:31]
	s_cbranch_execz .LBB54_738
; %bb.737:
	v_mov_b32_e32 v26, 0
	ds_read_b64 v[26:27], v26 offset:10920
	s_waitcnt lgkmcnt(0)
	v_mul_f32_e32 v28, v12, v27
	v_mul_f32_e32 v29, v11, v27
	v_fma_f32 v11, v11, v26, -v28
	v_fmac_f32_e32 v29, v12, v26
	v_xor_b32_e32 v26, 0x80000000, v11
	v_xor_b32_e32 v27, 0x80000000, v29
	v_mov_b32_e32 v12, v29
	ds_write_b64 v15, v[26:27]
.LBB54_738:
	s_or_b64 exec, exec, s[0:1]
	s_waitcnt lgkmcnt(0)
	s_barrier
	s_and_saveexec_b64 s[0:1], s[28:29]
	s_cbranch_execz .LBB54_740
; %bb.739:
	v_mov_b32_e32 v26, 0
	ds_read_b64 v[26:27], v26 offset:10912
	ds_read_b64 v[28:29], v15
	s_waitcnt lgkmcnt(0)
	v_mul_f32_e32 v30, v29, v27
	v_mul_f32_e32 v27, v28, v27
	v_fma_f32 v28, v28, v26, -v30
	v_fmac_f32_e32 v27, v29, v26
	v_sub_f32_e32 v11, v11, v28
	v_sub_f32_e32 v12, v12, v27
.LBB54_740:
	s_or_b64 exec, exec, s[0:1]
	s_barrier
	s_and_saveexec_b64 s[0:1], s[28:29]
	s_cbranch_execz .LBB54_742
; %bb.741:
	v_mov_b32_e32 v26, 0
	ds_read_b64 v[26:27], v26 offset:10400
	s_waitcnt lgkmcnt(0)
	v_mul_f32_e32 v28, v12, v27
	v_mul_f32_e32 v29, v11, v27
	v_fma_f32 v11, v11, v26, -v28
	v_fmac_f32_e32 v29, v12, v26
	v_xor_b32_e32 v26, 0x80000000, v11
	v_xor_b32_e32 v27, 0x80000000, v29
	v_mov_b32_e32 v12, v29
	ds_write_b64 v15, v[26:27]
.LBB54_742:
	s_or_b64 exec, exec, s[0:1]
	s_waitcnt lgkmcnt(0)
	s_barrier
	s_barrier
	s_and_saveexec_b64 s[0:1], s[2:3]
; %bb.743:
	v_lshlrev_b32_e32 v26, 3, v13
	v_lshl_or_b32 v26, v14, 9, v26
	ds_write_b64 v26, v[11:12] offset:11424
; %bb.744:
	s_or_b64 exec, exec, s[0:1]
	s_waitcnt lgkmcnt(0)
	s_barrier
	s_barrier
	s_and_saveexec_b64 s[0:1], s[34:35]
	s_cbranch_execz .LBB54_746
; %bb.745:
	v_lshlrev_b32_e32 v26, 3, v0
	s_movk_i32 s12, 0x1f8
	v_mad_u32_u24 v27, v0, s12, v26
	ds_read_b64 v[11:12], v27 offset:11424
	s_waitcnt lgkmcnt(0)
	ds_write_b64 v26, v[11:12] offset:10416
	ds_read_b64 v[11:12], v27 offset:11432
	s_waitcnt lgkmcnt(0)
	ds_write_b64 v26, v[11:12] offset:10928
.LBB54_746:
	s_or_b64 exec, exec, s[0:1]
	s_waitcnt lgkmcnt(0)
	s_barrier
	s_and_saveexec_b64 s[0:1], vcc
	s_cbranch_execz .LBB54_748
; %bb.747:
	s_movk_i32 s12, 0xa0
	v_mov_b32_e32 v11, 0
	v_add_u32_e64 v26, s12, 0
	ds_read_b64 v[11:12], v11 offset:10920
	ds_read2st64_b64 v[26:29], v26 offset0:20 offset1:21
	s_movk_i32 s12, 0x2800
	s_waitcnt lgkmcnt(0)
	v_mul_f32_e32 v30, v12, v27
	v_mul_f32_e32 v27, v11, v27
	v_fma_f32 v30, v11, v26, -v30
	v_fmac_f32_e32 v27, v12, v26
	v_mul_f32_e32 v11, v27, v29
	v_mul_f32_e32 v12, v30, v29
	v_fma_f32 v11, v30, v28, -v11
	v_fmac_f32_e32 v12, v27, v28
	v_add_u32_e64 v26, s12, 0
	ds_write2_b64 v26, v[11:12], v[11:12] offset0:21 offset1:84
.LBB54_748:
	s_or_b64 exec, exec, s[0:1]
	v_mov_b32_e32 v12, 0
	v_mov_b32_e32 v11, 0
	s_waitcnt lgkmcnt(0)
	s_barrier
	buffer_wbinvl1_vol
	s_and_saveexec_b64 s[0:1], s[18:19]
	s_cbranch_execz .LBB54_754
; %bb.749:
	v_lshlrev_b32_e32 v26, 3, v17
	v_lshlrev_b32_e32 v27, 9, v18
	ds_read_b64 v[11:12], v26 offset:10368
	ds_read_b64 v[28:29], v27 offset:10400
	v_cmp_gt_u32_e64 s[12:13], 12, v16
	s_waitcnt lgkmcnt(0)
	v_mul_f32_e32 v30, v29, v12
	v_mul_f32_e32 v12, v28, v12
	v_fma_f32 v28, v28, v11, -v30
	v_fmac_f32_e32 v12, v29, v11
	v_add_f32_e32 v11, 0, v28
	v_add_f32_e32 v12, 0, v12
	s_and_saveexec_b64 s[14:15], s[12:13]
	s_cbranch_execnz .LBB54_1159
; %bb.750:
	s_or_b64 exec, exec, s[14:15]
	v_cmp_gt_u32_e64 s[12:13], 8, v16
	s_and_saveexec_b64 s[14:15], s[12:13]
	s_cbranch_execnz .LBB54_1160
.LBB54_751:
	s_or_b64 exec, exec, s[14:15]
	v_cmp_gt_u32_e64 s[12:13], 4, v16
	s_and_saveexec_b64 s[14:15], s[12:13]
	s_cbranch_execz .LBB54_753
.LBB54_752:
	v_lshlrev_b32_e32 v26, 3, v0
	v_mov_b32_e32 v28, 0
	ds_read_b64 v[26:27], v26 offset:11904
	ds_read_b64 v[28:29], v28 offset:11960
	s_waitcnt lgkmcnt(0)
	v_mul_f32_e32 v30, v29, v27
	v_mul_f32_e32 v27, v28, v27
	v_fma_f32 v28, v28, v26, -v30
	v_fmac_f32_e32 v27, v29, v26
	v_add_f32_e32 v11, v11, v28
	v_add_f32_e32 v12, v12, v27
.LBB54_753:
	s_or_b64 exec, exec, s[14:15]
.LBB54_754:
	s_or_b64 exec, exec, s[0:1]
	s_and_saveexec_b64 s[0:1], s[38:39]
	s_cbranch_execz .LBB54_756
; %bb.755:
	v_mov_b32_e32 v26, 0
	ds_read_b64 v[26:27], v26 offset:9880
	s_waitcnt lgkmcnt(0)
	v_mul_f32_e32 v28, v12, v27
	v_mul_f32_e32 v29, v11, v27
	v_fma_f32 v11, v11, v26, -v28
	v_fmac_f32_e32 v29, v12, v26
	v_xor_b32_e32 v26, 0x80000000, v11
	v_xor_b32_e32 v27, 0x80000000, v29
	v_mov_b32_e32 v12, v29
	ds_write_b64 v19, v[26:27]
.LBB54_756:
	s_or_b64 exec, exec, s[0:1]
	s_waitcnt lgkmcnt(0)
	s_barrier
	s_and_saveexec_b64 s[0:1], s[42:43]
	s_cbranch_execz .LBB54_758
; %bb.757:
	v_lshlrev_b32_e32 v26, 3, v17
	ds_read_b64 v[26:27], v26 offset:9856
	ds_read_b64 v[28:29], v19
	s_waitcnt lgkmcnt(0)
	v_mul_f32_e32 v30, v29, v27
	v_mul_f32_e32 v27, v28, v27
	v_fma_f32 v28, v28, v26, -v30
	v_fmac_f32_e32 v27, v29, v26
	v_sub_f32_e32 v11, v11, v28
	v_sub_f32_e32 v12, v12, v27
.LBB54_758:
	s_or_b64 exec, exec, s[0:1]
	s_barrier
	s_and_saveexec_b64 s[0:1], s[44:45]
	s_cbranch_execz .LBB54_760
; %bb.759:
	v_mov_b32_e32 v26, 0
	ds_read_b64 v[26:27], v26 offset:9360
	s_waitcnt lgkmcnt(0)
	v_mul_f32_e32 v28, v12, v27
	v_mul_f32_e32 v29, v11, v27
	v_fma_f32 v11, v11, v26, -v28
	v_fmac_f32_e32 v29, v12, v26
	v_xor_b32_e32 v26, 0x80000000, v11
	v_xor_b32_e32 v27, 0x80000000, v29
	v_mov_b32_e32 v12, v29
	ds_write_b64 v19, v[26:27]
.LBB54_760:
	s_or_b64 exec, exec, s[0:1]
	s_waitcnt lgkmcnt(0)
	s_barrier
	s_and_saveexec_b64 s[0:1], s[52:53]
	s_cbranch_execz .LBB54_762
; %bb.761:
	v_lshlrev_b32_e32 v26, 3, v17
	ds_read_b64 v[26:27], v26 offset:9344
	ds_read_b64 v[28:29], v19
	s_waitcnt lgkmcnt(0)
	v_mul_f32_e32 v30, v29, v27
	v_mul_f32_e32 v27, v28, v27
	v_fma_f32 v28, v28, v26, -v30
	v_fmac_f32_e32 v27, v29, v26
	v_sub_f32_e32 v11, v11, v28
	v_sub_f32_e32 v12, v12, v27
.LBB54_762:
	s_or_b64 exec, exec, s[0:1]
	s_barrier
	s_and_saveexec_b64 s[0:1], s[54:55]
	s_cbranch_execz .LBB54_764
; %bb.763:
	v_mov_b32_e32 v26, 0
	ds_read_b64 v[26:27], v26 offset:8840
	s_waitcnt lgkmcnt(0)
	v_mul_f32_e32 v28, v12, v27
	v_mul_f32_e32 v29, v11, v27
	v_fma_f32 v11, v11, v26, -v28
	v_fmac_f32_e32 v29, v12, v26
	v_xor_b32_e32 v26, 0x80000000, v11
	v_xor_b32_e32 v27, 0x80000000, v29
	v_mov_b32_e32 v12, v29
	ds_write_b64 v19, v[26:27]
.LBB54_764:
	s_or_b64 exec, exec, s[0:1]
	s_waitcnt lgkmcnt(0)
	s_barrier
	s_and_saveexec_b64 s[0:1], s[36:37]
	s_cbranch_execz .LBB54_766
; %bb.765:
	v_mov_b32_e32 v26, 0
	ds_read_b64 v[26:27], v26 offset:8832
	ds_read_b64 v[28:29], v19
	s_waitcnt lgkmcnt(0)
	v_mul_f32_e32 v30, v29, v27
	v_mul_f32_e32 v27, v28, v27
	v_fma_f32 v28, v28, v26, -v30
	v_fmac_f32_e32 v27, v29, v26
	v_sub_f32_e32 v11, v11, v28
	v_sub_f32_e32 v12, v12, v27
.LBB54_766:
	s_or_b64 exec, exec, s[0:1]
	s_barrier
	s_and_saveexec_b64 s[0:1], s[36:37]
	s_cbranch_execz .LBB54_768
; %bb.767:
	v_mov_b32_e32 v26, 0
	ds_read_b64 v[26:27], v26 offset:8320
	s_waitcnt lgkmcnt(0)
	v_mul_f32_e32 v28, v12, v27
	v_mul_f32_e32 v29, v11, v27
	v_fma_f32 v11, v11, v26, -v28
	v_fmac_f32_e32 v29, v12, v26
	v_xor_b32_e32 v26, 0x80000000, v11
	v_xor_b32_e32 v27, 0x80000000, v29
	v_mov_b32_e32 v12, v29
	ds_write_b64 v19, v[26:27]
.LBB54_768:
	s_or_b64 exec, exec, s[0:1]
	s_waitcnt lgkmcnt(0)
	s_barrier
	s_barrier
	s_and_saveexec_b64 s[0:1], s[18:19]
; %bb.769:
	v_lshlrev_b32_e32 v26, 3, v17
	v_lshl_or_b32 v26, v18, 9, v26
	ds_write_b64 v26, v[11:12] offset:10368
; %bb.770:
	s_or_b64 exec, exec, s[0:1]
	s_waitcnt lgkmcnt(0)
	s_barrier
	s_barrier
	s_and_saveexec_b64 s[0:1], s[56:57]
	s_cbranch_execz .LBB54_772
; %bb.771:
	v_lshlrev_b32_e32 v26, 9, v0
	ds_read_b64 v[11:12], v26 offset:10368
	s_movk_i32 s12, 0xfe08
	v_mad_i32_i24 v27, v0, s12, v26
	s_waitcnt lgkmcnt(0)
	ds_write_b64 v27, v[11:12] offset:8352
	ds_read_b64 v[11:12], v26 offset:10376
	s_waitcnt lgkmcnt(0)
	ds_write_b64 v27, v[11:12] offset:8864
	ds_read_b64 v[11:12], v26 offset:10384
	s_waitcnt lgkmcnt(0)
	ds_write_b64 v27, v[11:12] offset:9376
	ds_read_b64 v[11:12], v26 offset:10392
	s_waitcnt lgkmcnt(0)
	ds_write_b64 v27, v[11:12] offset:9888
.LBB54_772:
	s_or_b64 exec, exec, s[0:1]
	s_waitcnt lgkmcnt(0)
	s_barrier
	s_and_saveexec_b64 s[0:1], vcc
	s_cbranch_execz .LBB54_774
; %bb.773:
	s_movk_i32 s12, 0x90
	v_mov_b32_e32 v11, 0
	v_add_u32_e64 v26, s12, 0
	ds_read_b64 v[11:12], v11 offset:9880
	ds_read2st64_b64 v[26:29], v26 offset0:18 offset1:19
	s_movk_i32 s12, 0x2000
	s_waitcnt lgkmcnt(0)
	v_mul_f32_e32 v30, v12, v27
	v_mul_f32_e32 v27, v11, v27
	v_fma_f32 v30, v11, v26, -v30
	v_fmac_f32_e32 v27, v12, v26
	v_mul_f32_e32 v11, v27, v29
	v_mul_f32_e32 v12, v30, v29
	v_fma_f32 v11, v30, v28, -v11
	v_fmac_f32_e32 v12, v27, v28
	v_add_u32_e64 v26, s12, 0
	ds_write2_b64 v26, v[11:12], v[11:12] offset0:147 offset1:210
.LBB54_774:
	s_or_b64 exec, exec, s[0:1]
	v_mov_b32_e32 v11, 0
	v_mov_b32_e32 v12, 0
	s_waitcnt lgkmcnt(0)
	s_barrier
	buffer_wbinvl1_vol
	s_and_saveexec_b64 s[0:1], s[2:3]
	s_cbranch_execz .LBB54_778
; %bb.775:
	v_lshlrev_b32_e32 v11, 3, v13
	v_lshlrev_b32_e32 v26, 9, v14
	ds_read_b64 v[11:12], v11 offset:9344
	ds_read_b64 v[26:27], v26 offset:9360
	v_cmp_gt_u32_e64 s[12:13], 2, v16
	s_waitcnt lgkmcnt(0)
	v_mul_f32_e32 v28, v27, v12
	v_mul_f32_e32 v12, v26, v12
	v_fma_f32 v26, v26, v11, -v28
	v_fmac_f32_e32 v12, v27, v11
	v_add_f32_e32 v11, 0, v26
	v_add_f32_e32 v12, 0, v12
	s_and_saveexec_b64 s[14:15], s[12:13]
	s_cbranch_execz .LBB54_777
; %bb.776:
	v_lshlrev_b32_e32 v26, 3, v0
	v_mov_b32_e32 v28, 0
	ds_read_b64 v[26:27], v26 offset:9856
	ds_read_b64 v[28:29], v28 offset:9880
	s_waitcnt lgkmcnt(0)
	v_mul_f32_e32 v30, v29, v27
	v_mul_f32_e32 v27, v28, v27
	v_fma_f32 v28, v28, v26, -v30
	v_fmac_f32_e32 v27, v29, v26
	v_add_f32_e32 v11, v11, v28
	v_add_f32_e32 v12, v12, v27
.LBB54_777:
	s_or_b64 exec, exec, s[14:15]
.LBB54_778:
	s_or_b64 exec, exec, s[0:1]
	s_and_saveexec_b64 s[0:1], s[30:31]
	s_cbranch_execz .LBB54_780
; %bb.779:
	v_mov_b32_e32 v26, 0
	ds_read_b64 v[26:27], v26 offset:8840
	s_waitcnt lgkmcnt(0)
	v_mul_f32_e32 v28, v12, v27
	v_mul_f32_e32 v29, v11, v27
	v_fma_f32 v11, v11, v26, -v28
	v_fmac_f32_e32 v29, v12, v26
	v_xor_b32_e32 v26, 0x80000000, v11
	v_xor_b32_e32 v27, 0x80000000, v29
	v_mov_b32_e32 v12, v29
	ds_write_b64 v15, v[26:27]
.LBB54_780:
	s_or_b64 exec, exec, s[0:1]
	s_waitcnt lgkmcnt(0)
	s_barrier
	s_and_saveexec_b64 s[0:1], s[28:29]
	s_cbranch_execz .LBB54_782
; %bb.781:
	v_mov_b32_e32 v26, 0
	ds_read_b64 v[26:27], v26 offset:8832
	ds_read_b64 v[28:29], v15
	s_waitcnt lgkmcnt(0)
	v_mul_f32_e32 v30, v29, v27
	v_mul_f32_e32 v27, v28, v27
	v_fma_f32 v28, v28, v26, -v30
	v_fmac_f32_e32 v27, v29, v26
	v_sub_f32_e32 v11, v11, v28
	v_sub_f32_e32 v12, v12, v27
.LBB54_782:
	s_or_b64 exec, exec, s[0:1]
	s_barrier
	s_and_saveexec_b64 s[0:1], s[28:29]
	s_cbranch_execz .LBB54_784
; %bb.783:
	v_mov_b32_e32 v26, 0
	ds_read_b64 v[26:27], v26 offset:8320
	s_waitcnt lgkmcnt(0)
	v_mul_f32_e32 v28, v12, v27
	v_mul_f32_e32 v29, v11, v27
	v_fma_f32 v11, v11, v26, -v28
	v_fmac_f32_e32 v29, v12, v26
	v_xor_b32_e32 v26, 0x80000000, v11
	v_xor_b32_e32 v27, 0x80000000, v29
	v_mov_b32_e32 v12, v29
	ds_write_b64 v15, v[26:27]
.LBB54_784:
	s_or_b64 exec, exec, s[0:1]
	s_waitcnt lgkmcnt(0)
	s_barrier
	s_barrier
	s_and_saveexec_b64 s[0:1], s[2:3]
; %bb.785:
	v_lshlrev_b32_e32 v26, 3, v13
	v_lshl_or_b32 v26, v14, 9, v26
	ds_write_b64 v26, v[11:12] offset:9344
; %bb.786:
	s_or_b64 exec, exec, s[0:1]
	s_waitcnt lgkmcnt(0)
	s_barrier
	s_barrier
	s_and_saveexec_b64 s[0:1], s[34:35]
	s_cbranch_execz .LBB54_788
; %bb.787:
	v_lshlrev_b32_e32 v26, 3, v0
	s_movk_i32 s12, 0x1f8
	v_mad_u32_u24 v27, v0, s12, v26
	ds_read_b64 v[11:12], v27 offset:9344
	s_waitcnt lgkmcnt(0)
	ds_write_b64 v26, v[11:12] offset:8336
	ds_read_b64 v[11:12], v27 offset:9352
	s_waitcnt lgkmcnt(0)
	ds_write_b64 v26, v[11:12] offset:8848
.LBB54_788:
	s_or_b64 exec, exec, s[0:1]
	s_waitcnt lgkmcnt(0)
	s_barrier
	s_and_saveexec_b64 s[0:1], vcc
	s_cbranch_execz .LBB54_790
; %bb.789:
	s_movk_i32 s12, 0x80
	v_mov_b32_e32 v11, 0
	v_add_u32_e64 v26, s12, 0
	ds_read_b64 v[11:12], v11 offset:8840
	ds_read2st64_b64 v[26:29], v26 offset0:16 offset1:17
	s_movk_i32 s12, 0x2000
	s_waitcnt lgkmcnt(0)
	v_mul_f32_e32 v30, v12, v27
	v_mul_f32_e32 v27, v11, v27
	v_fma_f32 v30, v11, v26, -v30
	v_fmac_f32_e32 v27, v12, v26
	v_mul_f32_e32 v11, v27, v29
	v_mul_f32_e32 v12, v30, v29
	v_fma_f32 v11, v30, v28, -v11
	v_fmac_f32_e32 v12, v27, v28
	v_add_u32_e64 v26, s12, 0
	ds_write2_b64 v26, v[11:12], v[11:12] offset0:17 offset1:80
.LBB54_790:
	s_or_b64 exec, exec, s[0:1]
	v_mov_b32_e32 v12, 0
	v_mov_b32_e32 v11, 0
	s_waitcnt lgkmcnt(0)
	s_barrier
	buffer_wbinvl1_vol
	s_and_saveexec_b64 s[0:1], s[10:11]
	s_cbranch_execz .LBB54_818
; %bb.791:
	v_lshlrev_b32_e32 v26, 3, v23
	v_lshlrev_b32_e32 v27, 9, v24
	ds_read_b64 v[11:12], v26 offset:8192
	ds_read_b64 v[28:29], v27 offset:8320
	s_movk_i32 s12, 0xf0
	v_cmp_gt_u32_e64 s[12:13], s12, v16
	s_waitcnt lgkmcnt(0)
	v_mul_f32_e32 v30, v29, v12
	v_mul_f32_e32 v12, v28, v12
	v_fma_f32 v28, v28, v11, -v30
	v_fmac_f32_e32 v12, v29, v11
	v_add_f32_e32 v11, 0, v28
	v_add_f32_e32 v12, 0, v12
	s_and_saveexec_b64 s[14:15], s[12:13]
	s_cbranch_execz .LBB54_793
; %bb.792:
	ds_read_b64 v[28:29], v26 offset:8704
	ds_read_b64 v[30:31], v27 offset:8328
	s_waitcnt lgkmcnt(0)
	v_mul_f32_e32 v32, v31, v29
	v_mul_f32_e32 v29, v30, v29
	v_fma_f32 v30, v30, v28, -v32
	v_fmac_f32_e32 v29, v31, v28
	v_add_f32_e32 v11, v11, v30
	v_add_f32_e32 v12, v12, v29
.LBB54_793:
	s_or_b64 exec, exec, s[14:15]
	s_movk_i32 s12, 0xe0
	v_cmp_gt_u32_e64 s[12:13], s12, v16
	s_and_saveexec_b64 s[14:15], s[12:13]
	s_cbranch_execz .LBB54_795
; %bb.794:
	ds_read_b64 v[28:29], v26 offset:9216
	ds_read_b64 v[30:31], v27 offset:8336
	s_waitcnt lgkmcnt(0)
	v_mul_f32_e32 v32, v31, v29
	v_mul_f32_e32 v29, v30, v29
	v_fma_f32 v30, v30, v28, -v32
	v_fmac_f32_e32 v29, v31, v28
	v_add_f32_e32 v11, v11, v30
	v_add_f32_e32 v12, v12, v29
.LBB54_795:
	s_or_b64 exec, exec, s[14:15]
	s_movk_i32 s12, 0xd0
	v_cmp_gt_u32_e64 s[12:13], s12, v16
	;; [unrolled: 16-line block ×10, first 2 shown]
	s_and_saveexec_b64 s[14:15], s[12:13]
	s_cbranch_execnz .LBB54_1161
; %bb.812:
	s_or_b64 exec, exec, s[14:15]
	s_and_saveexec_b64 s[12:13], s[8:9]
	s_cbranch_execnz .LBB54_1162
.LBB54_813:
	s_or_b64 exec, exec, s[12:13]
	v_cmp_gt_u32_e64 s[12:13], 48, v16
	s_and_saveexec_b64 s[14:15], s[12:13]
	s_cbranch_execnz .LBB54_1163
.LBB54_814:
	s_or_b64 exec, exec, s[14:15]
	v_cmp_gt_u32_e64 s[12:13], 32, v16
	s_and_saveexec_b64 s[14:15], s[12:13]
	s_cbranch_execnz .LBB54_1164
.LBB54_815:
	s_or_b64 exec, exec, s[14:15]
	v_cmp_gt_u32_e64 s[12:13], 16, v16
	s_and_saveexec_b64 s[14:15], s[12:13]
	s_cbranch_execz .LBB54_817
.LBB54_816:
	v_lshlrev_b32_e32 v26, 3, v0
	v_mov_b32_e32 v28, 0
	ds_read_b64 v[26:27], v26 offset:15872
	ds_read_b64 v[28:29], v28 offset:16120
	s_waitcnt lgkmcnt(0)
	v_mul_f32_e32 v30, v29, v27
	v_mul_f32_e32 v27, v28, v27
	v_fma_f32 v28, v28, v26, -v30
	v_fmac_f32_e32 v27, v29, v26
	v_add_f32_e32 v11, v11, v28
	v_add_f32_e32 v12, v12, v27
.LBB54_817:
	s_or_b64 exec, exec, s[14:15]
.LBB54_818:
	s_or_b64 exec, exec, s[0:1]
	s_mov_b64 s[0:1], exec
	v_readlane_b32 s12, v38, 5
	v_readlane_b32 s13, v38, 6
	s_and_b64 s[12:13], s[0:1], s[12:13]
	s_mov_b64 exec, s[12:13]
	s_cbranch_execz .LBB54_820
; %bb.819:
	v_mov_b32_e32 v26, 0
	ds_read_b64 v[26:27], v26 offset:7800
	s_waitcnt lgkmcnt(0)
	v_mul_f32_e32 v28, v12, v27
	v_mul_f32_e32 v29, v11, v27
	v_fma_f32 v11, v11, v26, -v28
	v_fmac_f32_e32 v29, v12, v26
	v_xor_b32_e32 v26, 0x80000000, v11
	v_xor_b32_e32 v27, 0x80000000, v29
	v_mov_b32_e32 v12, v29
	ds_write_b64 v25, v[26:27]
.LBB54_820:
	s_or_b64 exec, exec, s[0:1]
	s_waitcnt lgkmcnt(0)
	s_barrier
	s_mov_b64 s[0:1], exec
	v_readlane_b32 s12, v38, 7
	v_readlane_b32 s13, v38, 8
	s_and_b64 s[12:13], s[0:1], s[12:13]
	s_mov_b64 exec, s[12:13]
	s_cbranch_execz .LBB54_822
; %bb.821:
	v_lshlrev_b32_e32 v26, 3, v23
	ds_read_b64 v[26:27], v26 offset:7680
	ds_read_b64 v[28:29], v25
	s_waitcnt lgkmcnt(0)
	v_mul_f32_e32 v30, v29, v27
	v_mul_f32_e32 v27, v28, v27
	v_fma_f32 v28, v28, v26, -v30
	v_fmac_f32_e32 v27, v29, v26
	v_sub_f32_e32 v11, v11, v28
	v_sub_f32_e32 v12, v12, v27
.LBB54_822:
	s_or_b64 exec, exec, s[0:1]
	s_barrier
	s_mov_b64 s[0:1], exec
	v_readlane_b32 s12, v38, 9
	v_readlane_b32 s13, v38, 10
	s_and_b64 s[12:13], s[0:1], s[12:13]
	s_mov_b64 exec, s[12:13]
	s_cbranch_execz .LBB54_824
; %bb.823:
	v_mov_b32_e32 v26, 0
	ds_read_b64 v[26:27], v26 offset:7280
	s_waitcnt lgkmcnt(0)
	v_mul_f32_e32 v28, v12, v27
	v_mul_f32_e32 v29, v11, v27
	v_fma_f32 v11, v11, v26, -v28
	v_fmac_f32_e32 v29, v12, v26
	v_xor_b32_e32 v26, 0x80000000, v11
	v_xor_b32_e32 v27, 0x80000000, v29
	v_mov_b32_e32 v12, v29
	ds_write_b64 v25, v[26:27]
.LBB54_824:
	s_or_b64 exec, exec, s[0:1]
	s_waitcnt lgkmcnt(0)
	s_barrier
	s_mov_b64 s[0:1], exec
	v_readlane_b32 s12, v38, 11
	v_readlane_b32 s13, v38, 12
	s_and_b64 s[12:13], s[0:1], s[12:13]
	s_mov_b64 exec, s[12:13]
	s_cbranch_execz .LBB54_826
; %bb.825:
	v_lshlrev_b32_e32 v26, 3, v23
	ds_read_b64 v[26:27], v26 offset:7168
	ds_read_b64 v[28:29], v25
	s_waitcnt lgkmcnt(0)
	v_mul_f32_e32 v30, v29, v27
	v_mul_f32_e32 v27, v28, v27
	v_fma_f32 v28, v28, v26, -v30
	v_fmac_f32_e32 v27, v29, v26
	v_sub_f32_e32 v11, v11, v28
	v_sub_f32_e32 v12, v12, v27
.LBB54_826:
	s_or_b64 exec, exec, s[0:1]
	s_barrier
	;; [unrolled: 42-line block ×14, first 2 shown]
	s_mov_b64 s[0:1], exec
	v_readlane_b32 s12, v38, 61
	v_readlane_b32 s13, v38, 62
	s_and_b64 s[12:13], s[0:1], s[12:13]
	s_mov_b64 exec, s[12:13]
	s_cbranch_execz .LBB54_876
; %bb.875:
	v_mov_b32_e32 v26, 0
	ds_read_b64 v[26:27], v26 offset:520
	s_waitcnt lgkmcnt(0)
	v_mul_f32_e32 v28, v12, v27
	v_mul_f32_e32 v29, v11, v27
	v_fma_f32 v11, v11, v26, -v28
	v_fmac_f32_e32 v29, v12, v26
	v_xor_b32_e32 v26, 0x80000000, v11
	v_xor_b32_e32 v27, 0x80000000, v29
	v_mov_b32_e32 v12, v29
	ds_write_b64 v25, v[26:27]
.LBB54_876:
	s_or_b64 exec, exec, s[0:1]
	s_waitcnt lgkmcnt(0)
	s_barrier
	s_and_saveexec_b64 s[0:1], s[90:91]
	s_cbranch_execz .LBB54_878
; %bb.877:
	v_mov_b32_e32 v26, 0
	ds_read_b64 v[26:27], v26 offset:512
	ds_read_b64 v[28:29], v25
	s_waitcnt lgkmcnt(0)
	v_mul_f32_e32 v30, v29, v27
	v_mul_f32_e32 v27, v28, v27
	v_fma_f32 v28, v28, v26, -v30
	v_fmac_f32_e32 v27, v29, v26
	v_sub_f32_e32 v11, v11, v28
	v_sub_f32_e32 v12, v12, v27
.LBB54_878:
	s_or_b64 exec, exec, s[0:1]
	s_barrier
	s_and_saveexec_b64 s[0:1], s[90:91]
	s_cbranch_execz .LBB54_880
; %bb.879:
	v_mov_b32_e32 v26, 0
	ds_read_b64 v[26:27], v26
	s_waitcnt lgkmcnt(0)
	v_mul_f32_e32 v28, v12, v27
	v_mul_f32_e32 v29, v11, v27
	v_fma_f32 v11, v11, v26, -v28
	v_fmac_f32_e32 v29, v12, v26
	v_xor_b32_e32 v26, 0x80000000, v11
	v_xor_b32_e32 v27, 0x80000000, v29
	v_mov_b32_e32 v12, v29
	ds_write_b64 v25, v[26:27]
.LBB54_880:
	s_or_b64 exec, exec, s[0:1]
	s_waitcnt lgkmcnt(0)
	s_barrier
	s_barrier
	s_and_saveexec_b64 s[0:1], s[10:11]
; %bb.881:
	v_lshlrev_b32_e32 v23, 3, v23
	v_lshl_or_b32 v23, v24, 9, v23
	ds_write_b64 v23, v[11:12] offset:8192
; %bb.882:
	s_or_b64 exec, exec, s[0:1]
	s_waitcnt lgkmcnt(0)
	s_barrier
	s_barrier
	s_and_saveexec_b64 s[0:1], s[92:93]
	s_cbranch_execz .LBB54_884
; %bb.883:
	v_lshlrev_b32_e32 v23, 9, v0
	ds_read_b64 v[11:12], v23 offset:8192
	s_movk_i32 s10, 0xfe08
	v_mad_i32_i24 v24, v0, s10, v23
	s_waitcnt lgkmcnt(0)
	ds_write_b64 v24, v[11:12] offset:128
	ds_read_b64 v[11:12], v23 offset:8200
	s_waitcnt lgkmcnt(0)
	ds_write_b64 v24, v[11:12] offset:640
	ds_read_b64 v[11:12], v23 offset:8208
	;; [unrolled: 3-line block ×15, first 2 shown]
	s_waitcnt lgkmcnt(0)
	ds_write_b64 v24, v[11:12] offset:7808
.LBB54_884:
	s_or_b64 exec, exec, s[0:1]
	s_waitcnt lgkmcnt(0)
	s_barrier
	s_and_saveexec_b64 s[0:1], vcc
	s_cbranch_execz .LBB54_886
; %bb.885:
	s_movk_i32 s10, 0x70
	v_mov_b32_e32 v11, 0
	v_add_u32_e64 v23, s10, 0
	ds_read_b64 v[11:12], v11 offset:7800
	ds_read2st64_b64 v[23:26], v23 offset0:14 offset1:15
	s_movk_i32 s10, 0x1800
	s_waitcnt lgkmcnt(0)
	v_mul_f32_e32 v27, v12, v24
	v_mul_f32_e32 v24, v11, v24
	v_fma_f32 v27, v11, v23, -v27
	v_fmac_f32_e32 v24, v12, v23
	v_mul_f32_e32 v11, v24, v26
	v_mul_f32_e32 v12, v27, v26
	v_fma_f32 v11, v27, v25, -v11
	v_fmac_f32_e32 v12, v24, v25
	v_add_u32_e64 v23, s10, 0
	ds_write2_b64 v23, v[11:12], v[11:12] offset0:143 offset1:206
.LBB54_886:
	s_or_b64 exec, exec, s[0:1]
	v_mov_b32_e32 v11, 0
	v_mov_b32_e32 v12, 0
	s_waitcnt lgkmcnt(0)
	s_barrier
	buffer_wbinvl1_vol
	s_and_saveexec_b64 s[0:1], s[2:3]
	s_cbranch_execz .LBB54_890
; %bb.887:
	v_lshlrev_b32_e32 v11, 3, v13
	v_lshlrev_b32_e32 v23, 9, v14
	ds_read_b64 v[11:12], v11 offset:7264
	ds_read_b64 v[23:24], v23 offset:7280
	v_cmp_gt_u32_e64 s[10:11], 2, v16
	s_waitcnt lgkmcnt(0)
	v_mul_f32_e32 v25, v24, v12
	v_mul_f32_e32 v12, v23, v12
	v_fma_f32 v23, v23, v11, -v25
	v_fmac_f32_e32 v12, v24, v11
	v_add_f32_e32 v11, 0, v23
	v_add_f32_e32 v12, 0, v12
	s_and_saveexec_b64 s[12:13], s[10:11]
	s_cbranch_execz .LBB54_889
; %bb.888:
	v_lshlrev_b32_e32 v23, 3, v0
	v_mov_b32_e32 v25, 0
	ds_read_b64 v[23:24], v23 offset:7776
	ds_read_b64 v[25:26], v25 offset:7800
	s_waitcnt lgkmcnt(0)
	v_mul_f32_e32 v27, v26, v24
	v_mul_f32_e32 v24, v25, v24
	v_fma_f32 v25, v25, v23, -v27
	v_fmac_f32_e32 v24, v26, v23
	v_add_f32_e32 v11, v11, v25
	v_add_f32_e32 v12, v12, v24
.LBB54_889:
	s_or_b64 exec, exec, s[12:13]
.LBB54_890:
	s_or_b64 exec, exec, s[0:1]
	s_and_saveexec_b64 s[0:1], s[30:31]
	s_cbranch_execz .LBB54_892
; %bb.891:
	v_mov_b32_e32 v23, 0
	ds_read_b64 v[23:24], v23 offset:6760
	s_waitcnt lgkmcnt(0)
	v_mul_f32_e32 v25, v12, v24
	v_mul_f32_e32 v26, v11, v24
	v_fma_f32 v11, v11, v23, -v25
	v_fmac_f32_e32 v26, v12, v23
	v_xor_b32_e32 v23, 0x80000000, v11
	v_xor_b32_e32 v24, 0x80000000, v26
	v_mov_b32_e32 v12, v26
	ds_write_b64 v15, v[23:24]
.LBB54_892:
	s_or_b64 exec, exec, s[0:1]
	s_waitcnt lgkmcnt(0)
	s_barrier
	s_and_saveexec_b64 s[0:1], s[28:29]
	s_cbranch_execz .LBB54_894
; %bb.893:
	v_mov_b32_e32 v23, 0
	ds_read_b64 v[23:24], v23 offset:6752
	ds_read_b64 v[25:26], v15
	s_waitcnt lgkmcnt(0)
	v_mul_f32_e32 v27, v26, v24
	v_mul_f32_e32 v24, v25, v24
	v_fma_f32 v25, v25, v23, -v27
	v_fmac_f32_e32 v24, v26, v23
	v_sub_f32_e32 v11, v11, v25
	v_sub_f32_e32 v12, v12, v24
.LBB54_894:
	s_or_b64 exec, exec, s[0:1]
	s_barrier
	s_and_saveexec_b64 s[0:1], s[28:29]
	s_cbranch_execz .LBB54_896
; %bb.895:
	v_mov_b32_e32 v23, 0
	ds_read_b64 v[23:24], v23 offset:6240
	s_waitcnt lgkmcnt(0)
	v_mul_f32_e32 v25, v12, v24
	v_mul_f32_e32 v26, v11, v24
	v_fma_f32 v11, v11, v23, -v25
	v_fmac_f32_e32 v26, v12, v23
	v_xor_b32_e32 v23, 0x80000000, v11
	v_xor_b32_e32 v24, 0x80000000, v26
	v_mov_b32_e32 v12, v26
	ds_write_b64 v15, v[23:24]
.LBB54_896:
	s_or_b64 exec, exec, s[0:1]
	s_waitcnt lgkmcnt(0)
	s_barrier
	s_barrier
	s_and_saveexec_b64 s[0:1], s[2:3]
; %bb.897:
	v_lshlrev_b32_e32 v23, 3, v13
	v_lshl_or_b32 v23, v14, 9, v23
	ds_write_b64 v23, v[11:12] offset:7264
; %bb.898:
	s_or_b64 exec, exec, s[0:1]
	s_waitcnt lgkmcnt(0)
	s_barrier
	s_barrier
	s_and_saveexec_b64 s[0:1], s[34:35]
	s_cbranch_execz .LBB54_900
; %bb.899:
	v_lshlrev_b32_e32 v23, 3, v0
	s_movk_i32 s10, 0x1f8
	v_mad_u32_u24 v24, v0, s10, v23
	ds_read_b64 v[11:12], v24 offset:7264
	s_waitcnt lgkmcnt(0)
	ds_write_b64 v23, v[11:12] offset:6256
	ds_read_b64 v[11:12], v24 offset:7272
	s_waitcnt lgkmcnt(0)
	ds_write_b64 v23, v[11:12] offset:6768
.LBB54_900:
	s_or_b64 exec, exec, s[0:1]
	s_waitcnt lgkmcnt(0)
	s_barrier
	s_and_saveexec_b64 s[0:1], vcc
	s_cbranch_execz .LBB54_902
; %bb.901:
	s_movk_i32 s10, 0x60
	v_mov_b32_e32 v11, 0
	v_add_u32_e64 v23, s10, 0
	ds_read_b64 v[11:12], v11 offset:6760
	ds_read2st64_b64 v[23:26], v23 offset0:12 offset1:13
	s_movk_i32 s10, 0x1800
	s_waitcnt lgkmcnt(0)
	v_mul_f32_e32 v27, v12, v24
	v_mul_f32_e32 v24, v11, v24
	v_fma_f32 v27, v11, v23, -v27
	v_fmac_f32_e32 v24, v12, v23
	v_mul_f32_e32 v11, v24, v26
	v_mul_f32_e32 v12, v27, v26
	v_fma_f32 v11, v27, v25, -v11
	v_fmac_f32_e32 v12, v24, v25
	v_add_u32_e64 v23, s10, 0
	ds_write2_b64 v23, v[11:12], v[11:12] offset0:13 offset1:76
.LBB54_902:
	s_or_b64 exec, exec, s[0:1]
	v_mov_b32_e32 v12, 0
	v_mov_b32_e32 v11, 0
	s_waitcnt lgkmcnt(0)
	s_barrier
	buffer_wbinvl1_vol
	s_and_saveexec_b64 s[0:1], s[18:19]
	s_cbranch_execz .LBB54_908
; %bb.903:
	v_lshlrev_b32_e32 v23, 3, v17
	v_lshlrev_b32_e32 v24, 9, v18
	ds_read_b64 v[11:12], v23 offset:6208
	ds_read_b64 v[25:26], v24 offset:6240
	v_cmp_gt_u32_e64 s[10:11], 12, v16
	s_waitcnt lgkmcnt(0)
	v_mul_f32_e32 v27, v26, v12
	v_mul_f32_e32 v12, v25, v12
	v_fma_f32 v25, v25, v11, -v27
	v_fmac_f32_e32 v12, v26, v11
	v_add_f32_e32 v11, 0, v25
	v_add_f32_e32 v12, 0, v12
	s_and_saveexec_b64 s[12:13], s[10:11]
	s_cbranch_execnz .LBB54_1165
; %bb.904:
	s_or_b64 exec, exec, s[12:13]
	v_cmp_gt_u32_e64 s[10:11], 8, v16
	s_and_saveexec_b64 s[12:13], s[10:11]
	s_cbranch_execnz .LBB54_1166
.LBB54_905:
	s_or_b64 exec, exec, s[12:13]
	v_cmp_gt_u32_e64 s[10:11], 4, v16
	s_and_saveexec_b64 s[12:13], s[10:11]
	s_cbranch_execz .LBB54_907
.LBB54_906:
	v_lshlrev_b32_e32 v23, 3, v0
	v_mov_b32_e32 v25, 0
	ds_read_b64 v[23:24], v23 offset:7744
	ds_read_b64 v[25:26], v25 offset:7800
	s_waitcnt lgkmcnt(0)
	v_mul_f32_e32 v27, v26, v24
	v_mul_f32_e32 v24, v25, v24
	v_fma_f32 v25, v25, v23, -v27
	v_fmac_f32_e32 v24, v26, v23
	v_add_f32_e32 v11, v11, v25
	v_add_f32_e32 v12, v12, v24
.LBB54_907:
	s_or_b64 exec, exec, s[12:13]
.LBB54_908:
	s_or_b64 exec, exec, s[0:1]
	s_and_saveexec_b64 s[0:1], s[38:39]
	s_cbranch_execz .LBB54_910
; %bb.909:
	v_mov_b32_e32 v23, 0
	ds_read_b64 v[23:24], v23 offset:5720
	s_waitcnt lgkmcnt(0)
	v_mul_f32_e32 v25, v12, v24
	v_mul_f32_e32 v26, v11, v24
	v_fma_f32 v11, v11, v23, -v25
	v_fmac_f32_e32 v26, v12, v23
	v_xor_b32_e32 v23, 0x80000000, v11
	v_xor_b32_e32 v24, 0x80000000, v26
	v_mov_b32_e32 v12, v26
	ds_write_b64 v19, v[23:24]
.LBB54_910:
	s_or_b64 exec, exec, s[0:1]
	s_waitcnt lgkmcnt(0)
	s_barrier
	s_and_saveexec_b64 s[0:1], s[42:43]
	s_cbranch_execz .LBB54_912
; %bb.911:
	v_lshlrev_b32_e32 v23, 3, v17
	ds_read_b64 v[23:24], v23 offset:5696
	ds_read_b64 v[25:26], v19
	s_waitcnt lgkmcnt(0)
	v_mul_f32_e32 v27, v26, v24
	v_mul_f32_e32 v24, v25, v24
	v_fma_f32 v25, v25, v23, -v27
	v_fmac_f32_e32 v24, v26, v23
	v_sub_f32_e32 v11, v11, v25
	v_sub_f32_e32 v12, v12, v24
.LBB54_912:
	s_or_b64 exec, exec, s[0:1]
	s_barrier
	s_and_saveexec_b64 s[0:1], s[44:45]
	s_cbranch_execz .LBB54_914
; %bb.913:
	v_mov_b32_e32 v23, 0
	ds_read_b64 v[23:24], v23 offset:5200
	s_waitcnt lgkmcnt(0)
	v_mul_f32_e32 v25, v12, v24
	v_mul_f32_e32 v26, v11, v24
	v_fma_f32 v11, v11, v23, -v25
	v_fmac_f32_e32 v26, v12, v23
	v_xor_b32_e32 v23, 0x80000000, v11
	v_xor_b32_e32 v24, 0x80000000, v26
	v_mov_b32_e32 v12, v26
	ds_write_b64 v19, v[23:24]
.LBB54_914:
	s_or_b64 exec, exec, s[0:1]
	s_waitcnt lgkmcnt(0)
	s_barrier
	s_and_saveexec_b64 s[0:1], s[52:53]
	s_cbranch_execz .LBB54_916
; %bb.915:
	v_lshlrev_b32_e32 v23, 3, v17
	ds_read_b64 v[23:24], v23 offset:5184
	ds_read_b64 v[25:26], v19
	s_waitcnt lgkmcnt(0)
	v_mul_f32_e32 v27, v26, v24
	v_mul_f32_e32 v24, v25, v24
	v_fma_f32 v25, v25, v23, -v27
	v_fmac_f32_e32 v24, v26, v23
	v_sub_f32_e32 v11, v11, v25
	v_sub_f32_e32 v12, v12, v24
.LBB54_916:
	s_or_b64 exec, exec, s[0:1]
	s_barrier
	s_and_saveexec_b64 s[0:1], s[54:55]
	s_cbranch_execz .LBB54_918
; %bb.917:
	v_mov_b32_e32 v23, 0
	ds_read_b64 v[23:24], v23 offset:4680
	s_waitcnt lgkmcnt(0)
	v_mul_f32_e32 v25, v12, v24
	v_mul_f32_e32 v26, v11, v24
	v_fma_f32 v11, v11, v23, -v25
	v_fmac_f32_e32 v26, v12, v23
	v_xor_b32_e32 v23, 0x80000000, v11
	v_xor_b32_e32 v24, 0x80000000, v26
	v_mov_b32_e32 v12, v26
	ds_write_b64 v19, v[23:24]
.LBB54_918:
	s_or_b64 exec, exec, s[0:1]
	s_waitcnt lgkmcnt(0)
	s_barrier
	s_and_saveexec_b64 s[0:1], s[36:37]
	s_cbranch_execz .LBB54_920
; %bb.919:
	v_mov_b32_e32 v23, 0
	ds_read_b64 v[23:24], v23 offset:4672
	ds_read_b64 v[25:26], v19
	s_waitcnt lgkmcnt(0)
	v_mul_f32_e32 v27, v26, v24
	v_mul_f32_e32 v24, v25, v24
	v_fma_f32 v25, v25, v23, -v27
	v_fmac_f32_e32 v24, v26, v23
	v_sub_f32_e32 v11, v11, v25
	v_sub_f32_e32 v12, v12, v24
.LBB54_920:
	s_or_b64 exec, exec, s[0:1]
	s_barrier
	s_and_saveexec_b64 s[0:1], s[36:37]
	s_cbranch_execz .LBB54_922
; %bb.921:
	v_mov_b32_e32 v23, 0
	ds_read_b64 v[23:24], v23 offset:4160
	s_waitcnt lgkmcnt(0)
	v_mul_f32_e32 v25, v12, v24
	v_mul_f32_e32 v26, v11, v24
	v_fma_f32 v11, v11, v23, -v25
	v_fmac_f32_e32 v26, v12, v23
	v_xor_b32_e32 v23, 0x80000000, v11
	v_xor_b32_e32 v24, 0x80000000, v26
	v_mov_b32_e32 v12, v26
	ds_write_b64 v19, v[23:24]
.LBB54_922:
	s_or_b64 exec, exec, s[0:1]
	s_waitcnt lgkmcnt(0)
	s_barrier
	s_barrier
	s_and_saveexec_b64 s[0:1], s[18:19]
; %bb.923:
	v_lshlrev_b32_e32 v23, 3, v17
	v_lshl_or_b32 v23, v18, 9, v23
	ds_write_b64 v23, v[11:12] offset:6208
; %bb.924:
	s_or_b64 exec, exec, s[0:1]
	s_waitcnt lgkmcnt(0)
	s_barrier
	s_barrier
	s_and_saveexec_b64 s[0:1], s[56:57]
	s_cbranch_execz .LBB54_926
; %bb.925:
	v_lshlrev_b32_e32 v23, 9, v0
	ds_read_b64 v[11:12], v23 offset:6208
	s_movk_i32 s10, 0xfe08
	v_mad_i32_i24 v24, v0, s10, v23
	s_waitcnt lgkmcnt(0)
	ds_write_b64 v24, v[11:12] offset:4192
	ds_read_b64 v[11:12], v23 offset:6216
	s_waitcnt lgkmcnt(0)
	ds_write_b64 v24, v[11:12] offset:4704
	ds_read_b64 v[11:12], v23 offset:6224
	s_waitcnt lgkmcnt(0)
	ds_write_b64 v24, v[11:12] offset:5216
	ds_read_b64 v[11:12], v23 offset:6232
	s_waitcnt lgkmcnt(0)
	ds_write_b64 v24, v[11:12] offset:5728
.LBB54_926:
	s_or_b64 exec, exec, s[0:1]
	s_waitcnt lgkmcnt(0)
	s_barrier
	s_and_saveexec_b64 s[0:1], vcc
	s_cbranch_execz .LBB54_928
; %bb.927:
	s_movk_i32 s10, 0x50
	v_mov_b32_e32 v11, 0
	v_add_u32_e64 v23, s10, 0
	ds_read_b64 v[11:12], v11 offset:5720
	ds_read2st64_b64 v[23:26], v23 offset0:10 offset1:11
	s_movk_i32 s10, 0x1000
	s_waitcnt lgkmcnt(0)
	v_mul_f32_e32 v27, v12, v24
	v_mul_f32_e32 v24, v11, v24
	v_fma_f32 v27, v11, v23, -v27
	v_fmac_f32_e32 v24, v12, v23
	v_mul_f32_e32 v11, v24, v26
	v_mul_f32_e32 v12, v27, v26
	v_fma_f32 v11, v27, v25, -v11
	v_fmac_f32_e32 v12, v24, v25
	v_add_u32_e64 v23, s10, 0
	ds_write2_b64 v23, v[11:12], v[11:12] offset0:139 offset1:202
.LBB54_928:
	s_or_b64 exec, exec, s[0:1]
	v_mov_b32_e32 v11, 0
	v_mov_b32_e32 v12, 0
	s_waitcnt lgkmcnt(0)
	s_barrier
	buffer_wbinvl1_vol
	s_and_saveexec_b64 s[0:1], s[2:3]
	s_cbranch_execz .LBB54_932
; %bb.929:
	v_lshlrev_b32_e32 v11, 3, v13
	v_lshlrev_b32_e32 v23, 9, v14
	ds_read_b64 v[11:12], v11 offset:5184
	ds_read_b64 v[23:24], v23 offset:5200
	v_cmp_gt_u32_e64 s[10:11], 2, v16
	s_waitcnt lgkmcnt(0)
	v_mul_f32_e32 v25, v24, v12
	v_mul_f32_e32 v12, v23, v12
	v_fma_f32 v23, v23, v11, -v25
	v_fmac_f32_e32 v12, v24, v11
	v_add_f32_e32 v11, 0, v23
	v_add_f32_e32 v12, 0, v12
	s_and_saveexec_b64 s[12:13], s[10:11]
	s_cbranch_execz .LBB54_931
; %bb.930:
	v_lshlrev_b32_e32 v23, 3, v0
	v_mov_b32_e32 v25, 0
	ds_read_b64 v[23:24], v23 offset:5696
	ds_read_b64 v[25:26], v25 offset:5720
	s_waitcnt lgkmcnt(0)
	v_mul_f32_e32 v27, v26, v24
	v_mul_f32_e32 v24, v25, v24
	v_fma_f32 v25, v25, v23, -v27
	v_fmac_f32_e32 v24, v26, v23
	v_add_f32_e32 v11, v11, v25
	v_add_f32_e32 v12, v12, v24
.LBB54_931:
	s_or_b64 exec, exec, s[12:13]
.LBB54_932:
	s_or_b64 exec, exec, s[0:1]
	s_and_saveexec_b64 s[0:1], s[30:31]
	s_cbranch_execz .LBB54_934
; %bb.933:
	v_mov_b32_e32 v23, 0
	ds_read_b64 v[23:24], v23 offset:4680
	s_waitcnt lgkmcnt(0)
	v_mul_f32_e32 v25, v12, v24
	v_mul_f32_e32 v26, v11, v24
	v_fma_f32 v11, v11, v23, -v25
	v_fmac_f32_e32 v26, v12, v23
	v_xor_b32_e32 v23, 0x80000000, v11
	v_xor_b32_e32 v24, 0x80000000, v26
	v_mov_b32_e32 v12, v26
	ds_write_b64 v15, v[23:24]
.LBB54_934:
	s_or_b64 exec, exec, s[0:1]
	s_waitcnt lgkmcnt(0)
	s_barrier
	s_and_saveexec_b64 s[0:1], s[28:29]
	s_cbranch_execz .LBB54_936
; %bb.935:
	v_mov_b32_e32 v23, 0
	ds_read_b64 v[23:24], v23 offset:4672
	ds_read_b64 v[25:26], v15
	s_waitcnt lgkmcnt(0)
	v_mul_f32_e32 v27, v26, v24
	v_mul_f32_e32 v24, v25, v24
	v_fma_f32 v25, v25, v23, -v27
	v_fmac_f32_e32 v24, v26, v23
	v_sub_f32_e32 v11, v11, v25
	v_sub_f32_e32 v12, v12, v24
.LBB54_936:
	s_or_b64 exec, exec, s[0:1]
	s_barrier
	s_and_saveexec_b64 s[0:1], s[28:29]
	s_cbranch_execz .LBB54_938
; %bb.937:
	v_mov_b32_e32 v23, 0
	ds_read_b64 v[23:24], v23 offset:4160
	s_waitcnt lgkmcnt(0)
	v_mul_f32_e32 v25, v12, v24
	v_mul_f32_e32 v26, v11, v24
	v_fma_f32 v11, v11, v23, -v25
	v_fmac_f32_e32 v26, v12, v23
	v_xor_b32_e32 v23, 0x80000000, v11
	v_xor_b32_e32 v24, 0x80000000, v26
	v_mov_b32_e32 v12, v26
	ds_write_b64 v15, v[23:24]
.LBB54_938:
	s_or_b64 exec, exec, s[0:1]
	s_waitcnt lgkmcnt(0)
	s_barrier
	s_barrier
	s_and_saveexec_b64 s[0:1], s[2:3]
; %bb.939:
	v_lshlrev_b32_e32 v23, 3, v13
	v_lshl_or_b32 v23, v14, 9, v23
	ds_write_b64 v23, v[11:12] offset:5184
; %bb.940:
	s_or_b64 exec, exec, s[0:1]
	s_waitcnt lgkmcnt(0)
	s_barrier
	s_barrier
	s_and_saveexec_b64 s[0:1], s[34:35]
	s_cbranch_execz .LBB54_942
; %bb.941:
	v_lshlrev_b32_e32 v23, 3, v0
	s_movk_i32 s10, 0x1f8
	v_mad_u32_u24 v24, v0, s10, v23
	ds_read_b64 v[11:12], v24 offset:5184
	s_waitcnt lgkmcnt(0)
	ds_write_b64 v23, v[11:12] offset:4176
	ds_read_b64 v[11:12], v24 offset:5192
	s_waitcnt lgkmcnt(0)
	ds_write_b64 v23, v[11:12] offset:4688
.LBB54_942:
	s_or_b64 exec, exec, s[0:1]
	s_waitcnt lgkmcnt(0)
	s_barrier
	s_and_saveexec_b64 s[0:1], vcc
	s_cbranch_execz .LBB54_944
; %bb.943:
	v_mov_b32_e32 v11, 0
	v_add_u32_e64 v12, 64, 0
	ds_read2st64_b64 v[23:26], v12 offset0:8 offset1:9
	ds_read_b64 v[11:12], v11 offset:4680
	s_movk_i32 s10, 0x1000
	s_waitcnt lgkmcnt(0)
	v_mul_f32_e32 v27, v12, v24
	v_mul_f32_e32 v24, v11, v24
	v_fma_f32 v27, v11, v23, -v27
	v_fmac_f32_e32 v24, v12, v23
	v_mul_f32_e32 v11, v24, v26
	v_mul_f32_e32 v12, v27, v26
	v_fma_f32 v11, v27, v25, -v11
	v_fmac_f32_e32 v12, v24, v25
	v_add_u32_e64 v23, s10, 0
	ds_write2_b64 v23, v[11:12], v[11:12] offset0:9 offset1:72
.LBB54_944:
	s_or_b64 exec, exec, s[0:1]
	v_mov_b32_e32 v12, 0
	v_mov_b32_e32 v11, 0
	s_waitcnt lgkmcnt(0)
	s_barrier
	buffer_wbinvl1_vol
	s_and_saveexec_b64 s[0:1], s[8:9]
	s_cbranch_execz .LBB54_954
; %bb.945:
	v_lshlrev_b32_e32 v23, 3, v20
	v_lshlrev_b32_e32 v24, 9, v21
	ds_read_b64 v[11:12], v23 offset:4096
	ds_read_b64 v[25:26], v24 offset:4160
	v_cmp_gt_u32_e64 s[10:11], 56, v16
	s_waitcnt lgkmcnt(0)
	v_mul_f32_e32 v27, v26, v12
	v_mul_f32_e32 v12, v25, v12
	v_fma_f32 v25, v25, v11, -v27
	v_fmac_f32_e32 v12, v26, v11
	v_add_f32_e32 v11, 0, v25
	v_add_f32_e32 v12, 0, v12
	s_and_saveexec_b64 s[12:13], s[10:11]
	s_cbranch_execnz .LBB54_1167
; %bb.946:
	s_or_b64 exec, exec, s[12:13]
	v_cmp_gt_u32_e64 s[10:11], 48, v16
	s_and_saveexec_b64 s[12:13], s[10:11]
	s_cbranch_execnz .LBB54_1168
.LBB54_947:
	s_or_b64 exec, exec, s[12:13]
	v_cmp_gt_u32_e64 s[10:11], 40, v16
	s_and_saveexec_b64 s[12:13], s[10:11]
	s_cbranch_execnz .LBB54_1169
.LBB54_948:
	s_or_b64 exec, exec, s[12:13]
	v_cmp_gt_u32_e64 s[10:11], 32, v16
	s_and_saveexec_b64 s[12:13], s[10:11]
	s_cbranch_execnz .LBB54_1170
.LBB54_949:
	s_or_b64 exec, exec, s[12:13]
	v_cmp_gt_u32_e64 s[10:11], 24, v16
	s_and_saveexec_b64 s[12:13], s[10:11]
	s_cbranch_execnz .LBB54_1171
.LBB54_950:
	s_or_b64 exec, exec, s[12:13]
	s_and_saveexec_b64 s[10:11], s[18:19]
	s_cbranch_execnz .LBB54_1172
.LBB54_951:
	s_or_b64 exec, exec, s[10:11]
	v_cmp_gt_u32_e64 s[10:11], 8, v16
	s_and_saveexec_b64 s[12:13], s[10:11]
	s_cbranch_execz .LBB54_953
.LBB54_952:
	v_lshlrev_b32_e32 v23, 3, v0
	v_mov_b32_e32 v25, 0
	ds_read_b64 v[23:24], v23 offset:7680
	ds_read_b64 v[25:26], v25 offset:7800
	s_waitcnt lgkmcnt(0)
	v_mul_f32_e32 v27, v26, v24
	v_mul_f32_e32 v24, v25, v24
	v_fma_f32 v25, v25, v23, -v27
	v_fmac_f32_e32 v24, v26, v23
	v_add_f32_e32 v11, v11, v25
	v_add_f32_e32 v12, v12, v24
.LBB54_953:
	s_or_b64 exec, exec, s[12:13]
.LBB54_954:
	s_or_b64 exec, exec, s[0:1]
	s_and_saveexec_b64 s[0:1], s[60:61]
	s_cbranch_execz .LBB54_956
; %bb.955:
	v_mov_b32_e32 v23, 0
	ds_read_b64 v[23:24], v23 offset:3640
	s_waitcnt lgkmcnt(0)
	v_mul_f32_e32 v25, v12, v24
	v_mul_f32_e32 v26, v11, v24
	v_fma_f32 v11, v11, v23, -v25
	v_fmac_f32_e32 v26, v12, v23
	v_xor_b32_e32 v23, 0x80000000, v11
	v_xor_b32_e32 v24, 0x80000000, v26
	v_mov_b32_e32 v12, v26
	ds_write_b64 v22, v[23:24]
.LBB54_956:
	s_or_b64 exec, exec, s[0:1]
	s_waitcnt lgkmcnt(0)
	s_barrier
	s_and_saveexec_b64 s[0:1], s[62:63]
	v_readlane_b32 s60, v38, 3
	v_readlane_b32 s61, v38, 4
	s_cbranch_execz .LBB54_958
; %bb.957:
	v_lshlrev_b32_e32 v23, 3, v20
	ds_read_b64 v[23:24], v23 offset:3584
	ds_read_b64 v[25:26], v22
	s_waitcnt lgkmcnt(0)
	v_mul_f32_e32 v27, v26, v24
	v_mul_f32_e32 v24, v25, v24
	v_fma_f32 v25, v25, v23, -v27
	v_fmac_f32_e32 v24, v26, v23
	v_sub_f32_e32 v11, v11, v25
	v_sub_f32_e32 v12, v12, v24
.LBB54_958:
	s_or_b64 exec, exec, s[0:1]
	s_barrier
	s_and_saveexec_b64 s[0:1], s[64:65]
	s_cbranch_execz .LBB54_960
; %bb.959:
	v_mov_b32_e32 v23, 0
	ds_read_b64 v[23:24], v23 offset:3120
	s_waitcnt lgkmcnt(0)
	v_mul_f32_e32 v25, v12, v24
	v_mul_f32_e32 v26, v11, v24
	v_fma_f32 v11, v11, v23, -v25
	v_fmac_f32_e32 v26, v12, v23
	v_xor_b32_e32 v23, 0x80000000, v11
	v_xor_b32_e32 v24, 0x80000000, v26
	v_mov_b32_e32 v12, v26
	ds_write_b64 v22, v[23:24]
.LBB54_960:
	s_or_b64 exec, exec, s[0:1]
	s_waitcnt lgkmcnt(0)
	s_barrier
	s_and_saveexec_b64 s[0:1], s[66:67]
	s_cbranch_execz .LBB54_962
; %bb.961:
	v_lshlrev_b32_e32 v23, 3, v20
	ds_read_b64 v[23:24], v23 offset:3072
	ds_read_b64 v[25:26], v22
	s_waitcnt lgkmcnt(0)
	v_mul_f32_e32 v27, v26, v24
	v_mul_f32_e32 v24, v25, v24
	v_fma_f32 v25, v25, v23, -v27
	v_fmac_f32_e32 v24, v26, v23
	v_sub_f32_e32 v11, v11, v25
	v_sub_f32_e32 v12, v12, v24
.LBB54_962:
	s_or_b64 exec, exec, s[0:1]
	s_barrier
	s_and_saveexec_b64 s[0:1], s[68:69]
	s_cbranch_execz .LBB54_964
; %bb.963:
	v_mov_b32_e32 v23, 0
	ds_read_b64 v[23:24], v23 offset:2600
	s_waitcnt lgkmcnt(0)
	v_mul_f32_e32 v25, v12, v24
	v_mul_f32_e32 v26, v11, v24
	v_fma_f32 v11, v11, v23, -v25
	v_fmac_f32_e32 v26, v12, v23
	v_xor_b32_e32 v23, 0x80000000, v11
	v_xor_b32_e32 v24, 0x80000000, v26
	v_mov_b32_e32 v12, v26
	ds_write_b64 v22, v[23:24]
.LBB54_964:
	s_or_b64 exec, exec, s[0:1]
	s_waitcnt lgkmcnt(0)
	s_barrier
	s_and_saveexec_b64 s[0:1], s[70:71]
	;; [unrolled: 34-line block ×6, first 2 shown]
	s_cbranch_execz .LBB54_982
; %bb.981:
	v_mov_b32_e32 v23, 0
	ds_read_b64 v[23:24], v23 offset:512
	ds_read_b64 v[25:26], v22
	s_waitcnt lgkmcnt(0)
	v_mul_f32_e32 v27, v26, v24
	v_mul_f32_e32 v24, v25, v24
	v_fma_f32 v25, v25, v23, -v27
	v_fmac_f32_e32 v24, v26, v23
	v_sub_f32_e32 v11, v11, v25
	v_sub_f32_e32 v12, v12, v24
.LBB54_982:
	s_or_b64 exec, exec, s[0:1]
	s_barrier
	s_and_saveexec_b64 s[0:1], s[58:59]
	s_cbranch_execz .LBB54_984
; %bb.983:
	v_mov_b32_e32 v23, 0
	ds_read_b64 v[23:24], v23
	s_waitcnt lgkmcnt(0)
	v_mul_f32_e32 v25, v12, v24
	v_mul_f32_e32 v26, v11, v24
	v_fma_f32 v11, v11, v23, -v25
	v_fmac_f32_e32 v26, v12, v23
	v_xor_b32_e32 v23, 0x80000000, v11
	v_xor_b32_e32 v24, 0x80000000, v26
	v_mov_b32_e32 v12, v26
	ds_write_b64 v22, v[23:24]
.LBB54_984:
	s_or_b64 exec, exec, s[0:1]
	s_waitcnt lgkmcnt(0)
	s_barrier
	s_barrier
	s_and_saveexec_b64 s[0:1], s[8:9]
; %bb.985:
	v_lshlrev_b32_e32 v20, 3, v20
	v_lshl_or_b32 v20, v21, 9, v20
	ds_write_b64 v20, v[11:12] offset:4096
; %bb.986:
	s_or_b64 exec, exec, s[0:1]
	s_waitcnt lgkmcnt(0)
	s_barrier
	s_barrier
	s_and_saveexec_b64 s[0:1], s[86:87]
	s_cbranch_execz .LBB54_988
; %bb.987:
	v_lshlrev_b32_e32 v20, 9, v0
	ds_read_b64 v[11:12], v20 offset:4096
	s_movk_i32 s8, 0xfe08
	v_mad_i32_i24 v21, v0, s8, v20
	s_waitcnt lgkmcnt(0)
	ds_write_b64 v21, v[11:12] offset:64
	ds_read_b64 v[11:12], v20 offset:4104
	s_waitcnt lgkmcnt(0)
	ds_write_b64 v21, v[11:12] offset:576
	ds_read_b64 v[11:12], v20 offset:4112
	;; [unrolled: 3-line block ×7, first 2 shown]
	s_waitcnt lgkmcnt(0)
	ds_write_b64 v21, v[11:12] offset:3648
.LBB54_988:
	s_or_b64 exec, exec, s[0:1]
	s_waitcnt lgkmcnt(0)
	s_barrier
	s_and_saveexec_b64 s[0:1], vcc
	s_cbranch_execz .LBB54_990
; %bb.989:
	v_mov_b32_e32 v11, 0
	v_add_u32_e64 v12, 48, 0
	ds_read2st64_b64 v[20:23], v12 offset0:6 offset1:7
	ds_read_b64 v[11:12], v11 offset:3640
	s_movk_i32 s8, 0x800
	s_waitcnt lgkmcnt(0)
	v_mul_f32_e32 v24, v12, v21
	v_mul_f32_e32 v21, v11, v21
	v_fma_f32 v24, v11, v20, -v24
	v_fmac_f32_e32 v21, v12, v20
	v_mul_f32_e32 v11, v21, v23
	v_mul_f32_e32 v12, v24, v23
	v_fma_f32 v11, v24, v22, -v11
	v_fmac_f32_e32 v12, v21, v22
	v_add_u32_e64 v20, s8, 0
	ds_write2_b64 v20, v[11:12], v[11:12] offset0:135 offset1:198
.LBB54_990:
	s_or_b64 exec, exec, s[0:1]
	v_mov_b32_e32 v11, 0
	v_mov_b32_e32 v12, 0
	s_waitcnt lgkmcnt(0)
	s_barrier
	buffer_wbinvl1_vol
	s_and_saveexec_b64 s[0:1], s[2:3]
	s_cbranch_execz .LBB54_994
; %bb.991:
	v_lshlrev_b32_e32 v11, 3, v13
	v_lshlrev_b32_e32 v20, 9, v14
	ds_read_b64 v[11:12], v11 offset:3104
	ds_read_b64 v[20:21], v20 offset:3120
	v_cmp_gt_u32_e64 s[8:9], 2, v16
	s_waitcnt lgkmcnt(0)
	v_mul_f32_e32 v22, v21, v12
	v_mul_f32_e32 v12, v20, v12
	v_fma_f32 v20, v20, v11, -v22
	v_fmac_f32_e32 v12, v21, v11
	v_add_f32_e32 v11, 0, v20
	v_add_f32_e32 v12, 0, v12
	s_and_saveexec_b64 s[10:11], s[8:9]
	s_cbranch_execz .LBB54_993
; %bb.992:
	v_lshlrev_b32_e32 v20, 3, v0
	v_mov_b32_e32 v22, 0
	ds_read_b64 v[20:21], v20 offset:3616
	ds_read_b64 v[22:23], v22 offset:3640
	s_waitcnt lgkmcnt(0)
	v_mul_f32_e32 v24, v23, v21
	v_mul_f32_e32 v21, v22, v21
	v_fma_f32 v22, v22, v20, -v24
	v_fmac_f32_e32 v21, v23, v20
	v_add_f32_e32 v11, v11, v22
	v_add_f32_e32 v12, v12, v21
.LBB54_993:
	s_or_b64 exec, exec, s[10:11]
.LBB54_994:
	s_or_b64 exec, exec, s[0:1]
	s_and_saveexec_b64 s[0:1], s[30:31]
	s_cbranch_execz .LBB54_996
; %bb.995:
	v_mov_b32_e32 v20, 0
	ds_read_b64 v[20:21], v20 offset:2600
	s_waitcnt lgkmcnt(0)
	v_mul_f32_e32 v22, v12, v21
	v_mul_f32_e32 v23, v11, v21
	v_fma_f32 v11, v11, v20, -v22
	v_fmac_f32_e32 v23, v12, v20
	v_xor_b32_e32 v20, 0x80000000, v11
	v_xor_b32_e32 v21, 0x80000000, v23
	v_mov_b32_e32 v12, v23
	ds_write_b64 v15, v[20:21]
.LBB54_996:
	s_or_b64 exec, exec, s[0:1]
	s_waitcnt lgkmcnt(0)
	s_barrier
	s_and_saveexec_b64 s[0:1], s[28:29]
	s_cbranch_execz .LBB54_998
; %bb.997:
	v_mov_b32_e32 v20, 0
	ds_read_b64 v[20:21], v20 offset:2592
	ds_read_b64 v[22:23], v15
	s_waitcnt lgkmcnt(0)
	v_mul_f32_e32 v24, v23, v21
	v_mul_f32_e32 v21, v22, v21
	v_fma_f32 v22, v22, v20, -v24
	v_fmac_f32_e32 v21, v23, v20
	v_sub_f32_e32 v11, v11, v22
	v_sub_f32_e32 v12, v12, v21
.LBB54_998:
	s_or_b64 exec, exec, s[0:1]
	s_barrier
	s_and_saveexec_b64 s[0:1], s[28:29]
	s_cbranch_execz .LBB54_1000
; %bb.999:
	v_mov_b32_e32 v20, 0
	ds_read_b64 v[20:21], v20 offset:2080
	s_waitcnt lgkmcnt(0)
	v_mul_f32_e32 v22, v12, v21
	v_mul_f32_e32 v23, v11, v21
	v_fma_f32 v11, v11, v20, -v22
	v_fmac_f32_e32 v23, v12, v20
	v_xor_b32_e32 v20, 0x80000000, v11
	v_xor_b32_e32 v21, 0x80000000, v23
	v_mov_b32_e32 v12, v23
	ds_write_b64 v15, v[20:21]
.LBB54_1000:
	s_or_b64 exec, exec, s[0:1]
	s_waitcnt lgkmcnt(0)
	s_barrier
	s_barrier
	s_and_saveexec_b64 s[0:1], s[2:3]
; %bb.1001:
	v_lshlrev_b32_e32 v20, 3, v13
	v_lshl_or_b32 v20, v14, 9, v20
	ds_write_b64 v20, v[11:12] offset:3104
; %bb.1002:
	s_or_b64 exec, exec, s[0:1]
	s_waitcnt lgkmcnt(0)
	s_barrier
	s_barrier
	s_and_saveexec_b64 s[0:1], s[34:35]
	s_cbranch_execz .LBB54_1004
; %bb.1003:
	v_lshlrev_b32_e32 v20, 3, v0
	s_movk_i32 s8, 0x1f8
	v_mad_u32_u24 v21, v0, s8, v20
	ds_read_b64 v[11:12], v21 offset:3104
	s_waitcnt lgkmcnt(0)
	ds_write_b64 v20, v[11:12] offset:2096
	ds_read_b64 v[11:12], v21 offset:3112
	s_waitcnt lgkmcnt(0)
	ds_write_b64 v20, v[11:12] offset:2608
.LBB54_1004:
	s_or_b64 exec, exec, s[0:1]
	s_waitcnt lgkmcnt(0)
	s_barrier
	s_and_saveexec_b64 s[0:1], vcc
	s_cbranch_execz .LBB54_1006
; %bb.1005:
	v_mov_b32_e32 v11, 0
	v_add_u32_e64 v12, 32, 0
	ds_read2st64_b64 v[20:23], v12 offset0:4 offset1:5
	ds_read_b64 v[11:12], v11 offset:2600
	s_movk_i32 s8, 0x800
	s_waitcnt lgkmcnt(0)
	v_mul_f32_e32 v24, v12, v21
	v_mul_f32_e32 v21, v11, v21
	v_fma_f32 v24, v11, v20, -v24
	v_fmac_f32_e32 v21, v12, v20
	v_mul_f32_e32 v11, v21, v23
	v_mul_f32_e32 v12, v24, v23
	v_fma_f32 v11, v24, v22, -v11
	v_fmac_f32_e32 v12, v21, v22
	v_add_u32_e64 v20, s8, 0
	ds_write2_b64 v20, v[11:12], v[11:12] offset0:5 offset1:68
.LBB54_1006:
	s_or_b64 exec, exec, s[0:1]
	v_mov_b32_e32 v12, 0
	v_mov_b32_e32 v11, 0
	s_waitcnt lgkmcnt(0)
	s_barrier
	buffer_wbinvl1_vol
	s_and_saveexec_b64 s[0:1], s[18:19]
	s_cbranch_execz .LBB54_1012
; %bb.1007:
	v_lshlrev_b32_e32 v20, 3, v17
	v_lshlrev_b32_e32 v21, 9, v18
	ds_read_b64 v[11:12], v20 offset:2048
	ds_read_b64 v[22:23], v21 offset:2080
	v_cmp_gt_u32_e64 s[8:9], 12, v16
	s_waitcnt lgkmcnt(0)
	v_mul_f32_e32 v24, v23, v12
	v_mul_f32_e32 v12, v22, v12
	v_fma_f32 v22, v22, v11, -v24
	v_fmac_f32_e32 v12, v23, v11
	v_add_f32_e32 v11, 0, v22
	v_add_f32_e32 v12, 0, v12
	s_and_saveexec_b64 s[10:11], s[8:9]
	s_cbranch_execnz .LBB54_1173
; %bb.1008:
	s_or_b64 exec, exec, s[10:11]
	v_cmp_gt_u32_e64 s[8:9], 8, v16
	s_and_saveexec_b64 s[10:11], s[8:9]
	s_cbranch_execnz .LBB54_1174
.LBB54_1009:
	s_or_b64 exec, exec, s[10:11]
	v_cmp_gt_u32_e64 s[8:9], 4, v16
	s_and_saveexec_b64 s[10:11], s[8:9]
	s_cbranch_execz .LBB54_1011
.LBB54_1010:
	v_lshlrev_b32_e32 v20, 3, v0
	v_mov_b32_e32 v22, 0
	ds_read_b64 v[20:21], v20 offset:3584
	ds_read_b64 v[22:23], v22 offset:3640
	s_waitcnt lgkmcnt(0)
	v_mul_f32_e32 v24, v23, v21
	v_mul_f32_e32 v21, v22, v21
	v_fma_f32 v22, v22, v20, -v24
	v_fmac_f32_e32 v21, v23, v20
	v_add_f32_e32 v11, v11, v22
	v_add_f32_e32 v12, v12, v21
.LBB54_1011:
	s_or_b64 exec, exec, s[10:11]
.LBB54_1012:
	s_or_b64 exec, exec, s[0:1]
	s_and_saveexec_b64 s[0:1], s[38:39]
	s_cbranch_execz .LBB54_1014
; %bb.1013:
	v_mov_b32_e32 v20, 0
	ds_read_b64 v[20:21], v20 offset:1560
	s_waitcnt lgkmcnt(0)
	v_mul_f32_e32 v22, v12, v21
	v_mul_f32_e32 v23, v11, v21
	v_fma_f32 v11, v11, v20, -v22
	v_fmac_f32_e32 v23, v12, v20
	v_xor_b32_e32 v20, 0x80000000, v11
	v_xor_b32_e32 v21, 0x80000000, v23
	v_mov_b32_e32 v12, v23
	ds_write_b64 v19, v[20:21]
.LBB54_1014:
	s_or_b64 exec, exec, s[0:1]
	s_waitcnt lgkmcnt(0)
	s_barrier
	s_and_saveexec_b64 s[0:1], s[42:43]
	v_readlane_b32 s38, v38, 2
	s_cbranch_execz .LBB54_1016
; %bb.1015:
	v_lshlrev_b32_e32 v20, 3, v17
	ds_read_b64 v[20:21], v20 offset:1536
	ds_read_b64 v[22:23], v19
	s_waitcnt lgkmcnt(0)
	v_mul_f32_e32 v24, v23, v21
	v_mul_f32_e32 v21, v22, v21
	v_fma_f32 v22, v22, v20, -v24
	v_fmac_f32_e32 v21, v23, v20
	v_sub_f32_e32 v11, v11, v22
	v_sub_f32_e32 v12, v12, v21
.LBB54_1016:
	s_or_b64 exec, exec, s[0:1]
	s_barrier
	s_and_saveexec_b64 s[0:1], s[44:45]
	s_cbranch_execz .LBB54_1018
; %bb.1017:
	v_mov_b32_e32 v20, 0
	ds_read_b64 v[20:21], v20 offset:1040
	s_waitcnt lgkmcnt(0)
	v_mul_f32_e32 v22, v12, v21
	v_mul_f32_e32 v23, v11, v21
	v_fma_f32 v11, v11, v20, -v22
	v_fmac_f32_e32 v23, v12, v20
	v_xor_b32_e32 v20, 0x80000000, v11
	v_xor_b32_e32 v21, 0x80000000, v23
	v_mov_b32_e32 v12, v23
	ds_write_b64 v19, v[20:21]
.LBB54_1018:
	s_or_b64 exec, exec, s[0:1]
	s_waitcnt lgkmcnt(0)
	s_barrier
	s_and_saveexec_b64 s[0:1], s[52:53]
	s_cbranch_execz .LBB54_1020
; %bb.1019:
	v_lshlrev_b32_e32 v20, 3, v17
	ds_read_b64 v[20:21], v20 offset:1024
	ds_read_b64 v[22:23], v19
	s_waitcnt lgkmcnt(0)
	v_mul_f32_e32 v24, v23, v21
	v_mul_f32_e32 v21, v22, v21
	v_fma_f32 v22, v22, v20, -v24
	v_fmac_f32_e32 v21, v23, v20
	v_sub_f32_e32 v11, v11, v22
	v_sub_f32_e32 v12, v12, v21
.LBB54_1020:
	s_or_b64 exec, exec, s[0:1]
	s_barrier
	s_and_saveexec_b64 s[0:1], s[54:55]
	s_cbranch_execz .LBB54_1022
; %bb.1021:
	v_mov_b32_e32 v20, 0
	ds_read_b64 v[20:21], v20 offset:520
	s_waitcnt lgkmcnt(0)
	v_mul_f32_e32 v22, v12, v21
	v_mul_f32_e32 v23, v11, v21
	v_fma_f32 v11, v11, v20, -v22
	v_fmac_f32_e32 v23, v12, v20
	v_xor_b32_e32 v20, 0x80000000, v11
	v_xor_b32_e32 v21, 0x80000000, v23
	v_mov_b32_e32 v12, v23
	ds_write_b64 v19, v[20:21]
.LBB54_1022:
	s_or_b64 exec, exec, s[0:1]
	s_waitcnt lgkmcnt(0)
	s_barrier
	s_and_saveexec_b64 s[0:1], s[36:37]
	s_cbranch_execz .LBB54_1024
; %bb.1023:
	v_mov_b32_e32 v20, 0
	ds_read_b64 v[20:21], v20 offset:512
	ds_read_b64 v[22:23], v19
	s_waitcnt lgkmcnt(0)
	v_mul_f32_e32 v24, v23, v21
	v_mul_f32_e32 v21, v22, v21
	v_fma_f32 v22, v22, v20, -v24
	v_fmac_f32_e32 v21, v23, v20
	v_sub_f32_e32 v11, v11, v22
	v_sub_f32_e32 v12, v12, v21
.LBB54_1024:
	s_or_b64 exec, exec, s[0:1]
	s_barrier
	s_and_saveexec_b64 s[0:1], s[36:37]
	s_cbranch_execz .LBB54_1026
; %bb.1025:
	v_mov_b32_e32 v20, 0
	ds_read_b64 v[20:21], v20
	s_waitcnt lgkmcnt(0)
	v_mul_f32_e32 v22, v12, v21
	v_mul_f32_e32 v23, v11, v21
	v_fma_f32 v11, v11, v20, -v22
	v_fmac_f32_e32 v23, v12, v20
	v_xor_b32_e32 v20, 0x80000000, v11
	v_xor_b32_e32 v21, 0x80000000, v23
	v_mov_b32_e32 v12, v23
	ds_write_b64 v19, v[20:21]
.LBB54_1026:
	s_or_b64 exec, exec, s[0:1]
	s_waitcnt lgkmcnt(0)
	s_barrier
	s_barrier
	s_and_saveexec_b64 s[0:1], s[18:19]
; %bb.1027:
	v_lshlrev_b32_e32 v17, 3, v17
	v_lshl_or_b32 v17, v18, 9, v17
	ds_write_b64 v17, v[11:12] offset:2048
; %bb.1028:
	s_or_b64 exec, exec, s[0:1]
	s_waitcnt lgkmcnt(0)
	s_barrier
	s_barrier
	s_and_saveexec_b64 s[0:1], s[56:57]
	s_cbranch_execz .LBB54_1030
; %bb.1029:
	v_lshlrev_b32_e32 v17, 9, v0
	ds_read_b64 v[11:12], v17 offset:2048
	s_movk_i32 s8, 0xfe08
	v_mad_i32_i24 v18, v0, s8, v17
	s_waitcnt lgkmcnt(0)
	ds_write_b64 v18, v[11:12] offset:32
	ds_read_b64 v[11:12], v17 offset:2056
	s_waitcnt lgkmcnt(0)
	ds_write_b64 v18, v[11:12] offset:544
	ds_read_b64 v[11:12], v17 offset:2064
	;; [unrolled: 3-line block ×3, first 2 shown]
	s_waitcnt lgkmcnt(0)
	ds_write_b64 v18, v[11:12] offset:1568
.LBB54_1030:
	s_or_b64 exec, exec, s[0:1]
	s_waitcnt lgkmcnt(0)
	s_barrier
	s_and_saveexec_b64 s[0:1], vcc
	s_cbranch_execz .LBB54_1032
; %bb.1031:
	v_mov_b32_e32 v21, 0
	ds_read2_b64 v[17:20], v21 offset0:130 offset1:194
	ds_read_b64 v[11:12], v21 offset:1560
	s_waitcnt lgkmcnt(0)
	v_mul_f32_e32 v22, v12, v18
	v_mul_f32_e32 v18, v11, v18
	v_fma_f32 v11, v11, v17, -v22
	v_fmac_f32_e32 v18, v12, v17
	v_mul_f32_e32 v17, v18, v20
	v_mul_f32_e32 v12, v11, v20
	v_fma_f32 v11, v11, v19, -v17
	v_fmac_f32_e32 v12, v18, v19
	ds_write2_b64 v21, v[11:12], v[11:12] offset0:131 offset1:194
.LBB54_1032:
	s_or_b64 exec, exec, s[0:1]
	v_mov_b32_e32 v11, 0
	v_mov_b32_e32 v12, 0
	s_waitcnt lgkmcnt(0)
	s_barrier
	buffer_wbinvl1_vol
	s_and_saveexec_b64 s[0:1], s[2:3]
	s_cbranch_execz .LBB54_1036
; %bb.1033:
	v_lshlrev_b32_e32 v11, 3, v13
	v_lshlrev_b32_e32 v17, 9, v14
	ds_read_b64 v[11:12], v11 offset:1024
	ds_read_b64 v[17:18], v17 offset:1040
	v_cmp_gt_u32_e64 s[8:9], 2, v16
	s_waitcnt lgkmcnt(0)
	v_mul_f32_e32 v19, v18, v12
	v_mul_f32_e32 v12, v17, v12
	v_fma_f32 v17, v17, v11, -v19
	v_fmac_f32_e32 v12, v18, v11
	v_add_f32_e32 v11, 0, v17
	v_add_f32_e32 v12, 0, v12
	s_and_saveexec_b64 s[10:11], s[8:9]
	s_cbranch_execz .LBB54_1035
; %bb.1034:
	v_lshlrev_b32_e32 v16, 3, v0
	v_mov_b32_e32 v18, 0
	ds_read_b64 v[16:17], v16 offset:1536
	ds_read_b64 v[18:19], v18 offset:1560
	s_waitcnt lgkmcnt(0)
	v_mul_f32_e32 v20, v19, v17
	v_mul_f32_e32 v17, v18, v17
	v_fma_f32 v18, v18, v16, -v20
	v_fmac_f32_e32 v17, v19, v16
	v_add_f32_e32 v11, v11, v18
	v_add_f32_e32 v12, v12, v17
.LBB54_1035:
	s_or_b64 exec, exec, s[10:11]
.LBB54_1036:
	s_or_b64 exec, exec, s[0:1]
	s_and_saveexec_b64 s[0:1], s[30:31]
	s_cbranch_execz .LBB54_1038
; %bb.1037:
	v_mov_b32_e32 v16, 0
	ds_read_b64 v[16:17], v16 offset:520
	s_waitcnt lgkmcnt(0)
	v_mul_f32_e32 v18, v12, v17
	v_mul_f32_e32 v19, v11, v17
	v_fma_f32 v11, v11, v16, -v18
	v_fmac_f32_e32 v19, v12, v16
	v_xor_b32_e32 v16, 0x80000000, v11
	v_xor_b32_e32 v17, 0x80000000, v19
	v_mov_b32_e32 v12, v19
	ds_write_b64 v15, v[16:17]
.LBB54_1038:
	s_or_b64 exec, exec, s[0:1]
	s_waitcnt lgkmcnt(0)
	s_barrier
	s_and_saveexec_b64 s[0:1], s[28:29]
	s_cbranch_execz .LBB54_1040
; %bb.1039:
	v_mov_b32_e32 v16, 0
	ds_read_b64 v[16:17], v16 offset:512
	ds_read_b64 v[18:19], v15
	s_waitcnt lgkmcnt(0)
	v_mul_f32_e32 v20, v19, v17
	v_mul_f32_e32 v17, v18, v17
	v_fma_f32 v18, v18, v16, -v20
	v_fmac_f32_e32 v17, v19, v16
	v_sub_f32_e32 v11, v11, v18
	v_sub_f32_e32 v12, v12, v17
.LBB54_1040:
	s_or_b64 exec, exec, s[0:1]
	s_barrier
	s_and_saveexec_b64 s[0:1], s[28:29]
	s_cbranch_execz .LBB54_1042
; %bb.1041:
	v_mov_b32_e32 v16, 0
	ds_read_b64 v[16:17], v16
	s_waitcnt lgkmcnt(0)
	v_mul_f32_e32 v18, v12, v17
	v_mul_f32_e32 v19, v11, v17
	v_fma_f32 v11, v11, v16, -v18
	v_fmac_f32_e32 v19, v12, v16
	v_xor_b32_e32 v16, 0x80000000, v11
	v_xor_b32_e32 v17, 0x80000000, v19
	v_mov_b32_e32 v12, v19
	ds_write_b64 v15, v[16:17]
.LBB54_1042:
	s_or_b64 exec, exec, s[0:1]
	s_waitcnt lgkmcnt(0)
	s_barrier
	s_barrier
	s_and_saveexec_b64 s[0:1], s[2:3]
; %bb.1043:
	v_lshlrev_b32_e32 v13, 3, v13
	v_lshl_or_b32 v13, v14, 9, v13
	ds_write_b64 v13, v[11:12] offset:1024
; %bb.1044:
	s_or_b64 exec, exec, s[0:1]
	s_waitcnt lgkmcnt(0)
	s_barrier
	s_barrier
	s_and_saveexec_b64 s[0:1], s[34:35]
	s_cbranch_execz .LBB54_1046
; %bb.1045:
	v_lshlrev_b32_e32 v13, 3, v0
	s_movk_i32 s2, 0x1f8
	v_mad_u32_u24 v14, v0, s2, v13
	ds_read_b64 v[11:12], v14 offset:1024
	s_waitcnt lgkmcnt(0)
	ds_write_b64 v13, v[11:12] offset:16
	ds_read_b64 v[11:12], v14 offset:1032
	s_waitcnt lgkmcnt(0)
	ds_write_b64 v13, v[11:12] offset:528
.LBB54_1046:
	s_or_b64 exec, exec, s[0:1]
	s_waitcnt lgkmcnt(0)
	s_barrier
	s_and_saveexec_b64 s[0:1], vcc
	s_cbranch_execz .LBB54_1048
; %bb.1047:
	v_mov_b32_e32 v17, 0
	ds_read2st64_b64 v[11:14], v17 offset1:1
	ds_read_b64 v[15:16], v17 offset:520
	s_waitcnt lgkmcnt(0)
	v_mul_f32_e32 v18, v16, v12
	v_mul_f32_e32 v19, v15, v12
	v_fma_f32 v15, v15, v11, -v18
	v_fmac_f32_e32 v19, v16, v11
	v_mul_f32_e32 v11, v19, v14
	v_mul_f32_e32 v12, v15, v14
	v_fma_f32 v11, v15, v13, -v11
	v_fmac_f32_e32 v12, v19, v13
	ds_write2_b64 v17, v[11:12], v[11:12] offset0:1 offset1:64
.LBB54_1048:
	s_or_b64 exec, exec, s[0:1]
.LBB54_1049:
	s_load_dwordx4 s[12:15], s[4:5], 0x48
	v_cmp_le_i32_e32 vcc, s26, v0
	v_mov_b32_e32 v11, 0
	v_add_u32_e32 v13, s33, v0
	v_mov_b32_e32 v12, 0
	s_waitcnt lgkmcnt(0)
	s_mul_i32 s1, s13, s22
	s_mul_hi_u32 s2, s12, s22
	s_mul_i32 s0, s12, s22
	s_add_i32 s1, s2, s1
	s_lshl_b64 s[0:1], s[0:1], 3
	s_add_u32 s2, s46, s0
	s_addc_u32 s3, s47, s1
	s_lshl_b64 s[0:1], s[48:49], 3
	s_add_u32 s20, s2, s0
	s_addc_u32 s21, s3, s1
	s_and_b64 s[16:17], vcc, s[24:25]
	v_cmp_eq_u32_e64 s[2:3], 0, v2
	s_xor_b64 s[0:1], s[16:17], -1
	s_and_b64 s[4:5], s[2:3], s[0:1]
	s_barrier
	s_and_saveexec_b64 s[0:1], s[4:5]
	s_cbranch_execz .LBB54_1051
; %bb.1050:
	v_ashrrev_i32_e32 v14, 31, v13
	v_mul_lo_u32 v15, s51, v13
	v_mad_u64_u32 v[11:12], s[4:5], s50, v13, 0
	v_mul_lo_u32 v14, s50, v14
	v_add3_u32 v12, v12, v14, v15
	v_lshlrev_b64 v[11:12], 3, v[11:12]
	v_mov_b32_e32 v14, s21
	v_add_co_u32_e32 v11, vcc, s20, v11
	v_addc_co_u32_e32 v12, vcc, v14, v12, vcc
	global_load_dwordx2 v[14:15], v[11:12], off
	s_waitcnt vmcnt(0)
	v_mul_f32_e32 v11, s60, v14
	v_mul_f32_e32 v12, s60, v15
	v_fma_f32 v11, s61, v15, -v11
	v_fma_f32 v12, v14, -s61, -v12
.LBB54_1051:
	s_or_b64 exec, exec, s[0:1]
	s_and_b32 s0, 0xffff, s89
	v_mad_u32_u24 v17, v2, s0, v0
	s_cmp_lt_i32 s6, 1
	v_cmp_eq_u32_e64 s[4:5], 0, v17
	s_cbranch_scc1 .LBB54_1086
; %bb.1052:
	v_mad_u64_u32 v[14:15], s[0:1], s40, v13, 0
	v_cmp_gt_i32_e64 s[8:9], s7, v13
	s_mov_b32 s28, 0
	v_mad_u64_u32 v[15:16], s[0:1], s41, v13, v[15:16]
	s_lshl_b64 s[0:1], s[22:23], 2
	s_add_u32 s0, s14, s0
	v_lshlrev_b64 v[13:14], 3, v[14:15]
	v_mov_b32_e32 v16, 0xa000
	v_mov_b32_e32 v15, s88
	v_add_co_u32_e32 v20, vcc, s27, v13
	s_addc_u32 s1, s15, s1
	v_cmp_gt_u32_e64 s[12:13], 64, v17
	v_lshl_add_u32 v18, v17, 3, v16
	v_lshl_or_b32 v19, v2, 3, v16
	s_add_i32 s29, s6, -1
	v_addc_co_u32_e32 v21, vcc, v15, v14, vcc
	v_mov_b32_e32 v22, -1
	v_mov_b32_e32 v14, 0
	s_branch .LBB54_1055
.LBB54_1053:                            ;   in Loop: Header=BB54_1055 Depth=1
	ds_read_b64 v[15:16], v19 offset:384
	s_waitcnt vmcnt(0) lgkmcnt(0)
	v_mul_f32_e32 v24, v23, v16
	v_mul_f32_e32 v23, v23, v15
	v_fmac_f32_e32 v24, v13, v15
	v_fma_f32 v13, v13, v16, -v23
	v_add_f32_e32 v11, v11, v24
	v_add_f32_e32 v12, v12, v13
.LBB54_1054:                            ;   in Loop: Header=BB54_1055 Depth=1
	s_or_b64 exec, exec, s[18:19]
	s_add_i32 s28, s28, 1
	s_cmp_eq_u32 s28, s6
	s_cbranch_scc1 .LBB54_1086
.LBB54_1055:                            ; =>This Loop Header: Depth=1
                                        ;     Child Loop BB54_1057 Depth 2
	v_cmp_gt_i32_e32 vcc, s28, v22
	s_and_b64 s[18:19], s[4:5], vcc
	s_and_saveexec_b64 s[10:11], s[18:19]
	s_cbranch_execz .LBB54_1058
; %bb.1056:                             ;   in Loop: Header=BB54_1055 Depth=1
	global_load_dword v22, v14, s[0:1]
	s_waitcnt vmcnt(0)
	v_cmp_le_i32_e32 vcc, s28, v22
	s_cbranch_vccnz .LBB54_1058
.LBB54_1057:                            ;   Parent Loop BB54_1055 Depth=1
                                        ; =>  This Inner Loop Header: Depth=2
	buffer_wbinvl1_vol
	global_load_dword v22, v14, s[0:1]
	s_waitcnt vmcnt(0)
	v_cmp_gt_i32_e32 vcc, s28, v22
	s_cbranch_vccnz .LBB54_1057
.LBB54_1058:                            ;   in Loop: Header=BB54_1055 Depth=1
	s_or_b64 exec, exec, s[10:11]
	s_lshl_b32 s27, s28, 6
	buffer_wbinvl1_vol
	s_barrier
	s_and_saveexec_b64 s[10:11], s[12:13]
	s_cbranch_execz .LBB54_1063
; %bb.1059:                             ;   in Loop: Header=BB54_1055 Depth=1
	v_or_b32_e32 v13, s27, v17
	v_cmp_le_i32_e32 vcc, s7, v13
	s_and_saveexec_b64 s[18:19], vcc
	s_xor_b64 s[18:19], exec, s[18:19]
; %bb.1060:                             ;   in Loop: Header=BB54_1055 Depth=1
	v_mov_b32_e32 v13, v14
	ds_write_b64 v18, v[13:14]
                                        ; implicit-def: $vgpr13
; %bb.1061:                             ;   in Loop: Header=BB54_1055 Depth=1
	s_andn2_saveexec_b64 s[18:19], s[18:19]
	s_cbranch_execz .LBB54_1063
; %bb.1062:                             ;   in Loop: Header=BB54_1055 Depth=1
	v_mad_u64_u32 v[15:16], s[18:19], s50, v13, 0
	v_mad_u64_u32 v[23:24], s[18:19], s51, v13, v[16:17]
	v_mov_b32_e32 v13, s21
	v_mov_b32_e32 v16, v23
	v_lshlrev_b64 v[15:16], 3, v[15:16]
	v_add_co_u32_e32 v15, vcc, s20, v15
	v_addc_co_u32_e32 v16, vcc, v13, v16, vcc
	global_load_dwordx2 v[15:16], v[15:16], off
	s_waitcnt vmcnt(0)
	ds_write_b64 v18, v[15:16]
.LBB54_1063:                            ;   in Loop: Header=BB54_1055 Depth=1
	s_or_b64 exec, exec, s[10:11]
	v_add_u32_e32 v13, s27, v2
	v_lshlrev_b64 v[15:16], 3, v[13:14]
	s_cmp_lg_u32 s28, s29
	v_add_co_u32_e32 v15, vcc, v20, v15
	s_cselect_b64 s[10:11], -1, 0
	v_addc_co_u32_e32 v16, vcc, v21, v16, vcc
	v_cmp_gt_i32_e32 vcc, s7, v13
	v_cndmask_b32_e64 v23, 0, 1, s[10:11]
	s_and_b64 s[30:31], vcc, s[8:9]
	v_cmp_ne_u32_e64 s[10:11], 1, v23
	s_waitcnt lgkmcnt(0)
	s_barrier
	s_and_saveexec_b64 s[18:19], s[30:31]
	s_cbranch_execz .LBB54_1069
; %bb.1064:                             ;   in Loop: Header=BB54_1055 Depth=1
	s_and_b64 vcc, exec, s[10:11]
	v_mov_b32_e32 v23, v5
	s_cbranch_vccnz .LBB54_1066
; %bb.1065:                             ;   in Loop: Header=BB54_1055 Depth=1
	global_load_dword v23, v[15:16], off
.LBB54_1066:                            ;   in Loop: Header=BB54_1055 Depth=1
	s_and_b64 vcc, exec, s[10:11]
	v_mov_b32_e32 v24, v6
	s_cbranch_vccnz .LBB54_1068
; %bb.1067:                             ;   in Loop: Header=BB54_1055 Depth=1
	global_load_dword v24, v[15:16], off offset:4
.LBB54_1068:                            ;   in Loop: Header=BB54_1055 Depth=1
	ds_read_b64 v[25:26], v19
	s_waitcnt vmcnt(0) lgkmcnt(0)
	v_mul_f32_e32 v27, v24, v26
	v_mul_f32_e32 v24, v24, v25
	v_fmac_f32_e32 v27, v23, v25
	v_fma_f32 v23, v23, v26, -v24
	v_add_f32_e32 v11, v11, v27
	v_add_f32_e32 v12, v12, v23
.LBB54_1069:                            ;   in Loop: Header=BB54_1055 Depth=1
	s_or_b64 exec, exec, s[18:19]
	v_add_u32_e32 v23, 16, v13
	v_cmp_gt_i32_e32 vcc, s7, v23
	s_and_b64 s[30:31], vcc, s[8:9]
	s_and_saveexec_b64 s[18:19], s[30:31]
	s_cbranch_execz .LBB54_1075
; %bb.1070:                             ;   in Loop: Header=BB54_1055 Depth=1
	s_and_b64 vcc, exec, s[10:11]
	v_mov_b32_e32 v23, v3
	s_cbranch_vccnz .LBB54_1072
; %bb.1071:                             ;   in Loop: Header=BB54_1055 Depth=1
	global_load_dword v23, v[15:16], off offset:128
.LBB54_1072:                            ;   in Loop: Header=BB54_1055 Depth=1
	s_and_b64 vcc, exec, s[10:11]
	v_mov_b32_e32 v24, v4
	s_cbranch_vccnz .LBB54_1074
; %bb.1073:                             ;   in Loop: Header=BB54_1055 Depth=1
	global_load_dword v24, v[15:16], off offset:132
.LBB54_1074:                            ;   in Loop: Header=BB54_1055 Depth=1
	ds_read_b64 v[25:26], v19 offset:128
	s_waitcnt vmcnt(0) lgkmcnt(0)
	v_mul_f32_e32 v27, v24, v26
	v_mul_f32_e32 v24, v24, v25
	v_fmac_f32_e32 v27, v23, v25
	v_fma_f32 v23, v23, v26, -v24
	v_add_f32_e32 v11, v11, v27
	v_add_f32_e32 v12, v12, v23
.LBB54_1075:                            ;   in Loop: Header=BB54_1055 Depth=1
	s_or_b64 exec, exec, s[18:19]
	v_add_u32_e32 v23, 32, v13
	v_cmp_gt_i32_e32 vcc, s7, v23
	s_and_b64 s[30:31], vcc, s[8:9]
	s_and_saveexec_b64 s[18:19], s[30:31]
	s_cbranch_execz .LBB54_1081
; %bb.1076:                             ;   in Loop: Header=BB54_1055 Depth=1
	s_and_b64 vcc, exec, s[10:11]
	v_mov_b32_e32 v23, v9
	s_cbranch_vccnz .LBB54_1078
; %bb.1077:                             ;   in Loop: Header=BB54_1055 Depth=1
	global_load_dword v23, v[15:16], off offset:256
.LBB54_1078:                            ;   in Loop: Header=BB54_1055 Depth=1
	s_and_b64 vcc, exec, s[10:11]
	v_mov_b32_e32 v24, v10
	s_cbranch_vccnz .LBB54_1080
; %bb.1079:                             ;   in Loop: Header=BB54_1055 Depth=1
	global_load_dword v24, v[15:16], off offset:260
.LBB54_1080:                            ;   in Loop: Header=BB54_1055 Depth=1
	ds_read_b64 v[25:26], v19 offset:256
	s_waitcnt vmcnt(0) lgkmcnt(0)
	v_mul_f32_e32 v27, v24, v26
	v_mul_f32_e32 v24, v24, v25
	v_fmac_f32_e32 v27, v23, v25
	v_fma_f32 v23, v23, v26, -v24
	v_add_f32_e32 v11, v11, v27
	v_add_f32_e32 v12, v12, v23
.LBB54_1081:                            ;   in Loop: Header=BB54_1055 Depth=1
	s_or_b64 exec, exec, s[18:19]
	v_add_u32_e32 v13, 48, v13
	v_cmp_gt_i32_e32 vcc, s7, v13
	s_and_b64 s[30:31], vcc, s[8:9]
	s_and_saveexec_b64 s[18:19], s[30:31]
	s_cbranch_execz .LBB54_1054
; %bb.1082:                             ;   in Loop: Header=BB54_1055 Depth=1
	s_and_b64 vcc, exec, s[10:11]
	v_mov_b32_e32 v13, v7
	s_cbranch_vccnz .LBB54_1084
; %bb.1083:                             ;   in Loop: Header=BB54_1055 Depth=1
	global_load_dword v13, v[15:16], off offset:384
.LBB54_1084:                            ;   in Loop: Header=BB54_1055 Depth=1
	s_and_b64 vcc, exec, s[10:11]
	v_mov_b32_e32 v23, v8
	s_cbranch_vccnz .LBB54_1053
; %bb.1085:                             ;   in Loop: Header=BB54_1055 Depth=1
	global_load_dword v23, v[15:16], off offset:388
	s_branch .LBB54_1053
.LBB54_1086:
	s_xor_b64 s[0:1], s[24:25], -1
	v_lshlrev_b32_e32 v1, 3, v1
	ds_write_b64 v1, v[11:12] offset:32768
	s_waitcnt lgkmcnt(0)
	s_barrier
	s_and_saveexec_b64 s[4:5], s[2:3]
	s_cbranch_execz .LBB54_1088
; %bb.1087:
	v_lshlrev_b32_e32 v15, 3, v0
	ds_read2st64_b64 v[3:6], v15 offset0:65 offset1:66
	ds_read2st64_b64 v[7:10], v15 offset0:67 offset1:68
	ds_read_b64 v[13:14], v15 offset:40448
	s_waitcnt lgkmcnt(2)
	v_add_f32_e32 v3, v11, v3
	v_add_f32_e32 v4, v12, v4
	;; [unrolled: 1-line block ×4, first 2 shown]
	ds_read2st64_b64 v[3:6], v15 offset0:69 offset1:70
	s_waitcnt lgkmcnt(2)
	v_add_f32_e32 v7, v11, v7
	v_add_f32_e32 v8, v12, v8
	;; [unrolled: 1-line block ×4, first 2 shown]
	s_waitcnt lgkmcnt(0)
	v_add_f32_e32 v3, v7, v3
	ds_read2st64_b64 v[7:10], v15 offset0:71 offset1:72
	v_add_f32_e32 v4, v11, v4
	v_add_f32_e32 v11, v3, v5
	;; [unrolled: 1-line block ×3, first 2 shown]
	ds_read2st64_b64 v[3:6], v15 offset0:73 offset1:74
	s_waitcnt lgkmcnt(1)
	v_add_f32_e32 v7, v11, v7
	v_add_f32_e32 v8, v12, v8
	;; [unrolled: 1-line block ×4, first 2 shown]
	s_waitcnt lgkmcnt(0)
	v_add_f32_e32 v3, v7, v3
	ds_read2st64_b64 v[7:10], v15 offset0:75 offset1:76
	v_add_f32_e32 v4, v11, v4
	v_add_f32_e32 v11, v3, v5
	;; [unrolled: 1-line block ×3, first 2 shown]
	ds_read2st64_b64 v[3:6], v15 offset0:77 offset1:78
	s_waitcnt lgkmcnt(1)
	v_add_f32_e32 v7, v11, v7
	v_add_f32_e32 v8, v12, v8
	;; [unrolled: 1-line block ×4, first 2 shown]
	s_waitcnt lgkmcnt(0)
	v_add_f32_e32 v3, v7, v3
	v_add_f32_e32 v4, v8, v4
	;; [unrolled: 1-line block ×6, first 2 shown]
	v_cndmask_b32_e64 v11, -v3, 0, s[16:17]
	v_cndmask_b32_e64 v12, -v4, 0, s[16:17]
.LBB54_1088:
	s_or_b64 exec, exec, s[4:5]
	v_readlane_b32 s4, v38, 0
	v_readlane_b32 s5, v38, 1
	s_and_b64 vcc, exec, s[4:5]
	s_cbranch_vccnz .LBB54_1101
; %bb.1089:
	v_mov_b32_e32 v3, 0xa000
	v_lshl_or_b32 v5, v2, 3, v3
	s_and_saveexec_b64 s[4:5], s[2:3]
; %bb.1090:
	v_lshl_add_u32 v3, v0, 3, v5
	ds_write_b64 v3, v[11:12]
; %bb.1091:
	s_or_b64 exec, exec, s[4:5]
	v_cmp_le_u32_e32 vcc, v2, v0
	v_mov_b32_e32 v3, 0
	v_mov_b32_e32 v4, 0
	s_waitcnt lgkmcnt(0)
	s_barrier
	s_and_saveexec_b64 s[4:5], vcc
	s_cbranch_execz .LBB54_1093
; %bb.1092:
	ds_read_b64 v[3:4], v1
	ds_read_b64 v[6:7], v5
	s_waitcnt lgkmcnt(0)
	v_mul_f32_e32 v8, v7, v4
	v_mul_f32_e32 v4, v6, v4
	v_fma_f32 v6, v6, v3, -v8
	v_fmac_f32_e32 v4, v7, v3
	v_add_f32_e32 v3, 0, v6
	v_add_f32_e32 v4, 0, v4
.LBB54_1093:
	s_or_b64 exec, exec, s[4:5]
	v_add_u32_e32 v6, 16, v2
	v_cmp_ge_u32_e32 vcc, v0, v6
	s_and_saveexec_b64 s[4:5], vcc
	s_cbranch_execz .LBB54_1095
; %bb.1094:
	ds_read_b64 v[6:7], v1 offset:8192
	ds_read_b64 v[8:9], v5 offset:128
	s_waitcnt lgkmcnt(0)
	v_mul_f32_e32 v10, v9, v7
	v_mul_f32_e32 v7, v8, v7
	v_fma_f32 v8, v8, v6, -v10
	v_fmac_f32_e32 v7, v9, v6
	v_add_f32_e32 v3, v3, v8
	v_add_f32_e32 v4, v4, v7
.LBB54_1095:
	s_or_b64 exec, exec, s[4:5]
	v_add_u32_e32 v6, 32, v2
	v_cmp_ge_u32_e32 vcc, v0, v6
	s_and_saveexec_b64 s[4:5], vcc
	s_cbranch_execz .LBB54_1097
; %bb.1096:
	ds_read_b64 v[6:7], v1 offset:16384
	ds_read_b64 v[8:9], v5 offset:256
	s_waitcnt lgkmcnt(0)
	v_mul_f32_e32 v10, v9, v7
	v_mul_f32_e32 v7, v8, v7
	v_fma_f32 v8, v8, v6, -v10
	v_fmac_f32_e32 v7, v9, v6
	v_add_f32_e32 v3, v3, v8
	v_add_f32_e32 v4, v4, v7
.LBB54_1097:
	s_or_b64 exec, exec, s[4:5]
	v_add_u32_e32 v2, 48, v2
	v_add_u32_e32 v6, 0x8000, v1
	v_cmp_ge_u32_e32 vcc, v0, v2
	s_and_saveexec_b64 s[4:5], vcc
	s_cbranch_execz .LBB54_1099
; %bb.1098:
	ds_read_b64 v[1:2], v1 offset:24576
	ds_read_b64 v[7:8], v5 offset:384
	s_waitcnt lgkmcnt(0)
	v_mul_f32_e32 v5, v8, v2
	v_mul_f32_e32 v2, v7, v2
	v_fma_f32 v5, v7, v1, -v5
	v_fmac_f32_e32 v2, v8, v1
	v_add_f32_e32 v3, v3, v5
	v_add_f32_e32 v4, v4, v2
.LBB54_1099:
	s_or_b64 exec, exec, s[4:5]
	s_mov_b64 s[6:7], 0
	s_mov_b64 s[4:5], 0
	ds_write_b64 v6, v[3:4]
	s_waitcnt lgkmcnt(0)
	s_barrier
                                        ; implicit-def: $vgpr5
                                        ; implicit-def: $vgpr6
                                        ; implicit-def: $vgpr1_vgpr2
	s_and_saveexec_b64 s[8:9], s[2:3]
	s_cbranch_execz .LBB54_1114
; %bb.1100:
	v_lshlrev_b32_e32 v18, 3, v0
	ds_read2st64_b64 v[5:8], v18 offset0:65 offset1:66
	ds_read2st64_b64 v[13:16], v18 offset0:67 offset1:68
	ds_read_b64 v[9:10], v18 offset:40448
	s_mov_b64 s[4:5], exec
	s_waitcnt lgkmcnt(2)
	v_add_f32_e32 v1, v3, v5
	v_add_f32_e32 v2, v4, v6
	;; [unrolled: 1-line block ×4, first 2 shown]
	ds_read2st64_b64 v[1:4], v18 offset0:69 offset1:70
	s_waitcnt lgkmcnt(2)
	v_add_f32_e32 v5, v5, v13
	v_add_f32_e32 v6, v6, v14
	;; [unrolled: 1-line block ×4, first 2 shown]
	s_waitcnt lgkmcnt(0)
	v_add_f32_e32 v1, v5, v1
	ds_read2st64_b64 v[5:8], v18 offset0:71 offset1:72
	v_add_f32_e32 v2, v13, v2
	v_add_f32_e32 v13, v1, v3
	;; [unrolled: 1-line block ×3, first 2 shown]
	ds_read2st64_b64 v[1:4], v18 offset0:73 offset1:74
	s_waitcnt lgkmcnt(1)
	v_add_f32_e32 v5, v13, v5
	v_add_f32_e32 v6, v14, v6
	;; [unrolled: 1-line block ×4, first 2 shown]
	s_waitcnt lgkmcnt(0)
	v_add_f32_e32 v1, v5, v1
	ds_read2st64_b64 v[5:8], v18 offset0:75 offset1:76
	v_add_f32_e32 v2, v13, v2
	v_add_f32_e32 v1, v1, v3
	;; [unrolled: 1-line block ×3, first 2 shown]
	ds_read2st64_b64 v[13:16], v18 offset0:77 offset1:78
	s_waitcnt lgkmcnt(1)
	v_add_f32_e32 v1, v1, v5
	v_add_f32_e32 v2, v2, v6
	v_add_u32_e32 v5, s33, v17
	v_add_f32_e32 v3, v1, v7
	v_add_f32_e32 v4, v2, v8
	v_mad_u64_u32 v[1:2], s[10:11], s50, v5, 0
	s_waitcnt lgkmcnt(0)
	v_add_f32_e32 v3, v3, v13
	v_add_f32_e32 v6, v3, v15
	v_mad_u64_u32 v[2:3], s[10:11], s51, v5, v[2:3]
	v_add_f32_e32 v4, v4, v14
	v_add_f32_e32 v3, v4, v16
	;; [unrolled: 1-line block ×4, first 2 shown]
	s_or_b64 exec, exec, s[8:9]
	s_and_b64 vcc, exec, s[6:7]
	s_cbranch_vccnz .LBB54_1102
	s_branch .LBB54_1115
.LBB54_1101:
	s_mov_b64 s[4:5], 0
                                        ; implicit-def: $vgpr5
                                        ; implicit-def: $vgpr6
                                        ; implicit-def: $vgpr1_vgpr2
	s_cbranch_execz .LBB54_1115
.LBB54_1102:
	v_mul_u32_u24_e32 v1, 0x208, v0
	v_lshlrev_b32_e32 v2, 9, v0
	v_sub_u32_e32 v2, v1, v2
	s_mov_b32 s8, 0
	v_mov_b32_e32 v3, 0
	v_mov_b32_e32 v4, v0
	s_branch .LBB54_1104
.LBB54_1103:                            ;   in Loop: Header=BB54_1104 Depth=1
	s_or_b64 exec, exec, s[6:7]
	s_add_i32 s8, s8, 2
	v_add_u32_e32 v2, 0x400, v2
	s_cmp_lg_u32 s8, 64
	v_add_u32_e32 v4, -2, v4
	s_barrier
	s_cbranch_scc0 .LBB54_1112
.LBB54_1104:                            ; =>This Inner Loop Header: Depth=1
	v_cmp_eq_u32_e32 vcc, 0, v4
	s_and_b64 s[10:11], s[2:3], vcc
	s_and_saveexec_b64 s[6:7], s[10:11]
	s_cbranch_execz .LBB54_1106
; %bb.1105:                             ;   in Loop: Header=BB54_1104 Depth=1
	ds_read_b64 v[5:6], v1
	s_waitcnt lgkmcnt(0)
	v_mul_f32_e32 v8, v12, v6
	v_mul_f32_e32 v7, v11, v6
	v_fma_f32 v6, v11, v5, -v8
	v_fmac_f32_e32 v7, v12, v5
	v_mov_b32_e32 v11, v6
	v_mov_b32_e32 v12, v7
	ds_write_b64 v3, v[6:7] offset:41472
.LBB54_1106:                            ;   in Loop: Header=BB54_1104 Depth=1
	s_or_b64 exec, exec, s[6:7]
	v_cmp_lt_u32_e32 vcc, s8, v0
	s_and_b64 s[10:11], s[2:3], vcc
	s_waitcnt lgkmcnt(0)
	s_barrier
	s_and_saveexec_b64 s[6:7], s[10:11]
	s_cbranch_execz .LBB54_1108
; %bb.1107:                             ;   in Loop: Header=BB54_1104 Depth=1
	ds_read_b64 v[5:6], v2
	ds_read_b64 v[7:8], v3 offset:41472
	s_waitcnt lgkmcnt(0)
	v_mul_f32_e32 v9, v8, v6
	v_mul_f32_e32 v6, v7, v6
	v_fma_f32 v7, v7, v5, -v9
	v_fmac_f32_e32 v6, v8, v5
	v_add_f32_e32 v11, v11, v7
	v_add_f32_e32 v12, v12, v6
.LBB54_1108:                            ;   in Loop: Header=BB54_1104 Depth=1
	s_or_b64 exec, exec, s[6:7]
	s_or_b32 s9, s8, 1
	v_cmp_eq_u32_e32 vcc, s9, v0
	s_and_b64 s[10:11], s[2:3], vcc
	s_barrier
	s_and_saveexec_b64 s[6:7], s[10:11]
	s_cbranch_execz .LBB54_1110
; %bb.1109:                             ;   in Loop: Header=BB54_1104 Depth=1
	ds_read_b64 v[5:6], v1
	s_waitcnt lgkmcnt(0)
	v_mul_f32_e32 v8, v12, v6
	v_mul_f32_e32 v7, v11, v6
	v_fma_f32 v6, v11, v5, -v8
	v_fmac_f32_e32 v7, v12, v5
	v_mov_b32_e32 v11, v6
	v_mov_b32_e32 v12, v7
	ds_write_b64 v3, v[6:7] offset:41472
.LBB54_1110:                            ;   in Loop: Header=BB54_1104 Depth=1
	s_or_b64 exec, exec, s[6:7]
	v_cmp_lt_u32_e32 vcc, s9, v0
	s_and_b64 s[10:11], s[2:3], vcc
	s_waitcnt lgkmcnt(0)
	s_barrier
	s_and_saveexec_b64 s[6:7], s[10:11]
	s_cbranch_execz .LBB54_1103
; %bb.1111:                             ;   in Loop: Header=BB54_1104 Depth=1
	ds_read_b64 v[5:6], v2 offset:512
	ds_read_b64 v[7:8], v3 offset:41472
	s_waitcnt lgkmcnt(0)
	v_mul_f32_e32 v9, v8, v6
	v_mul_f32_e32 v6, v7, v6
	v_fma_f32 v7, v7, v5, -v9
	v_fmac_f32_e32 v6, v8, v5
	v_add_f32_e32 v11, v11, v7
	v_add_f32_e32 v12, v12, v6
	s_branch .LBB54_1103
.LBB54_1112:
	s_and_b64 vcc, exec, s[0:1]
	s_cbranch_vccz .LBB54_1116
; %bb.1113:
	s_and_b64 s[0:1], s[2:3], exec
	s_cbranch_execz .LBB54_1117
	s_branch .LBB54_1118
.LBB54_1114:
	s_or_b64 exec, exec, s[8:9]
	s_and_b64 vcc, exec, s[6:7]
	s_cbranch_vccnz .LBB54_1102
.LBB54_1115:
	v_mov_b32_e32 v12, v5
	v_mov_b32_e32 v11, v6
	s_and_saveexec_b64 s[0:1], s[4:5]
	s_cbranch_execnz .LBB54_1121
	s_branch .LBB54_1122
.LBB54_1116:
	s_mov_b64 s[0:1], 0
.LBB54_1117:
	v_cmp_gt_i32_e32 vcc, s26, v0
	s_and_b64 s[2:3], s[2:3], vcc
	s_andn2_b64 s[0:1], s[0:1], exec
	s_and_b64 s[2:3], s[2:3], exec
	s_or_b64 s[0:1], s[0:1], s[2:3]
.LBB54_1118:
                                        ; implicit-def: $vgpr1_vgpr2
	s_and_saveexec_b64 s[2:3], s[0:1]
	s_cbranch_execz .LBB54_1120
; %bb.1119:
	v_mov_b32_e32 v0, s38
	v_add_co_u32_e32 v1, vcc, s33, v17
	v_addc_co_u32_e32 v0, vcc, 0, v0, vcc
	v_mul_lo_u32 v0, v0, s50
	v_mul_lo_u32 v3, v1, s51
	v_mad_u64_u32 v[1:2], s[0:1], v1, s50, 0
	s_or_b64 s[4:5], s[4:5], exec
	v_add3_u32 v2, v2, v3, v0
.LBB54_1120:
	s_or_b64 exec, exec, s[2:3]
	s_and_saveexec_b64 s[0:1], s[4:5]
	s_cbranch_execz .LBB54_1122
.LBB54_1121:
	v_lshlrev_b64 v[0:1], 3, v[1:2]
	v_mov_b32_e32 v2, s21
	v_add_co_u32_e32 v0, vcc, s20, v0
	v_addc_co_u32_e32 v1, vcc, v2, v1, vcc
	global_store_dwordx2 v[0:1], v[11:12], off
.LBB54_1122:
	s_or_b64 exec, exec, s[0:1]
	v_cmp_eq_u32_e32 vcc, 0, v17
	s_waitcnt vmcnt(0)
	buffer_wbinvl1_vol
	s_barrier
	s_and_saveexec_b64 s[0:1], vcc
	s_cbranch_execz .LBB54_1124
; %bb.1123:
	s_lshl_b64 s[2:3], s[22:23], 2
	s_add_u32 s2, s14, s2
	s_addc_u32 s3, s15, s3
	v_mov_b32_e32 v0, 0
	global_load_dword v1, v0, s[2:3]
	s_waitcnt vmcnt(0)
	v_add_u32_e32 v1, 1, v1
	global_store_dword v0, v1, s[2:3]
.LBB54_1124:
	s_or_b64 exec, exec, s[0:1]
	s_waitcnt vmcnt(0)
	buffer_wbinvl1_vol
	s_endpgm
.LBB54_1125:
	ds_read_b64 v[22:23], v20 offset:31680
	ds_read_b64 v[24:25], v21 offset:31208
	s_waitcnt lgkmcnt(0)
	v_mul_f32_e32 v26, v25, v23
	v_mul_f32_e32 v23, v24, v23
	v_fma_f32 v24, v24, v22, -v26
	v_fmac_f32_e32 v23, v25, v22
	v_add_f32_e32 v11, v11, v24
	v_add_f32_e32 v12, v12, v23
	s_or_b64 exec, exec, s[14:15]
	v_cmp_gt_u32_e64 s[10:11], 8, v16
	s_and_saveexec_b64 s[14:15], s[10:11]
	s_cbranch_execz .LBB54_149
.LBB54_1126:
	ds_read_b64 v[22:23], v20 offset:32192
	ds_read_b64 v[20:21], v21 offset:31216
	s_waitcnt lgkmcnt(0)
	v_mul_f32_e32 v24, v21, v23
	v_mul_f32_e32 v23, v20, v23
	v_fma_f32 v20, v20, v22, -v24
	v_fmac_f32_e32 v23, v21, v22
	v_add_f32_e32 v11, v11, v20
	v_add_f32_e32 v12, v12, v23
	s_or_b64 exec, exec, s[14:15]
	v_cmp_gt_u32_e64 s[10:11], 4, v16
	s_and_saveexec_b64 s[14:15], s[10:11]
	s_cbranch_execnz .LBB54_150
	s_branch .LBB54_151
.LBB54_1127:
	ds_read_b64 v[25:26], v23 offset:29568
	ds_read_b64 v[27:28], v24 offset:29128
	s_waitcnt lgkmcnt(0)
	v_mul_f32_e32 v29, v28, v26
	v_mul_f32_e32 v26, v27, v26
	v_fma_f32 v27, v27, v25, -v29
	v_fmac_f32_e32 v26, v28, v25
	v_add_f32_e32 v11, v11, v27
	v_add_f32_e32 v12, v12, v26
	s_or_b64 exec, exec, s[16:17]
	v_cmp_gt_u32_e64 s[14:15], 48, v16
	s_and_saveexec_b64 s[16:17], s[14:15]
	s_cbranch_execz .LBB54_191
.LBB54_1128:
	ds_read_b64 v[25:26], v23 offset:30080
	ds_read_b64 v[27:28], v24 offset:29136
	s_waitcnt lgkmcnt(0)
	v_mul_f32_e32 v29, v28, v26
	v_mul_f32_e32 v26, v27, v26
	v_fma_f32 v27, v27, v25, -v29
	v_fmac_f32_e32 v26, v28, v25
	v_add_f32_e32 v11, v11, v27
	v_add_f32_e32 v12, v12, v26
	s_or_b64 exec, exec, s[16:17]
	v_cmp_gt_u32_e64 s[14:15], 40, v16
	s_and_saveexec_b64 s[16:17], s[14:15]
	s_cbranch_execz .LBB54_192
.LBB54_1129:
	ds_read_b64 v[25:26], v23 offset:30592
	ds_read_b64 v[27:28], v24 offset:29144
	s_waitcnt lgkmcnt(0)
	v_mul_f32_e32 v29, v28, v26
	v_mul_f32_e32 v26, v27, v26
	v_fma_f32 v27, v27, v25, -v29
	v_fmac_f32_e32 v26, v28, v25
	v_add_f32_e32 v11, v11, v27
	v_add_f32_e32 v12, v12, v26
	s_or_b64 exec, exec, s[16:17]
	v_cmp_gt_u32_e64 s[14:15], 32, v16
	s_and_saveexec_b64 s[16:17], s[14:15]
	s_cbranch_execz .LBB54_193
.LBB54_1130:
	ds_read_b64 v[25:26], v23 offset:31104
	ds_read_b64 v[27:28], v24 offset:29152
	s_waitcnt lgkmcnt(0)
	v_mul_f32_e32 v29, v28, v26
	v_mul_f32_e32 v26, v27, v26
	v_fma_f32 v27, v27, v25, -v29
	v_fmac_f32_e32 v26, v28, v25
	v_add_f32_e32 v11, v11, v27
	v_add_f32_e32 v12, v12, v26
	s_or_b64 exec, exec, s[16:17]
	v_cmp_gt_u32_e64 s[14:15], 24, v16
	s_and_saveexec_b64 s[16:17], s[14:15]
	s_cbranch_execz .LBB54_194
.LBB54_1131:
	ds_read_b64 v[25:26], v23 offset:31616
	ds_read_b64 v[27:28], v24 offset:29160
	s_waitcnt lgkmcnt(0)
	v_mul_f32_e32 v29, v28, v26
	v_mul_f32_e32 v26, v27, v26
	v_fma_f32 v27, v27, v25, -v29
	v_fmac_f32_e32 v26, v28, v25
	v_add_f32_e32 v11, v11, v27
	v_add_f32_e32 v12, v12, v26
	s_or_b64 exec, exec, s[16:17]
	s_and_saveexec_b64 s[14:15], s[18:19]
	s_cbranch_execz .LBB54_195
.LBB54_1132:
	ds_read_b64 v[25:26], v23 offset:32128
	ds_read_b64 v[23:24], v24 offset:29168
	s_waitcnt lgkmcnt(0)
	v_mul_f32_e32 v27, v24, v26
	v_mul_f32_e32 v26, v23, v26
	v_fma_f32 v23, v23, v25, -v27
	v_fmac_f32_e32 v26, v24, v25
	v_add_f32_e32 v11, v11, v23
	v_add_f32_e32 v12, v12, v26
	s_or_b64 exec, exec, s[14:15]
	v_cmp_gt_u32_e64 s[14:15], 8, v16
	s_and_saveexec_b64 s[16:17], s[14:15]
	s_cbranch_execnz .LBB54_196
	s_branch .LBB54_197
.LBB54_1133:
	ds_read_b64 v[25:26], v23 offset:27520
	ds_read_b64 v[27:28], v24 offset:27048
	s_waitcnt lgkmcnt(0)
	v_mul_f32_e32 v29, v28, v26
	v_mul_f32_e32 v26, v27, v26
	v_fma_f32 v27, v27, v25, -v29
	v_fmac_f32_e32 v26, v28, v25
	v_add_f32_e32 v11, v11, v27
	v_add_f32_e32 v12, v12, v26
	s_or_b64 exec, exec, s[14:15]
	v_cmp_gt_u32_e64 s[10:11], 8, v16
	s_and_saveexec_b64 s[14:15], s[10:11]
	s_cbranch_execz .LBB54_253
.LBB54_1134:
	ds_read_b64 v[25:26], v23 offset:28032
	ds_read_b64 v[23:24], v24 offset:27056
	s_waitcnt lgkmcnt(0)
	v_mul_f32_e32 v27, v24, v26
	v_mul_f32_e32 v26, v23, v26
	v_fma_f32 v23, v23, v25, -v27
	v_fmac_f32_e32 v26, v24, v25
	v_add_f32_e32 v11, v11, v23
	v_add_f32_e32 v12, v12, v26
	s_or_b64 exec, exec, s[14:15]
	v_cmp_gt_u32_e64 s[10:11], 4, v16
	s_and_saveexec_b64 s[14:15], s[10:11]
	s_cbranch_execnz .LBB54_254
	s_branch .LBB54_255
.LBB54_1135:
	ds_read_b64 v[28:29], v26 offset:30464
	ds_read_b64 v[30:31], v27 offset:25048
	s_waitcnt lgkmcnt(0)
	v_mul_f32_e32 v32, v31, v29
	v_mul_f32_e32 v29, v30, v29
	v_fma_f32 v30, v30, v28, -v32
	v_fmac_f32_e32 v29, v31, v28
	v_add_f32_e32 v11, v11, v30
	v_add_f32_e32 v12, v12, v29
	s_or_b64 exec, exec, s[20:21]
	s_and_saveexec_b64 s[16:17], s[8:9]
	s_cbranch_execz .LBB54_315
.LBB54_1136:
	ds_read_b64 v[28:29], v26 offset:30976
	ds_read_b64 v[30:31], v27 offset:25056
	s_waitcnt lgkmcnt(0)
	v_mul_f32_e32 v32, v31, v29
	v_mul_f32_e32 v29, v30, v29
	v_fma_f32 v30, v30, v28, -v32
	v_fmac_f32_e32 v29, v31, v28
	v_add_f32_e32 v11, v11, v30
	v_add_f32_e32 v12, v12, v29
	s_or_b64 exec, exec, s[16:17]
	v_cmp_gt_u32_e64 s[16:17], 48, v16
	s_and_saveexec_b64 s[20:21], s[16:17]
	s_cbranch_execz .LBB54_316
.LBB54_1137:
	ds_read_b64 v[28:29], v26 offset:31488
	ds_read_b64 v[30:31], v27 offset:25064
	s_waitcnt lgkmcnt(0)
	v_mul_f32_e32 v32, v31, v29
	v_mul_f32_e32 v29, v30, v29
	v_fma_f32 v30, v30, v28, -v32
	v_fmac_f32_e32 v29, v31, v28
	v_add_f32_e32 v11, v11, v30
	v_add_f32_e32 v12, v12, v29
	s_or_b64 exec, exec, s[20:21]
	v_cmp_gt_u32_e64 s[16:17], 32, v16
	s_and_saveexec_b64 s[20:21], s[16:17]
	s_cbranch_execz .LBB54_317
.LBB54_1138:
	ds_read_b64 v[28:29], v26 offset:32000
	ds_read_b64 v[26:27], v27 offset:25072
	s_waitcnt lgkmcnt(0)
	v_mul_f32_e32 v30, v27, v29
	v_mul_f32_e32 v29, v26, v29
	v_fma_f32 v26, v26, v28, -v30
	v_fmac_f32_e32 v29, v27, v28
	v_add_f32_e32 v11, v11, v26
	v_add_f32_e32 v12, v12, v29
	s_or_b64 exec, exec, s[20:21]
	v_cmp_gt_u32_e64 s[16:17], 16, v16
	s_and_saveexec_b64 s[20:21], s[16:17]
	s_cbranch_execnz .LBB54_318
	s_branch .LBB54_319
.LBB54_1139:
	ds_read_b64 v[28:29], v26 offset:23360
	ds_read_b64 v[30:31], v27 offset:22888
	s_waitcnt lgkmcnt(0)
	v_mul_f32_e32 v32, v31, v29
	v_mul_f32_e32 v29, v30, v29
	v_fma_f32 v30, v30, v28, -v32
	v_fmac_f32_e32 v29, v31, v28
	v_add_f32_e32 v11, v11, v30
	v_add_f32_e32 v12, v12, v29
	s_or_b64 exec, exec, s[16:17]
	v_cmp_gt_u32_e64 s[14:15], 8, v16
	s_and_saveexec_b64 s[16:17], s[14:15]
	s_cbranch_execz .LBB54_407
.LBB54_1140:
	ds_read_b64 v[28:29], v26 offset:23872
	ds_read_b64 v[26:27], v27 offset:22896
	s_waitcnt lgkmcnt(0)
	v_mul_f32_e32 v30, v27, v29
	v_mul_f32_e32 v29, v26, v29
	v_fma_f32 v26, v26, v28, -v30
	v_fmac_f32_e32 v29, v27, v28
	v_add_f32_e32 v11, v11, v26
	v_add_f32_e32 v12, v12, v29
	s_or_b64 exec, exec, s[16:17]
	v_cmp_gt_u32_e64 s[14:15], 4, v16
	s_and_saveexec_b64 s[16:17], s[14:15]
	s_cbranch_execnz .LBB54_408
	s_branch .LBB54_409
.LBB54_1141:
	ds_read_b64 v[28:29], v26 offset:21248
	ds_read_b64 v[30:31], v27 offset:20808
	s_waitcnt lgkmcnt(0)
	v_mul_f32_e32 v32, v31, v29
	v_mul_f32_e32 v29, v30, v29
	v_fma_f32 v30, v30, v28, -v32
	v_fmac_f32_e32 v29, v31, v28
	v_add_f32_e32 v11, v11, v30
	v_add_f32_e32 v12, v12, v29
	s_or_b64 exec, exec, s[16:17]
	v_cmp_gt_u32_e64 s[14:15], 48, v16
	s_and_saveexec_b64 s[16:17], s[14:15]
	s_cbranch_execz .LBB54_449
.LBB54_1142:
	ds_read_b64 v[28:29], v26 offset:21760
	ds_read_b64 v[30:31], v27 offset:20816
	s_waitcnt lgkmcnt(0)
	v_mul_f32_e32 v32, v31, v29
	v_mul_f32_e32 v29, v30, v29
	v_fma_f32 v30, v30, v28, -v32
	v_fmac_f32_e32 v29, v31, v28
	v_add_f32_e32 v11, v11, v30
	v_add_f32_e32 v12, v12, v29
	s_or_b64 exec, exec, s[16:17]
	v_cmp_gt_u32_e64 s[14:15], 40, v16
	s_and_saveexec_b64 s[16:17], s[14:15]
	s_cbranch_execz .LBB54_450
.LBB54_1143:
	ds_read_b64 v[28:29], v26 offset:22272
	ds_read_b64 v[30:31], v27 offset:20824
	s_waitcnt lgkmcnt(0)
	v_mul_f32_e32 v32, v31, v29
	v_mul_f32_e32 v29, v30, v29
	v_fma_f32 v30, v30, v28, -v32
	v_fmac_f32_e32 v29, v31, v28
	v_add_f32_e32 v11, v11, v30
	v_add_f32_e32 v12, v12, v29
	s_or_b64 exec, exec, s[16:17]
	v_cmp_gt_u32_e64 s[14:15], 32, v16
	s_and_saveexec_b64 s[16:17], s[14:15]
	s_cbranch_execz .LBB54_451
.LBB54_1144:
	ds_read_b64 v[28:29], v26 offset:22784
	ds_read_b64 v[30:31], v27 offset:20832
	s_waitcnt lgkmcnt(0)
	v_mul_f32_e32 v32, v31, v29
	v_mul_f32_e32 v29, v30, v29
	v_fma_f32 v30, v30, v28, -v32
	v_fmac_f32_e32 v29, v31, v28
	v_add_f32_e32 v11, v11, v30
	v_add_f32_e32 v12, v12, v29
	s_or_b64 exec, exec, s[16:17]
	v_cmp_gt_u32_e64 s[14:15], 24, v16
	s_and_saveexec_b64 s[16:17], s[14:15]
	s_cbranch_execz .LBB54_452
.LBB54_1145:
	ds_read_b64 v[28:29], v26 offset:23296
	ds_read_b64 v[30:31], v27 offset:20840
	s_waitcnt lgkmcnt(0)
	v_mul_f32_e32 v32, v31, v29
	v_mul_f32_e32 v29, v30, v29
	v_fma_f32 v30, v30, v28, -v32
	v_fmac_f32_e32 v29, v31, v28
	v_add_f32_e32 v11, v11, v30
	v_add_f32_e32 v12, v12, v29
	s_or_b64 exec, exec, s[16:17]
	s_and_saveexec_b64 s[14:15], s[18:19]
	s_cbranch_execz .LBB54_453
.LBB54_1146:
	ds_read_b64 v[28:29], v26 offset:23808
	ds_read_b64 v[26:27], v27 offset:20848
	s_waitcnt lgkmcnt(0)
	v_mul_f32_e32 v30, v27, v29
	v_mul_f32_e32 v29, v26, v29
	v_fma_f32 v26, v26, v28, -v30
	v_fmac_f32_e32 v29, v27, v28
	v_add_f32_e32 v11, v11, v26
	v_add_f32_e32 v12, v12, v29
	s_or_b64 exec, exec, s[14:15]
	v_cmp_gt_u32_e64 s[14:15], 8, v16
	s_and_saveexec_b64 s[16:17], s[14:15]
	s_cbranch_execnz .LBB54_454
	s_branch .LBB54_455
.LBB54_1147:
	ds_read_b64 v[28:29], v26 offset:19200
	ds_read_b64 v[30:31], v27 offset:18728
	s_waitcnt lgkmcnt(0)
	v_mul_f32_e32 v32, v31, v29
	v_mul_f32_e32 v29, v30, v29
	v_fma_f32 v30, v30, v28, -v32
	v_fmac_f32_e32 v29, v31, v28
	v_add_f32_e32 v11, v11, v30
	v_add_f32_e32 v12, v12, v29
	s_or_b64 exec, exec, s[16:17]
	v_cmp_gt_u32_e64 s[14:15], 8, v16
	s_and_saveexec_b64 s[16:17], s[14:15]
	s_cbranch_execz .LBB54_511
.LBB54_1148:
	ds_read_b64 v[28:29], v26 offset:19712
	ds_read_b64 v[26:27], v27 offset:18736
	s_waitcnt lgkmcnt(0)
	v_mul_f32_e32 v30, v27, v29
	v_mul_f32_e32 v29, v26, v29
	v_fma_f32 v26, v26, v28, -v30
	v_fmac_f32_e32 v29, v27, v28
	v_add_f32_e32 v11, v11, v26
	v_add_f32_e32 v12, v12, v29
	s_or_b64 exec, exec, s[16:17]
	v_cmp_gt_u32_e64 s[14:15], 4, v16
	s_and_saveexec_b64 s[16:17], s[14:15]
	s_cbranch_execnz .LBB54_512
	s_branch .LBB54_513
.LBB54_1149:
	ds_read_b64 v[31:32], v29 offset:31232
	ds_read_b64 v[33:34], v30 offset:16872
	s_waitcnt lgkmcnt(0)
	v_mul_f32_e32 v35, v34, v32
	v_mul_f32_e32 v32, v33, v32
	v_fma_f32 v33, v33, v31, -v35
	v_fmac_f32_e32 v32, v34, v31
	v_add_f32_e32 v11, v11, v33
	v_add_f32_e32 v12, v12, v32
	s_or_b64 exec, exec, s[94:95]
	s_and_saveexec_b64 s[20:21], s[8:9]
	s_cbranch_execz .LBB54_609
.LBB54_1150:
	ds_read_b64 v[31:32], v29 offset:31744
	ds_read_b64 v[33:34], v30 offset:16880
	s_waitcnt lgkmcnt(0)
	v_mul_f32_e32 v35, v34, v32
	v_mul_f32_e32 v32, v33, v32
	v_fma_f32 v33, v33, v31, -v35
	v_fmac_f32_e32 v32, v34, v31
	v_add_f32_e32 v11, v11, v33
	v_add_f32_e32 v12, v12, v32
	s_or_b64 exec, exec, s[20:21]
	v_cmp_gt_u32_e64 s[20:21], 32, v16
	s_and_saveexec_b64 s[94:95], s[20:21]
	s_cbranch_execnz .LBB54_610
	s_branch .LBB54_611
.LBB54_1151:
	ds_read_b64 v[28:29], v26 offset:15040
	ds_read_b64 v[30:31], v27 offset:14568
	s_waitcnt lgkmcnt(0)
	v_mul_f32_e32 v32, v31, v29
	v_mul_f32_e32 v29, v30, v29
	v_fma_f32 v30, v30, v28, -v32
	v_fmac_f32_e32 v29, v31, v28
	v_add_f32_e32 v11, v11, v30
	v_add_f32_e32 v12, v12, v29
	s_or_b64 exec, exec, s[14:15]
	v_cmp_gt_u32_e64 s[12:13], 8, v16
	s_and_saveexec_b64 s[14:15], s[12:13]
	s_cbranch_execz .LBB54_647
.LBB54_1152:
	ds_read_b64 v[28:29], v26 offset:15552
	ds_read_b64 v[26:27], v27 offset:14576
	s_waitcnt lgkmcnt(0)
	v_mul_f32_e32 v30, v27, v29
	v_mul_f32_e32 v29, v26, v29
	v_fma_f32 v26, v26, v28, -v30
	v_fmac_f32_e32 v29, v27, v28
	v_add_f32_e32 v11, v11, v26
	v_add_f32_e32 v12, v12, v29
	s_or_b64 exec, exec, s[14:15]
	v_cmp_gt_u32_e64 s[12:13], 4, v16
	s_and_saveexec_b64 s[14:15], s[12:13]
	s_cbranch_execnz .LBB54_648
	s_branch .LBB54_649
.LBB54_1153:
	ds_read_b64 v[28:29], v26 offset:12928
	ds_read_b64 v[30:31], v27 offset:12488
	s_waitcnt lgkmcnt(0)
	v_mul_f32_e32 v32, v31, v29
	v_mul_f32_e32 v29, v30, v29
	v_fma_f32 v30, v30, v28, -v32
	v_fmac_f32_e32 v29, v31, v28
	v_add_f32_e32 v11, v11, v30
	v_add_f32_e32 v12, v12, v29
	s_or_b64 exec, exec, s[14:15]
	v_cmp_gt_u32_e64 s[12:13], 48, v16
	s_and_saveexec_b64 s[14:15], s[12:13]
	s_cbranch_execz .LBB54_689
.LBB54_1154:
	ds_read_b64 v[28:29], v26 offset:13440
	ds_read_b64 v[30:31], v27 offset:12496
	s_waitcnt lgkmcnt(0)
	v_mul_f32_e32 v32, v31, v29
	v_mul_f32_e32 v29, v30, v29
	v_fma_f32 v30, v30, v28, -v32
	v_fmac_f32_e32 v29, v31, v28
	v_add_f32_e32 v11, v11, v30
	v_add_f32_e32 v12, v12, v29
	s_or_b64 exec, exec, s[14:15]
	v_cmp_gt_u32_e64 s[12:13], 40, v16
	s_and_saveexec_b64 s[14:15], s[12:13]
	s_cbranch_execz .LBB54_690
.LBB54_1155:
	ds_read_b64 v[28:29], v26 offset:13952
	ds_read_b64 v[30:31], v27 offset:12504
	s_waitcnt lgkmcnt(0)
	v_mul_f32_e32 v32, v31, v29
	v_mul_f32_e32 v29, v30, v29
	v_fma_f32 v30, v30, v28, -v32
	v_fmac_f32_e32 v29, v31, v28
	v_add_f32_e32 v11, v11, v30
	v_add_f32_e32 v12, v12, v29
	s_or_b64 exec, exec, s[14:15]
	v_cmp_gt_u32_e64 s[12:13], 32, v16
	s_and_saveexec_b64 s[14:15], s[12:13]
	s_cbranch_execz .LBB54_691
.LBB54_1156:
	ds_read_b64 v[28:29], v26 offset:14464
	ds_read_b64 v[30:31], v27 offset:12512
	s_waitcnt lgkmcnt(0)
	v_mul_f32_e32 v32, v31, v29
	v_mul_f32_e32 v29, v30, v29
	v_fma_f32 v30, v30, v28, -v32
	v_fmac_f32_e32 v29, v31, v28
	v_add_f32_e32 v11, v11, v30
	v_add_f32_e32 v12, v12, v29
	s_or_b64 exec, exec, s[14:15]
	v_cmp_gt_u32_e64 s[12:13], 24, v16
	s_and_saveexec_b64 s[14:15], s[12:13]
	s_cbranch_execz .LBB54_692
.LBB54_1157:
	ds_read_b64 v[28:29], v26 offset:14976
	ds_read_b64 v[30:31], v27 offset:12520
	s_waitcnt lgkmcnt(0)
	v_mul_f32_e32 v32, v31, v29
	v_mul_f32_e32 v29, v30, v29
	v_fma_f32 v30, v30, v28, -v32
	v_fmac_f32_e32 v29, v31, v28
	v_add_f32_e32 v11, v11, v30
	v_add_f32_e32 v12, v12, v29
	s_or_b64 exec, exec, s[14:15]
	s_and_saveexec_b64 s[12:13], s[18:19]
	s_cbranch_execz .LBB54_693
.LBB54_1158:
	ds_read_b64 v[28:29], v26 offset:15488
	ds_read_b64 v[26:27], v27 offset:12528
	s_waitcnt lgkmcnt(0)
	v_mul_f32_e32 v30, v27, v29
	v_mul_f32_e32 v29, v26, v29
	v_fma_f32 v26, v26, v28, -v30
	v_fmac_f32_e32 v29, v27, v28
	v_add_f32_e32 v11, v11, v26
	v_add_f32_e32 v12, v12, v29
	s_or_b64 exec, exec, s[12:13]
	v_cmp_gt_u32_e64 s[12:13], 8, v16
	s_and_saveexec_b64 s[14:15], s[12:13]
	s_cbranch_execnz .LBB54_694
	s_branch .LBB54_695
.LBB54_1159:
	ds_read_b64 v[28:29], v26 offset:10880
	ds_read_b64 v[30:31], v27 offset:10408
	s_waitcnt lgkmcnt(0)
	v_mul_f32_e32 v32, v31, v29
	v_mul_f32_e32 v29, v30, v29
	v_fma_f32 v30, v30, v28, -v32
	v_fmac_f32_e32 v29, v31, v28
	v_add_f32_e32 v11, v11, v30
	v_add_f32_e32 v12, v12, v29
	s_or_b64 exec, exec, s[14:15]
	v_cmp_gt_u32_e64 s[12:13], 8, v16
	s_and_saveexec_b64 s[14:15], s[12:13]
	s_cbranch_execz .LBB54_751
.LBB54_1160:
	ds_read_b64 v[28:29], v26 offset:11392
	ds_read_b64 v[26:27], v27 offset:10416
	s_waitcnt lgkmcnt(0)
	v_mul_f32_e32 v30, v27, v29
	v_mul_f32_e32 v29, v26, v29
	v_fma_f32 v26, v26, v28, -v30
	v_fmac_f32_e32 v29, v27, v28
	v_add_f32_e32 v11, v11, v26
	v_add_f32_e32 v12, v12, v29
	s_or_b64 exec, exec, s[14:15]
	v_cmp_gt_u32_e64 s[12:13], 4, v16
	s_and_saveexec_b64 s[14:15], s[12:13]
	s_cbranch_execnz .LBB54_752
	s_branch .LBB54_753
.LBB54_1161:
	ds_read_b64 v[28:29], v26 offset:13824
	ds_read_b64 v[30:31], v27 offset:8408
	s_waitcnt lgkmcnt(0)
	v_mul_f32_e32 v32, v31, v29
	v_mul_f32_e32 v29, v30, v29
	v_fma_f32 v30, v30, v28, -v32
	v_fmac_f32_e32 v29, v31, v28
	v_add_f32_e32 v11, v11, v30
	v_add_f32_e32 v12, v12, v29
	s_or_b64 exec, exec, s[14:15]
	s_and_saveexec_b64 s[12:13], s[8:9]
	s_cbranch_execz .LBB54_813
.LBB54_1162:
	ds_read_b64 v[28:29], v26 offset:14336
	ds_read_b64 v[30:31], v27 offset:8416
	s_waitcnt lgkmcnt(0)
	v_mul_f32_e32 v32, v31, v29
	v_mul_f32_e32 v29, v30, v29
	v_fma_f32 v30, v30, v28, -v32
	v_fmac_f32_e32 v29, v31, v28
	v_add_f32_e32 v11, v11, v30
	v_add_f32_e32 v12, v12, v29
	s_or_b64 exec, exec, s[12:13]
	v_cmp_gt_u32_e64 s[12:13], 48, v16
	s_and_saveexec_b64 s[14:15], s[12:13]
	s_cbranch_execz .LBB54_814
.LBB54_1163:
	ds_read_b64 v[28:29], v26 offset:14848
	ds_read_b64 v[30:31], v27 offset:8424
	s_waitcnt lgkmcnt(0)
	v_mul_f32_e32 v32, v31, v29
	v_mul_f32_e32 v29, v30, v29
	v_fma_f32 v30, v30, v28, -v32
	v_fmac_f32_e32 v29, v31, v28
	v_add_f32_e32 v11, v11, v30
	v_add_f32_e32 v12, v12, v29
	s_or_b64 exec, exec, s[14:15]
	v_cmp_gt_u32_e64 s[12:13], 32, v16
	s_and_saveexec_b64 s[14:15], s[12:13]
	s_cbranch_execz .LBB54_815
.LBB54_1164:
	ds_read_b64 v[28:29], v26 offset:15360
	ds_read_b64 v[26:27], v27 offset:8432
	s_waitcnt lgkmcnt(0)
	v_mul_f32_e32 v30, v27, v29
	v_mul_f32_e32 v29, v26, v29
	v_fma_f32 v26, v26, v28, -v30
	v_fmac_f32_e32 v29, v27, v28
	v_add_f32_e32 v11, v11, v26
	v_add_f32_e32 v12, v12, v29
	s_or_b64 exec, exec, s[14:15]
	v_cmp_gt_u32_e64 s[12:13], 16, v16
	s_and_saveexec_b64 s[14:15], s[12:13]
	s_cbranch_execnz .LBB54_816
	s_branch .LBB54_817
.LBB54_1165:
	ds_read_b64 v[25:26], v23 offset:6720
	ds_read_b64 v[27:28], v24 offset:6248
	s_waitcnt lgkmcnt(0)
	v_mul_f32_e32 v29, v28, v26
	v_mul_f32_e32 v26, v27, v26
	v_fma_f32 v27, v27, v25, -v29
	v_fmac_f32_e32 v26, v28, v25
	v_add_f32_e32 v11, v11, v27
	v_add_f32_e32 v12, v12, v26
	s_or_b64 exec, exec, s[12:13]
	v_cmp_gt_u32_e64 s[10:11], 8, v16
	s_and_saveexec_b64 s[12:13], s[10:11]
	s_cbranch_execz .LBB54_905
.LBB54_1166:
	ds_read_b64 v[25:26], v23 offset:7232
	ds_read_b64 v[23:24], v24 offset:6256
	s_waitcnt lgkmcnt(0)
	v_mul_f32_e32 v27, v24, v26
	v_mul_f32_e32 v26, v23, v26
	v_fma_f32 v23, v23, v25, -v27
	v_fmac_f32_e32 v26, v24, v25
	v_add_f32_e32 v11, v11, v23
	v_add_f32_e32 v12, v12, v26
	s_or_b64 exec, exec, s[12:13]
	v_cmp_gt_u32_e64 s[10:11], 4, v16
	s_and_saveexec_b64 s[12:13], s[10:11]
	s_cbranch_execnz .LBB54_906
	s_branch .LBB54_907
.LBB54_1167:
	ds_read_b64 v[25:26], v23 offset:4608
	ds_read_b64 v[27:28], v24 offset:4168
	s_waitcnt lgkmcnt(0)
	v_mul_f32_e32 v29, v28, v26
	v_mul_f32_e32 v26, v27, v26
	v_fma_f32 v27, v27, v25, -v29
	v_fmac_f32_e32 v26, v28, v25
	v_add_f32_e32 v11, v11, v27
	v_add_f32_e32 v12, v12, v26
	s_or_b64 exec, exec, s[12:13]
	v_cmp_gt_u32_e64 s[10:11], 48, v16
	s_and_saveexec_b64 s[12:13], s[10:11]
	s_cbranch_execz .LBB54_947
.LBB54_1168:
	ds_read_b64 v[25:26], v23 offset:5120
	ds_read_b64 v[27:28], v24 offset:4176
	s_waitcnt lgkmcnt(0)
	v_mul_f32_e32 v29, v28, v26
	v_mul_f32_e32 v26, v27, v26
	v_fma_f32 v27, v27, v25, -v29
	v_fmac_f32_e32 v26, v28, v25
	v_add_f32_e32 v11, v11, v27
	v_add_f32_e32 v12, v12, v26
	s_or_b64 exec, exec, s[12:13]
	v_cmp_gt_u32_e64 s[10:11], 40, v16
	s_and_saveexec_b64 s[12:13], s[10:11]
	s_cbranch_execz .LBB54_948
.LBB54_1169:
	ds_read_b64 v[25:26], v23 offset:5632
	ds_read_b64 v[27:28], v24 offset:4184
	s_waitcnt lgkmcnt(0)
	v_mul_f32_e32 v29, v28, v26
	v_mul_f32_e32 v26, v27, v26
	v_fma_f32 v27, v27, v25, -v29
	v_fmac_f32_e32 v26, v28, v25
	v_add_f32_e32 v11, v11, v27
	v_add_f32_e32 v12, v12, v26
	s_or_b64 exec, exec, s[12:13]
	v_cmp_gt_u32_e64 s[10:11], 32, v16
	s_and_saveexec_b64 s[12:13], s[10:11]
	s_cbranch_execz .LBB54_949
.LBB54_1170:
	ds_read_b64 v[25:26], v23 offset:6144
	ds_read_b64 v[27:28], v24 offset:4192
	s_waitcnt lgkmcnt(0)
	v_mul_f32_e32 v29, v28, v26
	v_mul_f32_e32 v26, v27, v26
	v_fma_f32 v27, v27, v25, -v29
	v_fmac_f32_e32 v26, v28, v25
	v_add_f32_e32 v11, v11, v27
	v_add_f32_e32 v12, v12, v26
	s_or_b64 exec, exec, s[12:13]
	v_cmp_gt_u32_e64 s[10:11], 24, v16
	s_and_saveexec_b64 s[12:13], s[10:11]
	s_cbranch_execz .LBB54_950
.LBB54_1171:
	ds_read_b64 v[25:26], v23 offset:6656
	ds_read_b64 v[27:28], v24 offset:4200
	s_waitcnt lgkmcnt(0)
	v_mul_f32_e32 v29, v28, v26
	v_mul_f32_e32 v26, v27, v26
	v_fma_f32 v27, v27, v25, -v29
	v_fmac_f32_e32 v26, v28, v25
	v_add_f32_e32 v11, v11, v27
	v_add_f32_e32 v12, v12, v26
	s_or_b64 exec, exec, s[12:13]
	s_and_saveexec_b64 s[10:11], s[18:19]
	s_cbranch_execz .LBB54_951
.LBB54_1172:
	ds_read_b64 v[25:26], v23 offset:7168
	ds_read_b64 v[23:24], v24 offset:4208
	s_waitcnt lgkmcnt(0)
	v_mul_f32_e32 v27, v24, v26
	v_mul_f32_e32 v26, v23, v26
	v_fma_f32 v23, v23, v25, -v27
	v_fmac_f32_e32 v26, v24, v25
	v_add_f32_e32 v11, v11, v23
	v_add_f32_e32 v12, v12, v26
	s_or_b64 exec, exec, s[10:11]
	v_cmp_gt_u32_e64 s[10:11], 8, v16
	s_and_saveexec_b64 s[12:13], s[10:11]
	s_cbranch_execnz .LBB54_952
	s_branch .LBB54_953
.LBB54_1173:
	ds_read_b64 v[22:23], v20 offset:2560
	ds_read_b64 v[24:25], v21 offset:2088
	s_waitcnt lgkmcnt(0)
	v_mul_f32_e32 v26, v25, v23
	v_mul_f32_e32 v23, v24, v23
	v_fma_f32 v24, v24, v22, -v26
	v_fmac_f32_e32 v23, v25, v22
	v_add_f32_e32 v11, v11, v24
	v_add_f32_e32 v12, v12, v23
	s_or_b64 exec, exec, s[10:11]
	v_cmp_gt_u32_e64 s[8:9], 8, v16
	s_and_saveexec_b64 s[10:11], s[8:9]
	s_cbranch_execz .LBB54_1009
.LBB54_1174:
	ds_read_b64 v[22:23], v20 offset:3072
	ds_read_b64 v[20:21], v21 offset:2096
	s_waitcnt lgkmcnt(0)
	v_mul_f32_e32 v24, v21, v23
	v_mul_f32_e32 v23, v20, v23
	v_fma_f32 v20, v20, v22, -v24
	v_fmac_f32_e32 v23, v21, v22
	v_add_f32_e32 v11, v11, v20
	v_add_f32_e32 v12, v12, v23
	s_or_b64 exec, exec, s[10:11]
	v_cmp_gt_u32_e64 s[8:9], 4, v16
	s_and_saveexec_b64 s[10:11], s[8:9]
	s_cbranch_execnz .LBB54_1010
	s_branch .LBB54_1011
	.section	.rodata,"a",@progbits
	.p2align	6, 0x0
	.amdhsa_kernel _ZL19rocblas_trsv_deviceILi64ELi16ELb0ELb1ELb1ELb0E19rocblas_complex_numIfEPKS1_S3_PS1_EviT7_lllT6_T8_lllPii
		.amdhsa_group_segment_fixed_size 41480
		.amdhsa_private_segment_fixed_size 0
		.amdhsa_kernarg_size 352
		.amdhsa_user_sgpr_count 6
		.amdhsa_user_sgpr_private_segment_buffer 1
		.amdhsa_user_sgpr_dispatch_ptr 0
		.amdhsa_user_sgpr_queue_ptr 0
		.amdhsa_user_sgpr_kernarg_segment_ptr 1
		.amdhsa_user_sgpr_dispatch_id 0
		.amdhsa_user_sgpr_flat_scratch_init 0
		.amdhsa_user_sgpr_private_segment_size 0
		.amdhsa_uses_dynamic_stack 0
		.amdhsa_system_sgpr_private_segment_wavefront_offset 0
		.amdhsa_system_sgpr_workgroup_id_x 1
		.amdhsa_system_sgpr_workgroup_id_y 0
		.amdhsa_system_sgpr_workgroup_id_z 1
		.amdhsa_system_sgpr_workgroup_info 0
		.amdhsa_system_vgpr_workitem_id 1
		.amdhsa_next_free_vgpr 49
		.amdhsa_next_free_sgpr 98
		.amdhsa_reserve_vcc 1
		.amdhsa_reserve_flat_scratch 0
		.amdhsa_float_round_mode_32 0
		.amdhsa_float_round_mode_16_64 0
		.amdhsa_float_denorm_mode_32 3
		.amdhsa_float_denorm_mode_16_64 3
		.amdhsa_dx10_clamp 1
		.amdhsa_ieee_mode 1
		.amdhsa_fp16_overflow 0
		.amdhsa_exception_fp_ieee_invalid_op 0
		.amdhsa_exception_fp_denorm_src 0
		.amdhsa_exception_fp_ieee_div_zero 0
		.amdhsa_exception_fp_ieee_overflow 0
		.amdhsa_exception_fp_ieee_underflow 0
		.amdhsa_exception_fp_ieee_inexact 0
		.amdhsa_exception_int_div_zero 0
	.end_amdhsa_kernel
	.section	.text._ZL19rocblas_trsv_deviceILi64ELi16ELb0ELb1ELb1ELb0E19rocblas_complex_numIfEPKS1_S3_PS1_EviT7_lllT6_T8_lllPii,"axG",@progbits,_ZL19rocblas_trsv_deviceILi64ELi16ELb0ELb1ELb1ELb0E19rocblas_complex_numIfEPKS1_S3_PS1_EviT7_lllT6_T8_lllPii,comdat
.Lfunc_end54:
	.size	_ZL19rocblas_trsv_deviceILi64ELi16ELb0ELb1ELb1ELb0E19rocblas_complex_numIfEPKS1_S3_PS1_EviT7_lllT6_T8_lllPii, .Lfunc_end54-_ZL19rocblas_trsv_deviceILi64ELi16ELb0ELb1ELb1ELb0E19rocblas_complex_numIfEPKS1_S3_PS1_EviT7_lllT6_T8_lllPii
                                        ; -- End function
	.set _ZL19rocblas_trsv_deviceILi64ELi16ELb0ELb1ELb1ELb0E19rocblas_complex_numIfEPKS1_S3_PS1_EviT7_lllT6_T8_lllPii.num_vgpr, 39
	.set _ZL19rocblas_trsv_deviceILi64ELi16ELb0ELb1ELb1ELb0E19rocblas_complex_numIfEPKS1_S3_PS1_EviT7_lllT6_T8_lllPii.num_agpr, 0
	.set _ZL19rocblas_trsv_deviceILi64ELi16ELb0ELb1ELb1ELb0E19rocblas_complex_numIfEPKS1_S3_PS1_EviT7_lllT6_T8_lllPii.numbered_sgpr, 96
	.set _ZL19rocblas_trsv_deviceILi64ELi16ELb0ELb1ELb1ELb0E19rocblas_complex_numIfEPKS1_S3_PS1_EviT7_lllT6_T8_lllPii.num_named_barrier, 0
	.set _ZL19rocblas_trsv_deviceILi64ELi16ELb0ELb1ELb1ELb0E19rocblas_complex_numIfEPKS1_S3_PS1_EviT7_lllT6_T8_lllPii.private_seg_size, 0
	.set _ZL19rocblas_trsv_deviceILi64ELi16ELb0ELb1ELb1ELb0E19rocblas_complex_numIfEPKS1_S3_PS1_EviT7_lllT6_T8_lllPii.uses_vcc, 1
	.set _ZL19rocblas_trsv_deviceILi64ELi16ELb0ELb1ELb1ELb0E19rocblas_complex_numIfEPKS1_S3_PS1_EviT7_lllT6_T8_lllPii.uses_flat_scratch, 0
	.set _ZL19rocblas_trsv_deviceILi64ELi16ELb0ELb1ELb1ELb0E19rocblas_complex_numIfEPKS1_S3_PS1_EviT7_lllT6_T8_lllPii.has_dyn_sized_stack, 0
	.set _ZL19rocblas_trsv_deviceILi64ELi16ELb0ELb1ELb1ELb0E19rocblas_complex_numIfEPKS1_S3_PS1_EviT7_lllT6_T8_lllPii.has_recursion, 0
	.set _ZL19rocblas_trsv_deviceILi64ELi16ELb0ELb1ELb1ELb0E19rocblas_complex_numIfEPKS1_S3_PS1_EviT7_lllT6_T8_lllPii.has_indirect_call, 0
	.section	.AMDGPU.csdata,"",@progbits
; Kernel info:
; codeLenInByte = 50280
; TotalNumSgprs: 100
; NumVgprs: 39
; ScratchSize: 0
; MemoryBound: 0
; FloatMode: 240
; IeeeMode: 1
; LDSByteSize: 41480 bytes/workgroup (compile time only)
; SGPRBlocks: 12
; VGPRBlocks: 12
; NumSGPRsForWavesPerEU: 102
; NumVGPRsForWavesPerEU: 49
; Occupancy: 4
; WaveLimiterHint : 0
; COMPUTE_PGM_RSRC2:SCRATCH_EN: 0
; COMPUTE_PGM_RSRC2:USER_SGPR: 6
; COMPUTE_PGM_RSRC2:TRAP_HANDLER: 0
; COMPUTE_PGM_RSRC2:TGID_X_EN: 1
; COMPUTE_PGM_RSRC2:TGID_Y_EN: 0
; COMPUTE_PGM_RSRC2:TGID_Z_EN: 1
; COMPUTE_PGM_RSRC2:TIDIG_COMP_CNT: 1
	.section	.text._ZL19rocblas_trsv_deviceILi64ELi16ELb1ELb0ELb0ELb1E19rocblas_complex_numIfEPKS1_S3_PS1_EviT7_lllT6_T8_lllPii,"axG",@progbits,_ZL19rocblas_trsv_deviceILi64ELi16ELb1ELb0ELb0ELb1E19rocblas_complex_numIfEPKS1_S3_PS1_EviT7_lllT6_T8_lllPii,comdat
	.globl	_ZL19rocblas_trsv_deviceILi64ELi16ELb1ELb0ELb0ELb1E19rocblas_complex_numIfEPKS1_S3_PS1_EviT7_lllT6_T8_lllPii ; -- Begin function _ZL19rocblas_trsv_deviceILi64ELi16ELb1ELb0ELb0ELb1E19rocblas_complex_numIfEPKS1_S3_PS1_EviT7_lllT6_T8_lllPii
	.p2align	8
	.type	_ZL19rocblas_trsv_deviceILi64ELi16ELb1ELb0ELb0ELb1E19rocblas_complex_numIfEPKS1_S3_PS1_EviT7_lllT6_T8_lllPii,@function
_ZL19rocblas_trsv_deviceILi64ELi16ELb1ELb0ELb0ELb1E19rocblas_complex_numIfEPKS1_S3_PS1_EviT7_lllT6_T8_lllPii: ; @_ZL19rocblas_trsv_deviceILi64ELi16ELb1ELb0ELb0ELb1E19rocblas_complex_numIfEPKS1_S3_PS1_EviT7_lllT6_T8_lllPii
; %bb.0:
	s_load_dwordx16 s[36:51], s[4:5], 0x8
	s_load_dword s33, s[4:5], 0x0
	s_add_u32 flat_scratch_lo, s6, s10
	s_addc_u32 flat_scratch_hi, s7, 0
	s_add_u32 s0, s0, s10
	s_waitcnt lgkmcnt(0)
	s_mul_i32 s6, s43, s9
	s_mul_hi_u32 s7, s42, s9
	s_addc_u32 s1, s1, 0
	s_add_i32 s7, s7, s6
	s_mul_i32 s6, s42, s9
	s_lshl_b64 s[6:7], s[6:7], 3
	s_mov_b32 s22, s9
	s_add_u32 s9, s36, s6
	s_load_dwordx2 s[26:27], s[44:45], 0x0
	s_load_dword s20, s[4:5], 0x6c
	s_addc_u32 s10, s37, s7
	s_lshl_b64 s[6:7], s[38:39], 3
	s_add_u32 s86, s9, s6
	s_addc_u32 s87, s10, s7
	s_cmp_eq_u32 s8, 0
	s_mov_b32 s23, 0
	s_cbranch_scc1 .LBB55_18
; %bb.1:
	s_lshl_b32 s9, s8, 6
	v_add_u32_e32 v2, s9, v1
	v_subrev_u32_e32 v4, 64, v2
	v_ashrrev_i32_e32 v2, 31, v4
	v_mul_lo_u32 v7, s40, v2
	v_mul_lo_u32 v8, s41, v4
	v_mad_u64_u32 v[2:3], s[6:7], s40, v4, 0
	v_add_u32_e32 v5, s9, v0
	v_ashrrev_i32_e32 v6, 31, v5
	v_add3_u32 v3, v3, v7, v8
	v_lshlrev_b64 v[2:3], 3, v[2:3]
	v_mov_b32_e32 v7, s87
	v_add_co_u32_e64 v8, s[6:7], s86, v2
	v_addc_co_u32_e64 v7, s[6:7], v7, v3, s[6:7]
	v_lshlrev_b64 v[2:3], 3, v[5:6]
	v_cmp_gt_i32_e32 vcc, s33, v5
	v_add_co_u32_e64 v2, s[6:7], v8, v2
	v_addc_co_u32_e64 v3, s[6:7], v7, v3, s[6:7]
	v_max_i32_e32 v5, v5, v4
	v_cmp_le_i32_e64 s[6:7], s33, v5
	s_waitcnt lgkmcnt(0)
	s_barrier
	s_and_saveexec_b64 s[10:11], s[6:7]
	s_xor_b64 s[6:7], exec, s[10:11]
	s_cbranch_execz .LBB55_3
; %bb.2:
	v_mov_b32_e32 v5, 0
	buffer_store_dword v5, off, s[0:3], 0
	buffer_store_dword v5, off, s[0:3], 0 offset:4
.LBB55_3:
	s_andn2_saveexec_b64 s[6:7], s[6:7]
	s_cbranch_execz .LBB55_5
; %bb.4:
	global_load_dwordx2 v[5:6], v[2:3], off
	s_waitcnt vmcnt(0)
	buffer_store_dword v6, off, s[0:3], 0 offset:4
	buffer_store_dword v5, off, s[0:3], 0
.LBB55_5:
	s_or_b64 exec, exec, s[6:7]
	v_add_u32_e32 v5, 16, v4
	v_cmp_le_i32_e64 s[6:7], s33, v5
	s_xor_b64 s[10:11], vcc, -1
	s_or_b64 s[6:7], s[10:11], s[6:7]
	s_waitcnt vmcnt(0)
	s_barrier
	s_and_saveexec_b64 s[12:13], s[6:7]
	s_xor_b64 s[6:7], exec, s[12:13]
	s_cbranch_execz .LBB55_7
; %bb.6:
	v_mov_b32_e32 v5, 0
	buffer_store_dword v5, off, s[0:3], 0 offset:8
	buffer_store_dword v5, off, s[0:3], 0 offset:12
.LBB55_7:
	s_andn2_saveexec_b64 s[6:7], s[6:7]
	s_cbranch_execz .LBB55_9
; %bb.8:
	s_lshl_b64 s[12:13], s[40:41], 7
	v_mov_b32_e32 v6, s13
	v_add_co_u32_e32 v5, vcc, s12, v2
	v_addc_co_u32_e32 v6, vcc, v3, v6, vcc
	global_load_dwordx2 v[5:6], v[5:6], off
	s_waitcnt vmcnt(0)
	buffer_store_dword v6, off, s[0:3], 0 offset:12
	buffer_store_dword v5, off, s[0:3], 0 offset:8
.LBB55_9:
	s_or_b64 exec, exec, s[6:7]
	v_add_u32_e32 v5, 32, v4
	v_cmp_le_i32_e32 vcc, s33, v5
	s_or_b64 s[6:7], s[10:11], vcc
	s_waitcnt vmcnt(0)
	s_barrier
	s_and_saveexec_b64 s[12:13], s[6:7]
	s_xor_b64 s[6:7], exec, s[12:13]
	s_cbranch_execz .LBB55_11
; %bb.10:
	v_mov_b32_e32 v5, 0
	buffer_store_dword v5, off, s[0:3], 0 offset:16
	buffer_store_dword v5, off, s[0:3], 0 offset:20
.LBB55_11:
	s_andn2_saveexec_b64 s[6:7], s[6:7]
	s_cbranch_execz .LBB55_13
; %bb.12:
	s_lshl_b64 s[12:13], s[40:41], 8
	v_mov_b32_e32 v6, s13
	v_add_co_u32_e32 v5, vcc, s12, v2
	v_addc_co_u32_e32 v6, vcc, v3, v6, vcc
	global_load_dwordx2 v[5:6], v[5:6], off
	s_waitcnt vmcnt(0)
	buffer_store_dword v6, off, s[0:3], 0 offset:20
	buffer_store_dword v5, off, s[0:3], 0 offset:16
.LBB55_13:
	s_or_b64 exec, exec, s[6:7]
	v_add_u32_e32 v4, 48, v4
	v_cmp_le_i32_e32 vcc, s33, v4
	s_or_b64 s[6:7], s[10:11], vcc
	s_waitcnt vmcnt(0)
	s_barrier
	s_and_saveexec_b64 s[10:11], s[6:7]
	s_xor_b64 s[6:7], exec, s[10:11]
	s_cbranch_execz .LBB55_15
; %bb.14:
	v_mov_b32_e32 v2, 0
	buffer_store_dword v2, off, s[0:3], 0 offset:24
	buffer_store_dword v2, off, s[0:3], 0 offset:28
                                        ; implicit-def: $vgpr2_vgpr3
.LBB55_15:
	s_andn2_saveexec_b64 s[6:7], s[6:7]
	s_cbranch_execz .LBB55_17
; %bb.16:
	v_mov_b32_e32 v4, 0x180
	v_mad_u64_u32 v[2:3], s[10:11], s40, v4, v[2:3]
	s_mul_i32 s9, s41, 0x180
	v_add_u32_e32 v3, s9, v3
	global_load_dwordx2 v[2:3], v[2:3], off
	s_waitcnt vmcnt(0)
	buffer_store_dword v3, off, s[0:3], 0 offset:28
	buffer_store_dword v2, off, s[0:3], 0 offset:24
.LBB55_17:
	s_or_b64 exec, exec, s[6:7]
.LBB55_18:
	s_ashr_i32 s6, s33, 31
	s_lshr_b32 s6, s6, 26
	s_add_i32 s6, s33, s6
	s_andn2_b32 s6, s6, 63
	s_sub_i32 s9, s33, s6
	s_add_i32 s6, s33, -1
	s_ashr_i32 s7, s6, 31
	s_lshr_b32 s7, s7, 26
	s_add_i32 s6, s6, s7
	s_ashr_i32 s6, s6, 6
	s_cmp_eq_u32 s6, s8
	s_cselect_b64 s[6:7], -1, 0
	s_cmp_lg_u32 s9, 0
	s_cselect_b64 s[10:11], -1, 0
	s_and_b64 s[24:25], s[10:11], s[6:7]
	s_mov_b64 s[10:11], -1
	s_and_b64 vcc, exec, s[24:25]
	v_cmp_le_u32_e64 s[6:7], v0, v1
	v_lshlrev_b32_e32 v8, 3, v0
	v_lshl_add_u32 v7, v1, 6, v0
	s_cbranch_vccnz .LBB55_44
; %bb.19:
	s_add_u32 s10, s40, 1
	s_addc_u32 s11, s41, 0
	s_lshl_b32 s12, s8, 6
	s_ashr_i32 s13, s12, 31
	s_mul_hi_u32 s14, s10, s12
	s_mul_i32 s13, s10, s13
	s_add_i32 s13, s14, s13
	s_mul_i32 s11, s11, s12
	s_add_i32 s11, s13, s11
	s_mul_i32 s10, s10, s12
	s_lshl_b64 s[10:11], s[10:11], 3
	s_add_u32 s10, s86, s10
	s_addc_u32 s11, s87, s11
	v_lshlrev_b32_e32 v2, 3, v0
	v_mov_b32_e32 v3, s11
	v_add_co_u32_e32 v2, vcc, s10, v2
	v_addc_co_u32_e32 v3, vcc, 0, v3, vcc
	s_and_saveexec_b64 s[10:11], s[6:7]
	s_xor_b64 s[6:7], exec, s[10:11]
	s_cbranch_execz .LBB55_23
; %bb.20:
	v_or_b32_e32 v4, v1, v0
	v_cmp_gt_u32_e32 vcc, 64, v4
	s_and_saveexec_b64 s[10:11], vcc
; %bb.21:
	v_mov_b32_e32 v4, 0
	v_lshlrev_b32_e32 v6, 3, v7
	v_mov_b32_e32 v5, v4
	ds_write_b64 v6, v[4:5]
; %bb.22:
	s_or_b64 exec, exec, s[10:11]
.LBB55_23:
	s_andn2_saveexec_b64 s[6:7], s[6:7]
	s_cbranch_execz .LBB55_25
; %bb.24:
	v_mad_u64_u32 v[4:5], s[10:11], s40, v1, 0
	v_mad_u64_u32 v[5:6], s[10:11], s41, v1, v[5:6]
	v_lshlrev_b32_e32 v6, 3, v7
	v_lshlrev_b64 v[4:5], 3, v[4:5]
	v_add_co_u32_e32 v4, vcc, v2, v4
	v_addc_co_u32_e32 v5, vcc, v3, v5, vcc
	global_load_dwordx2 v[4:5], v[4:5], off
	s_waitcnt vmcnt(0)
	v_xor_b32_e32 v4, 0x80000000, v4
	v_xor_b32_e32 v5, 0x80000000, v5
	ds_write_b64 v6, v[4:5]
.LBB55_25:
	s_or_b64 exec, exec, s[6:7]
	v_add_u32_e32 v5, 16, v1
	v_lshl_add_u32 v4, v5, 6, v0
	v_cmp_le_u32_e32 vcc, v0, v5
	s_and_saveexec_b64 s[6:7], vcc
	s_xor_b64 s[6:7], exec, s[6:7]
	s_cbranch_execz .LBB55_29
; %bb.26:
	v_or_b32_e32 v5, v5, v0
	v_cmp_gt_u32_e32 vcc, 64, v5
	s_and_saveexec_b64 s[10:11], vcc
; %bb.27:
	v_lshlrev_b32_e32 v6, 3, v4
	v_mov_b32_e32 v4, 0
	v_mov_b32_e32 v5, v4
	ds_write_b64 v6, v[4:5]
; %bb.28:
	s_or_b64 exec, exec, s[10:11]
                                        ; implicit-def: $vgpr5
                                        ; implicit-def: $vgpr4
.LBB55_29:
	s_andn2_saveexec_b64 s[6:7], s[6:7]
	s_cbranch_execz .LBB55_31
; %bb.30:
	v_mad_u64_u32 v[9:10], s[10:11], s40, v5, 0
	v_lshlrev_b32_e32 v4, 3, v4
	v_mov_b32_e32 v6, v10
	v_mad_u64_u32 v[5:6], s[10:11], s41, v5, v[6:7]
	v_mov_b32_e32 v10, v5
	v_lshlrev_b64 v[5:6], 3, v[9:10]
	v_add_co_u32_e32 v5, vcc, v2, v5
	v_addc_co_u32_e32 v6, vcc, v3, v6, vcc
	global_load_dwordx2 v[5:6], v[5:6], off
	s_waitcnt vmcnt(0)
	v_xor_b32_e32 v5, 0x80000000, v5
	v_xor_b32_e32 v6, 0x80000000, v6
	ds_write_b64 v4, v[5:6]
.LBB55_31:
	s_or_b64 exec, exec, s[6:7]
	v_add_u32_e32 v5, 32, v1
	v_lshl_add_u32 v4, v5, 6, v0
	v_cmp_le_u32_e32 vcc, v0, v5
	s_and_saveexec_b64 s[6:7], vcc
	s_xor_b64 s[6:7], exec, s[6:7]
	s_cbranch_execz .LBB55_35
; %bb.32:
	v_or_b32_e32 v5, v5, v0
	v_cmp_gt_u32_e32 vcc, 64, v5
	s_and_saveexec_b64 s[10:11], vcc
; %bb.33:
	v_lshlrev_b32_e32 v6, 3, v4
	v_mov_b32_e32 v4, 0
	v_mov_b32_e32 v5, v4
	ds_write_b64 v6, v[4:5]
; %bb.34:
	s_or_b64 exec, exec, s[10:11]
                                        ; implicit-def: $vgpr5
                                        ; implicit-def: $vgpr4
.LBB55_35:
	s_andn2_saveexec_b64 s[6:7], s[6:7]
	s_cbranch_execz .LBB55_37
; %bb.36:
	v_mad_u64_u32 v[9:10], s[10:11], s40, v5, 0
	v_lshlrev_b32_e32 v4, 3, v4
	v_mov_b32_e32 v6, v10
	v_mad_u64_u32 v[5:6], s[10:11], s41, v5, v[6:7]
	v_mov_b32_e32 v10, v5
	v_lshlrev_b64 v[5:6], 3, v[9:10]
	v_add_co_u32_e32 v5, vcc, v2, v5
	v_addc_co_u32_e32 v6, vcc, v3, v6, vcc
	global_load_dwordx2 v[5:6], v[5:6], off
	s_waitcnt vmcnt(0)
	v_xor_b32_e32 v5, 0x80000000, v5
	v_xor_b32_e32 v6, 0x80000000, v6
	ds_write_b64 v4, v[5:6]
.LBB55_37:
	s_or_b64 exec, exec, s[6:7]
	v_add_u32_e32 v5, 48, v1
	v_lshl_add_u32 v4, v5, 6, v0
	v_cmp_le_u32_e32 vcc, v0, v5
	s_and_saveexec_b64 s[6:7], vcc
	s_xor_b64 s[6:7], exec, s[6:7]
	s_cbranch_execz .LBB55_41
; %bb.38:
	v_or_b32_e32 v2, v5, v0
	v_cmp_gt_u32_e32 vcc, 64, v2
	s_and_saveexec_b64 s[10:11], vcc
; %bb.39:
	v_mov_b32_e32 v2, 0
	v_lshlrev_b32_e32 v4, 3, v4
	v_mov_b32_e32 v3, v2
	ds_write_b64 v4, v[2:3]
; %bb.40:
	s_or_b64 exec, exec, s[10:11]
                                        ; implicit-def: $vgpr5
                                        ; implicit-def: $vgpr2
                                        ; implicit-def: $vgpr3
                                        ; implicit-def: $vgpr4
.LBB55_41:
	s_andn2_saveexec_b64 s[6:7], s[6:7]
	s_cbranch_execz .LBB55_43
; %bb.42:
	v_mad_u64_u32 v[9:10], s[10:11], s40, v5, 0
	v_lshlrev_b32_e32 v4, 3, v4
	v_mov_b32_e32 v6, v10
	v_mad_u64_u32 v[5:6], s[10:11], s41, v5, v[6:7]
	v_mov_b32_e32 v10, v5
	v_lshlrev_b64 v[5:6], 3, v[9:10]
	v_add_co_u32_e32 v2, vcc, v2, v5
	v_addc_co_u32_e32 v3, vcc, v3, v6, vcc
	global_load_dwordx2 v[2:3], v[2:3], off
	s_waitcnt vmcnt(0)
	v_xor_b32_e32 v2, 0x80000000, v2
	v_xor_b32_e32 v3, 0x80000000, v3
	ds_write_b64 v4, v[2:3]
.LBB55_43:
	s_or_b64 exec, exec, s[6:7]
	s_mov_b64 s[10:11], 0
.LBB55_44:
	s_and_b64 vcc, exec, s[10:11]
	s_cbranch_vccz .LBB55_70
; %bb.45:
	s_add_u32 s6, s40, 1
	s_addc_u32 s7, s41, 0
	s_lshl_b32 s10, s8, 6
	s_ashr_i32 s11, s10, 31
	s_mul_hi_u32 s12, s6, s10
	s_mul_i32 s11, s6, s11
	s_add_i32 s11, s12, s11
	s_mul_i32 s7, s7, s10
	s_add_i32 s7, s11, s7
	s_mul_i32 s6, s6, s10
	s_lshl_b64 s[6:7], s[6:7], 3
	s_add_u32 s6, s86, s6
	s_addc_u32 s7, s87, s7
	v_lshlrev_b32_e32 v2, 3, v0
	v_mov_b32_e32 v3, s7
	v_add_co_u32_e64 v2, s[6:7], s6, v2
	v_addc_co_u32_e64 v3, s[6:7], 0, v3, s[6:7]
	v_max_i32_e32 v4, v1, v0
	v_cmp_le_u32_e64 s[6:7], v0, v1
	v_cmp_le_i32_e64 s[10:11], s9, v4
	v_cmp_gt_i32_e32 vcc, s9, v0
	s_or_b64 s[6:7], s[10:11], s[6:7]
	s_and_saveexec_b64 s[10:11], s[6:7]
	s_xor_b64 s[10:11], exec, s[10:11]
	s_cbranch_execz .LBB55_49
; %bb.46:
	v_or_b32_e32 v4, v1, v0
	v_cmp_gt_u32_e64 s[6:7], 64, v4
	s_and_saveexec_b64 s[12:13], s[6:7]
; %bb.47:
	v_mov_b32_e32 v4, 0
	v_lshlrev_b32_e32 v6, 3, v7
	v_mov_b32_e32 v5, v4
	ds_write_b64 v6, v[4:5]
; %bb.48:
	s_or_b64 exec, exec, s[12:13]
.LBB55_49:
	s_andn2_saveexec_b64 s[10:11], s[10:11]
	s_cbranch_execz .LBB55_51
; %bb.50:
	v_mad_u64_u32 v[4:5], s[6:7], s40, v1, 0
	v_mad_u64_u32 v[5:6], s[6:7], s41, v1, v[5:6]
	v_lshlrev_b32_e32 v6, 3, v7
	v_lshlrev_b64 v[4:5], 3, v[4:5]
	v_add_co_u32_e64 v4, s[6:7], v2, v4
	v_addc_co_u32_e64 v5, s[6:7], v3, v5, s[6:7]
	global_load_dwordx2 v[4:5], v[4:5], off
	s_waitcnt vmcnt(0)
	v_xor_b32_e32 v4, 0x80000000, v4
	v_xor_b32_e32 v5, 0x80000000, v5
	ds_write_b64 v6, v[4:5]
.LBB55_51:
	s_or_b64 exec, exec, s[10:11]
	v_add_u32_e32 v5, 16, v1
	v_cmp_gt_u32_e64 s[6:7], v0, v5
	v_cmp_gt_i32_e64 s[10:11], s9, v5
	s_and_b64 s[6:7], s[6:7], s[10:11]
	s_and_b64 s[6:7], s[6:7], vcc
	v_lshl_add_u32 v4, v5, 6, v0
	s_xor_b64 s[6:7], s[6:7], -1
	s_and_saveexec_b64 s[10:11], s[6:7]
	s_xor_b64 s[10:11], exec, s[10:11]
	s_cbranch_execz .LBB55_55
; %bb.52:
	v_or_b32_e32 v5, v5, v0
	v_cmp_gt_u32_e64 s[6:7], 64, v5
	s_and_saveexec_b64 s[12:13], s[6:7]
; %bb.53:
	v_lshlrev_b32_e32 v6, 3, v4
	v_mov_b32_e32 v4, 0
	v_mov_b32_e32 v5, v4
	ds_write_b64 v6, v[4:5]
; %bb.54:
	s_or_b64 exec, exec, s[12:13]
                                        ; implicit-def: $vgpr5
                                        ; implicit-def: $vgpr4
.LBB55_55:
	s_andn2_saveexec_b64 s[10:11], s[10:11]
	s_cbranch_execz .LBB55_57
; %bb.56:
	v_mad_u64_u32 v[9:10], s[6:7], s40, v5, 0
	v_lshlrev_b32_e32 v4, 3, v4
	v_mov_b32_e32 v6, v10
	v_mad_u64_u32 v[5:6], s[6:7], s41, v5, v[6:7]
	v_mov_b32_e32 v10, v5
	v_lshlrev_b64 v[5:6], 3, v[9:10]
	v_add_co_u32_e64 v5, s[6:7], v2, v5
	v_addc_co_u32_e64 v6, s[6:7], v3, v6, s[6:7]
	global_load_dwordx2 v[5:6], v[5:6], off
	s_waitcnt vmcnt(0)
	v_xor_b32_e32 v5, 0x80000000, v5
	v_xor_b32_e32 v6, 0x80000000, v6
	ds_write_b64 v4, v[5:6]
.LBB55_57:
	s_or_b64 exec, exec, s[10:11]
	v_add_u32_e32 v5, 32, v1
	v_cmp_gt_u32_e64 s[6:7], v0, v5
	v_cmp_gt_i32_e64 s[10:11], s9, v5
	s_and_b64 s[6:7], s[6:7], s[10:11]
	s_and_b64 s[6:7], s[6:7], vcc
	v_lshl_add_u32 v4, v5, 6, v0
	s_xor_b64 s[6:7], s[6:7], -1
	s_and_saveexec_b64 s[10:11], s[6:7]
	s_xor_b64 s[10:11], exec, s[10:11]
	s_cbranch_execz .LBB55_61
; %bb.58:
	v_or_b32_e32 v5, v5, v0
	v_cmp_gt_u32_e64 s[6:7], 64, v5
	s_and_saveexec_b64 s[12:13], s[6:7]
; %bb.59:
	v_lshlrev_b32_e32 v6, 3, v4
	v_mov_b32_e32 v4, 0
	v_mov_b32_e32 v5, v4
	ds_write_b64 v6, v[4:5]
; %bb.60:
	s_or_b64 exec, exec, s[12:13]
                                        ; implicit-def: $vgpr5
                                        ; implicit-def: $vgpr4
.LBB55_61:
	s_andn2_saveexec_b64 s[10:11], s[10:11]
	s_cbranch_execz .LBB55_63
; %bb.62:
	v_mad_u64_u32 v[9:10], s[6:7], s40, v5, 0
	v_lshlrev_b32_e32 v4, 3, v4
	v_mov_b32_e32 v6, v10
	v_mad_u64_u32 v[5:6], s[6:7], s41, v5, v[6:7]
	v_mov_b32_e32 v10, v5
	v_lshlrev_b64 v[5:6], 3, v[9:10]
	v_add_co_u32_e64 v5, s[6:7], v2, v5
	v_addc_co_u32_e64 v6, s[6:7], v3, v6, s[6:7]
	global_load_dwordx2 v[5:6], v[5:6], off
	s_waitcnt vmcnt(0)
	v_xor_b32_e32 v5, 0x80000000, v5
	v_xor_b32_e32 v6, 0x80000000, v6
	ds_write_b64 v4, v[5:6]
.LBB55_63:
	s_or_b64 exec, exec, s[10:11]
	v_add_u32_e32 v5, 48, v1
	v_cmp_gt_u32_e64 s[6:7], v0, v5
	v_cmp_gt_i32_e64 s[10:11], s9, v5
	s_and_b64 s[6:7], s[6:7], s[10:11]
	s_and_b64 s[6:7], s[6:7], vcc
	v_lshl_add_u32 v4, v5, 6, v0
	s_xor_b64 s[6:7], s[6:7], -1
	s_and_saveexec_b64 s[10:11], s[6:7]
	s_xor_b64 s[6:7], exec, s[10:11]
	s_cbranch_execz .LBB55_67
; %bb.64:
	v_or_b32_e32 v2, v5, v0
	v_cmp_gt_u32_e32 vcc, 64, v2
	s_and_saveexec_b64 s[10:11], vcc
; %bb.65:
	v_mov_b32_e32 v2, 0
	v_lshlrev_b32_e32 v4, 3, v4
	v_mov_b32_e32 v3, v2
	ds_write_b64 v4, v[2:3]
; %bb.66:
	s_or_b64 exec, exec, s[10:11]
                                        ; implicit-def: $vgpr5
                                        ; implicit-def: $vgpr2
                                        ; implicit-def: $vgpr3
                                        ; implicit-def: $vgpr4
.LBB55_67:
	s_andn2_saveexec_b64 s[6:7], s[6:7]
	s_cbranch_execz .LBB55_69
; %bb.68:
	v_mad_u64_u32 v[9:10], s[10:11], s40, v5, 0
	v_lshlrev_b32_e32 v4, 3, v4
	v_mov_b32_e32 v6, v10
	v_mad_u64_u32 v[5:6], s[10:11], s41, v5, v[6:7]
	v_mov_b32_e32 v10, v5
	v_lshlrev_b64 v[5:6], 3, v[9:10]
	v_add_co_u32_e32 v2, vcc, v2, v5
	v_addc_co_u32_e32 v3, vcc, v3, v6, vcc
	global_load_dwordx2 v[2:3], v[2:3], off
	s_waitcnt vmcnt(0)
	v_xor_b32_e32 v2, 0x80000000, v2
	v_xor_b32_e32 v3, 0x80000000, v3
	ds_write_b64 v4, v[2:3]
.LBB55_69:
	s_or_b64 exec, exec, s[6:7]
.LBB55_70:
	s_cmp_lt_i32 s8, 5
	s_cselect_b64 s[6:7], -1, 0
	s_or_b64 s[28:29], s[6:7], s[24:25]
	s_and_b64 vcc, exec, s[28:29]
	s_waitcnt vmcnt(0) lgkmcnt(0)
	s_barrier
	s_cbranch_vccnz .LBB55_930
; %bb.71:
	v_or_b32_e32 v2, v0, v1
	s_mov_b32 s11, 0
	v_cmp_eq_u32_e32 vcc, 0, v2
	s_and_saveexec_b64 s[6:7], vcc
; %bb.72:
	s_mov_b32 s10, 1.0
	v_mov_b32_e32 v2, s10
	v_mov_b32_e32 v4, 0
	;; [unrolled: 1-line block ×3, first 2 shown]
	ds_write2_b64 v4, v[2:3], v[2:3] offset1:65
; %bb.73:
	s_or_b64 exec, exec, s[6:7]
	v_and_b32_e32 v9, 1, v0
	v_lshrrev_b32_e32 v6, 1, v7
	v_lshlrev_b32_e32 v2, 3, v9
	v_cmp_lt_u32_e64 s[10:11], 3, v7
	v_cmp_gt_u32_e64 s[6:7], 4, v7
	v_lshl_or_b32 v4, v6, 9, v2
	v_mov_b32_e32 v3, 0
	v_mov_b32_e32 v2, 0
	s_waitcnt lgkmcnt(0)
	s_barrier
	s_and_saveexec_b64 s[14:15], s[6:7]
	s_cbranch_execz .LBB55_77
; %bb.74:
	v_mul_u32_u24_e32 v5, 0x208, v6
	ds_read_b64 v[2:3], v4 offset:16
	ds_read_b64 v[10:11], v5
	v_cmp_gt_u32_e64 s[12:13], 2, v7
	s_waitcnt lgkmcnt(0)
	v_mul_f32_e32 v5, v11, v3
	v_mul_f32_e32 v3, v10, v3
	v_fma_f32 v5, v10, v2, -v5
	v_fmac_f32_e32 v3, v11, v2
	v_add_f32_e32 v2, 0, v5
	v_add_f32_e32 v3, 0, v3
	s_and_saveexec_b64 s[16:17], s[12:13]
	s_cbranch_execz .LBB55_76
; %bb.75:
	v_lshlrev_b32_e32 v5, 3, v0
	v_mov_b32_e32 v12, 0
	ds_read_b64 v[10:11], v5 offset:528
	ds_read_b64 v[12:13], v12 offset:8
	s_waitcnt lgkmcnt(0)
	v_mul_f32_e32 v5, v13, v11
	v_mul_f32_e32 v11, v12, v11
	v_fma_f32 v5, v12, v10, -v5
	v_fmac_f32_e32 v11, v13, v10
	v_add_f32_e32 v2, v2, v5
	v_add_f32_e32 v3, v3, v11
.LBB55_76:
	s_or_b64 exec, exec, s[16:17]
	v_xor_b32_e32 v2, 0x80000000, v2
	v_xor_b32_e32 v3, 0x80000000, v3
.LBB55_77:
	s_or_b64 exec, exec, s[14:15]
	v_mov_b32_e32 v5, 0x8000
	v_cmp_eq_u32_e64 s[12:13], 0, v9
	s_xor_b64 s[14:15], s[10:11], -1
	v_lshl_add_u32 v5, v6, 3, v5
	s_and_b64 s[34:35], s[12:13], s[14:15]
	s_and_saveexec_b64 s[10:11], s[34:35]
; %bb.78:
	ds_write_b64 v5, v[2:3]
; %bb.79:
	s_or_b64 exec, exec, s[10:11]
	v_cmp_ne_u32_e64 s[10:11], 0, v9
	s_and_b64 s[30:31], s[10:11], s[14:15]
	s_waitcnt lgkmcnt(0)
	s_barrier
	s_and_saveexec_b64 s[10:11], s[30:31]
	s_cbranch_execz .LBB55_81
; %bb.80:
	v_mov_b32_e32 v9, 0
	ds_read_b64 v[9:10], v9 offset:1048
	ds_read_b64 v[11:12], v5
	s_waitcnt lgkmcnt(0)
	v_mul_f32_e32 v13, v12, v10
	v_mul_f32_e32 v10, v11, v10
	v_fma_f32 v11, v11, v9, -v13
	v_fmac_f32_e32 v10, v12, v9
	v_add_f32_e32 v2, v2, v11
	v_add_f32_e32 v3, v3, v10
.LBB55_81:
	s_or_b64 exec, exec, s[10:11]
	s_barrier
	s_and_saveexec_b64 s[10:11], s[30:31]
; %bb.82:
	ds_write_b64 v5, v[2:3]
; %bb.83:
	s_or_b64 exec, exec, s[10:11]
	s_waitcnt lgkmcnt(0)
	s_barrier
	s_barrier
	s_and_saveexec_b64 s[10:11], s[6:7]
; %bb.84:
	v_xor_b32_e32 v3, 0x80000000, v3
	v_xor_b32_e32 v2, 0x80000000, v2
	ds_write_b64 v4, v[2:3] offset:16
; %bb.85:
	s_or_b64 exec, exec, s[10:11]
	s_waitcnt lgkmcnt(0)
	s_barrier
	s_barrier
	s_and_saveexec_b64 s[10:11], vcc
; %bb.86:
	s_mov_b64 s[12:13], 0x3f800000
	v_mov_b32_e32 v2, s12
	v_mov_b32_e32 v9, 0
	;; [unrolled: 1-line block ×3, first 2 shown]
	ds_write2_b64 v9, v[2:3], v[2:3] offset0:130 offset1:195
; %bb.87:
	s_or_b64 exec, exec, s[10:11]
	v_and_b32_e32 v12, 3, v0
	v_lshrrev_b32_e32 v13, 2, v7
	v_lshlrev_b32_e32 v10, 3, v12
	v_cmp_lt_u32_e64 s[10:11], 15, v7
	v_cmp_gt_u32_e64 s[18:19], 16, v7
	v_lshl_or_b32 v9, v13, 9, v10
	v_mov_b32_e32 v3, 0
	v_mov_b32_e32 v2, 0
	s_waitcnt lgkmcnt(0)
	s_barrier
	s_and_saveexec_b64 s[14:15], s[18:19]
	s_cbranch_execz .LBB55_93
; %bb.88:
	v_mul_u32_u24_e32 v11, 0x208, v13
	ds_read_b64 v[2:3], v9 offset:32
	ds_read_b64 v[14:15], v11
	v_cmp_gt_u32_e64 s[12:13], 12, v7
	s_waitcnt lgkmcnt(0)
	v_mul_f32_e32 v16, v15, v3
	v_mul_f32_e32 v3, v14, v3
	v_fma_f32 v14, v14, v2, -v16
	v_fmac_f32_e32 v3, v15, v2
	v_add_f32_e32 v2, 0, v14
	v_add_f32_e32 v3, 0, v3
	s_and_saveexec_b64 s[16:17], s[12:13]
	s_cbranch_execnz .LBB55_990
; %bb.89:
	s_or_b64 exec, exec, s[16:17]
	v_cmp_gt_u32_e64 s[12:13], 8, v7
	s_and_saveexec_b64 s[16:17], s[12:13]
	s_cbranch_execnz .LBB55_991
.LBB55_90:
	s_or_b64 exec, exec, s[16:17]
	v_cmp_gt_u32_e64 s[12:13], 4, v7
	s_and_saveexec_b64 s[16:17], s[12:13]
	s_cbranch_execz .LBB55_92
.LBB55_91:
	v_lshlrev_b32_e32 v11, 3, v0
	v_mov_b32_e32 v16, 0
	ds_read_b64 v[14:15], v11 offset:1568
	ds_read_b64 v[16:17], v16 offset:24
	s_waitcnt lgkmcnt(0)
	v_mul_f32_e32 v11, v17, v15
	v_mul_f32_e32 v15, v16, v15
	v_fma_f32 v11, v16, v14, -v11
	v_fmac_f32_e32 v15, v17, v14
	v_add_f32_e32 v2, v2, v11
	v_add_f32_e32 v3, v3, v15
.LBB55_92:
	s_or_b64 exec, exec, s[16:17]
	v_xor_b32_e32 v2, 0x80000000, v2
	v_xor_b32_e32 v3, 0x80000000, v3
.LBB55_93:
	s_or_b64 exec, exec, s[14:15]
	v_mov_b32_e32 v11, 0x8000
	v_cmp_eq_u32_e64 s[12:13], 0, v12
	s_xor_b64 s[14:15], s[10:11], -1
	v_lshl_add_u32 v11, v13, 3, v11
	s_and_b64 s[38:39], s[12:13], s[14:15]
	s_and_saveexec_b64 s[10:11], s[38:39]
; %bb.94:
	ds_write_b64 v11, v[2:3]
; %bb.95:
	s_or_b64 exec, exec, s[10:11]
	v_cmp_ne_u32_e64 s[10:11], 0, v12
	s_and_b64 s[42:43], s[10:11], s[14:15]
	s_waitcnt lgkmcnt(0)
	s_barrier
	s_and_saveexec_b64 s[10:11], s[42:43]
	s_cbranch_execz .LBB55_97
; %bb.96:
	ds_read_b64 v[14:15], v10 offset:2080
	ds_read_b64 v[16:17], v11
	s_waitcnt lgkmcnt(0)
	v_mul_f32_e32 v18, v17, v15
	v_mul_f32_e32 v15, v16, v15
	v_fma_f32 v16, v16, v14, -v18
	v_fmac_f32_e32 v15, v17, v14
	v_add_f32_e32 v2, v2, v16
	v_add_f32_e32 v3, v3, v15
.LBB55_97:
	s_or_b64 exec, exec, s[10:11]
	v_cmp_eq_u32_e64 s[10:11], 1, v12
	s_and_b64 s[44:45], s[10:11], s[14:15]
	s_barrier
	s_and_saveexec_b64 s[10:11], s[44:45]
; %bb.98:
	ds_write_b64 v11, v[2:3]
; %bb.99:
	s_or_b64 exec, exec, s[10:11]
	v_cmp_lt_u32_e64 s[10:11], 1, v12
	s_and_b64 s[52:53], s[10:11], s[14:15]
	s_waitcnt lgkmcnt(0)
	s_barrier
	s_and_saveexec_b64 s[10:11], s[52:53]
	s_cbranch_execz .LBB55_101
; %bb.100:
	ds_read_b64 v[14:15], v10 offset:2592
	ds_read_b64 v[16:17], v11
	s_waitcnt lgkmcnt(0)
	v_mul_f32_e32 v18, v17, v15
	v_mul_f32_e32 v15, v16, v15
	v_fma_f32 v16, v16, v14, -v18
	v_fmac_f32_e32 v15, v17, v14
	v_add_f32_e32 v2, v2, v16
	v_add_f32_e32 v3, v3, v15
.LBB55_101:
	s_or_b64 exec, exec, s[10:11]
	v_cmp_eq_u32_e64 s[10:11], 2, v12
	s_and_b64 s[54:55], s[10:11], s[14:15]
	s_barrier
	s_and_saveexec_b64 s[10:11], s[54:55]
; %bb.102:
	ds_write_b64 v11, v[2:3]
; %bb.103:
	s_or_b64 exec, exec, s[10:11]
	v_cmp_eq_u32_e64 s[10:11], 3, v12
	s_and_b64 s[36:37], s[10:11], s[14:15]
	s_waitcnt lgkmcnt(0)
	s_barrier
	s_and_saveexec_b64 s[10:11], s[36:37]
	s_cbranch_execz .LBB55_105
; %bb.104:
	v_mov_b32_e32 v14, 0
	ds_read_b64 v[14:15], v14 offset:3128
	ds_read_b64 v[16:17], v11
	s_waitcnt lgkmcnt(0)
	v_mul_f32_e32 v18, v17, v15
	v_mul_f32_e32 v15, v16, v15
	v_fma_f32 v16, v16, v14, -v18
	v_fmac_f32_e32 v15, v17, v14
	v_add_f32_e32 v2, v2, v16
	v_add_f32_e32 v3, v3, v15
.LBB55_105:
	s_or_b64 exec, exec, s[10:11]
	s_barrier
	s_and_saveexec_b64 s[10:11], s[36:37]
; %bb.106:
	ds_write_b64 v11, v[2:3]
; %bb.107:
	s_or_b64 exec, exec, s[10:11]
	s_waitcnt lgkmcnt(0)
	s_barrier
	s_barrier
	s_and_saveexec_b64 s[10:11], s[18:19]
; %bb.108:
	v_xor_b32_e32 v2, 0x80000000, v2
	v_xor_b32_e32 v3, 0x80000000, v3
	ds_write_b64 v9, v[2:3] offset:32
; %bb.109:
	s_or_b64 exec, exec, s[10:11]
	s_waitcnt lgkmcnt(0)
	s_barrier
	s_barrier
	s_and_saveexec_b64 s[10:11], vcc
	s_cbranch_execz .LBB55_111
; %bb.110:
	s_mov_b64 s[12:13], 0x3f800000
	v_mov_b32_e32 v2, s12
	v_mov_b32_e32 v3, s13
	s_movk_i32 s12, 0x800
	v_add_u32_e64 v14, s12, 0
	ds_write2_b64 v14, v[2:3], v[2:3] offset0:4 offset1:69
.LBB55_111:
	s_or_b64 exec, exec, s[10:11]
	v_mov_b32_e32 v3, 0
	v_mov_b32_e32 v2, 0
	s_waitcnt lgkmcnt(0)
	s_barrier
	s_and_saveexec_b64 s[12:13], s[6:7]
	s_cbranch_execz .LBB55_115
; %bb.112:
	v_mul_u32_u24_e32 v14, 0x208, v6
	ds_read_b64 v[2:3], v4 offset:2096
	ds_read_b64 v[14:15], v14 offset:2080
	v_cmp_gt_u32_e64 s[10:11], 2, v7
	s_waitcnt lgkmcnt(0)
	v_mul_f32_e32 v16, v15, v3
	v_mul_f32_e32 v3, v14, v3
	v_fma_f32 v14, v14, v2, -v16
	v_fmac_f32_e32 v3, v15, v2
	v_add_f32_e32 v2, 0, v14
	v_add_f32_e32 v3, 0, v3
	s_and_saveexec_b64 s[14:15], s[10:11]
	s_cbranch_execz .LBB55_114
; %bb.113:
	v_lshlrev_b32_e32 v14, 3, v0
	v_mov_b32_e32 v16, 0
	ds_read_b64 v[14:15], v14 offset:2608
	ds_read_b64 v[16:17], v16 offset:2088
	s_waitcnt lgkmcnt(0)
	v_mul_f32_e32 v18, v17, v15
	v_mul_f32_e32 v15, v16, v15
	v_fma_f32 v16, v16, v14, -v18
	v_fmac_f32_e32 v15, v17, v14
	v_add_f32_e32 v2, v2, v16
	v_add_f32_e32 v3, v3, v15
.LBB55_114:
	s_or_b64 exec, exec, s[14:15]
	v_xor_b32_e32 v2, 0x80000000, v2
	v_xor_b32_e32 v3, 0x80000000, v3
.LBB55_115:
	s_or_b64 exec, exec, s[12:13]
	s_and_saveexec_b64 s[10:11], s[34:35]
; %bb.116:
	ds_write_b64 v5, v[2:3]
; %bb.117:
	s_or_b64 exec, exec, s[10:11]
	s_waitcnt lgkmcnt(0)
	s_barrier
	s_and_saveexec_b64 s[10:11], s[30:31]
	s_cbranch_execz .LBB55_119
; %bb.118:
	v_mov_b32_e32 v14, 0
	ds_read_b64 v[14:15], v14 offset:3128
	ds_read_b64 v[16:17], v5
	s_waitcnt lgkmcnt(0)
	v_mul_f32_e32 v18, v17, v15
	v_mul_f32_e32 v15, v16, v15
	v_fma_f32 v16, v16, v14, -v18
	v_fmac_f32_e32 v15, v17, v14
	v_add_f32_e32 v2, v2, v16
	v_add_f32_e32 v3, v3, v15
.LBB55_119:
	s_or_b64 exec, exec, s[10:11]
	s_barrier
	s_and_saveexec_b64 s[10:11], s[30:31]
; %bb.120:
	ds_write_b64 v5, v[2:3]
; %bb.121:
	s_or_b64 exec, exec, s[10:11]
	s_waitcnt lgkmcnt(0)
	s_barrier
	s_barrier
	s_and_saveexec_b64 s[10:11], s[6:7]
; %bb.122:
	v_xor_b32_e32 v3, 0x80000000, v3
	v_xor_b32_e32 v2, 0x80000000, v2
	ds_write_b64 v4, v[2:3] offset:2096
; %bb.123:
	s_or_b64 exec, exec, s[10:11]
	s_waitcnt lgkmcnt(0)
	s_barrier
	s_barrier
	s_and_saveexec_b64 s[10:11], vcc
	s_cbranch_execz .LBB55_125
; %bb.124:
	s_mov_b64 s[12:13], 0x3f800000
	v_mov_b32_e32 v2, s12
	v_mov_b32_e32 v3, s13
	s_movk_i32 s12, 0x800
	v_add_u32_e64 v14, s12, 0
	ds_write2_b64 v14, v[2:3], v[2:3] offset0:134 offset1:199
.LBB55_125:
	s_or_b64 exec, exec, s[10:11]
	v_and_b32_e32 v17, 7, v0
	v_lshrrev_b32_e32 v18, 3, v7
	v_lshlrev_b32_e32 v15, 3, v17
	v_cmp_lt_u32_e64 s[12:13], 63, v7
	v_cmp_gt_u32_e64 s[10:11], 64, v7
	v_lshl_or_b32 v14, v18, 9, v15
	v_mov_b32_e32 v3, 0
	v_mov_b32_e32 v2, 0
	s_waitcnt lgkmcnt(0)
	s_barrier
	s_and_saveexec_b64 s[16:17], s[10:11]
	s_cbranch_execz .LBB55_135
; %bb.126:
	v_mul_u32_u24_e32 v16, 0x208, v18
	ds_read_b64 v[2:3], v14 offset:64
	ds_read_b64 v[19:20], v16
	v_cmp_gt_u32_e64 s[14:15], 56, v7
	s_waitcnt lgkmcnt(0)
	v_mul_f32_e32 v21, v20, v3
	v_mul_f32_e32 v3, v19, v3
	v_fma_f32 v19, v19, v2, -v21
	v_fmac_f32_e32 v3, v20, v2
	v_add_f32_e32 v2, 0, v19
	v_add_f32_e32 v3, 0, v3
	s_and_saveexec_b64 s[20:21], s[14:15]
	s_cbranch_execnz .LBB55_992
; %bb.127:
	s_or_b64 exec, exec, s[20:21]
	v_cmp_gt_u32_e64 s[14:15], 48, v7
	s_and_saveexec_b64 s[20:21], s[14:15]
	s_cbranch_execnz .LBB55_993
.LBB55_128:
	s_or_b64 exec, exec, s[20:21]
	v_cmp_gt_u32_e64 s[14:15], 40, v7
	s_and_saveexec_b64 s[20:21], s[14:15]
	s_cbranch_execnz .LBB55_994
.LBB55_129:
	s_or_b64 exec, exec, s[20:21]
	v_cmp_gt_u32_e64 s[14:15], 32, v7
	s_and_saveexec_b64 s[20:21], s[14:15]
	s_cbranch_execnz .LBB55_995
.LBB55_130:
	s_or_b64 exec, exec, s[20:21]
	v_cmp_gt_u32_e64 s[14:15], 24, v7
	s_and_saveexec_b64 s[20:21], s[14:15]
	s_cbranch_execnz .LBB55_996
.LBB55_131:
	s_or_b64 exec, exec, s[20:21]
	v_cmp_gt_u32_e64 s[14:15], 16, v7
	s_and_saveexec_b64 s[20:21], s[14:15]
	s_cbranch_execnz .LBB55_997
.LBB55_132:
	s_or_b64 exec, exec, s[20:21]
	v_cmp_gt_u32_e64 s[14:15], 8, v7
	s_and_saveexec_b64 s[20:21], s[14:15]
	s_cbranch_execz .LBB55_134
.LBB55_133:
	v_lshlrev_b32_e32 v16, 3, v0
	v_mov_b32_e32 v21, 0
	ds_read_b64 v[19:20], v16 offset:3648
	ds_read_b64 v[21:22], v21 offset:56
	s_waitcnt lgkmcnt(0)
	v_mul_f32_e32 v16, v22, v20
	v_mul_f32_e32 v20, v21, v20
	v_fma_f32 v16, v21, v19, -v16
	v_fmac_f32_e32 v20, v22, v19
	v_add_f32_e32 v2, v2, v16
	v_add_f32_e32 v3, v3, v20
.LBB55_134:
	s_or_b64 exec, exec, s[20:21]
	v_xor_b32_e32 v2, 0x80000000, v2
	v_xor_b32_e32 v3, 0x80000000, v3
.LBB55_135:
	s_or_b64 exec, exec, s[16:17]
	v_mov_b32_e32 v16, 0x8000
	v_cmp_eq_u32_e64 s[14:15], 0, v17
	s_xor_b64 s[16:17], s[12:13], -1
	v_lshl_add_u32 v16, v18, 3, v16
	s_and_b64 s[58:59], s[14:15], s[16:17]
	s_and_saveexec_b64 s[12:13], s[58:59]
; %bb.136:
	ds_write_b64 v16, v[2:3]
; %bb.137:
	s_or_b64 exec, exec, s[12:13]
	v_cmp_ne_u32_e64 s[12:13], 0, v17
	s_and_b64 s[60:61], s[12:13], s[16:17]
	s_waitcnt lgkmcnt(0)
	s_barrier
	s_and_saveexec_b64 s[12:13], s[60:61]
	s_cbranch_execz .LBB55_139
; %bb.138:
	ds_read_b64 v[19:20], v15 offset:4160
	ds_read_b64 v[21:22], v16
	s_waitcnt lgkmcnt(0)
	v_mul_f32_e32 v23, v22, v20
	v_mul_f32_e32 v20, v21, v20
	v_fma_f32 v21, v21, v19, -v23
	v_fmac_f32_e32 v20, v22, v19
	v_add_f32_e32 v2, v2, v21
	v_add_f32_e32 v3, v3, v20
.LBB55_139:
	s_or_b64 exec, exec, s[12:13]
	v_cmp_eq_u32_e64 s[12:13], 1, v17
	s_and_b64 s[62:63], s[12:13], s[16:17]
	s_barrier
	s_and_saveexec_b64 s[12:13], s[62:63]
; %bb.140:
	ds_write_b64 v16, v[2:3]
; %bb.141:
	s_or_b64 exec, exec, s[12:13]
	v_cmp_lt_u32_e64 s[12:13], 1, v17
	s_and_b64 s[64:65], s[12:13], s[16:17]
	s_waitcnt lgkmcnt(0)
	s_barrier
	s_and_saveexec_b64 s[12:13], s[64:65]
	s_cbranch_execz .LBB55_143
; %bb.142:
	ds_read_b64 v[19:20], v15 offset:4672
	ds_read_b64 v[21:22], v16
	s_waitcnt lgkmcnt(0)
	v_mul_f32_e32 v23, v22, v20
	v_mul_f32_e32 v20, v21, v20
	v_fma_f32 v21, v21, v19, -v23
	v_fmac_f32_e32 v20, v22, v19
	v_add_f32_e32 v2, v2, v21
	v_add_f32_e32 v3, v3, v20
.LBB55_143:
	s_or_b64 exec, exec, s[12:13]
	v_cmp_eq_u32_e64 s[12:13], 2, v17
	s_and_b64 s[66:67], s[12:13], s[16:17]
	s_barrier
	s_and_saveexec_b64 s[12:13], s[66:67]
; %bb.144:
	ds_write_b64 v16, v[2:3]
; %bb.145:
	s_or_b64 exec, exec, s[12:13]
	v_cmp_lt_u32_e64 s[12:13], 2, v17
	s_and_b64 s[68:69], s[12:13], s[16:17]
	s_waitcnt lgkmcnt(0)
	s_barrier
	s_and_saveexec_b64 s[12:13], s[68:69]
	s_cbranch_execz .LBB55_147
; %bb.146:
	ds_read_b64 v[19:20], v15 offset:5184
	ds_read_b64 v[21:22], v16
	s_waitcnt lgkmcnt(0)
	v_mul_f32_e32 v23, v22, v20
	v_mul_f32_e32 v20, v21, v20
	v_fma_f32 v21, v21, v19, -v23
	v_fmac_f32_e32 v20, v22, v19
	v_add_f32_e32 v2, v2, v21
	v_add_f32_e32 v3, v3, v20
.LBB55_147:
	s_or_b64 exec, exec, s[12:13]
	v_cmp_eq_u32_e64 s[12:13], 3, v17
	s_and_b64 s[70:71], s[12:13], s[16:17]
	s_barrier
	s_and_saveexec_b64 s[12:13], s[70:71]
; %bb.148:
	ds_write_b64 v16, v[2:3]
; %bb.149:
	s_or_b64 exec, exec, s[12:13]
	v_cmp_lt_u32_e64 s[12:13], 3, v17
	s_and_b64 s[72:73], s[12:13], s[16:17]
	s_waitcnt lgkmcnt(0)
	s_barrier
	s_and_saveexec_b64 s[12:13], s[72:73]
	s_cbranch_execz .LBB55_151
; %bb.150:
	ds_read_b64 v[19:20], v15 offset:5696
	ds_read_b64 v[21:22], v16
	s_waitcnt lgkmcnt(0)
	v_mul_f32_e32 v23, v22, v20
	v_mul_f32_e32 v20, v21, v20
	v_fma_f32 v21, v21, v19, -v23
	v_fmac_f32_e32 v20, v22, v19
	v_add_f32_e32 v2, v2, v21
	v_add_f32_e32 v3, v3, v20
.LBB55_151:
	s_or_b64 exec, exec, s[12:13]
	v_cmp_eq_u32_e64 s[12:13], 4, v17
	s_and_b64 s[74:75], s[12:13], s[16:17]
	s_barrier
	s_and_saveexec_b64 s[12:13], s[74:75]
; %bb.152:
	ds_write_b64 v16, v[2:3]
; %bb.153:
	s_or_b64 exec, exec, s[12:13]
	v_cmp_lt_u32_e64 s[12:13], 4, v17
	s_and_b64 s[76:77], s[12:13], s[16:17]
	s_waitcnt lgkmcnt(0)
	s_barrier
	s_and_saveexec_b64 s[12:13], s[76:77]
	s_cbranch_execz .LBB55_155
; %bb.154:
	ds_read_b64 v[19:20], v15 offset:6208
	ds_read_b64 v[21:22], v16
	s_waitcnt lgkmcnt(0)
	v_mul_f32_e32 v23, v22, v20
	v_mul_f32_e32 v20, v21, v20
	v_fma_f32 v21, v21, v19, -v23
	v_fmac_f32_e32 v20, v22, v19
	v_add_f32_e32 v2, v2, v21
	v_add_f32_e32 v3, v3, v20
.LBB55_155:
	s_or_b64 exec, exec, s[12:13]
	v_cmp_eq_u32_e64 s[12:13], 5, v17
	s_and_b64 s[78:79], s[12:13], s[16:17]
	s_barrier
	s_and_saveexec_b64 s[12:13], s[78:79]
; %bb.156:
	ds_write_b64 v16, v[2:3]
; %bb.157:
	s_or_b64 exec, exec, s[12:13]
	v_cmp_lt_u32_e64 s[12:13], 5, v17
	s_and_b64 s[80:81], s[12:13], s[16:17]
	s_waitcnt lgkmcnt(0)
	s_barrier
	s_and_saveexec_b64 s[12:13], s[80:81]
	s_cbranch_execz .LBB55_159
; %bb.158:
	ds_read_b64 v[19:20], v15 offset:6720
	ds_read_b64 v[21:22], v16
	s_waitcnt lgkmcnt(0)
	v_mul_f32_e32 v23, v22, v20
	v_mul_f32_e32 v20, v21, v20
	v_fma_f32 v21, v21, v19, -v23
	v_fmac_f32_e32 v20, v22, v19
	v_add_f32_e32 v2, v2, v21
	v_add_f32_e32 v3, v3, v20
.LBB55_159:
	s_or_b64 exec, exec, s[12:13]
	v_cmp_eq_u32_e64 s[12:13], 6, v17
	s_and_b64 s[82:83], s[12:13], s[16:17]
	s_barrier
	s_and_saveexec_b64 s[12:13], s[82:83]
; %bb.160:
	ds_write_b64 v16, v[2:3]
; %bb.161:
	s_or_b64 exec, exec, s[12:13]
	v_cmp_eq_u32_e64 s[12:13], 7, v17
	s_and_b64 s[56:57], s[12:13], s[16:17]
	s_waitcnt lgkmcnt(0)
	s_barrier
	s_and_saveexec_b64 s[12:13], s[56:57]
	s_cbranch_execz .LBB55_163
; %bb.162:
	v_mov_b32_e32 v19, 0
	ds_read_b64 v[19:20], v19 offset:7288
	ds_read_b64 v[21:22], v16
	s_waitcnt lgkmcnt(0)
	v_mul_f32_e32 v23, v22, v20
	v_mul_f32_e32 v20, v21, v20
	v_fma_f32 v21, v21, v19, -v23
	v_fmac_f32_e32 v20, v22, v19
	v_add_f32_e32 v2, v2, v21
	v_add_f32_e32 v3, v3, v20
.LBB55_163:
	s_or_b64 exec, exec, s[12:13]
	s_barrier
	s_and_saveexec_b64 s[12:13], s[56:57]
; %bb.164:
	ds_write_b64 v16, v[2:3]
; %bb.165:
	s_or_b64 exec, exec, s[12:13]
	s_waitcnt lgkmcnt(0)
	s_barrier
	s_barrier
	s_and_saveexec_b64 s[12:13], s[10:11]
; %bb.166:
	v_xor_b32_e32 v3, 0x80000000, v3
	v_xor_b32_e32 v2, 0x80000000, v2
	ds_write_b64 v14, v[2:3] offset:64
; %bb.167:
	s_or_b64 exec, exec, s[12:13]
	s_waitcnt lgkmcnt(0)
	s_barrier
	s_barrier
	s_and_saveexec_b64 s[12:13], vcc
	s_cbranch_execz .LBB55_169
; %bb.168:
	s_mov_b64 s[14:15], 0x3f800000
	v_mov_b32_e32 v2, s14
	v_mov_b32_e32 v3, s15
	s_movk_i32 s14, 0x1000
	v_add_u32_e64 v19, s14, 0
	ds_write2_b64 v19, v[2:3], v[2:3] offset0:8 offset1:73
.LBB55_169:
	s_or_b64 exec, exec, s[12:13]
	v_mov_b32_e32 v3, 0
	v_mov_b32_e32 v2, 0
	s_waitcnt lgkmcnt(0)
	s_barrier
	s_and_saveexec_b64 s[14:15], s[6:7]
	s_cbranch_execz .LBB55_173
; %bb.170:
	v_mul_u32_u24_e32 v19, 0x208, v6
	ds_read_b64 v[2:3], v4 offset:4176
	ds_read_b64 v[19:20], v19 offset:4160
	v_cmp_gt_u32_e64 s[12:13], 2, v7
	s_waitcnt lgkmcnt(0)
	v_mul_f32_e32 v21, v20, v3
	v_mul_f32_e32 v3, v19, v3
	v_fma_f32 v19, v19, v2, -v21
	v_fmac_f32_e32 v3, v20, v2
	v_add_f32_e32 v2, 0, v19
	v_add_f32_e32 v3, 0, v3
	s_and_saveexec_b64 s[16:17], s[12:13]
	s_cbranch_execz .LBB55_172
; %bb.171:
	v_lshlrev_b32_e32 v19, 3, v0
	v_mov_b32_e32 v21, 0
	ds_read_b64 v[19:20], v19 offset:4688
	ds_read_b64 v[21:22], v21 offset:4168
	s_waitcnt lgkmcnt(0)
	v_mul_f32_e32 v23, v22, v20
	v_mul_f32_e32 v20, v21, v20
	v_fma_f32 v21, v21, v19, -v23
	v_fmac_f32_e32 v20, v22, v19
	v_add_f32_e32 v2, v2, v21
	v_add_f32_e32 v3, v3, v20
.LBB55_172:
	s_or_b64 exec, exec, s[16:17]
	v_xor_b32_e32 v2, 0x80000000, v2
	v_xor_b32_e32 v3, 0x80000000, v3
.LBB55_173:
	s_or_b64 exec, exec, s[14:15]
	s_and_saveexec_b64 s[12:13], s[34:35]
; %bb.174:
	ds_write_b64 v5, v[2:3]
; %bb.175:
	s_or_b64 exec, exec, s[12:13]
	s_waitcnt lgkmcnt(0)
	s_barrier
	s_and_saveexec_b64 s[12:13], s[30:31]
	s_cbranch_execz .LBB55_177
; %bb.176:
	v_mov_b32_e32 v19, 0
	ds_read_b64 v[19:20], v19 offset:5208
	ds_read_b64 v[21:22], v5
	s_waitcnt lgkmcnt(0)
	v_mul_f32_e32 v23, v22, v20
	v_mul_f32_e32 v20, v21, v20
	v_fma_f32 v21, v21, v19, -v23
	v_fmac_f32_e32 v20, v22, v19
	v_add_f32_e32 v2, v2, v21
	v_add_f32_e32 v3, v3, v20
.LBB55_177:
	s_or_b64 exec, exec, s[12:13]
	s_barrier
	s_and_saveexec_b64 s[12:13], s[30:31]
; %bb.178:
	ds_write_b64 v5, v[2:3]
; %bb.179:
	s_or_b64 exec, exec, s[12:13]
	s_waitcnt lgkmcnt(0)
	s_barrier
	s_barrier
	s_and_saveexec_b64 s[12:13], s[6:7]
; %bb.180:
	v_xor_b32_e32 v3, 0x80000000, v3
	v_xor_b32_e32 v2, 0x80000000, v2
	ds_write_b64 v4, v[2:3] offset:4176
; %bb.181:
	s_or_b64 exec, exec, s[12:13]
	s_waitcnt lgkmcnt(0)
	s_barrier
	s_barrier
	s_and_saveexec_b64 s[12:13], vcc
	s_cbranch_execz .LBB55_183
; %bb.182:
	s_mov_b64 s[14:15], 0x3f800000
	v_mov_b32_e32 v2, s14
	v_mov_b32_e32 v3, s15
	s_movk_i32 s14, 0x1000
	v_add_u32_e64 v19, s14, 0
	ds_write2_b64 v19, v[2:3], v[2:3] offset0:138 offset1:203
.LBB55_183:
	s_or_b64 exec, exec, s[12:13]
	v_mov_b32_e32 v3, 0
	v_mov_b32_e32 v2, 0
	s_waitcnt lgkmcnt(0)
	s_barrier
	s_and_saveexec_b64 s[14:15], s[18:19]
	s_cbranch_execz .LBB55_189
; %bb.184:
	v_mul_u32_u24_e32 v19, 0x208, v13
	ds_read_b64 v[2:3], v9 offset:4192
	ds_read_b64 v[20:21], v19 offset:4160
	v_cmp_gt_u32_e64 s[12:13], 12, v7
	s_waitcnt lgkmcnt(0)
	v_mul_f32_e32 v22, v21, v3
	v_mul_f32_e32 v3, v20, v3
	v_fma_f32 v20, v20, v2, -v22
	v_fmac_f32_e32 v3, v21, v2
	v_add_f32_e32 v2, 0, v20
	v_add_f32_e32 v3, 0, v3
	s_and_saveexec_b64 s[16:17], s[12:13]
	s_cbranch_execnz .LBB55_998
; %bb.185:
	s_or_b64 exec, exec, s[16:17]
	v_cmp_gt_u32_e64 s[12:13], 8, v7
	s_and_saveexec_b64 s[16:17], s[12:13]
	s_cbranch_execnz .LBB55_999
.LBB55_186:
	s_or_b64 exec, exec, s[16:17]
	v_cmp_gt_u32_e64 s[12:13], 4, v7
	s_and_saveexec_b64 s[16:17], s[12:13]
	s_cbranch_execz .LBB55_188
.LBB55_187:
	v_lshlrev_b32_e32 v19, 3, v0
	v_mov_b32_e32 v21, 0
	ds_read_b64 v[19:20], v19 offset:5728
	ds_read_b64 v[21:22], v21 offset:4184
	s_waitcnt lgkmcnt(0)
	v_mul_f32_e32 v23, v22, v20
	v_mul_f32_e32 v20, v21, v20
	v_fma_f32 v21, v21, v19, -v23
	v_fmac_f32_e32 v20, v22, v19
	v_add_f32_e32 v2, v2, v21
	v_add_f32_e32 v3, v3, v20
.LBB55_188:
	s_or_b64 exec, exec, s[16:17]
	v_xor_b32_e32 v2, 0x80000000, v2
	v_xor_b32_e32 v3, 0x80000000, v3
.LBB55_189:
	s_or_b64 exec, exec, s[14:15]
	s_and_saveexec_b64 s[12:13], s[38:39]
; %bb.190:
	ds_write_b64 v11, v[2:3]
; %bb.191:
	s_or_b64 exec, exec, s[12:13]
	s_waitcnt lgkmcnt(0)
	s_barrier
	s_and_saveexec_b64 s[12:13], s[42:43]
	s_cbranch_execz .LBB55_193
; %bb.192:
	ds_read_b64 v[19:20], v10 offset:6240
	ds_read_b64 v[21:22], v11
	s_waitcnt lgkmcnt(0)
	v_mul_f32_e32 v23, v22, v20
	v_mul_f32_e32 v20, v21, v20
	v_fma_f32 v21, v21, v19, -v23
	v_fmac_f32_e32 v20, v22, v19
	v_add_f32_e32 v2, v2, v21
	v_add_f32_e32 v3, v3, v20
.LBB55_193:
	s_or_b64 exec, exec, s[12:13]
	s_barrier
	s_and_saveexec_b64 s[12:13], s[44:45]
; %bb.194:
	ds_write_b64 v11, v[2:3]
; %bb.195:
	s_or_b64 exec, exec, s[12:13]
	s_waitcnt lgkmcnt(0)
	s_barrier
	s_and_saveexec_b64 s[12:13], s[52:53]
	s_cbranch_execz .LBB55_197
; %bb.196:
	ds_read_b64 v[19:20], v10 offset:6752
	ds_read_b64 v[21:22], v11
	s_waitcnt lgkmcnt(0)
	v_mul_f32_e32 v23, v22, v20
	v_mul_f32_e32 v20, v21, v20
	v_fma_f32 v21, v21, v19, -v23
	v_fmac_f32_e32 v20, v22, v19
	v_add_f32_e32 v2, v2, v21
	v_add_f32_e32 v3, v3, v20
.LBB55_197:
	s_or_b64 exec, exec, s[12:13]
	s_barrier
	s_and_saveexec_b64 s[12:13], s[54:55]
; %bb.198:
	ds_write_b64 v11, v[2:3]
; %bb.199:
	s_or_b64 exec, exec, s[12:13]
	s_waitcnt lgkmcnt(0)
	s_barrier
	s_and_saveexec_b64 s[12:13], s[36:37]
	s_cbranch_execz .LBB55_201
; %bb.200:
	v_mov_b32_e32 v19, 0
	ds_read_b64 v[19:20], v19 offset:7288
	ds_read_b64 v[21:22], v11
	s_waitcnt lgkmcnt(0)
	v_mul_f32_e32 v23, v22, v20
	v_mul_f32_e32 v20, v21, v20
	v_fma_f32 v21, v21, v19, -v23
	v_fmac_f32_e32 v20, v22, v19
	v_add_f32_e32 v2, v2, v21
	v_add_f32_e32 v3, v3, v20
.LBB55_201:
	s_or_b64 exec, exec, s[12:13]
	s_barrier
	s_and_saveexec_b64 s[12:13], s[36:37]
; %bb.202:
	ds_write_b64 v11, v[2:3]
; %bb.203:
	s_or_b64 exec, exec, s[12:13]
	s_waitcnt lgkmcnt(0)
	s_barrier
	s_barrier
	s_and_saveexec_b64 s[12:13], s[18:19]
; %bb.204:
	v_xor_b32_e32 v2, 0x80000000, v2
	v_xor_b32_e32 v3, 0x80000000, v3
	ds_write_b64 v9, v[2:3] offset:4192
; %bb.205:
	s_or_b64 exec, exec, s[12:13]
	s_waitcnt lgkmcnt(0)
	s_barrier
	s_barrier
	s_and_saveexec_b64 s[12:13], vcc
	s_cbranch_execz .LBB55_207
; %bb.206:
	s_mov_b64 s[14:15], 0x3f800000
	v_mov_b32_e32 v2, s14
	v_mov_b32_e32 v3, s15
	s_movk_i32 s14, 0x1800
	v_add_u32_e64 v19, s14, 0
	ds_write2_b64 v19, v[2:3], v[2:3] offset0:12 offset1:77
.LBB55_207:
	s_or_b64 exec, exec, s[12:13]
	v_mov_b32_e32 v3, 0
	v_mov_b32_e32 v2, 0
	s_waitcnt lgkmcnt(0)
	s_barrier
	s_and_saveexec_b64 s[14:15], s[6:7]
	s_cbranch_execz .LBB55_211
; %bb.208:
	v_mul_u32_u24_e32 v19, 0x208, v6
	ds_read_b64 v[2:3], v4 offset:6256
	ds_read_b64 v[19:20], v19 offset:6240
	v_cmp_gt_u32_e64 s[12:13], 2, v7
	s_waitcnt lgkmcnt(0)
	v_mul_f32_e32 v21, v20, v3
	v_mul_f32_e32 v3, v19, v3
	v_fma_f32 v19, v19, v2, -v21
	v_fmac_f32_e32 v3, v20, v2
	v_add_f32_e32 v2, 0, v19
	v_add_f32_e32 v3, 0, v3
	s_and_saveexec_b64 s[16:17], s[12:13]
	s_cbranch_execz .LBB55_210
; %bb.209:
	v_lshlrev_b32_e32 v19, 3, v0
	v_mov_b32_e32 v21, 0
	ds_read_b64 v[19:20], v19 offset:6768
	ds_read_b64 v[21:22], v21 offset:6248
	s_waitcnt lgkmcnt(0)
	v_mul_f32_e32 v23, v22, v20
	v_mul_f32_e32 v20, v21, v20
	v_fma_f32 v21, v21, v19, -v23
	v_fmac_f32_e32 v20, v22, v19
	v_add_f32_e32 v2, v2, v21
	v_add_f32_e32 v3, v3, v20
.LBB55_210:
	s_or_b64 exec, exec, s[16:17]
	v_xor_b32_e32 v2, 0x80000000, v2
	v_xor_b32_e32 v3, 0x80000000, v3
.LBB55_211:
	s_or_b64 exec, exec, s[14:15]
	s_and_saveexec_b64 s[12:13], s[34:35]
; %bb.212:
	ds_write_b64 v5, v[2:3]
; %bb.213:
	s_or_b64 exec, exec, s[12:13]
	s_waitcnt lgkmcnt(0)
	s_barrier
	s_and_saveexec_b64 s[12:13], s[30:31]
	s_cbranch_execz .LBB55_215
; %bb.214:
	v_mov_b32_e32 v19, 0
	ds_read_b64 v[19:20], v19 offset:7288
	ds_read_b64 v[21:22], v5
	s_waitcnt lgkmcnt(0)
	v_mul_f32_e32 v23, v22, v20
	v_mul_f32_e32 v20, v21, v20
	v_fma_f32 v21, v21, v19, -v23
	v_fmac_f32_e32 v20, v22, v19
	v_add_f32_e32 v2, v2, v21
	v_add_f32_e32 v3, v3, v20
.LBB55_215:
	s_or_b64 exec, exec, s[12:13]
	s_barrier
	s_and_saveexec_b64 s[12:13], s[30:31]
; %bb.216:
	ds_write_b64 v5, v[2:3]
; %bb.217:
	s_or_b64 exec, exec, s[12:13]
	s_waitcnt lgkmcnt(0)
	s_barrier
	s_barrier
	s_and_saveexec_b64 s[12:13], s[6:7]
; %bb.218:
	v_xor_b32_e32 v3, 0x80000000, v3
	v_xor_b32_e32 v2, 0x80000000, v2
	ds_write_b64 v4, v[2:3] offset:6256
; %bb.219:
	s_or_b64 exec, exec, s[12:13]
	s_waitcnt lgkmcnt(0)
	s_barrier
	s_barrier
	s_and_saveexec_b64 s[12:13], vcc
	s_cbranch_execz .LBB55_221
; %bb.220:
	s_mov_b64 s[14:15], 0x3f800000
	v_mov_b32_e32 v2, s14
	v_mov_b32_e32 v3, s15
	s_movk_i32 s14, 0x1800
	v_add_u32_e64 v19, s14, 0
	ds_write2_b64 v19, v[2:3], v[2:3] offset0:142 offset1:207
.LBB55_221:
	s_or_b64 exec, exec, s[12:13]
	v_lshrrev_b32_e32 v23, 4, v7
	v_and_b32_e32 v20, 15, v0
	s_movk_i32 s12, 0xff
	v_lshlrev_b32_e32 v22, 6, v23
	v_cmp_lt_u32_e64 s[14:15], s12, v7
	s_movk_i32 s12, 0x100
	v_or_b32_e32 v2, v22, v20
	v_cmp_gt_u32_e64 s[12:13], s12, v7
	v_lshlrev_b32_e32 v19, 3, v2
	v_mov_b32_e32 v3, 0
	v_mov_b32_e32 v2, 0
	s_waitcnt lgkmcnt(0)
	s_barrier
	s_and_saveexec_b64 s[20:21], s[12:13]
	s_cbranch_execz .LBB55_249
; %bb.222:
	v_mul_u32_u24_e32 v21, 0x208, v23
	ds_read_b64 v[2:3], v19 offset:128
	ds_read_b64 v[24:25], v21
	s_movk_i32 s16, 0xf0
	v_cmp_gt_u32_e64 s[16:17], s16, v7
	s_waitcnt lgkmcnt(0)
	v_mul_f32_e32 v26, v25, v3
	v_mul_f32_e32 v3, v24, v3
	v_fma_f32 v24, v24, v2, -v26
	v_fmac_f32_e32 v3, v25, v2
	v_add_f32_e32 v2, 0, v24
	v_add_f32_e32 v3, 0, v3
	s_and_saveexec_b64 s[84:85], s[16:17]
	s_cbranch_execz .LBB55_224
; %bb.223:
	v_lshlrev_b32_e32 v24, 3, v23
	v_sub_u32_e32 v24, v21, v24
	v_lshl_add_u32 v24, v20, 3, v24
	ds_read_b64 v[24:25], v24 offset:640
	ds_read_b64 v[26:27], v21 offset:8
	s_waitcnt lgkmcnt(0)
	v_mul_f32_e32 v28, v27, v25
	v_mul_f32_e32 v25, v26, v25
	v_fma_f32 v26, v26, v24, -v28
	v_fmac_f32_e32 v25, v27, v24
	v_add_f32_e32 v2, v2, v26
	v_add_f32_e32 v3, v3, v25
.LBB55_224:
	s_or_b64 exec, exec, s[84:85]
	s_movk_i32 s16, 0xe0
	v_cmp_gt_u32_e64 s[16:17], s16, v7
	s_and_saveexec_b64 s[84:85], s[16:17]
	s_cbranch_execz .LBB55_226
; %bb.225:
	v_lshlrev_b32_e32 v24, 3, v23
	v_sub_u32_e32 v24, v21, v24
	v_lshl_add_u32 v24, v20, 3, v24
	ds_read_b64 v[24:25], v24 offset:1152
	ds_read_b64 v[26:27], v21 offset:16
	s_waitcnt lgkmcnt(0)
	v_mul_f32_e32 v28, v27, v25
	v_mul_f32_e32 v25, v26, v25
	v_fma_f32 v26, v26, v24, -v28
	v_fmac_f32_e32 v25, v27, v24
	v_add_f32_e32 v2, v2, v26
	v_add_f32_e32 v3, v3, v25
.LBB55_226:
	s_or_b64 exec, exec, s[84:85]
	s_movk_i32 s16, 0xd0
	v_cmp_gt_u32_e64 s[16:17], s16, v7
	;; [unrolled: 19-line block ×7, first 2 shown]
	s_and_saveexec_b64 s[84:85], s[16:17]
	s_cbranch_execz .LBB55_238
; %bb.237:
	ds_read_b64 v[24:25], v19 offset:4224
	ds_read_b64 v[26:27], v21 offset:64
	s_waitcnt lgkmcnt(0)
	v_mul_f32_e32 v28, v27, v25
	v_mul_f32_e32 v25, v26, v25
	v_fma_f32 v26, v26, v24, -v28
	v_fmac_f32_e32 v25, v27, v24
	v_add_f32_e32 v2, v2, v26
	v_add_f32_e32 v3, v3, v25
.LBB55_238:
	s_or_b64 exec, exec, s[84:85]
	s_movk_i32 s16, 0x70
	v_cmp_gt_u32_e64 s[16:17], s16, v7
	s_and_saveexec_b64 s[84:85], s[16:17]
	s_cbranch_execz .LBB55_240
; %bb.239:
	v_lshlrev_b32_e32 v24, 3, v20
	v_lshl_add_u32 v24, v22, 3, v24
	ds_read_b64 v[24:25], v24 offset:4736
	ds_read_b64 v[26:27], v21 offset:72
	s_waitcnt lgkmcnt(0)
	v_mul_f32_e32 v28, v27, v25
	v_mul_f32_e32 v25, v26, v25
	v_fma_f32 v26, v26, v24, -v28
	v_fmac_f32_e32 v25, v27, v24
	v_add_f32_e32 v2, v2, v26
	v_add_f32_e32 v3, v3, v25
.LBB55_240:
	s_or_b64 exec, exec, s[84:85]
	s_movk_i32 s16, 0x60
	v_cmp_gt_u32_e64 s[16:17], s16, v7
	s_and_saveexec_b64 s[84:85], s[16:17]
	s_cbranch_execz .LBB55_242
; %bb.241:
	v_lshlrev_b32_e32 v24, 3, v20
	v_lshl_add_u32 v24, v22, 3, v24
	ds_read_b64 v[24:25], v24 offset:5248
	ds_read_b64 v[26:27], v21 offset:80
	s_waitcnt lgkmcnt(0)
	v_mul_f32_e32 v28, v27, v25
	v_mul_f32_e32 v25, v26, v25
	v_fma_f32 v26, v26, v24, -v28
	v_fmac_f32_e32 v25, v27, v24
	v_add_f32_e32 v2, v2, v26
	v_add_f32_e32 v3, v3, v25
.LBB55_242:
	s_or_b64 exec, exec, s[84:85]
	s_movk_i32 s16, 0x50
	v_cmp_gt_u32_e64 s[16:17], s16, v7
	s_and_saveexec_b64 s[84:85], s[16:17]
	s_cbranch_execnz .LBB55_1000
; %bb.243:
	s_or_b64 exec, exec, s[84:85]
	v_cmp_gt_u32_e64 s[16:17], 64, v7
	s_and_saveexec_b64 s[84:85], s[16:17]
	s_cbranch_execnz .LBB55_1001
.LBB55_244:
	s_or_b64 exec, exec, s[84:85]
	v_cmp_gt_u32_e64 s[16:17], 48, v7
	s_and_saveexec_b64 s[84:85], s[16:17]
	s_cbranch_execnz .LBB55_1002
.LBB55_245:
	s_or_b64 exec, exec, s[84:85]
	v_cmp_gt_u32_e64 s[16:17], 32, v7
	s_and_saveexec_b64 s[84:85], s[16:17]
	s_cbranch_execnz .LBB55_1003
.LBB55_246:
	s_or_b64 exec, exec, s[84:85]
	v_cmp_gt_u32_e64 s[16:17], 16, v7
	s_and_saveexec_b64 s[84:85], s[16:17]
	s_cbranch_execz .LBB55_248
.LBB55_247:
	v_lshlrev_b32_e32 v21, 3, v0
	v_mov_b32_e32 v26, 0
	ds_read_b64 v[24:25], v21 offset:7808
	ds_read_b64 v[26:27], v26 offset:120
	s_waitcnt lgkmcnt(0)
	v_mul_f32_e32 v21, v27, v25
	v_mul_f32_e32 v25, v26, v25
	v_fma_f32 v21, v26, v24, -v21
	v_fmac_f32_e32 v25, v27, v24
	v_add_f32_e32 v2, v2, v21
	v_add_f32_e32 v3, v3, v25
.LBB55_248:
	s_or_b64 exec, exec, s[84:85]
	v_xor_b32_e32 v2, 0x80000000, v2
	v_xor_b32_e32 v3, 0x80000000, v3
.LBB55_249:
	s_or_b64 exec, exec, s[20:21]
	v_mov_b32_e32 v21, 0x8000
	v_lshl_add_u32 v21, v23, 3, v21
	v_cmp_eq_u32_e64 s[16:17], 0, v20
	s_xor_b64 s[20:21], s[14:15], -1
	s_and_b64 s[16:17], s[16:17], s[20:21]
	s_mov_b64 s[14:15], exec
                                        ; implicit-def: $vgpr35 : SGPR spill to VGPR lane
	v_writelane_b32 v35, s16, 0
	v_writelane_b32 v35, s17, 1
	s_and_b64 s[16:17], s[14:15], s[16:17]
	s_mov_b64 exec, s[16:17]
; %bb.250:
	ds_write_b64 v21, v[2:3]
; %bb.251:
	s_or_b64 exec, exec, s[14:15]
	v_cmp_ne_u32_e64 s[14:15], 0, v20
	s_waitcnt lgkmcnt(0)
	s_barrier
	s_and_b64 s[16:17], s[14:15], s[20:21]
	s_mov_b64 s[14:15], exec
	v_writelane_b32 v35, s16, 2
	v_writelane_b32 v35, s17, 3
	s_and_b64 s[16:17], s[14:15], s[16:17]
	s_mov_b64 exec, s[16:17]
	s_cbranch_execz .LBB55_253
; %bb.252:
	v_lshlrev_b32_e32 v24, 3, v20
	ds_read_b64 v[24:25], v24 offset:8320
	ds_read_b64 v[26:27], v21
	s_waitcnt lgkmcnt(0)
	v_mul_f32_e32 v28, v27, v25
	v_mul_f32_e32 v25, v26, v25
	v_fma_f32 v26, v26, v24, -v28
	v_fmac_f32_e32 v25, v27, v24
	v_add_f32_e32 v2, v2, v26
	v_add_f32_e32 v3, v3, v25
.LBB55_253:
	s_or_b64 exec, exec, s[14:15]
	v_cmp_eq_u32_e64 s[14:15], 1, v20
	s_barrier
	s_and_b64 s[16:17], s[14:15], s[20:21]
	s_mov_b64 s[14:15], exec
	v_writelane_b32 v35, s16, 4
	v_writelane_b32 v35, s17, 5
	s_and_b64 s[16:17], s[14:15], s[16:17]
	s_mov_b64 exec, s[16:17]
; %bb.254:
	ds_write_b64 v21, v[2:3]
; %bb.255:
	s_or_b64 exec, exec, s[14:15]
	v_cmp_lt_u32_e64 s[14:15], 1, v20
	s_waitcnt lgkmcnt(0)
	s_barrier
	s_and_b64 s[16:17], s[14:15], s[20:21]
	s_mov_b64 s[14:15], exec
	v_writelane_b32 v35, s16, 6
	v_writelane_b32 v35, s17, 7
	s_and_b64 s[16:17], s[14:15], s[16:17]
	s_mov_b64 exec, s[16:17]
	s_cbranch_execz .LBB55_257
; %bb.256:
	v_lshlrev_b32_e32 v24, 3, v20
	ds_read_b64 v[24:25], v24 offset:8832
	ds_read_b64 v[26:27], v21
	s_waitcnt lgkmcnt(0)
	v_mul_f32_e32 v28, v27, v25
	v_mul_f32_e32 v25, v26, v25
	v_fma_f32 v26, v26, v24, -v28
	v_fmac_f32_e32 v25, v27, v24
	v_add_f32_e32 v2, v2, v26
	v_add_f32_e32 v3, v3, v25
.LBB55_257:
	s_or_b64 exec, exec, s[14:15]
	v_cmp_eq_u32_e64 s[14:15], 2, v20
	s_barrier
	s_and_b64 s[16:17], s[14:15], s[20:21]
	s_mov_b64 s[14:15], exec
	v_writelane_b32 v35, s16, 8
	v_writelane_b32 v35, s17, 9
	s_and_b64 s[16:17], s[14:15], s[16:17]
	s_mov_b64 exec, s[16:17]
; %bb.258:
	ds_write_b64 v21, v[2:3]
; %bb.259:
	s_or_b64 exec, exec, s[14:15]
	v_cmp_lt_u32_e64 s[14:15], 2, v20
	;; [unrolled: 35-line block ×12, first 2 shown]
	s_and_b64 s[88:89], s[14:15], s[20:21]
	s_waitcnt lgkmcnt(0)
	s_barrier
	s_and_saveexec_b64 s[14:15], s[88:89]
	s_cbranch_execz .LBB55_301
; %bb.300:
	v_lshlrev_b32_e32 v24, 3, v20
	ds_read_b64 v[24:25], v24 offset:14464
	ds_read_b64 v[26:27], v21
	s_waitcnt lgkmcnt(0)
	v_mul_f32_e32 v28, v27, v25
	v_mul_f32_e32 v25, v26, v25
	v_fma_f32 v26, v26, v24, -v28
	v_fmac_f32_e32 v25, v27, v24
	v_add_f32_e32 v2, v2, v26
	v_add_f32_e32 v3, v3, v25
.LBB55_301:
	s_or_b64 exec, exec, s[14:15]
	v_cmp_eq_u32_e64 s[14:15], 13, v20
	s_and_b64 s[90:91], s[14:15], s[20:21]
	s_barrier
	s_and_saveexec_b64 s[14:15], s[90:91]
; %bb.302:
	ds_write_b64 v21, v[2:3]
; %bb.303:
	s_or_b64 exec, exec, s[14:15]
	v_cmp_lt_u32_e64 s[14:15], 13, v20
	s_and_b64 s[94:95], s[14:15], s[20:21]
	s_waitcnt lgkmcnt(0)
	s_barrier
	s_and_saveexec_b64 s[14:15], s[94:95]
	s_cbranch_execz .LBB55_305
; %bb.304:
	v_lshlrev_b32_e32 v24, 3, v20
	ds_read_b64 v[24:25], v24 offset:14976
	ds_read_b64 v[26:27], v21
	s_waitcnt lgkmcnt(0)
	v_mul_f32_e32 v28, v27, v25
	v_mul_f32_e32 v25, v26, v25
	v_fma_f32 v26, v26, v24, -v28
	v_fmac_f32_e32 v25, v27, v24
	v_add_f32_e32 v2, v2, v26
	v_add_f32_e32 v3, v3, v25
.LBB55_305:
	s_or_b64 exec, exec, s[14:15]
	v_cmp_eq_u32_e64 s[14:15], 14, v20
	s_and_b64 s[96:97], s[14:15], s[20:21]
	s_barrier
	s_and_saveexec_b64 s[14:15], s[96:97]
; %bb.306:
	ds_write_b64 v21, v[2:3]
; %bb.307:
	s_or_b64 exec, exec, s[14:15]
	v_cmp_eq_u32_e64 s[14:15], 15, v20
	s_and_b64 s[92:93], s[14:15], s[20:21]
	s_waitcnt lgkmcnt(0)
	s_barrier
	s_and_saveexec_b64 s[14:15], s[92:93]
	s_cbranch_execz .LBB55_309
; %bb.308:
	v_mov_b32_e32 v24, 0
	ds_read_b64 v[24:25], v24 offset:15608
	ds_read_b64 v[26:27], v21
	s_waitcnt lgkmcnt(0)
	v_mul_f32_e32 v28, v27, v25
	v_mul_f32_e32 v25, v26, v25
	v_fma_f32 v26, v26, v24, -v28
	v_fmac_f32_e32 v25, v27, v24
	v_add_f32_e32 v2, v2, v26
	v_add_f32_e32 v3, v3, v25
.LBB55_309:
	s_or_b64 exec, exec, s[14:15]
	s_barrier
	s_and_saveexec_b64 s[14:15], s[92:93]
; %bb.310:
	ds_write_b64 v21, v[2:3]
; %bb.311:
	s_or_b64 exec, exec, s[14:15]
	s_waitcnt lgkmcnt(0)
	s_barrier
	s_barrier
	s_and_saveexec_b64 s[14:15], s[12:13]
; %bb.312:
	v_xor_b32_e32 v2, 0x80000000, v2
	v_xor_b32_e32 v3, 0x80000000, v3
	ds_write_b64 v19, v[2:3] offset:128
; %bb.313:
	s_or_b64 exec, exec, s[14:15]
	s_waitcnt lgkmcnt(0)
	s_barrier
	s_barrier
	s_and_saveexec_b64 s[14:15], vcc
	s_cbranch_execz .LBB55_315
; %bb.314:
	s_mov_b64 s[16:17], 0x3f800000
	v_mov_b32_e32 v2, s16
	v_mov_b32_e32 v3, s17
	s_movk_i32 s16, 0x2000
	v_add_u32_e64 v24, s16, 0
	ds_write2_b64 v24, v[2:3], v[2:3] offset0:16 offset1:81
.LBB55_315:
	s_or_b64 exec, exec, s[14:15]
	v_mov_b32_e32 v3, 0
	v_mov_b32_e32 v2, 0
	s_waitcnt lgkmcnt(0)
	s_barrier
	s_and_saveexec_b64 s[16:17], s[6:7]
	s_cbranch_execz .LBB55_319
; %bb.316:
	v_mul_u32_u24_e32 v24, 0x208, v6
	ds_read_b64 v[2:3], v4 offset:8336
	ds_read_b64 v[24:25], v24 offset:8320
	v_cmp_gt_u32_e64 s[14:15], 2, v7
	s_waitcnt lgkmcnt(0)
	v_mul_f32_e32 v26, v25, v3
	v_mul_f32_e32 v3, v24, v3
	v_fma_f32 v24, v24, v2, -v26
	v_fmac_f32_e32 v3, v25, v2
	v_add_f32_e32 v2, 0, v24
	v_add_f32_e32 v3, 0, v3
	s_and_saveexec_b64 s[20:21], s[14:15]
	s_cbranch_execz .LBB55_318
; %bb.317:
	v_lshlrev_b32_e32 v24, 3, v0
	v_mov_b32_e32 v26, 0
	ds_read_b64 v[24:25], v24 offset:8848
	ds_read_b64 v[26:27], v26 offset:8328
	s_waitcnt lgkmcnt(0)
	v_mul_f32_e32 v28, v27, v25
	v_mul_f32_e32 v25, v26, v25
	v_fma_f32 v26, v26, v24, -v28
	v_fmac_f32_e32 v25, v27, v24
	v_add_f32_e32 v2, v2, v26
	v_add_f32_e32 v3, v3, v25
.LBB55_318:
	s_or_b64 exec, exec, s[20:21]
	v_xor_b32_e32 v2, 0x80000000, v2
	v_xor_b32_e32 v3, 0x80000000, v3
.LBB55_319:
	s_or_b64 exec, exec, s[16:17]
	s_and_saveexec_b64 s[14:15], s[34:35]
; %bb.320:
	ds_write_b64 v5, v[2:3]
; %bb.321:
	s_or_b64 exec, exec, s[14:15]
	s_waitcnt lgkmcnt(0)
	s_barrier
	s_and_saveexec_b64 s[14:15], s[30:31]
	s_cbranch_execz .LBB55_323
; %bb.322:
	v_mov_b32_e32 v24, 0
	ds_read_b64 v[24:25], v24 offset:9368
	ds_read_b64 v[26:27], v5
	s_waitcnt lgkmcnt(0)
	v_mul_f32_e32 v28, v27, v25
	v_mul_f32_e32 v25, v26, v25
	v_fma_f32 v26, v26, v24, -v28
	v_fmac_f32_e32 v25, v27, v24
	v_add_f32_e32 v2, v2, v26
	v_add_f32_e32 v3, v3, v25
.LBB55_323:
	s_or_b64 exec, exec, s[14:15]
	s_barrier
	s_and_saveexec_b64 s[14:15], s[30:31]
; %bb.324:
	ds_write_b64 v5, v[2:3]
; %bb.325:
	s_or_b64 exec, exec, s[14:15]
	s_waitcnt lgkmcnt(0)
	s_barrier
	s_barrier
	s_and_saveexec_b64 s[14:15], s[6:7]
; %bb.326:
	v_xor_b32_e32 v3, 0x80000000, v3
	v_xor_b32_e32 v2, 0x80000000, v2
	ds_write_b64 v4, v[2:3] offset:8336
; %bb.327:
	s_or_b64 exec, exec, s[14:15]
	s_waitcnt lgkmcnt(0)
	s_barrier
	s_barrier
	s_and_saveexec_b64 s[14:15], vcc
	s_cbranch_execz .LBB55_329
; %bb.328:
	s_mov_b64 s[16:17], 0x3f800000
	v_mov_b32_e32 v2, s16
	v_mov_b32_e32 v3, s17
	s_movk_i32 s16, 0x2000
	v_add_u32_e64 v24, s16, 0
	ds_write2_b64 v24, v[2:3], v[2:3] offset0:146 offset1:211
.LBB55_329:
	s_or_b64 exec, exec, s[14:15]
	v_mov_b32_e32 v3, 0
	v_mov_b32_e32 v2, 0
	s_waitcnt lgkmcnt(0)
	s_barrier
	s_and_saveexec_b64 s[16:17], s[18:19]
	s_cbranch_execz .LBB55_335
; %bb.330:
	v_mul_u32_u24_e32 v24, 0x208, v13
	ds_read_b64 v[2:3], v9 offset:8352
	ds_read_b64 v[25:26], v24 offset:8320
	v_cmp_gt_u32_e64 s[14:15], 12, v7
	s_waitcnt lgkmcnt(0)
	v_mul_f32_e32 v27, v26, v3
	v_mul_f32_e32 v3, v25, v3
	v_fma_f32 v25, v25, v2, -v27
	v_fmac_f32_e32 v3, v26, v2
	v_add_f32_e32 v2, 0, v25
	v_add_f32_e32 v3, 0, v3
	s_and_saveexec_b64 s[20:21], s[14:15]
	s_cbranch_execnz .LBB55_1004
; %bb.331:
	s_or_b64 exec, exec, s[20:21]
	v_cmp_gt_u32_e64 s[14:15], 8, v7
	s_and_saveexec_b64 s[20:21], s[14:15]
	s_cbranch_execnz .LBB55_1005
.LBB55_332:
	s_or_b64 exec, exec, s[20:21]
	v_cmp_gt_u32_e64 s[14:15], 4, v7
	s_and_saveexec_b64 s[20:21], s[14:15]
	s_cbranch_execz .LBB55_334
.LBB55_333:
	v_lshlrev_b32_e32 v24, 3, v0
	v_mov_b32_e32 v26, 0
	ds_read_b64 v[24:25], v24 offset:9888
	ds_read_b64 v[26:27], v26 offset:8344
	s_waitcnt lgkmcnt(0)
	v_mul_f32_e32 v28, v27, v25
	v_mul_f32_e32 v25, v26, v25
	v_fma_f32 v26, v26, v24, -v28
	v_fmac_f32_e32 v25, v27, v24
	v_add_f32_e32 v2, v2, v26
	v_add_f32_e32 v3, v3, v25
.LBB55_334:
	s_or_b64 exec, exec, s[20:21]
	v_xor_b32_e32 v2, 0x80000000, v2
	v_xor_b32_e32 v3, 0x80000000, v3
.LBB55_335:
	s_or_b64 exec, exec, s[16:17]
	s_and_saveexec_b64 s[14:15], s[38:39]
; %bb.336:
	ds_write_b64 v11, v[2:3]
; %bb.337:
	s_or_b64 exec, exec, s[14:15]
	s_waitcnt lgkmcnt(0)
	s_barrier
	s_and_saveexec_b64 s[14:15], s[42:43]
	s_cbranch_execz .LBB55_339
; %bb.338:
	ds_read_b64 v[24:25], v10 offset:10400
	ds_read_b64 v[26:27], v11
	s_waitcnt lgkmcnt(0)
	v_mul_f32_e32 v28, v27, v25
	v_mul_f32_e32 v25, v26, v25
	v_fma_f32 v26, v26, v24, -v28
	v_fmac_f32_e32 v25, v27, v24
	v_add_f32_e32 v2, v2, v26
	v_add_f32_e32 v3, v3, v25
.LBB55_339:
	s_or_b64 exec, exec, s[14:15]
	s_barrier
	s_and_saveexec_b64 s[14:15], s[44:45]
; %bb.340:
	ds_write_b64 v11, v[2:3]
; %bb.341:
	s_or_b64 exec, exec, s[14:15]
	s_waitcnt lgkmcnt(0)
	s_barrier
	s_and_saveexec_b64 s[14:15], s[52:53]
	s_cbranch_execz .LBB55_343
; %bb.342:
	ds_read_b64 v[24:25], v10 offset:10912
	ds_read_b64 v[26:27], v11
	s_waitcnt lgkmcnt(0)
	v_mul_f32_e32 v28, v27, v25
	v_mul_f32_e32 v25, v26, v25
	v_fma_f32 v26, v26, v24, -v28
	v_fmac_f32_e32 v25, v27, v24
	v_add_f32_e32 v2, v2, v26
	v_add_f32_e32 v3, v3, v25
.LBB55_343:
	s_or_b64 exec, exec, s[14:15]
	s_barrier
	s_and_saveexec_b64 s[14:15], s[54:55]
; %bb.344:
	ds_write_b64 v11, v[2:3]
; %bb.345:
	s_or_b64 exec, exec, s[14:15]
	s_waitcnt lgkmcnt(0)
	s_barrier
	s_and_saveexec_b64 s[14:15], s[36:37]
	s_cbranch_execz .LBB55_347
; %bb.346:
	v_mov_b32_e32 v24, 0
	ds_read_b64 v[24:25], v24 offset:11448
	ds_read_b64 v[26:27], v11
	s_waitcnt lgkmcnt(0)
	v_mul_f32_e32 v28, v27, v25
	v_mul_f32_e32 v25, v26, v25
	v_fma_f32 v26, v26, v24, -v28
	v_fmac_f32_e32 v25, v27, v24
	v_add_f32_e32 v2, v2, v26
	v_add_f32_e32 v3, v3, v25
.LBB55_347:
	s_or_b64 exec, exec, s[14:15]
	s_barrier
	s_and_saveexec_b64 s[14:15], s[36:37]
; %bb.348:
	ds_write_b64 v11, v[2:3]
; %bb.349:
	s_or_b64 exec, exec, s[14:15]
	s_waitcnt lgkmcnt(0)
	s_barrier
	s_barrier
	s_and_saveexec_b64 s[14:15], s[18:19]
; %bb.350:
	v_xor_b32_e32 v2, 0x80000000, v2
	v_xor_b32_e32 v3, 0x80000000, v3
	ds_write_b64 v9, v[2:3] offset:8352
; %bb.351:
	s_or_b64 exec, exec, s[14:15]
	s_waitcnt lgkmcnt(0)
	s_barrier
	s_barrier
	s_and_saveexec_b64 s[14:15], vcc
	s_cbranch_execz .LBB55_353
; %bb.352:
	s_mov_b64 s[16:17], 0x3f800000
	v_mov_b32_e32 v2, s16
	v_mov_b32_e32 v3, s17
	s_movk_i32 s16, 0x2800
	v_add_u32_e64 v24, s16, 0
	ds_write2_b64 v24, v[2:3], v[2:3] offset0:20 offset1:85
.LBB55_353:
	s_or_b64 exec, exec, s[14:15]
	v_mov_b32_e32 v3, 0
	v_mov_b32_e32 v2, 0
	s_waitcnt lgkmcnt(0)
	s_barrier
	s_and_saveexec_b64 s[16:17], s[6:7]
	s_cbranch_execz .LBB55_357
; %bb.354:
	v_mul_u32_u24_e32 v24, 0x208, v6
	ds_read_b64 v[2:3], v4 offset:10416
	ds_read_b64 v[24:25], v24 offset:10400
	v_cmp_gt_u32_e64 s[14:15], 2, v7
	s_waitcnt lgkmcnt(0)
	v_mul_f32_e32 v26, v25, v3
	v_mul_f32_e32 v3, v24, v3
	v_fma_f32 v24, v24, v2, -v26
	v_fmac_f32_e32 v3, v25, v2
	v_add_f32_e32 v2, 0, v24
	v_add_f32_e32 v3, 0, v3
	s_and_saveexec_b64 s[20:21], s[14:15]
	s_cbranch_execz .LBB55_356
; %bb.355:
	v_lshlrev_b32_e32 v24, 3, v0
	v_mov_b32_e32 v26, 0
	ds_read_b64 v[24:25], v24 offset:10928
	ds_read_b64 v[26:27], v26 offset:10408
	s_waitcnt lgkmcnt(0)
	v_mul_f32_e32 v28, v27, v25
	v_mul_f32_e32 v25, v26, v25
	v_fma_f32 v26, v26, v24, -v28
	v_fmac_f32_e32 v25, v27, v24
	v_add_f32_e32 v2, v2, v26
	v_add_f32_e32 v3, v3, v25
.LBB55_356:
	s_or_b64 exec, exec, s[20:21]
	v_xor_b32_e32 v2, 0x80000000, v2
	v_xor_b32_e32 v3, 0x80000000, v3
.LBB55_357:
	s_or_b64 exec, exec, s[16:17]
	s_and_saveexec_b64 s[14:15], s[34:35]
; %bb.358:
	ds_write_b64 v5, v[2:3]
; %bb.359:
	s_or_b64 exec, exec, s[14:15]
	s_waitcnt lgkmcnt(0)
	s_barrier
	s_and_saveexec_b64 s[14:15], s[30:31]
	s_cbranch_execz .LBB55_361
; %bb.360:
	v_mov_b32_e32 v24, 0
	ds_read_b64 v[24:25], v24 offset:11448
	ds_read_b64 v[26:27], v5
	s_waitcnt lgkmcnt(0)
	v_mul_f32_e32 v28, v27, v25
	v_mul_f32_e32 v25, v26, v25
	v_fma_f32 v26, v26, v24, -v28
	v_fmac_f32_e32 v25, v27, v24
	v_add_f32_e32 v2, v2, v26
	v_add_f32_e32 v3, v3, v25
.LBB55_361:
	s_or_b64 exec, exec, s[14:15]
	s_barrier
	s_and_saveexec_b64 s[14:15], s[30:31]
; %bb.362:
	ds_write_b64 v5, v[2:3]
; %bb.363:
	s_or_b64 exec, exec, s[14:15]
	s_waitcnt lgkmcnt(0)
	s_barrier
	s_barrier
	s_and_saveexec_b64 s[14:15], s[6:7]
; %bb.364:
	v_xor_b32_e32 v3, 0x80000000, v3
	v_xor_b32_e32 v2, 0x80000000, v2
	ds_write_b64 v4, v[2:3] offset:10416
; %bb.365:
	s_or_b64 exec, exec, s[14:15]
	s_waitcnt lgkmcnt(0)
	s_barrier
	s_barrier
	s_and_saveexec_b64 s[14:15], vcc
	s_cbranch_execz .LBB55_367
; %bb.366:
	s_mov_b64 s[16:17], 0x3f800000
	v_mov_b32_e32 v2, s16
	v_mov_b32_e32 v3, s17
	s_movk_i32 s16, 0x2800
	v_add_u32_e64 v24, s16, 0
	ds_write2_b64 v24, v[2:3], v[2:3] offset0:150 offset1:215
.LBB55_367:
	s_or_b64 exec, exec, s[14:15]
	v_mov_b32_e32 v3, 0
	v_mov_b32_e32 v2, 0
	s_waitcnt lgkmcnt(0)
	s_barrier
	s_and_saveexec_b64 s[16:17], s[10:11]
	s_cbranch_execz .LBB55_377
; %bb.368:
	v_mul_u32_u24_e32 v24, 0x208, v18
	ds_read_b64 v[2:3], v14 offset:8384
	ds_read_b64 v[25:26], v24 offset:8320
	v_cmp_gt_u32_e64 s[14:15], 56, v7
	s_waitcnt lgkmcnt(0)
	v_mul_f32_e32 v27, v26, v3
	v_mul_f32_e32 v3, v25, v3
	v_fma_f32 v25, v25, v2, -v27
	v_fmac_f32_e32 v3, v26, v2
	v_add_f32_e32 v2, 0, v25
	v_add_f32_e32 v3, 0, v3
	s_and_saveexec_b64 s[20:21], s[14:15]
	s_cbranch_execnz .LBB55_1006
; %bb.369:
	s_or_b64 exec, exec, s[20:21]
	v_cmp_gt_u32_e64 s[14:15], 48, v7
	s_and_saveexec_b64 s[20:21], s[14:15]
	s_cbranch_execnz .LBB55_1007
.LBB55_370:
	s_or_b64 exec, exec, s[20:21]
	v_cmp_gt_u32_e64 s[14:15], 40, v7
	s_and_saveexec_b64 s[20:21], s[14:15]
	s_cbranch_execnz .LBB55_1008
.LBB55_371:
	s_or_b64 exec, exec, s[20:21]
	v_cmp_gt_u32_e64 s[14:15], 32, v7
	s_and_saveexec_b64 s[20:21], s[14:15]
	s_cbranch_execnz .LBB55_1009
.LBB55_372:
	s_or_b64 exec, exec, s[20:21]
	v_cmp_gt_u32_e64 s[14:15], 24, v7
	s_and_saveexec_b64 s[20:21], s[14:15]
	s_cbranch_execnz .LBB55_1010
.LBB55_373:
	s_or_b64 exec, exec, s[20:21]
	v_cmp_gt_u32_e64 s[14:15], 16, v7
	s_and_saveexec_b64 s[20:21], s[14:15]
	s_cbranch_execnz .LBB55_1011
.LBB55_374:
	s_or_b64 exec, exec, s[20:21]
	v_cmp_gt_u32_e64 s[14:15], 8, v7
	s_and_saveexec_b64 s[20:21], s[14:15]
	s_cbranch_execz .LBB55_376
.LBB55_375:
	v_lshlrev_b32_e32 v24, 3, v0
	v_mov_b32_e32 v26, 0
	ds_read_b64 v[24:25], v24 offset:11968
	ds_read_b64 v[26:27], v26 offset:8376
	s_waitcnt lgkmcnt(0)
	v_mul_f32_e32 v28, v27, v25
	v_mul_f32_e32 v25, v26, v25
	v_fma_f32 v26, v26, v24, -v28
	v_fmac_f32_e32 v25, v27, v24
	v_add_f32_e32 v2, v2, v26
	v_add_f32_e32 v3, v3, v25
.LBB55_376:
	s_or_b64 exec, exec, s[20:21]
	v_xor_b32_e32 v2, 0x80000000, v2
	v_xor_b32_e32 v3, 0x80000000, v3
.LBB55_377:
	s_or_b64 exec, exec, s[16:17]
	s_and_saveexec_b64 s[14:15], s[58:59]
; %bb.378:
	ds_write_b64 v16, v[2:3]
; %bb.379:
	s_or_b64 exec, exec, s[14:15]
	s_waitcnt lgkmcnt(0)
	s_barrier
	s_and_saveexec_b64 s[14:15], s[60:61]
	s_cbranch_execz .LBB55_381
; %bb.380:
	ds_read_b64 v[24:25], v15 offset:12480
	ds_read_b64 v[26:27], v16
	s_waitcnt lgkmcnt(0)
	v_mul_f32_e32 v28, v27, v25
	v_mul_f32_e32 v25, v26, v25
	v_fma_f32 v26, v26, v24, -v28
	v_fmac_f32_e32 v25, v27, v24
	v_add_f32_e32 v2, v2, v26
	v_add_f32_e32 v3, v3, v25
.LBB55_381:
	s_or_b64 exec, exec, s[14:15]
	s_barrier
	s_and_saveexec_b64 s[14:15], s[62:63]
; %bb.382:
	ds_write_b64 v16, v[2:3]
; %bb.383:
	s_or_b64 exec, exec, s[14:15]
	s_waitcnt lgkmcnt(0)
	s_barrier
	s_and_saveexec_b64 s[14:15], s[64:65]
	s_cbranch_execz .LBB55_385
; %bb.384:
	ds_read_b64 v[24:25], v15 offset:12992
	ds_read_b64 v[26:27], v16
	s_waitcnt lgkmcnt(0)
	v_mul_f32_e32 v28, v27, v25
	v_mul_f32_e32 v25, v26, v25
	v_fma_f32 v26, v26, v24, -v28
	v_fmac_f32_e32 v25, v27, v24
	v_add_f32_e32 v2, v2, v26
	v_add_f32_e32 v3, v3, v25
.LBB55_385:
	s_or_b64 exec, exec, s[14:15]
	s_barrier
	s_and_saveexec_b64 s[14:15], s[66:67]
; %bb.386:
	ds_write_b64 v16, v[2:3]
; %bb.387:
	s_or_b64 exec, exec, s[14:15]
	s_waitcnt lgkmcnt(0)
	s_barrier
	s_and_saveexec_b64 s[14:15], s[68:69]
	s_cbranch_execz .LBB55_389
; %bb.388:
	ds_read_b64 v[24:25], v15 offset:13504
	ds_read_b64 v[26:27], v16
	s_waitcnt lgkmcnt(0)
	v_mul_f32_e32 v28, v27, v25
	v_mul_f32_e32 v25, v26, v25
	v_fma_f32 v26, v26, v24, -v28
	v_fmac_f32_e32 v25, v27, v24
	v_add_f32_e32 v2, v2, v26
	v_add_f32_e32 v3, v3, v25
.LBB55_389:
	s_or_b64 exec, exec, s[14:15]
	s_barrier
	s_and_saveexec_b64 s[14:15], s[70:71]
; %bb.390:
	ds_write_b64 v16, v[2:3]
; %bb.391:
	s_or_b64 exec, exec, s[14:15]
	s_waitcnt lgkmcnt(0)
	s_barrier
	s_and_saveexec_b64 s[14:15], s[72:73]
	s_cbranch_execz .LBB55_393
; %bb.392:
	ds_read_b64 v[24:25], v15 offset:14016
	ds_read_b64 v[26:27], v16
	s_waitcnt lgkmcnt(0)
	v_mul_f32_e32 v28, v27, v25
	v_mul_f32_e32 v25, v26, v25
	v_fma_f32 v26, v26, v24, -v28
	v_fmac_f32_e32 v25, v27, v24
	v_add_f32_e32 v2, v2, v26
	v_add_f32_e32 v3, v3, v25
.LBB55_393:
	s_or_b64 exec, exec, s[14:15]
	s_barrier
	s_and_saveexec_b64 s[14:15], s[74:75]
; %bb.394:
	ds_write_b64 v16, v[2:3]
; %bb.395:
	s_or_b64 exec, exec, s[14:15]
	s_waitcnt lgkmcnt(0)
	s_barrier
	s_and_saveexec_b64 s[14:15], s[76:77]
	s_cbranch_execz .LBB55_397
; %bb.396:
	ds_read_b64 v[24:25], v15 offset:14528
	ds_read_b64 v[26:27], v16
	s_waitcnt lgkmcnt(0)
	v_mul_f32_e32 v28, v27, v25
	v_mul_f32_e32 v25, v26, v25
	v_fma_f32 v26, v26, v24, -v28
	v_fmac_f32_e32 v25, v27, v24
	v_add_f32_e32 v2, v2, v26
	v_add_f32_e32 v3, v3, v25
.LBB55_397:
	s_or_b64 exec, exec, s[14:15]
	s_barrier
	s_and_saveexec_b64 s[14:15], s[78:79]
; %bb.398:
	ds_write_b64 v16, v[2:3]
; %bb.399:
	s_or_b64 exec, exec, s[14:15]
	s_waitcnt lgkmcnt(0)
	s_barrier
	s_and_saveexec_b64 s[14:15], s[80:81]
	s_cbranch_execz .LBB55_401
; %bb.400:
	ds_read_b64 v[24:25], v15 offset:15040
	ds_read_b64 v[26:27], v16
	s_waitcnt lgkmcnt(0)
	v_mul_f32_e32 v28, v27, v25
	v_mul_f32_e32 v25, v26, v25
	v_fma_f32 v26, v26, v24, -v28
	v_fmac_f32_e32 v25, v27, v24
	v_add_f32_e32 v2, v2, v26
	v_add_f32_e32 v3, v3, v25
.LBB55_401:
	s_or_b64 exec, exec, s[14:15]
	s_barrier
	s_and_saveexec_b64 s[14:15], s[82:83]
; %bb.402:
	ds_write_b64 v16, v[2:3]
; %bb.403:
	s_or_b64 exec, exec, s[14:15]
	s_waitcnt lgkmcnt(0)
	s_barrier
	s_and_saveexec_b64 s[14:15], s[56:57]
	s_cbranch_execz .LBB55_405
; %bb.404:
	v_mov_b32_e32 v24, 0
	ds_read_b64 v[24:25], v24 offset:15608
	ds_read_b64 v[26:27], v16
	s_waitcnt lgkmcnt(0)
	v_mul_f32_e32 v28, v27, v25
	v_mul_f32_e32 v25, v26, v25
	v_fma_f32 v26, v26, v24, -v28
	v_fmac_f32_e32 v25, v27, v24
	v_add_f32_e32 v2, v2, v26
	v_add_f32_e32 v3, v3, v25
.LBB55_405:
	s_or_b64 exec, exec, s[14:15]
	s_barrier
	s_and_saveexec_b64 s[14:15], s[56:57]
; %bb.406:
	ds_write_b64 v16, v[2:3]
; %bb.407:
	s_or_b64 exec, exec, s[14:15]
	s_waitcnt lgkmcnt(0)
	s_barrier
	s_barrier
	s_and_saveexec_b64 s[14:15], s[10:11]
; %bb.408:
	v_xor_b32_e32 v3, 0x80000000, v3
	v_xor_b32_e32 v2, 0x80000000, v2
	ds_write_b64 v14, v[2:3] offset:8384
; %bb.409:
	s_or_b64 exec, exec, s[14:15]
	s_waitcnt lgkmcnt(0)
	s_barrier
	s_barrier
	s_and_saveexec_b64 s[14:15], vcc
	s_cbranch_execz .LBB55_411
; %bb.410:
	s_mov_b64 s[16:17], 0x3f800000
	v_mov_b32_e32 v2, s16
	v_mov_b32_e32 v3, s17
	s_movk_i32 s16, 0x3000
	v_add_u32_e64 v24, s16, 0
	ds_write2_b64 v24, v[2:3], v[2:3] offset0:24 offset1:89
.LBB55_411:
	s_or_b64 exec, exec, s[14:15]
	v_mov_b32_e32 v3, 0
	v_mov_b32_e32 v2, 0
	s_waitcnt lgkmcnt(0)
	s_barrier
	s_and_saveexec_b64 s[16:17], s[6:7]
	s_cbranch_execz .LBB55_415
; %bb.412:
	v_mul_u32_u24_e32 v24, 0x208, v6
	ds_read_b64 v[2:3], v4 offset:12496
	ds_read_b64 v[24:25], v24 offset:12480
	v_cmp_gt_u32_e64 s[14:15], 2, v7
	s_waitcnt lgkmcnt(0)
	v_mul_f32_e32 v26, v25, v3
	v_mul_f32_e32 v3, v24, v3
	v_fma_f32 v24, v24, v2, -v26
	v_fmac_f32_e32 v3, v25, v2
	v_add_f32_e32 v2, 0, v24
	v_add_f32_e32 v3, 0, v3
	s_and_saveexec_b64 s[20:21], s[14:15]
	s_cbranch_execz .LBB55_414
; %bb.413:
	v_lshlrev_b32_e32 v24, 3, v0
	v_mov_b32_e32 v26, 0
	ds_read_b64 v[24:25], v24 offset:13008
	ds_read_b64 v[26:27], v26 offset:12488
	s_waitcnt lgkmcnt(0)
	v_mul_f32_e32 v28, v27, v25
	v_mul_f32_e32 v25, v26, v25
	v_fma_f32 v26, v26, v24, -v28
	v_fmac_f32_e32 v25, v27, v24
	v_add_f32_e32 v2, v2, v26
	v_add_f32_e32 v3, v3, v25
.LBB55_414:
	s_or_b64 exec, exec, s[20:21]
	v_xor_b32_e32 v2, 0x80000000, v2
	v_xor_b32_e32 v3, 0x80000000, v3
.LBB55_415:
	s_or_b64 exec, exec, s[16:17]
	s_and_saveexec_b64 s[14:15], s[34:35]
; %bb.416:
	ds_write_b64 v5, v[2:3]
; %bb.417:
	s_or_b64 exec, exec, s[14:15]
	s_waitcnt lgkmcnt(0)
	s_barrier
	s_and_saveexec_b64 s[14:15], s[30:31]
	s_cbranch_execz .LBB55_419
; %bb.418:
	v_mov_b32_e32 v24, 0
	ds_read_b64 v[24:25], v24 offset:13528
	ds_read_b64 v[26:27], v5
	s_waitcnt lgkmcnt(0)
	v_mul_f32_e32 v28, v27, v25
	v_mul_f32_e32 v25, v26, v25
	v_fma_f32 v26, v26, v24, -v28
	v_fmac_f32_e32 v25, v27, v24
	v_add_f32_e32 v2, v2, v26
	v_add_f32_e32 v3, v3, v25
.LBB55_419:
	s_or_b64 exec, exec, s[14:15]
	s_barrier
	s_and_saveexec_b64 s[14:15], s[30:31]
; %bb.420:
	ds_write_b64 v5, v[2:3]
; %bb.421:
	s_or_b64 exec, exec, s[14:15]
	s_waitcnt lgkmcnt(0)
	s_barrier
	s_barrier
	s_and_saveexec_b64 s[14:15], s[6:7]
; %bb.422:
	v_xor_b32_e32 v3, 0x80000000, v3
	v_xor_b32_e32 v2, 0x80000000, v2
	ds_write_b64 v4, v[2:3] offset:12496
; %bb.423:
	s_or_b64 exec, exec, s[14:15]
	s_waitcnt lgkmcnt(0)
	s_barrier
	s_barrier
	s_and_saveexec_b64 s[14:15], vcc
	s_cbranch_execz .LBB55_425
; %bb.424:
	s_mov_b64 s[16:17], 0x3f800000
	v_mov_b32_e32 v2, s16
	v_mov_b32_e32 v3, s17
	s_movk_i32 s16, 0x3000
	v_add_u32_e64 v24, s16, 0
	ds_write2_b64 v24, v[2:3], v[2:3] offset0:154 offset1:219
.LBB55_425:
	s_or_b64 exec, exec, s[14:15]
	v_mov_b32_e32 v3, 0
	v_mov_b32_e32 v2, 0
	s_waitcnt lgkmcnt(0)
	s_barrier
	s_and_saveexec_b64 s[16:17], s[18:19]
	s_cbranch_execz .LBB55_431
; %bb.426:
	v_mul_u32_u24_e32 v24, 0x208, v13
	ds_read_b64 v[2:3], v9 offset:12512
	ds_read_b64 v[25:26], v24 offset:12480
	v_cmp_gt_u32_e64 s[14:15], 12, v7
	s_waitcnt lgkmcnt(0)
	v_mul_f32_e32 v27, v26, v3
	v_mul_f32_e32 v3, v25, v3
	v_fma_f32 v25, v25, v2, -v27
	v_fmac_f32_e32 v3, v26, v2
	v_add_f32_e32 v2, 0, v25
	v_add_f32_e32 v3, 0, v3
	s_and_saveexec_b64 s[20:21], s[14:15]
	s_cbranch_execnz .LBB55_1012
; %bb.427:
	s_or_b64 exec, exec, s[20:21]
	v_cmp_gt_u32_e64 s[14:15], 8, v7
	s_and_saveexec_b64 s[20:21], s[14:15]
	s_cbranch_execnz .LBB55_1013
.LBB55_428:
	s_or_b64 exec, exec, s[20:21]
	v_cmp_gt_u32_e64 s[14:15], 4, v7
	s_and_saveexec_b64 s[20:21], s[14:15]
	s_cbranch_execz .LBB55_430
.LBB55_429:
	v_lshlrev_b32_e32 v24, 3, v0
	v_mov_b32_e32 v26, 0
	ds_read_b64 v[24:25], v24 offset:14048
	ds_read_b64 v[26:27], v26 offset:12504
	s_waitcnt lgkmcnt(0)
	v_mul_f32_e32 v28, v27, v25
	v_mul_f32_e32 v25, v26, v25
	v_fma_f32 v26, v26, v24, -v28
	v_fmac_f32_e32 v25, v27, v24
	v_add_f32_e32 v2, v2, v26
	v_add_f32_e32 v3, v3, v25
.LBB55_430:
	s_or_b64 exec, exec, s[20:21]
	v_xor_b32_e32 v2, 0x80000000, v2
	v_xor_b32_e32 v3, 0x80000000, v3
.LBB55_431:
	s_or_b64 exec, exec, s[16:17]
	s_and_saveexec_b64 s[14:15], s[38:39]
; %bb.432:
	ds_write_b64 v11, v[2:3]
; %bb.433:
	s_or_b64 exec, exec, s[14:15]
	s_waitcnt lgkmcnt(0)
	s_barrier
	s_and_saveexec_b64 s[14:15], s[42:43]
	s_cbranch_execz .LBB55_435
; %bb.434:
	ds_read_b64 v[24:25], v10 offset:14560
	ds_read_b64 v[26:27], v11
	s_waitcnt lgkmcnt(0)
	v_mul_f32_e32 v28, v27, v25
	v_mul_f32_e32 v25, v26, v25
	v_fma_f32 v26, v26, v24, -v28
	v_fmac_f32_e32 v25, v27, v24
	v_add_f32_e32 v2, v2, v26
	v_add_f32_e32 v3, v3, v25
.LBB55_435:
	s_or_b64 exec, exec, s[14:15]
	s_barrier
	s_and_saveexec_b64 s[14:15], s[44:45]
; %bb.436:
	ds_write_b64 v11, v[2:3]
; %bb.437:
	s_or_b64 exec, exec, s[14:15]
	s_waitcnt lgkmcnt(0)
	s_barrier
	s_and_saveexec_b64 s[14:15], s[52:53]
	s_cbranch_execz .LBB55_439
; %bb.438:
	ds_read_b64 v[24:25], v10 offset:15072
	ds_read_b64 v[26:27], v11
	s_waitcnt lgkmcnt(0)
	v_mul_f32_e32 v28, v27, v25
	v_mul_f32_e32 v25, v26, v25
	v_fma_f32 v26, v26, v24, -v28
	v_fmac_f32_e32 v25, v27, v24
	v_add_f32_e32 v2, v2, v26
	v_add_f32_e32 v3, v3, v25
.LBB55_439:
	s_or_b64 exec, exec, s[14:15]
	s_barrier
	s_and_saveexec_b64 s[14:15], s[54:55]
; %bb.440:
	ds_write_b64 v11, v[2:3]
; %bb.441:
	s_or_b64 exec, exec, s[14:15]
	s_waitcnt lgkmcnt(0)
	s_barrier
	s_and_saveexec_b64 s[14:15], s[36:37]
	s_cbranch_execz .LBB55_443
; %bb.442:
	v_mov_b32_e32 v24, 0
	ds_read_b64 v[24:25], v24 offset:15608
	ds_read_b64 v[26:27], v11
	s_waitcnt lgkmcnt(0)
	v_mul_f32_e32 v28, v27, v25
	v_mul_f32_e32 v25, v26, v25
	v_fma_f32 v26, v26, v24, -v28
	v_fmac_f32_e32 v25, v27, v24
	v_add_f32_e32 v2, v2, v26
	v_add_f32_e32 v3, v3, v25
.LBB55_443:
	s_or_b64 exec, exec, s[14:15]
	s_barrier
	s_and_saveexec_b64 s[14:15], s[36:37]
; %bb.444:
	ds_write_b64 v11, v[2:3]
; %bb.445:
	s_or_b64 exec, exec, s[14:15]
	s_waitcnt lgkmcnt(0)
	s_barrier
	s_barrier
	s_and_saveexec_b64 s[14:15], s[18:19]
; %bb.446:
	v_xor_b32_e32 v2, 0x80000000, v2
	v_xor_b32_e32 v3, 0x80000000, v3
	ds_write_b64 v9, v[2:3] offset:12512
; %bb.447:
	s_or_b64 exec, exec, s[14:15]
	s_waitcnt lgkmcnt(0)
	s_barrier
	s_barrier
	s_and_saveexec_b64 s[14:15], vcc
	s_cbranch_execz .LBB55_449
; %bb.448:
	s_mov_b64 s[16:17], 0x3f800000
	v_mov_b32_e32 v2, s16
	v_mov_b32_e32 v3, s17
	s_movk_i32 s16, 0x3800
	v_add_u32_e64 v24, s16, 0
	ds_write2_b64 v24, v[2:3], v[2:3] offset0:28 offset1:93
.LBB55_449:
	s_or_b64 exec, exec, s[14:15]
	v_mov_b32_e32 v3, 0
	v_mov_b32_e32 v2, 0
	s_waitcnt lgkmcnt(0)
	s_barrier
	s_and_saveexec_b64 s[16:17], s[6:7]
	s_cbranch_execz .LBB55_453
; %bb.450:
	v_mul_u32_u24_e32 v24, 0x208, v6
	ds_read_b64 v[2:3], v4 offset:14576
	ds_read_b64 v[24:25], v24 offset:14560
	v_cmp_gt_u32_e64 s[14:15], 2, v7
	s_waitcnt lgkmcnt(0)
	v_mul_f32_e32 v26, v25, v3
	v_mul_f32_e32 v3, v24, v3
	v_fma_f32 v24, v24, v2, -v26
	v_fmac_f32_e32 v3, v25, v2
	v_add_f32_e32 v2, 0, v24
	v_add_f32_e32 v3, 0, v3
	s_and_saveexec_b64 s[20:21], s[14:15]
	s_cbranch_execz .LBB55_452
; %bb.451:
	v_lshlrev_b32_e32 v24, 3, v0
	v_mov_b32_e32 v26, 0
	ds_read_b64 v[24:25], v24 offset:15088
	ds_read_b64 v[26:27], v26 offset:14568
	s_waitcnt lgkmcnt(0)
	v_mul_f32_e32 v28, v27, v25
	v_mul_f32_e32 v25, v26, v25
	v_fma_f32 v26, v26, v24, -v28
	v_fmac_f32_e32 v25, v27, v24
	v_add_f32_e32 v2, v2, v26
	v_add_f32_e32 v3, v3, v25
.LBB55_452:
	s_or_b64 exec, exec, s[20:21]
	v_xor_b32_e32 v2, 0x80000000, v2
	v_xor_b32_e32 v3, 0x80000000, v3
.LBB55_453:
	s_or_b64 exec, exec, s[16:17]
	s_and_saveexec_b64 s[14:15], s[34:35]
; %bb.454:
	ds_write_b64 v5, v[2:3]
; %bb.455:
	s_or_b64 exec, exec, s[14:15]
	s_waitcnt lgkmcnt(0)
	s_barrier
	s_and_saveexec_b64 s[14:15], s[30:31]
	s_cbranch_execz .LBB55_457
; %bb.456:
	v_mov_b32_e32 v24, 0
	ds_read_b64 v[24:25], v24 offset:15608
	ds_read_b64 v[26:27], v5
	s_waitcnt lgkmcnt(0)
	v_mul_f32_e32 v28, v27, v25
	v_mul_f32_e32 v25, v26, v25
	v_fma_f32 v26, v26, v24, -v28
	v_fmac_f32_e32 v25, v27, v24
	v_add_f32_e32 v2, v2, v26
	v_add_f32_e32 v3, v3, v25
.LBB55_457:
	s_or_b64 exec, exec, s[14:15]
	s_barrier
	s_and_saveexec_b64 s[14:15], s[30:31]
; %bb.458:
	ds_write_b64 v5, v[2:3]
; %bb.459:
	s_or_b64 exec, exec, s[14:15]
	s_waitcnt lgkmcnt(0)
	s_barrier
	s_barrier
	s_and_saveexec_b64 s[14:15], s[6:7]
; %bb.460:
	v_xor_b32_e32 v3, 0x80000000, v3
	v_xor_b32_e32 v2, 0x80000000, v2
	ds_write_b64 v4, v[2:3] offset:14576
; %bb.461:
	s_or_b64 exec, exec, s[14:15]
	s_waitcnt lgkmcnt(0)
	s_barrier
	s_barrier
	s_and_saveexec_b64 s[14:15], vcc
	s_cbranch_execz .LBB55_463
; %bb.462:
	s_mov_b64 s[16:17], 0x3f800000
	v_mov_b32_e32 v2, s16
	v_mov_b32_e32 v3, s17
	s_movk_i32 s16, 0x3800
	v_add_u32_e64 v24, s16, 0
	ds_write2_b64 v24, v[2:3], v[2:3] offset0:158 offset1:223
.LBB55_463:
	s_or_b64 exec, exec, s[14:15]
	s_movk_i32 s14, 0x3ff
	v_lshrrev_b32_e32 v26, 5, v7
	v_cmp_lt_u32_e64 s[16:17], s14, v7
	s_movk_i32 s14, 0x400
	v_mov_b32_e32 v3, 0
	v_and_b32_e32 v24, 31, v0
	v_cmp_gt_u32_e64 s[14:15], s14, v7
	v_lshlrev_b32_e32 v25, 9, v26
	v_mov_b32_e32 v2, v3
	s_waitcnt lgkmcnt(0)
	s_barrier
	s_and_saveexec_b64 s[84:85], s[14:15]
	s_cbranch_execz .LBB55_525
; %bb.464:
	v_lshlrev_b32_e32 v27, 3, v24
	v_add_u32_e32 v29, v27, v25
	v_mul_u32_u24_e32 v28, 0x208, v26
	ds_read_b64 v[2:3], v29 offset:256
	ds_read_b64 v[30:31], v28
	s_movk_i32 s20, 0x3e0
	v_cmp_gt_u32_e64 s[20:21], s20, v7
	s_waitcnt lgkmcnt(0)
	v_mul_f32_e32 v32, v31, v3
	v_mul_f32_e32 v3, v30, v3
	v_fma_f32 v30, v30, v2, -v32
	v_fmac_f32_e32 v3, v31, v2
	v_add_f32_e32 v2, 0, v30
	v_add_f32_e32 v3, 0, v3
	s_and_saveexec_b64 s[98:99], s[20:21]
	s_cbranch_execz .LBB55_466
; %bb.465:
	ds_read_b64 v[30:31], v29 offset:768
	ds_read_b64 v[32:33], v28 offset:8
	s_waitcnt lgkmcnt(0)
	v_mul_f32_e32 v34, v33, v31
	v_mul_f32_e32 v31, v32, v31
	v_fma_f32 v32, v32, v30, -v34
	v_fmac_f32_e32 v31, v33, v30
	v_add_f32_e32 v2, v2, v32
	v_add_f32_e32 v3, v3, v31
.LBB55_466:
	s_or_b64 exec, exec, s[98:99]
	s_movk_i32 s20, 0x3c0
	v_cmp_gt_u32_e64 s[20:21], s20, v7
	s_and_saveexec_b64 s[98:99], s[20:21]
	s_cbranch_execz .LBB55_468
; %bb.467:
	ds_read_b64 v[30:31], v29 offset:1280
	ds_read_b64 v[32:33], v28 offset:16
	s_waitcnt lgkmcnt(0)
	v_mul_f32_e32 v34, v33, v31
	v_mul_f32_e32 v31, v32, v31
	v_fma_f32 v32, v32, v30, -v34
	v_fmac_f32_e32 v31, v33, v30
	v_add_f32_e32 v2, v2, v32
	v_add_f32_e32 v3, v3, v31
.LBB55_468:
	s_or_b64 exec, exec, s[98:99]
	s_movk_i32 s20, 0x3a0
	v_cmp_gt_u32_e64 s[20:21], s20, v7
	;; [unrolled: 16-line block ×28, first 2 shown]
	s_and_saveexec_b64 s[98:99], s[20:21]
	s_cbranch_execnz .LBB55_1014
; %bb.521:
	s_or_b64 exec, exec, s[98:99]
	v_cmp_gt_u32_e64 s[20:21], 64, v7
	s_and_saveexec_b64 s[98:99], s[20:21]
	s_cbranch_execnz .LBB55_1015
.LBB55_522:
	s_or_b64 exec, exec, s[98:99]
	v_cmp_gt_u32_e64 s[20:21], 32, v7
	s_and_saveexec_b64 s[98:99], s[20:21]
	s_cbranch_execz .LBB55_524
.LBB55_523:
	ds_read_b64 v[29:30], v27 offset:16128
	ds_read_b64 v[27:28], v28 offset:248
	s_waitcnt lgkmcnt(0)
	v_mul_f32_e32 v31, v28, v30
	v_mul_f32_e32 v30, v27, v30
	v_fma_f32 v27, v27, v29, -v31
	v_fmac_f32_e32 v30, v28, v29
	v_add_f32_e32 v2, v2, v27
	v_add_f32_e32 v3, v3, v30
.LBB55_524:
	s_or_b64 exec, exec, s[98:99]
	v_xor_b32_e32 v2, 0x80000000, v2
	v_xor_b32_e32 v3, 0x80000000, v3
.LBB55_525:
	s_or_b64 exec, exec, s[84:85]
	v_mov_b32_e32 v27, 0x8000
	v_lshl_or_b32 v26, v26, 3, v27
	v_mov_b32_e32 v27, 0x4100
	v_lshl_or_b32 v27, v24, 3, v27
	s_mov_b32 s84, 0
	s_xor_b64 s[20:21], s[16:17], -1
	v_mov_b32_e32 v28, v24
	s_branch .LBB55_527
.LBB55_526:                             ;   in Loop: Header=BB55_527 Depth=1
	s_or_b64 exec, exec, s[16:17]
	s_add_i32 s84, s84, 2
	v_add_u32_e32 v27, 0x400, v27
	s_cmp_eq_u32 s84, 32
	v_add_u32_e32 v28, -2, v28
	s_barrier
	s_cbranch_scc1 .LBB55_535
.LBB55_527:                             ; =>This Inner Loop Header: Depth=1
	v_cmp_eq_u32_e64 s[16:17], 0, v28
	s_and_b64 s[98:99], s[20:21], s[16:17]
	s_and_saveexec_b64 s[16:17], s[98:99]
; %bb.528:                              ;   in Loop: Header=BB55_527 Depth=1
	ds_write_b64 v26, v[2:3]
; %bb.529:                              ;   in Loop: Header=BB55_527 Depth=1
	s_or_b64 exec, exec, s[16:17]
	v_cmp_lt_u32_e64 s[16:17], s84, v24
	s_and_b64 s[98:99], s[20:21], s[16:17]
	s_waitcnt lgkmcnt(0)
	s_barrier
	s_and_saveexec_b64 s[16:17], s[98:99]
	s_cbranch_execz .LBB55_531
; %bb.530:                              ;   in Loop: Header=BB55_527 Depth=1
	ds_read_b64 v[29:30], v27
	ds_read_b64 v[31:32], v26
	s_waitcnt lgkmcnt(0)
	v_mul_f32_e32 v33, v32, v30
	v_mul_f32_e32 v30, v31, v30
	v_fma_f32 v31, v31, v29, -v33
	v_fmac_f32_e32 v30, v32, v29
	v_add_f32_e32 v2, v2, v31
	v_add_f32_e32 v3, v3, v30
.LBB55_531:                             ;   in Loop: Header=BB55_527 Depth=1
	s_or_b64 exec, exec, s[16:17]
	s_or_b32 s85, s84, 1
	v_cmp_eq_u32_e64 s[16:17], s85, v24
	s_and_b64 s[98:99], s[20:21], s[16:17]
	s_barrier
	s_and_saveexec_b64 s[16:17], s[98:99]
; %bb.532:                              ;   in Loop: Header=BB55_527 Depth=1
	ds_write_b64 v26, v[2:3]
; %bb.533:                              ;   in Loop: Header=BB55_527 Depth=1
	s_or_b64 exec, exec, s[16:17]
	v_cmp_lt_u32_e64 s[16:17], s85, v24
	s_and_b64 s[98:99], s[20:21], s[16:17]
	s_waitcnt lgkmcnt(0)
	s_barrier
	s_and_saveexec_b64 s[16:17], s[98:99]
	s_cbranch_execz .LBB55_526
; %bb.534:                              ;   in Loop: Header=BB55_527 Depth=1
	ds_read_b64 v[29:30], v27 offset:512
	ds_read_b64 v[31:32], v26
	s_waitcnt lgkmcnt(0)
	v_mul_f32_e32 v33, v32, v30
	v_mul_f32_e32 v30, v31, v30
	v_fma_f32 v31, v31, v29, -v33
	v_fmac_f32_e32 v30, v32, v29
	v_add_f32_e32 v2, v2, v31
	v_add_f32_e32 v3, v3, v30
	s_branch .LBB55_526
.LBB55_535:
	s_and_saveexec_b64 s[16:17], s[14:15]
; %bb.536:
	v_lshl_add_u32 v24, v24, 3, v25
	v_xor_b32_e32 v3, 0x80000000, v3
	v_xor_b32_e32 v2, 0x80000000, v2
	ds_write_b64 v24, v[2:3] offset:256
; %bb.537:
	s_or_b64 exec, exec, s[16:17]
	s_waitcnt lgkmcnt(0)
	s_barrier
	s_barrier
	s_and_saveexec_b64 s[14:15], vcc
	s_cbranch_execz .LBB55_539
; %bb.538:
	s_mov_b64 s[16:17], 0x3f800000
	v_mov_b32_e32 v2, s16
	v_mov_b32_e32 v3, s17
	s_movk_i32 s16, 0x4000
	v_add_u32_e64 v24, s16, 0
	ds_write2_b64 v24, v[2:3], v[2:3] offset0:32 offset1:97
.LBB55_539:
	s_or_b64 exec, exec, s[14:15]
	v_mov_b32_e32 v3, 0
	v_mov_b32_e32 v2, 0
	s_waitcnt lgkmcnt(0)
	s_barrier
	s_and_saveexec_b64 s[16:17], s[6:7]
	s_cbranch_execz .LBB55_543
; %bb.540:
	v_mul_u32_u24_e32 v24, 0x208, v6
	ds_read_b64 v[2:3], v4 offset:16656
	ds_read_b64 v[24:25], v24 offset:16640
	v_cmp_gt_u32_e64 s[14:15], 2, v7
	s_waitcnt lgkmcnt(0)
	v_mul_f32_e32 v26, v25, v3
	v_mul_f32_e32 v3, v24, v3
	v_fma_f32 v24, v24, v2, -v26
	v_fmac_f32_e32 v3, v25, v2
	v_add_f32_e32 v2, 0, v24
	v_add_f32_e32 v3, 0, v3
	s_and_saveexec_b64 s[20:21], s[14:15]
	s_cbranch_execz .LBB55_542
; %bb.541:
	v_lshlrev_b32_e32 v24, 3, v0
	v_mov_b32_e32 v26, 0
	ds_read_b64 v[24:25], v24 offset:17168
	ds_read_b64 v[26:27], v26 offset:16648
	s_waitcnt lgkmcnt(0)
	v_mul_f32_e32 v28, v27, v25
	v_mul_f32_e32 v25, v26, v25
	v_fma_f32 v26, v26, v24, -v28
	v_fmac_f32_e32 v25, v27, v24
	v_add_f32_e32 v2, v2, v26
	v_add_f32_e32 v3, v3, v25
.LBB55_542:
	s_or_b64 exec, exec, s[20:21]
	v_xor_b32_e32 v2, 0x80000000, v2
	v_xor_b32_e32 v3, 0x80000000, v3
.LBB55_543:
	s_or_b64 exec, exec, s[16:17]
	s_and_saveexec_b64 s[14:15], s[34:35]
; %bb.544:
	ds_write_b64 v5, v[2:3]
; %bb.545:
	s_or_b64 exec, exec, s[14:15]
	s_waitcnt lgkmcnt(0)
	s_barrier
	s_and_saveexec_b64 s[14:15], s[30:31]
	s_cbranch_execz .LBB55_547
; %bb.546:
	v_mov_b32_e32 v24, 0
	ds_read_b64 v[24:25], v24 offset:17688
	ds_read_b64 v[26:27], v5
	s_waitcnt lgkmcnt(0)
	v_mul_f32_e32 v28, v27, v25
	v_mul_f32_e32 v25, v26, v25
	v_fma_f32 v26, v26, v24, -v28
	v_fmac_f32_e32 v25, v27, v24
	v_add_f32_e32 v2, v2, v26
	v_add_f32_e32 v3, v3, v25
.LBB55_547:
	s_or_b64 exec, exec, s[14:15]
	s_barrier
	s_and_saveexec_b64 s[14:15], s[30:31]
; %bb.548:
	ds_write_b64 v5, v[2:3]
; %bb.549:
	s_or_b64 exec, exec, s[14:15]
	s_waitcnt lgkmcnt(0)
	s_barrier
	s_barrier
	s_and_saveexec_b64 s[14:15], s[6:7]
; %bb.550:
	v_xor_b32_e32 v3, 0x80000000, v3
	v_xor_b32_e32 v2, 0x80000000, v2
	ds_write_b64 v4, v[2:3] offset:16656
; %bb.551:
	s_or_b64 exec, exec, s[14:15]
	s_waitcnt lgkmcnt(0)
	s_barrier
	s_barrier
	s_and_saveexec_b64 s[14:15], vcc
	s_cbranch_execz .LBB55_553
; %bb.552:
	s_mov_b64 s[16:17], 0x3f800000
	v_mov_b32_e32 v2, s16
	v_mov_b32_e32 v3, s17
	s_movk_i32 s16, 0x4000
	v_add_u32_e64 v24, s16, 0
	ds_write2_b64 v24, v[2:3], v[2:3] offset0:162 offset1:227
.LBB55_553:
	s_or_b64 exec, exec, s[14:15]
	v_mov_b32_e32 v3, 0
	v_mov_b32_e32 v2, 0
	s_waitcnt lgkmcnt(0)
	s_barrier
	s_and_saveexec_b64 s[16:17], s[18:19]
	s_cbranch_execz .LBB55_559
; %bb.554:
	v_mul_u32_u24_e32 v24, 0x208, v13
	ds_read_b64 v[2:3], v9 offset:16672
	ds_read_b64 v[25:26], v24 offset:16640
	v_cmp_gt_u32_e64 s[14:15], 12, v7
	s_waitcnt lgkmcnt(0)
	v_mul_f32_e32 v27, v26, v3
	v_mul_f32_e32 v3, v25, v3
	v_fma_f32 v25, v25, v2, -v27
	v_fmac_f32_e32 v3, v26, v2
	v_add_f32_e32 v2, 0, v25
	v_add_f32_e32 v3, 0, v3
	s_and_saveexec_b64 s[20:21], s[14:15]
	s_cbranch_execnz .LBB55_1016
; %bb.555:
	s_or_b64 exec, exec, s[20:21]
	v_cmp_gt_u32_e64 s[14:15], 8, v7
	s_and_saveexec_b64 s[20:21], s[14:15]
	s_cbranch_execnz .LBB55_1017
.LBB55_556:
	s_or_b64 exec, exec, s[20:21]
	v_cmp_gt_u32_e64 s[14:15], 4, v7
	s_and_saveexec_b64 s[20:21], s[14:15]
	s_cbranch_execz .LBB55_558
.LBB55_557:
	v_lshlrev_b32_e32 v24, 3, v0
	v_mov_b32_e32 v26, 0
	ds_read_b64 v[24:25], v24 offset:18208
	ds_read_b64 v[26:27], v26 offset:16664
	s_waitcnt lgkmcnt(0)
	v_mul_f32_e32 v28, v27, v25
	v_mul_f32_e32 v25, v26, v25
	v_fma_f32 v26, v26, v24, -v28
	v_fmac_f32_e32 v25, v27, v24
	v_add_f32_e32 v2, v2, v26
	v_add_f32_e32 v3, v3, v25
.LBB55_558:
	s_or_b64 exec, exec, s[20:21]
	v_xor_b32_e32 v2, 0x80000000, v2
	v_xor_b32_e32 v3, 0x80000000, v3
.LBB55_559:
	s_or_b64 exec, exec, s[16:17]
	s_and_saveexec_b64 s[14:15], s[38:39]
; %bb.560:
	ds_write_b64 v11, v[2:3]
; %bb.561:
	s_or_b64 exec, exec, s[14:15]
	s_waitcnt lgkmcnt(0)
	s_barrier
	s_and_saveexec_b64 s[14:15], s[42:43]
	s_cbranch_execz .LBB55_563
; %bb.562:
	ds_read_b64 v[24:25], v10 offset:18720
	ds_read_b64 v[26:27], v11
	s_waitcnt lgkmcnt(0)
	v_mul_f32_e32 v28, v27, v25
	v_mul_f32_e32 v25, v26, v25
	v_fma_f32 v26, v26, v24, -v28
	v_fmac_f32_e32 v25, v27, v24
	v_add_f32_e32 v2, v2, v26
	v_add_f32_e32 v3, v3, v25
.LBB55_563:
	s_or_b64 exec, exec, s[14:15]
	s_barrier
	s_and_saveexec_b64 s[14:15], s[44:45]
; %bb.564:
	ds_write_b64 v11, v[2:3]
; %bb.565:
	s_or_b64 exec, exec, s[14:15]
	s_waitcnt lgkmcnt(0)
	s_barrier
	s_and_saveexec_b64 s[14:15], s[52:53]
	s_cbranch_execz .LBB55_567
; %bb.566:
	ds_read_b64 v[24:25], v10 offset:19232
	ds_read_b64 v[26:27], v11
	s_waitcnt lgkmcnt(0)
	v_mul_f32_e32 v28, v27, v25
	v_mul_f32_e32 v25, v26, v25
	v_fma_f32 v26, v26, v24, -v28
	v_fmac_f32_e32 v25, v27, v24
	v_add_f32_e32 v2, v2, v26
	v_add_f32_e32 v3, v3, v25
.LBB55_567:
	s_or_b64 exec, exec, s[14:15]
	s_barrier
	s_and_saveexec_b64 s[14:15], s[54:55]
; %bb.568:
	ds_write_b64 v11, v[2:3]
; %bb.569:
	s_or_b64 exec, exec, s[14:15]
	s_waitcnt lgkmcnt(0)
	s_barrier
	s_and_saveexec_b64 s[14:15], s[36:37]
	s_cbranch_execz .LBB55_571
; %bb.570:
	v_mov_b32_e32 v24, 0
	ds_read_b64 v[24:25], v24 offset:19768
	ds_read_b64 v[26:27], v11
	s_waitcnt lgkmcnt(0)
	v_mul_f32_e32 v28, v27, v25
	v_mul_f32_e32 v25, v26, v25
	v_fma_f32 v26, v26, v24, -v28
	v_fmac_f32_e32 v25, v27, v24
	v_add_f32_e32 v2, v2, v26
	v_add_f32_e32 v3, v3, v25
.LBB55_571:
	s_or_b64 exec, exec, s[14:15]
	s_barrier
	s_and_saveexec_b64 s[14:15], s[36:37]
; %bb.572:
	ds_write_b64 v11, v[2:3]
; %bb.573:
	s_or_b64 exec, exec, s[14:15]
	s_waitcnt lgkmcnt(0)
	s_barrier
	s_barrier
	s_and_saveexec_b64 s[14:15], s[18:19]
; %bb.574:
	v_xor_b32_e32 v2, 0x80000000, v2
	v_xor_b32_e32 v3, 0x80000000, v3
	ds_write_b64 v9, v[2:3] offset:16672
; %bb.575:
	s_or_b64 exec, exec, s[14:15]
	s_waitcnt lgkmcnt(0)
	s_barrier
	s_barrier
	s_and_saveexec_b64 s[14:15], vcc
	s_cbranch_execz .LBB55_577
; %bb.576:
	s_mov_b64 s[16:17], 0x3f800000
	v_mov_b32_e32 v2, s16
	v_mov_b32_e32 v3, s17
	s_movk_i32 s16, 0x4800
	v_add_u32_e64 v24, s16, 0
	ds_write2_b64 v24, v[2:3], v[2:3] offset0:36 offset1:101
.LBB55_577:
	s_or_b64 exec, exec, s[14:15]
	v_mov_b32_e32 v3, 0
	v_mov_b32_e32 v2, 0
	s_waitcnt lgkmcnt(0)
	s_barrier
	s_and_saveexec_b64 s[16:17], s[6:7]
	s_cbranch_execz .LBB55_581
; %bb.578:
	v_mul_u32_u24_e32 v24, 0x208, v6
	ds_read_b64 v[2:3], v4 offset:18736
	ds_read_b64 v[24:25], v24 offset:18720
	v_cmp_gt_u32_e64 s[14:15], 2, v7
	s_waitcnt lgkmcnt(0)
	v_mul_f32_e32 v26, v25, v3
	v_mul_f32_e32 v3, v24, v3
	v_fma_f32 v24, v24, v2, -v26
	v_fmac_f32_e32 v3, v25, v2
	v_add_f32_e32 v2, 0, v24
	v_add_f32_e32 v3, 0, v3
	s_and_saveexec_b64 s[20:21], s[14:15]
	s_cbranch_execz .LBB55_580
; %bb.579:
	v_lshlrev_b32_e32 v24, 3, v0
	v_mov_b32_e32 v26, 0
	ds_read_b64 v[24:25], v24 offset:19248
	ds_read_b64 v[26:27], v26 offset:18728
	s_waitcnt lgkmcnt(0)
	v_mul_f32_e32 v28, v27, v25
	v_mul_f32_e32 v25, v26, v25
	v_fma_f32 v26, v26, v24, -v28
	v_fmac_f32_e32 v25, v27, v24
	v_add_f32_e32 v2, v2, v26
	v_add_f32_e32 v3, v3, v25
.LBB55_580:
	s_or_b64 exec, exec, s[20:21]
	v_xor_b32_e32 v2, 0x80000000, v2
	v_xor_b32_e32 v3, 0x80000000, v3
.LBB55_581:
	s_or_b64 exec, exec, s[16:17]
	s_and_saveexec_b64 s[14:15], s[34:35]
; %bb.582:
	ds_write_b64 v5, v[2:3]
; %bb.583:
	s_or_b64 exec, exec, s[14:15]
	s_waitcnt lgkmcnt(0)
	s_barrier
	s_and_saveexec_b64 s[14:15], s[30:31]
	s_cbranch_execz .LBB55_585
; %bb.584:
	v_mov_b32_e32 v24, 0
	ds_read_b64 v[24:25], v24 offset:19768
	ds_read_b64 v[26:27], v5
	s_waitcnt lgkmcnt(0)
	v_mul_f32_e32 v28, v27, v25
	v_mul_f32_e32 v25, v26, v25
	v_fma_f32 v26, v26, v24, -v28
	v_fmac_f32_e32 v25, v27, v24
	v_add_f32_e32 v2, v2, v26
	v_add_f32_e32 v3, v3, v25
.LBB55_585:
	s_or_b64 exec, exec, s[14:15]
	s_barrier
	s_and_saveexec_b64 s[14:15], s[30:31]
; %bb.586:
	ds_write_b64 v5, v[2:3]
; %bb.587:
	s_or_b64 exec, exec, s[14:15]
	s_waitcnt lgkmcnt(0)
	s_barrier
	s_barrier
	s_and_saveexec_b64 s[14:15], s[6:7]
; %bb.588:
	v_xor_b32_e32 v3, 0x80000000, v3
	v_xor_b32_e32 v2, 0x80000000, v2
	ds_write_b64 v4, v[2:3] offset:18736
; %bb.589:
	s_or_b64 exec, exec, s[14:15]
	s_waitcnt lgkmcnt(0)
	s_barrier
	s_barrier
	s_and_saveexec_b64 s[14:15], vcc
	s_cbranch_execz .LBB55_591
; %bb.590:
	s_mov_b64 s[16:17], 0x3f800000
	v_mov_b32_e32 v2, s16
	v_mov_b32_e32 v3, s17
	s_movk_i32 s16, 0x4800
	v_add_u32_e64 v24, s16, 0
	ds_write2_b64 v24, v[2:3], v[2:3] offset0:166 offset1:231
.LBB55_591:
	s_or_b64 exec, exec, s[14:15]
	v_mov_b32_e32 v3, 0
	v_mov_b32_e32 v2, 0
	s_waitcnt lgkmcnt(0)
	s_barrier
	s_and_saveexec_b64 s[16:17], s[10:11]
	s_cbranch_execz .LBB55_601
; %bb.592:
	v_mul_u32_u24_e32 v24, 0x208, v18
	ds_read_b64 v[2:3], v14 offset:16704
	ds_read_b64 v[25:26], v24 offset:16640
	v_cmp_gt_u32_e64 s[14:15], 56, v7
	s_waitcnt lgkmcnt(0)
	v_mul_f32_e32 v27, v26, v3
	v_mul_f32_e32 v3, v25, v3
	v_fma_f32 v25, v25, v2, -v27
	v_fmac_f32_e32 v3, v26, v2
	v_add_f32_e32 v2, 0, v25
	v_add_f32_e32 v3, 0, v3
	s_and_saveexec_b64 s[20:21], s[14:15]
	s_cbranch_execnz .LBB55_1018
; %bb.593:
	s_or_b64 exec, exec, s[20:21]
	v_cmp_gt_u32_e64 s[14:15], 48, v7
	s_and_saveexec_b64 s[20:21], s[14:15]
	s_cbranch_execnz .LBB55_1019
.LBB55_594:
	s_or_b64 exec, exec, s[20:21]
	v_cmp_gt_u32_e64 s[14:15], 40, v7
	s_and_saveexec_b64 s[20:21], s[14:15]
	s_cbranch_execnz .LBB55_1020
.LBB55_595:
	s_or_b64 exec, exec, s[20:21]
	v_cmp_gt_u32_e64 s[14:15], 32, v7
	s_and_saveexec_b64 s[20:21], s[14:15]
	s_cbranch_execnz .LBB55_1021
.LBB55_596:
	s_or_b64 exec, exec, s[20:21]
	v_cmp_gt_u32_e64 s[14:15], 24, v7
	s_and_saveexec_b64 s[20:21], s[14:15]
	s_cbranch_execnz .LBB55_1022
.LBB55_597:
	s_or_b64 exec, exec, s[20:21]
	v_cmp_gt_u32_e64 s[14:15], 16, v7
	s_and_saveexec_b64 s[20:21], s[14:15]
	s_cbranch_execnz .LBB55_1023
.LBB55_598:
	s_or_b64 exec, exec, s[20:21]
	v_cmp_gt_u32_e64 s[14:15], 8, v7
	s_and_saveexec_b64 s[20:21], s[14:15]
	s_cbranch_execz .LBB55_600
.LBB55_599:
	v_lshlrev_b32_e32 v24, 3, v0
	v_mov_b32_e32 v26, 0
	ds_read_b64 v[24:25], v24 offset:20288
	ds_read_b64 v[26:27], v26 offset:16696
	s_waitcnt lgkmcnt(0)
	v_mul_f32_e32 v28, v27, v25
	v_mul_f32_e32 v25, v26, v25
	v_fma_f32 v26, v26, v24, -v28
	v_fmac_f32_e32 v25, v27, v24
	v_add_f32_e32 v2, v2, v26
	v_add_f32_e32 v3, v3, v25
.LBB55_600:
	s_or_b64 exec, exec, s[20:21]
	v_xor_b32_e32 v2, 0x80000000, v2
	v_xor_b32_e32 v3, 0x80000000, v3
.LBB55_601:
	s_or_b64 exec, exec, s[16:17]
	s_and_saveexec_b64 s[14:15], s[58:59]
; %bb.602:
	ds_write_b64 v16, v[2:3]
; %bb.603:
	s_or_b64 exec, exec, s[14:15]
	s_waitcnt lgkmcnt(0)
	s_barrier
	s_and_saveexec_b64 s[14:15], s[60:61]
	s_cbranch_execz .LBB55_605
; %bb.604:
	ds_read_b64 v[24:25], v15 offset:20800
	ds_read_b64 v[26:27], v16
	s_waitcnt lgkmcnt(0)
	v_mul_f32_e32 v28, v27, v25
	v_mul_f32_e32 v25, v26, v25
	v_fma_f32 v26, v26, v24, -v28
	v_fmac_f32_e32 v25, v27, v24
	v_add_f32_e32 v2, v2, v26
	v_add_f32_e32 v3, v3, v25
.LBB55_605:
	s_or_b64 exec, exec, s[14:15]
	s_barrier
	s_and_saveexec_b64 s[14:15], s[62:63]
; %bb.606:
	ds_write_b64 v16, v[2:3]
; %bb.607:
	s_or_b64 exec, exec, s[14:15]
	s_waitcnt lgkmcnt(0)
	s_barrier
	s_and_saveexec_b64 s[14:15], s[64:65]
	s_cbranch_execz .LBB55_609
; %bb.608:
	ds_read_b64 v[24:25], v15 offset:21312
	ds_read_b64 v[26:27], v16
	s_waitcnt lgkmcnt(0)
	v_mul_f32_e32 v28, v27, v25
	v_mul_f32_e32 v25, v26, v25
	v_fma_f32 v26, v26, v24, -v28
	v_fmac_f32_e32 v25, v27, v24
	v_add_f32_e32 v2, v2, v26
	v_add_f32_e32 v3, v3, v25
.LBB55_609:
	s_or_b64 exec, exec, s[14:15]
	s_barrier
	;; [unrolled: 22-line block ×6, first 2 shown]
	s_and_saveexec_b64 s[14:15], s[82:83]
; %bb.626:
	ds_write_b64 v16, v[2:3]
; %bb.627:
	s_or_b64 exec, exec, s[14:15]
	s_waitcnt lgkmcnt(0)
	s_barrier
	s_and_saveexec_b64 s[14:15], s[56:57]
	s_cbranch_execz .LBB55_629
; %bb.628:
	v_mov_b32_e32 v24, 0
	ds_read_b64 v[24:25], v24 offset:23928
	ds_read_b64 v[26:27], v16
	s_waitcnt lgkmcnt(0)
	v_mul_f32_e32 v28, v27, v25
	v_mul_f32_e32 v25, v26, v25
	v_fma_f32 v26, v26, v24, -v28
	v_fmac_f32_e32 v25, v27, v24
	v_add_f32_e32 v2, v2, v26
	v_add_f32_e32 v3, v3, v25
.LBB55_629:
	s_or_b64 exec, exec, s[14:15]
	s_barrier
	s_and_saveexec_b64 s[14:15], s[56:57]
; %bb.630:
	ds_write_b64 v16, v[2:3]
; %bb.631:
	s_or_b64 exec, exec, s[14:15]
	s_waitcnt lgkmcnt(0)
	s_barrier
	s_barrier
	s_and_saveexec_b64 s[14:15], s[10:11]
; %bb.632:
	v_xor_b32_e32 v3, 0x80000000, v3
	v_xor_b32_e32 v2, 0x80000000, v2
	ds_write_b64 v14, v[2:3] offset:16704
; %bb.633:
	s_or_b64 exec, exec, s[14:15]
	s_waitcnt lgkmcnt(0)
	s_barrier
	s_barrier
	s_and_saveexec_b64 s[14:15], vcc
	s_cbranch_execz .LBB55_635
; %bb.634:
	s_mov_b64 s[16:17], 0x3f800000
	v_mov_b32_e32 v2, s16
	v_mov_b32_e32 v3, s17
	s_movk_i32 s16, 0x5000
	v_add_u32_e64 v24, s16, 0
	ds_write2_b64 v24, v[2:3], v[2:3] offset0:40 offset1:105
.LBB55_635:
	s_or_b64 exec, exec, s[14:15]
	v_mov_b32_e32 v3, 0
	v_mov_b32_e32 v2, 0
	s_waitcnt lgkmcnt(0)
	s_barrier
	s_and_saveexec_b64 s[16:17], s[6:7]
	s_cbranch_execz .LBB55_639
; %bb.636:
	v_mul_u32_u24_e32 v24, 0x208, v6
	ds_read_b64 v[2:3], v4 offset:20816
	ds_read_b64 v[24:25], v24 offset:20800
	v_cmp_gt_u32_e64 s[14:15], 2, v7
	s_waitcnt lgkmcnt(0)
	v_mul_f32_e32 v26, v25, v3
	v_mul_f32_e32 v3, v24, v3
	v_fma_f32 v24, v24, v2, -v26
	v_fmac_f32_e32 v3, v25, v2
	v_add_f32_e32 v2, 0, v24
	v_add_f32_e32 v3, 0, v3
	s_and_saveexec_b64 s[20:21], s[14:15]
	s_cbranch_execz .LBB55_638
; %bb.637:
	v_lshlrev_b32_e32 v24, 3, v0
	v_mov_b32_e32 v26, 0
	ds_read_b64 v[24:25], v24 offset:21328
	ds_read_b64 v[26:27], v26 offset:20808
	s_waitcnt lgkmcnt(0)
	v_mul_f32_e32 v28, v27, v25
	v_mul_f32_e32 v25, v26, v25
	v_fma_f32 v26, v26, v24, -v28
	v_fmac_f32_e32 v25, v27, v24
	v_add_f32_e32 v2, v2, v26
	v_add_f32_e32 v3, v3, v25
.LBB55_638:
	s_or_b64 exec, exec, s[20:21]
	v_xor_b32_e32 v2, 0x80000000, v2
	v_xor_b32_e32 v3, 0x80000000, v3
.LBB55_639:
	s_or_b64 exec, exec, s[16:17]
	s_and_saveexec_b64 s[14:15], s[34:35]
; %bb.640:
	ds_write_b64 v5, v[2:3]
; %bb.641:
	s_or_b64 exec, exec, s[14:15]
	s_waitcnt lgkmcnt(0)
	s_barrier
	s_and_saveexec_b64 s[14:15], s[30:31]
	s_cbranch_execz .LBB55_643
; %bb.642:
	v_mov_b32_e32 v24, 0
	ds_read_b64 v[24:25], v24 offset:21848
	ds_read_b64 v[26:27], v5
	s_waitcnt lgkmcnt(0)
	v_mul_f32_e32 v28, v27, v25
	v_mul_f32_e32 v25, v26, v25
	v_fma_f32 v26, v26, v24, -v28
	v_fmac_f32_e32 v25, v27, v24
	v_add_f32_e32 v2, v2, v26
	v_add_f32_e32 v3, v3, v25
.LBB55_643:
	s_or_b64 exec, exec, s[14:15]
	s_barrier
	s_and_saveexec_b64 s[14:15], s[30:31]
; %bb.644:
	ds_write_b64 v5, v[2:3]
; %bb.645:
	s_or_b64 exec, exec, s[14:15]
	s_waitcnt lgkmcnt(0)
	s_barrier
	s_barrier
	s_and_saveexec_b64 s[14:15], s[6:7]
; %bb.646:
	v_xor_b32_e32 v3, 0x80000000, v3
	v_xor_b32_e32 v2, 0x80000000, v2
	ds_write_b64 v4, v[2:3] offset:20816
; %bb.647:
	s_or_b64 exec, exec, s[14:15]
	s_waitcnt lgkmcnt(0)
	s_barrier
	s_barrier
	s_and_saveexec_b64 s[14:15], vcc
	s_cbranch_execz .LBB55_649
; %bb.648:
	s_mov_b64 s[16:17], 0x3f800000
	v_mov_b32_e32 v2, s16
	v_mov_b32_e32 v3, s17
	s_movk_i32 s16, 0x5000
	v_add_u32_e64 v24, s16, 0
	ds_write2_b64 v24, v[2:3], v[2:3] offset0:170 offset1:235
.LBB55_649:
	s_or_b64 exec, exec, s[14:15]
	v_mov_b32_e32 v3, 0
	v_mov_b32_e32 v2, 0
	s_waitcnt lgkmcnt(0)
	s_barrier
	s_and_saveexec_b64 s[16:17], s[18:19]
	s_cbranch_execz .LBB55_655
; %bb.650:
	v_mul_u32_u24_e32 v24, 0x208, v13
	ds_read_b64 v[2:3], v9 offset:20832
	ds_read_b64 v[25:26], v24 offset:20800
	v_cmp_gt_u32_e64 s[14:15], 12, v7
	s_waitcnt lgkmcnt(0)
	v_mul_f32_e32 v27, v26, v3
	v_mul_f32_e32 v3, v25, v3
	v_fma_f32 v25, v25, v2, -v27
	v_fmac_f32_e32 v3, v26, v2
	v_add_f32_e32 v2, 0, v25
	v_add_f32_e32 v3, 0, v3
	s_and_saveexec_b64 s[20:21], s[14:15]
	s_cbranch_execnz .LBB55_1024
; %bb.651:
	s_or_b64 exec, exec, s[20:21]
	v_cmp_gt_u32_e64 s[14:15], 8, v7
	s_and_saveexec_b64 s[20:21], s[14:15]
	s_cbranch_execnz .LBB55_1025
.LBB55_652:
	s_or_b64 exec, exec, s[20:21]
	v_cmp_gt_u32_e64 s[14:15], 4, v7
	s_and_saveexec_b64 s[20:21], s[14:15]
	s_cbranch_execz .LBB55_654
.LBB55_653:
	v_lshlrev_b32_e32 v24, 3, v0
	v_mov_b32_e32 v26, 0
	ds_read_b64 v[24:25], v24 offset:22368
	ds_read_b64 v[26:27], v26 offset:20824
	s_waitcnt lgkmcnt(0)
	v_mul_f32_e32 v28, v27, v25
	v_mul_f32_e32 v25, v26, v25
	v_fma_f32 v26, v26, v24, -v28
	v_fmac_f32_e32 v25, v27, v24
	v_add_f32_e32 v2, v2, v26
	v_add_f32_e32 v3, v3, v25
.LBB55_654:
	s_or_b64 exec, exec, s[20:21]
	v_xor_b32_e32 v2, 0x80000000, v2
	v_xor_b32_e32 v3, 0x80000000, v3
.LBB55_655:
	s_or_b64 exec, exec, s[16:17]
	s_and_saveexec_b64 s[14:15], s[38:39]
; %bb.656:
	ds_write_b64 v11, v[2:3]
; %bb.657:
	s_or_b64 exec, exec, s[14:15]
	s_waitcnt lgkmcnt(0)
	s_barrier
	s_and_saveexec_b64 s[14:15], s[42:43]
	s_cbranch_execz .LBB55_659
; %bb.658:
	ds_read_b64 v[24:25], v10 offset:22880
	ds_read_b64 v[26:27], v11
	s_waitcnt lgkmcnt(0)
	v_mul_f32_e32 v28, v27, v25
	v_mul_f32_e32 v25, v26, v25
	v_fma_f32 v26, v26, v24, -v28
	v_fmac_f32_e32 v25, v27, v24
	v_add_f32_e32 v2, v2, v26
	v_add_f32_e32 v3, v3, v25
.LBB55_659:
	s_or_b64 exec, exec, s[14:15]
	s_barrier
	s_and_saveexec_b64 s[14:15], s[44:45]
; %bb.660:
	ds_write_b64 v11, v[2:3]
; %bb.661:
	s_or_b64 exec, exec, s[14:15]
	s_waitcnt lgkmcnt(0)
	s_barrier
	s_and_saveexec_b64 s[14:15], s[52:53]
	s_cbranch_execz .LBB55_663
; %bb.662:
	ds_read_b64 v[24:25], v10 offset:23392
	ds_read_b64 v[26:27], v11
	s_waitcnt lgkmcnt(0)
	v_mul_f32_e32 v28, v27, v25
	v_mul_f32_e32 v25, v26, v25
	v_fma_f32 v26, v26, v24, -v28
	v_fmac_f32_e32 v25, v27, v24
	v_add_f32_e32 v2, v2, v26
	v_add_f32_e32 v3, v3, v25
.LBB55_663:
	s_or_b64 exec, exec, s[14:15]
	s_barrier
	s_and_saveexec_b64 s[14:15], s[54:55]
; %bb.664:
	ds_write_b64 v11, v[2:3]
; %bb.665:
	s_or_b64 exec, exec, s[14:15]
	s_waitcnt lgkmcnt(0)
	s_barrier
	s_and_saveexec_b64 s[14:15], s[36:37]
	s_cbranch_execz .LBB55_667
; %bb.666:
	v_mov_b32_e32 v24, 0
	ds_read_b64 v[24:25], v24 offset:23928
	ds_read_b64 v[26:27], v11
	s_waitcnt lgkmcnt(0)
	v_mul_f32_e32 v28, v27, v25
	v_mul_f32_e32 v25, v26, v25
	v_fma_f32 v26, v26, v24, -v28
	v_fmac_f32_e32 v25, v27, v24
	v_add_f32_e32 v2, v2, v26
	v_add_f32_e32 v3, v3, v25
.LBB55_667:
	s_or_b64 exec, exec, s[14:15]
	s_barrier
	s_and_saveexec_b64 s[14:15], s[36:37]
; %bb.668:
	ds_write_b64 v11, v[2:3]
; %bb.669:
	s_or_b64 exec, exec, s[14:15]
	s_waitcnt lgkmcnt(0)
	s_barrier
	s_barrier
	s_and_saveexec_b64 s[14:15], s[18:19]
; %bb.670:
	v_xor_b32_e32 v2, 0x80000000, v2
	v_xor_b32_e32 v3, 0x80000000, v3
	ds_write_b64 v9, v[2:3] offset:20832
; %bb.671:
	s_or_b64 exec, exec, s[14:15]
	s_waitcnt lgkmcnt(0)
	s_barrier
	s_barrier
	s_and_saveexec_b64 s[14:15], vcc
	s_cbranch_execz .LBB55_673
; %bb.672:
	s_mov_b64 s[16:17], 0x3f800000
	v_mov_b32_e32 v2, s16
	v_mov_b32_e32 v3, s17
	s_movk_i32 s16, 0x5800
	v_add_u32_e64 v24, s16, 0
	ds_write2_b64 v24, v[2:3], v[2:3] offset0:44 offset1:109
.LBB55_673:
	s_or_b64 exec, exec, s[14:15]
	v_mov_b32_e32 v3, 0
	v_mov_b32_e32 v2, 0
	s_waitcnt lgkmcnt(0)
	s_barrier
	s_and_saveexec_b64 s[16:17], s[6:7]
	s_cbranch_execz .LBB55_677
; %bb.674:
	v_mul_u32_u24_e32 v24, 0x208, v6
	ds_read_b64 v[2:3], v4 offset:22896
	ds_read_b64 v[24:25], v24 offset:22880
	v_cmp_gt_u32_e64 s[14:15], 2, v7
	s_waitcnt lgkmcnt(0)
	v_mul_f32_e32 v26, v25, v3
	v_mul_f32_e32 v3, v24, v3
	v_fma_f32 v24, v24, v2, -v26
	v_fmac_f32_e32 v3, v25, v2
	v_add_f32_e32 v2, 0, v24
	v_add_f32_e32 v3, 0, v3
	s_and_saveexec_b64 s[20:21], s[14:15]
	s_cbranch_execz .LBB55_676
; %bb.675:
	v_lshlrev_b32_e32 v24, 3, v0
	v_mov_b32_e32 v26, 0
	ds_read_b64 v[24:25], v24 offset:23408
	ds_read_b64 v[26:27], v26 offset:22888
	s_waitcnt lgkmcnt(0)
	v_mul_f32_e32 v28, v27, v25
	v_mul_f32_e32 v25, v26, v25
	v_fma_f32 v26, v26, v24, -v28
	v_fmac_f32_e32 v25, v27, v24
	v_add_f32_e32 v2, v2, v26
	v_add_f32_e32 v3, v3, v25
.LBB55_676:
	s_or_b64 exec, exec, s[20:21]
	v_xor_b32_e32 v2, 0x80000000, v2
	v_xor_b32_e32 v3, 0x80000000, v3
.LBB55_677:
	s_or_b64 exec, exec, s[16:17]
	s_and_saveexec_b64 s[14:15], s[34:35]
; %bb.678:
	ds_write_b64 v5, v[2:3]
; %bb.679:
	s_or_b64 exec, exec, s[14:15]
	s_waitcnt lgkmcnt(0)
	s_barrier
	s_and_saveexec_b64 s[14:15], s[30:31]
	s_cbranch_execz .LBB55_681
; %bb.680:
	v_mov_b32_e32 v24, 0
	ds_read_b64 v[24:25], v24 offset:23928
	ds_read_b64 v[26:27], v5
	s_waitcnt lgkmcnt(0)
	v_mul_f32_e32 v28, v27, v25
	v_mul_f32_e32 v25, v26, v25
	v_fma_f32 v26, v26, v24, -v28
	v_fmac_f32_e32 v25, v27, v24
	v_add_f32_e32 v2, v2, v26
	v_add_f32_e32 v3, v3, v25
.LBB55_681:
	s_or_b64 exec, exec, s[14:15]
	s_barrier
	s_and_saveexec_b64 s[14:15], s[30:31]
; %bb.682:
	ds_write_b64 v5, v[2:3]
; %bb.683:
	s_or_b64 exec, exec, s[14:15]
	s_waitcnt lgkmcnt(0)
	s_barrier
	s_barrier
	s_and_saveexec_b64 s[14:15], s[6:7]
; %bb.684:
	v_xor_b32_e32 v3, 0x80000000, v3
	v_xor_b32_e32 v2, 0x80000000, v2
	ds_write_b64 v4, v[2:3] offset:22896
; %bb.685:
	s_or_b64 exec, exec, s[14:15]
	s_waitcnt lgkmcnt(0)
	s_barrier
	s_barrier
	s_and_saveexec_b64 s[14:15], vcc
	s_cbranch_execz .LBB55_687
; %bb.686:
	s_mov_b64 s[16:17], 0x3f800000
	v_mov_b32_e32 v2, s16
	v_mov_b32_e32 v3, s17
	s_movk_i32 s16, 0x5800
	v_add_u32_e64 v24, s16, 0
	ds_write2_b64 v24, v[2:3], v[2:3] offset0:174 offset1:239
.LBB55_687:
	s_or_b64 exec, exec, s[14:15]
	v_mov_b32_e32 v3, 0
	v_mov_b32_e32 v2, 0
	s_waitcnt lgkmcnt(0)
	s_barrier
	s_and_saveexec_b64 s[16:17], s[12:13]
	s_cbranch_execz .LBB55_715
; %bb.688:
	v_mul_u32_u24_e32 v24, 0x208, v23
	ds_read_b64 v[2:3], v19 offset:16768
	ds_read_b64 v[25:26], v24 offset:16640
	s_movk_i32 s14, 0xf0
	v_cmp_gt_u32_e64 s[14:15], s14, v7
	s_waitcnt lgkmcnt(0)
	v_mul_f32_e32 v27, v26, v3
	v_mul_f32_e32 v3, v25, v3
	v_fma_f32 v25, v25, v2, -v27
	v_fmac_f32_e32 v3, v26, v2
	v_add_f32_e32 v2, 0, v25
	v_add_f32_e32 v3, 0, v3
	s_and_saveexec_b64 s[20:21], s[14:15]
	s_cbranch_execz .LBB55_690
; %bb.689:
	v_lshlrev_b32_e32 v25, 3, v23
	v_sub_u32_e32 v25, v24, v25
	v_lshl_add_u32 v25, v20, 3, v25
	ds_read_b64 v[25:26], v25 offset:17280
	ds_read_b64 v[27:28], v24 offset:16648
	s_waitcnt lgkmcnt(0)
	v_mul_f32_e32 v29, v28, v26
	v_mul_f32_e32 v26, v27, v26
	v_fma_f32 v27, v27, v25, -v29
	v_fmac_f32_e32 v26, v28, v25
	v_add_f32_e32 v2, v2, v27
	v_add_f32_e32 v3, v3, v26
.LBB55_690:
	s_or_b64 exec, exec, s[20:21]
	s_movk_i32 s14, 0xe0
	v_cmp_gt_u32_e64 s[14:15], s14, v7
	s_and_saveexec_b64 s[20:21], s[14:15]
	s_cbranch_execz .LBB55_692
; %bb.691:
	v_lshlrev_b32_e32 v25, 3, v23
	v_sub_u32_e32 v25, v24, v25
	v_lshl_add_u32 v25, v20, 3, v25
	ds_read_b64 v[25:26], v25 offset:17792
	ds_read_b64 v[27:28], v24 offset:16656
	s_waitcnt lgkmcnt(0)
	v_mul_f32_e32 v29, v28, v26
	v_mul_f32_e32 v26, v27, v26
	v_fma_f32 v27, v27, v25, -v29
	v_fmac_f32_e32 v26, v28, v25
	v_add_f32_e32 v2, v2, v27
	v_add_f32_e32 v3, v3, v26
.LBB55_692:
	s_or_b64 exec, exec, s[20:21]
	s_movk_i32 s14, 0xd0
	v_cmp_gt_u32_e64 s[14:15], s14, v7
	;; [unrolled: 19-line block ×6, first 2 shown]
	s_and_saveexec_b64 s[20:21], s[14:15]
	s_cbranch_execz .LBB55_702
; %bb.701:
	v_lshlrev_b32_e32 v23, 3, v20
	v_lshl_add_u32 v23, v22, 3, v23
	ds_read_b64 v[25:26], v23 offset:20352
	ds_read_b64 v[27:28], v24 offset:16696
	s_waitcnt lgkmcnt(0)
	v_mul_f32_e32 v23, v28, v26
	v_mul_f32_e32 v26, v27, v26
	v_fma_f32 v23, v27, v25, -v23
	v_fmac_f32_e32 v26, v28, v25
	v_add_f32_e32 v2, v2, v23
	v_add_f32_e32 v3, v3, v26
.LBB55_702:
	s_or_b64 exec, exec, s[20:21]
	s_movk_i32 s14, 0x80
	v_cmp_gt_u32_e64 s[14:15], s14, v7
	s_and_saveexec_b64 s[20:21], s[14:15]
	s_cbranch_execz .LBB55_704
; %bb.703:
	ds_read_b64 v[25:26], v19 offset:20864
	ds_read_b64 v[27:28], v24 offset:16704
	s_waitcnt lgkmcnt(0)
	v_mul_f32_e32 v23, v28, v26
	v_mul_f32_e32 v26, v27, v26
	v_fma_f32 v23, v27, v25, -v23
	v_fmac_f32_e32 v26, v28, v25
	v_add_f32_e32 v2, v2, v23
	v_add_f32_e32 v3, v3, v26
.LBB55_704:
	s_or_b64 exec, exec, s[20:21]
	s_movk_i32 s14, 0x70
	v_cmp_gt_u32_e64 s[14:15], s14, v7
	s_and_saveexec_b64 s[20:21], s[14:15]
	s_cbranch_execz .LBB55_706
; %bb.705:
	v_lshlrev_b32_e32 v23, 3, v20
	v_lshl_add_u32 v23, v22, 3, v23
	ds_read_b64 v[25:26], v23 offset:21376
	ds_read_b64 v[27:28], v24 offset:16712
	s_waitcnt lgkmcnt(0)
	v_mul_f32_e32 v23, v28, v26
	v_mul_f32_e32 v26, v27, v26
	v_fma_f32 v23, v27, v25, -v23
	v_fmac_f32_e32 v26, v28, v25
	v_add_f32_e32 v2, v2, v23
	v_add_f32_e32 v3, v3, v26
.LBB55_706:
	s_or_b64 exec, exec, s[20:21]
	s_movk_i32 s14, 0x60
	v_cmp_gt_u32_e64 s[14:15], s14, v7
	s_and_saveexec_b64 s[20:21], s[14:15]
	s_cbranch_execz .LBB55_708
; %bb.707:
	v_lshlrev_b32_e32 v23, 3, v20
	v_lshl_add_u32 v23, v22, 3, v23
	ds_read_b64 v[25:26], v23 offset:21888
	ds_read_b64 v[27:28], v24 offset:16720
	s_waitcnt lgkmcnt(0)
	v_mul_f32_e32 v23, v28, v26
	v_mul_f32_e32 v26, v27, v26
	v_fma_f32 v23, v27, v25, -v23
	v_fmac_f32_e32 v26, v28, v25
	v_add_f32_e32 v2, v2, v23
	v_add_f32_e32 v3, v3, v26
.LBB55_708:
	s_or_b64 exec, exec, s[20:21]
	s_movk_i32 s14, 0x50
	v_cmp_gt_u32_e64 s[14:15], s14, v7
	s_and_saveexec_b64 s[20:21], s[14:15]
	s_cbranch_execnz .LBB55_1026
; %bb.709:
	s_or_b64 exec, exec, s[20:21]
	v_cmp_gt_u32_e64 s[14:15], 64, v7
	s_and_saveexec_b64 s[20:21], s[14:15]
	s_cbranch_execnz .LBB55_1027
.LBB55_710:
	s_or_b64 exec, exec, s[20:21]
	v_cmp_gt_u32_e64 s[14:15], 48, v7
	s_and_saveexec_b64 s[20:21], s[14:15]
	s_cbranch_execnz .LBB55_1028
.LBB55_711:
	s_or_b64 exec, exec, s[20:21]
	v_cmp_gt_u32_e64 s[14:15], 32, v7
	s_and_saveexec_b64 s[20:21], s[14:15]
	s_cbranch_execnz .LBB55_1029
.LBB55_712:
	s_or_b64 exec, exec, s[20:21]
	v_cmp_gt_u32_e64 s[14:15], 16, v7
	s_and_saveexec_b64 s[20:21], s[14:15]
	s_cbranch_execz .LBB55_714
.LBB55_713:
	v_lshlrev_b32_e32 v22, 3, v0
	v_mov_b32_e32 v24, 0
	ds_read_b64 v[22:23], v22 offset:24448
	ds_read_b64 v[24:25], v24 offset:16760
	s_waitcnt lgkmcnt(0)
	v_mul_f32_e32 v26, v25, v23
	v_mul_f32_e32 v23, v24, v23
	v_fma_f32 v24, v24, v22, -v26
	v_fmac_f32_e32 v23, v25, v22
	v_add_f32_e32 v2, v2, v24
	v_add_f32_e32 v3, v3, v23
.LBB55_714:
	s_or_b64 exec, exec, s[20:21]
	v_xor_b32_e32 v2, 0x80000000, v2
	v_xor_b32_e32 v3, 0x80000000, v3
.LBB55_715:
	s_or_b64 exec, exec, s[16:17]
	s_mov_b64 s[14:15], exec
	v_readlane_b32 s16, v35, 0
	v_readlane_b32 s17, v35, 1
	s_and_b64 s[16:17], s[14:15], s[16:17]
	s_mov_b64 exec, s[16:17]
; %bb.716:
	ds_write_b64 v21, v[2:3]
; %bb.717:
	s_or_b64 exec, exec, s[14:15]
	s_waitcnt lgkmcnt(0)
	s_barrier
	s_mov_b64 s[14:15], exec
	v_readlane_b32 s16, v35, 2
	v_readlane_b32 s17, v35, 3
	s_and_b64 s[16:17], s[14:15], s[16:17]
	s_mov_b64 exec, s[16:17]
	s_cbranch_execz .LBB55_719
; %bb.718:
	v_lshlrev_b32_e32 v22, 3, v20
	ds_read_b64 v[22:23], v22 offset:24960
	ds_read_b64 v[24:25], v21
	s_waitcnt lgkmcnt(0)
	v_mul_f32_e32 v26, v25, v23
	v_mul_f32_e32 v23, v24, v23
	v_fma_f32 v24, v24, v22, -v26
	v_fmac_f32_e32 v23, v25, v22
	v_add_f32_e32 v2, v2, v24
	v_add_f32_e32 v3, v3, v23
.LBB55_719:
	s_or_b64 exec, exec, s[14:15]
	s_barrier
	s_mov_b64 s[14:15], exec
	v_readlane_b32 s16, v35, 4
	v_readlane_b32 s17, v35, 5
	s_and_b64 s[16:17], s[14:15], s[16:17]
	s_mov_b64 exec, s[16:17]
; %bb.720:
	ds_write_b64 v21, v[2:3]
; %bb.721:
	s_or_b64 exec, exec, s[14:15]
	s_waitcnt lgkmcnt(0)
	s_barrier
	s_mov_b64 s[14:15], exec
	v_readlane_b32 s16, v35, 6
	v_readlane_b32 s17, v35, 7
	s_and_b64 s[16:17], s[14:15], s[16:17]
	s_mov_b64 exec, s[16:17]
	s_cbranch_execz .LBB55_723
; %bb.722:
	v_lshlrev_b32_e32 v22, 3, v20
	ds_read_b64 v[22:23], v22 offset:25472
	ds_read_b64 v[24:25], v21
	s_waitcnt lgkmcnt(0)
	v_mul_f32_e32 v26, v25, v23
	v_mul_f32_e32 v23, v24, v23
	v_fma_f32 v24, v24, v22, -v26
	v_fmac_f32_e32 v23, v25, v22
	v_add_f32_e32 v2, v2, v24
	v_add_f32_e32 v3, v3, v23
.LBB55_723:
	s_or_b64 exec, exec, s[14:15]
	s_barrier
	;; [unrolled: 31-line block ×12, first 2 shown]
	s_mov_b64 s[14:15], exec
	v_readlane_b32 s16, v35, 48
	v_readlane_b32 s17, v35, 49
	s_and_b64 s[16:17], s[14:15], s[16:17]
	s_mov_b64 exec, s[16:17]
; %bb.764:
	ds_write_b64 v21, v[2:3]
; %bb.765:
	s_or_b64 exec, exec, s[14:15]
	s_waitcnt lgkmcnt(0)
	s_barrier
	s_and_saveexec_b64 s[14:15], s[88:89]
	s_cbranch_execz .LBB55_767
; %bb.766:
	v_lshlrev_b32_e32 v22, 3, v20
	ds_read_b64 v[22:23], v22 offset:31104
	ds_read_b64 v[24:25], v21
	s_waitcnt lgkmcnt(0)
	v_mul_f32_e32 v26, v25, v23
	v_mul_f32_e32 v23, v24, v23
	v_fma_f32 v24, v24, v22, -v26
	v_fmac_f32_e32 v23, v25, v22
	v_add_f32_e32 v2, v2, v24
	v_add_f32_e32 v3, v3, v23
.LBB55_767:
	s_or_b64 exec, exec, s[14:15]
	s_barrier
	s_and_saveexec_b64 s[14:15], s[90:91]
; %bb.768:
	ds_write_b64 v21, v[2:3]
; %bb.769:
	s_or_b64 exec, exec, s[14:15]
	s_waitcnt lgkmcnt(0)
	s_barrier
	s_and_saveexec_b64 s[14:15], s[94:95]
	s_cbranch_execz .LBB55_771
; %bb.770:
	v_lshlrev_b32_e32 v20, 3, v20
	ds_read_b64 v[22:23], v20 offset:31616
	ds_read_b64 v[24:25], v21
	s_waitcnt lgkmcnt(0)
	v_mul_f32_e32 v20, v25, v23
	v_mul_f32_e32 v23, v24, v23
	v_fma_f32 v20, v24, v22, -v20
	v_fmac_f32_e32 v23, v25, v22
	v_add_f32_e32 v2, v2, v20
	v_add_f32_e32 v3, v3, v23
.LBB55_771:
	s_or_b64 exec, exec, s[14:15]
	s_barrier
	s_and_saveexec_b64 s[14:15], s[96:97]
; %bb.772:
	ds_write_b64 v21, v[2:3]
; %bb.773:
	s_or_b64 exec, exec, s[14:15]
	s_waitcnt lgkmcnt(0)
	s_barrier
	s_and_saveexec_b64 s[14:15], s[92:93]
	s_cbranch_execz .LBB55_775
; %bb.774:
	v_mov_b32_e32 v20, 0
	ds_read_b64 v[22:23], v20 offset:32248
	ds_read_b64 v[24:25], v21
	s_waitcnt lgkmcnt(0)
	v_mul_f32_e32 v20, v25, v23
	v_mul_f32_e32 v23, v24, v23
	v_fma_f32 v20, v24, v22, -v20
	v_fmac_f32_e32 v23, v25, v22
	v_add_f32_e32 v2, v2, v20
	v_add_f32_e32 v3, v3, v23
.LBB55_775:
	s_or_b64 exec, exec, s[14:15]
	s_barrier
	s_and_saveexec_b64 s[14:15], s[92:93]
; %bb.776:
	ds_write_b64 v21, v[2:3]
; %bb.777:
	s_or_b64 exec, exec, s[14:15]
	s_waitcnt lgkmcnt(0)
	s_barrier
	s_barrier
	s_and_saveexec_b64 s[14:15], s[12:13]
; %bb.778:
	v_xor_b32_e32 v2, 0x80000000, v2
	v_xor_b32_e32 v3, 0x80000000, v3
	ds_write_b64 v19, v[2:3] offset:16768
; %bb.779:
	s_or_b64 exec, exec, s[14:15]
	s_waitcnt lgkmcnt(0)
	s_barrier
	s_barrier
	s_and_saveexec_b64 s[12:13], vcc
	s_cbranch_execz .LBB55_781
; %bb.780:
	s_mov_b64 s[14:15], 0x3f800000
	v_mov_b32_e32 v2, s14
	v_mov_b32_e32 v3, s15
	s_movk_i32 s14, 0x6000
	v_add_u32_e64 v19, s14, 0
	ds_write2_b64 v19, v[2:3], v[2:3] offset0:48 offset1:113
.LBB55_781:
	s_or_b64 exec, exec, s[12:13]
	v_mov_b32_e32 v3, 0
	v_mov_b32_e32 v2, 0
	s_waitcnt lgkmcnt(0)
	s_barrier
	s_and_saveexec_b64 s[14:15], s[6:7]
	s_cbranch_execz .LBB55_785
; %bb.782:
	v_mul_u32_u24_e32 v19, 0x208, v6
	ds_read_b64 v[2:3], v4 offset:24976
	ds_read_b64 v[19:20], v19 offset:24960
	v_cmp_gt_u32_e64 s[12:13], 2, v7
	s_waitcnt lgkmcnt(0)
	v_mul_f32_e32 v21, v20, v3
	v_mul_f32_e32 v3, v19, v3
	v_fma_f32 v19, v19, v2, -v21
	v_fmac_f32_e32 v3, v20, v2
	v_add_f32_e32 v2, 0, v19
	v_add_f32_e32 v3, 0, v3
	s_and_saveexec_b64 s[16:17], s[12:13]
	s_cbranch_execz .LBB55_784
; %bb.783:
	v_lshlrev_b32_e32 v19, 3, v0
	v_mov_b32_e32 v21, 0
	ds_read_b64 v[19:20], v19 offset:25488
	ds_read_b64 v[21:22], v21 offset:24968
	s_waitcnt lgkmcnt(0)
	v_mul_f32_e32 v23, v22, v20
	v_mul_f32_e32 v20, v21, v20
	v_fma_f32 v21, v21, v19, -v23
	v_fmac_f32_e32 v20, v22, v19
	v_add_f32_e32 v2, v2, v21
	v_add_f32_e32 v3, v3, v20
.LBB55_784:
	s_or_b64 exec, exec, s[16:17]
	v_xor_b32_e32 v2, 0x80000000, v2
	v_xor_b32_e32 v3, 0x80000000, v3
.LBB55_785:
	s_or_b64 exec, exec, s[14:15]
	s_and_saveexec_b64 s[12:13], s[34:35]
; %bb.786:
	ds_write_b64 v5, v[2:3]
; %bb.787:
	s_or_b64 exec, exec, s[12:13]
	s_waitcnt lgkmcnt(0)
	s_barrier
	s_and_saveexec_b64 s[12:13], s[30:31]
	s_cbranch_execz .LBB55_789
; %bb.788:
	v_mov_b32_e32 v19, 0
	ds_read_b64 v[19:20], v19 offset:26008
	ds_read_b64 v[21:22], v5
	s_waitcnt lgkmcnt(0)
	v_mul_f32_e32 v23, v22, v20
	v_mul_f32_e32 v20, v21, v20
	v_fma_f32 v21, v21, v19, -v23
	v_fmac_f32_e32 v20, v22, v19
	v_add_f32_e32 v2, v2, v21
	v_add_f32_e32 v3, v3, v20
.LBB55_789:
	s_or_b64 exec, exec, s[12:13]
	s_barrier
	s_and_saveexec_b64 s[12:13], s[30:31]
; %bb.790:
	ds_write_b64 v5, v[2:3]
; %bb.791:
	s_or_b64 exec, exec, s[12:13]
	s_waitcnt lgkmcnt(0)
	s_barrier
	s_barrier
	s_and_saveexec_b64 s[12:13], s[6:7]
; %bb.792:
	v_xor_b32_e32 v3, 0x80000000, v3
	v_xor_b32_e32 v2, 0x80000000, v2
	ds_write_b64 v4, v[2:3] offset:24976
; %bb.793:
	s_or_b64 exec, exec, s[12:13]
	s_waitcnt lgkmcnt(0)
	s_barrier
	s_barrier
	s_and_saveexec_b64 s[12:13], vcc
	s_cbranch_execz .LBB55_795
; %bb.794:
	s_mov_b64 s[14:15], 0x3f800000
	v_mov_b32_e32 v2, s14
	v_mov_b32_e32 v3, s15
	s_movk_i32 s14, 0x6000
	v_add_u32_e64 v19, s14, 0
	ds_write2_b64 v19, v[2:3], v[2:3] offset0:178 offset1:243
.LBB55_795:
	s_or_b64 exec, exec, s[12:13]
	v_mov_b32_e32 v3, 0
	v_mov_b32_e32 v2, 0
	s_waitcnt lgkmcnt(0)
	s_barrier
	s_and_saveexec_b64 s[14:15], s[18:19]
	s_cbranch_execz .LBB55_801
; %bb.796:
	v_mul_u32_u24_e32 v19, 0x208, v13
	ds_read_b64 v[2:3], v9 offset:24992
	ds_read_b64 v[20:21], v19 offset:24960
	v_cmp_gt_u32_e64 s[12:13], 12, v7
	s_waitcnt lgkmcnt(0)
	v_mul_f32_e32 v22, v21, v3
	v_mul_f32_e32 v3, v20, v3
	v_fma_f32 v20, v20, v2, -v22
	v_fmac_f32_e32 v3, v21, v2
	v_add_f32_e32 v2, 0, v20
	v_add_f32_e32 v3, 0, v3
	s_and_saveexec_b64 s[16:17], s[12:13]
	s_cbranch_execnz .LBB55_1030
; %bb.797:
	s_or_b64 exec, exec, s[16:17]
	v_cmp_gt_u32_e64 s[12:13], 8, v7
	s_and_saveexec_b64 s[16:17], s[12:13]
	s_cbranch_execnz .LBB55_1031
.LBB55_798:
	s_or_b64 exec, exec, s[16:17]
	v_cmp_gt_u32_e64 s[12:13], 4, v7
	s_and_saveexec_b64 s[16:17], s[12:13]
	s_cbranch_execz .LBB55_800
.LBB55_799:
	v_lshlrev_b32_e32 v19, 3, v0
	v_mov_b32_e32 v21, 0
	ds_read_b64 v[19:20], v19 offset:26528
	ds_read_b64 v[21:22], v21 offset:24984
	s_waitcnt lgkmcnt(0)
	v_mul_f32_e32 v23, v22, v20
	v_mul_f32_e32 v20, v21, v20
	v_fma_f32 v21, v21, v19, -v23
	v_fmac_f32_e32 v20, v22, v19
	v_add_f32_e32 v2, v2, v21
	v_add_f32_e32 v3, v3, v20
.LBB55_800:
	s_or_b64 exec, exec, s[16:17]
	v_xor_b32_e32 v2, 0x80000000, v2
	v_xor_b32_e32 v3, 0x80000000, v3
.LBB55_801:
	s_or_b64 exec, exec, s[14:15]
	s_and_saveexec_b64 s[12:13], s[38:39]
; %bb.802:
	ds_write_b64 v11, v[2:3]
; %bb.803:
	s_or_b64 exec, exec, s[12:13]
	s_waitcnt lgkmcnt(0)
	s_barrier
	s_and_saveexec_b64 s[12:13], s[42:43]
	s_cbranch_execz .LBB55_805
; %bb.804:
	ds_read_b64 v[19:20], v10 offset:27040
	ds_read_b64 v[21:22], v11
	s_waitcnt lgkmcnt(0)
	v_mul_f32_e32 v23, v22, v20
	v_mul_f32_e32 v20, v21, v20
	v_fma_f32 v21, v21, v19, -v23
	v_fmac_f32_e32 v20, v22, v19
	v_add_f32_e32 v2, v2, v21
	v_add_f32_e32 v3, v3, v20
.LBB55_805:
	s_or_b64 exec, exec, s[12:13]
	s_barrier
	s_and_saveexec_b64 s[12:13], s[44:45]
; %bb.806:
	ds_write_b64 v11, v[2:3]
; %bb.807:
	s_or_b64 exec, exec, s[12:13]
	s_waitcnt lgkmcnt(0)
	s_barrier
	s_and_saveexec_b64 s[12:13], s[52:53]
	s_cbranch_execz .LBB55_809
; %bb.808:
	ds_read_b64 v[19:20], v10 offset:27552
	ds_read_b64 v[21:22], v11
	s_waitcnt lgkmcnt(0)
	v_mul_f32_e32 v23, v22, v20
	v_mul_f32_e32 v20, v21, v20
	v_fma_f32 v21, v21, v19, -v23
	v_fmac_f32_e32 v20, v22, v19
	v_add_f32_e32 v2, v2, v21
	v_add_f32_e32 v3, v3, v20
.LBB55_809:
	s_or_b64 exec, exec, s[12:13]
	s_barrier
	s_and_saveexec_b64 s[12:13], s[54:55]
; %bb.810:
	ds_write_b64 v11, v[2:3]
; %bb.811:
	s_or_b64 exec, exec, s[12:13]
	s_waitcnt lgkmcnt(0)
	s_barrier
	s_and_saveexec_b64 s[12:13], s[36:37]
	s_cbranch_execz .LBB55_813
; %bb.812:
	v_mov_b32_e32 v19, 0
	ds_read_b64 v[19:20], v19 offset:28088
	ds_read_b64 v[21:22], v11
	s_waitcnt lgkmcnt(0)
	v_mul_f32_e32 v23, v22, v20
	v_mul_f32_e32 v20, v21, v20
	v_fma_f32 v21, v21, v19, -v23
	v_fmac_f32_e32 v20, v22, v19
	v_add_f32_e32 v2, v2, v21
	v_add_f32_e32 v3, v3, v20
.LBB55_813:
	s_or_b64 exec, exec, s[12:13]
	s_barrier
	s_and_saveexec_b64 s[12:13], s[36:37]
; %bb.814:
	ds_write_b64 v11, v[2:3]
; %bb.815:
	s_or_b64 exec, exec, s[12:13]
	s_waitcnt lgkmcnt(0)
	s_barrier
	s_barrier
	s_and_saveexec_b64 s[12:13], s[18:19]
; %bb.816:
	v_xor_b32_e32 v2, 0x80000000, v2
	v_xor_b32_e32 v3, 0x80000000, v3
	ds_write_b64 v9, v[2:3] offset:24992
; %bb.817:
	s_or_b64 exec, exec, s[12:13]
	s_waitcnt lgkmcnt(0)
	s_barrier
	s_barrier
	s_and_saveexec_b64 s[12:13], vcc
	s_cbranch_execz .LBB55_819
; %bb.818:
	s_mov_b64 s[14:15], 0x3f800000
	v_mov_b32_e32 v2, s14
	v_mov_b32_e32 v3, s15
	s_movk_i32 s14, 0x6800
	v_add_u32_e64 v19, s14, 0
	ds_write2_b64 v19, v[2:3], v[2:3] offset0:52 offset1:117
.LBB55_819:
	s_or_b64 exec, exec, s[12:13]
	v_mov_b32_e32 v3, 0
	v_mov_b32_e32 v2, 0
	s_waitcnt lgkmcnt(0)
	s_barrier
	s_and_saveexec_b64 s[14:15], s[6:7]
	s_cbranch_execz .LBB55_823
; %bb.820:
	v_mul_u32_u24_e32 v19, 0x208, v6
	ds_read_b64 v[2:3], v4 offset:27056
	ds_read_b64 v[19:20], v19 offset:27040
	v_cmp_gt_u32_e64 s[12:13], 2, v7
	s_waitcnt lgkmcnt(0)
	v_mul_f32_e32 v21, v20, v3
	v_mul_f32_e32 v3, v19, v3
	v_fma_f32 v19, v19, v2, -v21
	v_fmac_f32_e32 v3, v20, v2
	v_add_f32_e32 v2, 0, v19
	v_add_f32_e32 v3, 0, v3
	s_and_saveexec_b64 s[16:17], s[12:13]
	s_cbranch_execz .LBB55_822
; %bb.821:
	v_lshlrev_b32_e32 v19, 3, v0
	v_mov_b32_e32 v21, 0
	ds_read_b64 v[19:20], v19 offset:27568
	ds_read_b64 v[21:22], v21 offset:27048
	s_waitcnt lgkmcnt(0)
	v_mul_f32_e32 v23, v22, v20
	v_mul_f32_e32 v20, v21, v20
	v_fma_f32 v21, v21, v19, -v23
	v_fmac_f32_e32 v20, v22, v19
	v_add_f32_e32 v2, v2, v21
	v_add_f32_e32 v3, v3, v20
.LBB55_822:
	s_or_b64 exec, exec, s[16:17]
	v_xor_b32_e32 v2, 0x80000000, v2
	v_xor_b32_e32 v3, 0x80000000, v3
.LBB55_823:
	s_or_b64 exec, exec, s[14:15]
	s_and_saveexec_b64 s[12:13], s[34:35]
; %bb.824:
	ds_write_b64 v5, v[2:3]
; %bb.825:
	s_or_b64 exec, exec, s[12:13]
	s_waitcnt lgkmcnt(0)
	s_barrier
	s_and_saveexec_b64 s[12:13], s[30:31]
	s_cbranch_execz .LBB55_827
; %bb.826:
	v_mov_b32_e32 v19, 0
	ds_read_b64 v[19:20], v19 offset:28088
	ds_read_b64 v[21:22], v5
	s_waitcnt lgkmcnt(0)
	v_mul_f32_e32 v23, v22, v20
	v_mul_f32_e32 v20, v21, v20
	v_fma_f32 v21, v21, v19, -v23
	v_fmac_f32_e32 v20, v22, v19
	v_add_f32_e32 v2, v2, v21
	v_add_f32_e32 v3, v3, v20
.LBB55_827:
	s_or_b64 exec, exec, s[12:13]
	s_barrier
	s_and_saveexec_b64 s[12:13], s[30:31]
; %bb.828:
	ds_write_b64 v5, v[2:3]
; %bb.829:
	s_or_b64 exec, exec, s[12:13]
	s_waitcnt lgkmcnt(0)
	s_barrier
	s_barrier
	s_and_saveexec_b64 s[12:13], s[6:7]
; %bb.830:
	v_xor_b32_e32 v3, 0x80000000, v3
	v_xor_b32_e32 v2, 0x80000000, v2
	ds_write_b64 v4, v[2:3] offset:27056
; %bb.831:
	s_or_b64 exec, exec, s[12:13]
	s_waitcnt lgkmcnt(0)
	s_barrier
	s_barrier
	s_and_saveexec_b64 s[12:13], vcc
	s_cbranch_execz .LBB55_833
; %bb.832:
	s_mov_b64 s[14:15], 0x3f800000
	v_mov_b32_e32 v2, s14
	v_mov_b32_e32 v3, s15
	s_movk_i32 s14, 0x6800
	v_add_u32_e64 v19, s14, 0
	ds_write2_b64 v19, v[2:3], v[2:3] offset0:182 offset1:247
.LBB55_833:
	s_or_b64 exec, exec, s[12:13]
	v_mov_b32_e32 v3, 0
	v_mov_b32_e32 v2, 0
	s_waitcnt lgkmcnt(0)
	s_barrier
	s_and_saveexec_b64 s[14:15], s[10:11]
	s_cbranch_execz .LBB55_843
; %bb.834:
	v_mul_u32_u24_e32 v19, 0x208, v18
	ds_read_b64 v[2:3], v14 offset:25024
	ds_read_b64 v[20:21], v19 offset:24960
	v_cmp_gt_u32_e64 s[12:13], 56, v7
	s_waitcnt lgkmcnt(0)
	v_mul_f32_e32 v22, v21, v3
	v_mul_f32_e32 v3, v20, v3
	v_fma_f32 v20, v20, v2, -v22
	v_fmac_f32_e32 v3, v21, v2
	v_add_f32_e32 v2, 0, v20
	v_add_f32_e32 v3, 0, v3
	s_and_saveexec_b64 s[16:17], s[12:13]
	s_cbranch_execnz .LBB55_1032
; %bb.835:
	s_or_b64 exec, exec, s[16:17]
	v_cmp_gt_u32_e64 s[12:13], 48, v7
	s_and_saveexec_b64 s[16:17], s[12:13]
	s_cbranch_execnz .LBB55_1033
.LBB55_836:
	s_or_b64 exec, exec, s[16:17]
	v_cmp_gt_u32_e64 s[12:13], 40, v7
	s_and_saveexec_b64 s[16:17], s[12:13]
	s_cbranch_execnz .LBB55_1034
.LBB55_837:
	s_or_b64 exec, exec, s[16:17]
	v_cmp_gt_u32_e64 s[12:13], 32, v7
	s_and_saveexec_b64 s[16:17], s[12:13]
	s_cbranch_execnz .LBB55_1035
.LBB55_838:
	s_or_b64 exec, exec, s[16:17]
	v_cmp_gt_u32_e64 s[12:13], 24, v7
	s_and_saveexec_b64 s[16:17], s[12:13]
	s_cbranch_execnz .LBB55_1036
.LBB55_839:
	s_or_b64 exec, exec, s[16:17]
	v_cmp_gt_u32_e64 s[12:13], 16, v7
	s_and_saveexec_b64 s[16:17], s[12:13]
	s_cbranch_execnz .LBB55_1037
.LBB55_840:
	s_or_b64 exec, exec, s[16:17]
	v_cmp_gt_u32_e64 s[12:13], 8, v7
	s_and_saveexec_b64 s[16:17], s[12:13]
	s_cbranch_execz .LBB55_842
.LBB55_841:
	v_lshlrev_b32_e32 v17, 3, v0
	v_mov_b32_e32 v19, 0
	ds_read_b64 v[17:18], v17 offset:28608
	ds_read_b64 v[19:20], v19 offset:25016
	s_waitcnt lgkmcnt(0)
	v_mul_f32_e32 v21, v20, v18
	v_mul_f32_e32 v18, v19, v18
	v_fma_f32 v19, v19, v17, -v21
	v_fmac_f32_e32 v18, v20, v17
	v_add_f32_e32 v2, v2, v19
	v_add_f32_e32 v3, v3, v18
.LBB55_842:
	s_or_b64 exec, exec, s[16:17]
	v_xor_b32_e32 v2, 0x80000000, v2
	v_xor_b32_e32 v3, 0x80000000, v3
.LBB55_843:
	s_or_b64 exec, exec, s[14:15]
	s_and_saveexec_b64 s[12:13], s[58:59]
; %bb.844:
	ds_write_b64 v16, v[2:3]
; %bb.845:
	s_or_b64 exec, exec, s[12:13]
	s_waitcnt lgkmcnt(0)
	s_barrier
	s_and_saveexec_b64 s[12:13], s[60:61]
	s_cbranch_execz .LBB55_847
; %bb.846:
	ds_read_b64 v[17:18], v15 offset:29120
	ds_read_b64 v[19:20], v16
	s_waitcnt lgkmcnt(0)
	v_mul_f32_e32 v21, v20, v18
	v_mul_f32_e32 v18, v19, v18
	v_fma_f32 v19, v19, v17, -v21
	v_fmac_f32_e32 v18, v20, v17
	v_add_f32_e32 v2, v2, v19
	v_add_f32_e32 v3, v3, v18
.LBB55_847:
	s_or_b64 exec, exec, s[12:13]
	s_barrier
	s_and_saveexec_b64 s[12:13], s[62:63]
; %bb.848:
	ds_write_b64 v16, v[2:3]
; %bb.849:
	s_or_b64 exec, exec, s[12:13]
	s_waitcnt lgkmcnt(0)
	s_barrier
	s_and_saveexec_b64 s[12:13], s[64:65]
	s_cbranch_execz .LBB55_851
; %bb.850:
	ds_read_b64 v[17:18], v15 offset:29632
	ds_read_b64 v[19:20], v16
	s_waitcnt lgkmcnt(0)
	v_mul_f32_e32 v21, v20, v18
	v_mul_f32_e32 v18, v19, v18
	v_fma_f32 v19, v19, v17, -v21
	v_fmac_f32_e32 v18, v20, v17
	v_add_f32_e32 v2, v2, v19
	v_add_f32_e32 v3, v3, v18
.LBB55_851:
	s_or_b64 exec, exec, s[12:13]
	s_barrier
	;; [unrolled: 22-line block ×6, first 2 shown]
	s_and_saveexec_b64 s[12:13], s[82:83]
; %bb.868:
	ds_write_b64 v16, v[2:3]
; %bb.869:
	s_or_b64 exec, exec, s[12:13]
	s_waitcnt lgkmcnt(0)
	s_barrier
	s_and_saveexec_b64 s[12:13], s[56:57]
	s_cbranch_execz .LBB55_871
; %bb.870:
	v_mov_b32_e32 v15, 0
	ds_read_b64 v[17:18], v15 offset:32248
	ds_read_b64 v[19:20], v16
	s_waitcnt lgkmcnt(0)
	v_mul_f32_e32 v15, v20, v18
	v_mul_f32_e32 v18, v19, v18
	v_fma_f32 v15, v19, v17, -v15
	v_fmac_f32_e32 v18, v20, v17
	v_add_f32_e32 v2, v2, v15
	v_add_f32_e32 v3, v3, v18
.LBB55_871:
	s_or_b64 exec, exec, s[12:13]
	s_barrier
	s_and_saveexec_b64 s[12:13], s[56:57]
; %bb.872:
	ds_write_b64 v16, v[2:3]
; %bb.873:
	s_or_b64 exec, exec, s[12:13]
	s_waitcnt lgkmcnt(0)
	s_barrier
	s_barrier
	s_and_saveexec_b64 s[12:13], s[10:11]
; %bb.874:
	v_xor_b32_e32 v3, 0x80000000, v3
	v_xor_b32_e32 v2, 0x80000000, v2
	ds_write_b64 v14, v[2:3] offset:25024
; %bb.875:
	s_or_b64 exec, exec, s[12:13]
	s_waitcnt lgkmcnt(0)
	s_barrier
	s_barrier
	s_and_saveexec_b64 s[10:11], vcc
	s_cbranch_execz .LBB55_877
; %bb.876:
	s_mov_b64 s[12:13], 0x3f800000
	v_mov_b32_e32 v2, s12
	v_mov_b32_e32 v3, s13
	s_movk_i32 s12, 0x7000
	v_add_u32_e64 v14, s12, 0
	ds_write2_b64 v14, v[2:3], v[2:3] offset0:56 offset1:121
.LBB55_877:
	s_or_b64 exec, exec, s[10:11]
	v_mov_b32_e32 v3, 0
	v_mov_b32_e32 v2, 0
	s_waitcnt lgkmcnt(0)
	s_barrier
	s_and_saveexec_b64 s[12:13], s[6:7]
	s_cbranch_execz .LBB55_881
; %bb.878:
	v_mul_u32_u24_e32 v14, 0x208, v6
	ds_read_b64 v[2:3], v4 offset:29136
	ds_read_b64 v[14:15], v14 offset:29120
	v_cmp_gt_u32_e64 s[10:11], 2, v7
	s_waitcnt lgkmcnt(0)
	v_mul_f32_e32 v16, v15, v3
	v_mul_f32_e32 v3, v14, v3
	v_fma_f32 v14, v14, v2, -v16
	v_fmac_f32_e32 v3, v15, v2
	v_add_f32_e32 v2, 0, v14
	v_add_f32_e32 v3, 0, v3
	s_and_saveexec_b64 s[14:15], s[10:11]
	s_cbranch_execz .LBB55_880
; %bb.879:
	v_lshlrev_b32_e32 v14, 3, v0
	v_mov_b32_e32 v16, 0
	ds_read_b64 v[14:15], v14 offset:29648
	ds_read_b64 v[16:17], v16 offset:29128
	s_waitcnt lgkmcnt(0)
	v_mul_f32_e32 v18, v17, v15
	v_mul_f32_e32 v15, v16, v15
	v_fma_f32 v16, v16, v14, -v18
	v_fmac_f32_e32 v15, v17, v14
	v_add_f32_e32 v2, v2, v16
	v_add_f32_e32 v3, v3, v15
.LBB55_880:
	s_or_b64 exec, exec, s[14:15]
	v_xor_b32_e32 v2, 0x80000000, v2
	v_xor_b32_e32 v3, 0x80000000, v3
.LBB55_881:
	s_or_b64 exec, exec, s[12:13]
	s_and_saveexec_b64 s[10:11], s[34:35]
; %bb.882:
	ds_write_b64 v5, v[2:3]
; %bb.883:
	s_or_b64 exec, exec, s[10:11]
	s_waitcnt lgkmcnt(0)
	s_barrier
	s_and_saveexec_b64 s[10:11], s[30:31]
	s_cbranch_execz .LBB55_885
; %bb.884:
	v_mov_b32_e32 v14, 0
	ds_read_b64 v[14:15], v14 offset:30168
	ds_read_b64 v[16:17], v5
	s_waitcnt lgkmcnt(0)
	v_mul_f32_e32 v18, v17, v15
	v_mul_f32_e32 v15, v16, v15
	v_fma_f32 v16, v16, v14, -v18
	v_fmac_f32_e32 v15, v17, v14
	v_add_f32_e32 v2, v2, v16
	v_add_f32_e32 v3, v3, v15
.LBB55_885:
	s_or_b64 exec, exec, s[10:11]
	s_barrier
	s_and_saveexec_b64 s[10:11], s[30:31]
; %bb.886:
	ds_write_b64 v5, v[2:3]
; %bb.887:
	s_or_b64 exec, exec, s[10:11]
	s_waitcnt lgkmcnt(0)
	s_barrier
	s_barrier
	s_and_saveexec_b64 s[10:11], s[6:7]
; %bb.888:
	v_xor_b32_e32 v3, 0x80000000, v3
	v_xor_b32_e32 v2, 0x80000000, v2
	ds_write_b64 v4, v[2:3] offset:29136
; %bb.889:
	s_or_b64 exec, exec, s[10:11]
	s_waitcnt lgkmcnt(0)
	s_barrier
	s_barrier
	s_and_saveexec_b64 s[10:11], vcc
	s_cbranch_execz .LBB55_891
; %bb.890:
	s_mov_b64 s[12:13], 0x3f800000
	v_mov_b32_e32 v2, s12
	v_mov_b32_e32 v3, s13
	s_movk_i32 s12, 0x7000
	v_add_u32_e64 v14, s12, 0
	ds_write2_b64 v14, v[2:3], v[2:3] offset0:186 offset1:251
.LBB55_891:
	s_or_b64 exec, exec, s[10:11]
	v_mov_b32_e32 v3, 0
	v_mov_b32_e32 v2, 0
	s_waitcnt lgkmcnt(0)
	s_barrier
	s_and_saveexec_b64 s[12:13], s[18:19]
	s_cbranch_execz .LBB55_897
; %bb.892:
	v_mul_u32_u24_e32 v14, 0x208, v13
	ds_read_b64 v[2:3], v9 offset:29152
	ds_read_b64 v[15:16], v14 offset:29120
	v_cmp_gt_u32_e64 s[10:11], 12, v7
	s_waitcnt lgkmcnt(0)
	v_mul_f32_e32 v17, v16, v3
	v_mul_f32_e32 v3, v15, v3
	v_fma_f32 v15, v15, v2, -v17
	v_fmac_f32_e32 v3, v16, v2
	v_add_f32_e32 v2, 0, v15
	v_add_f32_e32 v3, 0, v3
	s_and_saveexec_b64 s[14:15], s[10:11]
	s_cbranch_execnz .LBB55_1038
; %bb.893:
	s_or_b64 exec, exec, s[14:15]
	v_cmp_gt_u32_e64 s[10:11], 8, v7
	s_and_saveexec_b64 s[14:15], s[10:11]
	s_cbranch_execnz .LBB55_1039
.LBB55_894:
	s_or_b64 exec, exec, s[14:15]
	v_cmp_gt_u32_e64 s[10:11], 4, v7
	s_and_saveexec_b64 s[14:15], s[10:11]
	s_cbranch_execz .LBB55_896
.LBB55_895:
	v_lshlrev_b32_e32 v12, 3, v0
	v_mov_b32_e32 v14, 0
	ds_read_b64 v[12:13], v12 offset:30688
	ds_read_b64 v[14:15], v14 offset:29144
	s_waitcnt lgkmcnt(0)
	v_mul_f32_e32 v16, v15, v13
	v_mul_f32_e32 v13, v14, v13
	v_fma_f32 v14, v14, v12, -v16
	v_fmac_f32_e32 v13, v15, v12
	v_add_f32_e32 v2, v2, v14
	v_add_f32_e32 v3, v3, v13
.LBB55_896:
	s_or_b64 exec, exec, s[14:15]
	v_xor_b32_e32 v2, 0x80000000, v2
	v_xor_b32_e32 v3, 0x80000000, v3
.LBB55_897:
	s_or_b64 exec, exec, s[12:13]
	s_and_saveexec_b64 s[10:11], s[38:39]
; %bb.898:
	ds_write_b64 v11, v[2:3]
; %bb.899:
	s_or_b64 exec, exec, s[10:11]
	s_waitcnt lgkmcnt(0)
	s_barrier
	s_and_saveexec_b64 s[10:11], s[42:43]
	s_cbranch_execz .LBB55_901
; %bb.900:
	ds_read_b64 v[12:13], v10 offset:31200
	ds_read_b64 v[14:15], v11
	s_waitcnt lgkmcnt(0)
	v_mul_f32_e32 v16, v15, v13
	v_mul_f32_e32 v13, v14, v13
	v_fma_f32 v14, v14, v12, -v16
	v_fmac_f32_e32 v13, v15, v12
	v_add_f32_e32 v2, v2, v14
	v_add_f32_e32 v3, v3, v13
.LBB55_901:
	s_or_b64 exec, exec, s[10:11]
	s_barrier
	s_and_saveexec_b64 s[10:11], s[44:45]
; %bb.902:
	ds_write_b64 v11, v[2:3]
; %bb.903:
	s_or_b64 exec, exec, s[10:11]
	s_waitcnt lgkmcnt(0)
	s_barrier
	s_and_saveexec_b64 s[10:11], s[52:53]
	s_cbranch_execz .LBB55_905
; %bb.904:
	ds_read_b64 v[12:13], v10 offset:31712
	ds_read_b64 v[14:15], v11
	s_waitcnt lgkmcnt(0)
	v_mul_f32_e32 v10, v15, v13
	v_mul_f32_e32 v13, v14, v13
	v_fma_f32 v10, v14, v12, -v10
	v_fmac_f32_e32 v13, v15, v12
	v_add_f32_e32 v2, v2, v10
	v_add_f32_e32 v3, v3, v13
.LBB55_905:
	s_or_b64 exec, exec, s[10:11]
	s_barrier
	s_and_saveexec_b64 s[10:11], s[54:55]
; %bb.906:
	ds_write_b64 v11, v[2:3]
; %bb.907:
	s_or_b64 exec, exec, s[10:11]
	s_waitcnt lgkmcnt(0)
	s_barrier
	s_and_saveexec_b64 s[10:11], s[36:37]
	s_cbranch_execz .LBB55_909
; %bb.908:
	v_mov_b32_e32 v10, 0
	ds_read_b64 v[12:13], v10 offset:32248
	ds_read_b64 v[14:15], v11
	s_waitcnt lgkmcnt(0)
	v_mul_f32_e32 v10, v15, v13
	v_mul_f32_e32 v13, v14, v13
	v_fma_f32 v10, v14, v12, -v10
	v_fmac_f32_e32 v13, v15, v12
	v_add_f32_e32 v2, v2, v10
	v_add_f32_e32 v3, v3, v13
.LBB55_909:
	s_or_b64 exec, exec, s[10:11]
	s_barrier
	s_and_saveexec_b64 s[10:11], s[36:37]
; %bb.910:
	ds_write_b64 v11, v[2:3]
; %bb.911:
	s_or_b64 exec, exec, s[10:11]
	s_waitcnt lgkmcnt(0)
	s_barrier
	s_barrier
	s_and_saveexec_b64 s[10:11], s[18:19]
; %bb.912:
	v_xor_b32_e32 v2, 0x80000000, v2
	v_xor_b32_e32 v3, 0x80000000, v3
	ds_write_b64 v9, v[2:3] offset:29152
; %bb.913:
	s_or_b64 exec, exec, s[10:11]
	s_waitcnt lgkmcnt(0)
	s_barrier
	s_barrier
	s_and_saveexec_b64 s[10:11], vcc
	s_cbranch_execz .LBB55_915
; %bb.914:
	s_mov_b64 s[12:13], 0x3f800000
	v_mov_b32_e32 v2, s12
	v_mov_b32_e32 v3, s13
	s_movk_i32 s12, 0x7800
	v_add_u32_e64 v9, s12, 0
	ds_write2_b64 v9, v[2:3], v[2:3] offset0:60 offset1:125
.LBB55_915:
	s_or_b64 exec, exec, s[10:11]
	v_mov_b32_e32 v3, 0
	v_mov_b32_e32 v2, 0
	s_waitcnt lgkmcnt(0)
	s_barrier
	s_and_saveexec_b64 s[12:13], s[6:7]
	s_cbranch_execz .LBB55_919
; %bb.916:
	v_mul_u32_u24_e32 v6, 0x208, v6
	ds_read_b64 v[2:3], v4 offset:31216
	ds_read_b64 v[9:10], v6 offset:31200
	v_cmp_gt_u32_e64 s[10:11], 2, v7
	s_waitcnt lgkmcnt(0)
	v_mul_f32_e32 v6, v10, v3
	v_mul_f32_e32 v3, v9, v3
	v_fma_f32 v6, v9, v2, -v6
	v_fmac_f32_e32 v3, v10, v2
	v_add_f32_e32 v2, 0, v6
	v_add_f32_e32 v3, 0, v3
	s_and_saveexec_b64 s[14:15], s[10:11]
	s_cbranch_execz .LBB55_918
; %bb.917:
	v_lshlrev_b32_e32 v6, 3, v0
	v_mov_b32_e32 v11, 0
	ds_read_b64 v[9:10], v6 offset:31728
	ds_read_b64 v[11:12], v11 offset:31208
	s_waitcnt lgkmcnt(0)
	v_mul_f32_e32 v6, v12, v10
	v_mul_f32_e32 v10, v11, v10
	v_fma_f32 v6, v11, v9, -v6
	v_fmac_f32_e32 v10, v12, v9
	v_add_f32_e32 v2, v2, v6
	v_add_f32_e32 v3, v3, v10
.LBB55_918:
	s_or_b64 exec, exec, s[14:15]
	v_xor_b32_e32 v2, 0x80000000, v2
	v_xor_b32_e32 v3, 0x80000000, v3
.LBB55_919:
	s_or_b64 exec, exec, s[12:13]
	s_and_saveexec_b64 s[10:11], s[34:35]
; %bb.920:
	ds_write_b64 v5, v[2:3]
; %bb.921:
	s_or_b64 exec, exec, s[10:11]
	s_waitcnt lgkmcnt(0)
	s_barrier
	s_and_saveexec_b64 s[10:11], s[30:31]
	s_load_dword s20, s[4:5], 0x6c
	s_cbranch_execz .LBB55_923
; %bb.922:
	v_mov_b32_e32 v6, 0
	ds_read_b64 v[9:10], v6 offset:32248
	ds_read_b64 v[11:12], v5
	s_waitcnt lgkmcnt(0)
	v_mul_f32_e32 v6, v12, v10
	v_mul_f32_e32 v10, v11, v10
	v_fma_f32 v6, v11, v9, -v6
	v_fmac_f32_e32 v10, v12, v9
	v_add_f32_e32 v2, v2, v6
	v_add_f32_e32 v3, v3, v10
.LBB55_923:
	s_or_b64 exec, exec, s[10:11]
	s_waitcnt lgkmcnt(0)
	s_barrier
	s_and_saveexec_b64 s[10:11], s[30:31]
; %bb.924:
	ds_write_b64 v5, v[2:3]
; %bb.925:
	s_or_b64 exec, exec, s[10:11]
	s_waitcnt lgkmcnt(0)
	s_barrier
	s_barrier
	s_and_saveexec_b64 s[10:11], s[6:7]
; %bb.926:
	v_xor_b32_e32 v3, 0x80000000, v3
	v_xor_b32_e32 v2, 0x80000000, v2
	ds_write_b64 v4, v[2:3] offset:31216
; %bb.927:
	s_or_b64 exec, exec, s[10:11]
	s_waitcnt lgkmcnt(0)
	s_barrier
	s_barrier
	s_and_saveexec_b64 s[6:7], vcc
	s_cbranch_execz .LBB55_929
; %bb.928:
	s_mov_b64 s[10:11], 0x3f800000
	v_mov_b32_e32 v2, s10
	v_mov_b32_e32 v3, s11
	s_movk_i32 s10, 0x7800
	v_add_u32_e64 v4, s10, 0
	ds_write2_b64 v4, v[2:3], v[2:3] offset0:190 offset1:255
.LBB55_929:
	s_or_b64 exec, exec, s[6:7]
.LBB55_930:
	s_load_dwordx4 s[16:19], s[4:5], 0x48
	v_cmp_le_i32_e32 vcc, s9, v0
	v_mov_b32_e32 v2, 0
	v_lshl_add_u32 v5, s8, 6, v0
	v_mov_b32_e32 v3, v2
	s_waitcnt lgkmcnt(0)
	s_mul_i32 s5, s17, s22
	s_mul_hi_u32 s6, s16, s22
	s_mul_i32 s4, s16, s22
	s_add_i32 s5, s6, s5
	s_lshl_b64 s[4:5], s[4:5], 3
	s_add_u32 s6, s46, s4
	s_addc_u32 s7, s47, s5
	s_lshl_b64 s[4:5], s[48:49], 3
	s_add_u32 s38, s6, s4
	s_addc_u32 s39, s7, s5
	s_and_b64 s[16:17], vcc, s[24:25]
	v_cmp_eq_u32_e64 s[4:5], 0, v1
	s_xor_b64 s[6:7], s[16:17], -1
	s_and_b64 s[10:11], s[4:5], s[6:7]
	s_barrier
	s_and_saveexec_b64 s[6:7], s[10:11]
	s_cbranch_execz .LBB55_932
; %bb.931:
	v_ashrrev_i32_e32 v4, 31, v5
	v_mul_lo_u32 v6, s51, v5
	v_mad_u64_u32 v[2:3], s[10:11], s50, v5, 0
	v_mul_lo_u32 v4, s50, v4
	v_add3_u32 v3, v3, v4, v6
	v_lshlrev_b64 v[2:3], 3, v[2:3]
	v_mov_b32_e32 v4, s39
	v_add_co_u32_e32 v2, vcc, s38, v2
	v_addc_co_u32_e32 v3, vcc, v4, v3, vcc
	global_load_dwordx2 v[3:4], v[2:3], off
	s_waitcnt vmcnt(0)
	v_mul_f32_e32 v2, s26, v3
	v_mul_f32_e32 v6, s26, v4
	v_fma_f32 v2, s27, v4, -v2
	v_fma_f32 v3, v3, -s27, -v6
.LBB55_932:
	s_or_b64 exec, exec, s[6:7]
	s_and_b32 s6, 0xffff, s20
	v_mad_u32_u24 v9, v1, s6, v0
	s_cmp_lt_i32 s8, 1
	v_cmp_eq_u32_e64 s[6:7], 0, v9
	s_cbranch_scc1 .LBB55_951
; %bb.933:
	v_mov_b32_e32 v4, 0
	v_mov_b32_e32 v6, v4
	s_lshl_b64 s[10:11], s[22:23], 2
	v_lshlrev_b64 v[12:13], 3, v[5:6]
	s_add_u32 s26, s18, s10
	s_mov_b64 s[20:21], src_private_base
	s_addc_u32 s27, s19, s11
	v_mov_b32_e32 v11, 0xa000
	v_cmp_gt_i32_e64 s[10:11], s33, v5
	v_mov_b32_e32 v5, s87
	v_add_co_u32_e32 v6, vcc, s86, v12
	s_mul_i32 s14, s41, 0x180
	s_mul_hi_u32 s15, s40, 0x180
	s_mov_b32 s20, 0
	v_cmp_gt_u32_e64 s[12:13], 64, v9
	v_lshl_add_u32 v10, v9, 3, v11
	v_lshl_or_b32 v11, v1, 3, v11
	s_add_i32 s42, s8, -1
	v_addc_co_u32_e32 v12, vcc, v5, v13, vcc
	s_lshl_b64 s[30:31], s[40:41], 7
	s_lshl_b64 s[34:35], s[40:41], 8
	s_add_i32 s43, s15, s14
	s_mul_i32 s44, s40, 0x180
	v_mov_b32_e32 v16, -1
	v_mov_b32_e32 v13, 0
	v_mov_b32_e32 v14, 8
	;; [unrolled: 1-line block ×4, first 2 shown]
	s_branch .LBB55_935
.LBB55_934:                             ;   in Loop: Header=BB55_935 Depth=1
	s_or_b64 exec, exec, s[36:37]
	s_add_i32 s20, s20, 1
	s_cmp_eq_u32 s20, s8
	s_cbranch_scc1 .LBB55_951
.LBB55_935:                             ; =>This Loop Header: Depth=1
                                        ;     Child Loop BB55_937 Depth 2
	v_cmp_gt_i32_e32 vcc, s20, v16
	s_and_b64 s[36:37], s[6:7], vcc
	s_and_saveexec_b64 s[14:15], s[36:37]
	s_cbranch_execz .LBB55_938
; %bb.936:                              ;   in Loop: Header=BB55_935 Depth=1
	global_load_dword v16, v4, s[26:27]
	s_waitcnt vmcnt(0)
	v_cmp_le_i32_e32 vcc, s20, v16
	s_cbranch_vccnz .LBB55_938
.LBB55_937:                             ;   Parent Loop BB55_935 Depth=1
                                        ; =>  This Inner Loop Header: Depth=2
	buffer_wbinvl1_vol
	global_load_dword v16, v4, s[26:27]
	s_waitcnt vmcnt(0)
	v_cmp_gt_i32_e32 vcc, s20, v16
	s_cbranch_vccnz .LBB55_937
.LBB55_938:                             ;   in Loop: Header=BB55_935 Depth=1
	s_or_b64 exec, exec, s[14:15]
	s_lshl_b32 s45, s20, 6
	buffer_wbinvl1_vol
	s_barrier
	s_and_saveexec_b64 s[14:15], s[12:13]
	s_cbranch_execz .LBB55_943
; %bb.939:                              ;   in Loop: Header=BB55_935 Depth=1
	v_or_b32_e32 v5, s45, v9
	v_cmp_le_i32_e32 vcc, s33, v5
	s_and_saveexec_b64 s[36:37], vcc
	s_xor_b64 s[36:37], exec, s[36:37]
; %bb.940:                              ;   in Loop: Header=BB55_935 Depth=1
	v_mov_b32_e32 v5, v4
	ds_write_b64 v10, v[4:5]
                                        ; implicit-def: $vgpr5
; %bb.941:                              ;   in Loop: Header=BB55_935 Depth=1
	s_andn2_saveexec_b64 s[36:37], s[36:37]
	s_cbranch_execz .LBB55_943
; %bb.942:                              ;   in Loop: Header=BB55_935 Depth=1
	v_mad_u64_u32 v[18:19], s[36:37], s50, v5, 0
	v_mad_u64_u32 v[19:20], s[36:37], s51, v5, v[19:20]
	v_mov_b32_e32 v5, s39
	v_lshlrev_b64 v[18:19], 3, v[18:19]
	v_add_co_u32_e32 v18, vcc, s38, v18
	v_addc_co_u32_e32 v19, vcc, v5, v19, vcc
	global_load_dwordx2 v[18:19], v[18:19], off
	s_waitcnt vmcnt(0)
	ds_write_b64 v10, v[18:19]
.LBB55_943:                             ;   in Loop: Header=BB55_935 Depth=1
	s_or_b64 exec, exec, s[14:15]
	v_add_u32_e32 v5, s45, v1
	v_mad_u64_u32 v[18:19], s[14:15], s40, v5, 0
	s_cmp_eq_u32 s20, s42
	s_cselect_b64 vcc, -1, 0
	v_mad_u64_u32 v[19:20], s[14:15], s41, v5, v[19:20]
	s_waitcnt lgkmcnt(0)
	s_barrier
	v_lshlrev_b64 v[18:19], 3, v[18:19]
	v_add_co_u32_e64 v18, s[14:15], v6, v18
	v_addc_co_u32_e64 v19, s[14:15], v12, v19, s[14:15]
	v_cmp_gt_i32_e64 s[14:15], s33, v5
	s_and_b64 s[36:37], s[10:11], s[14:15]
	s_and_saveexec_b64 s[14:15], s[36:37]
	s_cbranch_execz .LBB55_945
; %bb.944:                              ;   in Loop: Header=BB55_935 Depth=1
	v_mov_b32_e32 v20, s21
	v_cndmask_b32_e32 v21, v19, v20, vcc
	v_cndmask_b32_e32 v20, v18, v13, vcc
	flat_load_dwordx2 v[20:21], v[20:21]
	ds_read_b64 v[22:23], v11
	s_waitcnt vmcnt(0) lgkmcnt(0)
	v_mul_f32_e32 v24, v23, v21
	v_mul_f32_e32 v21, v22, v21
	v_fma_f32 v22, v22, v20, -v24
	v_fmac_f32_e32 v21, v23, v20
	v_add_f32_e32 v2, v2, v22
	v_add_f32_e32 v3, v3, v21
.LBB55_945:                             ;   in Loop: Header=BB55_935 Depth=1
	s_or_b64 exec, exec, s[14:15]
	v_add_u32_e32 v20, 16, v5
	v_cmp_gt_i32_e64 s[14:15], s33, v20
	s_and_b64 s[14:15], s[10:11], s[14:15]
	s_and_saveexec_b64 s[36:37], s[14:15]
	s_cbranch_execz .LBB55_947
; %bb.946:                              ;   in Loop: Header=BB55_935 Depth=1
	v_mov_b32_e32 v20, s31
	v_add_co_u32_e64 v22, s[14:15], s30, v18
	v_addc_co_u32_e64 v20, s[14:15], v19, v20, s[14:15]
	v_mov_b32_e32 v21, s21
	v_cndmask_b32_e32 v21, v20, v21, vcc
	v_cndmask_b32_e32 v20, v22, v14, vcc
	flat_load_dwordx2 v[20:21], v[20:21]
	ds_read_b64 v[22:23], v11 offset:128
	s_waitcnt vmcnt(0) lgkmcnt(0)
	v_mul_f32_e32 v24, v23, v21
	v_mul_f32_e32 v21, v22, v21
	v_fma_f32 v22, v22, v20, -v24
	v_fmac_f32_e32 v21, v23, v20
	v_add_f32_e32 v2, v2, v22
	v_add_f32_e32 v3, v3, v21
.LBB55_947:                             ;   in Loop: Header=BB55_935 Depth=1
	s_or_b64 exec, exec, s[36:37]
	v_add_u32_e32 v20, 32, v5
	v_cmp_gt_i32_e64 s[14:15], s33, v20
	s_and_b64 s[14:15], s[10:11], s[14:15]
	s_and_saveexec_b64 s[36:37], s[14:15]
	s_cbranch_execz .LBB55_949
; %bb.948:                              ;   in Loop: Header=BB55_935 Depth=1
	v_mov_b32_e32 v20, s35
	v_add_co_u32_e64 v22, s[14:15], s34, v18
	v_addc_co_u32_e64 v20, s[14:15], v19, v20, s[14:15]
	v_mov_b32_e32 v21, s21
	v_cndmask_b32_e32 v21, v20, v21, vcc
	v_cndmask_b32_e32 v20, v22, v15, vcc
	flat_load_dwordx2 v[20:21], v[20:21]
	ds_read_b64 v[22:23], v11 offset:256
	s_waitcnt vmcnt(0) lgkmcnt(0)
	v_mul_f32_e32 v24, v23, v21
	v_mul_f32_e32 v21, v22, v21
	v_fma_f32 v22, v22, v20, -v24
	v_fmac_f32_e32 v21, v23, v20
	v_add_f32_e32 v2, v2, v22
	v_add_f32_e32 v3, v3, v21
.LBB55_949:                             ;   in Loop: Header=BB55_935 Depth=1
	s_or_b64 exec, exec, s[36:37]
	v_add_u32_e32 v5, 48, v5
	v_cmp_gt_i32_e64 s[14:15], s33, v5
	s_and_b64 s[14:15], s[10:11], s[14:15]
	s_and_saveexec_b64 s[36:37], s[14:15]
	s_cbranch_execz .LBB55_934
; %bb.950:                              ;   in Loop: Header=BB55_935 Depth=1
	v_mov_b32_e32 v5, s43
	v_add_co_u32_e64 v18, s[14:15], s44, v18
	v_addc_co_u32_e64 v5, s[14:15], v19, v5, s[14:15]
	v_mov_b32_e32 v19, s21
	v_cndmask_b32_e32 v19, v5, v19, vcc
	v_cndmask_b32_e32 v18, v18, v17, vcc
	flat_load_dwordx2 v[18:19], v[18:19]
	ds_read_b64 v[20:21], v11 offset:384
	s_waitcnt vmcnt(0) lgkmcnt(0)
	v_mul_f32_e32 v5, v21, v19
	v_mul_f32_e32 v19, v20, v19
	v_fma_f32 v5, v20, v18, -v5
	v_fmac_f32_e32 v19, v21, v18
	v_add_f32_e32 v2, v2, v5
	v_add_f32_e32 v3, v3, v19
	s_branch .LBB55_934
.LBB55_951:
	s_xor_b64 s[6:7], s[24:25], -1
	s_xor_b64 s[10:11], s[28:29], -1
	v_lshlrev_b32_e32 v6, 3, v7
	ds_write_b64 v6, v[2:3] offset:32768
	s_waitcnt lgkmcnt(0)
	s_barrier
	s_and_saveexec_b64 s[12:13], s[4:5]
	s_cbranch_execz .LBB55_953
; %bb.952:
	v_lshlrev_b32_e32 v7, 3, v0
	ds_read2st64_b64 v[10:13], v7 offset0:65 offset1:66
	ds_read2st64_b64 v[14:17], v7 offset0:67 offset1:68
	ds_read_b64 v[18:19], v7 offset:40448
	s_waitcnt lgkmcnt(2)
	v_add_f32_e32 v2, v2, v10
	v_add_f32_e32 v3, v3, v11
	;; [unrolled: 1-line block ×4, first 2 shown]
	ds_read2st64_b64 v[2:5], v7 offset0:69 offset1:70
	s_waitcnt lgkmcnt(2)
	v_add_f32_e32 v10, v10, v14
	v_add_f32_e32 v11, v11, v15
	v_add_f32_e32 v10, v10, v16
	v_add_f32_e32 v14, v11, v17
	s_waitcnt lgkmcnt(0)
	v_add_f32_e32 v2, v10, v2
	ds_read2st64_b64 v[10:13], v7 offset0:71 offset1:72
	v_add_f32_e32 v3, v14, v3
	v_add_f32_e32 v14, v2, v4
	;; [unrolled: 1-line block ×3, first 2 shown]
	ds_read2st64_b64 v[2:5], v7 offset0:73 offset1:74
	s_waitcnt lgkmcnt(1)
	v_add_f32_e32 v10, v14, v10
	v_add_f32_e32 v11, v15, v11
	;; [unrolled: 1-line block ×4, first 2 shown]
	s_waitcnt lgkmcnt(0)
	v_add_f32_e32 v2, v10, v2
	ds_read2st64_b64 v[10:13], v7 offset0:75 offset1:76
	v_add_f32_e32 v3, v14, v3
	v_add_f32_e32 v14, v2, v4
	v_add_f32_e32 v15, v3, v5
	ds_read2st64_b64 v[2:5], v7 offset0:77 offset1:78
	s_waitcnt lgkmcnt(1)
	v_add_f32_e32 v7, v14, v10
	v_add_f32_e32 v10, v15, v11
	;; [unrolled: 1-line block ×4, first 2 shown]
	s_waitcnt lgkmcnt(0)
	v_add_f32_e32 v2, v7, v2
	v_add_f32_e32 v3, v10, v3
	;; [unrolled: 1-line block ×6, first 2 shown]
	v_cndmask_b32_e64 v2, -v2, 0, s[16:17]
	v_cndmask_b32_e64 v3, -v3, 0, s[16:17]
.LBB55_953:
	s_or_b64 exec, exec, s[12:13]
	s_andn2_b64 vcc, exec, s[10:11]
	s_cbranch_vccnz .LBB55_966
; %bb.954:
	v_mov_b32_e32 v4, 0xa000
	v_lshl_or_b32 v7, v1, 3, v4
	s_and_saveexec_b64 s[10:11], s[4:5]
; %bb.955:
	v_lshl_add_u32 v4, v0, 3, v7
	ds_write_b64 v4, v[2:3]
; %bb.956:
	s_or_b64 exec, exec, s[10:11]
	v_cmp_ge_u32_e32 vcc, v0, v1
	v_mov_b32_e32 v4, 0
	v_mov_b32_e32 v5, 0
	s_waitcnt lgkmcnt(0)
	s_barrier
	s_and_saveexec_b64 s[10:11], vcc
	s_cbranch_execz .LBB55_958
; %bb.957:
	ds_read_b64 v[4:5], v6
	ds_read_b64 v[10:11], v7
	s_waitcnt lgkmcnt(0)
	v_mul_f32_e32 v12, v11, v5
	v_mul_f32_e32 v5, v10, v5
	v_fma_f32 v10, v10, v4, -v12
	v_fmac_f32_e32 v5, v11, v4
	v_add_f32_e32 v4, 0, v10
	v_add_f32_e32 v5, 0, v5
.LBB55_958:
	s_or_b64 exec, exec, s[10:11]
	v_add_u32_e32 v10, 16, v1
	v_cmp_ge_u32_e32 vcc, v0, v10
	s_and_saveexec_b64 s[10:11], vcc
	s_cbranch_execz .LBB55_960
; %bb.959:
	ds_read_b64 v[10:11], v6 offset:8192
	ds_read_b64 v[12:13], v7 offset:128
	s_waitcnt lgkmcnt(0)
	v_mul_f32_e32 v14, v13, v11
	v_mul_f32_e32 v11, v12, v11
	v_fma_f32 v12, v12, v10, -v14
	v_fmac_f32_e32 v11, v13, v10
	v_add_f32_e32 v4, v4, v12
	v_add_f32_e32 v5, v5, v11
.LBB55_960:
	s_or_b64 exec, exec, s[10:11]
	v_add_u32_e32 v10, 32, v1
	v_cmp_ge_u32_e32 vcc, v0, v10
	s_and_saveexec_b64 s[10:11], vcc
	s_cbranch_execz .LBB55_962
; %bb.961:
	ds_read_b64 v[10:11], v6 offset:16384
	ds_read_b64 v[12:13], v7 offset:256
	s_waitcnt lgkmcnt(0)
	v_mul_f32_e32 v14, v13, v11
	v_mul_f32_e32 v11, v12, v11
	v_fma_f32 v12, v12, v10, -v14
	v_fmac_f32_e32 v11, v13, v10
	v_add_f32_e32 v4, v4, v12
	v_add_f32_e32 v5, v5, v11
.LBB55_962:
	s_or_b64 exec, exec, s[10:11]
	v_add_u32_e32 v1, 48, v1
	v_add_u32_e32 v10, 0x8000, v6
	v_cmp_ge_u32_e32 vcc, v0, v1
	s_and_saveexec_b64 s[10:11], vcc
	s_cbranch_execz .LBB55_964
; %bb.963:
	ds_read_b64 v[11:12], v6 offset:24576
	ds_read_b64 v[6:7], v7 offset:384
	s_waitcnt lgkmcnt(0)
	v_mul_f32_e32 v1, v7, v12
	v_mul_f32_e32 v12, v6, v12
	v_fma_f32 v1, v6, v11, -v1
	v_fmac_f32_e32 v12, v7, v11
	v_add_f32_e32 v4, v4, v1
	v_add_f32_e32 v5, v5, v12
.LBB55_964:
	s_or_b64 exec, exec, s[10:11]
	s_mov_b64 s[12:13], 0
	s_mov_b64 s[10:11], 0
	ds_write_b64 v10, v[4:5]
	s_waitcnt lgkmcnt(0)
	s_barrier
                                        ; implicit-def: $vgpr1
                                        ; implicit-def: $vgpr10
                                        ; implicit-def: $vgpr6_vgpr7
	s_and_saveexec_b64 s[14:15], s[4:5]
	s_cbranch_execz .LBB55_979
; %bb.965:
	v_lshlrev_b32_e32 v1, 3, v0
	ds_read2st64_b64 v[10:13], v1 offset0:65 offset1:66
	ds_read2st64_b64 v[14:17], v1 offset0:67 offset1:68
	ds_read_b64 v[18:19], v1 offset:40448
	s_mov_b64 s[10:11], exec
	s_waitcnt lgkmcnt(2)
	v_add_f32_e32 v4, v4, v10
	v_add_f32_e32 v5, v5, v11
	;; [unrolled: 1-line block ×4, first 2 shown]
	ds_read2st64_b64 v[4:7], v1 offset0:69 offset1:70
	s_waitcnt lgkmcnt(2)
	v_add_f32_e32 v10, v10, v14
	v_add_f32_e32 v11, v11, v15
	;; [unrolled: 1-line block ×4, first 2 shown]
	s_waitcnt lgkmcnt(0)
	v_add_f32_e32 v4, v10, v4
	ds_read2st64_b64 v[10:13], v1 offset0:71 offset1:72
	v_add_f32_e32 v5, v14, v5
	v_add_f32_e32 v14, v4, v6
	;; [unrolled: 1-line block ×3, first 2 shown]
	ds_read2st64_b64 v[4:7], v1 offset0:73 offset1:74
	s_waitcnt lgkmcnt(1)
	v_add_f32_e32 v10, v14, v10
	v_add_f32_e32 v11, v15, v11
	;; [unrolled: 1-line block ×4, first 2 shown]
	s_waitcnt lgkmcnt(0)
	v_add_f32_e32 v4, v10, v4
	ds_read2st64_b64 v[10:13], v1 offset0:75 offset1:76
	v_add_f32_e32 v5, v14, v5
	v_add_f32_e32 v4, v4, v6
	;; [unrolled: 1-line block ×3, first 2 shown]
	ds_read2st64_b64 v[14:17], v1 offset0:77 offset1:78
	s_waitcnt lgkmcnt(1)
	v_add_f32_e32 v1, v4, v10
	v_add_f32_e32 v4, v5, v11
	v_lshl_add_u32 v5, s8, 6, v9
	v_mad_u64_u32 v[6:7], s[16:17], s50, v5, 0
	v_add_f32_e32 v1, v1, v12
	s_waitcnt lgkmcnt(0)
	v_add_f32_e32 v1, v1, v14
	v_add_f32_e32 v4, v4, v13
	;; [unrolled: 1-line block ×3, first 2 shown]
	v_mov_b32_e32 v1, v7
	v_add_f32_e32 v10, v4, v15
	v_mad_u64_u32 v[4:5], s[16:17], s51, v5, v[1:2]
	v_add_f32_e32 v1, v10, v17
	v_add_f32_e32 v10, v11, v18
	;; [unrolled: 1-line block ×3, first 2 shown]
	v_mov_b32_e32 v7, v4
	s_or_b64 exec, exec, s[14:15]
	s_and_b64 vcc, exec, s[12:13]
	s_cbranch_vccnz .LBB55_967
	s_branch .LBB55_980
.LBB55_966:
	s_mov_b64 s[10:11], 0
                                        ; implicit-def: $vgpr1
                                        ; implicit-def: $vgpr10
                                        ; implicit-def: $vgpr6_vgpr7
	s_cbranch_execz .LBB55_980
.LBB55_967:
	s_mov_b32 s14, 0
	v_mov_b32_e32 v1, 0
	v_mov_b32_e32 v4, v0
	s_branch .LBB55_969
.LBB55_968:                             ;   in Loop: Header=BB55_969 Depth=1
	s_or_b64 exec, exec, s[12:13]
	s_add_i32 s14, s14, 2
	v_add_u32_e32 v8, 0x400, v8
	s_cmp_lg_u32 s14, 64
	v_add_u32_e32 v4, -2, v4
	s_barrier
	s_cbranch_scc0 .LBB55_977
.LBB55_969:                             ; =>This Inner Loop Header: Depth=1
	v_cmp_eq_u32_e32 vcc, 0, v4
	s_and_b64 s[16:17], s[4:5], vcc
	s_and_saveexec_b64 s[12:13], s[16:17]
; %bb.970:                              ;   in Loop: Header=BB55_969 Depth=1
	ds_write_b64 v1, v[2:3] offset:41472
; %bb.971:                              ;   in Loop: Header=BB55_969 Depth=1
	s_or_b64 exec, exec, s[12:13]
	v_cmp_lt_u32_e32 vcc, s14, v0
	s_and_b64 s[16:17], s[4:5], vcc
	s_waitcnt lgkmcnt(0)
	s_barrier
	s_and_saveexec_b64 s[12:13], s[16:17]
	s_cbranch_execz .LBB55_973
; %bb.972:                              ;   in Loop: Header=BB55_969 Depth=1
	ds_read_b64 v[5:6], v8
	ds_read_b64 v[10:11], v1 offset:41472
	s_waitcnt lgkmcnt(0)
	v_mul_f32_e32 v7, v11, v6
	v_mul_f32_e32 v6, v10, v6
	v_fma_f32 v7, v10, v5, -v7
	v_fmac_f32_e32 v6, v11, v5
	v_add_f32_e32 v2, v2, v7
	v_add_f32_e32 v3, v3, v6
.LBB55_973:                             ;   in Loop: Header=BB55_969 Depth=1
	s_or_b64 exec, exec, s[12:13]
	s_or_b32 s15, s14, 1
	v_cmp_eq_u32_e32 vcc, s15, v0
	s_and_b64 s[16:17], s[4:5], vcc
	s_barrier
	s_and_saveexec_b64 s[12:13], s[16:17]
; %bb.974:                              ;   in Loop: Header=BB55_969 Depth=1
	ds_write_b64 v1, v[2:3] offset:41472
; %bb.975:                              ;   in Loop: Header=BB55_969 Depth=1
	s_or_b64 exec, exec, s[12:13]
	v_cmp_lt_u32_e32 vcc, s15, v0
	s_and_b64 s[16:17], s[4:5], vcc
	s_waitcnt lgkmcnt(0)
	s_barrier
	s_and_saveexec_b64 s[12:13], s[16:17]
	s_cbranch_execz .LBB55_968
; %bb.976:                              ;   in Loop: Header=BB55_969 Depth=1
	ds_read_b64 v[5:6], v8 offset:512
	ds_read_b64 v[10:11], v1 offset:41472
	s_waitcnt lgkmcnt(0)
	v_mul_f32_e32 v7, v11, v6
	v_mul_f32_e32 v6, v10, v6
	v_fma_f32 v7, v10, v5, -v7
	v_fmac_f32_e32 v6, v11, v5
	v_add_f32_e32 v2, v2, v7
	v_add_f32_e32 v3, v3, v6
	s_branch .LBB55_968
.LBB55_977:
	s_and_b64 vcc, exec, s[6:7]
	s_cbranch_vccz .LBB55_981
; %bb.978:
	s_and_b64 s[6:7], s[4:5], exec
	s_cbranch_execz .LBB55_982
	s_branch .LBB55_983
.LBB55_979:
	s_or_b64 exec, exec, s[14:15]
	s_and_b64 vcc, exec, s[12:13]
	s_cbranch_vccnz .LBB55_967
.LBB55_980:
	v_mov_b32_e32 v3, v1
	v_mov_b32_e32 v2, v10
	s_and_saveexec_b64 s[4:5], s[10:11]
	s_cbranch_execnz .LBB55_986
	s_branch .LBB55_987
.LBB55_981:
	s_mov_b64 s[6:7], 0
.LBB55_982:
	v_cmp_gt_i32_e32 vcc, s9, v0
	s_and_b64 s[4:5], s[4:5], vcc
	s_andn2_b64 s[6:7], s[6:7], exec
	s_and_b64 s[4:5], s[4:5], exec
	s_or_b64 s[6:7], s[6:7], s[4:5]
.LBB55_983:
                                        ; implicit-def: $vgpr6_vgpr7
	s_and_saveexec_b64 s[4:5], s[6:7]
	s_cbranch_execz .LBB55_985
; %bb.984:
	s_lshl_b32 s6, s8, 6
	s_ashr_i32 s7, s6, 31
	v_mov_b32_e32 v0, s7
	v_add_co_u32_e32 v1, vcc, s6, v9
	v_addc_co_u32_e32 v0, vcc, 0, v0, vcc
	v_mul_lo_u32 v0, v0, s50
	v_mul_lo_u32 v4, v1, s51
	v_mad_u64_u32 v[6:7], s[6:7], v1, s50, 0
	s_or_b64 s[10:11], s[10:11], exec
	v_add3_u32 v7, v7, v4, v0
.LBB55_985:
	s_or_b64 exec, exec, s[4:5]
	s_and_saveexec_b64 s[4:5], s[10:11]
	s_cbranch_execz .LBB55_987
.LBB55_986:
	v_lshlrev_b64 v[0:1], 3, v[6:7]
	v_mov_b32_e32 v4, s39
	v_add_co_u32_e32 v0, vcc, s38, v0
	v_addc_co_u32_e32 v1, vcc, v4, v1, vcc
	global_store_dwordx2 v[0:1], v[2:3], off
.LBB55_987:
	s_or_b64 exec, exec, s[4:5]
	v_cmp_eq_u32_e32 vcc, 0, v9
	s_waitcnt vmcnt(0)
	buffer_wbinvl1_vol
	s_barrier
	s_and_saveexec_b64 s[4:5], vcc
	s_cbranch_execz .LBB55_989
; %bb.988:
	s_lshl_b64 s[6:7], s[22:23], 2
	s_add_u32 s6, s18, s6
	s_addc_u32 s7, s19, s7
	v_mov_b32_e32 v0, 0
	global_load_dword v1, v0, s[6:7]
	s_waitcnt vmcnt(0)
	v_add_u32_e32 v1, 1, v1
	global_store_dword v0, v1, s[6:7]
.LBB55_989:
	s_or_b64 exec, exec, s[4:5]
	s_waitcnt vmcnt(0)
	buffer_wbinvl1_vol
	s_endpgm
.LBB55_990:
	v_lshlrev_b32_e32 v14, 3, v13
	v_sub_u32_e32 v14, v11, v14
	v_lshl_add_u32 v14, v12, 3, v14
	ds_read_b64 v[14:15], v14 offset:544
	ds_read_b64 v[16:17], v11 offset:8
	s_waitcnt lgkmcnt(0)
	v_mul_f32_e32 v18, v17, v15
	v_mul_f32_e32 v15, v16, v15
	v_fma_f32 v16, v16, v14, -v18
	v_fmac_f32_e32 v15, v17, v14
	v_add_f32_e32 v2, v2, v16
	v_add_f32_e32 v3, v3, v15
	s_or_b64 exec, exec, s[16:17]
	v_cmp_gt_u32_e64 s[12:13], 8, v7
	s_and_saveexec_b64 s[16:17], s[12:13]
	s_cbranch_execz .LBB55_90
.LBB55_991:
	ds_read_b64 v[14:15], v9 offset:1056
	ds_read_b64 v[16:17], v11 offset:16
	s_waitcnt lgkmcnt(0)
	v_mul_f32_e32 v11, v17, v15
	v_mul_f32_e32 v15, v16, v15
	v_fma_f32 v11, v16, v14, -v11
	v_fmac_f32_e32 v15, v17, v14
	v_add_f32_e32 v2, v2, v11
	v_add_f32_e32 v3, v3, v15
	s_or_b64 exec, exec, s[16:17]
	v_cmp_gt_u32_e64 s[12:13], 4, v7
	s_and_saveexec_b64 s[16:17], s[12:13]
	s_cbranch_execnz .LBB55_91
	s_branch .LBB55_92
.LBB55_992:
	v_lshlrev_b32_e32 v19, 3, v18
	v_sub_u32_e32 v19, v16, v19
	v_lshl_add_u32 v19, v17, 3, v19
	ds_read_b64 v[19:20], v19 offset:576
	ds_read_b64 v[21:22], v16 offset:8
	s_waitcnt lgkmcnt(0)
	v_mul_f32_e32 v23, v22, v20
	v_mul_f32_e32 v20, v21, v20
	v_fma_f32 v21, v21, v19, -v23
	v_fmac_f32_e32 v20, v22, v19
	v_add_f32_e32 v2, v2, v21
	v_add_f32_e32 v3, v3, v20
	s_or_b64 exec, exec, s[20:21]
	v_cmp_gt_u32_e64 s[14:15], 48, v7
	s_and_saveexec_b64 s[20:21], s[14:15]
	s_cbranch_execz .LBB55_128
.LBB55_993:
	v_lshlrev_b32_e32 v19, 3, v18
	v_sub_u32_e32 v19, v16, v19
	v_lshl_add_u32 v19, v17, 3, v19
	ds_read_b64 v[19:20], v19 offset:1088
	ds_read_b64 v[21:22], v16 offset:16
	s_waitcnt lgkmcnt(0)
	v_mul_f32_e32 v23, v22, v20
	v_mul_f32_e32 v20, v21, v20
	v_fma_f32 v21, v21, v19, -v23
	v_fmac_f32_e32 v20, v22, v19
	v_add_f32_e32 v2, v2, v21
	v_add_f32_e32 v3, v3, v20
	s_or_b64 exec, exec, s[20:21]
	v_cmp_gt_u32_e64 s[14:15], 40, v7
	s_and_saveexec_b64 s[20:21], s[14:15]
	s_cbranch_execz .LBB55_129
.LBB55_994:
	v_lshlrev_b32_e32 v19, 3, v18
	v_sub_u32_e32 v19, v16, v19
	v_lshl_add_u32 v19, v17, 3, v19
	ds_read_b64 v[19:20], v19 offset:1600
	ds_read_b64 v[21:22], v16 offset:24
	s_waitcnt lgkmcnt(0)
	v_mul_f32_e32 v23, v22, v20
	v_mul_f32_e32 v20, v21, v20
	v_fma_f32 v21, v21, v19, -v23
	v_fmac_f32_e32 v20, v22, v19
	v_add_f32_e32 v2, v2, v21
	v_add_f32_e32 v3, v3, v20
	s_or_b64 exec, exec, s[20:21]
	v_cmp_gt_u32_e64 s[14:15], 32, v7
	s_and_saveexec_b64 s[20:21], s[14:15]
	s_cbranch_execz .LBB55_130
.LBB55_995:
	ds_read_b64 v[19:20], v14 offset:2112
	ds_read_b64 v[21:22], v16 offset:32
	s_waitcnt lgkmcnt(0)
	v_mul_f32_e32 v23, v22, v20
	v_mul_f32_e32 v20, v21, v20
	v_fma_f32 v21, v21, v19, -v23
	v_fmac_f32_e32 v20, v22, v19
	v_add_f32_e32 v2, v2, v21
	v_add_f32_e32 v3, v3, v20
	s_or_b64 exec, exec, s[20:21]
	v_cmp_gt_u32_e64 s[14:15], 24, v7
	s_and_saveexec_b64 s[20:21], s[14:15]
	s_cbranch_execz .LBB55_131
.LBB55_996:
	v_lshlrev_b32_e32 v19, 3, v18
	v_sub_u32_e32 v19, v16, v19
	v_lshl_add_u32 v19, v17, 3, v19
	ds_read_b64 v[19:20], v19 offset:2624
	ds_read_b64 v[21:22], v16 offset:40
	s_waitcnt lgkmcnt(0)
	v_mul_f32_e32 v23, v22, v20
	v_mul_f32_e32 v20, v21, v20
	v_fma_f32 v21, v21, v19, -v23
	v_fmac_f32_e32 v20, v22, v19
	v_add_f32_e32 v2, v2, v21
	v_add_f32_e32 v3, v3, v20
	s_or_b64 exec, exec, s[20:21]
	v_cmp_gt_u32_e64 s[14:15], 16, v7
	s_and_saveexec_b64 s[20:21], s[14:15]
	s_cbranch_execz .LBB55_132
.LBB55_997:
	ds_read_b64 v[19:20], v14 offset:3136
	ds_read_b64 v[21:22], v16 offset:48
	s_waitcnt lgkmcnt(0)
	v_mul_f32_e32 v16, v22, v20
	v_mul_f32_e32 v20, v21, v20
	v_fma_f32 v16, v21, v19, -v16
	v_fmac_f32_e32 v20, v22, v19
	v_add_f32_e32 v2, v2, v16
	v_add_f32_e32 v3, v3, v20
	s_or_b64 exec, exec, s[20:21]
	v_cmp_gt_u32_e64 s[14:15], 8, v7
	s_and_saveexec_b64 s[20:21], s[14:15]
	s_cbranch_execnz .LBB55_133
	s_branch .LBB55_134
.LBB55_998:
	v_lshlrev_b32_e32 v20, 3, v13
	v_sub_u32_e32 v20, v19, v20
	v_lshl_add_u32 v20, v12, 3, v20
	ds_read_b64 v[20:21], v20 offset:4704
	ds_read_b64 v[22:23], v19 offset:4168
	s_waitcnt lgkmcnt(0)
	v_mul_f32_e32 v24, v23, v21
	v_mul_f32_e32 v21, v22, v21
	v_fma_f32 v22, v22, v20, -v24
	v_fmac_f32_e32 v21, v23, v20
	v_add_f32_e32 v2, v2, v22
	v_add_f32_e32 v3, v3, v21
	s_or_b64 exec, exec, s[16:17]
	v_cmp_gt_u32_e64 s[12:13], 8, v7
	s_and_saveexec_b64 s[16:17], s[12:13]
	s_cbranch_execz .LBB55_186
.LBB55_999:
	ds_read_b64 v[20:21], v9 offset:5216
	ds_read_b64 v[22:23], v19 offset:4176
	s_waitcnt lgkmcnt(0)
	v_mul_f32_e32 v19, v23, v21
	v_mul_f32_e32 v21, v22, v21
	v_fma_f32 v19, v22, v20, -v19
	v_fmac_f32_e32 v21, v23, v20
	v_add_f32_e32 v2, v2, v19
	v_add_f32_e32 v3, v3, v21
	s_or_b64 exec, exec, s[16:17]
	v_cmp_gt_u32_e64 s[12:13], 4, v7
	s_and_saveexec_b64 s[16:17], s[12:13]
	s_cbranch_execnz .LBB55_187
	s_branch .LBB55_188
.LBB55_1000:
	v_lshlrev_b32_e32 v24, 3, v20
	v_lshl_add_u32 v24, v22, 3, v24
	ds_read_b64 v[24:25], v24 offset:5760
	ds_read_b64 v[26:27], v21 offset:88
	s_waitcnt lgkmcnt(0)
	v_mul_f32_e32 v28, v27, v25
	v_mul_f32_e32 v25, v26, v25
	v_fma_f32 v26, v26, v24, -v28
	v_fmac_f32_e32 v25, v27, v24
	v_add_f32_e32 v2, v2, v26
	v_add_f32_e32 v3, v3, v25
	s_or_b64 exec, exec, s[84:85]
	v_cmp_gt_u32_e64 s[16:17], 64, v7
	s_and_saveexec_b64 s[84:85], s[16:17]
	s_cbranch_execz .LBB55_244
.LBB55_1001:
	ds_read_b64 v[24:25], v19 offset:6272
	ds_read_b64 v[26:27], v21 offset:96
	s_waitcnt lgkmcnt(0)
	v_mul_f32_e32 v28, v27, v25
	v_mul_f32_e32 v25, v26, v25
	v_fma_f32 v26, v26, v24, -v28
	v_fmac_f32_e32 v25, v27, v24
	v_add_f32_e32 v2, v2, v26
	v_add_f32_e32 v3, v3, v25
	s_or_b64 exec, exec, s[84:85]
	v_cmp_gt_u32_e64 s[16:17], 48, v7
	s_and_saveexec_b64 s[84:85], s[16:17]
	s_cbranch_execz .LBB55_245
.LBB55_1002:
	v_lshlrev_b32_e32 v24, 3, v20
	v_lshl_add_u32 v24, v22, 3, v24
	ds_read_b64 v[24:25], v24 offset:6784
	ds_read_b64 v[26:27], v21 offset:104
	s_waitcnt lgkmcnt(0)
	v_mul_f32_e32 v28, v27, v25
	v_mul_f32_e32 v25, v26, v25
	v_fma_f32 v26, v26, v24, -v28
	v_fmac_f32_e32 v25, v27, v24
	v_add_f32_e32 v2, v2, v26
	v_add_f32_e32 v3, v3, v25
	s_or_b64 exec, exec, s[84:85]
	v_cmp_gt_u32_e64 s[16:17], 32, v7
	s_and_saveexec_b64 s[84:85], s[16:17]
	s_cbranch_execz .LBB55_246
.LBB55_1003:
	ds_read_b64 v[24:25], v19 offset:7296
	ds_read_b64 v[26:27], v21 offset:112
	s_waitcnt lgkmcnt(0)
	v_mul_f32_e32 v21, v27, v25
	v_mul_f32_e32 v25, v26, v25
	v_fma_f32 v21, v26, v24, -v21
	v_fmac_f32_e32 v25, v27, v24
	v_add_f32_e32 v2, v2, v21
	v_add_f32_e32 v3, v3, v25
	s_or_b64 exec, exec, s[84:85]
	v_cmp_gt_u32_e64 s[16:17], 16, v7
	s_and_saveexec_b64 s[84:85], s[16:17]
	s_cbranch_execnz .LBB55_247
	s_branch .LBB55_248
.LBB55_1004:
	v_lshlrev_b32_e32 v25, 3, v13
	v_sub_u32_e32 v25, v24, v25
	v_lshl_add_u32 v25, v12, 3, v25
	ds_read_b64 v[25:26], v25 offset:8864
	ds_read_b64 v[27:28], v24 offset:8328
	s_waitcnt lgkmcnt(0)
	v_mul_f32_e32 v29, v28, v26
	v_mul_f32_e32 v26, v27, v26
	v_fma_f32 v27, v27, v25, -v29
	v_fmac_f32_e32 v26, v28, v25
	v_add_f32_e32 v2, v2, v27
	v_add_f32_e32 v3, v3, v26
	s_or_b64 exec, exec, s[20:21]
	v_cmp_gt_u32_e64 s[14:15], 8, v7
	s_and_saveexec_b64 s[20:21], s[14:15]
	s_cbranch_execz .LBB55_332
.LBB55_1005:
	ds_read_b64 v[25:26], v9 offset:9376
	ds_read_b64 v[27:28], v24 offset:8336
	s_waitcnt lgkmcnt(0)
	v_mul_f32_e32 v24, v28, v26
	v_mul_f32_e32 v26, v27, v26
	v_fma_f32 v24, v27, v25, -v24
	v_fmac_f32_e32 v26, v28, v25
	v_add_f32_e32 v2, v2, v24
	v_add_f32_e32 v3, v3, v26
	s_or_b64 exec, exec, s[20:21]
	v_cmp_gt_u32_e64 s[14:15], 4, v7
	s_and_saveexec_b64 s[20:21], s[14:15]
	s_cbranch_execnz .LBB55_333
	s_branch .LBB55_334
.LBB55_1006:
	v_lshlrev_b32_e32 v25, 3, v18
	v_sub_u32_e32 v25, v24, v25
	v_lshl_add_u32 v25, v17, 3, v25
	ds_read_b64 v[25:26], v25 offset:8896
	ds_read_b64 v[27:28], v24 offset:8328
	s_waitcnt lgkmcnt(0)
	v_mul_f32_e32 v29, v28, v26
	v_mul_f32_e32 v26, v27, v26
	v_fma_f32 v27, v27, v25, -v29
	v_fmac_f32_e32 v26, v28, v25
	v_add_f32_e32 v2, v2, v27
	v_add_f32_e32 v3, v3, v26
	s_or_b64 exec, exec, s[20:21]
	v_cmp_gt_u32_e64 s[14:15], 48, v7
	s_and_saveexec_b64 s[20:21], s[14:15]
	s_cbranch_execz .LBB55_370
.LBB55_1007:
	v_lshlrev_b32_e32 v25, 3, v18
	v_sub_u32_e32 v25, v24, v25
	v_lshl_add_u32 v25, v17, 3, v25
	ds_read_b64 v[25:26], v25 offset:9408
	ds_read_b64 v[27:28], v24 offset:8336
	s_waitcnt lgkmcnt(0)
	v_mul_f32_e32 v29, v28, v26
	v_mul_f32_e32 v26, v27, v26
	v_fma_f32 v27, v27, v25, -v29
	v_fmac_f32_e32 v26, v28, v25
	v_add_f32_e32 v2, v2, v27
	v_add_f32_e32 v3, v3, v26
	s_or_b64 exec, exec, s[20:21]
	v_cmp_gt_u32_e64 s[14:15], 40, v7
	s_and_saveexec_b64 s[20:21], s[14:15]
	s_cbranch_execz .LBB55_371
.LBB55_1008:
	v_lshlrev_b32_e32 v25, 3, v18
	v_sub_u32_e32 v25, v24, v25
	v_lshl_add_u32 v25, v17, 3, v25
	ds_read_b64 v[25:26], v25 offset:9920
	ds_read_b64 v[27:28], v24 offset:8344
	s_waitcnt lgkmcnt(0)
	v_mul_f32_e32 v29, v28, v26
	v_mul_f32_e32 v26, v27, v26
	v_fma_f32 v27, v27, v25, -v29
	v_fmac_f32_e32 v26, v28, v25
	v_add_f32_e32 v2, v2, v27
	v_add_f32_e32 v3, v3, v26
	s_or_b64 exec, exec, s[20:21]
	v_cmp_gt_u32_e64 s[14:15], 32, v7
	s_and_saveexec_b64 s[20:21], s[14:15]
	s_cbranch_execz .LBB55_372
.LBB55_1009:
	ds_read_b64 v[25:26], v14 offset:10432
	ds_read_b64 v[27:28], v24 offset:8352
	s_waitcnt lgkmcnt(0)
	v_mul_f32_e32 v29, v28, v26
	v_mul_f32_e32 v26, v27, v26
	v_fma_f32 v27, v27, v25, -v29
	v_fmac_f32_e32 v26, v28, v25
	v_add_f32_e32 v2, v2, v27
	v_add_f32_e32 v3, v3, v26
	s_or_b64 exec, exec, s[20:21]
	v_cmp_gt_u32_e64 s[14:15], 24, v7
	s_and_saveexec_b64 s[20:21], s[14:15]
	s_cbranch_execz .LBB55_373
.LBB55_1010:
	v_lshlrev_b32_e32 v25, 3, v18
	v_sub_u32_e32 v25, v24, v25
	v_lshl_add_u32 v25, v17, 3, v25
	ds_read_b64 v[25:26], v25 offset:10944
	ds_read_b64 v[27:28], v24 offset:8360
	s_waitcnt lgkmcnt(0)
	v_mul_f32_e32 v29, v28, v26
	v_mul_f32_e32 v26, v27, v26
	v_fma_f32 v27, v27, v25, -v29
	v_fmac_f32_e32 v26, v28, v25
	v_add_f32_e32 v2, v2, v27
	v_add_f32_e32 v3, v3, v26
	s_or_b64 exec, exec, s[20:21]
	v_cmp_gt_u32_e64 s[14:15], 16, v7
	s_and_saveexec_b64 s[20:21], s[14:15]
	s_cbranch_execz .LBB55_374
.LBB55_1011:
	ds_read_b64 v[25:26], v14 offset:11456
	ds_read_b64 v[27:28], v24 offset:8368
	s_waitcnt lgkmcnt(0)
	v_mul_f32_e32 v24, v28, v26
	v_mul_f32_e32 v26, v27, v26
	v_fma_f32 v24, v27, v25, -v24
	v_fmac_f32_e32 v26, v28, v25
	v_add_f32_e32 v2, v2, v24
	v_add_f32_e32 v3, v3, v26
	s_or_b64 exec, exec, s[20:21]
	v_cmp_gt_u32_e64 s[14:15], 8, v7
	s_and_saveexec_b64 s[20:21], s[14:15]
	s_cbranch_execnz .LBB55_375
	s_branch .LBB55_376
.LBB55_1012:
	v_lshlrev_b32_e32 v25, 3, v13
	v_sub_u32_e32 v25, v24, v25
	v_lshl_add_u32 v25, v12, 3, v25
	ds_read_b64 v[25:26], v25 offset:13024
	ds_read_b64 v[27:28], v24 offset:12488
	s_waitcnt lgkmcnt(0)
	v_mul_f32_e32 v29, v28, v26
	v_mul_f32_e32 v26, v27, v26
	v_fma_f32 v27, v27, v25, -v29
	v_fmac_f32_e32 v26, v28, v25
	v_add_f32_e32 v2, v2, v27
	v_add_f32_e32 v3, v3, v26
	s_or_b64 exec, exec, s[20:21]
	v_cmp_gt_u32_e64 s[14:15], 8, v7
	s_and_saveexec_b64 s[20:21], s[14:15]
	s_cbranch_execz .LBB55_428
.LBB55_1013:
	ds_read_b64 v[25:26], v9 offset:13536
	ds_read_b64 v[27:28], v24 offset:12496
	s_waitcnt lgkmcnt(0)
	v_mul_f32_e32 v24, v28, v26
	v_mul_f32_e32 v26, v27, v26
	v_fma_f32 v24, v27, v25, -v24
	v_fmac_f32_e32 v26, v28, v25
	v_add_f32_e32 v2, v2, v24
	v_add_f32_e32 v3, v3, v26
	s_or_b64 exec, exec, s[20:21]
	v_cmp_gt_u32_e64 s[14:15], 4, v7
	s_and_saveexec_b64 s[20:21], s[14:15]
	s_cbranch_execnz .LBB55_429
	s_branch .LBB55_430
.LBB55_1014:
	ds_read_b64 v[30:31], v29 offset:15104
	ds_read_b64 v[32:33], v28 offset:232
	s_waitcnt lgkmcnt(0)
	v_mul_f32_e32 v34, v33, v31
	v_mul_f32_e32 v31, v32, v31
	v_fma_f32 v32, v32, v30, -v34
	v_fmac_f32_e32 v31, v33, v30
	v_add_f32_e32 v2, v2, v32
	v_add_f32_e32 v3, v3, v31
	s_or_b64 exec, exec, s[98:99]
	v_cmp_gt_u32_e64 s[20:21], 64, v7
	s_and_saveexec_b64 s[98:99], s[20:21]
	s_cbranch_execz .LBB55_522
.LBB55_1015:
	ds_read_b64 v[29:30], v29 offset:15616
	ds_read_b64 v[31:32], v28 offset:240
	s_waitcnt lgkmcnt(0)
	v_mul_f32_e32 v33, v32, v30
	v_mul_f32_e32 v30, v31, v30
	v_fma_f32 v31, v31, v29, -v33
	v_fmac_f32_e32 v30, v32, v29
	v_add_f32_e32 v2, v2, v31
	v_add_f32_e32 v3, v3, v30
	s_or_b64 exec, exec, s[98:99]
	v_cmp_gt_u32_e64 s[20:21], 32, v7
	s_and_saveexec_b64 s[98:99], s[20:21]
	s_cbranch_execnz .LBB55_523
	s_branch .LBB55_524
.LBB55_1016:
	v_lshlrev_b32_e32 v25, 3, v13
	v_sub_u32_e32 v25, v24, v25
	v_lshl_add_u32 v25, v12, 3, v25
	ds_read_b64 v[25:26], v25 offset:17184
	ds_read_b64 v[27:28], v24 offset:16648
	s_waitcnt lgkmcnt(0)
	v_mul_f32_e32 v29, v28, v26
	v_mul_f32_e32 v26, v27, v26
	v_fma_f32 v27, v27, v25, -v29
	v_fmac_f32_e32 v26, v28, v25
	v_add_f32_e32 v2, v2, v27
	v_add_f32_e32 v3, v3, v26
	s_or_b64 exec, exec, s[20:21]
	v_cmp_gt_u32_e64 s[14:15], 8, v7
	s_and_saveexec_b64 s[20:21], s[14:15]
	s_cbranch_execz .LBB55_556
.LBB55_1017:
	ds_read_b64 v[25:26], v9 offset:17696
	ds_read_b64 v[27:28], v24 offset:16656
	s_waitcnt lgkmcnt(0)
	v_mul_f32_e32 v24, v28, v26
	v_mul_f32_e32 v26, v27, v26
	v_fma_f32 v24, v27, v25, -v24
	v_fmac_f32_e32 v26, v28, v25
	v_add_f32_e32 v2, v2, v24
	v_add_f32_e32 v3, v3, v26
	s_or_b64 exec, exec, s[20:21]
	v_cmp_gt_u32_e64 s[14:15], 4, v7
	s_and_saveexec_b64 s[20:21], s[14:15]
	s_cbranch_execnz .LBB55_557
	s_branch .LBB55_558
.LBB55_1018:
	v_lshlrev_b32_e32 v25, 3, v18
	v_sub_u32_e32 v25, v24, v25
	v_lshl_add_u32 v25, v17, 3, v25
	ds_read_b64 v[25:26], v25 offset:17216
	ds_read_b64 v[27:28], v24 offset:16648
	s_waitcnt lgkmcnt(0)
	v_mul_f32_e32 v29, v28, v26
	v_mul_f32_e32 v26, v27, v26
	v_fma_f32 v27, v27, v25, -v29
	v_fmac_f32_e32 v26, v28, v25
	v_add_f32_e32 v2, v2, v27
	v_add_f32_e32 v3, v3, v26
	s_or_b64 exec, exec, s[20:21]
	v_cmp_gt_u32_e64 s[14:15], 48, v7
	s_and_saveexec_b64 s[20:21], s[14:15]
	s_cbranch_execz .LBB55_594
.LBB55_1019:
	v_lshlrev_b32_e32 v25, 3, v18
	v_sub_u32_e32 v25, v24, v25
	v_lshl_add_u32 v25, v17, 3, v25
	ds_read_b64 v[25:26], v25 offset:17728
	ds_read_b64 v[27:28], v24 offset:16656
	s_waitcnt lgkmcnt(0)
	v_mul_f32_e32 v29, v28, v26
	v_mul_f32_e32 v26, v27, v26
	v_fma_f32 v27, v27, v25, -v29
	v_fmac_f32_e32 v26, v28, v25
	v_add_f32_e32 v2, v2, v27
	v_add_f32_e32 v3, v3, v26
	s_or_b64 exec, exec, s[20:21]
	v_cmp_gt_u32_e64 s[14:15], 40, v7
	s_and_saveexec_b64 s[20:21], s[14:15]
	s_cbranch_execz .LBB55_595
.LBB55_1020:
	v_lshlrev_b32_e32 v25, 3, v18
	v_sub_u32_e32 v25, v24, v25
	v_lshl_add_u32 v25, v17, 3, v25
	ds_read_b64 v[25:26], v25 offset:18240
	ds_read_b64 v[27:28], v24 offset:16664
	s_waitcnt lgkmcnt(0)
	v_mul_f32_e32 v29, v28, v26
	v_mul_f32_e32 v26, v27, v26
	v_fma_f32 v27, v27, v25, -v29
	v_fmac_f32_e32 v26, v28, v25
	v_add_f32_e32 v2, v2, v27
	v_add_f32_e32 v3, v3, v26
	s_or_b64 exec, exec, s[20:21]
	v_cmp_gt_u32_e64 s[14:15], 32, v7
	s_and_saveexec_b64 s[20:21], s[14:15]
	s_cbranch_execz .LBB55_596
.LBB55_1021:
	ds_read_b64 v[25:26], v14 offset:18752
	ds_read_b64 v[27:28], v24 offset:16672
	s_waitcnt lgkmcnt(0)
	v_mul_f32_e32 v29, v28, v26
	v_mul_f32_e32 v26, v27, v26
	v_fma_f32 v27, v27, v25, -v29
	v_fmac_f32_e32 v26, v28, v25
	v_add_f32_e32 v2, v2, v27
	v_add_f32_e32 v3, v3, v26
	s_or_b64 exec, exec, s[20:21]
	v_cmp_gt_u32_e64 s[14:15], 24, v7
	s_and_saveexec_b64 s[20:21], s[14:15]
	s_cbranch_execz .LBB55_597
.LBB55_1022:
	v_lshlrev_b32_e32 v25, 3, v18
	v_sub_u32_e32 v25, v24, v25
	v_lshl_add_u32 v25, v17, 3, v25
	ds_read_b64 v[25:26], v25 offset:19264
	ds_read_b64 v[27:28], v24 offset:16680
	s_waitcnt lgkmcnt(0)
	v_mul_f32_e32 v29, v28, v26
	v_mul_f32_e32 v26, v27, v26
	v_fma_f32 v27, v27, v25, -v29
	v_fmac_f32_e32 v26, v28, v25
	v_add_f32_e32 v2, v2, v27
	v_add_f32_e32 v3, v3, v26
	s_or_b64 exec, exec, s[20:21]
	v_cmp_gt_u32_e64 s[14:15], 16, v7
	s_and_saveexec_b64 s[20:21], s[14:15]
	s_cbranch_execz .LBB55_598
.LBB55_1023:
	ds_read_b64 v[25:26], v14 offset:19776
	ds_read_b64 v[27:28], v24 offset:16688
	s_waitcnt lgkmcnt(0)
	v_mul_f32_e32 v24, v28, v26
	v_mul_f32_e32 v26, v27, v26
	v_fma_f32 v24, v27, v25, -v24
	v_fmac_f32_e32 v26, v28, v25
	v_add_f32_e32 v2, v2, v24
	v_add_f32_e32 v3, v3, v26
	s_or_b64 exec, exec, s[20:21]
	v_cmp_gt_u32_e64 s[14:15], 8, v7
	s_and_saveexec_b64 s[20:21], s[14:15]
	s_cbranch_execnz .LBB55_599
	s_branch .LBB55_600
.LBB55_1024:
	v_lshlrev_b32_e32 v25, 3, v13
	v_sub_u32_e32 v25, v24, v25
	v_lshl_add_u32 v25, v12, 3, v25
	ds_read_b64 v[25:26], v25 offset:21344
	ds_read_b64 v[27:28], v24 offset:20808
	s_waitcnt lgkmcnt(0)
	v_mul_f32_e32 v29, v28, v26
	v_mul_f32_e32 v26, v27, v26
	v_fma_f32 v27, v27, v25, -v29
	v_fmac_f32_e32 v26, v28, v25
	v_add_f32_e32 v2, v2, v27
	v_add_f32_e32 v3, v3, v26
	s_or_b64 exec, exec, s[20:21]
	v_cmp_gt_u32_e64 s[14:15], 8, v7
	s_and_saveexec_b64 s[20:21], s[14:15]
	s_cbranch_execz .LBB55_652
.LBB55_1025:
	ds_read_b64 v[25:26], v9 offset:21856
	ds_read_b64 v[27:28], v24 offset:20816
	s_waitcnt lgkmcnt(0)
	v_mul_f32_e32 v24, v28, v26
	v_mul_f32_e32 v26, v27, v26
	v_fma_f32 v24, v27, v25, -v24
	v_fmac_f32_e32 v26, v28, v25
	v_add_f32_e32 v2, v2, v24
	v_add_f32_e32 v3, v3, v26
	s_or_b64 exec, exec, s[20:21]
	v_cmp_gt_u32_e64 s[14:15], 4, v7
	s_and_saveexec_b64 s[20:21], s[14:15]
	s_cbranch_execnz .LBB55_653
	s_branch .LBB55_654
.LBB55_1026:
	v_lshlrev_b32_e32 v23, 3, v20
	v_lshl_add_u32 v23, v22, 3, v23
	ds_read_b64 v[25:26], v23 offset:22400
	ds_read_b64 v[27:28], v24 offset:16728
	s_waitcnt lgkmcnt(0)
	v_mul_f32_e32 v23, v28, v26
	v_mul_f32_e32 v26, v27, v26
	v_fma_f32 v23, v27, v25, -v23
	v_fmac_f32_e32 v26, v28, v25
	v_add_f32_e32 v2, v2, v23
	v_add_f32_e32 v3, v3, v26
	s_or_b64 exec, exec, s[20:21]
	v_cmp_gt_u32_e64 s[14:15], 64, v7
	s_and_saveexec_b64 s[20:21], s[14:15]
	s_cbranch_execz .LBB55_710
.LBB55_1027:
	ds_read_b64 v[25:26], v19 offset:22912
	ds_read_b64 v[27:28], v24 offset:16736
	s_waitcnt lgkmcnt(0)
	v_mul_f32_e32 v23, v28, v26
	v_mul_f32_e32 v26, v27, v26
	v_fma_f32 v23, v27, v25, -v23
	v_fmac_f32_e32 v26, v28, v25
	v_add_f32_e32 v2, v2, v23
	v_add_f32_e32 v3, v3, v26
	s_or_b64 exec, exec, s[20:21]
	v_cmp_gt_u32_e64 s[14:15], 48, v7
	s_and_saveexec_b64 s[20:21], s[14:15]
	s_cbranch_execz .LBB55_711
.LBB55_1028:
	v_lshlrev_b32_e32 v23, 3, v20
	v_lshl_add_u32 v22, v22, 3, v23
	ds_read_b64 v[22:23], v22 offset:23424
	ds_read_b64 v[25:26], v24 offset:16744
	s_waitcnt lgkmcnt(0)
	v_mul_f32_e32 v27, v26, v23
	v_mul_f32_e32 v23, v25, v23
	v_fma_f32 v25, v25, v22, -v27
	v_fmac_f32_e32 v23, v26, v22
	v_add_f32_e32 v2, v2, v25
	v_add_f32_e32 v3, v3, v23
	s_or_b64 exec, exec, s[20:21]
	v_cmp_gt_u32_e64 s[14:15], 32, v7
	s_and_saveexec_b64 s[20:21], s[14:15]
	s_cbranch_execz .LBB55_712
.LBB55_1029:
	ds_read_b64 v[22:23], v19 offset:23936
	ds_read_b64 v[24:25], v24 offset:16752
	s_waitcnt lgkmcnt(0)
	v_mul_f32_e32 v26, v25, v23
	v_mul_f32_e32 v23, v24, v23
	v_fma_f32 v24, v24, v22, -v26
	v_fmac_f32_e32 v23, v25, v22
	v_add_f32_e32 v2, v2, v24
	v_add_f32_e32 v3, v3, v23
	s_or_b64 exec, exec, s[20:21]
	v_cmp_gt_u32_e64 s[14:15], 16, v7
	s_and_saveexec_b64 s[20:21], s[14:15]
	s_cbranch_execnz .LBB55_713
	s_branch .LBB55_714
.LBB55_1030:
	v_lshlrev_b32_e32 v20, 3, v13
	v_sub_u32_e32 v20, v19, v20
	v_lshl_add_u32 v20, v12, 3, v20
	ds_read_b64 v[20:21], v20 offset:25504
	ds_read_b64 v[22:23], v19 offset:24968
	s_waitcnt lgkmcnt(0)
	v_mul_f32_e32 v24, v23, v21
	v_mul_f32_e32 v21, v22, v21
	v_fma_f32 v22, v22, v20, -v24
	v_fmac_f32_e32 v21, v23, v20
	v_add_f32_e32 v2, v2, v22
	v_add_f32_e32 v3, v3, v21
	s_or_b64 exec, exec, s[16:17]
	v_cmp_gt_u32_e64 s[12:13], 8, v7
	s_and_saveexec_b64 s[16:17], s[12:13]
	s_cbranch_execz .LBB55_798
.LBB55_1031:
	ds_read_b64 v[20:21], v9 offset:26016
	ds_read_b64 v[22:23], v19 offset:24976
	s_waitcnt lgkmcnt(0)
	v_mul_f32_e32 v19, v23, v21
	v_mul_f32_e32 v21, v22, v21
	v_fma_f32 v19, v22, v20, -v19
	v_fmac_f32_e32 v21, v23, v20
	v_add_f32_e32 v2, v2, v19
	v_add_f32_e32 v3, v3, v21
	s_or_b64 exec, exec, s[16:17]
	v_cmp_gt_u32_e64 s[12:13], 4, v7
	s_and_saveexec_b64 s[16:17], s[12:13]
	s_cbranch_execnz .LBB55_799
	s_branch .LBB55_800
.LBB55_1032:
	v_lshlrev_b32_e32 v20, 3, v18
	v_sub_u32_e32 v20, v19, v20
	v_lshl_add_u32 v20, v17, 3, v20
	ds_read_b64 v[20:21], v20 offset:25536
	ds_read_b64 v[22:23], v19 offset:24968
	s_waitcnt lgkmcnt(0)
	v_mul_f32_e32 v24, v23, v21
	v_mul_f32_e32 v21, v22, v21
	v_fma_f32 v22, v22, v20, -v24
	v_fmac_f32_e32 v21, v23, v20
	v_add_f32_e32 v2, v2, v22
	v_add_f32_e32 v3, v3, v21
	s_or_b64 exec, exec, s[16:17]
	v_cmp_gt_u32_e64 s[12:13], 48, v7
	s_and_saveexec_b64 s[16:17], s[12:13]
	s_cbranch_execz .LBB55_836
.LBB55_1033:
	v_lshlrev_b32_e32 v20, 3, v18
	v_sub_u32_e32 v20, v19, v20
	v_lshl_add_u32 v20, v17, 3, v20
	ds_read_b64 v[20:21], v20 offset:26048
	ds_read_b64 v[22:23], v19 offset:24976
	s_waitcnt lgkmcnt(0)
	v_mul_f32_e32 v24, v23, v21
	v_mul_f32_e32 v21, v22, v21
	v_fma_f32 v22, v22, v20, -v24
	v_fmac_f32_e32 v21, v23, v20
	v_add_f32_e32 v2, v2, v22
	v_add_f32_e32 v3, v3, v21
	s_or_b64 exec, exec, s[16:17]
	v_cmp_gt_u32_e64 s[12:13], 40, v7
	s_and_saveexec_b64 s[16:17], s[12:13]
	s_cbranch_execz .LBB55_837
.LBB55_1034:
	v_lshlrev_b32_e32 v20, 3, v18
	v_sub_u32_e32 v20, v19, v20
	v_lshl_add_u32 v20, v17, 3, v20
	ds_read_b64 v[20:21], v20 offset:26560
	ds_read_b64 v[22:23], v19 offset:24984
	s_waitcnt lgkmcnt(0)
	v_mul_f32_e32 v24, v23, v21
	v_mul_f32_e32 v21, v22, v21
	v_fma_f32 v22, v22, v20, -v24
	v_fmac_f32_e32 v21, v23, v20
	v_add_f32_e32 v2, v2, v22
	v_add_f32_e32 v3, v3, v21
	s_or_b64 exec, exec, s[16:17]
	v_cmp_gt_u32_e64 s[12:13], 32, v7
	s_and_saveexec_b64 s[16:17], s[12:13]
	s_cbranch_execz .LBB55_838
.LBB55_1035:
	ds_read_b64 v[20:21], v14 offset:27072
	ds_read_b64 v[22:23], v19 offset:24992
	s_waitcnt lgkmcnt(0)
	v_mul_f32_e32 v24, v23, v21
	v_mul_f32_e32 v21, v22, v21
	v_fma_f32 v22, v22, v20, -v24
	v_fmac_f32_e32 v21, v23, v20
	v_add_f32_e32 v2, v2, v22
	v_add_f32_e32 v3, v3, v21
	s_or_b64 exec, exec, s[16:17]
	v_cmp_gt_u32_e64 s[12:13], 24, v7
	s_and_saveexec_b64 s[16:17], s[12:13]
	s_cbranch_execz .LBB55_839
.LBB55_1036:
	v_lshlrev_b32_e32 v18, 3, v18
	v_sub_u32_e32 v18, v19, v18
	v_lshl_add_u32 v17, v17, 3, v18
	ds_read_b64 v[17:18], v17 offset:27584
	ds_read_b64 v[20:21], v19 offset:25000
	s_waitcnt lgkmcnt(0)
	v_mul_f32_e32 v22, v21, v18
	v_mul_f32_e32 v18, v20, v18
	v_fma_f32 v20, v20, v17, -v22
	v_fmac_f32_e32 v18, v21, v17
	v_add_f32_e32 v2, v2, v20
	v_add_f32_e32 v3, v3, v18
	s_or_b64 exec, exec, s[16:17]
	v_cmp_gt_u32_e64 s[12:13], 16, v7
	s_and_saveexec_b64 s[16:17], s[12:13]
	s_cbranch_execz .LBB55_840
.LBB55_1037:
	ds_read_b64 v[17:18], v14 offset:28096
	ds_read_b64 v[19:20], v19 offset:25008
	s_waitcnt lgkmcnt(0)
	v_mul_f32_e32 v21, v20, v18
	v_mul_f32_e32 v18, v19, v18
	v_fma_f32 v19, v19, v17, -v21
	v_fmac_f32_e32 v18, v20, v17
	v_add_f32_e32 v2, v2, v19
	v_add_f32_e32 v3, v3, v18
	s_or_b64 exec, exec, s[16:17]
	v_cmp_gt_u32_e64 s[12:13], 8, v7
	s_and_saveexec_b64 s[16:17], s[12:13]
	s_cbranch_execnz .LBB55_841
	s_branch .LBB55_842
.LBB55_1038:
	v_lshlrev_b32_e32 v13, 3, v13
	v_sub_u32_e32 v13, v14, v13
	v_lshl_add_u32 v12, v12, 3, v13
	ds_read_b64 v[12:13], v12 offset:29664
	ds_read_b64 v[15:16], v14 offset:29128
	s_waitcnt lgkmcnt(0)
	v_mul_f32_e32 v17, v16, v13
	v_mul_f32_e32 v13, v15, v13
	v_fma_f32 v15, v15, v12, -v17
	v_fmac_f32_e32 v13, v16, v12
	v_add_f32_e32 v2, v2, v15
	v_add_f32_e32 v3, v3, v13
	s_or_b64 exec, exec, s[14:15]
	v_cmp_gt_u32_e64 s[10:11], 8, v7
	s_and_saveexec_b64 s[14:15], s[10:11]
	s_cbranch_execz .LBB55_894
.LBB55_1039:
	ds_read_b64 v[12:13], v9 offset:30176
	ds_read_b64 v[14:15], v14 offset:29136
	s_waitcnt lgkmcnt(0)
	v_mul_f32_e32 v16, v15, v13
	v_mul_f32_e32 v13, v14, v13
	v_fma_f32 v14, v14, v12, -v16
	v_fmac_f32_e32 v13, v15, v12
	v_add_f32_e32 v2, v2, v14
	v_add_f32_e32 v3, v3, v13
	s_or_b64 exec, exec, s[14:15]
	v_cmp_gt_u32_e64 s[10:11], 4, v7
	s_and_saveexec_b64 s[14:15], s[10:11]
	s_cbranch_execnz .LBB55_895
	s_branch .LBB55_896
	.section	.rodata,"a",@progbits
	.p2align	6, 0x0
	.amdhsa_kernel _ZL19rocblas_trsv_deviceILi64ELi16ELb1ELb0ELb0ELb1E19rocblas_complex_numIfEPKS1_S3_PS1_EviT7_lllT6_T8_lllPii
		.amdhsa_group_segment_fixed_size 41480
		.amdhsa_private_segment_fixed_size 48
		.amdhsa_kernarg_size 352
		.amdhsa_user_sgpr_count 8
		.amdhsa_user_sgpr_private_segment_buffer 1
		.amdhsa_user_sgpr_dispatch_ptr 0
		.amdhsa_user_sgpr_queue_ptr 0
		.amdhsa_user_sgpr_kernarg_segment_ptr 1
		.amdhsa_user_sgpr_dispatch_id 0
		.amdhsa_user_sgpr_flat_scratch_init 1
		.amdhsa_user_sgpr_private_segment_size 0
		.amdhsa_uses_dynamic_stack 0
		.amdhsa_system_sgpr_private_segment_wavefront_offset 1
		.amdhsa_system_sgpr_workgroup_id_x 1
		.amdhsa_system_sgpr_workgroup_id_y 0
		.amdhsa_system_sgpr_workgroup_id_z 1
		.amdhsa_system_sgpr_workgroup_info 0
		.amdhsa_system_vgpr_workitem_id 1
		.amdhsa_next_free_vgpr 49
		.amdhsa_next_free_sgpr 100
		.amdhsa_reserve_vcc 1
		.amdhsa_reserve_flat_scratch 1
		.amdhsa_float_round_mode_32 0
		.amdhsa_float_round_mode_16_64 0
		.amdhsa_float_denorm_mode_32 3
		.amdhsa_float_denorm_mode_16_64 3
		.amdhsa_dx10_clamp 1
		.amdhsa_ieee_mode 1
		.amdhsa_fp16_overflow 0
		.amdhsa_exception_fp_ieee_invalid_op 0
		.amdhsa_exception_fp_denorm_src 0
		.amdhsa_exception_fp_ieee_div_zero 0
		.amdhsa_exception_fp_ieee_overflow 0
		.amdhsa_exception_fp_ieee_underflow 0
		.amdhsa_exception_fp_ieee_inexact 0
		.amdhsa_exception_int_div_zero 0
	.end_amdhsa_kernel
	.section	.text._ZL19rocblas_trsv_deviceILi64ELi16ELb1ELb0ELb0ELb1E19rocblas_complex_numIfEPKS1_S3_PS1_EviT7_lllT6_T8_lllPii,"axG",@progbits,_ZL19rocblas_trsv_deviceILi64ELi16ELb1ELb0ELb0ELb1E19rocblas_complex_numIfEPKS1_S3_PS1_EviT7_lllT6_T8_lllPii,comdat
.Lfunc_end55:
	.size	_ZL19rocblas_trsv_deviceILi64ELi16ELb1ELb0ELb0ELb1E19rocblas_complex_numIfEPKS1_S3_PS1_EviT7_lllT6_T8_lllPii, .Lfunc_end55-_ZL19rocblas_trsv_deviceILi64ELi16ELb1ELb0ELb0ELb1E19rocblas_complex_numIfEPKS1_S3_PS1_EviT7_lllT6_T8_lllPii
                                        ; -- End function
	.set _ZL19rocblas_trsv_deviceILi64ELi16ELb1ELb0ELb0ELb1E19rocblas_complex_numIfEPKS1_S3_PS1_EviT7_lllT6_T8_lllPii.num_vgpr, 36
	.set _ZL19rocblas_trsv_deviceILi64ELi16ELb1ELb0ELb0ELb1E19rocblas_complex_numIfEPKS1_S3_PS1_EviT7_lllT6_T8_lllPii.num_agpr, 0
	.set _ZL19rocblas_trsv_deviceILi64ELi16ELb1ELb0ELb0ELb1E19rocblas_complex_numIfEPKS1_S3_PS1_EviT7_lllT6_T8_lllPii.numbered_sgpr, 100
	.set _ZL19rocblas_trsv_deviceILi64ELi16ELb1ELb0ELb0ELb1E19rocblas_complex_numIfEPKS1_S3_PS1_EviT7_lllT6_T8_lllPii.num_named_barrier, 0
	.set _ZL19rocblas_trsv_deviceILi64ELi16ELb1ELb0ELb0ELb1E19rocblas_complex_numIfEPKS1_S3_PS1_EviT7_lllT6_T8_lllPii.private_seg_size, 48
	.set _ZL19rocblas_trsv_deviceILi64ELi16ELb1ELb0ELb0ELb1E19rocblas_complex_numIfEPKS1_S3_PS1_EviT7_lllT6_T8_lllPii.uses_vcc, 1
	.set _ZL19rocblas_trsv_deviceILi64ELi16ELb1ELb0ELb0ELb1E19rocblas_complex_numIfEPKS1_S3_PS1_EviT7_lllT6_T8_lllPii.uses_flat_scratch, 1
	.set _ZL19rocblas_trsv_deviceILi64ELi16ELb1ELb0ELb0ELb1E19rocblas_complex_numIfEPKS1_S3_PS1_EviT7_lllT6_T8_lllPii.has_dyn_sized_stack, 0
	.set _ZL19rocblas_trsv_deviceILi64ELi16ELb1ELb0ELb0ELb1E19rocblas_complex_numIfEPKS1_S3_PS1_EviT7_lllT6_T8_lllPii.has_recursion, 0
	.set _ZL19rocblas_trsv_deviceILi64ELi16ELb1ELb0ELb0ELb1E19rocblas_complex_numIfEPKS1_S3_PS1_EviT7_lllT6_T8_lllPii.has_indirect_call, 0
	.section	.AMDGPU.csdata,"",@progbits
; Kernel info:
; codeLenInByte = 33852
; TotalNumSgprs: 106
; NumVgprs: 36
; ScratchSize: 48
; MemoryBound: 1
; FloatMode: 240
; IeeeMode: 1
; LDSByteSize: 41480 bytes/workgroup (compile time only)
; SGPRBlocks: 13
; VGPRBlocks: 12
; NumSGPRsForWavesPerEU: 106
; NumVGPRsForWavesPerEU: 49
; Occupancy: 4
; WaveLimiterHint : 0
; COMPUTE_PGM_RSRC2:SCRATCH_EN: 1
; COMPUTE_PGM_RSRC2:USER_SGPR: 8
; COMPUTE_PGM_RSRC2:TRAP_HANDLER: 0
; COMPUTE_PGM_RSRC2:TGID_X_EN: 1
; COMPUTE_PGM_RSRC2:TGID_Y_EN: 0
; COMPUTE_PGM_RSRC2:TGID_Z_EN: 1
; COMPUTE_PGM_RSRC2:TIDIG_COMP_CNT: 1
	.section	.text._ZL19rocblas_trsv_deviceILi64ELi16ELb1ELb1ELb0ELb1E19rocblas_complex_numIfEPKS1_S3_PS1_EviT7_lllT6_T8_lllPii,"axG",@progbits,_ZL19rocblas_trsv_deviceILi64ELi16ELb1ELb1ELb0ELb1E19rocblas_complex_numIfEPKS1_S3_PS1_EviT7_lllT6_T8_lllPii,comdat
	.globl	_ZL19rocblas_trsv_deviceILi64ELi16ELb1ELb1ELb0ELb1E19rocblas_complex_numIfEPKS1_S3_PS1_EviT7_lllT6_T8_lllPii ; -- Begin function _ZL19rocblas_trsv_deviceILi64ELi16ELb1ELb1ELb0ELb1E19rocblas_complex_numIfEPKS1_S3_PS1_EviT7_lllT6_T8_lllPii
	.p2align	8
	.type	_ZL19rocblas_trsv_deviceILi64ELi16ELb1ELb1ELb0ELb1E19rocblas_complex_numIfEPKS1_S3_PS1_EviT7_lllT6_T8_lllPii,@function
_ZL19rocblas_trsv_deviceILi64ELi16ELb1ELb1ELb0ELb1E19rocblas_complex_numIfEPKS1_S3_PS1_EviT7_lllT6_T8_lllPii: ; @_ZL19rocblas_trsv_deviceILi64ELi16ELb1ELb1ELb0ELb1E19rocblas_complex_numIfEPKS1_S3_PS1_EviT7_lllT6_T8_lllPii
; %bb.0:
	s_load_dwordx16 s[36:51], s[4:5], 0x8
	s_load_dword s28, s[4:5], 0x0
	s_add_u32 flat_scratch_lo, s6, s10
	s_addc_u32 flat_scratch_hi, s7, 0
	s_add_u32 s0, s0, s10
	s_waitcnt lgkmcnt(0)
	s_mul_i32 s6, s43, s9
	s_mul_hi_u32 s7, s42, s9
	s_addc_u32 s1, s1, 0
	s_add_i32 s7, s7, s6
	s_mul_i32 s6, s42, s9
	s_load_dword s11, s[4:5], 0x60
	s_lshl_b64 s[6:7], s[6:7], 3
	s_mov_b32 s26, s9
	s_add_u32 s9, s36, s6
	s_addc_u32 s10, s37, s7
	s_lshl_b64 s[6:7], s[38:39], 3
	s_load_dwordx2 s[24:25], s[44:45], 0x0
	s_load_dword s35, s[4:5], 0x6c
	s_add_u32 s95, s9, s6
	s_addc_u32 s34, s10, s7
	s_waitcnt lgkmcnt(0)
	s_add_i32 s9, s11, -1
	s_sub_i32 s33, s9, s8
	s_cmp_eq_u32 s8, 0
	s_mov_b32 s27, 0
	s_cbranch_scc1 .LBB56_18
; %bb.1:
	s_lshl_b32 s10, s33, 6
	v_add_u32_e32 v6, s10, v0
	v_ashrrev_i32_e32 v2, 31, v6
	v_mul_lo_u32 v7, s40, v2
	v_mul_lo_u32 v8, s41, v6
	v_mad_u64_u32 v[2:3], s[6:7], s40, v6, 0
	v_add3_u32 v4, v1, s10, 64
	v_ashrrev_i32_e32 v5, 31, v4
	v_add3_u32 v3, v3, v7, v8
	v_lshlrev_b64 v[2:3], 3, v[2:3]
	v_mov_b32_e32 v7, s34
	v_add_co_u32_e64 v8, s[6:7], s95, v2
	v_addc_co_u32_e64 v7, s[6:7], v7, v3, s[6:7]
	v_lshlrev_b64 v[2:3], 3, v[4:5]
	v_max_i32_e32 v5, v4, v6
	v_add_co_u32_e64 v2, s[6:7], v8, v2
	v_addc_co_u32_e64 v3, s[6:7], v7, v3, s[6:7]
	v_cmp_gt_i32_e32 vcc, s28, v6
	v_cmp_le_i32_e64 s[6:7], s28, v5
	s_barrier
	s_and_saveexec_b64 s[10:11], s[6:7]
	s_xor_b64 s[6:7], exec, s[10:11]
	s_cbranch_execz .LBB56_3
; %bb.2:
	v_mov_b32_e32 v5, 0
	buffer_store_dword v5, off, s[0:3], 0
	buffer_store_dword v5, off, s[0:3], 0 offset:4
.LBB56_3:
	s_andn2_saveexec_b64 s[6:7], s[6:7]
	s_cbranch_execz .LBB56_5
; %bb.4:
	global_load_dwordx2 v[5:6], v[2:3], off
	s_waitcnt vmcnt(0)
	buffer_store_dword v6, off, s[0:3], 0 offset:4
	buffer_store_dword v5, off, s[0:3], 0
.LBB56_5:
	s_or_b64 exec, exec, s[6:7]
	v_add_u32_e32 v5, 16, v4
	v_cmp_le_i32_e64 s[6:7], s28, v5
	s_xor_b64 s[10:11], vcc, -1
	s_or_b64 s[6:7], s[6:7], s[10:11]
	s_waitcnt vmcnt(0)
	s_barrier
	s_and_saveexec_b64 s[12:13], s[6:7]
	s_xor_b64 s[6:7], exec, s[12:13]
	s_cbranch_execz .LBB56_7
; %bb.6:
	v_mov_b32_e32 v5, 0
	buffer_store_dword v5, off, s[0:3], 0 offset:8
	buffer_store_dword v5, off, s[0:3], 0 offset:12
.LBB56_7:
	s_andn2_saveexec_b64 s[6:7], s[6:7]
	s_cbranch_execz .LBB56_9
; %bb.8:
	global_load_dwordx2 v[5:6], v[2:3], off offset:128
	s_waitcnt vmcnt(0)
	buffer_store_dword v6, off, s[0:3], 0 offset:12
	buffer_store_dword v5, off, s[0:3], 0 offset:8
.LBB56_9:
	s_or_b64 exec, exec, s[6:7]
	v_add_u32_e32 v5, 32, v4
	v_cmp_le_i32_e32 vcc, s28, v5
	s_or_b64 s[6:7], vcc, s[10:11]
	s_waitcnt vmcnt(0)
	s_barrier
	s_and_saveexec_b64 s[12:13], s[6:7]
	s_xor_b64 s[6:7], exec, s[12:13]
	s_cbranch_execz .LBB56_11
; %bb.10:
	v_mov_b32_e32 v5, 0
	buffer_store_dword v5, off, s[0:3], 0 offset:16
	buffer_store_dword v5, off, s[0:3], 0 offset:20
.LBB56_11:
	s_andn2_saveexec_b64 s[6:7], s[6:7]
	s_cbranch_execz .LBB56_13
; %bb.12:
	global_load_dwordx2 v[5:6], v[2:3], off offset:256
	s_waitcnt vmcnt(0)
	buffer_store_dword v6, off, s[0:3], 0 offset:20
	buffer_store_dword v5, off, s[0:3], 0 offset:16
.LBB56_13:
	s_or_b64 exec, exec, s[6:7]
	v_add_u32_e32 v4, 48, v4
	v_cmp_le_i32_e32 vcc, s28, v4
	s_or_b64 s[6:7], vcc, s[10:11]
	s_waitcnt vmcnt(0)
	s_barrier
	s_and_saveexec_b64 s[10:11], s[6:7]
	s_xor_b64 s[6:7], exec, s[10:11]
	s_cbranch_execz .LBB56_15
; %bb.14:
	v_mov_b32_e32 v2, 0
	buffer_store_dword v2, off, s[0:3], 0 offset:24
	buffer_store_dword v2, off, s[0:3], 0 offset:28
                                        ; implicit-def: $vgpr2_vgpr3
.LBB56_15:
	s_andn2_saveexec_b64 s[6:7], s[6:7]
	s_cbranch_execz .LBB56_17
; %bb.16:
	global_load_dwordx2 v[2:3], v[2:3], off offset:384
	s_waitcnt vmcnt(0)
	buffer_store_dword v3, off, s[0:3], 0 offset:28
	buffer_store_dword v2, off, s[0:3], 0 offset:24
.LBB56_17:
	s_or_b64 exec, exec, s[6:7]
.LBB56_18:
	s_ashr_i32 s29, s28, 31
	s_lshr_b32 s6, s29, 26
	s_add_i32 s6, s28, s6
	s_andn2_b32 s6, s6, 63
	s_sub_i32 s94, s28, s6
	s_add_i32 s6, s28, -1
	s_ashr_i32 s7, s6, 31
	s_lshr_b32 s7, s7, 26
	s_add_i32 s6, s6, s7
	s_ashr_i32 s6, s6, 6
	s_cmp_eq_u32 s6, s33
	s_cselect_b64 s[6:7], -1, 0
	s_cmp_lg_u32 s94, 0
	s_cselect_b64 s[10:11], -1, 0
	s_and_b64 s[30:31], s[10:11], s[6:7]
	s_cmp_lt_i32 s8, 5
	s_cselect_b64 s[12:13], -1, 0
	v_lshlrev_b32_e32 v2, 6, v0
	s_mov_b64 s[16:17], -1
	s_or_b64 s[6:7], s[12:13], s[30:31]
	s_and_b64 vcc, exec, s[30:31]
	v_add_u32_e32 v3, v1, v2
	v_cmp_le_u32_e64 s[10:11], v0, v1
	v_lshl_add_u32 v7, v1, 6, v0
	s_cbranch_vccnz .LBB56_44
; %bb.19:
	s_add_u32 s14, s40, 1
	s_addc_u32 s15, s41, 0
	s_lshl_b32 s16, s33, 6
	s_ashr_i32 s17, s16, 31
	s_mul_hi_u32 s18, s14, s16
	s_mul_i32 s17, s14, s17
	s_add_i32 s17, s18, s17
	s_mul_i32 s15, s15, s16
	s_add_i32 s15, s17, s15
	s_mul_i32 s14, s14, s16
	s_lshl_b64 s[14:15], s[14:15], 3
	s_add_u32 s14, s95, s14
	s_addc_u32 s15, s34, s15
	v_lshlrev_b32_e32 v4, 3, v0
	v_mov_b32_e32 v5, s15
	v_add_co_u32_e32 v4, vcc, s14, v4
	v_addc_co_u32_e32 v5, vcc, 0, v5, vcc
	v_cndmask_b32_e64 v6, v7, v3, s[12:13]
	s_and_saveexec_b64 s[12:13], s[10:11]
	s_xor_b64 s[10:11], exec, s[12:13]
	s_cbranch_execz .LBB56_23
; %bb.20:
	v_or_b32_e32 v8, v1, v0
	v_cmp_gt_u32_e32 vcc, 64, v8
	s_and_saveexec_b64 s[12:13], vcc
; %bb.21:
	v_mov_b32_e32 v8, 0
	v_lshlrev_b32_e32 v6, 3, v6
	v_mov_b32_e32 v9, v8
	ds_write_b64 v6, v[8:9]
; %bb.22:
	s_or_b64 exec, exec, s[12:13]
                                        ; implicit-def: $vgpr6
.LBB56_23:
	s_andn2_saveexec_b64 s[10:11], s[10:11]
	s_cbranch_execz .LBB56_25
; %bb.24:
	v_mad_u64_u32 v[8:9], s[12:13], s40, v1, 0
	v_lshlrev_b32_e32 v6, 3, v6
	v_mad_u64_u32 v[9:10], s[12:13], s41, v1, v[9:10]
	v_lshlrev_b64 v[8:9], 3, v[8:9]
	v_add_co_u32_e32 v8, vcc, v4, v8
	v_addc_co_u32_e32 v9, vcc, v5, v9, vcc
	global_load_dwordx2 v[8:9], v[8:9], off
	s_waitcnt vmcnt(0)
	v_xor_b32_e32 v8, 0x80000000, v8
	v_xor_b32_e32 v9, 0x80000000, v9
	ds_write_b64 v6, v[8:9]
.LBB56_25:
	s_or_b64 exec, exec, s[10:11]
	v_add_u32_e32 v8, 16, v1
	v_add_u32_e32 v6, v8, v2
	v_lshl_add_u32 v9, v8, 6, v0
	v_cndmask_b32_e64 v6, v9, v6, s[6:7]
	v_cmp_le_u32_e32 vcc, v0, v8
	s_and_saveexec_b64 s[10:11], vcc
	s_xor_b64 s[10:11], exec, s[10:11]
	s_cbranch_execz .LBB56_29
; %bb.26:
	v_or_b32_e32 v8, v8, v0
	v_cmp_gt_u32_e32 vcc, 64, v8
	s_and_saveexec_b64 s[12:13], vcc
; %bb.27:
	v_mov_b32_e32 v8, 0
	v_lshlrev_b32_e32 v6, 3, v6
	v_mov_b32_e32 v9, v8
	ds_write_b64 v6, v[8:9]
; %bb.28:
	s_or_b64 exec, exec, s[12:13]
                                        ; implicit-def: $vgpr8
                                        ; implicit-def: $vgpr6
.LBB56_29:
	s_andn2_saveexec_b64 s[10:11], s[10:11]
	s_cbranch_execz .LBB56_31
; %bb.30:
	v_mad_u64_u32 v[9:10], s[12:13], s40, v8, 0
	v_lshlrev_b32_e32 v6, 3, v6
	v_mad_u64_u32 v[10:11], s[12:13], s41, v8, v[10:11]
	v_lshlrev_b64 v[8:9], 3, v[9:10]
	v_add_co_u32_e32 v8, vcc, v4, v8
	v_addc_co_u32_e32 v9, vcc, v5, v9, vcc
	global_load_dwordx2 v[8:9], v[8:9], off
	s_waitcnt vmcnt(0)
	v_xor_b32_e32 v8, 0x80000000, v8
	v_xor_b32_e32 v9, 0x80000000, v9
	ds_write_b64 v6, v[8:9]
.LBB56_31:
	s_or_b64 exec, exec, s[10:11]
	v_add_u32_e32 v8, 32, v1
	v_add_u32_e32 v6, v8, v2
	v_lshl_add_u32 v9, v8, 6, v0
	v_cndmask_b32_e64 v6, v9, v6, s[6:7]
	v_cmp_le_u32_e32 vcc, v0, v8
	s_and_saveexec_b64 s[10:11], vcc
	s_xor_b64 s[10:11], exec, s[10:11]
	s_cbranch_execz .LBB56_35
; %bb.32:
	v_or_b32_e32 v8, v8, v0
	v_cmp_gt_u32_e32 vcc, 64, v8
	s_and_saveexec_b64 s[12:13], vcc
; %bb.33:
	v_mov_b32_e32 v8, 0
	v_lshlrev_b32_e32 v6, 3, v6
	v_mov_b32_e32 v9, v8
	ds_write_b64 v6, v[8:9]
; %bb.34:
	s_or_b64 exec, exec, s[12:13]
                                        ; implicit-def: $vgpr8
                                        ; implicit-def: $vgpr6
.LBB56_35:
	s_andn2_saveexec_b64 s[10:11], s[10:11]
	s_cbranch_execz .LBB56_37
; %bb.36:
	v_mad_u64_u32 v[9:10], s[12:13], s40, v8, 0
	v_lshlrev_b32_e32 v6, 3, v6
	v_mad_u64_u32 v[10:11], s[12:13], s41, v8, v[10:11]
	v_lshlrev_b64 v[8:9], 3, v[9:10]
	v_add_co_u32_e32 v8, vcc, v4, v8
	v_addc_co_u32_e32 v9, vcc, v5, v9, vcc
	global_load_dwordx2 v[8:9], v[8:9], off
	s_waitcnt vmcnt(0)
	v_xor_b32_e32 v8, 0x80000000, v8
	v_xor_b32_e32 v9, 0x80000000, v9
	ds_write_b64 v6, v[8:9]
.LBB56_37:
	s_or_b64 exec, exec, s[10:11]
	v_add_u32_e32 v8, 48, v1
	v_add_u32_e32 v6, v8, v2
	v_lshl_add_u32 v9, v8, 6, v0
	v_cndmask_b32_e64 v6, v9, v6, s[6:7]
	v_cmp_le_u32_e32 vcc, v0, v8
	s_and_saveexec_b64 s[10:11], vcc
	s_xor_b64 s[10:11], exec, s[10:11]
	s_cbranch_execz .LBB56_41
; %bb.38:
	v_or_b32_e32 v4, v8, v0
	v_cmp_gt_u32_e32 vcc, 64, v4
	s_and_saveexec_b64 s[12:13], vcc
; %bb.39:
	v_mov_b32_e32 v4, 0
	v_lshlrev_b32_e32 v6, 3, v6
	v_mov_b32_e32 v5, v4
	ds_write_b64 v6, v[4:5]
; %bb.40:
	s_or_b64 exec, exec, s[12:13]
                                        ; implicit-def: $vgpr8
                                        ; implicit-def: $vgpr4
                                        ; implicit-def: $vgpr5
                                        ; implicit-def: $vgpr6
.LBB56_41:
	s_andn2_saveexec_b64 s[10:11], s[10:11]
	s_cbranch_execz .LBB56_43
; %bb.42:
	v_mad_u64_u32 v[9:10], s[12:13], s40, v8, 0
	v_lshlrev_b32_e32 v6, 3, v6
	v_mad_u64_u32 v[10:11], s[12:13], s41, v8, v[10:11]
	v_lshlrev_b64 v[8:9], 3, v[9:10]
	v_add_co_u32_e32 v4, vcc, v4, v8
	v_addc_co_u32_e32 v5, vcc, v5, v9, vcc
	global_load_dwordx2 v[4:5], v[4:5], off
	s_waitcnt vmcnt(0)
	v_xor_b32_e32 v4, 0x80000000, v4
	v_xor_b32_e32 v5, 0x80000000, v5
	ds_write_b64 v6, v[4:5]
.LBB56_43:
	s_or_b64 exec, exec, s[10:11]
	s_mov_b64 s[16:17], 0
.LBB56_44:
	s_xor_b64 s[14:15], s[6:7], -1
	s_and_b64 vcc, exec, s[16:17]
	s_cbranch_vccz .LBB56_70
; %bb.45:
	s_add_u32 s10, s40, 1
	s_addc_u32 s11, s41, 0
	s_lshl_b32 s12, s33, 6
	s_ashr_i32 s13, s12, 31
	s_mul_hi_u32 s16, s10, s12
	s_mul_i32 s13, s10, s13
	s_add_i32 s13, s16, s13
	s_mul_i32 s11, s11, s12
	s_add_i32 s11, s13, s11
	s_mul_i32 s10, s10, s12
	s_lshl_b64 s[10:11], s[10:11], 3
	s_add_u32 s10, s95, s10
	s_addc_u32 s11, s34, s11
	v_lshlrev_b32_e32 v4, 3, v0
	v_mov_b32_e32 v5, s11
	v_add_co_u32_e64 v4, s[10:11], s10, v4
	v_addc_co_u32_e64 v5, s[10:11], 0, v5, s[10:11]
	v_max_i32_e32 v6, v1, v0
	v_cmp_le_u32_e64 s[10:11], v0, v1
	v_cmp_le_i32_e64 s[12:13], s94, v6
	v_cmp_gt_i32_e32 vcc, s94, v0
	s_or_b64 s[10:11], s[12:13], s[10:11]
	s_and_saveexec_b64 s[12:13], s[10:11]
	s_xor_b64 s[12:13], exec, s[12:13]
	s_cbranch_execz .LBB56_49
; %bb.46:
	v_or_b32_e32 v6, v1, v0
	v_cmp_gt_u32_e64 s[10:11], 64, v6
	s_and_saveexec_b64 s[16:17], s[10:11]
; %bb.47:
	v_mov_b32_e32 v8, 0
	v_lshlrev_b32_e32 v3, 3, v3
	v_mov_b32_e32 v9, v8
	ds_write_b64 v3, v[8:9]
; %bb.48:
	s_or_b64 exec, exec, s[16:17]
                                        ; implicit-def: $vgpr3
.LBB56_49:
	s_andn2_saveexec_b64 s[12:13], s[12:13]
	s_cbranch_execz .LBB56_51
; %bb.50:
	v_mad_u64_u32 v[8:9], s[10:11], s40, v1, 0
	v_lshlrev_b32_e32 v3, 3, v3
	v_mov_b32_e32 v6, v9
	v_mad_u64_u32 v[9:10], s[10:11], s41, v1, v[6:7]
	v_lshlrev_b64 v[8:9], 3, v[8:9]
	v_add_co_u32_e64 v8, s[10:11], v4, v8
	v_addc_co_u32_e64 v9, s[10:11], v5, v9, s[10:11]
	global_load_dwordx2 v[8:9], v[8:9], off
	s_waitcnt vmcnt(0)
	v_xor_b32_e32 v8, 0x80000000, v8
	v_xor_b32_e32 v9, 0x80000000, v9
	ds_write_b64 v3, v[8:9]
.LBB56_51:
	s_or_b64 exec, exec, s[12:13]
	v_add_u32_e32 v6, 16, v1
	v_cmp_gt_u32_e64 s[10:11], v0, v6
	v_cmp_gt_i32_e64 s[12:13], s94, v6
	s_and_b64 s[10:11], s[10:11], s[12:13]
	v_add_u32_e32 v3, v6, v2
	v_lshl_add_u32 v8, v6, 6, v0
	s_and_b64 s[10:11], s[10:11], vcc
	v_cndmask_b32_e64 v3, v8, v3, s[6:7]
	s_xor_b64 s[10:11], s[10:11], -1
	s_and_saveexec_b64 s[12:13], s[10:11]
	s_xor_b64 s[12:13], exec, s[12:13]
	s_cbranch_execz .LBB56_55
; %bb.52:
	v_or_b32_e32 v6, v6, v0
	v_cmp_gt_u32_e64 s[10:11], 64, v6
	s_and_saveexec_b64 s[16:17], s[10:11]
; %bb.53:
	v_mov_b32_e32 v8, 0
	v_lshlrev_b32_e32 v3, 3, v3
	v_mov_b32_e32 v9, v8
	ds_write_b64 v3, v[8:9]
; %bb.54:
	s_or_b64 exec, exec, s[16:17]
                                        ; implicit-def: $vgpr6
                                        ; implicit-def: $vgpr3
.LBB56_55:
	s_andn2_saveexec_b64 s[12:13], s[12:13]
	s_cbranch_execz .LBB56_57
; %bb.56:
	v_mad_u64_u32 v[8:9], s[10:11], s40, v6, 0
	v_lshlrev_b32_e32 v3, 3, v3
	v_mad_u64_u32 v[9:10], s[10:11], s41, v6, v[9:10]
	v_lshlrev_b64 v[8:9], 3, v[8:9]
	v_add_co_u32_e64 v8, s[10:11], v4, v8
	v_addc_co_u32_e64 v9, s[10:11], v5, v9, s[10:11]
	global_load_dwordx2 v[8:9], v[8:9], off
	s_waitcnt vmcnt(0)
	v_xor_b32_e32 v8, 0x80000000, v8
	v_xor_b32_e32 v9, 0x80000000, v9
	ds_write_b64 v3, v[8:9]
.LBB56_57:
	s_or_b64 exec, exec, s[12:13]
	v_add_u32_e32 v6, 32, v1
	v_cmp_gt_u32_e64 s[10:11], v0, v6
	v_cmp_gt_i32_e64 s[12:13], s94, v6
	s_and_b64 s[10:11], s[10:11], s[12:13]
	v_add_u32_e32 v3, v6, v2
	v_lshl_add_u32 v8, v6, 6, v0
	s_and_b64 s[10:11], s[10:11], vcc
	v_cndmask_b32_e64 v3, v8, v3, s[6:7]
	s_xor_b64 s[10:11], s[10:11], -1
	s_and_saveexec_b64 s[12:13], s[10:11]
	s_xor_b64 s[12:13], exec, s[12:13]
	s_cbranch_execz .LBB56_61
; %bb.58:
	v_or_b32_e32 v6, v6, v0
	v_cmp_gt_u32_e64 s[10:11], 64, v6
	s_and_saveexec_b64 s[16:17], s[10:11]
; %bb.59:
	v_mov_b32_e32 v8, 0
	v_lshlrev_b32_e32 v3, 3, v3
	v_mov_b32_e32 v9, v8
	ds_write_b64 v3, v[8:9]
; %bb.60:
	s_or_b64 exec, exec, s[16:17]
                                        ; implicit-def: $vgpr6
                                        ; implicit-def: $vgpr3
.LBB56_61:
	s_andn2_saveexec_b64 s[12:13], s[12:13]
	s_cbranch_execz .LBB56_63
; %bb.62:
	v_mad_u64_u32 v[8:9], s[10:11], s40, v6, 0
	v_lshlrev_b32_e32 v3, 3, v3
	v_mad_u64_u32 v[9:10], s[10:11], s41, v6, v[9:10]
	v_lshlrev_b64 v[8:9], 3, v[8:9]
	v_add_co_u32_e64 v8, s[10:11], v4, v8
	v_addc_co_u32_e64 v9, s[10:11], v5, v9, s[10:11]
	global_load_dwordx2 v[8:9], v[8:9], off
	s_waitcnt vmcnt(0)
	v_xor_b32_e32 v8, 0x80000000, v8
	v_xor_b32_e32 v9, 0x80000000, v9
	ds_write_b64 v3, v[8:9]
.LBB56_63:
	s_or_b64 exec, exec, s[12:13]
	v_add_u32_e32 v3, 48, v1
	v_add_u32_e32 v2, v3, v2
	v_lshl_add_u32 v6, v3, 6, v0
	v_cndmask_b32_e64 v2, v6, v2, s[6:7]
	v_cmp_gt_u32_e64 s[6:7], v0, v3
	v_cmp_gt_i32_e64 s[10:11], s94, v3
	s_and_b64 s[6:7], s[6:7], s[10:11]
	s_and_b64 s[6:7], s[6:7], vcc
	s_xor_b64 s[6:7], s[6:7], -1
	s_and_saveexec_b64 s[10:11], s[6:7]
	s_xor_b64 s[6:7], exec, s[10:11]
	s_cbranch_execz .LBB56_67
; %bb.64:
	v_or_b32_e32 v3, v3, v0
	v_cmp_gt_u32_e32 vcc, 64, v3
	s_and_saveexec_b64 s[10:11], vcc
; %bb.65:
	v_lshlrev_b32_e32 v4, 3, v2
	v_mov_b32_e32 v2, 0
	v_mov_b32_e32 v3, v2
	ds_write_b64 v4, v[2:3]
; %bb.66:
	s_or_b64 exec, exec, s[10:11]
                                        ; implicit-def: $vgpr3
                                        ; implicit-def: $vgpr4
                                        ; implicit-def: $vgpr5
                                        ; implicit-def: $vgpr2
.LBB56_67:
	s_andn2_saveexec_b64 s[6:7], s[6:7]
	s_cbranch_execz .LBB56_69
; %bb.68:
	v_mad_u64_u32 v[8:9], s[10:11], s40, v3, 0
	v_lshlrev_b32_e32 v2, 3, v2
	v_mov_b32_e32 v6, v9
	v_mad_u64_u32 v[9:10], s[10:11], s41, v3, v[6:7]
	v_lshlrev_b64 v[8:9], 3, v[8:9]
	v_add_co_u32_e32 v3, vcc, v4, v8
	v_addc_co_u32_e32 v4, vcc, v5, v9, vcc
	global_load_dwordx2 v[3:4], v[3:4], off
	s_waitcnt vmcnt(0)
	v_xor_b32_e32 v3, 0x80000000, v3
	v_xor_b32_e32 v4, 0x80000000, v4
	ds_write_b64 v2, v[3:4]
.LBB56_69:
	s_or_b64 exec, exec, s[6:7]
.LBB56_70:
	v_cndmask_b32_e64 v2, 0, 1, s[14:15]
	v_cmp_ne_u32_e64 s[52:53], 1, v2
	s_andn2_b64 vcc, exec, s[14:15]
	s_waitcnt vmcnt(0) lgkmcnt(0)
	s_barrier
	s_cbranch_vccnz .LBB56_992
; %bb.71:
	v_or_b32_e32 v2, v0, v1
	s_mov_b32 s11, 0
	v_cmp_eq_u32_e32 vcc, 0, v2
	s_and_saveexec_b64 s[6:7], vcc
	s_cbranch_execz .LBB56_73
; %bb.72:
	v_mov_b32_e32 v6, 0
	ds_read_b64 v[2:3], v6 offset:8
	s_mov_b32 s10, 1.0
	v_mov_b32_e32 v4, s10
	v_mov_b32_e32 v5, s11
	ds_write_b64 v6, v[4:5] offset:520
	s_waitcnt lgkmcnt(1)
	ds_write2st64_b64 v6, v[4:5], v[2:3] offset1:1
.LBB56_73:
	s_or_b64 exec, exec, s[6:7]
	v_and_b32_e32 v8, 1, v0
	v_lshrrev_b32_e32 v6, 1, v7
	v_lshlrev_b32_e32 v2, 3, v8
	v_cmp_lt_u32_e64 s[10:11], 3, v7
	v_cmp_gt_u32_e64 s[22:23], 4, v7
	v_lshl_or_b32 v4, v6, 9, v2
	v_mov_b32_e32 v3, 0
	v_mov_b32_e32 v2, 0
	s_waitcnt lgkmcnt(0)
	s_barrier
	s_and_saveexec_b64 s[6:7], s[22:23]
	s_cbranch_execz .LBB56_77
; %bb.74:
	v_mul_u32_u24_e32 v5, 0x208, v6
	ds_read_b64 v[2:3], v4 offset:16
	ds_read_b64 v[9:10], v5
	v_cmp_gt_u32_e64 s[12:13], 2, v7
	s_waitcnt lgkmcnt(0)
	v_mul_f32_e32 v5, v10, v3
	v_mul_f32_e32 v3, v9, v3
	v_fma_f32 v5, v9, v2, -v5
	v_fmac_f32_e32 v3, v10, v2
	v_add_f32_e32 v2, 0, v5
	v_add_f32_e32 v3, 0, v3
	s_and_saveexec_b64 s[14:15], s[12:13]
	s_cbranch_execz .LBB56_76
; %bb.75:
	v_lshlrev_b32_e32 v5, 3, v0
	v_mov_b32_e32 v11, 0
	ds_read_b64 v[9:10], v5 offset:528
	ds_read_b64 v[11:12], v11 offset:8
	s_waitcnt lgkmcnt(0)
	v_mul_f32_e32 v5, v12, v10
	v_mul_f32_e32 v10, v11, v10
	v_fma_f32 v5, v11, v9, -v5
	v_fmac_f32_e32 v10, v12, v9
	v_add_f32_e32 v2, v2, v5
	v_add_f32_e32 v3, v3, v10
.LBB56_76:
	s_or_b64 exec, exec, s[14:15]
	v_xor_b32_e32 v2, 0x80000000, v2
	v_xor_b32_e32 v3, 0x80000000, v3
.LBB56_77:
                                        ; implicit-def: $vgpr34 : SGPR spill to VGPR lane
	v_writelane_b32 v34, s24, 0
	v_writelane_b32 v34, s25, 1
	s_or_b64 exec, exec, s[6:7]
	v_mov_b32_e32 v5, 0x8000
	v_cmp_eq_u32_e64 s[12:13], 0, v8
	s_xor_b64 s[6:7], s[10:11], -1
	v_lshl_add_u32 v5, v6, 3, v5
	s_and_b64 s[38:39], s[12:13], s[6:7]
	s_and_saveexec_b64 s[10:11], s[38:39]
; %bb.78:
	ds_write_b64 v5, v[2:3]
; %bb.79:
	s_or_b64 exec, exec, s[10:11]
	v_cmp_ne_u32_e64 s[10:11], 0, v8
	s_and_b64 s[36:37], s[10:11], s[6:7]
	s_waitcnt lgkmcnt(0)
	s_barrier
	s_and_saveexec_b64 s[6:7], s[36:37]
	s_cbranch_execz .LBB56_81
; %bb.80:
	v_mov_b32_e32 v8, 0
	ds_read_b64 v[8:9], v8 offset:1048
	ds_read_b64 v[10:11], v5
	s_waitcnt lgkmcnt(0)
	v_mul_f32_e32 v12, v11, v9
	v_mul_f32_e32 v9, v10, v9
	v_fma_f32 v10, v10, v8, -v12
	v_fmac_f32_e32 v9, v11, v8
	v_add_f32_e32 v2, v2, v10
	v_add_f32_e32 v3, v3, v9
.LBB56_81:
	s_or_b64 exec, exec, s[6:7]
	s_barrier
	s_and_saveexec_b64 s[6:7], s[36:37]
; %bb.82:
	ds_write_b64 v5, v[2:3]
; %bb.83:
	s_or_b64 exec, exec, s[6:7]
	s_waitcnt lgkmcnt(0)
	s_barrier
	s_barrier
	s_and_saveexec_b64 s[6:7], s[22:23]
; %bb.84:
	v_xor_b32_e32 v3, 0x80000000, v3
	v_xor_b32_e32 v2, 0x80000000, v2
	ds_write_b64 v4, v[2:3] offset:16
; %bb.85:
	s_or_b64 exec, exec, s[6:7]
	v_cmp_eq_u32_e64 s[16:17], 0, v1
	v_cmp_gt_u32_e64 s[10:11], 2, v0
	s_and_b64 s[42:43], s[16:17], s[10:11]
	s_waitcnt lgkmcnt(0)
	s_barrier
	s_barrier
	s_and_saveexec_b64 s[6:7], s[42:43]
	s_cbranch_execz .LBB56_87
; %bb.86:
	v_lshlrev_b32_e32 v8, 3, v0
	s_movk_i32 s10, 0x1f8
	v_mad_u32_u24 v9, v0, s10, v8
	ds_read_b64 v[2:3], v9 offset:16
	s_waitcnt lgkmcnt(0)
	ds_write_b64 v8, v[2:3] offset:1024
	ds_read_b64 v[2:3], v9 offset:24
	s_waitcnt lgkmcnt(0)
	ds_write_b64 v8, v[2:3] offset:1536
.LBB56_87:
	s_or_b64 exec, exec, s[6:7]
	s_waitcnt lgkmcnt(0)
	s_barrier
	s_and_saveexec_b64 s[6:7], vcc
	s_cbranch_execz .LBB56_89
; %bb.88:
	v_mov_b32_e32 v10, 0
	ds_read_b64 v[2:3], v10 offset:1048
	s_mov_b64 s[10:11], 0x3f800000
	v_mov_b32_e32 v8, s10
	v_mov_b32_e32 v9, s11
	ds_write_b64 v10, v[8:9] offset:1560
	s_waitcnt lgkmcnt(1)
	ds_write2_b64 v10, v[8:9], v[2:3] offset0:130 offset1:194
.LBB56_89:
	s_or_b64 exec, exec, s[6:7]
	v_and_b32_e32 v11, 3, v0
	v_lshrrev_b32_e32 v12, 2, v7
	v_lshlrev_b32_e32 v9, 3, v11
	v_cmp_lt_u32_e64 s[12:13], 15, v7
	v_cmp_gt_u32_e64 s[10:11], 16, v7
	v_lshl_or_b32 v8, v12, 9, v9
	v_mov_b32_e32 v3, 0
	v_mov_b32_e32 v2, 0
	s_waitcnt lgkmcnt(0)
	s_barrier
	s_and_saveexec_b64 s[6:7], s[10:11]
	s_cbranch_execz .LBB56_95
; %bb.90:
	v_mul_u32_u24_e32 v10, 0x208, v12
	ds_read_b64 v[2:3], v8 offset:32
	ds_read_b64 v[13:14], v10
	v_cmp_gt_u32_e64 s[14:15], 12, v7
	s_waitcnt lgkmcnt(0)
	v_mul_f32_e32 v15, v14, v3
	v_mul_f32_e32 v3, v13, v3
	v_fma_f32 v13, v13, v2, -v15
	v_fmac_f32_e32 v3, v14, v2
	v_add_f32_e32 v2, 0, v13
	v_add_f32_e32 v3, 0, v3
	s_and_saveexec_b64 s[18:19], s[14:15]
	s_cbranch_execnz .LBB56_1050
; %bb.91:
	s_or_b64 exec, exec, s[18:19]
	v_cmp_gt_u32_e64 s[14:15], 8, v7
	s_and_saveexec_b64 s[18:19], s[14:15]
	s_cbranch_execnz .LBB56_1051
.LBB56_92:
	s_or_b64 exec, exec, s[18:19]
	v_cmp_gt_u32_e64 s[14:15], 4, v7
	s_and_saveexec_b64 s[18:19], s[14:15]
	s_cbranch_execz .LBB56_94
.LBB56_93:
	v_lshlrev_b32_e32 v10, 3, v0
	v_mov_b32_e32 v15, 0
	ds_read_b64 v[13:14], v10 offset:1568
	ds_read_b64 v[15:16], v15 offset:24
	s_waitcnt lgkmcnt(0)
	v_mul_f32_e32 v10, v16, v14
	v_mul_f32_e32 v14, v15, v14
	v_fma_f32 v10, v15, v13, -v10
	v_fmac_f32_e32 v14, v16, v13
	v_add_f32_e32 v2, v2, v10
	v_add_f32_e32 v3, v3, v14
.LBB56_94:
	s_or_b64 exec, exec, s[18:19]
	v_xor_b32_e32 v2, 0x80000000, v2
	v_xor_b32_e32 v3, 0x80000000, v3
.LBB56_95:
	v_writelane_b32 v34, s52, 2
	v_writelane_b32 v34, s53, 3
	s_or_b64 exec, exec, s[6:7]
	v_mov_b32_e32 v10, 0x8000
	v_cmp_eq_u32_e64 s[14:15], 0, v11
	s_xor_b64 s[6:7], s[12:13], -1
	v_lshl_add_u32 v10, v12, 3, v10
	s_and_b64 s[52:53], s[14:15], s[6:7]
	s_and_saveexec_b64 s[12:13], s[52:53]
; %bb.96:
	ds_write_b64 v10, v[2:3]
; %bb.97:
	s_or_b64 exec, exec, s[12:13]
	v_cmp_ne_u32_e64 s[12:13], 0, v11
	s_and_b64 s[54:55], s[12:13], s[6:7]
	s_waitcnt lgkmcnt(0)
	s_barrier
	s_and_saveexec_b64 s[12:13], s[54:55]
	s_cbranch_execz .LBB56_99
; %bb.98:
	ds_read_b64 v[13:14], v9 offset:2080
	ds_read_b64 v[15:16], v10
	s_waitcnt lgkmcnt(0)
	v_mul_f32_e32 v17, v16, v14
	v_mul_f32_e32 v14, v15, v14
	v_fma_f32 v15, v15, v13, -v17
	v_fmac_f32_e32 v14, v16, v13
	v_add_f32_e32 v2, v2, v15
	v_add_f32_e32 v3, v3, v14
.LBB56_99:
	s_or_b64 exec, exec, s[12:13]
	v_cmp_eq_u32_e64 s[12:13], 1, v11
	s_and_b64 s[56:57], s[12:13], s[6:7]
	s_barrier
	s_and_saveexec_b64 s[12:13], s[56:57]
; %bb.100:
	ds_write_b64 v10, v[2:3]
; %bb.101:
	s_or_b64 exec, exec, s[12:13]
	v_cmp_lt_u32_e64 s[12:13], 1, v11
	s_and_b64 s[58:59], s[12:13], s[6:7]
	s_waitcnt lgkmcnt(0)
	s_barrier
	s_and_saveexec_b64 s[12:13], s[58:59]
	s_cbranch_execz .LBB56_103
; %bb.102:
	ds_read_b64 v[13:14], v9 offset:2592
	ds_read_b64 v[15:16], v10
	s_waitcnt lgkmcnt(0)
	v_mul_f32_e32 v17, v16, v14
	v_mul_f32_e32 v14, v15, v14
	v_fma_f32 v15, v15, v13, -v17
	v_fmac_f32_e32 v14, v16, v13
	v_add_f32_e32 v2, v2, v15
	v_add_f32_e32 v3, v3, v14
.LBB56_103:
	s_or_b64 exec, exec, s[12:13]
	v_cmp_eq_u32_e64 s[12:13], 2, v11
	s_and_b64 s[60:61], s[12:13], s[6:7]
	s_barrier
	s_and_saveexec_b64 s[12:13], s[60:61]
; %bb.104:
	ds_write_b64 v10, v[2:3]
; %bb.105:
	s_or_b64 exec, exec, s[12:13]
	v_cmp_eq_u32_e64 s[12:13], 3, v11
	s_and_b64 s[44:45], s[12:13], s[6:7]
	s_waitcnt lgkmcnt(0)
	s_barrier
	s_and_saveexec_b64 s[6:7], s[44:45]
	s_cbranch_execz .LBB56_107
; %bb.106:
	v_mov_b32_e32 v13, 0
	ds_read_b64 v[13:14], v13 offset:3128
	ds_read_b64 v[15:16], v10
	s_waitcnt lgkmcnt(0)
	v_mul_f32_e32 v17, v16, v14
	v_mul_f32_e32 v14, v15, v14
	v_fma_f32 v15, v15, v13, -v17
	v_fmac_f32_e32 v14, v16, v13
	v_add_f32_e32 v2, v2, v15
	v_add_f32_e32 v3, v3, v14
.LBB56_107:
	s_or_b64 exec, exec, s[6:7]
	s_barrier
	s_and_saveexec_b64 s[6:7], s[44:45]
; %bb.108:
	ds_write_b64 v10, v[2:3]
; %bb.109:
	s_or_b64 exec, exec, s[6:7]
	s_waitcnt lgkmcnt(0)
	s_barrier
	s_barrier
	s_and_saveexec_b64 s[6:7], s[10:11]
; %bb.110:
	v_xor_b32_e32 v2, 0x80000000, v2
	v_xor_b32_e32 v3, 0x80000000, v3
	ds_write_b64 v8, v[2:3] offset:32
; %bb.111:
	s_or_b64 exec, exec, s[6:7]
	v_cmp_gt_u32_e64 s[12:13], 4, v0
	s_and_b64 s[62:63], s[16:17], s[12:13]
	s_waitcnt lgkmcnt(0)
	s_barrier
	s_barrier
	s_and_saveexec_b64 s[6:7], s[62:63]
	s_cbranch_execz .LBB56_113
; %bb.112:
	v_lshlrev_b32_e32 v13, 9, v0
	ds_read_b64 v[2:3], v13 offset:32
	s_movk_i32 s12, 0xfe08
	v_mad_i32_i24 v14, v0, s12, v13
	s_waitcnt lgkmcnt(0)
	ds_write_b64 v14, v[2:3] offset:2048
	ds_read_b64 v[2:3], v13 offset:40
	s_waitcnt lgkmcnt(0)
	ds_write_b64 v14, v[2:3] offset:2560
	ds_read_b64 v[2:3], v13 offset:48
	;; [unrolled: 3-line block ×3, first 2 shown]
	s_waitcnt lgkmcnt(0)
	ds_write_b64 v14, v[2:3] offset:3584
.LBB56_113:
	s_or_b64 exec, exec, s[6:7]
	s_waitcnt lgkmcnt(0)
	s_barrier
	s_and_saveexec_b64 s[6:7], vcc
	s_cbranch_execz .LBB56_115
; %bb.114:
	v_mov_b32_e32 v15, 0
	ds_read_b64 v[2:3], v15 offset:2088
	s_mov_b64 s[12:13], 0x3f800000
	v_mov_b32_e32 v14, s13
	v_mov_b32_e32 v13, s12
	ds_write_b64 v15, v[13:14] offset:2600
	v_add_u32_e64 v15, 32, 0
	s_waitcnt lgkmcnt(1)
	ds_write2st64_b64 v15, v[13:14], v[2:3] offset0:4 offset1:5
.LBB56_115:
	s_or_b64 exec, exec, s[6:7]
	v_mov_b32_e32 v3, 0
	v_mov_b32_e32 v2, 0
	s_waitcnt lgkmcnt(0)
	s_barrier
	s_and_saveexec_b64 s[6:7], s[22:23]
	s_cbranch_execz .LBB56_119
; %bb.116:
	v_mul_u32_u24_e32 v13, 0x208, v6
	ds_read_b64 v[2:3], v4 offset:2096
	ds_read_b64 v[13:14], v13 offset:2080
	v_cmp_gt_u32_e64 s[12:13], 2, v7
	s_waitcnt lgkmcnt(0)
	v_mul_f32_e32 v15, v14, v3
	v_mul_f32_e32 v3, v13, v3
	v_fma_f32 v13, v13, v2, -v15
	v_fmac_f32_e32 v3, v14, v2
	v_add_f32_e32 v2, 0, v13
	v_add_f32_e32 v3, 0, v3
	s_and_saveexec_b64 s[14:15], s[12:13]
	s_cbranch_execz .LBB56_118
; %bb.117:
	v_lshlrev_b32_e32 v13, 3, v0
	v_mov_b32_e32 v15, 0
	ds_read_b64 v[13:14], v13 offset:2608
	ds_read_b64 v[15:16], v15 offset:2088
	s_waitcnt lgkmcnt(0)
	v_mul_f32_e32 v17, v16, v14
	v_mul_f32_e32 v14, v15, v14
	v_fma_f32 v15, v15, v13, -v17
	v_fmac_f32_e32 v14, v16, v13
	v_add_f32_e32 v2, v2, v15
	v_add_f32_e32 v3, v3, v14
.LBB56_118:
	s_or_b64 exec, exec, s[14:15]
	v_xor_b32_e32 v2, 0x80000000, v2
	v_xor_b32_e32 v3, 0x80000000, v3
.LBB56_119:
	s_or_b64 exec, exec, s[6:7]
	s_and_saveexec_b64 s[6:7], s[38:39]
; %bb.120:
	ds_write_b64 v5, v[2:3]
; %bb.121:
	s_or_b64 exec, exec, s[6:7]
	s_waitcnt lgkmcnt(0)
	s_barrier
	s_and_saveexec_b64 s[6:7], s[36:37]
	s_cbranch_execz .LBB56_123
; %bb.122:
	v_mov_b32_e32 v13, 0
	ds_read_b64 v[13:14], v13 offset:3128
	ds_read_b64 v[15:16], v5
	s_waitcnt lgkmcnt(0)
	v_mul_f32_e32 v17, v16, v14
	v_mul_f32_e32 v14, v15, v14
	v_fma_f32 v15, v15, v13, -v17
	v_fmac_f32_e32 v14, v16, v13
	v_add_f32_e32 v2, v2, v15
	v_add_f32_e32 v3, v3, v14
.LBB56_123:
	s_or_b64 exec, exec, s[6:7]
	s_barrier
	s_and_saveexec_b64 s[6:7], s[36:37]
; %bb.124:
	ds_write_b64 v5, v[2:3]
; %bb.125:
	s_or_b64 exec, exec, s[6:7]
	s_waitcnt lgkmcnt(0)
	s_barrier
	s_barrier
	s_and_saveexec_b64 s[6:7], s[22:23]
; %bb.126:
	v_xor_b32_e32 v3, 0x80000000, v3
	v_xor_b32_e32 v2, 0x80000000, v2
	ds_write_b64 v4, v[2:3] offset:2096
; %bb.127:
	s_or_b64 exec, exec, s[6:7]
	s_waitcnt lgkmcnt(0)
	s_barrier
	s_barrier
	s_and_saveexec_b64 s[6:7], s[42:43]
	s_cbranch_execz .LBB56_129
; %bb.128:
	v_lshlrev_b32_e32 v13, 3, v0
	s_movk_i32 s12, 0x1f8
	v_mad_u32_u24 v14, v0, s12, v13
	ds_read_b64 v[2:3], v14 offset:2096
	s_waitcnt lgkmcnt(0)
	ds_write_b64 v13, v[2:3] offset:3104
	ds_read_b64 v[2:3], v14 offset:2104
	s_waitcnt lgkmcnt(0)
	ds_write_b64 v13, v[2:3] offset:3616
.LBB56_129:
	s_or_b64 exec, exec, s[6:7]
	s_waitcnt lgkmcnt(0)
	s_barrier
	s_and_saveexec_b64 s[6:7], vcc
	s_cbranch_execz .LBB56_131
; %bb.130:
	v_mov_b32_e32 v15, 0
	ds_read_b64 v[2:3], v15 offset:3128
	s_mov_b64 s[12:13], 0x3f800000
	v_mov_b32_e32 v14, s13
	v_mov_b32_e32 v13, s12
	ds_write_b64 v15, v[13:14] offset:3640
	v_add_u32_e64 v15, 48, 0
	s_waitcnt lgkmcnt(1)
	ds_write2st64_b64 v15, v[13:14], v[2:3] offset0:6 offset1:7
.LBB56_131:
	s_or_b64 exec, exec, s[6:7]
	v_and_b32_e32 v16, 7, v0
	v_lshrrev_b32_e32 v17, 3, v7
	v_lshlrev_b32_e32 v14, 3, v16
	v_cmp_lt_u32_e64 s[14:15], 63, v7
	v_cmp_gt_u32_e64 s[12:13], 64, v7
	v_lshl_or_b32 v13, v17, 9, v14
	v_mov_b32_e32 v3, 0
	v_mov_b32_e32 v2, 0
	s_waitcnt lgkmcnt(0)
	s_barrier
	s_and_saveexec_b64 s[6:7], s[12:13]
	s_cbranch_execz .LBB56_141
; %bb.132:
	v_mul_u32_u24_e32 v15, 0x208, v17
	ds_read_b64 v[2:3], v13 offset:64
	ds_read_b64 v[18:19], v15
	v_cmp_gt_u32_e64 s[18:19], 56, v7
	s_waitcnt lgkmcnt(0)
	v_mul_f32_e32 v20, v19, v3
	v_mul_f32_e32 v3, v18, v3
	v_fma_f32 v18, v18, v2, -v20
	v_fmac_f32_e32 v3, v19, v2
	v_add_f32_e32 v2, 0, v18
	v_add_f32_e32 v3, 0, v3
	s_and_saveexec_b64 s[20:21], s[18:19]
	s_cbranch_execnz .LBB56_1052
; %bb.133:
	s_or_b64 exec, exec, s[20:21]
	v_cmp_gt_u32_e64 s[18:19], 48, v7
	s_and_saveexec_b64 s[20:21], s[18:19]
	s_cbranch_execnz .LBB56_1053
.LBB56_134:
	s_or_b64 exec, exec, s[20:21]
	v_cmp_gt_u32_e64 s[18:19], 40, v7
	s_and_saveexec_b64 s[20:21], s[18:19]
	s_cbranch_execnz .LBB56_1054
.LBB56_135:
	s_or_b64 exec, exec, s[20:21]
	v_cmp_gt_u32_e64 s[18:19], 32, v7
	s_and_saveexec_b64 s[20:21], s[18:19]
	s_cbranch_execnz .LBB56_1055
.LBB56_136:
	s_or_b64 exec, exec, s[20:21]
	v_cmp_gt_u32_e64 s[18:19], 24, v7
	s_and_saveexec_b64 s[20:21], s[18:19]
	s_cbranch_execnz .LBB56_1056
.LBB56_137:
	s_or_b64 exec, exec, s[20:21]
	v_cmp_gt_u32_e64 s[18:19], 16, v7
	s_and_saveexec_b64 s[20:21], s[18:19]
	s_cbranch_execnz .LBB56_1057
.LBB56_138:
	s_or_b64 exec, exec, s[20:21]
	v_cmp_gt_u32_e64 s[18:19], 8, v7
	s_and_saveexec_b64 s[20:21], s[18:19]
	s_cbranch_execz .LBB56_140
.LBB56_139:
	v_lshlrev_b32_e32 v15, 3, v0
	v_mov_b32_e32 v20, 0
	ds_read_b64 v[18:19], v15 offset:3648
	ds_read_b64 v[20:21], v20 offset:56
	s_waitcnt lgkmcnt(0)
	v_mul_f32_e32 v15, v21, v19
	v_mul_f32_e32 v19, v20, v19
	v_fma_f32 v15, v20, v18, -v15
	v_fmac_f32_e32 v19, v21, v18
	v_add_f32_e32 v2, v2, v15
	v_add_f32_e32 v3, v3, v19
.LBB56_140:
	s_or_b64 exec, exec, s[20:21]
	v_xor_b32_e32 v2, 0x80000000, v2
	v_xor_b32_e32 v3, 0x80000000, v3
.LBB56_141:
	s_or_b64 exec, exec, s[6:7]
	v_mov_b32_e32 v15, 0x8000
	v_cmp_eq_u32_e64 s[18:19], 0, v16
	s_xor_b64 s[6:7], s[14:15], -1
	v_lshl_add_u32 v15, v17, 3, v15
	s_and_b64 s[66:67], s[18:19], s[6:7]
	s_and_saveexec_b64 s[14:15], s[66:67]
; %bb.142:
	ds_write_b64 v15, v[2:3]
; %bb.143:
	s_or_b64 exec, exec, s[14:15]
	v_cmp_ne_u32_e64 s[14:15], 0, v16
	s_and_b64 s[68:69], s[14:15], s[6:7]
	s_waitcnt lgkmcnt(0)
	s_barrier
	s_and_saveexec_b64 s[14:15], s[68:69]
	s_cbranch_execz .LBB56_145
; %bb.144:
	ds_read_b64 v[18:19], v14 offset:4160
	ds_read_b64 v[20:21], v15
	s_waitcnt lgkmcnt(0)
	v_mul_f32_e32 v22, v21, v19
	v_mul_f32_e32 v19, v20, v19
	v_fma_f32 v20, v20, v18, -v22
	v_fmac_f32_e32 v19, v21, v18
	v_add_f32_e32 v2, v2, v20
	v_add_f32_e32 v3, v3, v19
.LBB56_145:
	s_or_b64 exec, exec, s[14:15]
	v_cmp_eq_u32_e64 s[14:15], 1, v16
	s_and_b64 s[70:71], s[14:15], s[6:7]
	s_barrier
	s_and_saveexec_b64 s[14:15], s[70:71]
; %bb.146:
	ds_write_b64 v15, v[2:3]
; %bb.147:
	s_or_b64 exec, exec, s[14:15]
	v_cmp_lt_u32_e64 s[14:15], 1, v16
	s_and_b64 s[72:73], s[14:15], s[6:7]
	s_waitcnt lgkmcnt(0)
	s_barrier
	s_and_saveexec_b64 s[14:15], s[72:73]
	s_cbranch_execz .LBB56_149
; %bb.148:
	ds_read_b64 v[18:19], v14 offset:4672
	ds_read_b64 v[20:21], v15
	s_waitcnt lgkmcnt(0)
	v_mul_f32_e32 v22, v21, v19
	v_mul_f32_e32 v19, v20, v19
	v_fma_f32 v20, v20, v18, -v22
	v_fmac_f32_e32 v19, v21, v18
	v_add_f32_e32 v2, v2, v20
	v_add_f32_e32 v3, v3, v19
.LBB56_149:
	s_or_b64 exec, exec, s[14:15]
	v_cmp_eq_u32_e64 s[14:15], 2, v16
	s_and_b64 s[74:75], s[14:15], s[6:7]
	s_barrier
	s_and_saveexec_b64 s[14:15], s[74:75]
; %bb.150:
	ds_write_b64 v15, v[2:3]
; %bb.151:
	s_or_b64 exec, exec, s[14:15]
	v_cmp_lt_u32_e64 s[14:15], 2, v16
	;; [unrolled: 26-line block ×5, first 2 shown]
	s_and_b64 s[88:89], s[14:15], s[6:7]
	s_waitcnt lgkmcnt(0)
	s_barrier
	s_and_saveexec_b64 s[14:15], s[88:89]
	s_cbranch_execz .LBB56_165
; %bb.164:
	ds_read_b64 v[18:19], v14 offset:6720
	ds_read_b64 v[20:21], v15
	s_waitcnt lgkmcnt(0)
	v_mul_f32_e32 v22, v21, v19
	v_mul_f32_e32 v19, v20, v19
	v_fma_f32 v20, v20, v18, -v22
	v_fmac_f32_e32 v19, v21, v18
	v_add_f32_e32 v2, v2, v20
	v_add_f32_e32 v3, v3, v19
.LBB56_165:
	s_or_b64 exec, exec, s[14:15]
	v_cmp_eq_u32_e64 s[14:15], 6, v16
	s_and_b64 s[90:91], s[14:15], s[6:7]
	s_barrier
	s_and_saveexec_b64 s[14:15], s[90:91]
; %bb.166:
	ds_write_b64 v15, v[2:3]
; %bb.167:
	s_or_b64 exec, exec, s[14:15]
	v_cmp_eq_u32_e64 s[14:15], 7, v16
	s_and_b64 s[64:65], s[14:15], s[6:7]
	s_waitcnt lgkmcnt(0)
	s_barrier
	s_and_saveexec_b64 s[6:7], s[64:65]
	s_cbranch_execz .LBB56_169
; %bb.168:
	v_mov_b32_e32 v18, 0
	ds_read_b64 v[18:19], v18 offset:7288
	ds_read_b64 v[20:21], v15
	s_waitcnt lgkmcnt(0)
	v_mul_f32_e32 v22, v21, v19
	v_mul_f32_e32 v19, v20, v19
	v_fma_f32 v20, v20, v18, -v22
	v_fmac_f32_e32 v19, v21, v18
	v_add_f32_e32 v2, v2, v20
	v_add_f32_e32 v3, v3, v19
.LBB56_169:
	s_or_b64 exec, exec, s[6:7]
	s_barrier
	s_and_saveexec_b64 s[6:7], s[64:65]
; %bb.170:
	ds_write_b64 v15, v[2:3]
; %bb.171:
	s_or_b64 exec, exec, s[6:7]
	s_waitcnt lgkmcnt(0)
	s_barrier
	s_barrier
	s_and_saveexec_b64 s[6:7], s[12:13]
; %bb.172:
	v_xor_b32_e32 v3, 0x80000000, v3
	v_xor_b32_e32 v2, 0x80000000, v2
	ds_write_b64 v13, v[2:3] offset:64
; %bb.173:
	s_or_b64 exec, exec, s[6:7]
	v_cmp_gt_u32_e64 s[14:15], 8, v0
	s_and_b64 s[92:93], s[16:17], s[14:15]
	s_waitcnt lgkmcnt(0)
	s_barrier
	s_barrier
	s_and_saveexec_b64 s[6:7], s[92:93]
	s_cbranch_execz .LBB56_175
; %bb.174:
	v_lshlrev_b32_e32 v18, 9, v0
	ds_read_b64 v[2:3], v18 offset:64
	s_movk_i32 s14, 0xfe08
	v_mad_i32_i24 v19, v0, s14, v18
	s_waitcnt lgkmcnt(0)
	ds_write_b64 v19, v[2:3] offset:4096
	ds_read_b64 v[2:3], v18 offset:72
	s_waitcnt lgkmcnt(0)
	ds_write_b64 v19, v[2:3] offset:4608
	ds_read_b64 v[2:3], v18 offset:80
	;; [unrolled: 3-line block ×7, first 2 shown]
	s_waitcnt lgkmcnt(0)
	ds_write_b64 v19, v[2:3] offset:7680
.LBB56_175:
	s_or_b64 exec, exec, s[6:7]
	s_waitcnt lgkmcnt(0)
	s_barrier
	s_and_saveexec_b64 s[6:7], vcc
	s_cbranch_execz .LBB56_177
; %bb.176:
	v_mov_b32_e32 v20, 0
	ds_read_b64 v[2:3], v20 offset:4168
	s_mov_b64 s[14:15], 0x3f800000
	v_mov_b32_e32 v19, s15
	v_mov_b32_e32 v18, s14
	ds_write_b64 v20, v[18:19] offset:4680
	v_add_u32_e64 v20, 64, 0
	s_waitcnt lgkmcnt(1)
	ds_write2st64_b64 v20, v[18:19], v[2:3] offset0:8 offset1:9
.LBB56_177:
	s_or_b64 exec, exec, s[6:7]
	v_mov_b32_e32 v3, 0
	v_mov_b32_e32 v2, 0
	s_waitcnt lgkmcnt(0)
	s_barrier
	s_and_saveexec_b64 s[6:7], s[22:23]
	s_cbranch_execz .LBB56_181
; %bb.178:
	v_mul_u32_u24_e32 v18, 0x208, v6
	ds_read_b64 v[2:3], v4 offset:4176
	ds_read_b64 v[18:19], v18 offset:4160
	v_cmp_gt_u32_e64 s[14:15], 2, v7
	s_waitcnt lgkmcnt(0)
	v_mul_f32_e32 v20, v19, v3
	v_mul_f32_e32 v3, v18, v3
	v_fma_f32 v18, v18, v2, -v20
	v_fmac_f32_e32 v3, v19, v2
	v_add_f32_e32 v2, 0, v18
	v_add_f32_e32 v3, 0, v3
	s_and_saveexec_b64 s[18:19], s[14:15]
	s_cbranch_execz .LBB56_180
; %bb.179:
	v_lshlrev_b32_e32 v18, 3, v0
	v_mov_b32_e32 v20, 0
	ds_read_b64 v[18:19], v18 offset:4688
	ds_read_b64 v[20:21], v20 offset:4168
	s_waitcnt lgkmcnt(0)
	v_mul_f32_e32 v22, v21, v19
	v_mul_f32_e32 v19, v20, v19
	v_fma_f32 v20, v20, v18, -v22
	v_fmac_f32_e32 v19, v21, v18
	v_add_f32_e32 v2, v2, v20
	v_add_f32_e32 v3, v3, v19
.LBB56_180:
	s_or_b64 exec, exec, s[18:19]
	v_xor_b32_e32 v2, 0x80000000, v2
	v_xor_b32_e32 v3, 0x80000000, v3
.LBB56_181:
	s_or_b64 exec, exec, s[6:7]
	s_and_saveexec_b64 s[6:7], s[38:39]
; %bb.182:
	ds_write_b64 v5, v[2:3]
; %bb.183:
	s_or_b64 exec, exec, s[6:7]
	s_waitcnt lgkmcnt(0)
	s_barrier
	s_and_saveexec_b64 s[6:7], s[36:37]
	s_cbranch_execz .LBB56_185
; %bb.184:
	v_mov_b32_e32 v18, 0
	ds_read_b64 v[18:19], v18 offset:5208
	ds_read_b64 v[20:21], v5
	s_waitcnt lgkmcnt(0)
	v_mul_f32_e32 v22, v21, v19
	v_mul_f32_e32 v19, v20, v19
	v_fma_f32 v20, v20, v18, -v22
	v_fmac_f32_e32 v19, v21, v18
	v_add_f32_e32 v2, v2, v20
	v_add_f32_e32 v3, v3, v19
.LBB56_185:
	s_or_b64 exec, exec, s[6:7]
	s_barrier
	s_and_saveexec_b64 s[6:7], s[36:37]
; %bb.186:
	ds_write_b64 v5, v[2:3]
; %bb.187:
	s_or_b64 exec, exec, s[6:7]
	s_waitcnt lgkmcnt(0)
	s_barrier
	s_barrier
	s_and_saveexec_b64 s[6:7], s[22:23]
; %bb.188:
	v_xor_b32_e32 v3, 0x80000000, v3
	v_xor_b32_e32 v2, 0x80000000, v2
	ds_write_b64 v4, v[2:3] offset:4176
; %bb.189:
	s_or_b64 exec, exec, s[6:7]
	s_waitcnt lgkmcnt(0)
	s_barrier
	s_barrier
	s_and_saveexec_b64 s[6:7], s[42:43]
	s_cbranch_execz .LBB56_191
; %bb.190:
	v_lshlrev_b32_e32 v18, 3, v0
	s_movk_i32 s14, 0x1f8
	v_mad_u32_u24 v19, v0, s14, v18
	ds_read_b64 v[2:3], v19 offset:4176
	s_waitcnt lgkmcnt(0)
	ds_write_b64 v18, v[2:3] offset:5184
	ds_read_b64 v[2:3], v19 offset:4184
	s_waitcnt lgkmcnt(0)
	ds_write_b64 v18, v[2:3] offset:5696
.LBB56_191:
	s_or_b64 exec, exec, s[6:7]
	s_waitcnt lgkmcnt(0)
	s_barrier
	s_and_saveexec_b64 s[6:7], vcc
	s_cbranch_execz .LBB56_193
; %bb.192:
	v_mov_b32_e32 v20, 0
	ds_read_b64 v[2:3], v20 offset:5208
	s_mov_b64 s[14:15], 0x3f800000
	v_mov_b32_e32 v19, s15
	v_mov_b32_e32 v18, s14
	s_movk_i32 s14, 0x50
	ds_write_b64 v20, v[18:19] offset:5720
	v_add_u32_e64 v20, s14, 0
	s_waitcnt lgkmcnt(1)
	ds_write2st64_b64 v20, v[18:19], v[2:3] offset0:10 offset1:11
.LBB56_193:
	s_or_b64 exec, exec, s[6:7]
	v_mov_b32_e32 v3, 0
	v_mov_b32_e32 v2, 0
	s_waitcnt lgkmcnt(0)
	s_barrier
	s_and_saveexec_b64 s[6:7], s[10:11]
	s_cbranch_execz .LBB56_199
; %bb.194:
	v_mul_u32_u24_e32 v18, 0x208, v12
	ds_read_b64 v[2:3], v8 offset:4192
	ds_read_b64 v[19:20], v18 offset:4160
	v_cmp_gt_u32_e64 s[14:15], 12, v7
	s_waitcnt lgkmcnt(0)
	v_mul_f32_e32 v21, v20, v3
	v_mul_f32_e32 v3, v19, v3
	v_fma_f32 v19, v19, v2, -v21
	v_fmac_f32_e32 v3, v20, v2
	v_add_f32_e32 v2, 0, v19
	v_add_f32_e32 v3, 0, v3
	s_and_saveexec_b64 s[18:19], s[14:15]
	s_cbranch_execnz .LBB56_1058
; %bb.195:
	s_or_b64 exec, exec, s[18:19]
	v_cmp_gt_u32_e64 s[14:15], 8, v7
	s_and_saveexec_b64 s[18:19], s[14:15]
	s_cbranch_execnz .LBB56_1059
.LBB56_196:
	s_or_b64 exec, exec, s[18:19]
	v_cmp_gt_u32_e64 s[14:15], 4, v7
	s_and_saveexec_b64 s[18:19], s[14:15]
	s_cbranch_execz .LBB56_198
.LBB56_197:
	v_lshlrev_b32_e32 v18, 3, v0
	v_mov_b32_e32 v20, 0
	ds_read_b64 v[18:19], v18 offset:5728
	ds_read_b64 v[20:21], v20 offset:4184
	s_waitcnt lgkmcnt(0)
	v_mul_f32_e32 v22, v21, v19
	v_mul_f32_e32 v19, v20, v19
	v_fma_f32 v20, v20, v18, -v22
	v_fmac_f32_e32 v19, v21, v18
	v_add_f32_e32 v2, v2, v20
	v_add_f32_e32 v3, v3, v19
.LBB56_198:
	s_or_b64 exec, exec, s[18:19]
	v_xor_b32_e32 v2, 0x80000000, v2
	v_xor_b32_e32 v3, 0x80000000, v3
.LBB56_199:
	s_or_b64 exec, exec, s[6:7]
	s_and_saveexec_b64 s[6:7], s[52:53]
; %bb.200:
	ds_write_b64 v10, v[2:3]
; %bb.201:
	s_or_b64 exec, exec, s[6:7]
	s_waitcnt lgkmcnt(0)
	s_barrier
	s_and_saveexec_b64 s[6:7], s[54:55]
	s_cbranch_execz .LBB56_203
; %bb.202:
	ds_read_b64 v[18:19], v9 offset:6240
	ds_read_b64 v[20:21], v10
	s_waitcnt lgkmcnt(0)
	v_mul_f32_e32 v22, v21, v19
	v_mul_f32_e32 v19, v20, v19
	v_fma_f32 v20, v20, v18, -v22
	v_fmac_f32_e32 v19, v21, v18
	v_add_f32_e32 v2, v2, v20
	v_add_f32_e32 v3, v3, v19
.LBB56_203:
	s_or_b64 exec, exec, s[6:7]
	s_barrier
	s_and_saveexec_b64 s[6:7], s[56:57]
; %bb.204:
	ds_write_b64 v10, v[2:3]
; %bb.205:
	s_or_b64 exec, exec, s[6:7]
	s_waitcnt lgkmcnt(0)
	s_barrier
	s_and_saveexec_b64 s[6:7], s[58:59]
	s_cbranch_execz .LBB56_207
; %bb.206:
	ds_read_b64 v[18:19], v9 offset:6752
	ds_read_b64 v[20:21], v10
	s_waitcnt lgkmcnt(0)
	v_mul_f32_e32 v22, v21, v19
	v_mul_f32_e32 v19, v20, v19
	v_fma_f32 v20, v20, v18, -v22
	v_fmac_f32_e32 v19, v21, v18
	v_add_f32_e32 v2, v2, v20
	v_add_f32_e32 v3, v3, v19
.LBB56_207:
	s_or_b64 exec, exec, s[6:7]
	s_barrier
	s_and_saveexec_b64 s[6:7], s[60:61]
; %bb.208:
	ds_write_b64 v10, v[2:3]
; %bb.209:
	s_or_b64 exec, exec, s[6:7]
	s_waitcnt lgkmcnt(0)
	s_barrier
	s_and_saveexec_b64 s[6:7], s[44:45]
	s_cbranch_execz .LBB56_211
; %bb.210:
	v_mov_b32_e32 v18, 0
	ds_read_b64 v[18:19], v18 offset:7288
	ds_read_b64 v[20:21], v10
	s_waitcnt lgkmcnt(0)
	v_mul_f32_e32 v22, v21, v19
	v_mul_f32_e32 v19, v20, v19
	v_fma_f32 v20, v20, v18, -v22
	v_fmac_f32_e32 v19, v21, v18
	v_add_f32_e32 v2, v2, v20
	v_add_f32_e32 v3, v3, v19
.LBB56_211:
	s_or_b64 exec, exec, s[6:7]
	s_barrier
	s_and_saveexec_b64 s[6:7], s[44:45]
; %bb.212:
	ds_write_b64 v10, v[2:3]
; %bb.213:
	s_or_b64 exec, exec, s[6:7]
	s_waitcnt lgkmcnt(0)
	s_barrier
	s_barrier
	s_and_saveexec_b64 s[6:7], s[10:11]
; %bb.214:
	v_xor_b32_e32 v2, 0x80000000, v2
	v_xor_b32_e32 v3, 0x80000000, v3
	ds_write_b64 v8, v[2:3] offset:4192
; %bb.215:
	s_or_b64 exec, exec, s[6:7]
	s_waitcnt lgkmcnt(0)
	s_barrier
	s_barrier
	s_and_saveexec_b64 s[6:7], s[62:63]
	s_cbranch_execz .LBB56_217
; %bb.216:
	v_lshlrev_b32_e32 v18, 9, v0
	ds_read_b64 v[2:3], v18 offset:4192
	s_movk_i32 s14, 0xfe08
	v_mad_i32_i24 v19, v0, s14, v18
	s_waitcnt lgkmcnt(0)
	ds_write_b64 v19, v[2:3] offset:6208
	ds_read_b64 v[2:3], v18 offset:4200
	s_waitcnt lgkmcnt(0)
	ds_write_b64 v19, v[2:3] offset:6720
	ds_read_b64 v[2:3], v18 offset:4208
	;; [unrolled: 3-line block ×3, first 2 shown]
	s_waitcnt lgkmcnt(0)
	ds_write_b64 v19, v[2:3] offset:7744
.LBB56_217:
	s_or_b64 exec, exec, s[6:7]
	s_waitcnt lgkmcnt(0)
	s_barrier
	s_and_saveexec_b64 s[6:7], vcc
	s_cbranch_execz .LBB56_219
; %bb.218:
	v_mov_b32_e32 v20, 0
	ds_read_b64 v[2:3], v20 offset:6248
	s_mov_b64 s[14:15], 0x3f800000
	v_mov_b32_e32 v19, s15
	v_mov_b32_e32 v18, s14
	s_movk_i32 s14, 0x60
	ds_write_b64 v20, v[18:19] offset:6760
	v_add_u32_e64 v20, s14, 0
	s_waitcnt lgkmcnt(1)
	ds_write2st64_b64 v20, v[18:19], v[2:3] offset0:12 offset1:13
.LBB56_219:
	s_or_b64 exec, exec, s[6:7]
	v_mov_b32_e32 v3, 0
	v_mov_b32_e32 v2, 0
	s_waitcnt lgkmcnt(0)
	s_barrier
	s_and_saveexec_b64 s[6:7], s[22:23]
	s_cbranch_execz .LBB56_223
; %bb.220:
	v_mul_u32_u24_e32 v18, 0x208, v6
	ds_read_b64 v[2:3], v4 offset:6256
	ds_read_b64 v[18:19], v18 offset:6240
	v_cmp_gt_u32_e64 s[14:15], 2, v7
	s_waitcnt lgkmcnt(0)
	v_mul_f32_e32 v20, v19, v3
	v_mul_f32_e32 v3, v18, v3
	v_fma_f32 v18, v18, v2, -v20
	v_fmac_f32_e32 v3, v19, v2
	v_add_f32_e32 v2, 0, v18
	v_add_f32_e32 v3, 0, v3
	s_and_saveexec_b64 s[18:19], s[14:15]
	s_cbranch_execz .LBB56_222
; %bb.221:
	v_lshlrev_b32_e32 v18, 3, v0
	v_mov_b32_e32 v20, 0
	ds_read_b64 v[18:19], v18 offset:6768
	ds_read_b64 v[20:21], v20 offset:6248
	s_waitcnt lgkmcnt(0)
	v_mul_f32_e32 v22, v21, v19
	v_mul_f32_e32 v19, v20, v19
	v_fma_f32 v20, v20, v18, -v22
	v_fmac_f32_e32 v19, v21, v18
	v_add_f32_e32 v2, v2, v20
	v_add_f32_e32 v3, v3, v19
.LBB56_222:
	s_or_b64 exec, exec, s[18:19]
	v_xor_b32_e32 v2, 0x80000000, v2
	v_xor_b32_e32 v3, 0x80000000, v3
.LBB56_223:
	s_or_b64 exec, exec, s[6:7]
	s_and_saveexec_b64 s[6:7], s[38:39]
; %bb.224:
	ds_write_b64 v5, v[2:3]
; %bb.225:
	s_or_b64 exec, exec, s[6:7]
	s_waitcnt lgkmcnt(0)
	s_barrier
	s_and_saveexec_b64 s[6:7], s[36:37]
	s_cbranch_execz .LBB56_227
; %bb.226:
	v_mov_b32_e32 v18, 0
	ds_read_b64 v[18:19], v18 offset:7288
	ds_read_b64 v[20:21], v5
	s_waitcnt lgkmcnt(0)
	v_mul_f32_e32 v22, v21, v19
	v_mul_f32_e32 v19, v20, v19
	v_fma_f32 v20, v20, v18, -v22
	v_fmac_f32_e32 v19, v21, v18
	v_add_f32_e32 v2, v2, v20
	v_add_f32_e32 v3, v3, v19
.LBB56_227:
	s_or_b64 exec, exec, s[6:7]
	s_barrier
	s_and_saveexec_b64 s[6:7], s[36:37]
; %bb.228:
	ds_write_b64 v5, v[2:3]
; %bb.229:
	s_or_b64 exec, exec, s[6:7]
	s_waitcnt lgkmcnt(0)
	s_barrier
	s_barrier
	s_and_saveexec_b64 s[6:7], s[22:23]
; %bb.230:
	v_xor_b32_e32 v3, 0x80000000, v3
	v_xor_b32_e32 v2, 0x80000000, v2
	ds_write_b64 v4, v[2:3] offset:6256
; %bb.231:
	s_or_b64 exec, exec, s[6:7]
	s_waitcnt lgkmcnt(0)
	s_barrier
	s_barrier
	s_and_saveexec_b64 s[6:7], s[42:43]
	s_cbranch_execz .LBB56_233
; %bb.232:
	v_lshlrev_b32_e32 v18, 3, v0
	s_movk_i32 s14, 0x1f8
	v_mad_u32_u24 v19, v0, s14, v18
	ds_read_b64 v[2:3], v19 offset:6256
	s_waitcnt lgkmcnt(0)
	ds_write_b64 v18, v[2:3] offset:7264
	ds_read_b64 v[2:3], v19 offset:6264
	s_waitcnt lgkmcnt(0)
	ds_write_b64 v18, v[2:3] offset:7776
.LBB56_233:
	s_or_b64 exec, exec, s[6:7]
	s_waitcnt lgkmcnt(0)
	s_barrier
	s_and_saveexec_b64 s[6:7], vcc
	s_cbranch_execz .LBB56_235
; %bb.234:
	v_mov_b32_e32 v20, 0
	ds_read_b64 v[2:3], v20 offset:7288
	s_mov_b64 s[14:15], 0x3f800000
	v_mov_b32_e32 v19, s15
	v_mov_b32_e32 v18, s14
	s_movk_i32 s14, 0x70
	ds_write_b64 v20, v[18:19] offset:7800
	v_add_u32_e64 v20, s14, 0
	s_waitcnt lgkmcnt(1)
	ds_write2st64_b64 v20, v[18:19], v[2:3] offset0:14 offset1:15
.LBB56_235:
	s_or_b64 exec, exec, s[6:7]
	v_lshrrev_b32_e32 v22, 4, v7
	v_and_b32_e32 v19, 15, v0
	s_movk_i32 s6, 0xff
	v_lshlrev_b32_e32 v21, 6, v22
	v_cmp_lt_u32_e64 s[18:19], s6, v7
	s_movk_i32 s6, 0x100
	v_or_b32_e32 v2, v21, v19
	v_cmp_gt_u32_e64 s[14:15], s6, v7
	v_lshlrev_b32_e32 v18, 3, v2
	v_mov_b32_e32 v3, 0
	v_mov_b32_e32 v2, 0
	s_waitcnt lgkmcnt(0)
	s_barrier
	s_and_saveexec_b64 s[6:7], s[14:15]
	s_cbranch_execz .LBB56_263
; %bb.236:
	v_mul_u32_u24_e32 v20, 0x208, v22
	ds_read_b64 v[2:3], v18 offset:128
	ds_read_b64 v[23:24], v20
	s_movk_i32 s20, 0xf0
	v_cmp_gt_u32_e64 s[20:21], s20, v7
	s_waitcnt lgkmcnt(0)
	v_mul_f32_e32 v25, v24, v3
	v_mul_f32_e32 v3, v23, v3
	v_fma_f32 v23, v23, v2, -v25
	v_fmac_f32_e32 v3, v24, v2
	v_add_f32_e32 v2, 0, v23
	v_add_f32_e32 v3, 0, v3
	s_and_saveexec_b64 s[24:25], s[20:21]
	s_cbranch_execz .LBB56_238
; %bb.237:
	v_lshlrev_b32_e32 v23, 3, v22
	v_sub_u32_e32 v23, v20, v23
	v_lshl_add_u32 v23, v19, 3, v23
	ds_read_b64 v[23:24], v23 offset:640
	ds_read_b64 v[25:26], v20 offset:8
	s_waitcnt lgkmcnt(0)
	v_mul_f32_e32 v27, v26, v24
	v_mul_f32_e32 v24, v25, v24
	v_fma_f32 v25, v25, v23, -v27
	v_fmac_f32_e32 v24, v26, v23
	v_add_f32_e32 v2, v2, v25
	v_add_f32_e32 v3, v3, v24
.LBB56_238:
	s_or_b64 exec, exec, s[24:25]
	s_movk_i32 s20, 0xe0
	v_cmp_gt_u32_e64 s[20:21], s20, v7
	s_and_saveexec_b64 s[24:25], s[20:21]
	s_cbranch_execz .LBB56_240
; %bb.239:
	v_lshlrev_b32_e32 v23, 3, v22
	v_sub_u32_e32 v23, v20, v23
	v_lshl_add_u32 v23, v19, 3, v23
	ds_read_b64 v[23:24], v23 offset:1152
	ds_read_b64 v[25:26], v20 offset:16
	s_waitcnt lgkmcnt(0)
	v_mul_f32_e32 v27, v26, v24
	v_mul_f32_e32 v24, v25, v24
	v_fma_f32 v25, v25, v23, -v27
	v_fmac_f32_e32 v24, v26, v23
	v_add_f32_e32 v2, v2, v25
	v_add_f32_e32 v3, v3, v24
.LBB56_240:
	s_or_b64 exec, exec, s[24:25]
	s_movk_i32 s20, 0xd0
	v_cmp_gt_u32_e64 s[20:21], s20, v7
	;; [unrolled: 19-line block ×7, first 2 shown]
	s_and_saveexec_b64 s[24:25], s[20:21]
	s_cbranch_execz .LBB56_252
; %bb.251:
	ds_read_b64 v[23:24], v18 offset:4224
	ds_read_b64 v[25:26], v20 offset:64
	s_waitcnt lgkmcnt(0)
	v_mul_f32_e32 v27, v26, v24
	v_mul_f32_e32 v24, v25, v24
	v_fma_f32 v25, v25, v23, -v27
	v_fmac_f32_e32 v24, v26, v23
	v_add_f32_e32 v2, v2, v25
	v_add_f32_e32 v3, v3, v24
.LBB56_252:
	s_or_b64 exec, exec, s[24:25]
	s_movk_i32 s20, 0x70
	v_cmp_gt_u32_e64 s[20:21], s20, v7
	s_and_saveexec_b64 s[24:25], s[20:21]
	s_cbranch_execz .LBB56_254
; %bb.253:
	v_lshlrev_b32_e32 v23, 3, v19
	v_lshl_add_u32 v23, v21, 3, v23
	ds_read_b64 v[23:24], v23 offset:4736
	ds_read_b64 v[25:26], v20 offset:72
	s_waitcnt lgkmcnt(0)
	v_mul_f32_e32 v27, v26, v24
	v_mul_f32_e32 v24, v25, v24
	v_fma_f32 v25, v25, v23, -v27
	v_fmac_f32_e32 v24, v26, v23
	v_add_f32_e32 v2, v2, v25
	v_add_f32_e32 v3, v3, v24
.LBB56_254:
	s_or_b64 exec, exec, s[24:25]
	s_movk_i32 s20, 0x60
	v_cmp_gt_u32_e64 s[20:21], s20, v7
	s_and_saveexec_b64 s[24:25], s[20:21]
	s_cbranch_execz .LBB56_256
; %bb.255:
	v_lshlrev_b32_e32 v23, 3, v19
	v_lshl_add_u32 v23, v21, 3, v23
	ds_read_b64 v[23:24], v23 offset:5248
	ds_read_b64 v[25:26], v20 offset:80
	s_waitcnt lgkmcnt(0)
	v_mul_f32_e32 v27, v26, v24
	v_mul_f32_e32 v24, v25, v24
	v_fma_f32 v25, v25, v23, -v27
	v_fmac_f32_e32 v24, v26, v23
	v_add_f32_e32 v2, v2, v25
	v_add_f32_e32 v3, v3, v24
.LBB56_256:
	s_or_b64 exec, exec, s[24:25]
	s_movk_i32 s20, 0x50
	v_cmp_gt_u32_e64 s[20:21], s20, v7
	s_and_saveexec_b64 s[24:25], s[20:21]
	s_cbranch_execnz .LBB56_1060
; %bb.257:
	s_or_b64 exec, exec, s[24:25]
	v_cmp_gt_u32_e64 s[20:21], 64, v7
	s_and_saveexec_b64 s[24:25], s[20:21]
	s_cbranch_execnz .LBB56_1061
.LBB56_258:
	s_or_b64 exec, exec, s[24:25]
	v_cmp_gt_u32_e64 s[20:21], 48, v7
	s_and_saveexec_b64 s[24:25], s[20:21]
	s_cbranch_execnz .LBB56_1062
.LBB56_259:
	s_or_b64 exec, exec, s[24:25]
	v_cmp_gt_u32_e64 s[20:21], 32, v7
	s_and_saveexec_b64 s[24:25], s[20:21]
	s_cbranch_execnz .LBB56_1063
.LBB56_260:
	s_or_b64 exec, exec, s[24:25]
	v_cmp_gt_u32_e64 s[20:21], 16, v7
	s_and_saveexec_b64 s[24:25], s[20:21]
	s_cbranch_execz .LBB56_262
.LBB56_261:
	v_lshlrev_b32_e32 v20, 3, v0
	v_mov_b32_e32 v25, 0
	ds_read_b64 v[23:24], v20 offset:7808
	ds_read_b64 v[25:26], v25 offset:120
	s_waitcnt lgkmcnt(0)
	v_mul_f32_e32 v20, v26, v24
	v_mul_f32_e32 v24, v25, v24
	v_fma_f32 v20, v25, v23, -v20
	v_fmac_f32_e32 v24, v26, v23
	v_add_f32_e32 v2, v2, v20
	v_add_f32_e32 v3, v3, v24
.LBB56_262:
	s_or_b64 exec, exec, s[24:25]
	v_xor_b32_e32 v2, 0x80000000, v2
	v_xor_b32_e32 v3, 0x80000000, v3
.LBB56_263:
	s_or_b64 exec, exec, s[6:7]
	v_mov_b32_e32 v20, 0x8000
	v_lshl_add_u32 v20, v22, 3, v20
	v_cmp_eq_u32_e64 s[20:21], 0, v19
	s_xor_b64 s[6:7], s[18:19], -1
	s_and_b64 s[20:21], s[20:21], s[6:7]
	s_mov_b64 s[18:19], exec
	v_writelane_b32 v34, s20, 4
	v_writelane_b32 v34, s21, 5
	s_and_b64 s[20:21], s[18:19], s[20:21]
	s_mov_b64 exec, s[20:21]
; %bb.264:
	ds_write_b64 v20, v[2:3]
; %bb.265:
	s_or_b64 exec, exec, s[18:19]
	v_cmp_ne_u32_e64 s[18:19], 0, v19
	s_waitcnt lgkmcnt(0)
	s_barrier
	s_and_b64 s[20:21], s[18:19], s[6:7]
	s_mov_b64 s[18:19], exec
	v_writelane_b32 v34, s20, 6
	v_writelane_b32 v34, s21, 7
	s_and_b64 s[20:21], s[18:19], s[20:21]
	s_mov_b64 exec, s[20:21]
	s_cbranch_execz .LBB56_267
; %bb.266:
	v_lshlrev_b32_e32 v23, 3, v19
	ds_read_b64 v[23:24], v23 offset:8320
	ds_read_b64 v[25:26], v20
	s_waitcnt lgkmcnt(0)
	v_mul_f32_e32 v27, v26, v24
	v_mul_f32_e32 v24, v25, v24
	v_fma_f32 v25, v25, v23, -v27
	v_fmac_f32_e32 v24, v26, v23
	v_add_f32_e32 v2, v2, v25
	v_add_f32_e32 v3, v3, v24
.LBB56_267:
	s_or_b64 exec, exec, s[18:19]
	v_cmp_eq_u32_e64 s[18:19], 1, v19
	s_barrier
	s_and_b64 s[20:21], s[18:19], s[6:7]
	s_mov_b64 s[18:19], exec
	v_writelane_b32 v34, s20, 8
	v_writelane_b32 v34, s21, 9
	s_and_b64 s[20:21], s[18:19], s[20:21]
	s_mov_b64 exec, s[20:21]
; %bb.268:
	ds_write_b64 v20, v[2:3]
; %bb.269:
	s_or_b64 exec, exec, s[18:19]
	v_cmp_lt_u32_e64 s[18:19], 1, v19
	s_waitcnt lgkmcnt(0)
	s_barrier
	s_and_b64 s[20:21], s[18:19], s[6:7]
	s_mov_b64 s[18:19], exec
	v_writelane_b32 v34, s20, 10
	v_writelane_b32 v34, s21, 11
	s_and_b64 s[20:21], s[18:19], s[20:21]
	s_mov_b64 exec, s[20:21]
	s_cbranch_execz .LBB56_271
; %bb.270:
	v_lshlrev_b32_e32 v23, 3, v19
	ds_read_b64 v[23:24], v23 offset:8832
	ds_read_b64 v[25:26], v20
	s_waitcnt lgkmcnt(0)
	v_mul_f32_e32 v27, v26, v24
	v_mul_f32_e32 v24, v25, v24
	v_fma_f32 v25, v25, v23, -v27
	v_fmac_f32_e32 v24, v26, v23
	v_add_f32_e32 v2, v2, v25
	v_add_f32_e32 v3, v3, v24
.LBB56_271:
	s_or_b64 exec, exec, s[18:19]
	v_cmp_eq_u32_e64 s[18:19], 2, v19
	s_barrier
	s_and_b64 s[20:21], s[18:19], s[6:7]
	s_mov_b64 s[18:19], exec
	v_writelane_b32 v34, s20, 12
	v_writelane_b32 v34, s21, 13
	s_and_b64 s[20:21], s[18:19], s[20:21]
	s_mov_b64 exec, s[20:21]
; %bb.272:
	ds_write_b64 v20, v[2:3]
; %bb.273:
	s_or_b64 exec, exec, s[18:19]
	v_cmp_lt_u32_e64 s[18:19], 2, v19
	;; [unrolled: 35-line block ×13, first 2 shown]
	s_waitcnt lgkmcnt(0)
	s_barrier
	s_and_b64 s[20:21], s[18:19], s[6:7]
	s_mov_b64 s[18:19], exec
	v_writelane_b32 v34, s20, 58
	v_writelane_b32 v34, s21, 59
	s_and_b64 s[20:21], s[18:19], s[20:21]
	s_mov_b64 exec, s[20:21]
	s_cbranch_execz .LBB56_319
; %bb.318:
	v_lshlrev_b32_e32 v23, 3, v19
	ds_read_b64 v[23:24], v23 offset:14976
	ds_read_b64 v[25:26], v20
	s_waitcnt lgkmcnt(0)
	v_mul_f32_e32 v27, v26, v24
	v_mul_f32_e32 v24, v25, v24
	v_fma_f32 v25, v25, v23, -v27
	v_fmac_f32_e32 v24, v26, v23
	v_add_f32_e32 v2, v2, v25
	v_add_f32_e32 v3, v3, v24
.LBB56_319:
	s_or_b64 exec, exec, s[18:19]
	v_cmp_eq_u32_e64 s[18:19], 14, v19
	s_barrier
	s_and_b64 s[20:21], s[18:19], s[6:7]
	s_mov_b64 s[18:19], exec
	v_writelane_b32 v34, s20, 60
	v_writelane_b32 v34, s21, 61
	s_and_b64 s[20:21], s[18:19], s[20:21]
	s_mov_b64 exec, s[20:21]
; %bb.320:
	ds_write_b64 v20, v[2:3]
; %bb.321:
	s_or_b64 exec, exec, s[18:19]
	v_cmp_eq_u32_e64 s[18:19], 15, v19
	s_and_b64 s[6:7], s[18:19], s[6:7]
	s_waitcnt lgkmcnt(0)
	s_barrier
	s_and_saveexec_b64 s[18:19], s[6:7]
	s_cbranch_execz .LBB56_323
; %bb.322:
	v_mov_b32_e32 v23, 0
	ds_read_b64 v[23:24], v23 offset:15608
	ds_read_b64 v[25:26], v20
	s_waitcnt lgkmcnt(0)
	v_mul_f32_e32 v27, v26, v24
	v_mul_f32_e32 v24, v25, v24
	v_fma_f32 v25, v25, v23, -v27
	v_fmac_f32_e32 v24, v26, v23
	v_add_f32_e32 v2, v2, v25
	v_add_f32_e32 v3, v3, v24
.LBB56_323:
	s_or_b64 exec, exec, s[18:19]
	s_barrier
	s_and_saveexec_b64 s[18:19], s[6:7]
; %bb.324:
	ds_write_b64 v20, v[2:3]
; %bb.325:
	s_or_b64 exec, exec, s[18:19]
	s_waitcnt lgkmcnt(0)
	s_barrier
	s_barrier
	s_and_saveexec_b64 s[18:19], s[14:15]
; %bb.326:
	v_xor_b32_e32 v2, 0x80000000, v2
	v_xor_b32_e32 v3, 0x80000000, v3
	ds_write_b64 v18, v[2:3] offset:128
; %bb.327:
	s_or_b64 exec, exec, s[18:19]
	v_cmp_gt_u32_e64 s[18:19], 16, v0
	s_waitcnt lgkmcnt(0)
	s_barrier
	s_barrier
	s_and_b64 s[20:21], s[16:17], s[18:19]
	s_mov_b64 s[18:19], exec
	v_writelane_b32 v34, s20, 62
	v_writelane_b32 v34, s21, 63
	s_and_b64 s[20:21], s[18:19], s[20:21]
	s_mov_b64 exec, s[20:21]
	s_cbranch_execz .LBB56_329
; %bb.328:
	v_lshlrev_b32_e32 v23, 9, v0
	ds_read_b64 v[2:3], v23 offset:128
	s_movk_i32 s20, 0xfe08
	v_mad_i32_i24 v24, v0, s20, v23
	s_waitcnt lgkmcnt(0)
	ds_write_b64 v24, v[2:3] offset:8192
	ds_read_b64 v[2:3], v23 offset:136
	s_waitcnt lgkmcnt(0)
	ds_write_b64 v24, v[2:3] offset:8704
	ds_read_b64 v[2:3], v23 offset:144
	;; [unrolled: 3-line block ×15, first 2 shown]
	s_waitcnt lgkmcnt(0)
	ds_write_b64 v24, v[2:3] offset:15872
.LBB56_329:
	s_or_b64 exec, exec, s[18:19]
	s_waitcnt lgkmcnt(0)
	s_barrier
	s_and_saveexec_b64 s[18:19], vcc
	s_cbranch_execz .LBB56_331
; %bb.330:
	v_mov_b32_e32 v25, 0
	ds_read_b64 v[2:3], v25 offset:8328
	s_mov_b64 s[20:21], 0x3f800000
	v_mov_b32_e32 v24, s21
	v_mov_b32_e32 v23, s20
	s_movk_i32 s20, 0x80
	ds_write_b64 v25, v[23:24] offset:8840
	v_add_u32_e64 v25, s20, 0
	s_waitcnt lgkmcnt(1)
	ds_write2st64_b64 v25, v[23:24], v[2:3] offset0:16 offset1:17
.LBB56_331:
	s_or_b64 exec, exec, s[18:19]
	v_mov_b32_e32 v3, 0
	v_mov_b32_e32 v2, 0
	s_waitcnt lgkmcnt(0)
	s_barrier
	s_and_saveexec_b64 s[20:21], s[22:23]
	s_cbranch_execz .LBB56_335
; %bb.332:
	v_mul_u32_u24_e32 v23, 0x208, v6
	ds_read_b64 v[2:3], v4 offset:8336
	ds_read_b64 v[23:24], v23 offset:8320
	v_cmp_gt_u32_e64 s[18:19], 2, v7
	s_waitcnt lgkmcnt(0)
	v_mul_f32_e32 v25, v24, v3
	v_mul_f32_e32 v3, v23, v3
	v_fma_f32 v23, v23, v2, -v25
	v_fmac_f32_e32 v3, v24, v2
	v_add_f32_e32 v2, 0, v23
	v_add_f32_e32 v3, 0, v3
	s_and_saveexec_b64 s[24:25], s[18:19]
	s_cbranch_execz .LBB56_334
; %bb.333:
	v_lshlrev_b32_e32 v23, 3, v0
	v_mov_b32_e32 v25, 0
	ds_read_b64 v[23:24], v23 offset:8848
	ds_read_b64 v[25:26], v25 offset:8328
	s_waitcnt lgkmcnt(0)
	v_mul_f32_e32 v27, v26, v24
	v_mul_f32_e32 v24, v25, v24
	v_fma_f32 v25, v25, v23, -v27
	v_fmac_f32_e32 v24, v26, v23
	v_add_f32_e32 v2, v2, v25
	v_add_f32_e32 v3, v3, v24
.LBB56_334:
	s_or_b64 exec, exec, s[24:25]
	v_xor_b32_e32 v2, 0x80000000, v2
	v_xor_b32_e32 v3, 0x80000000, v3
.LBB56_335:
	s_or_b64 exec, exec, s[20:21]
	s_and_saveexec_b64 s[18:19], s[38:39]
; %bb.336:
	ds_write_b64 v5, v[2:3]
; %bb.337:
	s_or_b64 exec, exec, s[18:19]
	s_waitcnt lgkmcnt(0)
	s_barrier
	s_and_saveexec_b64 s[18:19], s[36:37]
	s_cbranch_execz .LBB56_339
; %bb.338:
	v_mov_b32_e32 v23, 0
	ds_read_b64 v[23:24], v23 offset:9368
	ds_read_b64 v[25:26], v5
	s_waitcnt lgkmcnt(0)
	v_mul_f32_e32 v27, v26, v24
	v_mul_f32_e32 v24, v25, v24
	v_fma_f32 v25, v25, v23, -v27
	v_fmac_f32_e32 v24, v26, v23
	v_add_f32_e32 v2, v2, v25
	v_add_f32_e32 v3, v3, v24
.LBB56_339:
	s_or_b64 exec, exec, s[18:19]
	s_barrier
	s_and_saveexec_b64 s[18:19], s[36:37]
; %bb.340:
	ds_write_b64 v5, v[2:3]
; %bb.341:
	s_or_b64 exec, exec, s[18:19]
	s_waitcnt lgkmcnt(0)
	s_barrier
	s_barrier
	s_and_saveexec_b64 s[18:19], s[22:23]
; %bb.342:
	v_xor_b32_e32 v3, 0x80000000, v3
	v_xor_b32_e32 v2, 0x80000000, v2
	ds_write_b64 v4, v[2:3] offset:8336
; %bb.343:
	s_or_b64 exec, exec, s[18:19]
	s_waitcnt lgkmcnt(0)
	s_barrier
	s_barrier
	s_and_saveexec_b64 s[18:19], s[42:43]
	s_cbranch_execz .LBB56_345
; %bb.344:
	v_lshlrev_b32_e32 v23, 3, v0
	s_movk_i32 s20, 0x1f8
	v_mad_u32_u24 v24, v0, s20, v23
	ds_read_b64 v[2:3], v24 offset:8336
	s_waitcnt lgkmcnt(0)
	ds_write_b64 v23, v[2:3] offset:9344
	ds_read_b64 v[2:3], v24 offset:8344
	s_waitcnt lgkmcnt(0)
	ds_write_b64 v23, v[2:3] offset:9856
.LBB56_345:
	s_or_b64 exec, exec, s[18:19]
	s_waitcnt lgkmcnt(0)
	s_barrier
	s_and_saveexec_b64 s[18:19], vcc
	s_cbranch_execz .LBB56_347
; %bb.346:
	v_mov_b32_e32 v25, 0
	ds_read_b64 v[2:3], v25 offset:9368
	s_mov_b64 s[20:21], 0x3f800000
	v_mov_b32_e32 v24, s21
	v_mov_b32_e32 v23, s20
	s_movk_i32 s20, 0x90
	ds_write_b64 v25, v[23:24] offset:9880
	v_add_u32_e64 v25, s20, 0
	s_waitcnt lgkmcnt(1)
	ds_write2st64_b64 v25, v[23:24], v[2:3] offset0:18 offset1:19
.LBB56_347:
	s_or_b64 exec, exec, s[18:19]
	v_mov_b32_e32 v3, 0
	v_mov_b32_e32 v2, 0
	s_waitcnt lgkmcnt(0)
	s_barrier
	s_and_saveexec_b64 s[20:21], s[10:11]
	s_cbranch_execz .LBB56_353
; %bb.348:
	v_mul_u32_u24_e32 v23, 0x208, v12
	ds_read_b64 v[2:3], v8 offset:8352
	ds_read_b64 v[24:25], v23 offset:8320
	v_cmp_gt_u32_e64 s[18:19], 12, v7
	s_waitcnt lgkmcnt(0)
	v_mul_f32_e32 v26, v25, v3
	v_mul_f32_e32 v3, v24, v3
	v_fma_f32 v24, v24, v2, -v26
	v_fmac_f32_e32 v3, v25, v2
	v_add_f32_e32 v2, 0, v24
	v_add_f32_e32 v3, 0, v3
	s_and_saveexec_b64 s[24:25], s[18:19]
	s_cbranch_execnz .LBB56_1064
; %bb.349:
	s_or_b64 exec, exec, s[24:25]
	v_cmp_gt_u32_e64 s[18:19], 8, v7
	s_and_saveexec_b64 s[24:25], s[18:19]
	s_cbranch_execnz .LBB56_1065
.LBB56_350:
	s_or_b64 exec, exec, s[24:25]
	v_cmp_gt_u32_e64 s[18:19], 4, v7
	s_and_saveexec_b64 s[24:25], s[18:19]
	s_cbranch_execz .LBB56_352
.LBB56_351:
	v_lshlrev_b32_e32 v23, 3, v0
	v_mov_b32_e32 v25, 0
	ds_read_b64 v[23:24], v23 offset:9888
	ds_read_b64 v[25:26], v25 offset:8344
	s_waitcnt lgkmcnt(0)
	v_mul_f32_e32 v27, v26, v24
	v_mul_f32_e32 v24, v25, v24
	v_fma_f32 v25, v25, v23, -v27
	v_fmac_f32_e32 v24, v26, v23
	v_add_f32_e32 v2, v2, v25
	v_add_f32_e32 v3, v3, v24
.LBB56_352:
	s_or_b64 exec, exec, s[24:25]
	v_xor_b32_e32 v2, 0x80000000, v2
	v_xor_b32_e32 v3, 0x80000000, v3
.LBB56_353:
	s_or_b64 exec, exec, s[20:21]
	s_and_saveexec_b64 s[18:19], s[52:53]
; %bb.354:
	ds_write_b64 v10, v[2:3]
; %bb.355:
	s_or_b64 exec, exec, s[18:19]
	s_waitcnt lgkmcnt(0)
	s_barrier
	s_and_saveexec_b64 s[18:19], s[54:55]
	s_cbranch_execz .LBB56_357
; %bb.356:
	ds_read_b64 v[23:24], v9 offset:10400
	ds_read_b64 v[25:26], v10
	s_waitcnt lgkmcnt(0)
	v_mul_f32_e32 v27, v26, v24
	v_mul_f32_e32 v24, v25, v24
	v_fma_f32 v25, v25, v23, -v27
	v_fmac_f32_e32 v24, v26, v23
	v_add_f32_e32 v2, v2, v25
	v_add_f32_e32 v3, v3, v24
.LBB56_357:
	s_or_b64 exec, exec, s[18:19]
	s_barrier
	s_and_saveexec_b64 s[18:19], s[56:57]
; %bb.358:
	ds_write_b64 v10, v[2:3]
; %bb.359:
	s_or_b64 exec, exec, s[18:19]
	s_waitcnt lgkmcnt(0)
	s_barrier
	s_and_saveexec_b64 s[18:19], s[58:59]
	s_cbranch_execz .LBB56_361
; %bb.360:
	ds_read_b64 v[23:24], v9 offset:10912
	ds_read_b64 v[25:26], v10
	s_waitcnt lgkmcnt(0)
	v_mul_f32_e32 v27, v26, v24
	v_mul_f32_e32 v24, v25, v24
	v_fma_f32 v25, v25, v23, -v27
	v_fmac_f32_e32 v24, v26, v23
	v_add_f32_e32 v2, v2, v25
	v_add_f32_e32 v3, v3, v24
.LBB56_361:
	s_or_b64 exec, exec, s[18:19]
	s_barrier
	s_and_saveexec_b64 s[18:19], s[60:61]
; %bb.362:
	ds_write_b64 v10, v[2:3]
; %bb.363:
	s_or_b64 exec, exec, s[18:19]
	s_waitcnt lgkmcnt(0)
	s_barrier
	s_and_saveexec_b64 s[18:19], s[44:45]
	s_cbranch_execz .LBB56_365
; %bb.364:
	v_mov_b32_e32 v23, 0
	ds_read_b64 v[23:24], v23 offset:11448
	ds_read_b64 v[25:26], v10
	s_waitcnt lgkmcnt(0)
	v_mul_f32_e32 v27, v26, v24
	v_mul_f32_e32 v24, v25, v24
	v_fma_f32 v25, v25, v23, -v27
	v_fmac_f32_e32 v24, v26, v23
	v_add_f32_e32 v2, v2, v25
	v_add_f32_e32 v3, v3, v24
.LBB56_365:
	s_or_b64 exec, exec, s[18:19]
	s_barrier
	s_and_saveexec_b64 s[18:19], s[44:45]
; %bb.366:
	ds_write_b64 v10, v[2:3]
; %bb.367:
	s_or_b64 exec, exec, s[18:19]
	s_waitcnt lgkmcnt(0)
	s_barrier
	s_barrier
	s_and_saveexec_b64 s[18:19], s[10:11]
; %bb.368:
	v_xor_b32_e32 v2, 0x80000000, v2
	v_xor_b32_e32 v3, 0x80000000, v3
	ds_write_b64 v8, v[2:3] offset:8352
; %bb.369:
	s_or_b64 exec, exec, s[18:19]
	s_waitcnt lgkmcnt(0)
	s_barrier
	s_barrier
	s_and_saveexec_b64 s[18:19], s[62:63]
	s_cbranch_execz .LBB56_371
; %bb.370:
	v_lshlrev_b32_e32 v23, 9, v0
	ds_read_b64 v[2:3], v23 offset:8352
	s_movk_i32 s20, 0xfe08
	v_mad_i32_i24 v24, v0, s20, v23
	s_waitcnt lgkmcnt(0)
	ds_write_b64 v24, v[2:3] offset:10368
	ds_read_b64 v[2:3], v23 offset:8360
	s_waitcnt lgkmcnt(0)
	ds_write_b64 v24, v[2:3] offset:10880
	ds_read_b64 v[2:3], v23 offset:8368
	;; [unrolled: 3-line block ×3, first 2 shown]
	s_waitcnt lgkmcnt(0)
	ds_write_b64 v24, v[2:3] offset:11904
.LBB56_371:
	s_or_b64 exec, exec, s[18:19]
	s_waitcnt lgkmcnt(0)
	s_barrier
	s_and_saveexec_b64 s[18:19], vcc
	s_cbranch_execz .LBB56_373
; %bb.372:
	v_mov_b32_e32 v25, 0
	ds_read_b64 v[2:3], v25 offset:10408
	s_mov_b64 s[20:21], 0x3f800000
	v_mov_b32_e32 v24, s21
	v_mov_b32_e32 v23, s20
	s_movk_i32 s20, 0xa0
	ds_write_b64 v25, v[23:24] offset:10920
	v_add_u32_e64 v25, s20, 0
	s_waitcnt lgkmcnt(1)
	ds_write2st64_b64 v25, v[23:24], v[2:3] offset0:20 offset1:21
.LBB56_373:
	s_or_b64 exec, exec, s[18:19]
	v_mov_b32_e32 v3, 0
	v_mov_b32_e32 v2, 0
	s_waitcnt lgkmcnt(0)
	s_barrier
	s_and_saveexec_b64 s[20:21], s[22:23]
	s_cbranch_execz .LBB56_377
; %bb.374:
	v_mul_u32_u24_e32 v23, 0x208, v6
	ds_read_b64 v[2:3], v4 offset:10416
	ds_read_b64 v[23:24], v23 offset:10400
	v_cmp_gt_u32_e64 s[18:19], 2, v7
	s_waitcnt lgkmcnt(0)
	v_mul_f32_e32 v25, v24, v3
	v_mul_f32_e32 v3, v23, v3
	v_fma_f32 v23, v23, v2, -v25
	v_fmac_f32_e32 v3, v24, v2
	v_add_f32_e32 v2, 0, v23
	v_add_f32_e32 v3, 0, v3
	s_and_saveexec_b64 s[24:25], s[18:19]
	s_cbranch_execz .LBB56_376
; %bb.375:
	v_lshlrev_b32_e32 v23, 3, v0
	v_mov_b32_e32 v25, 0
	ds_read_b64 v[23:24], v23 offset:10928
	ds_read_b64 v[25:26], v25 offset:10408
	s_waitcnt lgkmcnt(0)
	v_mul_f32_e32 v27, v26, v24
	v_mul_f32_e32 v24, v25, v24
	v_fma_f32 v25, v25, v23, -v27
	v_fmac_f32_e32 v24, v26, v23
	v_add_f32_e32 v2, v2, v25
	v_add_f32_e32 v3, v3, v24
.LBB56_376:
	s_or_b64 exec, exec, s[24:25]
	v_xor_b32_e32 v2, 0x80000000, v2
	v_xor_b32_e32 v3, 0x80000000, v3
.LBB56_377:
	s_or_b64 exec, exec, s[20:21]
	s_and_saveexec_b64 s[18:19], s[38:39]
; %bb.378:
	ds_write_b64 v5, v[2:3]
; %bb.379:
	s_or_b64 exec, exec, s[18:19]
	s_waitcnt lgkmcnt(0)
	s_barrier
	s_and_saveexec_b64 s[18:19], s[36:37]
	s_cbranch_execz .LBB56_381
; %bb.380:
	v_mov_b32_e32 v23, 0
	ds_read_b64 v[23:24], v23 offset:11448
	ds_read_b64 v[25:26], v5
	s_waitcnt lgkmcnt(0)
	v_mul_f32_e32 v27, v26, v24
	v_mul_f32_e32 v24, v25, v24
	v_fma_f32 v25, v25, v23, -v27
	v_fmac_f32_e32 v24, v26, v23
	v_add_f32_e32 v2, v2, v25
	v_add_f32_e32 v3, v3, v24
.LBB56_381:
	s_or_b64 exec, exec, s[18:19]
	s_barrier
	s_and_saveexec_b64 s[18:19], s[36:37]
; %bb.382:
	ds_write_b64 v5, v[2:3]
; %bb.383:
	s_or_b64 exec, exec, s[18:19]
	s_waitcnt lgkmcnt(0)
	s_barrier
	s_barrier
	s_and_saveexec_b64 s[18:19], s[22:23]
; %bb.384:
	v_xor_b32_e32 v3, 0x80000000, v3
	v_xor_b32_e32 v2, 0x80000000, v2
	ds_write_b64 v4, v[2:3] offset:10416
; %bb.385:
	s_or_b64 exec, exec, s[18:19]
	s_waitcnt lgkmcnt(0)
	s_barrier
	s_barrier
	s_and_saveexec_b64 s[18:19], s[42:43]
	s_cbranch_execz .LBB56_387
; %bb.386:
	v_lshlrev_b32_e32 v23, 3, v0
	s_movk_i32 s20, 0x1f8
	v_mad_u32_u24 v24, v0, s20, v23
	ds_read_b64 v[2:3], v24 offset:10416
	s_waitcnt lgkmcnt(0)
	ds_write_b64 v23, v[2:3] offset:11424
	ds_read_b64 v[2:3], v24 offset:10424
	s_waitcnt lgkmcnt(0)
	ds_write_b64 v23, v[2:3] offset:11936
.LBB56_387:
	s_or_b64 exec, exec, s[18:19]
	s_waitcnt lgkmcnt(0)
	s_barrier
	s_and_saveexec_b64 s[18:19], vcc
	s_cbranch_execz .LBB56_389
; %bb.388:
	v_mov_b32_e32 v25, 0
	ds_read_b64 v[2:3], v25 offset:11448
	s_mov_b64 s[20:21], 0x3f800000
	v_mov_b32_e32 v24, s21
	v_mov_b32_e32 v23, s20
	s_movk_i32 s20, 0xb0
	ds_write_b64 v25, v[23:24] offset:11960
	v_add_u32_e64 v25, s20, 0
	s_waitcnt lgkmcnt(1)
	ds_write2st64_b64 v25, v[23:24], v[2:3] offset0:22 offset1:23
.LBB56_389:
	s_or_b64 exec, exec, s[18:19]
	v_mov_b32_e32 v3, 0
	v_mov_b32_e32 v2, 0
	s_waitcnt lgkmcnt(0)
	s_barrier
	s_and_saveexec_b64 s[20:21], s[12:13]
	s_cbranch_execz .LBB56_399
; %bb.390:
	v_mul_u32_u24_e32 v23, 0x208, v17
	ds_read_b64 v[2:3], v13 offset:8384
	ds_read_b64 v[24:25], v23 offset:8320
	v_cmp_gt_u32_e64 s[18:19], 56, v7
	s_waitcnt lgkmcnt(0)
	v_mul_f32_e32 v26, v25, v3
	v_mul_f32_e32 v3, v24, v3
	v_fma_f32 v24, v24, v2, -v26
	v_fmac_f32_e32 v3, v25, v2
	v_add_f32_e32 v2, 0, v24
	v_add_f32_e32 v3, 0, v3
	s_and_saveexec_b64 s[24:25], s[18:19]
	s_cbranch_execnz .LBB56_1066
; %bb.391:
	s_or_b64 exec, exec, s[24:25]
	v_cmp_gt_u32_e64 s[18:19], 48, v7
	s_and_saveexec_b64 s[24:25], s[18:19]
	s_cbranch_execnz .LBB56_1067
.LBB56_392:
	s_or_b64 exec, exec, s[24:25]
	v_cmp_gt_u32_e64 s[18:19], 40, v7
	s_and_saveexec_b64 s[24:25], s[18:19]
	s_cbranch_execnz .LBB56_1068
.LBB56_393:
	s_or_b64 exec, exec, s[24:25]
	v_cmp_gt_u32_e64 s[18:19], 32, v7
	s_and_saveexec_b64 s[24:25], s[18:19]
	s_cbranch_execnz .LBB56_1069
.LBB56_394:
	s_or_b64 exec, exec, s[24:25]
	v_cmp_gt_u32_e64 s[18:19], 24, v7
	s_and_saveexec_b64 s[24:25], s[18:19]
	s_cbranch_execnz .LBB56_1070
.LBB56_395:
	s_or_b64 exec, exec, s[24:25]
	v_cmp_gt_u32_e64 s[18:19], 16, v7
	s_and_saveexec_b64 s[24:25], s[18:19]
	s_cbranch_execnz .LBB56_1071
.LBB56_396:
	s_or_b64 exec, exec, s[24:25]
	v_cmp_gt_u32_e64 s[18:19], 8, v7
	s_and_saveexec_b64 s[24:25], s[18:19]
	s_cbranch_execz .LBB56_398
.LBB56_397:
	v_lshlrev_b32_e32 v23, 3, v0
	v_mov_b32_e32 v25, 0
	ds_read_b64 v[23:24], v23 offset:11968
	ds_read_b64 v[25:26], v25 offset:8376
	s_waitcnt lgkmcnt(0)
	v_mul_f32_e32 v27, v26, v24
	v_mul_f32_e32 v24, v25, v24
	v_fma_f32 v25, v25, v23, -v27
	v_fmac_f32_e32 v24, v26, v23
	v_add_f32_e32 v2, v2, v25
	v_add_f32_e32 v3, v3, v24
.LBB56_398:
	s_or_b64 exec, exec, s[24:25]
	v_xor_b32_e32 v2, 0x80000000, v2
	v_xor_b32_e32 v3, 0x80000000, v3
.LBB56_399:
	s_or_b64 exec, exec, s[20:21]
	s_and_saveexec_b64 s[18:19], s[66:67]
; %bb.400:
	ds_write_b64 v15, v[2:3]
; %bb.401:
	s_or_b64 exec, exec, s[18:19]
	s_waitcnt lgkmcnt(0)
	s_barrier
	s_and_saveexec_b64 s[18:19], s[68:69]
	s_cbranch_execz .LBB56_403
; %bb.402:
	ds_read_b64 v[23:24], v14 offset:12480
	ds_read_b64 v[25:26], v15
	s_waitcnt lgkmcnt(0)
	v_mul_f32_e32 v27, v26, v24
	v_mul_f32_e32 v24, v25, v24
	v_fma_f32 v25, v25, v23, -v27
	v_fmac_f32_e32 v24, v26, v23
	v_add_f32_e32 v2, v2, v25
	v_add_f32_e32 v3, v3, v24
.LBB56_403:
	s_or_b64 exec, exec, s[18:19]
	s_barrier
	s_and_saveexec_b64 s[18:19], s[70:71]
; %bb.404:
	ds_write_b64 v15, v[2:3]
; %bb.405:
	s_or_b64 exec, exec, s[18:19]
	s_waitcnt lgkmcnt(0)
	s_barrier
	s_and_saveexec_b64 s[18:19], s[72:73]
	s_cbranch_execz .LBB56_407
; %bb.406:
	ds_read_b64 v[23:24], v14 offset:12992
	ds_read_b64 v[25:26], v15
	s_waitcnt lgkmcnt(0)
	v_mul_f32_e32 v27, v26, v24
	v_mul_f32_e32 v24, v25, v24
	v_fma_f32 v25, v25, v23, -v27
	v_fmac_f32_e32 v24, v26, v23
	v_add_f32_e32 v2, v2, v25
	v_add_f32_e32 v3, v3, v24
.LBB56_407:
	s_or_b64 exec, exec, s[18:19]
	s_barrier
	;; [unrolled: 22-line block ×6, first 2 shown]
	s_and_saveexec_b64 s[18:19], s[90:91]
; %bb.424:
	ds_write_b64 v15, v[2:3]
; %bb.425:
	s_or_b64 exec, exec, s[18:19]
	s_waitcnt lgkmcnt(0)
	s_barrier
	s_and_saveexec_b64 s[18:19], s[64:65]
	s_cbranch_execz .LBB56_427
; %bb.426:
	v_mov_b32_e32 v23, 0
	ds_read_b64 v[23:24], v23 offset:15608
	ds_read_b64 v[25:26], v15
	s_waitcnt lgkmcnt(0)
	v_mul_f32_e32 v27, v26, v24
	v_mul_f32_e32 v24, v25, v24
	v_fma_f32 v25, v25, v23, -v27
	v_fmac_f32_e32 v24, v26, v23
	v_add_f32_e32 v2, v2, v25
	v_add_f32_e32 v3, v3, v24
.LBB56_427:
	s_or_b64 exec, exec, s[18:19]
	s_barrier
	s_and_saveexec_b64 s[18:19], s[64:65]
; %bb.428:
	ds_write_b64 v15, v[2:3]
; %bb.429:
	s_or_b64 exec, exec, s[18:19]
	s_waitcnt lgkmcnt(0)
	s_barrier
	s_barrier
	s_and_saveexec_b64 s[18:19], s[12:13]
; %bb.430:
	v_xor_b32_e32 v3, 0x80000000, v3
	v_xor_b32_e32 v2, 0x80000000, v2
	ds_write_b64 v13, v[2:3] offset:8384
; %bb.431:
	s_or_b64 exec, exec, s[18:19]
	s_waitcnt lgkmcnt(0)
	s_barrier
	s_barrier
	s_and_saveexec_b64 s[18:19], s[92:93]
	s_cbranch_execz .LBB56_433
; %bb.432:
	v_lshlrev_b32_e32 v23, 9, v0
	ds_read_b64 v[2:3], v23 offset:8384
	s_movk_i32 s20, 0xfe08
	v_mad_i32_i24 v24, v0, s20, v23
	s_waitcnt lgkmcnt(0)
	ds_write_b64 v24, v[2:3] offset:12416
	ds_read_b64 v[2:3], v23 offset:8392
	s_waitcnt lgkmcnt(0)
	ds_write_b64 v24, v[2:3] offset:12928
	ds_read_b64 v[2:3], v23 offset:8400
	;; [unrolled: 3-line block ×7, first 2 shown]
	s_waitcnt lgkmcnt(0)
	ds_write_b64 v24, v[2:3] offset:16000
.LBB56_433:
	s_or_b64 exec, exec, s[18:19]
	s_waitcnt lgkmcnt(0)
	s_barrier
	s_and_saveexec_b64 s[18:19], vcc
	s_cbranch_execz .LBB56_435
; %bb.434:
	v_mov_b32_e32 v25, 0
	ds_read_b64 v[2:3], v25 offset:12488
	s_mov_b64 s[20:21], 0x3f800000
	v_mov_b32_e32 v24, s21
	v_mov_b32_e32 v23, s20
	s_movk_i32 s20, 0xc0
	ds_write_b64 v25, v[23:24] offset:13000
	v_add_u32_e64 v25, s20, 0
	s_waitcnt lgkmcnt(1)
	ds_write2st64_b64 v25, v[23:24], v[2:3] offset0:24 offset1:25
.LBB56_435:
	s_or_b64 exec, exec, s[18:19]
	v_mov_b32_e32 v3, 0
	v_mov_b32_e32 v2, 0
	s_waitcnt lgkmcnt(0)
	s_barrier
	s_and_saveexec_b64 s[20:21], s[22:23]
	s_cbranch_execz .LBB56_439
; %bb.436:
	v_mul_u32_u24_e32 v23, 0x208, v6
	ds_read_b64 v[2:3], v4 offset:12496
	ds_read_b64 v[23:24], v23 offset:12480
	v_cmp_gt_u32_e64 s[18:19], 2, v7
	s_waitcnt lgkmcnt(0)
	v_mul_f32_e32 v25, v24, v3
	v_mul_f32_e32 v3, v23, v3
	v_fma_f32 v23, v23, v2, -v25
	v_fmac_f32_e32 v3, v24, v2
	v_add_f32_e32 v2, 0, v23
	v_add_f32_e32 v3, 0, v3
	s_and_saveexec_b64 s[24:25], s[18:19]
	s_cbranch_execz .LBB56_438
; %bb.437:
	v_lshlrev_b32_e32 v23, 3, v0
	v_mov_b32_e32 v25, 0
	ds_read_b64 v[23:24], v23 offset:13008
	ds_read_b64 v[25:26], v25 offset:12488
	s_waitcnt lgkmcnt(0)
	v_mul_f32_e32 v27, v26, v24
	v_mul_f32_e32 v24, v25, v24
	v_fma_f32 v25, v25, v23, -v27
	v_fmac_f32_e32 v24, v26, v23
	v_add_f32_e32 v2, v2, v25
	v_add_f32_e32 v3, v3, v24
.LBB56_438:
	s_or_b64 exec, exec, s[24:25]
	v_xor_b32_e32 v2, 0x80000000, v2
	v_xor_b32_e32 v3, 0x80000000, v3
.LBB56_439:
	s_or_b64 exec, exec, s[20:21]
	s_and_saveexec_b64 s[18:19], s[38:39]
; %bb.440:
	ds_write_b64 v5, v[2:3]
; %bb.441:
	s_or_b64 exec, exec, s[18:19]
	s_waitcnt lgkmcnt(0)
	s_barrier
	s_and_saveexec_b64 s[18:19], s[36:37]
	s_cbranch_execz .LBB56_443
; %bb.442:
	v_mov_b32_e32 v23, 0
	ds_read_b64 v[23:24], v23 offset:13528
	ds_read_b64 v[25:26], v5
	s_waitcnt lgkmcnt(0)
	v_mul_f32_e32 v27, v26, v24
	v_mul_f32_e32 v24, v25, v24
	v_fma_f32 v25, v25, v23, -v27
	v_fmac_f32_e32 v24, v26, v23
	v_add_f32_e32 v2, v2, v25
	v_add_f32_e32 v3, v3, v24
.LBB56_443:
	s_or_b64 exec, exec, s[18:19]
	s_barrier
	s_and_saveexec_b64 s[18:19], s[36:37]
; %bb.444:
	ds_write_b64 v5, v[2:3]
; %bb.445:
	s_or_b64 exec, exec, s[18:19]
	s_waitcnt lgkmcnt(0)
	s_barrier
	s_barrier
	s_and_saveexec_b64 s[18:19], s[22:23]
; %bb.446:
	v_xor_b32_e32 v3, 0x80000000, v3
	v_xor_b32_e32 v2, 0x80000000, v2
	ds_write_b64 v4, v[2:3] offset:12496
; %bb.447:
	s_or_b64 exec, exec, s[18:19]
	s_waitcnt lgkmcnt(0)
	s_barrier
	s_barrier
	s_and_saveexec_b64 s[18:19], s[42:43]
	s_cbranch_execz .LBB56_449
; %bb.448:
	v_lshlrev_b32_e32 v23, 3, v0
	s_movk_i32 s20, 0x1f8
	v_mad_u32_u24 v24, v0, s20, v23
	ds_read_b64 v[2:3], v24 offset:12496
	s_waitcnt lgkmcnt(0)
	ds_write_b64 v23, v[2:3] offset:13504
	ds_read_b64 v[2:3], v24 offset:12504
	s_waitcnt lgkmcnt(0)
	ds_write_b64 v23, v[2:3] offset:14016
.LBB56_449:
	s_or_b64 exec, exec, s[18:19]
	s_waitcnt lgkmcnt(0)
	s_barrier
	s_and_saveexec_b64 s[18:19], vcc
	s_cbranch_execz .LBB56_451
; %bb.450:
	v_mov_b32_e32 v25, 0
	ds_read_b64 v[2:3], v25 offset:13528
	s_mov_b64 s[20:21], 0x3f800000
	v_mov_b32_e32 v24, s21
	v_mov_b32_e32 v23, s20
	s_movk_i32 s20, 0xd0
	ds_write_b64 v25, v[23:24] offset:14040
	v_add_u32_e64 v25, s20, 0
	s_waitcnt lgkmcnt(1)
	ds_write2st64_b64 v25, v[23:24], v[2:3] offset0:26 offset1:27
.LBB56_451:
	s_or_b64 exec, exec, s[18:19]
	v_mov_b32_e32 v3, 0
	v_mov_b32_e32 v2, 0
	s_waitcnt lgkmcnt(0)
	s_barrier
	s_and_saveexec_b64 s[20:21], s[10:11]
	s_cbranch_execz .LBB56_457
; %bb.452:
	v_mul_u32_u24_e32 v23, 0x208, v12
	ds_read_b64 v[2:3], v8 offset:12512
	ds_read_b64 v[24:25], v23 offset:12480
	v_cmp_gt_u32_e64 s[18:19], 12, v7
	s_waitcnt lgkmcnt(0)
	v_mul_f32_e32 v26, v25, v3
	v_mul_f32_e32 v3, v24, v3
	v_fma_f32 v24, v24, v2, -v26
	v_fmac_f32_e32 v3, v25, v2
	v_add_f32_e32 v2, 0, v24
	v_add_f32_e32 v3, 0, v3
	s_and_saveexec_b64 s[24:25], s[18:19]
	s_cbranch_execnz .LBB56_1072
; %bb.453:
	s_or_b64 exec, exec, s[24:25]
	v_cmp_gt_u32_e64 s[18:19], 8, v7
	s_and_saveexec_b64 s[24:25], s[18:19]
	s_cbranch_execnz .LBB56_1073
.LBB56_454:
	s_or_b64 exec, exec, s[24:25]
	v_cmp_gt_u32_e64 s[18:19], 4, v7
	s_and_saveexec_b64 s[24:25], s[18:19]
	s_cbranch_execz .LBB56_456
.LBB56_455:
	v_lshlrev_b32_e32 v23, 3, v0
	v_mov_b32_e32 v25, 0
	ds_read_b64 v[23:24], v23 offset:14048
	ds_read_b64 v[25:26], v25 offset:12504
	s_waitcnt lgkmcnt(0)
	v_mul_f32_e32 v27, v26, v24
	v_mul_f32_e32 v24, v25, v24
	v_fma_f32 v25, v25, v23, -v27
	v_fmac_f32_e32 v24, v26, v23
	v_add_f32_e32 v2, v2, v25
	v_add_f32_e32 v3, v3, v24
.LBB56_456:
	s_or_b64 exec, exec, s[24:25]
	v_xor_b32_e32 v2, 0x80000000, v2
	v_xor_b32_e32 v3, 0x80000000, v3
.LBB56_457:
	s_or_b64 exec, exec, s[20:21]
	s_and_saveexec_b64 s[18:19], s[52:53]
; %bb.458:
	ds_write_b64 v10, v[2:3]
; %bb.459:
	s_or_b64 exec, exec, s[18:19]
	s_waitcnt lgkmcnt(0)
	s_barrier
	s_and_saveexec_b64 s[18:19], s[54:55]
	s_cbranch_execz .LBB56_461
; %bb.460:
	ds_read_b64 v[23:24], v9 offset:14560
	ds_read_b64 v[25:26], v10
	s_waitcnt lgkmcnt(0)
	v_mul_f32_e32 v27, v26, v24
	v_mul_f32_e32 v24, v25, v24
	v_fma_f32 v25, v25, v23, -v27
	v_fmac_f32_e32 v24, v26, v23
	v_add_f32_e32 v2, v2, v25
	v_add_f32_e32 v3, v3, v24
.LBB56_461:
	s_or_b64 exec, exec, s[18:19]
	s_barrier
	s_and_saveexec_b64 s[18:19], s[56:57]
; %bb.462:
	ds_write_b64 v10, v[2:3]
; %bb.463:
	s_or_b64 exec, exec, s[18:19]
	s_waitcnt lgkmcnt(0)
	s_barrier
	s_and_saveexec_b64 s[18:19], s[58:59]
	s_cbranch_execz .LBB56_465
; %bb.464:
	ds_read_b64 v[23:24], v9 offset:15072
	ds_read_b64 v[25:26], v10
	s_waitcnt lgkmcnt(0)
	v_mul_f32_e32 v27, v26, v24
	v_mul_f32_e32 v24, v25, v24
	v_fma_f32 v25, v25, v23, -v27
	v_fmac_f32_e32 v24, v26, v23
	v_add_f32_e32 v2, v2, v25
	v_add_f32_e32 v3, v3, v24
.LBB56_465:
	s_or_b64 exec, exec, s[18:19]
	s_barrier
	s_and_saveexec_b64 s[18:19], s[60:61]
; %bb.466:
	ds_write_b64 v10, v[2:3]
; %bb.467:
	s_or_b64 exec, exec, s[18:19]
	s_waitcnt lgkmcnt(0)
	s_barrier
	s_and_saveexec_b64 s[18:19], s[44:45]
	s_cbranch_execz .LBB56_469
; %bb.468:
	v_mov_b32_e32 v23, 0
	ds_read_b64 v[23:24], v23 offset:15608
	ds_read_b64 v[25:26], v10
	s_waitcnt lgkmcnt(0)
	v_mul_f32_e32 v27, v26, v24
	v_mul_f32_e32 v24, v25, v24
	v_fma_f32 v25, v25, v23, -v27
	v_fmac_f32_e32 v24, v26, v23
	v_add_f32_e32 v2, v2, v25
	v_add_f32_e32 v3, v3, v24
.LBB56_469:
	s_or_b64 exec, exec, s[18:19]
	s_barrier
	s_and_saveexec_b64 s[18:19], s[44:45]
; %bb.470:
	ds_write_b64 v10, v[2:3]
; %bb.471:
	s_or_b64 exec, exec, s[18:19]
	s_waitcnt lgkmcnt(0)
	s_barrier
	s_barrier
	s_and_saveexec_b64 s[18:19], s[10:11]
; %bb.472:
	v_xor_b32_e32 v2, 0x80000000, v2
	v_xor_b32_e32 v3, 0x80000000, v3
	ds_write_b64 v8, v[2:3] offset:12512
; %bb.473:
	s_or_b64 exec, exec, s[18:19]
	s_waitcnt lgkmcnt(0)
	s_barrier
	s_barrier
	s_and_saveexec_b64 s[18:19], s[62:63]
	s_cbranch_execz .LBB56_475
; %bb.474:
	v_lshlrev_b32_e32 v23, 9, v0
	ds_read_b64 v[2:3], v23 offset:12512
	s_movk_i32 s20, 0xfe08
	v_mad_i32_i24 v24, v0, s20, v23
	s_waitcnt lgkmcnt(0)
	ds_write_b64 v24, v[2:3] offset:14528
	ds_read_b64 v[2:3], v23 offset:12520
	s_waitcnt lgkmcnt(0)
	ds_write_b64 v24, v[2:3] offset:15040
	ds_read_b64 v[2:3], v23 offset:12528
	;; [unrolled: 3-line block ×3, first 2 shown]
	s_waitcnt lgkmcnt(0)
	ds_write_b64 v24, v[2:3] offset:16064
.LBB56_475:
	s_or_b64 exec, exec, s[18:19]
	s_waitcnt lgkmcnt(0)
	s_barrier
	s_and_saveexec_b64 s[18:19], vcc
	s_cbranch_execz .LBB56_477
; %bb.476:
	v_mov_b32_e32 v25, 0
	ds_read_b64 v[2:3], v25 offset:14568
	s_mov_b64 s[20:21], 0x3f800000
	v_mov_b32_e32 v24, s21
	v_mov_b32_e32 v23, s20
	s_movk_i32 s20, 0xe0
	ds_write_b64 v25, v[23:24] offset:15080
	v_add_u32_e64 v25, s20, 0
	s_waitcnt lgkmcnt(1)
	ds_write2st64_b64 v25, v[23:24], v[2:3] offset0:28 offset1:29
.LBB56_477:
	s_or_b64 exec, exec, s[18:19]
	v_mov_b32_e32 v3, 0
	v_mov_b32_e32 v2, 0
	s_waitcnt lgkmcnt(0)
	s_barrier
	s_and_saveexec_b64 s[20:21], s[22:23]
	s_cbranch_execz .LBB56_481
; %bb.478:
	v_mul_u32_u24_e32 v23, 0x208, v6
	ds_read_b64 v[2:3], v4 offset:14576
	ds_read_b64 v[23:24], v23 offset:14560
	v_cmp_gt_u32_e64 s[18:19], 2, v7
	s_waitcnt lgkmcnt(0)
	v_mul_f32_e32 v25, v24, v3
	v_mul_f32_e32 v3, v23, v3
	v_fma_f32 v23, v23, v2, -v25
	v_fmac_f32_e32 v3, v24, v2
	v_add_f32_e32 v2, 0, v23
	v_add_f32_e32 v3, 0, v3
	s_and_saveexec_b64 s[24:25], s[18:19]
	s_cbranch_execz .LBB56_480
; %bb.479:
	v_lshlrev_b32_e32 v23, 3, v0
	v_mov_b32_e32 v25, 0
	ds_read_b64 v[23:24], v23 offset:15088
	ds_read_b64 v[25:26], v25 offset:14568
	s_waitcnt lgkmcnt(0)
	v_mul_f32_e32 v27, v26, v24
	v_mul_f32_e32 v24, v25, v24
	v_fma_f32 v25, v25, v23, -v27
	v_fmac_f32_e32 v24, v26, v23
	v_add_f32_e32 v2, v2, v25
	v_add_f32_e32 v3, v3, v24
.LBB56_480:
	s_or_b64 exec, exec, s[24:25]
	v_xor_b32_e32 v2, 0x80000000, v2
	v_xor_b32_e32 v3, 0x80000000, v3
.LBB56_481:
	s_or_b64 exec, exec, s[20:21]
	s_and_saveexec_b64 s[18:19], s[38:39]
; %bb.482:
	ds_write_b64 v5, v[2:3]
; %bb.483:
	s_or_b64 exec, exec, s[18:19]
	s_waitcnt lgkmcnt(0)
	s_barrier
	s_and_saveexec_b64 s[18:19], s[36:37]
	s_cbranch_execz .LBB56_485
; %bb.484:
	v_mov_b32_e32 v23, 0
	ds_read_b64 v[23:24], v23 offset:15608
	ds_read_b64 v[25:26], v5
	s_waitcnt lgkmcnt(0)
	v_mul_f32_e32 v27, v26, v24
	v_mul_f32_e32 v24, v25, v24
	v_fma_f32 v25, v25, v23, -v27
	v_fmac_f32_e32 v24, v26, v23
	v_add_f32_e32 v2, v2, v25
	v_add_f32_e32 v3, v3, v24
.LBB56_485:
	s_or_b64 exec, exec, s[18:19]
	s_barrier
	s_and_saveexec_b64 s[18:19], s[36:37]
; %bb.486:
	ds_write_b64 v5, v[2:3]
; %bb.487:
	s_or_b64 exec, exec, s[18:19]
	s_waitcnt lgkmcnt(0)
	s_barrier
	s_barrier
	s_and_saveexec_b64 s[18:19], s[22:23]
; %bb.488:
	v_xor_b32_e32 v3, 0x80000000, v3
	v_xor_b32_e32 v2, 0x80000000, v2
	ds_write_b64 v4, v[2:3] offset:14576
; %bb.489:
	s_or_b64 exec, exec, s[18:19]
	s_waitcnt lgkmcnt(0)
	s_barrier
	s_barrier
	s_and_saveexec_b64 s[18:19], s[42:43]
	s_cbranch_execz .LBB56_491
; %bb.490:
	v_lshlrev_b32_e32 v23, 3, v0
	s_movk_i32 s20, 0x1f8
	v_mad_u32_u24 v24, v0, s20, v23
	ds_read_b64 v[2:3], v24 offset:14576
	s_waitcnt lgkmcnt(0)
	ds_write_b64 v23, v[2:3] offset:15584
	ds_read_b64 v[2:3], v24 offset:14584
	s_waitcnt lgkmcnt(0)
	ds_write_b64 v23, v[2:3] offset:16096
.LBB56_491:
	s_or_b64 exec, exec, s[18:19]
	s_waitcnt lgkmcnt(0)
	s_barrier
	s_and_saveexec_b64 s[18:19], vcc
	s_cbranch_execz .LBB56_493
; %bb.492:
	v_mov_b32_e32 v25, 0
	ds_read_b64 v[2:3], v25 offset:15608
	s_mov_b64 s[20:21], 0x3f800000
	v_mov_b32_e32 v24, s21
	v_mov_b32_e32 v23, s20
	s_movk_i32 s20, 0xf0
	ds_write_b64 v25, v[23:24] offset:16120
	v_add_u32_e64 v25, s20, 0
	s_waitcnt lgkmcnt(1)
	ds_write2st64_b64 v25, v[23:24], v[2:3] offset0:30 offset1:31
.LBB56_493:
	s_or_b64 exec, exec, s[18:19]
	s_movk_i32 s18, 0x3ff
	v_lshrrev_b32_e32 v25, 5, v7
	v_cmp_lt_u32_e64 s[20:21], s18, v7
	s_movk_i32 s18, 0x400
	v_mov_b32_e32 v3, 0
	v_and_b32_e32 v23, 31, v0
	v_cmp_gt_u32_e64 s[18:19], s18, v7
	v_lshlrev_b32_e32 v24, 9, v25
	v_mov_b32_e32 v2, v3
	s_waitcnt lgkmcnt(0)
	s_barrier
	s_and_saveexec_b64 s[98:99], s[18:19]
	s_cbranch_execz .LBB56_555
; %bb.494:
	v_lshlrev_b32_e32 v26, 3, v23
	v_add_u32_e32 v28, v26, v24
	v_mul_u32_u24_e32 v27, 0x208, v25
	ds_read_b64 v[2:3], v28 offset:256
	ds_read_b64 v[29:30], v27
	s_movk_i32 s24, 0x3e0
	v_cmp_gt_u32_e64 s[24:25], s24, v7
	s_waitcnt lgkmcnt(0)
	v_mul_f32_e32 v31, v30, v3
	v_mul_f32_e32 v3, v29, v3
	v_fma_f32 v29, v29, v2, -v31
	v_fmac_f32_e32 v3, v30, v2
	v_add_f32_e32 v2, 0, v29
	v_add_f32_e32 v3, 0, v3
	s_and_saveexec_b64 s[96:97], s[24:25]
	s_cbranch_execz .LBB56_496
; %bb.495:
	ds_read_b64 v[29:30], v28 offset:768
	ds_read_b64 v[31:32], v27 offset:8
	s_waitcnt lgkmcnt(0)
	v_mul_f32_e32 v33, v32, v30
	v_mul_f32_e32 v30, v31, v30
	v_fma_f32 v31, v31, v29, -v33
	v_fmac_f32_e32 v30, v32, v29
	v_add_f32_e32 v2, v2, v31
	v_add_f32_e32 v3, v3, v30
.LBB56_496:
	s_or_b64 exec, exec, s[96:97]
	s_movk_i32 s24, 0x3c0
	v_cmp_gt_u32_e64 s[24:25], s24, v7
	s_and_saveexec_b64 s[96:97], s[24:25]
	s_cbranch_execz .LBB56_498
; %bb.497:
	ds_read_b64 v[29:30], v28 offset:1280
	ds_read_b64 v[31:32], v27 offset:16
	s_waitcnt lgkmcnt(0)
	v_mul_f32_e32 v33, v32, v30
	v_mul_f32_e32 v30, v31, v30
	v_fma_f32 v31, v31, v29, -v33
	v_fmac_f32_e32 v30, v32, v29
	v_add_f32_e32 v2, v2, v31
	v_add_f32_e32 v3, v3, v30
.LBB56_498:
	s_or_b64 exec, exec, s[96:97]
	s_movk_i32 s24, 0x3a0
	v_cmp_gt_u32_e64 s[24:25], s24, v7
	;; [unrolled: 16-line block ×28, first 2 shown]
	s_and_saveexec_b64 s[96:97], s[24:25]
	s_cbranch_execnz .LBB56_1074
; %bb.551:
	s_or_b64 exec, exec, s[96:97]
	v_cmp_gt_u32_e64 s[24:25], 64, v7
	s_and_saveexec_b64 s[96:97], s[24:25]
	s_cbranch_execnz .LBB56_1075
.LBB56_552:
	s_or_b64 exec, exec, s[96:97]
	v_cmp_gt_u32_e64 s[24:25], 32, v7
	s_and_saveexec_b64 s[96:97], s[24:25]
	s_cbranch_execz .LBB56_554
.LBB56_553:
	ds_read_b64 v[28:29], v26 offset:16128
	ds_read_b64 v[26:27], v27 offset:248
	s_waitcnt lgkmcnt(0)
	v_mul_f32_e32 v30, v27, v29
	v_mul_f32_e32 v29, v26, v29
	v_fma_f32 v26, v26, v28, -v30
	v_fmac_f32_e32 v29, v27, v28
	v_add_f32_e32 v2, v2, v26
	v_add_f32_e32 v3, v3, v29
.LBB56_554:
	s_or_b64 exec, exec, s[96:97]
	v_xor_b32_e32 v2, 0x80000000, v2
	v_xor_b32_e32 v3, 0x80000000, v3
.LBB56_555:
	s_or_b64 exec, exec, s[98:99]
	v_mov_b32_e32 v26, 0x8000
	v_lshl_or_b32 v25, v25, 3, v26
	v_mov_b32_e32 v26, 0x4100
	v_lshl_or_b32 v26, v23, 3, v26
	s_mov_b32 s96, 0
	s_xor_b64 s[24:25], s[20:21], -1
	v_mov_b32_e32 v27, v23
	s_branch .LBB56_557
.LBB56_556:                             ;   in Loop: Header=BB56_557 Depth=1
	s_or_b64 exec, exec, s[20:21]
	s_add_i32 s96, s96, 2
	v_add_u32_e32 v26, 0x400, v26
	s_cmp_eq_u32 s96, 32
	v_add_u32_e32 v27, -2, v27
	s_barrier
	s_cbranch_scc1 .LBB56_565
.LBB56_557:                             ; =>This Inner Loop Header: Depth=1
	v_cmp_eq_u32_e64 s[20:21], 0, v27
	s_and_b64 s[98:99], s[24:25], s[20:21]
	s_and_saveexec_b64 s[20:21], s[98:99]
; %bb.558:                              ;   in Loop: Header=BB56_557 Depth=1
	ds_write_b64 v25, v[2:3]
; %bb.559:                              ;   in Loop: Header=BB56_557 Depth=1
	s_or_b64 exec, exec, s[20:21]
	v_cmp_lt_u32_e64 s[20:21], s96, v23
	s_and_b64 s[98:99], s[24:25], s[20:21]
	s_waitcnt lgkmcnt(0)
	s_barrier
	s_and_saveexec_b64 s[20:21], s[98:99]
	s_cbranch_execz .LBB56_561
; %bb.560:                              ;   in Loop: Header=BB56_557 Depth=1
	ds_read_b64 v[28:29], v26
	ds_read_b64 v[30:31], v25
	s_waitcnt lgkmcnt(0)
	v_mul_f32_e32 v32, v31, v29
	v_mul_f32_e32 v29, v30, v29
	v_fma_f32 v30, v30, v28, -v32
	v_fmac_f32_e32 v29, v31, v28
	v_add_f32_e32 v2, v2, v30
	v_add_f32_e32 v3, v3, v29
.LBB56_561:                             ;   in Loop: Header=BB56_557 Depth=1
	s_or_b64 exec, exec, s[20:21]
	s_or_b32 s97, s96, 1
	v_cmp_eq_u32_e64 s[20:21], s97, v23
	s_and_b64 s[98:99], s[24:25], s[20:21]
	s_barrier
	s_and_saveexec_b64 s[20:21], s[98:99]
; %bb.562:                              ;   in Loop: Header=BB56_557 Depth=1
	ds_write_b64 v25, v[2:3]
; %bb.563:                              ;   in Loop: Header=BB56_557 Depth=1
	s_or_b64 exec, exec, s[20:21]
	v_cmp_lt_u32_e64 s[20:21], s97, v23
	s_and_b64 s[98:99], s[24:25], s[20:21]
	s_waitcnt lgkmcnt(0)
	s_barrier
	s_and_saveexec_b64 s[20:21], s[98:99]
	s_cbranch_execz .LBB56_556
; %bb.564:                              ;   in Loop: Header=BB56_557 Depth=1
	ds_read_b64 v[28:29], v26 offset:512
	ds_read_b64 v[30:31], v25
	s_waitcnt lgkmcnt(0)
	v_mul_f32_e32 v32, v31, v29
	v_mul_f32_e32 v29, v30, v29
	v_fma_f32 v30, v30, v28, -v32
	v_fmac_f32_e32 v29, v31, v28
	v_add_f32_e32 v2, v2, v30
	v_add_f32_e32 v3, v3, v29
	s_branch .LBB56_556
.LBB56_565:
	s_and_saveexec_b64 s[20:21], s[18:19]
; %bb.566:
	v_lshl_add_u32 v23, v23, 3, v24
	v_xor_b32_e32 v3, 0x80000000, v3
	v_xor_b32_e32 v2, 0x80000000, v2
	ds_write_b64 v23, v[2:3] offset:256
; %bb.567:
	s_or_b64 exec, exec, s[20:21]
	v_cmp_gt_u32_e64 s[18:19], 32, v0
	s_and_b64 s[18:19], s[16:17], s[18:19]
	s_waitcnt lgkmcnt(0)
	s_barrier
	s_barrier
	s_and_saveexec_b64 s[16:17], s[18:19]
	s_cbranch_execz .LBB56_569
; %bb.568:
	v_lshlrev_b32_e32 v23, 9, v0
	ds_read_b64 v[2:3], v23 offset:256
	s_movk_i32 s18, 0xfe08
	v_mad_i32_i24 v24, v0, s18, v23
	s_waitcnt lgkmcnt(0)
	ds_write_b64 v24, v[2:3] offset:16384
	ds_read_b64 v[2:3], v23 offset:264
	s_waitcnt lgkmcnt(0)
	ds_write_b64 v24, v[2:3] offset:16896
	ds_read_b64 v[2:3], v23 offset:272
	;; [unrolled: 3-line block ×31, first 2 shown]
	s_waitcnt lgkmcnt(0)
	ds_write_b64 v24, v[2:3] offset:32256
.LBB56_569:
	s_or_b64 exec, exec, s[16:17]
	s_waitcnt lgkmcnt(0)
	s_barrier
	s_and_saveexec_b64 s[16:17], vcc
	s_cbranch_execz .LBB56_571
; %bb.570:
	v_mov_b32_e32 v25, 0
	ds_read_b64 v[2:3], v25 offset:16648
	s_mov_b64 s[18:19], 0x3f800000
	v_mov_b32_e32 v24, s19
	v_mov_b32_e32 v23, s18
	s_movk_i32 s18, 0x100
	ds_write_b64 v25, v[23:24] offset:17160
	v_add_u32_e64 v25, s18, 0
	s_waitcnt lgkmcnt(1)
	ds_write2st64_b64 v25, v[23:24], v[2:3] offset0:32 offset1:33
.LBB56_571:
	s_or_b64 exec, exec, s[16:17]
	v_mov_b32_e32 v3, 0
	v_mov_b32_e32 v2, 0
	s_waitcnt lgkmcnt(0)
	s_barrier
	s_and_saveexec_b64 s[18:19], s[22:23]
	s_cbranch_execz .LBB56_575
; %bb.572:
	v_mul_u32_u24_e32 v23, 0x208, v6
	ds_read_b64 v[2:3], v4 offset:16656
	ds_read_b64 v[23:24], v23 offset:16640
	v_cmp_gt_u32_e64 s[16:17], 2, v7
	s_waitcnt lgkmcnt(0)
	v_mul_f32_e32 v25, v24, v3
	v_mul_f32_e32 v3, v23, v3
	v_fma_f32 v23, v23, v2, -v25
	v_fmac_f32_e32 v3, v24, v2
	v_add_f32_e32 v2, 0, v23
	v_add_f32_e32 v3, 0, v3
	s_and_saveexec_b64 s[20:21], s[16:17]
	s_cbranch_execz .LBB56_574
; %bb.573:
	v_lshlrev_b32_e32 v23, 3, v0
	v_mov_b32_e32 v25, 0
	ds_read_b64 v[23:24], v23 offset:17168
	ds_read_b64 v[25:26], v25 offset:16648
	s_waitcnt lgkmcnt(0)
	v_mul_f32_e32 v27, v26, v24
	v_mul_f32_e32 v24, v25, v24
	v_fma_f32 v25, v25, v23, -v27
	v_fmac_f32_e32 v24, v26, v23
	v_add_f32_e32 v2, v2, v25
	v_add_f32_e32 v3, v3, v24
.LBB56_574:
	s_or_b64 exec, exec, s[20:21]
	v_xor_b32_e32 v2, 0x80000000, v2
	v_xor_b32_e32 v3, 0x80000000, v3
.LBB56_575:
	s_or_b64 exec, exec, s[18:19]
	s_and_saveexec_b64 s[16:17], s[38:39]
; %bb.576:
	ds_write_b64 v5, v[2:3]
; %bb.577:
	s_or_b64 exec, exec, s[16:17]
	s_waitcnt lgkmcnt(0)
	s_barrier
	s_and_saveexec_b64 s[16:17], s[36:37]
	s_cbranch_execz .LBB56_579
; %bb.578:
	v_mov_b32_e32 v23, 0
	ds_read_b64 v[23:24], v23 offset:17688
	ds_read_b64 v[25:26], v5
	s_waitcnt lgkmcnt(0)
	v_mul_f32_e32 v27, v26, v24
	v_mul_f32_e32 v24, v25, v24
	v_fma_f32 v25, v25, v23, -v27
	v_fmac_f32_e32 v24, v26, v23
	v_add_f32_e32 v2, v2, v25
	v_add_f32_e32 v3, v3, v24
.LBB56_579:
	s_or_b64 exec, exec, s[16:17]
	s_barrier
	s_and_saveexec_b64 s[16:17], s[36:37]
; %bb.580:
	ds_write_b64 v5, v[2:3]
; %bb.581:
	s_or_b64 exec, exec, s[16:17]
	s_waitcnt lgkmcnt(0)
	s_barrier
	s_barrier
	s_and_saveexec_b64 s[16:17], s[22:23]
; %bb.582:
	v_xor_b32_e32 v3, 0x80000000, v3
	v_xor_b32_e32 v2, 0x80000000, v2
	ds_write_b64 v4, v[2:3] offset:16656
; %bb.583:
	s_or_b64 exec, exec, s[16:17]
	s_waitcnt lgkmcnt(0)
	s_barrier
	s_barrier
	s_and_saveexec_b64 s[16:17], s[42:43]
	s_cbranch_execz .LBB56_585
; %bb.584:
	v_lshlrev_b32_e32 v23, 3, v0
	s_movk_i32 s18, 0x1f8
	v_mad_u32_u24 v24, v0, s18, v23
	ds_read_b64 v[2:3], v24 offset:16656
	s_waitcnt lgkmcnt(0)
	ds_write_b64 v23, v[2:3] offset:17664
	ds_read_b64 v[2:3], v24 offset:16664
	s_waitcnt lgkmcnt(0)
	ds_write_b64 v23, v[2:3] offset:18176
.LBB56_585:
	s_or_b64 exec, exec, s[16:17]
	s_waitcnt lgkmcnt(0)
	s_barrier
	s_and_saveexec_b64 s[16:17], vcc
	s_cbranch_execz .LBB56_587
; %bb.586:
	v_mov_b32_e32 v25, 0
	ds_read_b64 v[2:3], v25 offset:17688
	s_mov_b64 s[18:19], 0x3f800000
	v_mov_b32_e32 v24, s19
	v_mov_b32_e32 v23, s18
	s_movk_i32 s18, 0x110
	ds_write_b64 v25, v[23:24] offset:18200
	v_add_u32_e64 v25, s18, 0
	s_waitcnt lgkmcnt(1)
	ds_write2st64_b64 v25, v[23:24], v[2:3] offset0:34 offset1:35
.LBB56_587:
	s_or_b64 exec, exec, s[16:17]
	v_mov_b32_e32 v3, 0
	v_mov_b32_e32 v2, 0
	s_waitcnt lgkmcnt(0)
	s_barrier
	s_and_saveexec_b64 s[18:19], s[10:11]
	s_cbranch_execz .LBB56_593
; %bb.588:
	v_mul_u32_u24_e32 v23, 0x208, v12
	ds_read_b64 v[2:3], v8 offset:16672
	ds_read_b64 v[24:25], v23 offset:16640
	v_cmp_gt_u32_e64 s[16:17], 12, v7
	s_waitcnt lgkmcnt(0)
	v_mul_f32_e32 v26, v25, v3
	v_mul_f32_e32 v3, v24, v3
	v_fma_f32 v24, v24, v2, -v26
	v_fmac_f32_e32 v3, v25, v2
	v_add_f32_e32 v2, 0, v24
	v_add_f32_e32 v3, 0, v3
	s_and_saveexec_b64 s[20:21], s[16:17]
	s_cbranch_execnz .LBB56_1076
; %bb.589:
	s_or_b64 exec, exec, s[20:21]
	v_cmp_gt_u32_e64 s[16:17], 8, v7
	s_and_saveexec_b64 s[20:21], s[16:17]
	s_cbranch_execnz .LBB56_1077
.LBB56_590:
	s_or_b64 exec, exec, s[20:21]
	v_cmp_gt_u32_e64 s[16:17], 4, v7
	s_and_saveexec_b64 s[20:21], s[16:17]
	s_cbranch_execz .LBB56_592
.LBB56_591:
	v_lshlrev_b32_e32 v23, 3, v0
	v_mov_b32_e32 v25, 0
	ds_read_b64 v[23:24], v23 offset:18208
	ds_read_b64 v[25:26], v25 offset:16664
	s_waitcnt lgkmcnt(0)
	v_mul_f32_e32 v27, v26, v24
	v_mul_f32_e32 v24, v25, v24
	v_fma_f32 v25, v25, v23, -v27
	v_fmac_f32_e32 v24, v26, v23
	v_add_f32_e32 v2, v2, v25
	v_add_f32_e32 v3, v3, v24
.LBB56_592:
	s_or_b64 exec, exec, s[20:21]
	v_xor_b32_e32 v2, 0x80000000, v2
	v_xor_b32_e32 v3, 0x80000000, v3
.LBB56_593:
	s_or_b64 exec, exec, s[18:19]
	s_and_saveexec_b64 s[16:17], s[52:53]
; %bb.594:
	ds_write_b64 v10, v[2:3]
; %bb.595:
	s_or_b64 exec, exec, s[16:17]
	s_waitcnt lgkmcnt(0)
	s_barrier
	s_and_saveexec_b64 s[16:17], s[54:55]
	s_cbranch_execz .LBB56_597
; %bb.596:
	ds_read_b64 v[23:24], v9 offset:18720
	ds_read_b64 v[25:26], v10
	s_waitcnt lgkmcnt(0)
	v_mul_f32_e32 v27, v26, v24
	v_mul_f32_e32 v24, v25, v24
	v_fma_f32 v25, v25, v23, -v27
	v_fmac_f32_e32 v24, v26, v23
	v_add_f32_e32 v2, v2, v25
	v_add_f32_e32 v3, v3, v24
.LBB56_597:
	s_or_b64 exec, exec, s[16:17]
	s_barrier
	s_and_saveexec_b64 s[16:17], s[56:57]
; %bb.598:
	ds_write_b64 v10, v[2:3]
; %bb.599:
	s_or_b64 exec, exec, s[16:17]
	s_waitcnt lgkmcnt(0)
	s_barrier
	s_and_saveexec_b64 s[16:17], s[58:59]
	s_cbranch_execz .LBB56_601
; %bb.600:
	ds_read_b64 v[23:24], v9 offset:19232
	ds_read_b64 v[25:26], v10
	s_waitcnt lgkmcnt(0)
	v_mul_f32_e32 v27, v26, v24
	v_mul_f32_e32 v24, v25, v24
	v_fma_f32 v25, v25, v23, -v27
	v_fmac_f32_e32 v24, v26, v23
	v_add_f32_e32 v2, v2, v25
	v_add_f32_e32 v3, v3, v24
.LBB56_601:
	s_or_b64 exec, exec, s[16:17]
	s_barrier
	s_and_saveexec_b64 s[16:17], s[60:61]
; %bb.602:
	ds_write_b64 v10, v[2:3]
; %bb.603:
	s_or_b64 exec, exec, s[16:17]
	s_waitcnt lgkmcnt(0)
	s_barrier
	s_and_saveexec_b64 s[16:17], s[44:45]
	s_cbranch_execz .LBB56_605
; %bb.604:
	v_mov_b32_e32 v23, 0
	ds_read_b64 v[23:24], v23 offset:19768
	ds_read_b64 v[25:26], v10
	s_waitcnt lgkmcnt(0)
	v_mul_f32_e32 v27, v26, v24
	v_mul_f32_e32 v24, v25, v24
	v_fma_f32 v25, v25, v23, -v27
	v_fmac_f32_e32 v24, v26, v23
	v_add_f32_e32 v2, v2, v25
	v_add_f32_e32 v3, v3, v24
.LBB56_605:
	s_or_b64 exec, exec, s[16:17]
	s_barrier
	s_and_saveexec_b64 s[16:17], s[44:45]
; %bb.606:
	ds_write_b64 v10, v[2:3]
; %bb.607:
	s_or_b64 exec, exec, s[16:17]
	s_waitcnt lgkmcnt(0)
	s_barrier
	s_barrier
	s_and_saveexec_b64 s[16:17], s[10:11]
; %bb.608:
	v_xor_b32_e32 v2, 0x80000000, v2
	v_xor_b32_e32 v3, 0x80000000, v3
	ds_write_b64 v8, v[2:3] offset:16672
; %bb.609:
	s_or_b64 exec, exec, s[16:17]
	s_waitcnt lgkmcnt(0)
	s_barrier
	s_barrier
	s_and_saveexec_b64 s[16:17], s[62:63]
	s_cbranch_execz .LBB56_611
; %bb.610:
	v_lshlrev_b32_e32 v23, 9, v0
	ds_read_b64 v[2:3], v23 offset:16672
	s_movk_i32 s18, 0xfe08
	v_mad_i32_i24 v24, v0, s18, v23
	s_waitcnt lgkmcnt(0)
	ds_write_b64 v24, v[2:3] offset:18688
	ds_read_b64 v[2:3], v23 offset:16680
	s_waitcnt lgkmcnt(0)
	ds_write_b64 v24, v[2:3] offset:19200
	ds_read_b64 v[2:3], v23 offset:16688
	;; [unrolled: 3-line block ×3, first 2 shown]
	s_waitcnt lgkmcnt(0)
	ds_write_b64 v24, v[2:3] offset:20224
.LBB56_611:
	s_or_b64 exec, exec, s[16:17]
	s_waitcnt lgkmcnt(0)
	s_barrier
	s_and_saveexec_b64 s[16:17], vcc
	s_cbranch_execz .LBB56_613
; %bb.612:
	v_mov_b32_e32 v25, 0
	ds_read_b64 v[2:3], v25 offset:18728
	s_mov_b64 s[18:19], 0x3f800000
	v_mov_b32_e32 v24, s19
	v_mov_b32_e32 v23, s18
	s_movk_i32 s18, 0x120
	ds_write_b64 v25, v[23:24] offset:19240
	v_add_u32_e64 v25, s18, 0
	s_waitcnt lgkmcnt(1)
	ds_write2st64_b64 v25, v[23:24], v[2:3] offset0:36 offset1:37
.LBB56_613:
	s_or_b64 exec, exec, s[16:17]
	v_mov_b32_e32 v3, 0
	v_mov_b32_e32 v2, 0
	s_waitcnt lgkmcnt(0)
	s_barrier
	s_and_saveexec_b64 s[18:19], s[22:23]
	s_cbranch_execz .LBB56_617
; %bb.614:
	v_mul_u32_u24_e32 v23, 0x208, v6
	ds_read_b64 v[2:3], v4 offset:18736
	ds_read_b64 v[23:24], v23 offset:18720
	v_cmp_gt_u32_e64 s[16:17], 2, v7
	s_waitcnt lgkmcnt(0)
	v_mul_f32_e32 v25, v24, v3
	v_mul_f32_e32 v3, v23, v3
	v_fma_f32 v23, v23, v2, -v25
	v_fmac_f32_e32 v3, v24, v2
	v_add_f32_e32 v2, 0, v23
	v_add_f32_e32 v3, 0, v3
	s_and_saveexec_b64 s[20:21], s[16:17]
	s_cbranch_execz .LBB56_616
; %bb.615:
	v_lshlrev_b32_e32 v23, 3, v0
	v_mov_b32_e32 v25, 0
	ds_read_b64 v[23:24], v23 offset:19248
	ds_read_b64 v[25:26], v25 offset:18728
	s_waitcnt lgkmcnt(0)
	v_mul_f32_e32 v27, v26, v24
	v_mul_f32_e32 v24, v25, v24
	v_fma_f32 v25, v25, v23, -v27
	v_fmac_f32_e32 v24, v26, v23
	v_add_f32_e32 v2, v2, v25
	v_add_f32_e32 v3, v3, v24
.LBB56_616:
	s_or_b64 exec, exec, s[20:21]
	v_xor_b32_e32 v2, 0x80000000, v2
	v_xor_b32_e32 v3, 0x80000000, v3
.LBB56_617:
	s_or_b64 exec, exec, s[18:19]
	s_and_saveexec_b64 s[16:17], s[38:39]
; %bb.618:
	ds_write_b64 v5, v[2:3]
; %bb.619:
	s_or_b64 exec, exec, s[16:17]
	s_waitcnt lgkmcnt(0)
	s_barrier
	s_and_saveexec_b64 s[16:17], s[36:37]
	s_cbranch_execz .LBB56_621
; %bb.620:
	v_mov_b32_e32 v23, 0
	ds_read_b64 v[23:24], v23 offset:19768
	ds_read_b64 v[25:26], v5
	s_waitcnt lgkmcnt(0)
	v_mul_f32_e32 v27, v26, v24
	v_mul_f32_e32 v24, v25, v24
	v_fma_f32 v25, v25, v23, -v27
	v_fmac_f32_e32 v24, v26, v23
	v_add_f32_e32 v2, v2, v25
	v_add_f32_e32 v3, v3, v24
.LBB56_621:
	s_or_b64 exec, exec, s[16:17]
	s_barrier
	s_and_saveexec_b64 s[16:17], s[36:37]
; %bb.622:
	ds_write_b64 v5, v[2:3]
; %bb.623:
	s_or_b64 exec, exec, s[16:17]
	s_waitcnt lgkmcnt(0)
	s_barrier
	s_barrier
	s_and_saveexec_b64 s[16:17], s[22:23]
; %bb.624:
	v_xor_b32_e32 v3, 0x80000000, v3
	v_xor_b32_e32 v2, 0x80000000, v2
	ds_write_b64 v4, v[2:3] offset:18736
; %bb.625:
	s_or_b64 exec, exec, s[16:17]
	s_waitcnt lgkmcnt(0)
	s_barrier
	s_barrier
	s_and_saveexec_b64 s[16:17], s[42:43]
	s_cbranch_execz .LBB56_627
; %bb.626:
	v_lshlrev_b32_e32 v23, 3, v0
	s_movk_i32 s18, 0x1f8
	v_mad_u32_u24 v24, v0, s18, v23
	ds_read_b64 v[2:3], v24 offset:18736
	s_waitcnt lgkmcnt(0)
	ds_write_b64 v23, v[2:3] offset:19744
	ds_read_b64 v[2:3], v24 offset:18744
	s_waitcnt lgkmcnt(0)
	ds_write_b64 v23, v[2:3] offset:20256
.LBB56_627:
	s_or_b64 exec, exec, s[16:17]
	s_waitcnt lgkmcnt(0)
	s_barrier
	s_and_saveexec_b64 s[16:17], vcc
	s_cbranch_execz .LBB56_629
; %bb.628:
	v_mov_b32_e32 v25, 0
	ds_read_b64 v[2:3], v25 offset:19768
	s_mov_b64 s[18:19], 0x3f800000
	v_mov_b32_e32 v24, s19
	v_mov_b32_e32 v23, s18
	s_movk_i32 s18, 0x130
	ds_write_b64 v25, v[23:24] offset:20280
	v_add_u32_e64 v25, s18, 0
	s_waitcnt lgkmcnt(1)
	ds_write2st64_b64 v25, v[23:24], v[2:3] offset0:38 offset1:39
.LBB56_629:
	s_or_b64 exec, exec, s[16:17]
	v_mov_b32_e32 v3, 0
	v_mov_b32_e32 v2, 0
	s_waitcnt lgkmcnt(0)
	s_barrier
	s_and_saveexec_b64 s[18:19], s[12:13]
	s_cbranch_execz .LBB56_639
; %bb.630:
	v_mul_u32_u24_e32 v23, 0x208, v17
	ds_read_b64 v[2:3], v13 offset:16704
	ds_read_b64 v[24:25], v23 offset:16640
	v_cmp_gt_u32_e64 s[16:17], 56, v7
	s_waitcnt lgkmcnt(0)
	v_mul_f32_e32 v26, v25, v3
	v_mul_f32_e32 v3, v24, v3
	v_fma_f32 v24, v24, v2, -v26
	v_fmac_f32_e32 v3, v25, v2
	v_add_f32_e32 v2, 0, v24
	v_add_f32_e32 v3, 0, v3
	s_and_saveexec_b64 s[20:21], s[16:17]
	s_cbranch_execnz .LBB56_1078
; %bb.631:
	s_or_b64 exec, exec, s[20:21]
	v_cmp_gt_u32_e64 s[16:17], 48, v7
	s_and_saveexec_b64 s[20:21], s[16:17]
	s_cbranch_execnz .LBB56_1079
.LBB56_632:
	s_or_b64 exec, exec, s[20:21]
	v_cmp_gt_u32_e64 s[16:17], 40, v7
	s_and_saveexec_b64 s[20:21], s[16:17]
	s_cbranch_execnz .LBB56_1080
.LBB56_633:
	s_or_b64 exec, exec, s[20:21]
	v_cmp_gt_u32_e64 s[16:17], 32, v7
	s_and_saveexec_b64 s[20:21], s[16:17]
	s_cbranch_execnz .LBB56_1081
.LBB56_634:
	s_or_b64 exec, exec, s[20:21]
	v_cmp_gt_u32_e64 s[16:17], 24, v7
	s_and_saveexec_b64 s[20:21], s[16:17]
	s_cbranch_execnz .LBB56_1082
.LBB56_635:
	s_or_b64 exec, exec, s[20:21]
	v_cmp_gt_u32_e64 s[16:17], 16, v7
	s_and_saveexec_b64 s[20:21], s[16:17]
	s_cbranch_execnz .LBB56_1083
.LBB56_636:
	s_or_b64 exec, exec, s[20:21]
	v_cmp_gt_u32_e64 s[16:17], 8, v7
	s_and_saveexec_b64 s[20:21], s[16:17]
	s_cbranch_execz .LBB56_638
.LBB56_637:
	v_lshlrev_b32_e32 v23, 3, v0
	v_mov_b32_e32 v25, 0
	ds_read_b64 v[23:24], v23 offset:20288
	ds_read_b64 v[25:26], v25 offset:16696
	s_waitcnt lgkmcnt(0)
	v_mul_f32_e32 v27, v26, v24
	v_mul_f32_e32 v24, v25, v24
	v_fma_f32 v25, v25, v23, -v27
	v_fmac_f32_e32 v24, v26, v23
	v_add_f32_e32 v2, v2, v25
	v_add_f32_e32 v3, v3, v24
.LBB56_638:
	s_or_b64 exec, exec, s[20:21]
	v_xor_b32_e32 v2, 0x80000000, v2
	v_xor_b32_e32 v3, 0x80000000, v3
.LBB56_639:
	s_or_b64 exec, exec, s[18:19]
	s_and_saveexec_b64 s[16:17], s[66:67]
; %bb.640:
	ds_write_b64 v15, v[2:3]
; %bb.641:
	s_or_b64 exec, exec, s[16:17]
	s_waitcnt lgkmcnt(0)
	s_barrier
	s_and_saveexec_b64 s[16:17], s[68:69]
	s_cbranch_execz .LBB56_643
; %bb.642:
	ds_read_b64 v[23:24], v14 offset:20800
	ds_read_b64 v[25:26], v15
	s_waitcnt lgkmcnt(0)
	v_mul_f32_e32 v27, v26, v24
	v_mul_f32_e32 v24, v25, v24
	v_fma_f32 v25, v25, v23, -v27
	v_fmac_f32_e32 v24, v26, v23
	v_add_f32_e32 v2, v2, v25
	v_add_f32_e32 v3, v3, v24
.LBB56_643:
	s_or_b64 exec, exec, s[16:17]
	s_barrier
	s_and_saveexec_b64 s[16:17], s[70:71]
; %bb.644:
	ds_write_b64 v15, v[2:3]
; %bb.645:
	s_or_b64 exec, exec, s[16:17]
	s_waitcnt lgkmcnt(0)
	s_barrier
	s_and_saveexec_b64 s[16:17], s[72:73]
	s_cbranch_execz .LBB56_647
; %bb.646:
	ds_read_b64 v[23:24], v14 offset:21312
	ds_read_b64 v[25:26], v15
	s_waitcnt lgkmcnt(0)
	v_mul_f32_e32 v27, v26, v24
	v_mul_f32_e32 v24, v25, v24
	v_fma_f32 v25, v25, v23, -v27
	v_fmac_f32_e32 v24, v26, v23
	v_add_f32_e32 v2, v2, v25
	v_add_f32_e32 v3, v3, v24
.LBB56_647:
	s_or_b64 exec, exec, s[16:17]
	s_barrier
	;; [unrolled: 22-line block ×6, first 2 shown]
	s_and_saveexec_b64 s[16:17], s[90:91]
; %bb.664:
	ds_write_b64 v15, v[2:3]
; %bb.665:
	s_or_b64 exec, exec, s[16:17]
	s_waitcnt lgkmcnt(0)
	s_barrier
	s_and_saveexec_b64 s[16:17], s[64:65]
	s_cbranch_execz .LBB56_667
; %bb.666:
	v_mov_b32_e32 v23, 0
	ds_read_b64 v[23:24], v23 offset:23928
	ds_read_b64 v[25:26], v15
	s_waitcnt lgkmcnt(0)
	v_mul_f32_e32 v27, v26, v24
	v_mul_f32_e32 v24, v25, v24
	v_fma_f32 v25, v25, v23, -v27
	v_fmac_f32_e32 v24, v26, v23
	v_add_f32_e32 v2, v2, v25
	v_add_f32_e32 v3, v3, v24
.LBB56_667:
	s_or_b64 exec, exec, s[16:17]
	s_barrier
	s_and_saveexec_b64 s[16:17], s[64:65]
; %bb.668:
	ds_write_b64 v15, v[2:3]
; %bb.669:
	s_or_b64 exec, exec, s[16:17]
	s_waitcnt lgkmcnt(0)
	s_barrier
	s_barrier
	s_and_saveexec_b64 s[16:17], s[12:13]
; %bb.670:
	v_xor_b32_e32 v3, 0x80000000, v3
	v_xor_b32_e32 v2, 0x80000000, v2
	ds_write_b64 v13, v[2:3] offset:16704
; %bb.671:
	s_or_b64 exec, exec, s[16:17]
	s_waitcnt lgkmcnt(0)
	s_barrier
	s_barrier
	s_and_saveexec_b64 s[16:17], s[92:93]
	s_cbranch_execz .LBB56_673
; %bb.672:
	v_lshlrev_b32_e32 v23, 9, v0
	ds_read_b64 v[2:3], v23 offset:16704
	s_movk_i32 s18, 0xfe08
	v_mad_i32_i24 v24, v0, s18, v23
	s_waitcnt lgkmcnt(0)
	ds_write_b64 v24, v[2:3] offset:20736
	ds_read_b64 v[2:3], v23 offset:16712
	s_waitcnt lgkmcnt(0)
	ds_write_b64 v24, v[2:3] offset:21248
	ds_read_b64 v[2:3], v23 offset:16720
	;; [unrolled: 3-line block ×7, first 2 shown]
	s_waitcnt lgkmcnt(0)
	ds_write_b64 v24, v[2:3] offset:24320
.LBB56_673:
	s_or_b64 exec, exec, s[16:17]
	s_waitcnt lgkmcnt(0)
	s_barrier
	s_and_saveexec_b64 s[16:17], vcc
	s_cbranch_execz .LBB56_675
; %bb.674:
	v_mov_b32_e32 v25, 0
	ds_read_b64 v[2:3], v25 offset:20808
	s_mov_b64 s[18:19], 0x3f800000
	v_mov_b32_e32 v24, s19
	v_mov_b32_e32 v23, s18
	s_movk_i32 s18, 0x140
	ds_write_b64 v25, v[23:24] offset:21320
	v_add_u32_e64 v25, s18, 0
	s_waitcnt lgkmcnt(1)
	ds_write2st64_b64 v25, v[23:24], v[2:3] offset0:40 offset1:41
.LBB56_675:
	s_or_b64 exec, exec, s[16:17]
	v_mov_b32_e32 v3, 0
	v_mov_b32_e32 v2, 0
	s_waitcnt lgkmcnt(0)
	s_barrier
	s_and_saveexec_b64 s[18:19], s[22:23]
	s_cbranch_execz .LBB56_679
; %bb.676:
	v_mul_u32_u24_e32 v23, 0x208, v6
	ds_read_b64 v[2:3], v4 offset:20816
	ds_read_b64 v[23:24], v23 offset:20800
	v_cmp_gt_u32_e64 s[16:17], 2, v7
	s_waitcnt lgkmcnt(0)
	v_mul_f32_e32 v25, v24, v3
	v_mul_f32_e32 v3, v23, v3
	v_fma_f32 v23, v23, v2, -v25
	v_fmac_f32_e32 v3, v24, v2
	v_add_f32_e32 v2, 0, v23
	v_add_f32_e32 v3, 0, v3
	s_and_saveexec_b64 s[20:21], s[16:17]
	s_cbranch_execz .LBB56_678
; %bb.677:
	v_lshlrev_b32_e32 v23, 3, v0
	v_mov_b32_e32 v25, 0
	ds_read_b64 v[23:24], v23 offset:21328
	ds_read_b64 v[25:26], v25 offset:20808
	s_waitcnt lgkmcnt(0)
	v_mul_f32_e32 v27, v26, v24
	v_mul_f32_e32 v24, v25, v24
	v_fma_f32 v25, v25, v23, -v27
	v_fmac_f32_e32 v24, v26, v23
	v_add_f32_e32 v2, v2, v25
	v_add_f32_e32 v3, v3, v24
.LBB56_678:
	s_or_b64 exec, exec, s[20:21]
	v_xor_b32_e32 v2, 0x80000000, v2
	v_xor_b32_e32 v3, 0x80000000, v3
.LBB56_679:
	s_or_b64 exec, exec, s[18:19]
	s_and_saveexec_b64 s[16:17], s[38:39]
; %bb.680:
	ds_write_b64 v5, v[2:3]
; %bb.681:
	s_or_b64 exec, exec, s[16:17]
	s_waitcnt lgkmcnt(0)
	s_barrier
	s_and_saveexec_b64 s[16:17], s[36:37]
	s_cbranch_execz .LBB56_683
; %bb.682:
	v_mov_b32_e32 v23, 0
	ds_read_b64 v[23:24], v23 offset:21848
	ds_read_b64 v[25:26], v5
	s_waitcnt lgkmcnt(0)
	v_mul_f32_e32 v27, v26, v24
	v_mul_f32_e32 v24, v25, v24
	v_fma_f32 v25, v25, v23, -v27
	v_fmac_f32_e32 v24, v26, v23
	v_add_f32_e32 v2, v2, v25
	v_add_f32_e32 v3, v3, v24
.LBB56_683:
	s_or_b64 exec, exec, s[16:17]
	s_barrier
	s_and_saveexec_b64 s[16:17], s[36:37]
; %bb.684:
	ds_write_b64 v5, v[2:3]
; %bb.685:
	s_or_b64 exec, exec, s[16:17]
	s_waitcnt lgkmcnt(0)
	s_barrier
	s_barrier
	s_and_saveexec_b64 s[16:17], s[22:23]
; %bb.686:
	v_xor_b32_e32 v3, 0x80000000, v3
	v_xor_b32_e32 v2, 0x80000000, v2
	ds_write_b64 v4, v[2:3] offset:20816
; %bb.687:
	s_or_b64 exec, exec, s[16:17]
	s_waitcnt lgkmcnt(0)
	s_barrier
	s_barrier
	s_and_saveexec_b64 s[16:17], s[42:43]
	s_cbranch_execz .LBB56_689
; %bb.688:
	v_lshlrev_b32_e32 v23, 3, v0
	s_movk_i32 s18, 0x1f8
	v_mad_u32_u24 v24, v0, s18, v23
	ds_read_b64 v[2:3], v24 offset:20816
	s_waitcnt lgkmcnt(0)
	ds_write_b64 v23, v[2:3] offset:21824
	ds_read_b64 v[2:3], v24 offset:20824
	s_waitcnt lgkmcnt(0)
	ds_write_b64 v23, v[2:3] offset:22336
.LBB56_689:
	s_or_b64 exec, exec, s[16:17]
	s_waitcnt lgkmcnt(0)
	s_barrier
	s_and_saveexec_b64 s[16:17], vcc
	s_cbranch_execz .LBB56_691
; %bb.690:
	v_mov_b32_e32 v25, 0
	ds_read_b64 v[2:3], v25 offset:21848
	s_mov_b64 s[18:19], 0x3f800000
	v_mov_b32_e32 v24, s19
	v_mov_b32_e32 v23, s18
	s_movk_i32 s18, 0x150
	ds_write_b64 v25, v[23:24] offset:22360
	v_add_u32_e64 v25, s18, 0
	s_waitcnt lgkmcnt(1)
	ds_write2st64_b64 v25, v[23:24], v[2:3] offset0:42 offset1:43
.LBB56_691:
	s_or_b64 exec, exec, s[16:17]
	v_mov_b32_e32 v3, 0
	v_mov_b32_e32 v2, 0
	s_waitcnt lgkmcnt(0)
	s_barrier
	s_and_saveexec_b64 s[18:19], s[10:11]
	s_cbranch_execz .LBB56_697
; %bb.692:
	v_mul_u32_u24_e32 v23, 0x208, v12
	ds_read_b64 v[2:3], v8 offset:20832
	ds_read_b64 v[24:25], v23 offset:20800
	v_cmp_gt_u32_e64 s[16:17], 12, v7
	s_waitcnt lgkmcnt(0)
	v_mul_f32_e32 v26, v25, v3
	v_mul_f32_e32 v3, v24, v3
	v_fma_f32 v24, v24, v2, -v26
	v_fmac_f32_e32 v3, v25, v2
	v_add_f32_e32 v2, 0, v24
	v_add_f32_e32 v3, 0, v3
	s_and_saveexec_b64 s[20:21], s[16:17]
	s_cbranch_execnz .LBB56_1084
; %bb.693:
	s_or_b64 exec, exec, s[20:21]
	v_cmp_gt_u32_e64 s[16:17], 8, v7
	s_and_saveexec_b64 s[20:21], s[16:17]
	s_cbranch_execnz .LBB56_1085
.LBB56_694:
	s_or_b64 exec, exec, s[20:21]
	v_cmp_gt_u32_e64 s[16:17], 4, v7
	s_and_saveexec_b64 s[20:21], s[16:17]
	s_cbranch_execz .LBB56_696
.LBB56_695:
	v_lshlrev_b32_e32 v23, 3, v0
	v_mov_b32_e32 v25, 0
	ds_read_b64 v[23:24], v23 offset:22368
	ds_read_b64 v[25:26], v25 offset:20824
	s_waitcnt lgkmcnt(0)
	v_mul_f32_e32 v27, v26, v24
	v_mul_f32_e32 v24, v25, v24
	v_fma_f32 v25, v25, v23, -v27
	v_fmac_f32_e32 v24, v26, v23
	v_add_f32_e32 v2, v2, v25
	v_add_f32_e32 v3, v3, v24
.LBB56_696:
	s_or_b64 exec, exec, s[20:21]
	v_xor_b32_e32 v2, 0x80000000, v2
	v_xor_b32_e32 v3, 0x80000000, v3
.LBB56_697:
	s_or_b64 exec, exec, s[18:19]
	s_and_saveexec_b64 s[16:17], s[52:53]
; %bb.698:
	ds_write_b64 v10, v[2:3]
; %bb.699:
	s_or_b64 exec, exec, s[16:17]
	s_waitcnt lgkmcnt(0)
	s_barrier
	s_and_saveexec_b64 s[16:17], s[54:55]
	s_cbranch_execz .LBB56_701
; %bb.700:
	ds_read_b64 v[23:24], v9 offset:22880
	ds_read_b64 v[25:26], v10
	s_waitcnt lgkmcnt(0)
	v_mul_f32_e32 v27, v26, v24
	v_mul_f32_e32 v24, v25, v24
	v_fma_f32 v25, v25, v23, -v27
	v_fmac_f32_e32 v24, v26, v23
	v_add_f32_e32 v2, v2, v25
	v_add_f32_e32 v3, v3, v24
.LBB56_701:
	s_or_b64 exec, exec, s[16:17]
	s_barrier
	s_and_saveexec_b64 s[16:17], s[56:57]
; %bb.702:
	ds_write_b64 v10, v[2:3]
; %bb.703:
	s_or_b64 exec, exec, s[16:17]
	s_waitcnt lgkmcnt(0)
	s_barrier
	s_and_saveexec_b64 s[16:17], s[58:59]
	s_cbranch_execz .LBB56_705
; %bb.704:
	ds_read_b64 v[23:24], v9 offset:23392
	ds_read_b64 v[25:26], v10
	s_waitcnt lgkmcnt(0)
	v_mul_f32_e32 v27, v26, v24
	v_mul_f32_e32 v24, v25, v24
	v_fma_f32 v25, v25, v23, -v27
	v_fmac_f32_e32 v24, v26, v23
	v_add_f32_e32 v2, v2, v25
	v_add_f32_e32 v3, v3, v24
.LBB56_705:
	s_or_b64 exec, exec, s[16:17]
	s_barrier
	s_and_saveexec_b64 s[16:17], s[60:61]
; %bb.706:
	ds_write_b64 v10, v[2:3]
; %bb.707:
	s_or_b64 exec, exec, s[16:17]
	s_waitcnt lgkmcnt(0)
	s_barrier
	s_and_saveexec_b64 s[16:17], s[44:45]
	s_cbranch_execz .LBB56_709
; %bb.708:
	v_mov_b32_e32 v23, 0
	ds_read_b64 v[23:24], v23 offset:23928
	ds_read_b64 v[25:26], v10
	s_waitcnt lgkmcnt(0)
	v_mul_f32_e32 v27, v26, v24
	v_mul_f32_e32 v24, v25, v24
	v_fma_f32 v25, v25, v23, -v27
	v_fmac_f32_e32 v24, v26, v23
	v_add_f32_e32 v2, v2, v25
	v_add_f32_e32 v3, v3, v24
.LBB56_709:
	s_or_b64 exec, exec, s[16:17]
	s_barrier
	s_and_saveexec_b64 s[16:17], s[44:45]
; %bb.710:
	ds_write_b64 v10, v[2:3]
; %bb.711:
	s_or_b64 exec, exec, s[16:17]
	s_waitcnt lgkmcnt(0)
	s_barrier
	s_barrier
	s_and_saveexec_b64 s[16:17], s[10:11]
; %bb.712:
	v_xor_b32_e32 v2, 0x80000000, v2
	v_xor_b32_e32 v3, 0x80000000, v3
	ds_write_b64 v8, v[2:3] offset:20832
; %bb.713:
	s_or_b64 exec, exec, s[16:17]
	s_waitcnt lgkmcnt(0)
	s_barrier
	s_barrier
	s_and_saveexec_b64 s[16:17], s[62:63]
	s_cbranch_execz .LBB56_715
; %bb.714:
	v_lshlrev_b32_e32 v23, 9, v0
	ds_read_b64 v[2:3], v23 offset:20832
	s_movk_i32 s18, 0xfe08
	v_mad_i32_i24 v24, v0, s18, v23
	s_waitcnt lgkmcnt(0)
	ds_write_b64 v24, v[2:3] offset:22848
	ds_read_b64 v[2:3], v23 offset:20840
	s_waitcnt lgkmcnt(0)
	ds_write_b64 v24, v[2:3] offset:23360
	ds_read_b64 v[2:3], v23 offset:20848
	;; [unrolled: 3-line block ×3, first 2 shown]
	s_waitcnt lgkmcnt(0)
	ds_write_b64 v24, v[2:3] offset:24384
.LBB56_715:
	s_or_b64 exec, exec, s[16:17]
	s_waitcnt lgkmcnt(0)
	s_barrier
	s_and_saveexec_b64 s[16:17], vcc
	s_cbranch_execz .LBB56_717
; %bb.716:
	v_mov_b32_e32 v25, 0
	ds_read_b64 v[2:3], v25 offset:22888
	s_mov_b64 s[18:19], 0x3f800000
	v_mov_b32_e32 v24, s19
	v_mov_b32_e32 v23, s18
	s_movk_i32 s18, 0x160
	ds_write_b64 v25, v[23:24] offset:23400
	v_add_u32_e64 v25, s18, 0
	s_waitcnt lgkmcnt(1)
	ds_write2st64_b64 v25, v[23:24], v[2:3] offset0:44 offset1:45
.LBB56_717:
	s_or_b64 exec, exec, s[16:17]
	v_mov_b32_e32 v3, 0
	v_mov_b32_e32 v2, 0
	s_waitcnt lgkmcnt(0)
	s_barrier
	s_and_saveexec_b64 s[18:19], s[22:23]
	s_cbranch_execz .LBB56_721
; %bb.718:
	v_mul_u32_u24_e32 v23, 0x208, v6
	ds_read_b64 v[2:3], v4 offset:22896
	ds_read_b64 v[23:24], v23 offset:22880
	v_cmp_gt_u32_e64 s[16:17], 2, v7
	s_waitcnt lgkmcnt(0)
	v_mul_f32_e32 v25, v24, v3
	v_mul_f32_e32 v3, v23, v3
	v_fma_f32 v23, v23, v2, -v25
	v_fmac_f32_e32 v3, v24, v2
	v_add_f32_e32 v2, 0, v23
	v_add_f32_e32 v3, 0, v3
	s_and_saveexec_b64 s[20:21], s[16:17]
	s_cbranch_execz .LBB56_720
; %bb.719:
	v_lshlrev_b32_e32 v23, 3, v0
	v_mov_b32_e32 v25, 0
	ds_read_b64 v[23:24], v23 offset:23408
	ds_read_b64 v[25:26], v25 offset:22888
	s_waitcnt lgkmcnt(0)
	v_mul_f32_e32 v27, v26, v24
	v_mul_f32_e32 v24, v25, v24
	v_fma_f32 v25, v25, v23, -v27
	v_fmac_f32_e32 v24, v26, v23
	v_add_f32_e32 v2, v2, v25
	v_add_f32_e32 v3, v3, v24
.LBB56_720:
	s_or_b64 exec, exec, s[20:21]
	v_xor_b32_e32 v2, 0x80000000, v2
	v_xor_b32_e32 v3, 0x80000000, v3
.LBB56_721:
	s_or_b64 exec, exec, s[18:19]
	s_and_saveexec_b64 s[16:17], s[38:39]
; %bb.722:
	ds_write_b64 v5, v[2:3]
; %bb.723:
	s_or_b64 exec, exec, s[16:17]
	s_waitcnt lgkmcnt(0)
	s_barrier
	s_and_saveexec_b64 s[16:17], s[36:37]
	s_cbranch_execz .LBB56_725
; %bb.724:
	v_mov_b32_e32 v23, 0
	ds_read_b64 v[23:24], v23 offset:23928
	ds_read_b64 v[25:26], v5
	s_waitcnt lgkmcnt(0)
	v_mul_f32_e32 v27, v26, v24
	v_mul_f32_e32 v24, v25, v24
	v_fma_f32 v25, v25, v23, -v27
	v_fmac_f32_e32 v24, v26, v23
	v_add_f32_e32 v2, v2, v25
	v_add_f32_e32 v3, v3, v24
.LBB56_725:
	s_or_b64 exec, exec, s[16:17]
	s_barrier
	s_and_saveexec_b64 s[16:17], s[36:37]
; %bb.726:
	ds_write_b64 v5, v[2:3]
; %bb.727:
	s_or_b64 exec, exec, s[16:17]
	s_waitcnt lgkmcnt(0)
	s_barrier
	s_barrier
	s_and_saveexec_b64 s[16:17], s[22:23]
; %bb.728:
	v_xor_b32_e32 v3, 0x80000000, v3
	v_xor_b32_e32 v2, 0x80000000, v2
	ds_write_b64 v4, v[2:3] offset:22896
; %bb.729:
	s_or_b64 exec, exec, s[16:17]
	s_waitcnt lgkmcnt(0)
	s_barrier
	s_barrier
	s_and_saveexec_b64 s[16:17], s[42:43]
	s_cbranch_execz .LBB56_731
; %bb.730:
	v_lshlrev_b32_e32 v23, 3, v0
	s_movk_i32 s18, 0x1f8
	v_mad_u32_u24 v24, v0, s18, v23
	ds_read_b64 v[2:3], v24 offset:22896
	s_waitcnt lgkmcnt(0)
	ds_write_b64 v23, v[2:3] offset:23904
	ds_read_b64 v[2:3], v24 offset:22904
	s_waitcnt lgkmcnt(0)
	ds_write_b64 v23, v[2:3] offset:24416
.LBB56_731:
	s_or_b64 exec, exec, s[16:17]
	s_waitcnt lgkmcnt(0)
	s_barrier
	s_and_saveexec_b64 s[16:17], vcc
	s_cbranch_execz .LBB56_733
; %bb.732:
	v_mov_b32_e32 v25, 0
	ds_read_b64 v[2:3], v25 offset:23928
	s_mov_b64 s[18:19], 0x3f800000
	v_mov_b32_e32 v24, s19
	v_mov_b32_e32 v23, s18
	s_movk_i32 s18, 0x170
	ds_write_b64 v25, v[23:24] offset:24440
	v_add_u32_e64 v25, s18, 0
	s_waitcnt lgkmcnt(1)
	ds_write2st64_b64 v25, v[23:24], v[2:3] offset0:46 offset1:47
.LBB56_733:
	s_or_b64 exec, exec, s[16:17]
	v_mov_b32_e32 v3, 0
	v_mov_b32_e32 v2, 0
	s_waitcnt lgkmcnt(0)
	s_barrier
	s_and_saveexec_b64 s[18:19], s[14:15]
	s_cbranch_execz .LBB56_761
; %bb.734:
	v_mul_u32_u24_e32 v23, 0x208, v22
	ds_read_b64 v[2:3], v18 offset:16768
	ds_read_b64 v[24:25], v23 offset:16640
	s_movk_i32 s16, 0xf0
	v_cmp_gt_u32_e64 s[16:17], s16, v7
	s_waitcnt lgkmcnt(0)
	v_mul_f32_e32 v26, v25, v3
	v_mul_f32_e32 v3, v24, v3
	v_fma_f32 v24, v24, v2, -v26
	v_fmac_f32_e32 v3, v25, v2
	v_add_f32_e32 v2, 0, v24
	v_add_f32_e32 v3, 0, v3
	s_and_saveexec_b64 s[20:21], s[16:17]
	s_cbranch_execz .LBB56_736
; %bb.735:
	v_lshlrev_b32_e32 v24, 3, v22
	v_sub_u32_e32 v24, v23, v24
	v_lshl_add_u32 v24, v19, 3, v24
	ds_read_b64 v[24:25], v24 offset:17280
	ds_read_b64 v[26:27], v23 offset:16648
	s_waitcnt lgkmcnt(0)
	v_mul_f32_e32 v28, v27, v25
	v_mul_f32_e32 v25, v26, v25
	v_fma_f32 v26, v26, v24, -v28
	v_fmac_f32_e32 v25, v27, v24
	v_add_f32_e32 v2, v2, v26
	v_add_f32_e32 v3, v3, v25
.LBB56_736:
	s_or_b64 exec, exec, s[20:21]
	s_movk_i32 s16, 0xe0
	v_cmp_gt_u32_e64 s[16:17], s16, v7
	s_and_saveexec_b64 s[20:21], s[16:17]
	s_cbranch_execz .LBB56_738
; %bb.737:
	v_lshlrev_b32_e32 v24, 3, v22
	v_sub_u32_e32 v24, v23, v24
	v_lshl_add_u32 v24, v19, 3, v24
	ds_read_b64 v[24:25], v24 offset:17792
	ds_read_b64 v[26:27], v23 offset:16656
	s_waitcnt lgkmcnt(0)
	v_mul_f32_e32 v28, v27, v25
	v_mul_f32_e32 v25, v26, v25
	v_fma_f32 v26, v26, v24, -v28
	v_fmac_f32_e32 v25, v27, v24
	v_add_f32_e32 v2, v2, v26
	v_add_f32_e32 v3, v3, v25
.LBB56_738:
	s_or_b64 exec, exec, s[20:21]
	s_movk_i32 s16, 0xd0
	v_cmp_gt_u32_e64 s[16:17], s16, v7
	;; [unrolled: 19-line block ×6, first 2 shown]
	s_and_saveexec_b64 s[20:21], s[16:17]
	s_cbranch_execz .LBB56_748
; %bb.747:
	v_lshlrev_b32_e32 v22, 3, v19
	v_lshl_add_u32 v22, v21, 3, v22
	ds_read_b64 v[24:25], v22 offset:20352
	ds_read_b64 v[26:27], v23 offset:16696
	s_waitcnt lgkmcnt(0)
	v_mul_f32_e32 v22, v27, v25
	v_mul_f32_e32 v25, v26, v25
	v_fma_f32 v22, v26, v24, -v22
	v_fmac_f32_e32 v25, v27, v24
	v_add_f32_e32 v2, v2, v22
	v_add_f32_e32 v3, v3, v25
.LBB56_748:
	s_or_b64 exec, exec, s[20:21]
	s_movk_i32 s16, 0x80
	v_cmp_gt_u32_e64 s[16:17], s16, v7
	s_and_saveexec_b64 s[20:21], s[16:17]
	s_cbranch_execz .LBB56_750
; %bb.749:
	ds_read_b64 v[24:25], v18 offset:20864
	ds_read_b64 v[26:27], v23 offset:16704
	s_waitcnt lgkmcnt(0)
	v_mul_f32_e32 v22, v27, v25
	v_mul_f32_e32 v25, v26, v25
	v_fma_f32 v22, v26, v24, -v22
	v_fmac_f32_e32 v25, v27, v24
	v_add_f32_e32 v2, v2, v22
	v_add_f32_e32 v3, v3, v25
.LBB56_750:
	s_or_b64 exec, exec, s[20:21]
	s_movk_i32 s16, 0x70
	v_cmp_gt_u32_e64 s[16:17], s16, v7
	s_and_saveexec_b64 s[20:21], s[16:17]
	s_cbranch_execz .LBB56_752
; %bb.751:
	v_lshlrev_b32_e32 v22, 3, v19
	v_lshl_add_u32 v22, v21, 3, v22
	ds_read_b64 v[24:25], v22 offset:21376
	ds_read_b64 v[26:27], v23 offset:16712
	s_waitcnt lgkmcnt(0)
	v_mul_f32_e32 v22, v27, v25
	v_mul_f32_e32 v25, v26, v25
	v_fma_f32 v22, v26, v24, -v22
	v_fmac_f32_e32 v25, v27, v24
	v_add_f32_e32 v2, v2, v22
	v_add_f32_e32 v3, v3, v25
.LBB56_752:
	s_or_b64 exec, exec, s[20:21]
	s_movk_i32 s16, 0x60
	v_cmp_gt_u32_e64 s[16:17], s16, v7
	s_and_saveexec_b64 s[20:21], s[16:17]
	s_cbranch_execz .LBB56_754
; %bb.753:
	v_lshlrev_b32_e32 v22, 3, v19
	v_lshl_add_u32 v22, v21, 3, v22
	ds_read_b64 v[24:25], v22 offset:21888
	ds_read_b64 v[26:27], v23 offset:16720
	s_waitcnt lgkmcnt(0)
	v_mul_f32_e32 v22, v27, v25
	v_mul_f32_e32 v25, v26, v25
	v_fma_f32 v22, v26, v24, -v22
	v_fmac_f32_e32 v25, v27, v24
	v_add_f32_e32 v2, v2, v22
	v_add_f32_e32 v3, v3, v25
.LBB56_754:
	s_or_b64 exec, exec, s[20:21]
	s_movk_i32 s16, 0x50
	v_cmp_gt_u32_e64 s[16:17], s16, v7
	s_and_saveexec_b64 s[20:21], s[16:17]
	s_cbranch_execnz .LBB56_1086
; %bb.755:
	s_or_b64 exec, exec, s[20:21]
	v_cmp_gt_u32_e64 s[16:17], 64, v7
	s_and_saveexec_b64 s[20:21], s[16:17]
	s_cbranch_execnz .LBB56_1087
.LBB56_756:
	s_or_b64 exec, exec, s[20:21]
	v_cmp_gt_u32_e64 s[16:17], 48, v7
	s_and_saveexec_b64 s[20:21], s[16:17]
	s_cbranch_execnz .LBB56_1088
.LBB56_757:
	s_or_b64 exec, exec, s[20:21]
	v_cmp_gt_u32_e64 s[16:17], 32, v7
	s_and_saveexec_b64 s[20:21], s[16:17]
	s_cbranch_execnz .LBB56_1089
.LBB56_758:
	s_or_b64 exec, exec, s[20:21]
	v_cmp_gt_u32_e64 s[16:17], 16, v7
	s_and_saveexec_b64 s[20:21], s[16:17]
	s_cbranch_execz .LBB56_760
.LBB56_759:
	v_lshlrev_b32_e32 v21, 3, v0
	v_mov_b32_e32 v23, 0
	ds_read_b64 v[21:22], v21 offset:24448
	ds_read_b64 v[23:24], v23 offset:16760
	s_waitcnt lgkmcnt(0)
	v_mul_f32_e32 v25, v24, v22
	v_mul_f32_e32 v22, v23, v22
	v_fma_f32 v23, v23, v21, -v25
	v_fmac_f32_e32 v22, v24, v21
	v_add_f32_e32 v2, v2, v23
	v_add_f32_e32 v3, v3, v22
.LBB56_760:
	s_or_b64 exec, exec, s[20:21]
	v_xor_b32_e32 v2, 0x80000000, v2
	v_xor_b32_e32 v3, 0x80000000, v3
.LBB56_761:
	s_or_b64 exec, exec, s[18:19]
	s_mov_b64 s[16:17], exec
	v_readlane_b32 s18, v34, 4
	v_readlane_b32 s19, v34, 5
	s_and_b64 s[18:19], s[16:17], s[18:19]
	s_mov_b64 exec, s[18:19]
; %bb.762:
	ds_write_b64 v20, v[2:3]
; %bb.763:
	s_or_b64 exec, exec, s[16:17]
	s_waitcnt lgkmcnt(0)
	s_barrier
	s_mov_b64 s[16:17], exec
	v_readlane_b32 s18, v34, 6
	v_readlane_b32 s19, v34, 7
	s_and_b64 s[18:19], s[16:17], s[18:19]
	s_mov_b64 exec, s[18:19]
	s_cbranch_execz .LBB56_765
; %bb.764:
	v_lshlrev_b32_e32 v21, 3, v19
	ds_read_b64 v[21:22], v21 offset:24960
	ds_read_b64 v[23:24], v20
	s_waitcnt lgkmcnt(0)
	v_mul_f32_e32 v25, v24, v22
	v_mul_f32_e32 v22, v23, v22
	v_fma_f32 v23, v23, v21, -v25
	v_fmac_f32_e32 v22, v24, v21
	v_add_f32_e32 v2, v2, v23
	v_add_f32_e32 v3, v3, v22
.LBB56_765:
	s_or_b64 exec, exec, s[16:17]
	s_barrier
	s_mov_b64 s[16:17], exec
	v_readlane_b32 s18, v34, 8
	v_readlane_b32 s19, v34, 9
	s_and_b64 s[18:19], s[16:17], s[18:19]
	s_mov_b64 exec, s[18:19]
; %bb.766:
	ds_write_b64 v20, v[2:3]
; %bb.767:
	s_or_b64 exec, exec, s[16:17]
	s_waitcnt lgkmcnt(0)
	s_barrier
	s_mov_b64 s[16:17], exec
	v_readlane_b32 s18, v34, 10
	v_readlane_b32 s19, v34, 11
	s_and_b64 s[18:19], s[16:17], s[18:19]
	s_mov_b64 exec, s[18:19]
	s_cbranch_execz .LBB56_769
; %bb.768:
	v_lshlrev_b32_e32 v21, 3, v19
	ds_read_b64 v[21:22], v21 offset:25472
	ds_read_b64 v[23:24], v20
	s_waitcnt lgkmcnt(0)
	v_mul_f32_e32 v25, v24, v22
	v_mul_f32_e32 v22, v23, v22
	v_fma_f32 v23, v23, v21, -v25
	v_fmac_f32_e32 v22, v24, v21
	v_add_f32_e32 v2, v2, v23
	v_add_f32_e32 v3, v3, v22
.LBB56_769:
	s_or_b64 exec, exec, s[16:17]
	s_barrier
	;; [unrolled: 31-line block ×14, first 2 shown]
	s_mov_b64 s[16:17], exec
	v_readlane_b32 s18, v34, 60
	v_readlane_b32 s19, v34, 61
	s_and_b64 s[18:19], s[16:17], s[18:19]
	s_mov_b64 exec, s[18:19]
; %bb.818:
	ds_write_b64 v20, v[2:3]
; %bb.819:
	s_or_b64 exec, exec, s[16:17]
	s_waitcnt lgkmcnt(0)
	s_barrier
	s_and_saveexec_b64 s[16:17], s[6:7]
	s_cbranch_execz .LBB56_821
; %bb.820:
	v_mov_b32_e32 v19, 0
	ds_read_b64 v[21:22], v19 offset:32248
	ds_read_b64 v[23:24], v20
	s_waitcnt lgkmcnt(0)
	v_mul_f32_e32 v19, v24, v22
	v_mul_f32_e32 v22, v23, v22
	v_fma_f32 v19, v23, v21, -v19
	v_fmac_f32_e32 v22, v24, v21
	v_add_f32_e32 v2, v2, v19
	v_add_f32_e32 v3, v3, v22
.LBB56_821:
	s_or_b64 exec, exec, s[16:17]
	s_barrier
	s_and_saveexec_b64 s[16:17], s[6:7]
; %bb.822:
	ds_write_b64 v20, v[2:3]
; %bb.823:
	s_or_b64 exec, exec, s[16:17]
	s_waitcnt lgkmcnt(0)
	s_barrier
	s_barrier
	s_and_saveexec_b64 s[6:7], s[14:15]
; %bb.824:
	v_xor_b32_e32 v2, 0x80000000, v2
	v_xor_b32_e32 v3, 0x80000000, v3
	ds_write_b64 v18, v[2:3] offset:16768
; %bb.825:
	s_or_b64 exec, exec, s[6:7]
	s_waitcnt lgkmcnt(0)
	s_barrier
	s_barrier
	s_mov_b64 s[6:7], exec
	v_readlane_b32 s14, v34, 62
	v_readlane_b32 s15, v34, 63
	s_and_b64 s[14:15], s[6:7], s[14:15]
	s_mov_b64 exec, s[14:15]
	s_cbranch_execz .LBB56_827
; %bb.826:
	v_lshlrev_b32_e32 v18, 9, v0
	ds_read_b64 v[2:3], v18 offset:16768
	s_movk_i32 s14, 0xfe08
	v_mad_i32_i24 v19, v0, s14, v18
	s_waitcnt lgkmcnt(0)
	ds_write_b64 v19, v[2:3] offset:24832
	ds_read_b64 v[2:3], v18 offset:16776
	s_waitcnt lgkmcnt(0)
	ds_write_b64 v19, v[2:3] offset:25344
	ds_read_b64 v[2:3], v18 offset:16784
	;; [unrolled: 3-line block ×15, first 2 shown]
	s_waitcnt lgkmcnt(0)
	ds_write_b64 v19, v[2:3] offset:32512
.LBB56_827:
	s_or_b64 exec, exec, s[6:7]
	s_waitcnt lgkmcnt(0)
	s_barrier
	s_and_saveexec_b64 s[6:7], vcc
	s_cbranch_execz .LBB56_829
; %bb.828:
	v_mov_b32_e32 v20, 0
	ds_read_b64 v[2:3], v20 offset:24968
	s_mov_b64 s[14:15], 0x3f800000
	v_mov_b32_e32 v19, s15
	v_mov_b32_e32 v18, s14
	s_movk_i32 s14, 0x180
	ds_write_b64 v20, v[18:19] offset:25480
	v_add_u32_e64 v20, s14, 0
	s_waitcnt lgkmcnt(1)
	ds_write2st64_b64 v20, v[18:19], v[2:3] offset0:48 offset1:49
.LBB56_829:
	s_or_b64 exec, exec, s[6:7]
	v_mov_b32_e32 v3, 0
	v_mov_b32_e32 v2, 0
	s_waitcnt lgkmcnt(0)
	s_barrier
	s_and_saveexec_b64 s[6:7], s[22:23]
	s_cbranch_execz .LBB56_833
; %bb.830:
	v_mul_u32_u24_e32 v18, 0x208, v6
	ds_read_b64 v[2:3], v4 offset:24976
	ds_read_b64 v[18:19], v18 offset:24960
	v_cmp_gt_u32_e64 s[14:15], 2, v7
	s_waitcnt lgkmcnt(0)
	v_mul_f32_e32 v20, v19, v3
	v_mul_f32_e32 v3, v18, v3
	v_fma_f32 v18, v18, v2, -v20
	v_fmac_f32_e32 v3, v19, v2
	v_add_f32_e32 v2, 0, v18
	v_add_f32_e32 v3, 0, v3
	s_and_saveexec_b64 s[16:17], s[14:15]
	s_cbranch_execz .LBB56_832
; %bb.831:
	v_lshlrev_b32_e32 v18, 3, v0
	v_mov_b32_e32 v20, 0
	ds_read_b64 v[18:19], v18 offset:25488
	ds_read_b64 v[20:21], v20 offset:24968
	s_waitcnt lgkmcnt(0)
	v_mul_f32_e32 v22, v21, v19
	v_mul_f32_e32 v19, v20, v19
	v_fma_f32 v20, v20, v18, -v22
	v_fmac_f32_e32 v19, v21, v18
	v_add_f32_e32 v2, v2, v20
	v_add_f32_e32 v3, v3, v19
.LBB56_832:
	s_or_b64 exec, exec, s[16:17]
	v_xor_b32_e32 v2, 0x80000000, v2
	v_xor_b32_e32 v3, 0x80000000, v3
.LBB56_833:
	s_or_b64 exec, exec, s[6:7]
	s_and_saveexec_b64 s[6:7], s[38:39]
; %bb.834:
	ds_write_b64 v5, v[2:3]
; %bb.835:
	s_or_b64 exec, exec, s[6:7]
	s_waitcnt lgkmcnt(0)
	s_barrier
	s_and_saveexec_b64 s[6:7], s[36:37]
	s_cbranch_execz .LBB56_837
; %bb.836:
	v_mov_b32_e32 v18, 0
	ds_read_b64 v[18:19], v18 offset:26008
	ds_read_b64 v[20:21], v5
	s_waitcnt lgkmcnt(0)
	v_mul_f32_e32 v22, v21, v19
	v_mul_f32_e32 v19, v20, v19
	v_fma_f32 v20, v20, v18, -v22
	v_fmac_f32_e32 v19, v21, v18
	v_add_f32_e32 v2, v2, v20
	v_add_f32_e32 v3, v3, v19
.LBB56_837:
	s_or_b64 exec, exec, s[6:7]
	s_barrier
	s_and_saveexec_b64 s[6:7], s[36:37]
; %bb.838:
	ds_write_b64 v5, v[2:3]
; %bb.839:
	s_or_b64 exec, exec, s[6:7]
	s_waitcnt lgkmcnt(0)
	s_barrier
	s_barrier
	s_and_saveexec_b64 s[6:7], s[22:23]
; %bb.840:
	v_xor_b32_e32 v3, 0x80000000, v3
	v_xor_b32_e32 v2, 0x80000000, v2
	ds_write_b64 v4, v[2:3] offset:24976
; %bb.841:
	s_or_b64 exec, exec, s[6:7]
	s_waitcnt lgkmcnt(0)
	s_barrier
	s_barrier
	s_and_saveexec_b64 s[6:7], s[42:43]
	s_cbranch_execz .LBB56_843
; %bb.842:
	v_lshlrev_b32_e32 v18, 3, v0
	s_movk_i32 s14, 0x1f8
	v_mad_u32_u24 v19, v0, s14, v18
	ds_read_b64 v[2:3], v19 offset:24976
	s_waitcnt lgkmcnt(0)
	ds_write_b64 v18, v[2:3] offset:25984
	ds_read_b64 v[2:3], v19 offset:24984
	s_waitcnt lgkmcnt(0)
	ds_write_b64 v18, v[2:3] offset:26496
.LBB56_843:
	s_or_b64 exec, exec, s[6:7]
	s_waitcnt lgkmcnt(0)
	s_barrier
	s_and_saveexec_b64 s[6:7], vcc
	s_cbranch_execz .LBB56_845
; %bb.844:
	v_mov_b32_e32 v20, 0
	ds_read_b64 v[2:3], v20 offset:26008
	s_mov_b64 s[14:15], 0x3f800000
	v_mov_b32_e32 v19, s15
	v_mov_b32_e32 v18, s14
	s_movk_i32 s14, 0x190
	ds_write_b64 v20, v[18:19] offset:26520
	v_add_u32_e64 v20, s14, 0
	s_waitcnt lgkmcnt(1)
	ds_write2st64_b64 v20, v[18:19], v[2:3] offset0:50 offset1:51
.LBB56_845:
	s_or_b64 exec, exec, s[6:7]
	v_mov_b32_e32 v3, 0
	v_mov_b32_e32 v2, 0
	s_waitcnt lgkmcnt(0)
	s_barrier
	s_and_saveexec_b64 s[6:7], s[10:11]
	s_cbranch_execz .LBB56_851
; %bb.846:
	v_mul_u32_u24_e32 v18, 0x208, v12
	ds_read_b64 v[2:3], v8 offset:24992
	ds_read_b64 v[19:20], v18 offset:24960
	v_cmp_gt_u32_e64 s[14:15], 12, v7
	s_waitcnt lgkmcnt(0)
	v_mul_f32_e32 v21, v20, v3
	v_mul_f32_e32 v3, v19, v3
	v_fma_f32 v19, v19, v2, -v21
	v_fmac_f32_e32 v3, v20, v2
	v_add_f32_e32 v2, 0, v19
	v_add_f32_e32 v3, 0, v3
	s_and_saveexec_b64 s[16:17], s[14:15]
	s_cbranch_execnz .LBB56_1090
; %bb.847:
	s_or_b64 exec, exec, s[16:17]
	v_cmp_gt_u32_e64 s[14:15], 8, v7
	s_and_saveexec_b64 s[16:17], s[14:15]
	s_cbranch_execnz .LBB56_1091
.LBB56_848:
	s_or_b64 exec, exec, s[16:17]
	v_cmp_gt_u32_e64 s[14:15], 4, v7
	s_and_saveexec_b64 s[16:17], s[14:15]
	s_cbranch_execz .LBB56_850
.LBB56_849:
	v_lshlrev_b32_e32 v18, 3, v0
	v_mov_b32_e32 v20, 0
	ds_read_b64 v[18:19], v18 offset:26528
	ds_read_b64 v[20:21], v20 offset:24984
	s_waitcnt lgkmcnt(0)
	v_mul_f32_e32 v22, v21, v19
	v_mul_f32_e32 v19, v20, v19
	v_fma_f32 v20, v20, v18, -v22
	v_fmac_f32_e32 v19, v21, v18
	v_add_f32_e32 v2, v2, v20
	v_add_f32_e32 v3, v3, v19
.LBB56_850:
	s_or_b64 exec, exec, s[16:17]
	v_xor_b32_e32 v2, 0x80000000, v2
	v_xor_b32_e32 v3, 0x80000000, v3
.LBB56_851:
	s_or_b64 exec, exec, s[6:7]
	s_and_saveexec_b64 s[6:7], s[52:53]
; %bb.852:
	ds_write_b64 v10, v[2:3]
; %bb.853:
	s_or_b64 exec, exec, s[6:7]
	s_waitcnt lgkmcnt(0)
	s_barrier
	s_and_saveexec_b64 s[6:7], s[54:55]
	s_cbranch_execz .LBB56_855
; %bb.854:
	ds_read_b64 v[18:19], v9 offset:27040
	ds_read_b64 v[20:21], v10
	s_waitcnt lgkmcnt(0)
	v_mul_f32_e32 v22, v21, v19
	v_mul_f32_e32 v19, v20, v19
	v_fma_f32 v20, v20, v18, -v22
	v_fmac_f32_e32 v19, v21, v18
	v_add_f32_e32 v2, v2, v20
	v_add_f32_e32 v3, v3, v19
.LBB56_855:
	s_or_b64 exec, exec, s[6:7]
	s_barrier
	s_and_saveexec_b64 s[6:7], s[56:57]
; %bb.856:
	ds_write_b64 v10, v[2:3]
; %bb.857:
	s_or_b64 exec, exec, s[6:7]
	s_waitcnt lgkmcnt(0)
	s_barrier
	s_and_saveexec_b64 s[6:7], s[58:59]
	s_cbranch_execz .LBB56_859
; %bb.858:
	ds_read_b64 v[18:19], v9 offset:27552
	ds_read_b64 v[20:21], v10
	s_waitcnt lgkmcnt(0)
	v_mul_f32_e32 v22, v21, v19
	v_mul_f32_e32 v19, v20, v19
	v_fma_f32 v20, v20, v18, -v22
	v_fmac_f32_e32 v19, v21, v18
	v_add_f32_e32 v2, v2, v20
	v_add_f32_e32 v3, v3, v19
.LBB56_859:
	s_or_b64 exec, exec, s[6:7]
	s_barrier
	s_and_saveexec_b64 s[6:7], s[60:61]
; %bb.860:
	ds_write_b64 v10, v[2:3]
; %bb.861:
	s_or_b64 exec, exec, s[6:7]
	s_waitcnt lgkmcnt(0)
	s_barrier
	s_and_saveexec_b64 s[6:7], s[44:45]
	s_cbranch_execz .LBB56_863
; %bb.862:
	v_mov_b32_e32 v18, 0
	ds_read_b64 v[18:19], v18 offset:28088
	ds_read_b64 v[20:21], v10
	s_waitcnt lgkmcnt(0)
	v_mul_f32_e32 v22, v21, v19
	v_mul_f32_e32 v19, v20, v19
	v_fma_f32 v20, v20, v18, -v22
	v_fmac_f32_e32 v19, v21, v18
	v_add_f32_e32 v2, v2, v20
	v_add_f32_e32 v3, v3, v19
.LBB56_863:
	s_or_b64 exec, exec, s[6:7]
	s_barrier
	s_and_saveexec_b64 s[6:7], s[44:45]
; %bb.864:
	ds_write_b64 v10, v[2:3]
; %bb.865:
	s_or_b64 exec, exec, s[6:7]
	s_waitcnt lgkmcnt(0)
	s_barrier
	s_barrier
	s_and_saveexec_b64 s[6:7], s[10:11]
; %bb.866:
	v_xor_b32_e32 v2, 0x80000000, v2
	v_xor_b32_e32 v3, 0x80000000, v3
	ds_write_b64 v8, v[2:3] offset:24992
; %bb.867:
	s_or_b64 exec, exec, s[6:7]
	s_waitcnt lgkmcnt(0)
	s_barrier
	s_barrier
	s_and_saveexec_b64 s[6:7], s[62:63]
	s_cbranch_execz .LBB56_869
; %bb.868:
	v_lshlrev_b32_e32 v18, 9, v0
	ds_read_b64 v[2:3], v18 offset:24992
	s_movk_i32 s14, 0xfe08
	v_mad_i32_i24 v19, v0, s14, v18
	s_waitcnt lgkmcnt(0)
	ds_write_b64 v19, v[2:3] offset:27008
	ds_read_b64 v[2:3], v18 offset:25000
	s_waitcnt lgkmcnt(0)
	ds_write_b64 v19, v[2:3] offset:27520
	ds_read_b64 v[2:3], v18 offset:25008
	;; [unrolled: 3-line block ×3, first 2 shown]
	s_waitcnt lgkmcnt(0)
	ds_write_b64 v19, v[2:3] offset:28544
.LBB56_869:
	s_or_b64 exec, exec, s[6:7]
	s_waitcnt lgkmcnt(0)
	s_barrier
	s_and_saveexec_b64 s[6:7], vcc
	s_cbranch_execz .LBB56_871
; %bb.870:
	v_mov_b32_e32 v20, 0
	ds_read_b64 v[2:3], v20 offset:27048
	s_mov_b64 s[14:15], 0x3f800000
	v_mov_b32_e32 v19, s15
	v_mov_b32_e32 v18, s14
	s_movk_i32 s14, 0x1a0
	ds_write_b64 v20, v[18:19] offset:27560
	v_add_u32_e64 v20, s14, 0
	s_waitcnt lgkmcnt(1)
	ds_write2st64_b64 v20, v[18:19], v[2:3] offset0:52 offset1:53
.LBB56_871:
	s_or_b64 exec, exec, s[6:7]
	v_mov_b32_e32 v3, 0
	v_mov_b32_e32 v2, 0
	s_waitcnt lgkmcnt(0)
	s_barrier
	s_and_saveexec_b64 s[6:7], s[22:23]
	s_cbranch_execz .LBB56_875
; %bb.872:
	v_mul_u32_u24_e32 v18, 0x208, v6
	ds_read_b64 v[2:3], v4 offset:27056
	ds_read_b64 v[18:19], v18 offset:27040
	v_cmp_gt_u32_e64 s[14:15], 2, v7
	s_waitcnt lgkmcnt(0)
	v_mul_f32_e32 v20, v19, v3
	v_mul_f32_e32 v3, v18, v3
	v_fma_f32 v18, v18, v2, -v20
	v_fmac_f32_e32 v3, v19, v2
	v_add_f32_e32 v2, 0, v18
	v_add_f32_e32 v3, 0, v3
	s_and_saveexec_b64 s[16:17], s[14:15]
	s_cbranch_execz .LBB56_874
; %bb.873:
	v_lshlrev_b32_e32 v18, 3, v0
	v_mov_b32_e32 v20, 0
	ds_read_b64 v[18:19], v18 offset:27568
	ds_read_b64 v[20:21], v20 offset:27048
	s_waitcnt lgkmcnt(0)
	v_mul_f32_e32 v22, v21, v19
	v_mul_f32_e32 v19, v20, v19
	v_fma_f32 v20, v20, v18, -v22
	v_fmac_f32_e32 v19, v21, v18
	v_add_f32_e32 v2, v2, v20
	v_add_f32_e32 v3, v3, v19
.LBB56_874:
	s_or_b64 exec, exec, s[16:17]
	v_xor_b32_e32 v2, 0x80000000, v2
	v_xor_b32_e32 v3, 0x80000000, v3
.LBB56_875:
	s_or_b64 exec, exec, s[6:7]
	s_and_saveexec_b64 s[6:7], s[38:39]
; %bb.876:
	ds_write_b64 v5, v[2:3]
; %bb.877:
	s_or_b64 exec, exec, s[6:7]
	s_waitcnt lgkmcnt(0)
	s_barrier
	s_and_saveexec_b64 s[6:7], s[36:37]
	s_cbranch_execz .LBB56_879
; %bb.878:
	v_mov_b32_e32 v18, 0
	ds_read_b64 v[18:19], v18 offset:28088
	ds_read_b64 v[20:21], v5
	s_waitcnt lgkmcnt(0)
	v_mul_f32_e32 v22, v21, v19
	v_mul_f32_e32 v19, v20, v19
	v_fma_f32 v20, v20, v18, -v22
	v_fmac_f32_e32 v19, v21, v18
	v_add_f32_e32 v2, v2, v20
	v_add_f32_e32 v3, v3, v19
.LBB56_879:
	s_or_b64 exec, exec, s[6:7]
	s_barrier
	s_and_saveexec_b64 s[6:7], s[36:37]
; %bb.880:
	ds_write_b64 v5, v[2:3]
; %bb.881:
	s_or_b64 exec, exec, s[6:7]
	s_waitcnt lgkmcnt(0)
	s_barrier
	s_barrier
	s_and_saveexec_b64 s[6:7], s[22:23]
; %bb.882:
	v_xor_b32_e32 v3, 0x80000000, v3
	v_xor_b32_e32 v2, 0x80000000, v2
	ds_write_b64 v4, v[2:3] offset:27056
; %bb.883:
	s_or_b64 exec, exec, s[6:7]
	s_waitcnt lgkmcnt(0)
	s_barrier
	s_barrier
	s_and_saveexec_b64 s[6:7], s[42:43]
	s_cbranch_execz .LBB56_885
; %bb.884:
	v_lshlrev_b32_e32 v18, 3, v0
	s_movk_i32 s14, 0x1f8
	v_mad_u32_u24 v19, v0, s14, v18
	ds_read_b64 v[2:3], v19 offset:27056
	s_waitcnt lgkmcnt(0)
	ds_write_b64 v18, v[2:3] offset:28064
	ds_read_b64 v[2:3], v19 offset:27064
	s_waitcnt lgkmcnt(0)
	ds_write_b64 v18, v[2:3] offset:28576
.LBB56_885:
	s_or_b64 exec, exec, s[6:7]
	s_waitcnt lgkmcnt(0)
	s_barrier
	s_and_saveexec_b64 s[6:7], vcc
	s_cbranch_execz .LBB56_887
; %bb.886:
	v_mov_b32_e32 v20, 0
	ds_read_b64 v[2:3], v20 offset:28088
	s_mov_b64 s[14:15], 0x3f800000
	v_mov_b32_e32 v19, s15
	v_mov_b32_e32 v18, s14
	s_movk_i32 s14, 0x1b0
	ds_write_b64 v20, v[18:19] offset:28600
	v_add_u32_e64 v20, s14, 0
	s_waitcnt lgkmcnt(1)
	ds_write2st64_b64 v20, v[18:19], v[2:3] offset0:54 offset1:55
.LBB56_887:
	s_or_b64 exec, exec, s[6:7]
	v_mov_b32_e32 v3, 0
	v_mov_b32_e32 v2, 0
	s_waitcnt lgkmcnt(0)
	s_barrier
	s_and_saveexec_b64 s[6:7], s[12:13]
	s_cbranch_execz .LBB56_897
; %bb.888:
	v_mul_u32_u24_e32 v18, 0x208, v17
	ds_read_b64 v[2:3], v13 offset:25024
	ds_read_b64 v[19:20], v18 offset:24960
	v_cmp_gt_u32_e64 s[14:15], 56, v7
	s_waitcnt lgkmcnt(0)
	v_mul_f32_e32 v21, v20, v3
	v_mul_f32_e32 v3, v19, v3
	v_fma_f32 v19, v19, v2, -v21
	v_fmac_f32_e32 v3, v20, v2
	v_add_f32_e32 v2, 0, v19
	v_add_f32_e32 v3, 0, v3
	s_and_saveexec_b64 s[16:17], s[14:15]
	s_cbranch_execnz .LBB56_1092
; %bb.889:
	s_or_b64 exec, exec, s[16:17]
	v_cmp_gt_u32_e64 s[14:15], 48, v7
	s_and_saveexec_b64 s[16:17], s[14:15]
	s_cbranch_execnz .LBB56_1093
.LBB56_890:
	s_or_b64 exec, exec, s[16:17]
	v_cmp_gt_u32_e64 s[14:15], 40, v7
	s_and_saveexec_b64 s[16:17], s[14:15]
	s_cbranch_execnz .LBB56_1094
.LBB56_891:
	s_or_b64 exec, exec, s[16:17]
	v_cmp_gt_u32_e64 s[14:15], 32, v7
	s_and_saveexec_b64 s[16:17], s[14:15]
	s_cbranch_execnz .LBB56_1095
.LBB56_892:
	s_or_b64 exec, exec, s[16:17]
	v_cmp_gt_u32_e64 s[14:15], 24, v7
	s_and_saveexec_b64 s[16:17], s[14:15]
	s_cbranch_execnz .LBB56_1096
.LBB56_893:
	s_or_b64 exec, exec, s[16:17]
	v_cmp_gt_u32_e64 s[14:15], 16, v7
	s_and_saveexec_b64 s[16:17], s[14:15]
	s_cbranch_execnz .LBB56_1097
.LBB56_894:
	s_or_b64 exec, exec, s[16:17]
	v_cmp_gt_u32_e64 s[14:15], 8, v7
	s_and_saveexec_b64 s[16:17], s[14:15]
	s_cbranch_execz .LBB56_896
.LBB56_895:
	v_lshlrev_b32_e32 v16, 3, v0
	v_mov_b32_e32 v18, 0
	ds_read_b64 v[16:17], v16 offset:28608
	ds_read_b64 v[18:19], v18 offset:25016
	s_waitcnt lgkmcnt(0)
	v_mul_f32_e32 v20, v19, v17
	v_mul_f32_e32 v17, v18, v17
	v_fma_f32 v18, v18, v16, -v20
	v_fmac_f32_e32 v17, v19, v16
	v_add_f32_e32 v2, v2, v18
	v_add_f32_e32 v3, v3, v17
.LBB56_896:
	s_or_b64 exec, exec, s[16:17]
	v_xor_b32_e32 v2, 0x80000000, v2
	v_xor_b32_e32 v3, 0x80000000, v3
.LBB56_897:
	s_or_b64 exec, exec, s[6:7]
	s_and_saveexec_b64 s[6:7], s[66:67]
; %bb.898:
	ds_write_b64 v15, v[2:3]
; %bb.899:
	s_or_b64 exec, exec, s[6:7]
	s_waitcnt lgkmcnt(0)
	s_barrier
	s_and_saveexec_b64 s[6:7], s[68:69]
	s_cbranch_execz .LBB56_901
; %bb.900:
	ds_read_b64 v[16:17], v14 offset:29120
	ds_read_b64 v[18:19], v15
	s_waitcnt lgkmcnt(0)
	v_mul_f32_e32 v20, v19, v17
	v_mul_f32_e32 v17, v18, v17
	v_fma_f32 v18, v18, v16, -v20
	v_fmac_f32_e32 v17, v19, v16
	v_add_f32_e32 v2, v2, v18
	v_add_f32_e32 v3, v3, v17
.LBB56_901:
	s_or_b64 exec, exec, s[6:7]
	s_barrier
	s_and_saveexec_b64 s[6:7], s[70:71]
; %bb.902:
	ds_write_b64 v15, v[2:3]
; %bb.903:
	s_or_b64 exec, exec, s[6:7]
	s_waitcnt lgkmcnt(0)
	s_barrier
	s_and_saveexec_b64 s[6:7], s[72:73]
	s_cbranch_execz .LBB56_905
; %bb.904:
	ds_read_b64 v[16:17], v14 offset:29632
	ds_read_b64 v[18:19], v15
	s_waitcnt lgkmcnt(0)
	v_mul_f32_e32 v20, v19, v17
	v_mul_f32_e32 v17, v18, v17
	v_fma_f32 v18, v18, v16, -v20
	v_fmac_f32_e32 v17, v19, v16
	v_add_f32_e32 v2, v2, v18
	v_add_f32_e32 v3, v3, v17
.LBB56_905:
	s_or_b64 exec, exec, s[6:7]
	s_barrier
	;; [unrolled: 22-line block ×6, first 2 shown]
	s_and_saveexec_b64 s[6:7], s[90:91]
; %bb.922:
	ds_write_b64 v15, v[2:3]
; %bb.923:
	s_or_b64 exec, exec, s[6:7]
	s_waitcnt lgkmcnt(0)
	s_barrier
	s_and_saveexec_b64 s[6:7], s[64:65]
	s_cbranch_execz .LBB56_925
; %bb.924:
	v_mov_b32_e32 v14, 0
	ds_read_b64 v[16:17], v14 offset:32248
	ds_read_b64 v[18:19], v15
	s_waitcnt lgkmcnt(0)
	v_mul_f32_e32 v14, v19, v17
	v_mul_f32_e32 v17, v18, v17
	v_fma_f32 v14, v18, v16, -v14
	v_fmac_f32_e32 v17, v19, v16
	v_add_f32_e32 v2, v2, v14
	v_add_f32_e32 v3, v3, v17
.LBB56_925:
	s_or_b64 exec, exec, s[6:7]
	s_barrier
	s_and_saveexec_b64 s[6:7], s[64:65]
; %bb.926:
	ds_write_b64 v15, v[2:3]
; %bb.927:
	s_or_b64 exec, exec, s[6:7]
	s_waitcnt lgkmcnt(0)
	s_barrier
	s_barrier
	s_and_saveexec_b64 s[6:7], s[12:13]
; %bb.928:
	v_xor_b32_e32 v3, 0x80000000, v3
	v_xor_b32_e32 v2, 0x80000000, v2
	ds_write_b64 v13, v[2:3] offset:25024
; %bb.929:
	s_or_b64 exec, exec, s[6:7]
	s_waitcnt lgkmcnt(0)
	s_barrier
	s_barrier
	s_and_saveexec_b64 s[6:7], s[92:93]
	s_cbranch_execz .LBB56_931
; %bb.930:
	v_lshlrev_b32_e32 v13, 9, v0
	ds_read_b64 v[2:3], v13 offset:25024
	s_movk_i32 s12, 0xfe08
	v_mad_i32_i24 v14, v0, s12, v13
	s_waitcnt lgkmcnt(0)
	ds_write_b64 v14, v[2:3] offset:29056
	ds_read_b64 v[2:3], v13 offset:25032
	s_waitcnt lgkmcnt(0)
	ds_write_b64 v14, v[2:3] offset:29568
	ds_read_b64 v[2:3], v13 offset:25040
	;; [unrolled: 3-line block ×7, first 2 shown]
	s_waitcnt lgkmcnt(0)
	ds_write_b64 v14, v[2:3] offset:32640
.LBB56_931:
	s_or_b64 exec, exec, s[6:7]
	s_waitcnt lgkmcnt(0)
	s_barrier
	s_and_saveexec_b64 s[6:7], vcc
	s_cbranch_execz .LBB56_933
; %bb.932:
	v_mov_b32_e32 v15, 0
	ds_read_b64 v[2:3], v15 offset:29128
	s_mov_b64 s[12:13], 0x3f800000
	v_mov_b32_e32 v14, s13
	v_mov_b32_e32 v13, s12
	s_movk_i32 s12, 0x1c0
	ds_write_b64 v15, v[13:14] offset:29640
	v_add_u32_e64 v15, s12, 0
	s_waitcnt lgkmcnt(1)
	ds_write2st64_b64 v15, v[13:14], v[2:3] offset0:56 offset1:57
.LBB56_933:
	s_or_b64 exec, exec, s[6:7]
	v_mov_b32_e32 v3, 0
	v_mov_b32_e32 v2, 0
	s_waitcnt lgkmcnt(0)
	s_barrier
	s_and_saveexec_b64 s[6:7], s[22:23]
	s_cbranch_execz .LBB56_937
; %bb.934:
	v_mul_u32_u24_e32 v13, 0x208, v6
	ds_read_b64 v[2:3], v4 offset:29136
	ds_read_b64 v[13:14], v13 offset:29120
	v_cmp_gt_u32_e64 s[12:13], 2, v7
	s_waitcnt lgkmcnt(0)
	v_mul_f32_e32 v15, v14, v3
	v_mul_f32_e32 v3, v13, v3
	v_fma_f32 v13, v13, v2, -v15
	v_fmac_f32_e32 v3, v14, v2
	v_add_f32_e32 v2, 0, v13
	v_add_f32_e32 v3, 0, v3
	s_and_saveexec_b64 s[14:15], s[12:13]
	s_cbranch_execz .LBB56_936
; %bb.935:
	v_lshlrev_b32_e32 v13, 3, v0
	v_mov_b32_e32 v15, 0
	ds_read_b64 v[13:14], v13 offset:29648
	ds_read_b64 v[15:16], v15 offset:29128
	s_waitcnt lgkmcnt(0)
	v_mul_f32_e32 v17, v16, v14
	v_mul_f32_e32 v14, v15, v14
	v_fma_f32 v15, v15, v13, -v17
	v_fmac_f32_e32 v14, v16, v13
	v_add_f32_e32 v2, v2, v15
	v_add_f32_e32 v3, v3, v14
.LBB56_936:
	s_or_b64 exec, exec, s[14:15]
	v_xor_b32_e32 v2, 0x80000000, v2
	v_xor_b32_e32 v3, 0x80000000, v3
.LBB56_937:
	s_or_b64 exec, exec, s[6:7]
	s_and_saveexec_b64 s[6:7], s[38:39]
; %bb.938:
	ds_write_b64 v5, v[2:3]
; %bb.939:
	s_or_b64 exec, exec, s[6:7]
	s_waitcnt lgkmcnt(0)
	s_barrier
	s_and_saveexec_b64 s[6:7], s[36:37]
	s_cbranch_execz .LBB56_941
; %bb.940:
	v_mov_b32_e32 v13, 0
	ds_read_b64 v[13:14], v13 offset:30168
	ds_read_b64 v[15:16], v5
	s_waitcnt lgkmcnt(0)
	v_mul_f32_e32 v17, v16, v14
	v_mul_f32_e32 v14, v15, v14
	v_fma_f32 v15, v15, v13, -v17
	v_fmac_f32_e32 v14, v16, v13
	v_add_f32_e32 v2, v2, v15
	v_add_f32_e32 v3, v3, v14
.LBB56_941:
	s_or_b64 exec, exec, s[6:7]
	s_barrier
	s_and_saveexec_b64 s[6:7], s[36:37]
; %bb.942:
	ds_write_b64 v5, v[2:3]
; %bb.943:
	s_or_b64 exec, exec, s[6:7]
	s_waitcnt lgkmcnt(0)
	s_barrier
	s_barrier
	s_and_saveexec_b64 s[6:7], s[22:23]
; %bb.944:
	v_xor_b32_e32 v3, 0x80000000, v3
	v_xor_b32_e32 v2, 0x80000000, v2
	ds_write_b64 v4, v[2:3] offset:29136
; %bb.945:
	s_or_b64 exec, exec, s[6:7]
	s_waitcnt lgkmcnt(0)
	s_barrier
	s_barrier
	s_and_saveexec_b64 s[6:7], s[42:43]
	s_cbranch_execz .LBB56_947
; %bb.946:
	v_lshlrev_b32_e32 v13, 3, v0
	s_movk_i32 s12, 0x1f8
	v_mad_u32_u24 v14, v0, s12, v13
	ds_read_b64 v[2:3], v14 offset:29136
	s_waitcnt lgkmcnt(0)
	ds_write_b64 v13, v[2:3] offset:30144
	ds_read_b64 v[2:3], v14 offset:29144
	s_waitcnt lgkmcnt(0)
	ds_write_b64 v13, v[2:3] offset:30656
.LBB56_947:
	s_or_b64 exec, exec, s[6:7]
	s_waitcnt lgkmcnt(0)
	s_barrier
	s_and_saveexec_b64 s[6:7], vcc
	s_cbranch_execz .LBB56_949
; %bb.948:
	v_mov_b32_e32 v15, 0
	ds_read_b64 v[2:3], v15 offset:30168
	s_mov_b64 s[12:13], 0x3f800000
	v_mov_b32_e32 v14, s13
	v_mov_b32_e32 v13, s12
	s_movk_i32 s12, 0x1d0
	ds_write_b64 v15, v[13:14] offset:30680
	v_add_u32_e64 v15, s12, 0
	s_waitcnt lgkmcnt(1)
	ds_write2st64_b64 v15, v[13:14], v[2:3] offset0:58 offset1:59
.LBB56_949:
	s_or_b64 exec, exec, s[6:7]
	v_mov_b32_e32 v3, 0
	v_mov_b32_e32 v2, 0
	s_waitcnt lgkmcnt(0)
	s_barrier
	s_and_saveexec_b64 s[6:7], s[10:11]
	s_cbranch_execz .LBB56_955
; %bb.950:
	v_mul_u32_u24_e32 v13, 0x208, v12
	ds_read_b64 v[2:3], v8 offset:29152
	ds_read_b64 v[14:15], v13 offset:29120
	v_cmp_gt_u32_e64 s[12:13], 12, v7
	s_waitcnt lgkmcnt(0)
	v_mul_f32_e32 v16, v15, v3
	v_mul_f32_e32 v3, v14, v3
	v_fma_f32 v14, v14, v2, -v16
	v_fmac_f32_e32 v3, v15, v2
	v_add_f32_e32 v2, 0, v14
	v_add_f32_e32 v3, 0, v3
	s_and_saveexec_b64 s[14:15], s[12:13]
	s_cbranch_execnz .LBB56_1098
; %bb.951:
	s_or_b64 exec, exec, s[14:15]
	v_cmp_gt_u32_e64 s[12:13], 8, v7
	s_and_saveexec_b64 s[14:15], s[12:13]
	s_cbranch_execnz .LBB56_1099
.LBB56_952:
	s_or_b64 exec, exec, s[14:15]
	v_cmp_gt_u32_e64 s[12:13], 4, v7
	s_and_saveexec_b64 s[14:15], s[12:13]
	s_cbranch_execz .LBB56_954
.LBB56_953:
	v_lshlrev_b32_e32 v11, 3, v0
	v_mov_b32_e32 v13, 0
	ds_read_b64 v[11:12], v11 offset:30688
	ds_read_b64 v[13:14], v13 offset:29144
	s_waitcnt lgkmcnt(0)
	v_mul_f32_e32 v15, v14, v12
	v_mul_f32_e32 v12, v13, v12
	v_fma_f32 v13, v13, v11, -v15
	v_fmac_f32_e32 v12, v14, v11
	v_add_f32_e32 v2, v2, v13
	v_add_f32_e32 v3, v3, v12
.LBB56_954:
	s_or_b64 exec, exec, s[14:15]
	v_xor_b32_e32 v2, 0x80000000, v2
	v_xor_b32_e32 v3, 0x80000000, v3
.LBB56_955:
	s_or_b64 exec, exec, s[6:7]
	s_and_saveexec_b64 s[6:7], s[52:53]
; %bb.956:
	ds_write_b64 v10, v[2:3]
; %bb.957:
	s_or_b64 exec, exec, s[6:7]
	s_waitcnt lgkmcnt(0)
	s_barrier
	s_and_saveexec_b64 s[6:7], s[54:55]
	v_readlane_b32 s52, v34, 2
	v_readlane_b32 s53, v34, 3
	s_cbranch_execz .LBB56_959
; %bb.958:
	ds_read_b64 v[11:12], v9 offset:31200
	ds_read_b64 v[13:14], v10
	s_waitcnt lgkmcnt(0)
	v_mul_f32_e32 v15, v14, v12
	v_mul_f32_e32 v12, v13, v12
	v_fma_f32 v13, v13, v11, -v15
	v_fmac_f32_e32 v12, v14, v11
	v_add_f32_e32 v2, v2, v13
	v_add_f32_e32 v3, v3, v12
.LBB56_959:
	s_or_b64 exec, exec, s[6:7]
	s_barrier
	s_and_saveexec_b64 s[6:7], s[56:57]
; %bb.960:
	ds_write_b64 v10, v[2:3]
; %bb.961:
	s_or_b64 exec, exec, s[6:7]
	s_waitcnt lgkmcnt(0)
	s_barrier
	s_and_saveexec_b64 s[6:7], s[58:59]
	s_cbranch_execz .LBB56_963
; %bb.962:
	ds_read_b64 v[11:12], v9 offset:31712
	ds_read_b64 v[13:14], v10
	s_waitcnt lgkmcnt(0)
	v_mul_f32_e32 v9, v14, v12
	v_mul_f32_e32 v12, v13, v12
	v_fma_f32 v9, v13, v11, -v9
	v_fmac_f32_e32 v12, v14, v11
	v_add_f32_e32 v2, v2, v9
	v_add_f32_e32 v3, v3, v12
.LBB56_963:
	s_or_b64 exec, exec, s[6:7]
	s_barrier
	s_and_saveexec_b64 s[6:7], s[60:61]
; %bb.964:
	ds_write_b64 v10, v[2:3]
; %bb.965:
	s_or_b64 exec, exec, s[6:7]
	s_waitcnt lgkmcnt(0)
	s_barrier
	s_and_saveexec_b64 s[6:7], s[44:45]
	s_cbranch_execz .LBB56_967
; %bb.966:
	v_mov_b32_e32 v9, 0
	ds_read_b64 v[11:12], v9 offset:32248
	ds_read_b64 v[13:14], v10
	s_waitcnt lgkmcnt(0)
	v_mul_f32_e32 v9, v14, v12
	v_mul_f32_e32 v12, v13, v12
	v_fma_f32 v9, v13, v11, -v9
	v_fmac_f32_e32 v12, v14, v11
	v_add_f32_e32 v2, v2, v9
	v_add_f32_e32 v3, v3, v12
.LBB56_967:
	s_or_b64 exec, exec, s[6:7]
	s_barrier
	s_and_saveexec_b64 s[6:7], s[44:45]
; %bb.968:
	ds_write_b64 v10, v[2:3]
; %bb.969:
	s_or_b64 exec, exec, s[6:7]
	s_waitcnt lgkmcnt(0)
	s_barrier
	s_barrier
	s_and_saveexec_b64 s[6:7], s[10:11]
; %bb.970:
	v_xor_b32_e32 v2, 0x80000000, v2
	v_xor_b32_e32 v3, 0x80000000, v3
	ds_write_b64 v8, v[2:3] offset:29152
; %bb.971:
	s_or_b64 exec, exec, s[6:7]
	s_waitcnt lgkmcnt(0)
	s_barrier
	s_barrier
	s_and_saveexec_b64 s[6:7], s[62:63]
	s_cbranch_execz .LBB56_973
; %bb.972:
	v_lshlrev_b32_e32 v8, 9, v0
	ds_read_b64 v[2:3], v8 offset:29152
	s_movk_i32 s10, 0xfe08
	v_mad_i32_i24 v9, v0, s10, v8
	s_waitcnt lgkmcnt(0)
	ds_write_b64 v9, v[2:3] offset:31168
	ds_read_b64 v[2:3], v8 offset:29160
	s_waitcnt lgkmcnt(0)
	ds_write_b64 v9, v[2:3] offset:31680
	ds_read_b64 v[2:3], v8 offset:29168
	;; [unrolled: 3-line block ×3, first 2 shown]
	s_waitcnt lgkmcnt(0)
	ds_write_b64 v9, v[2:3] offset:32704
.LBB56_973:
	s_or_b64 exec, exec, s[6:7]
	s_waitcnt lgkmcnt(0)
	s_barrier
	s_and_saveexec_b64 s[6:7], vcc
	s_cbranch_execz .LBB56_975
; %bb.974:
	v_mov_b32_e32 v10, 0
	ds_read_b64 v[2:3], v10 offset:31208
	s_mov_b64 s[10:11], 0x3f800000
	v_mov_b32_e32 v8, s10
	v_mov_b32_e32 v9, s11
	s_movk_i32 s10, 0x1e0
	ds_write_b64 v10, v[8:9] offset:31720
	v_add_u32_e64 v10, s10, 0
	s_waitcnt lgkmcnt(1)
	ds_write2st64_b64 v10, v[8:9], v[2:3] offset0:60 offset1:61
.LBB56_975:
	s_or_b64 exec, exec, s[6:7]
	v_mov_b32_e32 v3, 0
	v_mov_b32_e32 v2, 0
	s_waitcnt lgkmcnt(0)
	s_barrier
	s_and_saveexec_b64 s[6:7], s[22:23]
	s_cbranch_execz .LBB56_979
; %bb.976:
	v_mul_u32_u24_e32 v6, 0x208, v6
	ds_read_b64 v[2:3], v4 offset:31216
	ds_read_b64 v[8:9], v6 offset:31200
	v_cmp_gt_u32_e64 s[10:11], 2, v7
	s_waitcnt lgkmcnt(0)
	v_mul_f32_e32 v6, v9, v3
	v_mul_f32_e32 v3, v8, v3
	v_fma_f32 v6, v8, v2, -v6
	v_fmac_f32_e32 v3, v9, v2
	v_add_f32_e32 v2, 0, v6
	v_add_f32_e32 v3, 0, v3
	s_and_saveexec_b64 s[12:13], s[10:11]
	s_cbranch_execz .LBB56_978
; %bb.977:
	v_lshlrev_b32_e32 v6, 3, v0
	v_mov_b32_e32 v10, 0
	ds_read_b64 v[8:9], v6 offset:31728
	ds_read_b64 v[10:11], v10 offset:31208
	s_waitcnt lgkmcnt(0)
	v_mul_f32_e32 v6, v11, v9
	v_mul_f32_e32 v9, v10, v9
	v_fma_f32 v6, v10, v8, -v6
	v_fmac_f32_e32 v9, v11, v8
	v_add_f32_e32 v2, v2, v6
	v_add_f32_e32 v3, v3, v9
.LBB56_978:
	s_or_b64 exec, exec, s[12:13]
	v_xor_b32_e32 v2, 0x80000000, v2
	v_xor_b32_e32 v3, 0x80000000, v3
.LBB56_979:
	s_or_b64 exec, exec, s[6:7]
	s_and_saveexec_b64 s[6:7], s[38:39]
; %bb.980:
	ds_write_b64 v5, v[2:3]
; %bb.981:
	s_or_b64 exec, exec, s[6:7]
	s_waitcnt lgkmcnt(0)
	s_barrier
	s_and_saveexec_b64 s[6:7], s[36:37]
	v_readlane_b32 s24, v34, 0
	v_readlane_b32 s25, v34, 1
	s_cbranch_execz .LBB56_983
; %bb.982:
	v_mov_b32_e32 v6, 0
	ds_read_b64 v[8:9], v6 offset:32248
	ds_read_b64 v[10:11], v5
	s_waitcnt lgkmcnt(0)
	v_mul_f32_e32 v6, v11, v9
	v_mul_f32_e32 v9, v10, v9
	v_fma_f32 v6, v10, v8, -v6
	v_fmac_f32_e32 v9, v11, v8
	v_add_f32_e32 v2, v2, v6
	v_add_f32_e32 v3, v3, v9
.LBB56_983:
	s_or_b64 exec, exec, s[6:7]
	s_barrier
	s_and_saveexec_b64 s[6:7], s[36:37]
; %bb.984:
	ds_write_b64 v5, v[2:3]
; %bb.985:
	s_or_b64 exec, exec, s[6:7]
	s_waitcnt lgkmcnt(0)
	s_barrier
	s_barrier
	s_and_saveexec_b64 s[6:7], s[22:23]
; %bb.986:
	v_xor_b32_e32 v3, 0x80000000, v3
	v_xor_b32_e32 v2, 0x80000000, v2
	ds_write_b64 v4, v[2:3] offset:31216
; %bb.987:
	s_or_b64 exec, exec, s[6:7]
	s_waitcnt lgkmcnt(0)
	s_barrier
	s_barrier
	s_and_saveexec_b64 s[6:7], s[42:43]
	s_cbranch_execz .LBB56_989
; %bb.988:
	v_lshlrev_b32_e32 v4, 3, v0
	s_movk_i32 s10, 0x1f8
	v_mad_u32_u24 v5, v0, s10, v4
	ds_read_b64 v[2:3], v5 offset:31216
	s_waitcnt lgkmcnt(0)
	ds_write_b64 v4, v[2:3] offset:32224
	ds_read_b64 v[2:3], v5 offset:31224
	s_waitcnt lgkmcnt(0)
	ds_write_b64 v4, v[2:3] offset:32736
.LBB56_989:
	s_or_b64 exec, exec, s[6:7]
	s_waitcnt lgkmcnt(0)
	s_barrier
	s_and_saveexec_b64 s[6:7], vcc
	s_cbranch_execz .LBB56_991
; %bb.990:
	v_mov_b32_e32 v6, 0
	ds_read_b64 v[2:3], v6 offset:32248
	s_mov_b64 s[10:11], 0x3f800000
	v_mov_b32_e32 v4, s10
	v_mov_b32_e32 v5, s11
	s_movk_i32 s10, 0x1f0
	ds_write_b64 v6, v[4:5] offset:32760
	v_add_u32_e64 v6, s10, 0
	s_waitcnt lgkmcnt(1)
	ds_write2st64_b64 v6, v[4:5], v[2:3] offset0:62 offset1:63
.LBB56_991:
	s_or_b64 exec, exec, s[6:7]
.LBB56_992:
	s_load_dwordx4 s[16:19], s[4:5], 0x48
	v_cmp_le_i32_e32 vcc, s94, v0
	v_mov_b32_e32 v2, 0
	v_lshl_add_u32 v4, s33, 6, v0
	v_mov_b32_e32 v3, v2
	s_waitcnt lgkmcnt(0)
	s_mul_i32 s5, s17, s26
	s_mul_hi_u32 s6, s16, s26
	s_mul_i32 s4, s16, s26
	s_add_i32 s5, s6, s5
	s_lshl_b64 s[4:5], s[4:5], 3
	s_add_u32 s6, s46, s4
	s_addc_u32 s7, s47, s5
	s_lshl_b64 s[4:5], s[48:49], 3
	s_add_u32 s36, s6, s4
	s_addc_u32 s37, s7, s5
	s_and_b64 s[20:21], vcc, s[30:31]
	v_cmp_eq_u32_e64 s[4:5], 0, v1
	s_xor_b64 s[6:7], s[20:21], -1
	s_and_b64 s[10:11], s[4:5], s[6:7]
	s_barrier
	s_and_saveexec_b64 s[6:7], s[10:11]
	s_cbranch_execz .LBB56_994
; %bb.993:
	v_ashrrev_i32_e32 v5, 31, v4
	v_mul_lo_u32 v6, s51, v4
	v_mad_u64_u32 v[2:3], s[10:11], s50, v4, 0
	v_mul_lo_u32 v5, s50, v5
	v_add3_u32 v3, v3, v5, v6
	v_lshlrev_b64 v[2:3], 3, v[2:3]
	v_mov_b32_e32 v5, s37
	v_add_co_u32_e32 v2, vcc, s36, v2
	v_addc_co_u32_e32 v3, vcc, v5, v3, vcc
	global_load_dwordx2 v[5:6], v[2:3], off
	s_waitcnt vmcnt(0)
	v_mul_f32_e32 v2, s24, v5
	v_mul_f32_e32 v3, s24, v6
	v_fma_f32 v2, s25, v6, -v2
	v_fma_f32 v3, v5, -s25, -v3
.LBB56_994:
	s_or_b64 exec, exec, s[6:7]
	s_and_b32 s6, 0xffff, s35
	v_mad_u32_u24 v8, v1, s6, v0
	s_cmp_lt_i32 s8, 1
	v_cmp_eq_u32_e64 s[16:17], 0, v8
	s_cbranch_scc1 .LBB56_1013
; %bb.995:
	v_ashrrev_i32_e32 v5, 31, v4
	v_mul_lo_u32 v9, s40, v5
	v_mul_lo_u32 v10, s41, v4
	v_mad_u64_u32 v[5:6], s[10:11], s40, v4, 0
	v_cmp_gt_i32_e64 s[12:13], s28, v4
	s_lshl_b64 s[10:11], s[26:27], 2
	v_add3_u32 v6, v6, v9, v10
	v_lshlrev_b64 v[4:5], 3, v[5:6]
	s_mov_b64 s[6:7], src_private_base
	s_add_u32 s22, s18, s10
	v_mov_b32_e32 v10, 0xa000
	v_mov_b32_e32 v6, s34
	v_add_co_u32_e32 v11, vcc, s95, v4
	s_mov_b32 s6, 0
	s_addc_u32 s23, s19, s11
	v_cmp_gt_u32_e64 s[10:11], 64, v8
	v_lshl_add_u32 v9, v8, 3, v10
	v_lshl_or_b32 v10, v1, 3, v10
	s_add_i32 s35, s33, 1
	v_addc_co_u32_e32 v12, vcc, v6, v5, vcc
	v_mov_b32_e32 v15, -1
	v_mov_b32_e32 v4, 0
	v_mov_b32_e32 v13, 0
	;; [unrolled: 1-line block ×5, first 2 shown]
	s_branch .LBB56_997
.LBB56_996:                             ;   in Loop: Header=BB56_997 Depth=1
	s_or_b64 exec, exec, s[24:25]
	s_add_i32 s6, s6, 1
	s_cmp_eq_u32 s6, s8
	s_cbranch_scc1 .LBB56_1013
.LBB56_997:                             ; =>This Loop Header: Depth=1
                                        ;     Child Loop BB56_999 Depth 2
	v_cmp_gt_i32_e32 vcc, s6, v15
	s_and_b64 s[24:25], s[16:17], vcc
	s_and_saveexec_b64 s[14:15], s[24:25]
	s_cbranch_execz .LBB56_1000
; %bb.998:                              ;   in Loop: Header=BB56_997 Depth=1
	global_load_dword v15, v4, s[22:23]
	s_waitcnt vmcnt(0)
	v_cmp_le_i32_e32 vcc, s6, v15
	s_cbranch_vccnz .LBB56_1000
.LBB56_999:                             ;   Parent Loop BB56_997 Depth=1
                                        ; =>  This Inner Loop Header: Depth=2
	buffer_wbinvl1_vol
	global_load_dword v15, v4, s[22:23]
	s_waitcnt vmcnt(0)
	v_cmp_gt_i32_e32 vcc, s6, v15
	s_cbranch_vccnz .LBB56_999
.LBB56_1000:                            ;   in Loop: Header=BB56_997 Depth=1
	s_or_b64 exec, exec, s[14:15]
	s_sub_i32 s34, s9, s6
	s_lshl_b32 s38, s34, 6
	buffer_wbinvl1_vol
	s_barrier
	s_and_saveexec_b64 s[14:15], s[10:11]
	s_cbranch_execz .LBB56_1005
; %bb.1001:                             ;   in Loop: Header=BB56_997 Depth=1
	s_ashr_i32 s24, s38, 31
	v_mov_b32_e32 v6, s24
	v_or_b32_e32 v5, s38, v8
	v_cmp_le_i64_e32 vcc, s[28:29], v[5:6]
	s_and_saveexec_b64 s[24:25], vcc
	s_xor_b64 s[24:25], exec, s[24:25]
; %bb.1002:                             ;   in Loop: Header=BB56_997 Depth=1
	v_mov_b32_e32 v5, v4
	ds_write_b64 v9, v[4:5]
                                        ; implicit-def: $vgpr5_vgpr6
; %bb.1003:                             ;   in Loop: Header=BB56_997 Depth=1
	s_andn2_saveexec_b64 s[24:25], s[24:25]
	s_cbranch_execz .LBB56_1005
; %bb.1004:                             ;   in Loop: Header=BB56_997 Depth=1
	v_mul_lo_u32 v18, v6, s50
	v_mul_lo_u32 v19, v5, s51
	v_mad_u64_u32 v[5:6], s[24:25], v5, s50, 0
	v_add3_u32 v6, v6, v19, v18
	v_lshlrev_b64 v[5:6], 3, v[5:6]
	v_mov_b32_e32 v18, s37
	v_add_co_u32_e32 v5, vcc, s36, v5
	v_addc_co_u32_e32 v6, vcc, v18, v6, vcc
	global_load_dwordx2 v[5:6], v[5:6], off
	s_waitcnt vmcnt(0)
	ds_write_b64 v9, v[5:6]
.LBB56_1005:                            ;   in Loop: Header=BB56_997 Depth=1
	s_or_b64 exec, exec, s[14:15]
	v_add_u32_e32 v5, s38, v1
	v_ashrrev_i32_e32 v6, 31, v5
	v_lshlrev_b64 v[18:19], 3, v[5:6]
	s_cmp_eq_u32 s34, s35
	v_add_co_u32_e32 v18, vcc, v11, v18
	v_addc_co_u32_e32 v6, vcc, v12, v19, vcc
	v_cmp_gt_i32_e32 vcc, s28, v5
	s_cselect_b64 s[14:15], -1, 0
	s_and_b64 s[38:39], vcc, s[12:13]
	s_waitcnt lgkmcnt(0)
	s_barrier
	s_and_saveexec_b64 s[24:25], s[38:39]
	s_cbranch_execz .LBB56_1007
; %bb.1006:                             ;   in Loop: Header=BB56_997 Depth=1
	v_mov_b32_e32 v19, s7
	v_cndmask_b32_e64 v20, v6, v19, s[14:15]
	v_cndmask_b32_e64 v19, v18, v13, s[14:15]
	flat_load_dwordx2 v[19:20], v[19:20]
	ds_read_b64 v[21:22], v10
	s_waitcnt vmcnt(0) lgkmcnt(0)
	v_mul_f32_e32 v23, v22, v20
	v_mul_f32_e32 v20, v21, v20
	v_fma_f32 v21, v21, v19, -v23
	v_fmac_f32_e32 v20, v22, v19
	v_add_f32_e32 v2, v2, v21
	v_add_f32_e32 v3, v3, v20
.LBB56_1007:                            ;   in Loop: Header=BB56_997 Depth=1
	s_or_b64 exec, exec, s[24:25]
	v_add_u32_e32 v19, 16, v5
	v_cmp_gt_i32_e32 vcc, s28, v19
	s_and_b64 s[38:39], vcc, s[12:13]
	s_and_saveexec_b64 s[24:25], s[38:39]
	s_cbranch_execz .LBB56_1009
; %bb.1008:                             ;   in Loop: Header=BB56_997 Depth=1
	v_add_co_u32_e32 v19, vcc, 0x80, v18
	v_addc_co_u32_e32 v20, vcc, 0, v6, vcc
	v_mov_b32_e32 v21, s7
	v_cndmask_b32_e64 v20, v20, v21, s[14:15]
	v_cndmask_b32_e64 v19, v19, v14, s[14:15]
	flat_load_dwordx2 v[19:20], v[19:20]
	ds_read_b64 v[21:22], v10 offset:128
	s_waitcnt vmcnt(0) lgkmcnt(0)
	v_mul_f32_e32 v23, v22, v20
	v_mul_f32_e32 v20, v21, v20
	v_fma_f32 v21, v21, v19, -v23
	v_fmac_f32_e32 v20, v22, v19
	v_add_f32_e32 v2, v2, v21
	v_add_f32_e32 v3, v3, v20
.LBB56_1009:                            ;   in Loop: Header=BB56_997 Depth=1
	s_or_b64 exec, exec, s[24:25]
	v_add_u32_e32 v19, 32, v5
	v_cmp_gt_i32_e32 vcc, s28, v19
	s_and_b64 s[38:39], vcc, s[12:13]
	s_and_saveexec_b64 s[24:25], s[38:39]
	s_cbranch_execz .LBB56_1011
; %bb.1010:                             ;   in Loop: Header=BB56_997 Depth=1
	v_add_co_u32_e32 v19, vcc, 0x100, v18
	v_addc_co_u32_e32 v20, vcc, 0, v6, vcc
	v_mov_b32_e32 v21, s7
	v_cndmask_b32_e64 v20, v20, v21, s[14:15]
	v_cndmask_b32_e64 v19, v19, v16, s[14:15]
	flat_load_dwordx2 v[19:20], v[19:20]
	ds_read_b64 v[21:22], v10 offset:256
	s_waitcnt vmcnt(0) lgkmcnt(0)
	v_mul_f32_e32 v23, v22, v20
	v_mul_f32_e32 v20, v21, v20
	v_fma_f32 v21, v21, v19, -v23
	v_fmac_f32_e32 v20, v22, v19
	v_add_f32_e32 v2, v2, v21
	v_add_f32_e32 v3, v3, v20
.LBB56_1011:                            ;   in Loop: Header=BB56_997 Depth=1
	s_or_b64 exec, exec, s[24:25]
	v_add_u32_e32 v5, 48, v5
	v_cmp_gt_i32_e32 vcc, s28, v5
	s_and_b64 s[38:39], vcc, s[12:13]
	s_and_saveexec_b64 s[24:25], s[38:39]
	s_cbranch_execz .LBB56_996
; %bb.1012:                             ;   in Loop: Header=BB56_997 Depth=1
	v_add_co_u32_e32 v5, vcc, 0x180, v18
	v_addc_co_u32_e32 v6, vcc, 0, v6, vcc
	v_mov_b32_e32 v18, s7
	v_cndmask_b32_e64 v6, v6, v18, s[14:15]
	v_cndmask_b32_e64 v5, v5, v17, s[14:15]
	flat_load_dwordx2 v[5:6], v[5:6]
	ds_read_b64 v[18:19], v10 offset:384
	s_waitcnt vmcnt(0) lgkmcnt(0)
	v_mul_f32_e32 v20, v19, v6
	v_mul_f32_e32 v6, v18, v6
	v_fma_f32 v18, v18, v5, -v20
	v_fmac_f32_e32 v6, v19, v5
	v_add_f32_e32 v2, v2, v18
	v_add_f32_e32 v3, v3, v6
	s_branch .LBB56_996
.LBB56_1013:
	s_xor_b64 s[6:7], s[30:31], -1
	v_lshlrev_b32_e32 v6, 3, v7
	ds_write_b64 v6, v[2:3] offset:32768
	s_waitcnt lgkmcnt(0)
	s_barrier
	s_and_saveexec_b64 s[8:9], s[4:5]
	s_cbranch_execz .LBB56_1015
; %bb.1014:
	v_lshlrev_b32_e32 v7, 3, v0
	ds_read2st64_b64 v[9:12], v7 offset0:65 offset1:66
	ds_read2st64_b64 v[13:16], v7 offset0:67 offset1:68
	ds_read_b64 v[17:18], v7 offset:40448
	s_waitcnt lgkmcnt(2)
	v_add_f32_e32 v2, v2, v9
	v_add_f32_e32 v3, v3, v10
	;; [unrolled: 1-line block ×4, first 2 shown]
	ds_read2st64_b64 v[2:5], v7 offset0:69 offset1:70
	s_waitcnt lgkmcnt(2)
	v_add_f32_e32 v9, v9, v13
	v_add_f32_e32 v10, v10, v14
	;; [unrolled: 1-line block ×4, first 2 shown]
	s_waitcnt lgkmcnt(0)
	v_add_f32_e32 v2, v9, v2
	ds_read2st64_b64 v[9:12], v7 offset0:71 offset1:72
	v_add_f32_e32 v3, v13, v3
	v_add_f32_e32 v13, v2, v4
	;; [unrolled: 1-line block ×3, first 2 shown]
	ds_read2st64_b64 v[2:5], v7 offset0:73 offset1:74
	s_waitcnt lgkmcnt(1)
	v_add_f32_e32 v9, v13, v9
	v_add_f32_e32 v10, v14, v10
	v_add_f32_e32 v9, v9, v11
	v_add_f32_e32 v13, v10, v12
	s_waitcnt lgkmcnt(0)
	v_add_f32_e32 v2, v9, v2
	ds_read2st64_b64 v[9:12], v7 offset0:75 offset1:76
	v_add_f32_e32 v3, v13, v3
	v_add_f32_e32 v13, v2, v4
	;; [unrolled: 1-line block ×3, first 2 shown]
	ds_read2st64_b64 v[2:5], v7 offset0:77 offset1:78
	s_waitcnt lgkmcnt(1)
	v_add_f32_e32 v7, v13, v9
	v_add_f32_e32 v9, v14, v10
	;; [unrolled: 1-line block ×4, first 2 shown]
	s_waitcnt lgkmcnt(0)
	v_add_f32_e32 v2, v7, v2
	v_add_f32_e32 v3, v9, v3
	;; [unrolled: 1-line block ×6, first 2 shown]
	v_cndmask_b32_e64 v2, -v2, 0, s[20:21]
	v_cndmask_b32_e64 v3, -v3, 0, s[20:21]
.LBB56_1015:
	s_or_b64 exec, exec, s[8:9]
	s_and_b64 vcc, exec, s[52:53]
	s_cbranch_vccnz .LBB56_1028
; %bb.1016:
	v_mov_b32_e32 v4, 0xa000
	v_lshl_or_b32 v7, v1, 3, v4
	s_and_saveexec_b64 s[8:9], s[4:5]
; %bb.1017:
	v_lshl_add_u32 v4, v0, 3, v7
	ds_write_b64 v4, v[2:3]
; %bb.1018:
	s_or_b64 exec, exec, s[8:9]
	v_cmp_le_u32_e32 vcc, v0, v1
	v_mov_b32_e32 v4, 0
	v_mov_b32_e32 v5, 0
	s_waitcnt lgkmcnt(0)
	s_barrier
	s_and_saveexec_b64 s[8:9], vcc
	s_cbranch_execz .LBB56_1020
; %bb.1019:
	ds_read_b64 v[4:5], v6
	ds_read_b64 v[9:10], v7
	s_waitcnt lgkmcnt(0)
	v_mul_f32_e32 v11, v10, v5
	v_mul_f32_e32 v5, v9, v5
	v_fma_f32 v9, v9, v4, -v11
	v_fmac_f32_e32 v5, v10, v4
	v_add_f32_e32 v4, 0, v9
	v_add_f32_e32 v5, 0, v5
.LBB56_1020:
	s_or_b64 exec, exec, s[8:9]
	v_add_u32_e32 v9, 16, v1
	v_cmp_le_u32_e32 vcc, v0, v9
	s_and_saveexec_b64 s[8:9], vcc
	s_cbranch_execz .LBB56_1022
; %bb.1021:
	ds_read_b64 v[9:10], v6 offset:8192
	ds_read_b64 v[11:12], v7 offset:128
	s_waitcnt lgkmcnt(0)
	v_mul_f32_e32 v13, v12, v10
	v_mul_f32_e32 v10, v11, v10
	v_fma_f32 v11, v11, v9, -v13
	v_fmac_f32_e32 v10, v12, v9
	v_add_f32_e32 v4, v4, v11
	v_add_f32_e32 v5, v5, v10
.LBB56_1022:
	s_or_b64 exec, exec, s[8:9]
	v_add_u32_e32 v9, 32, v1
	v_cmp_le_u32_e32 vcc, v0, v9
	s_and_saveexec_b64 s[8:9], vcc
	s_cbranch_execz .LBB56_1024
; %bb.1023:
	ds_read_b64 v[9:10], v6 offset:16384
	ds_read_b64 v[11:12], v7 offset:256
	s_waitcnt lgkmcnt(0)
	v_mul_f32_e32 v13, v12, v10
	v_mul_f32_e32 v10, v11, v10
	v_fma_f32 v11, v11, v9, -v13
	v_fmac_f32_e32 v10, v12, v9
	v_add_f32_e32 v4, v4, v11
	v_add_f32_e32 v5, v5, v10
.LBB56_1024:
	s_or_b64 exec, exec, s[8:9]
	v_add_u32_e32 v1, 48, v1
	v_add_u32_e32 v9, 0x8000, v6
	v_cmp_le_u32_e32 vcc, v0, v1
	s_and_saveexec_b64 s[8:9], vcc
	s_cbranch_execz .LBB56_1026
; %bb.1025:
	ds_read_b64 v[10:11], v6 offset:24576
	ds_read_b64 v[6:7], v7 offset:384
	s_waitcnt lgkmcnt(0)
	v_mul_f32_e32 v1, v7, v11
	v_mul_f32_e32 v11, v6, v11
	v_fma_f32 v1, v6, v10, -v1
	v_fmac_f32_e32 v11, v7, v10
	v_add_f32_e32 v4, v4, v1
	v_add_f32_e32 v5, v5, v11
.LBB56_1026:
	s_or_b64 exec, exec, s[8:9]
	s_mov_b64 s[10:11], 0
	s_mov_b64 s[8:9], 0
	ds_write_b64 v9, v[4:5]
	s_waitcnt lgkmcnt(0)
	s_barrier
                                        ; implicit-def: $vgpr1
                                        ; implicit-def: $vgpr6
	s_and_saveexec_b64 s[12:13], s[4:5]
	s_cbranch_execz .LBB56_1046
; %bb.1027:
	v_lshlrev_b32_e32 v1, 3, v0
	ds_read2st64_b64 v[9:12], v1 offset0:65 offset1:66
	ds_read2st64_b64 v[13:16], v1 offset0:67 offset1:68
	ds_read_b64 v[17:18], v1 offset:40448
	s_mov_b64 s[8:9], exec
	s_waitcnt lgkmcnt(2)
	v_add_f32_e32 v4, v4, v9
	v_add_f32_e32 v5, v5, v10
	;; [unrolled: 1-line block ×4, first 2 shown]
	ds_read2st64_b64 v[4:7], v1 offset0:69 offset1:70
	s_waitcnt lgkmcnt(2)
	v_add_f32_e32 v9, v9, v13
	v_add_f32_e32 v10, v10, v14
	v_add_f32_e32 v9, v9, v15
	v_add_f32_e32 v13, v10, v16
	s_waitcnt lgkmcnt(0)
	v_add_f32_e32 v4, v9, v4
	ds_read2st64_b64 v[9:12], v1 offset0:71 offset1:72
	v_add_f32_e32 v5, v13, v5
	v_add_f32_e32 v13, v4, v6
	;; [unrolled: 1-line block ×3, first 2 shown]
	ds_read2st64_b64 v[4:7], v1 offset0:73 offset1:74
	s_waitcnt lgkmcnt(1)
	v_add_f32_e32 v9, v13, v9
	v_add_f32_e32 v10, v14, v10
	;; [unrolled: 1-line block ×4, first 2 shown]
	s_waitcnt lgkmcnt(0)
	v_add_f32_e32 v4, v9, v4
	ds_read2st64_b64 v[9:12], v1 offset0:75 offset1:76
	v_add_f32_e32 v5, v13, v5
	v_add_f32_e32 v13, v4, v6
	;; [unrolled: 1-line block ×3, first 2 shown]
	ds_read2st64_b64 v[4:7], v1 offset0:77 offset1:78
	s_waitcnt lgkmcnt(1)
	v_add_f32_e32 v1, v13, v9
	v_add_f32_e32 v9, v14, v10
	;; [unrolled: 1-line block ×4, first 2 shown]
	s_waitcnt lgkmcnt(0)
	v_add_f32_e32 v1, v1, v4
	v_add_f32_e32 v4, v9, v5
	;; [unrolled: 1-line block ×6, first 2 shown]
	s_or_b64 exec, exec, s[12:13]
	s_and_b64 vcc, exec, s[10:11]
	s_cbranch_vccnz .LBB56_1029
	s_branch .LBB56_1047
.LBB56_1028:
	s_mov_b64 s[8:9], 0
                                        ; implicit-def: $vgpr1
                                        ; implicit-def: $vgpr6
	s_cbranch_execz .LBB56_1047
.LBB56_1029:
	v_mov_b32_e32 v1, 0x7c00
	v_lshl_add_u32 v1, v0, 3, v1
	v_mov_b32_e32 v5, 63
	v_mov_b32_e32 v4, 0
	s_branch .LBB56_1031
.LBB56_1030:                            ;   in Loop: Header=BB56_1031 Depth=1
	s_or_b64 exec, exec, s[10:11]
	v_subrev_co_u32_e32 v5, vcc, 1, v5
	s_andn2_b64 vcc, exec, vcc
	v_add_u32_e32 v1, 0xfffffc00, v1
	s_barrier
	s_cbranch_vccz .LBB56_1039
.LBB56_1031:                            ; =>This Inner Loop Header: Depth=1
	v_cmp_eq_u32_e32 vcc, v0, v5
	s_and_b64 s[12:13], s[4:5], vcc
	s_and_saveexec_b64 s[10:11], s[12:13]
; %bb.1032:                             ;   in Loop: Header=BB56_1031 Depth=1
	ds_write_b64 v4, v[2:3] offset:41472
; %bb.1033:                             ;   in Loop: Header=BB56_1031 Depth=1
	s_or_b64 exec, exec, s[10:11]
	v_cmp_lt_u32_e32 vcc, v0, v5
	s_and_b64 s[12:13], s[4:5], vcc
	s_waitcnt lgkmcnt(0)
	s_barrier
	s_and_saveexec_b64 s[10:11], s[12:13]
	s_cbranch_execz .LBB56_1035
; %bb.1034:                             ;   in Loop: Header=BB56_1031 Depth=1
	ds_read_b64 v[6:7], v1 offset:512
	ds_read_b64 v[9:10], v4 offset:41472
	s_waitcnt lgkmcnt(0)
	v_mul_f32_e32 v11, v10, v7
	v_mul_f32_e32 v7, v9, v7
	v_fma_f32 v9, v9, v6, -v11
	v_fmac_f32_e32 v7, v10, v6
	v_add_f32_e32 v2, v2, v9
	v_add_f32_e32 v3, v3, v7
.LBB56_1035:                            ;   in Loop: Header=BB56_1031 Depth=1
	s_or_b64 exec, exec, s[10:11]
	v_add_u32_e32 v5, -1, v5
	v_cmp_eq_u32_e32 vcc, v0, v5
	s_and_b64 s[12:13], s[4:5], vcc
	s_barrier
	s_and_saveexec_b64 s[10:11], s[12:13]
; %bb.1036:                             ;   in Loop: Header=BB56_1031 Depth=1
	ds_write_b64 v4, v[2:3] offset:41472
; %bb.1037:                             ;   in Loop: Header=BB56_1031 Depth=1
	s_or_b64 exec, exec, s[10:11]
	v_cmp_lt_u32_e32 vcc, v0, v5
	s_and_b64 s[12:13], s[4:5], vcc
	s_waitcnt lgkmcnt(0)
	s_barrier
	s_and_saveexec_b64 s[10:11], s[12:13]
	s_cbranch_execz .LBB56_1030
; %bb.1038:                             ;   in Loop: Header=BB56_1031 Depth=1
	ds_read_b64 v[6:7], v1
	ds_read_b64 v[9:10], v4 offset:41472
	s_waitcnt lgkmcnt(0)
	v_mul_f32_e32 v11, v10, v7
	v_mul_f32_e32 v7, v9, v7
	v_fma_f32 v9, v9, v6, -v11
	v_fmac_f32_e32 v7, v10, v6
	v_add_f32_e32 v2, v2, v9
	v_add_f32_e32 v3, v3, v7
	s_branch .LBB56_1030
.LBB56_1039:
	s_mov_b64 s[10:11], -1
	s_and_b64 vcc, exec, s[6:7]
	s_cbranch_vccnz .LBB56_1048
; %bb.1040:
	s_andn2_b64 vcc, exec, s[10:11]
	s_cbranch_vccz .LBB56_1049
.LBB56_1041:
	s_and_saveexec_b64 s[4:5], s[8:9]
	s_cbranch_execz .LBB56_1043
.LBB56_1042:
	s_lshl_b32 s6, s33, 6
	s_ashr_i32 s7, s6, 31
	v_mov_b32_e32 v0, s7
	v_add_co_u32_e32 v1, vcc, s6, v8
	v_addc_co_u32_e32 v0, vcc, 0, v0, vcc
	v_mul_lo_u32 v4, v0, s50
	v_mul_lo_u32 v5, v1, s51
	v_mad_u64_u32 v[0:1], s[6:7], v1, s50, 0
	v_add3_u32 v1, v1, v5, v4
	v_lshlrev_b64 v[0:1], 3, v[0:1]
	v_mov_b32_e32 v4, s37
	v_add_co_u32_e32 v0, vcc, s36, v0
	v_addc_co_u32_e32 v1, vcc, v4, v1, vcc
	global_store_dwordx2 v[0:1], v[2:3], off
.LBB56_1043:
	s_or_b64 exec, exec, s[4:5]
	v_cmp_eq_u32_e32 vcc, 0, v8
	s_waitcnt vmcnt(0)
	buffer_wbinvl1_vol
	s_barrier
	s_and_saveexec_b64 s[4:5], vcc
	s_cbranch_execz .LBB56_1045
; %bb.1044:
	s_lshl_b64 s[6:7], s[26:27], 2
	s_add_u32 s6, s18, s6
	s_addc_u32 s7, s19, s7
	v_mov_b32_e32 v0, 0
	global_load_dword v1, v0, s[6:7]
	s_waitcnt vmcnt(0)
	v_add_u32_e32 v1, 1, v1
	global_store_dword v0, v1, s[6:7]
.LBB56_1045:
	s_or_b64 exec, exec, s[4:5]
	s_waitcnt vmcnt(0)
	buffer_wbinvl1_vol
	s_endpgm
.LBB56_1046:
	s_or_b64 exec, exec, s[12:13]
	s_and_b64 vcc, exec, s[10:11]
	s_cbranch_vccnz .LBB56_1029
.LBB56_1047:
	v_mov_b32_e32 v3, v1
	v_mov_b32_e32 v2, v6
	s_and_saveexec_b64 s[4:5], s[8:9]
	s_cbranch_execnz .LBB56_1042
	s_branch .LBB56_1043
.LBB56_1048:
	s_andn2_b64 s[6:7], s[8:9], exec
	s_and_b64 s[8:9], s[4:5], exec
	s_or_b64 s[8:9], s[6:7], s[8:9]
	s_cbranch_execnz .LBB56_1041
.LBB56_1049:
	v_cmp_gt_i32_e32 vcc, s94, v0
	s_and_b64 s[4:5], s[4:5], vcc
	s_andn2_b64 s[6:7], s[8:9], exec
	s_and_b64 s[4:5], s[4:5], exec
	s_or_b64 s[8:9], s[6:7], s[4:5]
	s_and_saveexec_b64 s[4:5], s[8:9]
	s_cbranch_execnz .LBB56_1042
	s_branch .LBB56_1043
.LBB56_1050:
	v_lshlrev_b32_e32 v13, 3, v12
	v_sub_u32_e32 v13, v10, v13
	v_lshl_add_u32 v13, v11, 3, v13
	ds_read_b64 v[13:14], v13 offset:544
	ds_read_b64 v[15:16], v10 offset:8
	s_waitcnt lgkmcnt(0)
	v_mul_f32_e32 v17, v16, v14
	v_mul_f32_e32 v14, v15, v14
	v_fma_f32 v15, v15, v13, -v17
	v_fmac_f32_e32 v14, v16, v13
	v_add_f32_e32 v2, v2, v15
	v_add_f32_e32 v3, v3, v14
	s_or_b64 exec, exec, s[18:19]
	v_cmp_gt_u32_e64 s[14:15], 8, v7
	s_and_saveexec_b64 s[18:19], s[14:15]
	s_cbranch_execz .LBB56_92
.LBB56_1051:
	ds_read_b64 v[13:14], v8 offset:1056
	ds_read_b64 v[15:16], v10 offset:16
	s_waitcnt lgkmcnt(0)
	v_mul_f32_e32 v10, v16, v14
	v_mul_f32_e32 v14, v15, v14
	v_fma_f32 v10, v15, v13, -v10
	v_fmac_f32_e32 v14, v16, v13
	v_add_f32_e32 v2, v2, v10
	v_add_f32_e32 v3, v3, v14
	s_or_b64 exec, exec, s[18:19]
	v_cmp_gt_u32_e64 s[14:15], 4, v7
	s_and_saveexec_b64 s[18:19], s[14:15]
	s_cbranch_execnz .LBB56_93
	s_branch .LBB56_94
.LBB56_1052:
	v_lshlrev_b32_e32 v18, 3, v17
	v_sub_u32_e32 v18, v15, v18
	v_lshl_add_u32 v18, v16, 3, v18
	ds_read_b64 v[18:19], v18 offset:576
	ds_read_b64 v[20:21], v15 offset:8
	s_waitcnt lgkmcnt(0)
	v_mul_f32_e32 v22, v21, v19
	v_mul_f32_e32 v19, v20, v19
	v_fma_f32 v20, v20, v18, -v22
	v_fmac_f32_e32 v19, v21, v18
	v_add_f32_e32 v2, v2, v20
	v_add_f32_e32 v3, v3, v19
	s_or_b64 exec, exec, s[20:21]
	v_cmp_gt_u32_e64 s[18:19], 48, v7
	s_and_saveexec_b64 s[20:21], s[18:19]
	s_cbranch_execz .LBB56_134
.LBB56_1053:
	v_lshlrev_b32_e32 v18, 3, v17
	v_sub_u32_e32 v18, v15, v18
	v_lshl_add_u32 v18, v16, 3, v18
	ds_read_b64 v[18:19], v18 offset:1088
	ds_read_b64 v[20:21], v15 offset:16
	s_waitcnt lgkmcnt(0)
	v_mul_f32_e32 v22, v21, v19
	v_mul_f32_e32 v19, v20, v19
	v_fma_f32 v20, v20, v18, -v22
	v_fmac_f32_e32 v19, v21, v18
	v_add_f32_e32 v2, v2, v20
	v_add_f32_e32 v3, v3, v19
	s_or_b64 exec, exec, s[20:21]
	v_cmp_gt_u32_e64 s[18:19], 40, v7
	s_and_saveexec_b64 s[20:21], s[18:19]
	s_cbranch_execz .LBB56_135
.LBB56_1054:
	v_lshlrev_b32_e32 v18, 3, v17
	v_sub_u32_e32 v18, v15, v18
	v_lshl_add_u32 v18, v16, 3, v18
	ds_read_b64 v[18:19], v18 offset:1600
	ds_read_b64 v[20:21], v15 offset:24
	s_waitcnt lgkmcnt(0)
	v_mul_f32_e32 v22, v21, v19
	v_mul_f32_e32 v19, v20, v19
	v_fma_f32 v20, v20, v18, -v22
	v_fmac_f32_e32 v19, v21, v18
	v_add_f32_e32 v2, v2, v20
	v_add_f32_e32 v3, v3, v19
	s_or_b64 exec, exec, s[20:21]
	v_cmp_gt_u32_e64 s[18:19], 32, v7
	s_and_saveexec_b64 s[20:21], s[18:19]
	s_cbranch_execz .LBB56_136
.LBB56_1055:
	ds_read_b64 v[18:19], v13 offset:2112
	ds_read_b64 v[20:21], v15 offset:32
	s_waitcnt lgkmcnt(0)
	v_mul_f32_e32 v22, v21, v19
	v_mul_f32_e32 v19, v20, v19
	v_fma_f32 v20, v20, v18, -v22
	v_fmac_f32_e32 v19, v21, v18
	v_add_f32_e32 v2, v2, v20
	v_add_f32_e32 v3, v3, v19
	s_or_b64 exec, exec, s[20:21]
	v_cmp_gt_u32_e64 s[18:19], 24, v7
	s_and_saveexec_b64 s[20:21], s[18:19]
	s_cbranch_execz .LBB56_137
.LBB56_1056:
	v_lshlrev_b32_e32 v18, 3, v17
	v_sub_u32_e32 v18, v15, v18
	v_lshl_add_u32 v18, v16, 3, v18
	ds_read_b64 v[18:19], v18 offset:2624
	ds_read_b64 v[20:21], v15 offset:40
	s_waitcnt lgkmcnt(0)
	v_mul_f32_e32 v22, v21, v19
	v_mul_f32_e32 v19, v20, v19
	v_fma_f32 v20, v20, v18, -v22
	v_fmac_f32_e32 v19, v21, v18
	v_add_f32_e32 v2, v2, v20
	v_add_f32_e32 v3, v3, v19
	s_or_b64 exec, exec, s[20:21]
	v_cmp_gt_u32_e64 s[18:19], 16, v7
	s_and_saveexec_b64 s[20:21], s[18:19]
	s_cbranch_execz .LBB56_138
.LBB56_1057:
	ds_read_b64 v[18:19], v13 offset:3136
	ds_read_b64 v[20:21], v15 offset:48
	s_waitcnt lgkmcnt(0)
	v_mul_f32_e32 v15, v21, v19
	v_mul_f32_e32 v19, v20, v19
	v_fma_f32 v15, v20, v18, -v15
	v_fmac_f32_e32 v19, v21, v18
	v_add_f32_e32 v2, v2, v15
	v_add_f32_e32 v3, v3, v19
	s_or_b64 exec, exec, s[20:21]
	v_cmp_gt_u32_e64 s[18:19], 8, v7
	s_and_saveexec_b64 s[20:21], s[18:19]
	s_cbranch_execnz .LBB56_139
	s_branch .LBB56_140
.LBB56_1058:
	v_lshlrev_b32_e32 v19, 3, v12
	v_sub_u32_e32 v19, v18, v19
	v_lshl_add_u32 v19, v11, 3, v19
	ds_read_b64 v[19:20], v19 offset:4704
	ds_read_b64 v[21:22], v18 offset:4168
	s_waitcnt lgkmcnt(0)
	v_mul_f32_e32 v23, v22, v20
	v_mul_f32_e32 v20, v21, v20
	v_fma_f32 v21, v21, v19, -v23
	v_fmac_f32_e32 v20, v22, v19
	v_add_f32_e32 v2, v2, v21
	v_add_f32_e32 v3, v3, v20
	s_or_b64 exec, exec, s[18:19]
	v_cmp_gt_u32_e64 s[14:15], 8, v7
	s_and_saveexec_b64 s[18:19], s[14:15]
	s_cbranch_execz .LBB56_196
.LBB56_1059:
	ds_read_b64 v[19:20], v8 offset:5216
	ds_read_b64 v[21:22], v18 offset:4176
	s_waitcnt lgkmcnt(0)
	v_mul_f32_e32 v18, v22, v20
	v_mul_f32_e32 v20, v21, v20
	v_fma_f32 v18, v21, v19, -v18
	v_fmac_f32_e32 v20, v22, v19
	v_add_f32_e32 v2, v2, v18
	v_add_f32_e32 v3, v3, v20
	s_or_b64 exec, exec, s[18:19]
	v_cmp_gt_u32_e64 s[14:15], 4, v7
	s_and_saveexec_b64 s[18:19], s[14:15]
	s_cbranch_execnz .LBB56_197
	s_branch .LBB56_198
.LBB56_1060:
	v_lshlrev_b32_e32 v23, 3, v19
	v_lshl_add_u32 v23, v21, 3, v23
	ds_read_b64 v[23:24], v23 offset:5760
	ds_read_b64 v[25:26], v20 offset:88
	s_waitcnt lgkmcnt(0)
	v_mul_f32_e32 v27, v26, v24
	v_mul_f32_e32 v24, v25, v24
	v_fma_f32 v25, v25, v23, -v27
	v_fmac_f32_e32 v24, v26, v23
	v_add_f32_e32 v2, v2, v25
	v_add_f32_e32 v3, v3, v24
	s_or_b64 exec, exec, s[24:25]
	v_cmp_gt_u32_e64 s[20:21], 64, v7
	s_and_saveexec_b64 s[24:25], s[20:21]
	s_cbranch_execz .LBB56_258
.LBB56_1061:
	ds_read_b64 v[23:24], v18 offset:6272
	ds_read_b64 v[25:26], v20 offset:96
	s_waitcnt lgkmcnt(0)
	v_mul_f32_e32 v27, v26, v24
	v_mul_f32_e32 v24, v25, v24
	v_fma_f32 v25, v25, v23, -v27
	v_fmac_f32_e32 v24, v26, v23
	v_add_f32_e32 v2, v2, v25
	v_add_f32_e32 v3, v3, v24
	s_or_b64 exec, exec, s[24:25]
	v_cmp_gt_u32_e64 s[20:21], 48, v7
	s_and_saveexec_b64 s[24:25], s[20:21]
	s_cbranch_execz .LBB56_259
.LBB56_1062:
	v_lshlrev_b32_e32 v23, 3, v19
	v_lshl_add_u32 v23, v21, 3, v23
	ds_read_b64 v[23:24], v23 offset:6784
	ds_read_b64 v[25:26], v20 offset:104
	s_waitcnt lgkmcnt(0)
	v_mul_f32_e32 v27, v26, v24
	v_mul_f32_e32 v24, v25, v24
	v_fma_f32 v25, v25, v23, -v27
	v_fmac_f32_e32 v24, v26, v23
	v_add_f32_e32 v2, v2, v25
	v_add_f32_e32 v3, v3, v24
	s_or_b64 exec, exec, s[24:25]
	v_cmp_gt_u32_e64 s[20:21], 32, v7
	s_and_saveexec_b64 s[24:25], s[20:21]
	s_cbranch_execz .LBB56_260
.LBB56_1063:
	ds_read_b64 v[23:24], v18 offset:7296
	ds_read_b64 v[25:26], v20 offset:112
	s_waitcnt lgkmcnt(0)
	v_mul_f32_e32 v20, v26, v24
	v_mul_f32_e32 v24, v25, v24
	v_fma_f32 v20, v25, v23, -v20
	v_fmac_f32_e32 v24, v26, v23
	v_add_f32_e32 v2, v2, v20
	v_add_f32_e32 v3, v3, v24
	s_or_b64 exec, exec, s[24:25]
	v_cmp_gt_u32_e64 s[20:21], 16, v7
	s_and_saveexec_b64 s[24:25], s[20:21]
	s_cbranch_execnz .LBB56_261
	s_branch .LBB56_262
.LBB56_1064:
	v_lshlrev_b32_e32 v24, 3, v12
	v_sub_u32_e32 v24, v23, v24
	v_lshl_add_u32 v24, v11, 3, v24
	ds_read_b64 v[24:25], v24 offset:8864
	ds_read_b64 v[26:27], v23 offset:8328
	s_waitcnt lgkmcnt(0)
	v_mul_f32_e32 v28, v27, v25
	v_mul_f32_e32 v25, v26, v25
	v_fma_f32 v26, v26, v24, -v28
	v_fmac_f32_e32 v25, v27, v24
	v_add_f32_e32 v2, v2, v26
	v_add_f32_e32 v3, v3, v25
	s_or_b64 exec, exec, s[24:25]
	v_cmp_gt_u32_e64 s[18:19], 8, v7
	s_and_saveexec_b64 s[24:25], s[18:19]
	s_cbranch_execz .LBB56_350
.LBB56_1065:
	ds_read_b64 v[24:25], v8 offset:9376
	ds_read_b64 v[26:27], v23 offset:8336
	s_waitcnt lgkmcnt(0)
	v_mul_f32_e32 v23, v27, v25
	v_mul_f32_e32 v25, v26, v25
	v_fma_f32 v23, v26, v24, -v23
	v_fmac_f32_e32 v25, v27, v24
	v_add_f32_e32 v2, v2, v23
	v_add_f32_e32 v3, v3, v25
	s_or_b64 exec, exec, s[24:25]
	v_cmp_gt_u32_e64 s[18:19], 4, v7
	s_and_saveexec_b64 s[24:25], s[18:19]
	s_cbranch_execnz .LBB56_351
	s_branch .LBB56_352
.LBB56_1066:
	v_lshlrev_b32_e32 v24, 3, v17
	v_sub_u32_e32 v24, v23, v24
	v_lshl_add_u32 v24, v16, 3, v24
	ds_read_b64 v[24:25], v24 offset:8896
	ds_read_b64 v[26:27], v23 offset:8328
	s_waitcnt lgkmcnt(0)
	v_mul_f32_e32 v28, v27, v25
	v_mul_f32_e32 v25, v26, v25
	v_fma_f32 v26, v26, v24, -v28
	v_fmac_f32_e32 v25, v27, v24
	v_add_f32_e32 v2, v2, v26
	v_add_f32_e32 v3, v3, v25
	s_or_b64 exec, exec, s[24:25]
	v_cmp_gt_u32_e64 s[18:19], 48, v7
	s_and_saveexec_b64 s[24:25], s[18:19]
	s_cbranch_execz .LBB56_392
.LBB56_1067:
	v_lshlrev_b32_e32 v24, 3, v17
	v_sub_u32_e32 v24, v23, v24
	v_lshl_add_u32 v24, v16, 3, v24
	ds_read_b64 v[24:25], v24 offset:9408
	ds_read_b64 v[26:27], v23 offset:8336
	s_waitcnt lgkmcnt(0)
	v_mul_f32_e32 v28, v27, v25
	v_mul_f32_e32 v25, v26, v25
	v_fma_f32 v26, v26, v24, -v28
	v_fmac_f32_e32 v25, v27, v24
	v_add_f32_e32 v2, v2, v26
	v_add_f32_e32 v3, v3, v25
	s_or_b64 exec, exec, s[24:25]
	v_cmp_gt_u32_e64 s[18:19], 40, v7
	s_and_saveexec_b64 s[24:25], s[18:19]
	s_cbranch_execz .LBB56_393
.LBB56_1068:
	v_lshlrev_b32_e32 v24, 3, v17
	v_sub_u32_e32 v24, v23, v24
	v_lshl_add_u32 v24, v16, 3, v24
	ds_read_b64 v[24:25], v24 offset:9920
	ds_read_b64 v[26:27], v23 offset:8344
	s_waitcnt lgkmcnt(0)
	v_mul_f32_e32 v28, v27, v25
	v_mul_f32_e32 v25, v26, v25
	v_fma_f32 v26, v26, v24, -v28
	v_fmac_f32_e32 v25, v27, v24
	v_add_f32_e32 v2, v2, v26
	v_add_f32_e32 v3, v3, v25
	s_or_b64 exec, exec, s[24:25]
	v_cmp_gt_u32_e64 s[18:19], 32, v7
	s_and_saveexec_b64 s[24:25], s[18:19]
	s_cbranch_execz .LBB56_394
.LBB56_1069:
	ds_read_b64 v[24:25], v13 offset:10432
	ds_read_b64 v[26:27], v23 offset:8352
	s_waitcnt lgkmcnt(0)
	v_mul_f32_e32 v28, v27, v25
	v_mul_f32_e32 v25, v26, v25
	v_fma_f32 v26, v26, v24, -v28
	v_fmac_f32_e32 v25, v27, v24
	v_add_f32_e32 v2, v2, v26
	v_add_f32_e32 v3, v3, v25
	s_or_b64 exec, exec, s[24:25]
	v_cmp_gt_u32_e64 s[18:19], 24, v7
	s_and_saveexec_b64 s[24:25], s[18:19]
	s_cbranch_execz .LBB56_395
.LBB56_1070:
	v_lshlrev_b32_e32 v24, 3, v17
	v_sub_u32_e32 v24, v23, v24
	v_lshl_add_u32 v24, v16, 3, v24
	ds_read_b64 v[24:25], v24 offset:10944
	ds_read_b64 v[26:27], v23 offset:8360
	s_waitcnt lgkmcnt(0)
	v_mul_f32_e32 v28, v27, v25
	v_mul_f32_e32 v25, v26, v25
	v_fma_f32 v26, v26, v24, -v28
	v_fmac_f32_e32 v25, v27, v24
	v_add_f32_e32 v2, v2, v26
	v_add_f32_e32 v3, v3, v25
	s_or_b64 exec, exec, s[24:25]
	v_cmp_gt_u32_e64 s[18:19], 16, v7
	s_and_saveexec_b64 s[24:25], s[18:19]
	s_cbranch_execz .LBB56_396
.LBB56_1071:
	ds_read_b64 v[24:25], v13 offset:11456
	ds_read_b64 v[26:27], v23 offset:8368
	s_waitcnt lgkmcnt(0)
	v_mul_f32_e32 v23, v27, v25
	v_mul_f32_e32 v25, v26, v25
	v_fma_f32 v23, v26, v24, -v23
	v_fmac_f32_e32 v25, v27, v24
	v_add_f32_e32 v2, v2, v23
	v_add_f32_e32 v3, v3, v25
	s_or_b64 exec, exec, s[24:25]
	v_cmp_gt_u32_e64 s[18:19], 8, v7
	s_and_saveexec_b64 s[24:25], s[18:19]
	s_cbranch_execnz .LBB56_397
	s_branch .LBB56_398
.LBB56_1072:
	v_lshlrev_b32_e32 v24, 3, v12
	v_sub_u32_e32 v24, v23, v24
	v_lshl_add_u32 v24, v11, 3, v24
	ds_read_b64 v[24:25], v24 offset:13024
	ds_read_b64 v[26:27], v23 offset:12488
	s_waitcnt lgkmcnt(0)
	v_mul_f32_e32 v28, v27, v25
	v_mul_f32_e32 v25, v26, v25
	v_fma_f32 v26, v26, v24, -v28
	v_fmac_f32_e32 v25, v27, v24
	v_add_f32_e32 v2, v2, v26
	v_add_f32_e32 v3, v3, v25
	s_or_b64 exec, exec, s[24:25]
	v_cmp_gt_u32_e64 s[18:19], 8, v7
	s_and_saveexec_b64 s[24:25], s[18:19]
	s_cbranch_execz .LBB56_454
.LBB56_1073:
	ds_read_b64 v[24:25], v8 offset:13536
	ds_read_b64 v[26:27], v23 offset:12496
	s_waitcnt lgkmcnt(0)
	v_mul_f32_e32 v23, v27, v25
	v_mul_f32_e32 v25, v26, v25
	v_fma_f32 v23, v26, v24, -v23
	v_fmac_f32_e32 v25, v27, v24
	v_add_f32_e32 v2, v2, v23
	v_add_f32_e32 v3, v3, v25
	s_or_b64 exec, exec, s[24:25]
	v_cmp_gt_u32_e64 s[18:19], 4, v7
	s_and_saveexec_b64 s[24:25], s[18:19]
	s_cbranch_execnz .LBB56_455
	s_branch .LBB56_456
.LBB56_1074:
	ds_read_b64 v[29:30], v28 offset:15104
	ds_read_b64 v[31:32], v27 offset:232
	s_waitcnt lgkmcnt(0)
	v_mul_f32_e32 v33, v32, v30
	v_mul_f32_e32 v30, v31, v30
	v_fma_f32 v31, v31, v29, -v33
	v_fmac_f32_e32 v30, v32, v29
	v_add_f32_e32 v2, v2, v31
	v_add_f32_e32 v3, v3, v30
	s_or_b64 exec, exec, s[96:97]
	v_cmp_gt_u32_e64 s[24:25], 64, v7
	s_and_saveexec_b64 s[96:97], s[24:25]
	s_cbranch_execz .LBB56_552
.LBB56_1075:
	ds_read_b64 v[28:29], v28 offset:15616
	ds_read_b64 v[30:31], v27 offset:240
	s_waitcnt lgkmcnt(0)
	v_mul_f32_e32 v32, v31, v29
	v_mul_f32_e32 v29, v30, v29
	v_fma_f32 v30, v30, v28, -v32
	v_fmac_f32_e32 v29, v31, v28
	v_add_f32_e32 v2, v2, v30
	v_add_f32_e32 v3, v3, v29
	s_or_b64 exec, exec, s[96:97]
	v_cmp_gt_u32_e64 s[24:25], 32, v7
	s_and_saveexec_b64 s[96:97], s[24:25]
	s_cbranch_execnz .LBB56_553
	s_branch .LBB56_554
.LBB56_1076:
	v_lshlrev_b32_e32 v24, 3, v12
	v_sub_u32_e32 v24, v23, v24
	v_lshl_add_u32 v24, v11, 3, v24
	ds_read_b64 v[24:25], v24 offset:17184
	ds_read_b64 v[26:27], v23 offset:16648
	s_waitcnt lgkmcnt(0)
	v_mul_f32_e32 v28, v27, v25
	v_mul_f32_e32 v25, v26, v25
	v_fma_f32 v26, v26, v24, -v28
	v_fmac_f32_e32 v25, v27, v24
	v_add_f32_e32 v2, v2, v26
	v_add_f32_e32 v3, v3, v25
	s_or_b64 exec, exec, s[20:21]
	v_cmp_gt_u32_e64 s[16:17], 8, v7
	s_and_saveexec_b64 s[20:21], s[16:17]
	s_cbranch_execz .LBB56_590
.LBB56_1077:
	ds_read_b64 v[24:25], v8 offset:17696
	ds_read_b64 v[26:27], v23 offset:16656
	s_waitcnt lgkmcnt(0)
	v_mul_f32_e32 v23, v27, v25
	v_mul_f32_e32 v25, v26, v25
	v_fma_f32 v23, v26, v24, -v23
	v_fmac_f32_e32 v25, v27, v24
	v_add_f32_e32 v2, v2, v23
	v_add_f32_e32 v3, v3, v25
	s_or_b64 exec, exec, s[20:21]
	v_cmp_gt_u32_e64 s[16:17], 4, v7
	s_and_saveexec_b64 s[20:21], s[16:17]
	s_cbranch_execnz .LBB56_591
	s_branch .LBB56_592
.LBB56_1078:
	v_lshlrev_b32_e32 v24, 3, v17
	v_sub_u32_e32 v24, v23, v24
	v_lshl_add_u32 v24, v16, 3, v24
	ds_read_b64 v[24:25], v24 offset:17216
	ds_read_b64 v[26:27], v23 offset:16648
	s_waitcnt lgkmcnt(0)
	v_mul_f32_e32 v28, v27, v25
	v_mul_f32_e32 v25, v26, v25
	v_fma_f32 v26, v26, v24, -v28
	v_fmac_f32_e32 v25, v27, v24
	v_add_f32_e32 v2, v2, v26
	v_add_f32_e32 v3, v3, v25
	s_or_b64 exec, exec, s[20:21]
	v_cmp_gt_u32_e64 s[16:17], 48, v7
	s_and_saveexec_b64 s[20:21], s[16:17]
	s_cbranch_execz .LBB56_632
.LBB56_1079:
	v_lshlrev_b32_e32 v24, 3, v17
	v_sub_u32_e32 v24, v23, v24
	v_lshl_add_u32 v24, v16, 3, v24
	ds_read_b64 v[24:25], v24 offset:17728
	ds_read_b64 v[26:27], v23 offset:16656
	s_waitcnt lgkmcnt(0)
	v_mul_f32_e32 v28, v27, v25
	v_mul_f32_e32 v25, v26, v25
	v_fma_f32 v26, v26, v24, -v28
	v_fmac_f32_e32 v25, v27, v24
	v_add_f32_e32 v2, v2, v26
	v_add_f32_e32 v3, v3, v25
	s_or_b64 exec, exec, s[20:21]
	v_cmp_gt_u32_e64 s[16:17], 40, v7
	s_and_saveexec_b64 s[20:21], s[16:17]
	s_cbranch_execz .LBB56_633
.LBB56_1080:
	v_lshlrev_b32_e32 v24, 3, v17
	v_sub_u32_e32 v24, v23, v24
	v_lshl_add_u32 v24, v16, 3, v24
	ds_read_b64 v[24:25], v24 offset:18240
	ds_read_b64 v[26:27], v23 offset:16664
	s_waitcnt lgkmcnt(0)
	v_mul_f32_e32 v28, v27, v25
	v_mul_f32_e32 v25, v26, v25
	v_fma_f32 v26, v26, v24, -v28
	v_fmac_f32_e32 v25, v27, v24
	v_add_f32_e32 v2, v2, v26
	v_add_f32_e32 v3, v3, v25
	s_or_b64 exec, exec, s[20:21]
	v_cmp_gt_u32_e64 s[16:17], 32, v7
	s_and_saveexec_b64 s[20:21], s[16:17]
	s_cbranch_execz .LBB56_634
.LBB56_1081:
	ds_read_b64 v[24:25], v13 offset:18752
	ds_read_b64 v[26:27], v23 offset:16672
	s_waitcnt lgkmcnt(0)
	v_mul_f32_e32 v28, v27, v25
	v_mul_f32_e32 v25, v26, v25
	v_fma_f32 v26, v26, v24, -v28
	v_fmac_f32_e32 v25, v27, v24
	v_add_f32_e32 v2, v2, v26
	v_add_f32_e32 v3, v3, v25
	s_or_b64 exec, exec, s[20:21]
	v_cmp_gt_u32_e64 s[16:17], 24, v7
	s_and_saveexec_b64 s[20:21], s[16:17]
	s_cbranch_execz .LBB56_635
.LBB56_1082:
	v_lshlrev_b32_e32 v24, 3, v17
	v_sub_u32_e32 v24, v23, v24
	v_lshl_add_u32 v24, v16, 3, v24
	ds_read_b64 v[24:25], v24 offset:19264
	ds_read_b64 v[26:27], v23 offset:16680
	s_waitcnt lgkmcnt(0)
	v_mul_f32_e32 v28, v27, v25
	v_mul_f32_e32 v25, v26, v25
	v_fma_f32 v26, v26, v24, -v28
	v_fmac_f32_e32 v25, v27, v24
	v_add_f32_e32 v2, v2, v26
	v_add_f32_e32 v3, v3, v25
	s_or_b64 exec, exec, s[20:21]
	v_cmp_gt_u32_e64 s[16:17], 16, v7
	s_and_saveexec_b64 s[20:21], s[16:17]
	s_cbranch_execz .LBB56_636
.LBB56_1083:
	ds_read_b64 v[24:25], v13 offset:19776
	ds_read_b64 v[26:27], v23 offset:16688
	s_waitcnt lgkmcnt(0)
	v_mul_f32_e32 v23, v27, v25
	v_mul_f32_e32 v25, v26, v25
	v_fma_f32 v23, v26, v24, -v23
	v_fmac_f32_e32 v25, v27, v24
	v_add_f32_e32 v2, v2, v23
	v_add_f32_e32 v3, v3, v25
	s_or_b64 exec, exec, s[20:21]
	v_cmp_gt_u32_e64 s[16:17], 8, v7
	s_and_saveexec_b64 s[20:21], s[16:17]
	s_cbranch_execnz .LBB56_637
	s_branch .LBB56_638
.LBB56_1084:
	v_lshlrev_b32_e32 v24, 3, v12
	v_sub_u32_e32 v24, v23, v24
	v_lshl_add_u32 v24, v11, 3, v24
	ds_read_b64 v[24:25], v24 offset:21344
	ds_read_b64 v[26:27], v23 offset:20808
	s_waitcnt lgkmcnt(0)
	v_mul_f32_e32 v28, v27, v25
	v_mul_f32_e32 v25, v26, v25
	v_fma_f32 v26, v26, v24, -v28
	v_fmac_f32_e32 v25, v27, v24
	v_add_f32_e32 v2, v2, v26
	v_add_f32_e32 v3, v3, v25
	s_or_b64 exec, exec, s[20:21]
	v_cmp_gt_u32_e64 s[16:17], 8, v7
	s_and_saveexec_b64 s[20:21], s[16:17]
	s_cbranch_execz .LBB56_694
.LBB56_1085:
	ds_read_b64 v[24:25], v8 offset:21856
	ds_read_b64 v[26:27], v23 offset:20816
	s_waitcnt lgkmcnt(0)
	v_mul_f32_e32 v23, v27, v25
	v_mul_f32_e32 v25, v26, v25
	v_fma_f32 v23, v26, v24, -v23
	v_fmac_f32_e32 v25, v27, v24
	v_add_f32_e32 v2, v2, v23
	v_add_f32_e32 v3, v3, v25
	s_or_b64 exec, exec, s[20:21]
	v_cmp_gt_u32_e64 s[16:17], 4, v7
	s_and_saveexec_b64 s[20:21], s[16:17]
	s_cbranch_execnz .LBB56_695
	s_branch .LBB56_696
.LBB56_1086:
	v_lshlrev_b32_e32 v22, 3, v19
	v_lshl_add_u32 v22, v21, 3, v22
	ds_read_b64 v[24:25], v22 offset:22400
	ds_read_b64 v[26:27], v23 offset:16728
	s_waitcnt lgkmcnt(0)
	v_mul_f32_e32 v22, v27, v25
	v_mul_f32_e32 v25, v26, v25
	v_fma_f32 v22, v26, v24, -v22
	v_fmac_f32_e32 v25, v27, v24
	v_add_f32_e32 v2, v2, v22
	v_add_f32_e32 v3, v3, v25
	s_or_b64 exec, exec, s[20:21]
	v_cmp_gt_u32_e64 s[16:17], 64, v7
	s_and_saveexec_b64 s[20:21], s[16:17]
	s_cbranch_execz .LBB56_756
.LBB56_1087:
	ds_read_b64 v[24:25], v18 offset:22912
	ds_read_b64 v[26:27], v23 offset:16736
	s_waitcnt lgkmcnt(0)
	v_mul_f32_e32 v22, v27, v25
	v_mul_f32_e32 v25, v26, v25
	v_fma_f32 v22, v26, v24, -v22
	v_fmac_f32_e32 v25, v27, v24
	v_add_f32_e32 v2, v2, v22
	v_add_f32_e32 v3, v3, v25
	s_or_b64 exec, exec, s[20:21]
	v_cmp_gt_u32_e64 s[16:17], 48, v7
	s_and_saveexec_b64 s[20:21], s[16:17]
	s_cbranch_execz .LBB56_757
.LBB56_1088:
	v_lshlrev_b32_e32 v22, 3, v19
	v_lshl_add_u32 v21, v21, 3, v22
	ds_read_b64 v[21:22], v21 offset:23424
	ds_read_b64 v[24:25], v23 offset:16744
	s_waitcnt lgkmcnt(0)
	v_mul_f32_e32 v26, v25, v22
	v_mul_f32_e32 v22, v24, v22
	v_fma_f32 v24, v24, v21, -v26
	v_fmac_f32_e32 v22, v25, v21
	v_add_f32_e32 v2, v2, v24
	v_add_f32_e32 v3, v3, v22
	s_or_b64 exec, exec, s[20:21]
	v_cmp_gt_u32_e64 s[16:17], 32, v7
	s_and_saveexec_b64 s[20:21], s[16:17]
	s_cbranch_execz .LBB56_758
.LBB56_1089:
	ds_read_b64 v[21:22], v18 offset:23936
	ds_read_b64 v[23:24], v23 offset:16752
	s_waitcnt lgkmcnt(0)
	v_mul_f32_e32 v25, v24, v22
	v_mul_f32_e32 v22, v23, v22
	v_fma_f32 v23, v23, v21, -v25
	v_fmac_f32_e32 v22, v24, v21
	v_add_f32_e32 v2, v2, v23
	v_add_f32_e32 v3, v3, v22
	s_or_b64 exec, exec, s[20:21]
	v_cmp_gt_u32_e64 s[16:17], 16, v7
	s_and_saveexec_b64 s[20:21], s[16:17]
	s_cbranch_execnz .LBB56_759
	s_branch .LBB56_760
.LBB56_1090:
	v_lshlrev_b32_e32 v19, 3, v12
	v_sub_u32_e32 v19, v18, v19
	v_lshl_add_u32 v19, v11, 3, v19
	ds_read_b64 v[19:20], v19 offset:25504
	ds_read_b64 v[21:22], v18 offset:24968
	s_waitcnt lgkmcnt(0)
	v_mul_f32_e32 v23, v22, v20
	v_mul_f32_e32 v20, v21, v20
	v_fma_f32 v21, v21, v19, -v23
	v_fmac_f32_e32 v20, v22, v19
	v_add_f32_e32 v2, v2, v21
	v_add_f32_e32 v3, v3, v20
	s_or_b64 exec, exec, s[16:17]
	v_cmp_gt_u32_e64 s[14:15], 8, v7
	s_and_saveexec_b64 s[16:17], s[14:15]
	s_cbranch_execz .LBB56_848
.LBB56_1091:
	ds_read_b64 v[19:20], v8 offset:26016
	ds_read_b64 v[21:22], v18 offset:24976
	s_waitcnt lgkmcnt(0)
	v_mul_f32_e32 v18, v22, v20
	v_mul_f32_e32 v20, v21, v20
	v_fma_f32 v18, v21, v19, -v18
	v_fmac_f32_e32 v20, v22, v19
	v_add_f32_e32 v2, v2, v18
	v_add_f32_e32 v3, v3, v20
	s_or_b64 exec, exec, s[16:17]
	v_cmp_gt_u32_e64 s[14:15], 4, v7
	s_and_saveexec_b64 s[16:17], s[14:15]
	s_cbranch_execnz .LBB56_849
	s_branch .LBB56_850
.LBB56_1092:
	v_lshlrev_b32_e32 v19, 3, v17
	v_sub_u32_e32 v19, v18, v19
	v_lshl_add_u32 v19, v16, 3, v19
	ds_read_b64 v[19:20], v19 offset:25536
	ds_read_b64 v[21:22], v18 offset:24968
	s_waitcnt lgkmcnt(0)
	v_mul_f32_e32 v23, v22, v20
	v_mul_f32_e32 v20, v21, v20
	v_fma_f32 v21, v21, v19, -v23
	v_fmac_f32_e32 v20, v22, v19
	v_add_f32_e32 v2, v2, v21
	v_add_f32_e32 v3, v3, v20
	s_or_b64 exec, exec, s[16:17]
	v_cmp_gt_u32_e64 s[14:15], 48, v7
	s_and_saveexec_b64 s[16:17], s[14:15]
	s_cbranch_execz .LBB56_890
.LBB56_1093:
	v_lshlrev_b32_e32 v19, 3, v17
	v_sub_u32_e32 v19, v18, v19
	v_lshl_add_u32 v19, v16, 3, v19
	ds_read_b64 v[19:20], v19 offset:26048
	ds_read_b64 v[21:22], v18 offset:24976
	s_waitcnt lgkmcnt(0)
	v_mul_f32_e32 v23, v22, v20
	v_mul_f32_e32 v20, v21, v20
	v_fma_f32 v21, v21, v19, -v23
	v_fmac_f32_e32 v20, v22, v19
	v_add_f32_e32 v2, v2, v21
	v_add_f32_e32 v3, v3, v20
	s_or_b64 exec, exec, s[16:17]
	v_cmp_gt_u32_e64 s[14:15], 40, v7
	s_and_saveexec_b64 s[16:17], s[14:15]
	s_cbranch_execz .LBB56_891
.LBB56_1094:
	v_lshlrev_b32_e32 v19, 3, v17
	v_sub_u32_e32 v19, v18, v19
	v_lshl_add_u32 v19, v16, 3, v19
	ds_read_b64 v[19:20], v19 offset:26560
	ds_read_b64 v[21:22], v18 offset:24984
	s_waitcnt lgkmcnt(0)
	v_mul_f32_e32 v23, v22, v20
	v_mul_f32_e32 v20, v21, v20
	v_fma_f32 v21, v21, v19, -v23
	v_fmac_f32_e32 v20, v22, v19
	v_add_f32_e32 v2, v2, v21
	v_add_f32_e32 v3, v3, v20
	s_or_b64 exec, exec, s[16:17]
	v_cmp_gt_u32_e64 s[14:15], 32, v7
	s_and_saveexec_b64 s[16:17], s[14:15]
	s_cbranch_execz .LBB56_892
.LBB56_1095:
	ds_read_b64 v[19:20], v13 offset:27072
	ds_read_b64 v[21:22], v18 offset:24992
	s_waitcnt lgkmcnt(0)
	v_mul_f32_e32 v23, v22, v20
	v_mul_f32_e32 v20, v21, v20
	v_fma_f32 v21, v21, v19, -v23
	v_fmac_f32_e32 v20, v22, v19
	v_add_f32_e32 v2, v2, v21
	v_add_f32_e32 v3, v3, v20
	s_or_b64 exec, exec, s[16:17]
	v_cmp_gt_u32_e64 s[14:15], 24, v7
	s_and_saveexec_b64 s[16:17], s[14:15]
	s_cbranch_execz .LBB56_893
.LBB56_1096:
	v_lshlrev_b32_e32 v17, 3, v17
	v_sub_u32_e32 v17, v18, v17
	v_lshl_add_u32 v16, v16, 3, v17
	ds_read_b64 v[16:17], v16 offset:27584
	ds_read_b64 v[19:20], v18 offset:25000
	s_waitcnt lgkmcnt(0)
	v_mul_f32_e32 v21, v20, v17
	v_mul_f32_e32 v17, v19, v17
	v_fma_f32 v19, v19, v16, -v21
	v_fmac_f32_e32 v17, v20, v16
	v_add_f32_e32 v2, v2, v19
	v_add_f32_e32 v3, v3, v17
	s_or_b64 exec, exec, s[16:17]
	v_cmp_gt_u32_e64 s[14:15], 16, v7
	s_and_saveexec_b64 s[16:17], s[14:15]
	s_cbranch_execz .LBB56_894
.LBB56_1097:
	ds_read_b64 v[16:17], v13 offset:28096
	ds_read_b64 v[18:19], v18 offset:25008
	s_waitcnt lgkmcnt(0)
	v_mul_f32_e32 v20, v19, v17
	v_mul_f32_e32 v17, v18, v17
	v_fma_f32 v18, v18, v16, -v20
	v_fmac_f32_e32 v17, v19, v16
	v_add_f32_e32 v2, v2, v18
	v_add_f32_e32 v3, v3, v17
	s_or_b64 exec, exec, s[16:17]
	v_cmp_gt_u32_e64 s[14:15], 8, v7
	s_and_saveexec_b64 s[16:17], s[14:15]
	s_cbranch_execnz .LBB56_895
	s_branch .LBB56_896
.LBB56_1098:
	v_lshlrev_b32_e32 v12, 3, v12
	v_sub_u32_e32 v12, v13, v12
	v_lshl_add_u32 v11, v11, 3, v12
	ds_read_b64 v[11:12], v11 offset:29664
	ds_read_b64 v[14:15], v13 offset:29128
	s_waitcnt lgkmcnt(0)
	v_mul_f32_e32 v16, v15, v12
	v_mul_f32_e32 v12, v14, v12
	v_fma_f32 v14, v14, v11, -v16
	v_fmac_f32_e32 v12, v15, v11
	v_add_f32_e32 v2, v2, v14
	v_add_f32_e32 v3, v3, v12
	s_or_b64 exec, exec, s[14:15]
	v_cmp_gt_u32_e64 s[12:13], 8, v7
	s_and_saveexec_b64 s[14:15], s[12:13]
	s_cbranch_execz .LBB56_952
.LBB56_1099:
	ds_read_b64 v[11:12], v8 offset:30176
	ds_read_b64 v[13:14], v13 offset:29136
	s_waitcnt lgkmcnt(0)
	v_mul_f32_e32 v15, v14, v12
	v_mul_f32_e32 v12, v13, v12
	v_fma_f32 v13, v13, v11, -v15
	v_fmac_f32_e32 v12, v14, v11
	v_add_f32_e32 v2, v2, v13
	v_add_f32_e32 v3, v3, v12
	s_or_b64 exec, exec, s[14:15]
	v_cmp_gt_u32_e64 s[12:13], 4, v7
	s_and_saveexec_b64 s[14:15], s[12:13]
	s_cbranch_execnz .LBB56_953
	s_branch .LBB56_954
	.section	.rodata,"a",@progbits
	.p2align	6, 0x0
	.amdhsa_kernel _ZL19rocblas_trsv_deviceILi64ELi16ELb1ELb1ELb0ELb1E19rocblas_complex_numIfEPKS1_S3_PS1_EviT7_lllT6_T8_lllPii
		.amdhsa_group_segment_fixed_size 41480
		.amdhsa_private_segment_fixed_size 48
		.amdhsa_kernarg_size 352
		.amdhsa_user_sgpr_count 8
		.amdhsa_user_sgpr_private_segment_buffer 1
		.amdhsa_user_sgpr_dispatch_ptr 0
		.amdhsa_user_sgpr_queue_ptr 0
		.amdhsa_user_sgpr_kernarg_segment_ptr 1
		.amdhsa_user_sgpr_dispatch_id 0
		.amdhsa_user_sgpr_flat_scratch_init 1
		.amdhsa_user_sgpr_private_segment_size 0
		.amdhsa_uses_dynamic_stack 0
		.amdhsa_system_sgpr_private_segment_wavefront_offset 1
		.amdhsa_system_sgpr_workgroup_id_x 1
		.amdhsa_system_sgpr_workgroup_id_y 0
		.amdhsa_system_sgpr_workgroup_id_z 1
		.amdhsa_system_sgpr_workgroup_info 0
		.amdhsa_system_vgpr_workitem_id 1
		.amdhsa_next_free_vgpr 49
		.amdhsa_next_free_sgpr 100
		.amdhsa_reserve_vcc 1
		.amdhsa_reserve_flat_scratch 1
		.amdhsa_float_round_mode_32 0
		.amdhsa_float_round_mode_16_64 0
		.amdhsa_float_denorm_mode_32 3
		.amdhsa_float_denorm_mode_16_64 3
		.amdhsa_dx10_clamp 1
		.amdhsa_ieee_mode 1
		.amdhsa_fp16_overflow 0
		.amdhsa_exception_fp_ieee_invalid_op 0
		.amdhsa_exception_fp_denorm_src 0
		.amdhsa_exception_fp_ieee_div_zero 0
		.amdhsa_exception_fp_ieee_overflow 0
		.amdhsa_exception_fp_ieee_underflow 0
		.amdhsa_exception_fp_ieee_inexact 0
		.amdhsa_exception_int_div_zero 0
	.end_amdhsa_kernel
	.section	.text._ZL19rocblas_trsv_deviceILi64ELi16ELb1ELb1ELb0ELb1E19rocblas_complex_numIfEPKS1_S3_PS1_EviT7_lllT6_T8_lllPii,"axG",@progbits,_ZL19rocblas_trsv_deviceILi64ELi16ELb1ELb1ELb0ELb1E19rocblas_complex_numIfEPKS1_S3_PS1_EviT7_lllT6_T8_lllPii,comdat
.Lfunc_end56:
	.size	_ZL19rocblas_trsv_deviceILi64ELi16ELb1ELb1ELb0ELb1E19rocblas_complex_numIfEPKS1_S3_PS1_EviT7_lllT6_T8_lllPii, .Lfunc_end56-_ZL19rocblas_trsv_deviceILi64ELi16ELb1ELb1ELb0ELb1E19rocblas_complex_numIfEPKS1_S3_PS1_EviT7_lllT6_T8_lllPii
                                        ; -- End function
	.set _ZL19rocblas_trsv_deviceILi64ELi16ELb1ELb1ELb0ELb1E19rocblas_complex_numIfEPKS1_S3_PS1_EviT7_lllT6_T8_lllPii.num_vgpr, 35
	.set _ZL19rocblas_trsv_deviceILi64ELi16ELb1ELb1ELb0ELb1E19rocblas_complex_numIfEPKS1_S3_PS1_EviT7_lllT6_T8_lllPii.num_agpr, 0
	.set _ZL19rocblas_trsv_deviceILi64ELi16ELb1ELb1ELb0ELb1E19rocblas_complex_numIfEPKS1_S3_PS1_EviT7_lllT6_T8_lllPii.numbered_sgpr, 100
	.set _ZL19rocblas_trsv_deviceILi64ELi16ELb1ELb1ELb0ELb1E19rocblas_complex_numIfEPKS1_S3_PS1_EviT7_lllT6_T8_lllPii.num_named_barrier, 0
	.set _ZL19rocblas_trsv_deviceILi64ELi16ELb1ELb1ELb0ELb1E19rocblas_complex_numIfEPKS1_S3_PS1_EviT7_lllT6_T8_lllPii.private_seg_size, 48
	.set _ZL19rocblas_trsv_deviceILi64ELi16ELb1ELb1ELb0ELb1E19rocblas_complex_numIfEPKS1_S3_PS1_EviT7_lllT6_T8_lllPii.uses_vcc, 1
	.set _ZL19rocblas_trsv_deviceILi64ELi16ELb1ELb1ELb0ELb1E19rocblas_complex_numIfEPKS1_S3_PS1_EviT7_lllT6_T8_lllPii.uses_flat_scratch, 1
	.set _ZL19rocblas_trsv_deviceILi64ELi16ELb1ELb1ELb0ELb1E19rocblas_complex_numIfEPKS1_S3_PS1_EviT7_lllT6_T8_lllPii.has_dyn_sized_stack, 0
	.set _ZL19rocblas_trsv_deviceILi64ELi16ELb1ELb1ELb0ELb1E19rocblas_complex_numIfEPKS1_S3_PS1_EviT7_lllT6_T8_lllPii.has_recursion, 0
	.set _ZL19rocblas_trsv_deviceILi64ELi16ELb1ELb1ELb0ELb1E19rocblas_complex_numIfEPKS1_S3_PS1_EviT7_lllT6_T8_lllPii.has_indirect_call, 0
	.section	.AMDGPU.csdata,"",@progbits
; Kernel info:
; codeLenInByte = 39280
; TotalNumSgprs: 106
; NumVgprs: 35
; ScratchSize: 48
; MemoryBound: 1
; FloatMode: 240
; IeeeMode: 1
; LDSByteSize: 41480 bytes/workgroup (compile time only)
; SGPRBlocks: 13
; VGPRBlocks: 12
; NumSGPRsForWavesPerEU: 106
; NumVGPRsForWavesPerEU: 49
; Occupancy: 4
; WaveLimiterHint : 0
; COMPUTE_PGM_RSRC2:SCRATCH_EN: 1
; COMPUTE_PGM_RSRC2:USER_SGPR: 8
; COMPUTE_PGM_RSRC2:TRAP_HANDLER: 0
; COMPUTE_PGM_RSRC2:TGID_X_EN: 1
; COMPUTE_PGM_RSRC2:TGID_Y_EN: 0
; COMPUTE_PGM_RSRC2:TGID_Z_EN: 1
; COMPUTE_PGM_RSRC2:TIDIG_COMP_CNT: 1
	.section	.text._ZL19rocblas_trsv_deviceILi64ELi16ELb1ELb1ELb1ELb1E19rocblas_complex_numIfEPKS1_S3_PS1_EviT7_lllT6_T8_lllPii,"axG",@progbits,_ZL19rocblas_trsv_deviceILi64ELi16ELb1ELb1ELb1ELb1E19rocblas_complex_numIfEPKS1_S3_PS1_EviT7_lllT6_T8_lllPii,comdat
	.globl	_ZL19rocblas_trsv_deviceILi64ELi16ELb1ELb1ELb1ELb1E19rocblas_complex_numIfEPKS1_S3_PS1_EviT7_lllT6_T8_lllPii ; -- Begin function _ZL19rocblas_trsv_deviceILi64ELi16ELb1ELb1ELb1ELb1E19rocblas_complex_numIfEPKS1_S3_PS1_EviT7_lllT6_T8_lllPii
	.p2align	8
	.type	_ZL19rocblas_trsv_deviceILi64ELi16ELb1ELb1ELb1ELb1E19rocblas_complex_numIfEPKS1_S3_PS1_EviT7_lllT6_T8_lllPii,@function
_ZL19rocblas_trsv_deviceILi64ELi16ELb1ELb1ELb1ELb1E19rocblas_complex_numIfEPKS1_S3_PS1_EviT7_lllT6_T8_lllPii: ; @_ZL19rocblas_trsv_deviceILi64ELi16ELb1ELb1ELb1ELb1E19rocblas_complex_numIfEPKS1_S3_PS1_EviT7_lllT6_T8_lllPii
; %bb.0:
	s_load_dwordx16 s[36:51], s[4:5], 0x8
	s_load_dword s24, s[4:5], 0x0
	s_mov_b32 s22, s7
	s_mov_b32 s23, 0
	s_waitcnt lgkmcnt(0)
	s_mul_i32 s0, s43, s7
	s_mul_hi_u32 s1, s42, s7
	s_add_i32 s1, s1, s0
	s_mul_i32 s0, s42, s7
	s_load_dword s7, s[4:5], 0x60
	s_lshl_b64 s[0:1], s[0:1], 3
	s_add_u32 s2, s36, s0
	s_addc_u32 s3, s37, s1
	s_lshl_b64 s[0:1], s[38:39], 3
	s_load_dwordx2 s[16:17], s[44:45], 0x0
	s_load_dword s29, s[4:5], 0x6c
	s_add_u32 s91, s2, s0
	s_addc_u32 s28, s3, s1
	s_waitcnt lgkmcnt(0)
	s_add_i32 s7, s7, -1
	s_sub_i32 s33, s7, s6
	s_cmp_eq_u32 s6, 0
	s_cbranch_scc1 .LBB57_10
; %bb.1:
	s_lshl_b32 s2, s33, 6
	v_add_u32_e32 v4, s2, v0
	v_ashrrev_i32_e32 v2, 31, v4
	v_mul_lo_u32 v5, s40, v2
	v_mul_lo_u32 v8, s41, v4
	v_mad_u64_u32 v[2:3], s[0:1], s40, v4, 0
	v_add3_u32 v6, v1, s2, 64
	v_ashrrev_i32_e32 v7, 31, v6
	v_add3_u32 v3, v3, v5, v8
	v_lshlrev_b64 v[2:3], 3, v[2:3]
	v_cmp_gt_i32_e32 vcc, s24, v4
	v_mov_b32_e32 v4, s28
	v_add_co_u32_e64 v5, s[0:1], s91, v2
	v_addc_co_u32_e64 v4, s[0:1], v4, v3, s[0:1]
	v_lshlrev_b64 v[2:3], 3, v[6:7]
	v_add_co_u32_e64 v10, s[0:1], v5, v2
	v_addc_co_u32_e64 v11, s[0:1], v4, v3, s[0:1]
	v_cmp_gt_i32_e64 s[0:1], s24, v6
	s_and_b64 s[2:3], s[0:1], vcc
	v_mov_b32_e32 v2, 0
	v_mov_b32_e32 v4, 0
	;; [unrolled: 1-line block ×3, first 2 shown]
	s_barrier
	s_and_saveexec_b64 s[0:1], s[2:3]
	s_cbranch_execz .LBB57_3
; %bb.2:
	global_load_dwordx2 v[4:5], v[10:11], off
.LBB57_3:
	s_or_b64 exec, exec, s[0:1]
	v_add_u32_e32 v3, 16, v6
	v_cmp_gt_i32_e64 s[0:1], s24, v3
	s_and_b64 s[2:3], s[0:1], vcc
	v_mov_b32_e32 v3, 0
	s_waitcnt vmcnt(0)
	s_barrier
	s_and_saveexec_b64 s[0:1], s[2:3]
	s_cbranch_execz .LBB57_5
; %bb.4:
	global_load_dwordx2 v[2:3], v[10:11], off offset:128
.LBB57_5:
	s_or_b64 exec, exec, s[0:1]
	v_add_u32_e32 v7, 32, v6
	v_cmp_gt_i32_e64 s[0:1], s24, v7
	s_and_b64 s[2:3], s[0:1], vcc
	v_mov_b32_e32 v7, 0
	v_mov_b32_e32 v8, 0
	;; [unrolled: 1-line block ×3, first 2 shown]
	s_waitcnt vmcnt(0)
	s_barrier
	s_and_saveexec_b64 s[0:1], s[2:3]
	s_cbranch_execz .LBB57_7
; %bb.6:
	global_load_dwordx2 v[8:9], v[10:11], off offset:256
.LBB57_7:
	s_or_b64 exec, exec, s[0:1]
	v_add_u32_e32 v6, 48, v6
	v_cmp_gt_i32_e64 s[0:1], s24, v6
	s_and_b64 s[2:3], s[0:1], vcc
	v_mov_b32_e32 v6, 0
	s_waitcnt vmcnt(0)
	s_barrier
	s_and_saveexec_b64 s[0:1], s[2:3]
	s_cbranch_execz .LBB57_9
; %bb.8:
	global_load_dwordx2 v[6:7], v[10:11], off offset:384
.LBB57_9:
	s_or_b64 exec, exec, s[0:1]
	s_branch .LBB57_11
.LBB57_10:
                                        ; implicit-def: $vgpr7
                                        ; implicit-def: $vgpr9
                                        ; implicit-def: $vgpr3
                                        ; implicit-def: $vgpr5
.LBB57_11:
	s_ashr_i32 s25, s24, 31
	s_lshr_b32 s0, s25, 26
	s_add_i32 s0, s24, s0
	s_andn2_b32 s0, s0, 63
	s_sub_i32 s90, s24, s0
	s_add_i32 s0, s24, -1
	s_ashr_i32 s1, s0, 31
	s_lshr_b32 s1, s1, 26
	s_add_i32 s0, s0, s1
	s_ashr_i32 s0, s0, 6
	s_cmp_eq_u32 s0, s33
	s_cselect_b64 s[0:1], -1, 0
	s_cmp_lg_u32 s90, 0
	s_cselect_b64 s[2:3], -1, 0
	s_and_b64 s[26:27], s[2:3], s[0:1]
	s_cmp_lt_i32 s6, 5
	s_cselect_b64 s[2:3], -1, 0
	v_lshlrev_b32_e32 v10, 6, v0
	s_mov_b64 s[12:13], -1
	s_or_b64 s[0:1], s[2:3], s[26:27]
	s_and_b64 vcc, exec, s[26:27]
	v_add_u32_e32 v11, v1, v10
	v_cmp_le_u32_e64 s[8:9], v0, v1
	v_lshl_add_u32 v17, v1, 6, v0
	s_cbranch_vccnz .LBB57_37
; %bb.12:
	s_add_u32 s10, s40, 1
	s_addc_u32 s11, s41, 0
	s_lshl_b32 s12, s33, 6
	s_ashr_i32 s13, s12, 31
	s_mul_hi_u32 s14, s10, s12
	s_mul_i32 s13, s10, s13
	s_add_i32 s13, s14, s13
	s_mul_i32 s11, s11, s12
	s_add_i32 s11, s13, s11
	s_mul_i32 s10, s10, s12
	s_lshl_b64 s[10:11], s[10:11], 3
	s_add_u32 s10, s91, s10
	s_addc_u32 s11, s28, s11
	v_lshlrev_b32_e32 v12, 3, v0
	v_mov_b32_e32 v13, s11
	v_add_co_u32_e32 v12, vcc, s10, v12
	v_addc_co_u32_e32 v13, vcc, 0, v13, vcc
	v_cndmask_b32_e64 v14, v17, v11, s[2:3]
	s_and_saveexec_b64 s[2:3], s[8:9]
	s_xor_b64 s[2:3], exec, s[2:3]
	s_cbranch_execz .LBB57_16
; %bb.13:
	v_or_b32_e32 v15, v1, v0
	v_cmp_gt_u32_e32 vcc, 64, v15
	s_and_saveexec_b64 s[8:9], vcc
; %bb.14:
	v_lshlrev_b32_e32 v16, 3, v14
	v_mov_b32_e32 v14, 0
	v_mov_b32_e32 v15, v14
	ds_write_b64 v16, v[14:15]
; %bb.15:
	s_or_b64 exec, exec, s[8:9]
                                        ; implicit-def: $vgpr14
.LBB57_16:
	s_andn2_saveexec_b64 s[2:3], s[2:3]
	s_cbranch_execz .LBB57_18
; %bb.17:
	v_mad_u64_u32 v[15:16], s[8:9], s40, v1, 0
	v_lshlrev_b32_e32 v14, 3, v14
	v_mad_u64_u32 v[18:19], s[8:9], s41, v1, v[16:17]
	v_mov_b32_e32 v16, v18
	v_lshlrev_b64 v[15:16], 3, v[15:16]
	v_add_co_u32_e32 v15, vcc, v12, v15
	v_addc_co_u32_e32 v16, vcc, v13, v16, vcc
	global_load_dwordx2 v[15:16], v[15:16], off
	s_waitcnt vmcnt(0)
	v_xor_b32_e32 v15, 0x80000000, v15
	ds_write_b64 v14, v[15:16]
.LBB57_18:
	s_or_b64 exec, exec, s[2:3]
	v_add_u32_e32 v15, 16, v1
	v_add_u32_e32 v14, v15, v10
	v_lshl_add_u32 v16, v15, 6, v0
	v_cndmask_b32_e64 v14, v16, v14, s[0:1]
	v_cmp_le_u32_e32 vcc, v0, v15
	s_and_saveexec_b64 s[2:3], vcc
	s_xor_b64 s[2:3], exec, s[2:3]
	s_cbranch_execz .LBB57_22
; %bb.19:
	v_or_b32_e32 v15, v15, v0
	v_cmp_gt_u32_e32 vcc, 64, v15
	s_and_saveexec_b64 s[8:9], vcc
; %bb.20:
	v_lshlrev_b32_e32 v16, 3, v14
	v_mov_b32_e32 v14, 0
	v_mov_b32_e32 v15, v14
	ds_write_b64 v16, v[14:15]
; %bb.21:
	s_or_b64 exec, exec, s[8:9]
                                        ; implicit-def: $vgpr15
                                        ; implicit-def: $vgpr14
.LBB57_22:
	s_andn2_saveexec_b64 s[2:3], s[2:3]
	s_cbranch_execz .LBB57_24
; %bb.23:
	v_mad_u64_u32 v[18:19], s[8:9], s40, v15, 0
	v_lshlrev_b32_e32 v14, 3, v14
	v_mov_b32_e32 v16, v19
	v_mad_u64_u32 v[15:16], s[8:9], s41, v15, v[16:17]
	v_mov_b32_e32 v19, v15
	v_lshlrev_b64 v[15:16], 3, v[18:19]
	v_add_co_u32_e32 v15, vcc, v12, v15
	v_addc_co_u32_e32 v16, vcc, v13, v16, vcc
	global_load_dwordx2 v[15:16], v[15:16], off
	s_waitcnt vmcnt(0)
	v_xor_b32_e32 v15, 0x80000000, v15
	ds_write_b64 v14, v[15:16]
.LBB57_24:
	s_or_b64 exec, exec, s[2:3]
	v_add_u32_e32 v15, 32, v1
	v_add_u32_e32 v14, v15, v10
	v_lshl_add_u32 v16, v15, 6, v0
	v_cndmask_b32_e64 v14, v16, v14, s[0:1]
	v_cmp_le_u32_e32 vcc, v0, v15
	s_and_saveexec_b64 s[2:3], vcc
	s_xor_b64 s[2:3], exec, s[2:3]
	s_cbranch_execz .LBB57_28
; %bb.25:
	v_or_b32_e32 v15, v15, v0
	v_cmp_gt_u32_e32 vcc, 64, v15
	s_and_saveexec_b64 s[8:9], vcc
; %bb.26:
	v_lshlrev_b32_e32 v16, 3, v14
	v_mov_b32_e32 v14, 0
	v_mov_b32_e32 v15, v14
	ds_write_b64 v16, v[14:15]
; %bb.27:
	s_or_b64 exec, exec, s[8:9]
                                        ; implicit-def: $vgpr15
                                        ; implicit-def: $vgpr14
.LBB57_28:
	s_andn2_saveexec_b64 s[2:3], s[2:3]
	s_cbranch_execz .LBB57_30
; %bb.29:
	v_mad_u64_u32 v[18:19], s[8:9], s40, v15, 0
	v_lshlrev_b32_e32 v14, 3, v14
	v_mov_b32_e32 v16, v19
	v_mad_u64_u32 v[15:16], s[8:9], s41, v15, v[16:17]
	v_mov_b32_e32 v19, v15
	v_lshlrev_b64 v[15:16], 3, v[18:19]
	v_add_co_u32_e32 v15, vcc, v12, v15
	v_addc_co_u32_e32 v16, vcc, v13, v16, vcc
	global_load_dwordx2 v[15:16], v[15:16], off
	s_waitcnt vmcnt(0)
	v_xor_b32_e32 v15, 0x80000000, v15
	ds_write_b64 v14, v[15:16]
.LBB57_30:
	s_or_b64 exec, exec, s[2:3]
	v_add_u32_e32 v15, 48, v1
	v_add_u32_e32 v14, v15, v10
	v_lshl_add_u32 v16, v15, 6, v0
	v_cndmask_b32_e64 v14, v16, v14, s[0:1]
	v_cmp_le_u32_e32 vcc, v0, v15
	s_and_saveexec_b64 s[2:3], vcc
	s_xor_b64 s[2:3], exec, s[2:3]
	s_cbranch_execz .LBB57_34
; %bb.31:
	v_or_b32_e32 v12, v15, v0
	v_cmp_gt_u32_e32 vcc, 64, v12
	s_and_saveexec_b64 s[8:9], vcc
; %bb.32:
	v_mov_b32_e32 v12, 0
	v_lshlrev_b32_e32 v14, 3, v14
	v_mov_b32_e32 v13, v12
	ds_write_b64 v14, v[12:13]
; %bb.33:
	s_or_b64 exec, exec, s[8:9]
                                        ; implicit-def: $vgpr15
                                        ; implicit-def: $vgpr12
                                        ; implicit-def: $vgpr13
                                        ; implicit-def: $vgpr14
.LBB57_34:
	s_andn2_saveexec_b64 s[2:3], s[2:3]
	s_cbranch_execz .LBB57_36
; %bb.35:
	v_mad_u64_u32 v[18:19], s[8:9], s40, v15, 0
	v_lshlrev_b32_e32 v14, 3, v14
	v_mov_b32_e32 v16, v19
	v_mad_u64_u32 v[15:16], s[8:9], s41, v15, v[16:17]
	v_mov_b32_e32 v19, v15
	v_lshlrev_b64 v[15:16], 3, v[18:19]
	v_add_co_u32_e32 v12, vcc, v12, v15
	v_addc_co_u32_e32 v13, vcc, v13, v16, vcc
	global_load_dwordx2 v[12:13], v[12:13], off
	s_waitcnt vmcnt(0)
	v_xor_b32_e32 v12, 0x80000000, v12
	ds_write_b64 v14, v[12:13]
.LBB57_36:
	s_or_b64 exec, exec, s[2:3]
	s_mov_b64 s[12:13], 0
.LBB57_37:
	s_xor_b64 s[10:11], s[0:1], -1
	s_and_b64 vcc, exec, s[12:13]
	s_cbranch_vccz .LBB57_63
; %bb.38:
	s_add_u32 s2, s40, 1
	s_addc_u32 s3, s41, 0
	s_lshl_b32 s8, s33, 6
	s_ashr_i32 s9, s8, 31
	s_mul_hi_u32 s12, s2, s8
	s_mul_i32 s9, s2, s9
	s_add_i32 s9, s12, s9
	s_mul_i32 s3, s3, s8
	s_add_i32 s3, s9, s3
	s_mul_i32 s2, s2, s8
	s_lshl_b64 s[2:3], s[2:3], 3
	s_add_u32 s2, s91, s2
	s_addc_u32 s3, s28, s3
	v_lshlrev_b32_e32 v12, 3, v0
	v_mov_b32_e32 v13, s3
	v_add_co_u32_e64 v12, s[2:3], s2, v12
	v_addc_co_u32_e64 v13, s[2:3], 0, v13, s[2:3]
	v_max_i32_e32 v14, v1, v0
	v_cmp_le_u32_e64 s[2:3], v0, v1
	v_cmp_le_i32_e64 s[8:9], s90, v14
	v_cmp_gt_i32_e32 vcc, s90, v0
	s_or_b64 s[2:3], s[8:9], s[2:3]
	s_and_saveexec_b64 s[8:9], s[2:3]
	s_xor_b64 s[8:9], exec, s[8:9]
	s_cbranch_execz .LBB57_42
; %bb.39:
	v_or_b32_e32 v14, v1, v0
	v_cmp_gt_u32_e64 s[2:3], 64, v14
	s_and_saveexec_b64 s[12:13], s[2:3]
; %bb.40:
	v_mov_b32_e32 v14, 0
	v_lshlrev_b32_e32 v11, 3, v11
	v_mov_b32_e32 v15, v14
	ds_write_b64 v11, v[14:15]
; %bb.41:
	s_or_b64 exec, exec, s[12:13]
                                        ; implicit-def: $vgpr11
.LBB57_42:
	s_andn2_saveexec_b64 s[8:9], s[8:9]
	s_cbranch_execz .LBB57_44
; %bb.43:
	v_mad_u64_u32 v[14:15], s[2:3], s40, v1, 0
	v_lshlrev_b32_e32 v11, 3, v11
	v_mad_u64_u32 v[15:16], s[2:3], s41, v1, v[15:16]
	v_lshlrev_b64 v[14:15], 3, v[14:15]
	v_add_co_u32_e64 v14, s[2:3], v12, v14
	v_addc_co_u32_e64 v15, s[2:3], v13, v15, s[2:3]
	global_load_dwordx2 v[14:15], v[14:15], off
	s_waitcnt vmcnt(0)
	v_xor_b32_e32 v14, 0x80000000, v14
	ds_write_b64 v11, v[14:15]
.LBB57_44:
	s_or_b64 exec, exec, s[8:9]
	v_add_u32_e32 v14, 16, v1
	v_cmp_gt_u32_e64 s[2:3], v0, v14
	v_cmp_gt_i32_e64 s[8:9], s90, v14
	s_and_b64 s[2:3], s[2:3], s[8:9]
	v_add_u32_e32 v11, v14, v10
	v_lshl_add_u32 v15, v14, 6, v0
	s_and_b64 s[2:3], s[2:3], vcc
	v_cndmask_b32_e64 v11, v15, v11, s[0:1]
	s_xor_b64 s[2:3], s[2:3], -1
	s_and_saveexec_b64 s[8:9], s[2:3]
	s_xor_b64 s[8:9], exec, s[8:9]
	s_cbranch_execz .LBB57_48
; %bb.45:
	v_or_b32_e32 v14, v14, v0
	v_cmp_gt_u32_e64 s[2:3], 64, v14
	s_and_saveexec_b64 s[12:13], s[2:3]
; %bb.46:
	v_mov_b32_e32 v14, 0
	v_lshlrev_b32_e32 v11, 3, v11
	v_mov_b32_e32 v15, v14
	ds_write_b64 v11, v[14:15]
; %bb.47:
	s_or_b64 exec, exec, s[12:13]
                                        ; implicit-def: $vgpr14
                                        ; implicit-def: $vgpr11
.LBB57_48:
	s_andn2_saveexec_b64 s[8:9], s[8:9]
	s_cbranch_execz .LBB57_50
; %bb.49:
	v_mad_u64_u32 v[15:16], s[2:3], s40, v14, 0
	v_lshlrev_b32_e32 v11, 3, v11
	v_mad_u64_u32 v[18:19], s[2:3], s41, v14, v[16:17]
	v_mov_b32_e32 v16, v18
	v_lshlrev_b64 v[14:15], 3, v[15:16]
	v_add_co_u32_e64 v14, s[2:3], v12, v14
	v_addc_co_u32_e64 v15, s[2:3], v13, v15, s[2:3]
	global_load_dwordx2 v[14:15], v[14:15], off
	s_waitcnt vmcnt(0)
	v_xor_b32_e32 v14, 0x80000000, v14
	ds_write_b64 v11, v[14:15]
.LBB57_50:
	s_or_b64 exec, exec, s[8:9]
	v_add_u32_e32 v14, 32, v1
	v_cmp_gt_u32_e64 s[2:3], v0, v14
	v_cmp_gt_i32_e64 s[8:9], s90, v14
	s_and_b64 s[2:3], s[2:3], s[8:9]
	v_add_u32_e32 v11, v14, v10
	v_lshl_add_u32 v15, v14, 6, v0
	s_and_b64 s[2:3], s[2:3], vcc
	v_cndmask_b32_e64 v11, v15, v11, s[0:1]
	s_xor_b64 s[2:3], s[2:3], -1
	s_and_saveexec_b64 s[8:9], s[2:3]
	s_xor_b64 s[8:9], exec, s[8:9]
	s_cbranch_execz .LBB57_54
; %bb.51:
	v_or_b32_e32 v14, v14, v0
	v_cmp_gt_u32_e64 s[2:3], 64, v14
	s_and_saveexec_b64 s[12:13], s[2:3]
; %bb.52:
	v_mov_b32_e32 v14, 0
	v_lshlrev_b32_e32 v11, 3, v11
	v_mov_b32_e32 v15, v14
	ds_write_b64 v11, v[14:15]
; %bb.53:
	s_or_b64 exec, exec, s[12:13]
                                        ; implicit-def: $vgpr14
                                        ; implicit-def: $vgpr11
.LBB57_54:
	s_andn2_saveexec_b64 s[8:9], s[8:9]
	s_cbranch_execz .LBB57_56
; %bb.55:
	v_mad_u64_u32 v[15:16], s[2:3], s40, v14, 0
	v_lshlrev_b32_e32 v11, 3, v11
	v_mad_u64_u32 v[18:19], s[2:3], s41, v14, v[16:17]
	v_mov_b32_e32 v16, v18
	v_lshlrev_b64 v[14:15], 3, v[15:16]
	v_add_co_u32_e64 v14, s[2:3], v12, v14
	v_addc_co_u32_e64 v15, s[2:3], v13, v15, s[2:3]
	global_load_dwordx2 v[14:15], v[14:15], off
	s_waitcnt vmcnt(0)
	v_xor_b32_e32 v14, 0x80000000, v14
	ds_write_b64 v11, v[14:15]
.LBB57_56:
	s_or_b64 exec, exec, s[8:9]
	v_add_u32_e32 v11, 48, v1
	v_add_u32_e32 v10, v11, v10
	v_lshl_add_u32 v14, v11, 6, v0
	v_cndmask_b32_e64 v10, v14, v10, s[0:1]
	v_cmp_gt_u32_e64 s[0:1], v0, v11
	v_cmp_gt_i32_e64 s[2:3], s90, v11
	s_and_b64 s[0:1], s[0:1], s[2:3]
	s_and_b64 s[0:1], s[0:1], vcc
	s_xor_b64 s[0:1], s[0:1], -1
	s_and_saveexec_b64 s[2:3], s[0:1]
	s_xor_b64 s[0:1], exec, s[2:3]
	s_cbranch_execz .LBB57_60
; %bb.57:
	v_or_b32_e32 v11, v11, v0
	v_cmp_gt_u32_e32 vcc, 64, v11
	s_and_saveexec_b64 s[2:3], vcc
; %bb.58:
	v_lshlrev_b32_e32 v12, 3, v10
	v_mov_b32_e32 v10, 0
	v_mov_b32_e32 v11, v10
	ds_write_b64 v12, v[10:11]
; %bb.59:
	s_or_b64 exec, exec, s[2:3]
                                        ; implicit-def: $vgpr11
                                        ; implicit-def: $vgpr12
                                        ; implicit-def: $vgpr13
                                        ; implicit-def: $vgpr10
.LBB57_60:
	s_andn2_saveexec_b64 s[0:1], s[0:1]
	s_cbranch_execz .LBB57_62
; %bb.61:
	v_mad_u64_u32 v[14:15], s[2:3], s40, v11, 0
	v_lshlrev_b32_e32 v10, 3, v10
	v_mad_u64_u32 v[15:16], s[2:3], s41, v11, v[15:16]
	v_lshlrev_b64 v[14:15], 3, v[14:15]
	v_add_co_u32_e32 v11, vcc, v12, v14
	v_addc_co_u32_e32 v12, vcc, v13, v15, vcc
	global_load_dwordx2 v[11:12], v[11:12], off
	s_waitcnt vmcnt(0)
	v_xor_b32_e32 v11, 0x80000000, v11
	ds_write_b64 v10, v[11:12]
.LBB57_62:
	s_or_b64 exec, exec, s[0:1]
.LBB57_63:
	v_cndmask_b32_e64 v10, 0, 1, s[10:11]
	v_cmp_ne_u32_e64 s[42:43], 1, v10
	s_andn2_b64 vcc, exec, s[10:11]
	s_waitcnt vmcnt(0) lgkmcnt(0)
	s_barrier
	s_cbranch_vccnz .LBB57_985
; %bb.64:
	v_or_b32_e32 v10, v0, v1
	s_mov_b32 s3, 0
	v_cmp_eq_u32_e32 vcc, 0, v10
	s_and_saveexec_b64 s[0:1], vcc
	s_cbranch_execz .LBB57_66
; %bb.65:
	v_mov_b32_e32 v14, 0
	ds_read_b64 v[10:11], v14 offset:8
	s_mov_b32 s2, 1.0
	v_mov_b32_e32 v13, s3
	v_mov_b32_e32 v12, s2
	ds_write_b64 v14, v[12:13] offset:520
	s_waitcnt lgkmcnt(1)
	ds_write2st64_b64 v14, v[12:13], v[10:11] offset1:1
.LBB57_66:
	s_or_b64 exec, exec, s[0:1]
	v_and_b32_e32 v15, 1, v0
	v_lshrrev_b32_e32 v14, 1, v17
	v_lshlrev_b32_e32 v10, 3, v15
	v_cmp_lt_u32_e64 s[8:9], 3, v17
	v_cmp_gt_u32_e64 s[2:3], 4, v17
	v_lshl_or_b32 v12, v14, 9, v10
	v_mov_b32_e32 v11, 0
	v_mov_b32_e32 v10, 0
	s_waitcnt lgkmcnt(0)
	s_barrier
	s_and_saveexec_b64 s[0:1], s[2:3]
	s_cbranch_execz .LBB57_70
; %bb.67:
	v_mul_u32_u24_e32 v13, 0x208, v14
	ds_read_b64 v[10:11], v12 offset:16
	ds_read_b64 v[18:19], v13
	v_cmp_gt_u32_e64 s[10:11], 2, v17
	s_waitcnt lgkmcnt(0)
	v_mul_f32_e32 v13, v19, v11
	v_mul_f32_e32 v11, v18, v11
	v_fma_f32 v13, v18, v10, -v13
	v_fmac_f32_e32 v11, v19, v10
	v_add_f32_e32 v10, 0, v13
	v_add_f32_e32 v11, 0, v11
	s_and_saveexec_b64 s[12:13], s[10:11]
	s_cbranch_execz .LBB57_69
; %bb.68:
	v_lshlrev_b32_e32 v13, 3, v0
	v_mov_b32_e32 v16, 0
	ds_read_b64 v[18:19], v13 offset:528
	ds_read_b64 v[20:21], v16 offset:8
	s_waitcnt lgkmcnt(0)
	v_mul_f32_e32 v13, v21, v19
	v_mul_f32_e32 v16, v20, v19
	v_fma_f32 v13, v20, v18, -v13
	v_fmac_f32_e32 v16, v21, v18
	v_add_f32_e32 v10, v10, v13
	v_add_f32_e32 v11, v11, v16
.LBB57_69:
	s_or_b64 exec, exec, s[12:13]
	v_xor_b32_e32 v10, 0x80000000, v10
	v_xor_b32_e32 v11, 0x80000000, v11
.LBB57_70:
                                        ; implicit-def: $vgpr42 : SGPR spill to VGPR lane
	v_writelane_b32 v42, s16, 0
	v_writelane_b32 v42, s17, 1
	s_or_b64 exec, exec, s[0:1]
	v_mov_b32_e32 v13, 0x8000
	v_cmp_eq_u32_e64 s[10:11], 0, v15
	s_xor_b64 s[0:1], s[8:9], -1
	v_lshl_add_u32 v13, v14, 3, v13
	s_and_b64 s[34:35], s[10:11], s[0:1]
	s_and_saveexec_b64 s[8:9], s[34:35]
; %bb.71:
	ds_write_b64 v13, v[10:11]
; %bb.72:
	s_or_b64 exec, exec, s[8:9]
	v_cmp_ne_u32_e64 s[8:9], 0, v15
	s_and_b64 s[30:31], s[8:9], s[0:1]
	s_waitcnt lgkmcnt(0)
	s_barrier
	s_and_saveexec_b64 s[0:1], s[30:31]
	s_cbranch_execz .LBB57_74
; %bb.73:
	v_mov_b32_e32 v15, 0
	ds_read_b64 v[15:16], v15 offset:1048
	ds_read_b64 v[18:19], v13
	s_waitcnt lgkmcnt(0)
	v_mul_f32_e32 v20, v19, v16
	v_mul_f32_e32 v16, v18, v16
	v_fma_f32 v18, v18, v15, -v20
	v_fmac_f32_e32 v16, v19, v15
	v_add_f32_e32 v10, v10, v18
	v_add_f32_e32 v11, v11, v16
.LBB57_74:
	s_or_b64 exec, exec, s[0:1]
	s_barrier
	s_and_saveexec_b64 s[0:1], s[30:31]
; %bb.75:
	ds_write_b64 v13, v[10:11]
; %bb.76:
	s_or_b64 exec, exec, s[0:1]
	s_waitcnt lgkmcnt(0)
	s_barrier
	s_barrier
	s_and_saveexec_b64 s[0:1], s[2:3]
; %bb.77:
	v_xor_b32_e32 v11, 0x80000000, v11
	v_xor_b32_e32 v10, 0x80000000, v10
	ds_write_b64 v12, v[10:11] offset:16
; %bb.78:
	s_or_b64 exec, exec, s[0:1]
	v_cmp_eq_u32_e64 s[12:13], 0, v1
	v_cmp_gt_u32_e64 s[8:9], 2, v0
	s_and_b64 s[36:37], s[12:13], s[8:9]
	s_waitcnt lgkmcnt(0)
	s_barrier
	s_barrier
	s_and_saveexec_b64 s[0:1], s[36:37]
	s_cbranch_execz .LBB57_80
; %bb.79:
	v_lshlrev_b32_e32 v15, 3, v0
	s_movk_i32 s8, 0x1f8
	v_mad_u32_u24 v16, v0, s8, v15
	ds_read_b64 v[10:11], v16 offset:16
	s_waitcnt lgkmcnt(0)
	ds_write_b64 v15, v[10:11] offset:1024
	ds_read_b64 v[10:11], v16 offset:24
	s_waitcnt lgkmcnt(0)
	ds_write_b64 v15, v[10:11] offset:1536
.LBB57_80:
	s_or_b64 exec, exec, s[0:1]
	s_waitcnt lgkmcnt(0)
	s_barrier
	s_and_saveexec_b64 s[0:1], vcc
	s_cbranch_execz .LBB57_82
; %bb.81:
	v_mov_b32_e32 v18, 0
	ds_read_b64 v[10:11], v18 offset:1048
	s_mov_b64 s[8:9], 0x3f800000
	v_mov_b32_e32 v16, s9
	v_mov_b32_e32 v15, s8
	ds_write_b64 v18, v[15:16] offset:1560
	s_waitcnt lgkmcnt(1)
	ds_write2_b64 v18, v[15:16], v[10:11] offset0:130 offset1:194
.LBB57_82:
	s_or_b64 exec, exec, s[0:1]
	v_and_b32_e32 v19, 3, v0
	v_lshrrev_b32_e32 v20, 2, v17
	v_lshlrev_b32_e32 v16, 3, v19
	v_cmp_lt_u32_e64 s[8:9], 15, v17
	v_cmp_gt_u32_e64 s[18:19], 16, v17
	v_lshl_or_b32 v15, v20, 9, v16
	v_mov_b32_e32 v11, 0
	v_mov_b32_e32 v10, 0
	s_waitcnt lgkmcnt(0)
	s_barrier
	s_and_saveexec_b64 s[0:1], s[18:19]
	s_cbranch_execz .LBB57_88
; %bb.83:
	v_mul_u32_u24_e32 v18, 0x208, v20
	ds_read_b64 v[10:11], v15 offset:32
	ds_read_b64 v[21:22], v18
	v_cmp_gt_u32_e64 s[10:11], 12, v17
	s_waitcnt lgkmcnt(0)
	v_mul_f32_e32 v23, v22, v11
	v_mul_f32_e32 v11, v21, v11
	v_fma_f32 v21, v21, v10, -v23
	v_fmac_f32_e32 v11, v22, v10
	v_add_f32_e32 v10, 0, v21
	v_add_f32_e32 v11, 0, v11
	s_and_saveexec_b64 s[14:15], s[10:11]
	s_cbranch_execnz .LBB57_1059
; %bb.84:
	s_or_b64 exec, exec, s[14:15]
	v_cmp_gt_u32_e64 s[10:11], 8, v17
	s_and_saveexec_b64 s[14:15], s[10:11]
	s_cbranch_execnz .LBB57_1060
.LBB57_85:
	s_or_b64 exec, exec, s[14:15]
	v_cmp_gt_u32_e64 s[10:11], 4, v17
	s_and_saveexec_b64 s[14:15], s[10:11]
	s_cbranch_execz .LBB57_87
.LBB57_86:
	v_lshlrev_b32_e32 v18, 3, v0
	v_mov_b32_e32 v23, 0
	ds_read_b64 v[21:22], v18 offset:1568
	ds_read_b64 v[23:24], v23 offset:24
	s_waitcnt lgkmcnt(0)
	v_mul_f32_e32 v18, v24, v22
	v_mul_f32_e32 v22, v23, v22
	v_fma_f32 v18, v23, v21, -v18
	v_fmac_f32_e32 v22, v24, v21
	v_add_f32_e32 v10, v10, v18
	v_add_f32_e32 v11, v11, v22
.LBB57_87:
	s_or_b64 exec, exec, s[14:15]
	v_xor_b32_e32 v10, 0x80000000, v10
	v_xor_b32_e32 v11, 0x80000000, v11
.LBB57_88:
	v_writelane_b32 v42, s42, 2
	v_writelane_b32 v42, s43, 3
	s_or_b64 exec, exec, s[0:1]
	v_mov_b32_e32 v18, 0x8000
	v_cmp_eq_u32_e64 s[10:11], 0, v19
	s_xor_b64 s[0:1], s[8:9], -1
	v_lshl_add_u32 v18, v20, 3, v18
	s_and_b64 s[42:43], s[10:11], s[0:1]
	s_and_saveexec_b64 s[8:9], s[42:43]
; %bb.89:
	ds_write_b64 v18, v[10:11]
; %bb.90:
	s_or_b64 exec, exec, s[8:9]
	v_cmp_ne_u32_e64 s[8:9], 0, v19
	s_and_b64 s[44:45], s[8:9], s[0:1]
	s_waitcnt lgkmcnt(0)
	s_barrier
	s_and_saveexec_b64 s[8:9], s[44:45]
	s_cbranch_execz .LBB57_92
; %bb.91:
	ds_read_b64 v[21:22], v16 offset:2080
	ds_read_b64 v[23:24], v18
	s_waitcnt lgkmcnt(0)
	v_mul_f32_e32 v25, v24, v22
	v_mul_f32_e32 v22, v23, v22
	v_fma_f32 v23, v23, v21, -v25
	v_fmac_f32_e32 v22, v24, v21
	v_add_f32_e32 v10, v10, v23
	v_add_f32_e32 v11, v11, v22
.LBB57_92:
	s_or_b64 exec, exec, s[8:9]
	v_cmp_eq_u32_e64 s[8:9], 1, v19
	s_and_b64 s[52:53], s[8:9], s[0:1]
	s_barrier
	s_and_saveexec_b64 s[8:9], s[52:53]
; %bb.93:
	ds_write_b64 v18, v[10:11]
; %bb.94:
	s_or_b64 exec, exec, s[8:9]
	v_cmp_lt_u32_e64 s[8:9], 1, v19
	s_and_b64 s[54:55], s[8:9], s[0:1]
	s_waitcnt lgkmcnt(0)
	s_barrier
	s_and_saveexec_b64 s[8:9], s[54:55]
	s_cbranch_execz .LBB57_96
; %bb.95:
	ds_read_b64 v[21:22], v16 offset:2592
	ds_read_b64 v[23:24], v18
	s_waitcnt lgkmcnt(0)
	v_mul_f32_e32 v25, v24, v22
	v_mul_f32_e32 v22, v23, v22
	v_fma_f32 v23, v23, v21, -v25
	v_fmac_f32_e32 v22, v24, v21
	v_add_f32_e32 v10, v10, v23
	v_add_f32_e32 v11, v11, v22
.LBB57_96:
	s_or_b64 exec, exec, s[8:9]
	v_cmp_eq_u32_e64 s[8:9], 2, v19
	s_and_b64 s[56:57], s[8:9], s[0:1]
	s_barrier
	s_and_saveexec_b64 s[8:9], s[56:57]
; %bb.97:
	ds_write_b64 v18, v[10:11]
; %bb.98:
	s_or_b64 exec, exec, s[8:9]
	v_cmp_eq_u32_e64 s[8:9], 3, v19
	s_and_b64 s[38:39], s[8:9], s[0:1]
	s_waitcnt lgkmcnt(0)
	s_barrier
	s_and_saveexec_b64 s[0:1], s[38:39]
	s_cbranch_execz .LBB57_100
; %bb.99:
	v_mov_b32_e32 v21, 0
	ds_read_b64 v[21:22], v21 offset:3128
	ds_read_b64 v[23:24], v18
	s_waitcnt lgkmcnt(0)
	v_mul_f32_e32 v25, v24, v22
	v_mul_f32_e32 v22, v23, v22
	v_fma_f32 v23, v23, v21, -v25
	v_fmac_f32_e32 v22, v24, v21
	v_add_f32_e32 v10, v10, v23
	v_add_f32_e32 v11, v11, v22
.LBB57_100:
	s_or_b64 exec, exec, s[0:1]
	s_barrier
	s_and_saveexec_b64 s[0:1], s[38:39]
; %bb.101:
	ds_write_b64 v18, v[10:11]
; %bb.102:
	s_or_b64 exec, exec, s[0:1]
	s_waitcnt lgkmcnt(0)
	s_barrier
	s_barrier
	s_and_saveexec_b64 s[0:1], s[18:19]
; %bb.103:
	v_xor_b32_e32 v10, 0x80000000, v10
	v_xor_b32_e32 v11, 0x80000000, v11
	ds_write_b64 v15, v[10:11] offset:32
; %bb.104:
	s_or_b64 exec, exec, s[0:1]
	v_cmp_gt_u32_e64 s[8:9], 4, v0
	s_and_b64 s[58:59], s[12:13], s[8:9]
	s_waitcnt lgkmcnt(0)
	s_barrier
	s_barrier
	s_and_saveexec_b64 s[0:1], s[58:59]
	s_cbranch_execz .LBB57_106
; %bb.105:
	v_lshlrev_b32_e32 v21, 9, v0
	ds_read_b64 v[10:11], v21 offset:32
	s_movk_i32 s8, 0xfe08
	v_mad_i32_i24 v22, v0, s8, v21
	s_waitcnt lgkmcnt(0)
	ds_write_b64 v22, v[10:11] offset:2048
	ds_read_b64 v[10:11], v21 offset:40
	s_waitcnt lgkmcnt(0)
	ds_write_b64 v22, v[10:11] offset:2560
	ds_read_b64 v[10:11], v21 offset:48
	;; [unrolled: 3-line block ×3, first 2 shown]
	s_waitcnt lgkmcnt(0)
	ds_write_b64 v22, v[10:11] offset:3584
.LBB57_106:
	s_or_b64 exec, exec, s[0:1]
	s_waitcnt lgkmcnt(0)
	s_barrier
	s_and_saveexec_b64 s[0:1], vcc
	s_cbranch_execz .LBB57_108
; %bb.107:
	v_mov_b32_e32 v23, 0
	ds_read_b64 v[10:11], v23 offset:2088
	s_mov_b64 s[8:9], 0x3f800000
	v_mov_b32_e32 v22, s9
	v_mov_b32_e32 v21, s8
	ds_write_b64 v23, v[21:22] offset:2600
	v_add_u32_e64 v23, 32, 0
	s_waitcnt lgkmcnt(1)
	ds_write2st64_b64 v23, v[21:22], v[10:11] offset0:4 offset1:5
.LBB57_108:
	s_or_b64 exec, exec, s[0:1]
	v_mov_b32_e32 v11, 0
	v_mov_b32_e32 v10, 0
	s_waitcnt lgkmcnt(0)
	s_barrier
	s_and_saveexec_b64 s[0:1], s[2:3]
	s_cbranch_execz .LBB57_112
; %bb.109:
	v_mul_u32_u24_e32 v21, 0x208, v14
	ds_read_b64 v[10:11], v12 offset:2096
	ds_read_b64 v[21:22], v21 offset:2080
	v_cmp_gt_u32_e64 s[8:9], 2, v17
	s_waitcnt lgkmcnt(0)
	v_mul_f32_e32 v23, v22, v11
	v_mul_f32_e32 v11, v21, v11
	v_fma_f32 v21, v21, v10, -v23
	v_fmac_f32_e32 v11, v22, v10
	v_add_f32_e32 v10, 0, v21
	v_add_f32_e32 v11, 0, v11
	s_and_saveexec_b64 s[10:11], s[8:9]
	s_cbranch_execz .LBB57_111
; %bb.110:
	v_lshlrev_b32_e32 v21, 3, v0
	v_mov_b32_e32 v23, 0
	ds_read_b64 v[21:22], v21 offset:2608
	ds_read_b64 v[23:24], v23 offset:2088
	s_waitcnt lgkmcnt(0)
	v_mul_f32_e32 v25, v24, v22
	v_mul_f32_e32 v22, v23, v22
	v_fma_f32 v23, v23, v21, -v25
	v_fmac_f32_e32 v22, v24, v21
	v_add_f32_e32 v10, v10, v23
	v_add_f32_e32 v11, v11, v22
.LBB57_111:
	s_or_b64 exec, exec, s[10:11]
	v_xor_b32_e32 v10, 0x80000000, v10
	v_xor_b32_e32 v11, 0x80000000, v11
.LBB57_112:
	s_or_b64 exec, exec, s[0:1]
	s_and_saveexec_b64 s[0:1], s[34:35]
; %bb.113:
	ds_write_b64 v13, v[10:11]
; %bb.114:
	s_or_b64 exec, exec, s[0:1]
	s_waitcnt lgkmcnt(0)
	s_barrier
	s_and_saveexec_b64 s[0:1], s[30:31]
	s_cbranch_execz .LBB57_116
; %bb.115:
	v_mov_b32_e32 v21, 0
	ds_read_b64 v[21:22], v21 offset:3128
	ds_read_b64 v[23:24], v13
	s_waitcnt lgkmcnt(0)
	v_mul_f32_e32 v25, v24, v22
	v_mul_f32_e32 v22, v23, v22
	v_fma_f32 v23, v23, v21, -v25
	v_fmac_f32_e32 v22, v24, v21
	v_add_f32_e32 v10, v10, v23
	v_add_f32_e32 v11, v11, v22
.LBB57_116:
	s_or_b64 exec, exec, s[0:1]
	s_barrier
	s_and_saveexec_b64 s[0:1], s[30:31]
; %bb.117:
	ds_write_b64 v13, v[10:11]
; %bb.118:
	s_or_b64 exec, exec, s[0:1]
	s_waitcnt lgkmcnt(0)
	s_barrier
	s_barrier
	s_and_saveexec_b64 s[0:1], s[2:3]
; %bb.119:
	v_xor_b32_e32 v11, 0x80000000, v11
	v_xor_b32_e32 v10, 0x80000000, v10
	ds_write_b64 v12, v[10:11] offset:2096
; %bb.120:
	s_or_b64 exec, exec, s[0:1]
	s_waitcnt lgkmcnt(0)
	s_barrier
	s_barrier
	s_and_saveexec_b64 s[0:1], s[36:37]
	s_cbranch_execz .LBB57_122
; %bb.121:
	v_lshlrev_b32_e32 v21, 3, v0
	s_movk_i32 s8, 0x1f8
	v_mad_u32_u24 v22, v0, s8, v21
	ds_read_b64 v[10:11], v22 offset:2096
	s_waitcnt lgkmcnt(0)
	ds_write_b64 v21, v[10:11] offset:3104
	ds_read_b64 v[10:11], v22 offset:2104
	s_waitcnt lgkmcnt(0)
	ds_write_b64 v21, v[10:11] offset:3616
.LBB57_122:
	s_or_b64 exec, exec, s[0:1]
	s_waitcnt lgkmcnt(0)
	s_barrier
	s_and_saveexec_b64 s[0:1], vcc
	s_cbranch_execz .LBB57_124
; %bb.123:
	v_mov_b32_e32 v23, 0
	ds_read_b64 v[10:11], v23 offset:3128
	s_mov_b64 s[8:9], 0x3f800000
	v_mov_b32_e32 v22, s9
	v_mov_b32_e32 v21, s8
	ds_write_b64 v23, v[21:22] offset:3640
	v_add_u32_e64 v23, 48, 0
	s_waitcnt lgkmcnt(1)
	ds_write2st64_b64 v23, v[21:22], v[10:11] offset0:6 offset1:7
.LBB57_124:
	s_or_b64 exec, exec, s[0:1]
	v_and_b32_e32 v24, 7, v0
	v_lshrrev_b32_e32 v25, 3, v17
	v_lshlrev_b32_e32 v22, 3, v24
	v_cmp_lt_u32_e64 s[10:11], 63, v17
	v_cmp_gt_u32_e64 s[8:9], 64, v17
	v_lshl_or_b32 v21, v25, 9, v22
	v_mov_b32_e32 v11, 0
	v_mov_b32_e32 v10, 0
	s_waitcnt lgkmcnt(0)
	s_barrier
	s_and_saveexec_b64 s[0:1], s[8:9]
	s_cbranch_execz .LBB57_134
; %bb.125:
	v_mul_u32_u24_e32 v23, 0x208, v25
	ds_read_b64 v[10:11], v21 offset:64
	ds_read_b64 v[26:27], v23
	v_cmp_gt_u32_e64 s[14:15], 56, v17
	s_waitcnt lgkmcnt(0)
	v_mul_f32_e32 v28, v27, v11
	v_mul_f32_e32 v11, v26, v11
	v_fma_f32 v26, v26, v10, -v28
	v_fmac_f32_e32 v11, v27, v10
	v_add_f32_e32 v10, 0, v26
	v_add_f32_e32 v11, 0, v11
	s_and_saveexec_b64 s[16:17], s[14:15]
	s_cbranch_execnz .LBB57_1061
; %bb.126:
	s_or_b64 exec, exec, s[16:17]
	v_cmp_gt_u32_e64 s[14:15], 48, v17
	s_and_saveexec_b64 s[16:17], s[14:15]
	s_cbranch_execnz .LBB57_1062
.LBB57_127:
	s_or_b64 exec, exec, s[16:17]
	v_cmp_gt_u32_e64 s[14:15], 40, v17
	s_and_saveexec_b64 s[16:17], s[14:15]
	s_cbranch_execnz .LBB57_1063
.LBB57_128:
	s_or_b64 exec, exec, s[16:17]
	v_cmp_gt_u32_e64 s[14:15], 32, v17
	s_and_saveexec_b64 s[16:17], s[14:15]
	s_cbranch_execnz .LBB57_1064
.LBB57_129:
	s_or_b64 exec, exec, s[16:17]
	v_cmp_gt_u32_e64 s[14:15], 24, v17
	s_and_saveexec_b64 s[16:17], s[14:15]
	s_cbranch_execnz .LBB57_1065
.LBB57_130:
	s_or_b64 exec, exec, s[16:17]
	v_cmp_gt_u32_e64 s[14:15], 16, v17
	s_and_saveexec_b64 s[16:17], s[14:15]
	s_cbranch_execnz .LBB57_1066
.LBB57_131:
	s_or_b64 exec, exec, s[16:17]
	v_cmp_gt_u32_e64 s[14:15], 8, v17
	s_and_saveexec_b64 s[16:17], s[14:15]
	s_cbranch_execz .LBB57_133
.LBB57_132:
	v_lshlrev_b32_e32 v23, 3, v0
	v_mov_b32_e32 v28, 0
	ds_read_b64 v[26:27], v23 offset:3648
	ds_read_b64 v[28:29], v28 offset:56
	s_waitcnt lgkmcnt(0)
	v_mul_f32_e32 v23, v29, v27
	v_mul_f32_e32 v27, v28, v27
	v_fma_f32 v23, v28, v26, -v23
	v_fmac_f32_e32 v27, v29, v26
	v_add_f32_e32 v10, v10, v23
	v_add_f32_e32 v11, v11, v27
.LBB57_133:
	s_or_b64 exec, exec, s[16:17]
	v_xor_b32_e32 v10, 0x80000000, v10
	v_xor_b32_e32 v11, 0x80000000, v11
.LBB57_134:
	s_or_b64 exec, exec, s[0:1]
	v_mov_b32_e32 v23, 0x8000
	v_cmp_eq_u32_e64 s[14:15], 0, v24
	s_xor_b64 s[0:1], s[10:11], -1
	v_lshl_add_u32 v23, v25, 3, v23
	s_and_b64 s[62:63], s[14:15], s[0:1]
	s_and_saveexec_b64 s[10:11], s[62:63]
; %bb.135:
	ds_write_b64 v23, v[10:11]
; %bb.136:
	s_or_b64 exec, exec, s[10:11]
	v_cmp_ne_u32_e64 s[10:11], 0, v24
	s_and_b64 s[64:65], s[10:11], s[0:1]
	s_waitcnt lgkmcnt(0)
	s_barrier
	s_and_saveexec_b64 s[10:11], s[64:65]
	s_cbranch_execz .LBB57_138
; %bb.137:
	ds_read_b64 v[26:27], v22 offset:4160
	ds_read_b64 v[28:29], v23
	s_waitcnt lgkmcnt(0)
	v_mul_f32_e32 v30, v29, v27
	v_mul_f32_e32 v27, v28, v27
	v_fma_f32 v28, v28, v26, -v30
	v_fmac_f32_e32 v27, v29, v26
	v_add_f32_e32 v10, v10, v28
	v_add_f32_e32 v11, v11, v27
.LBB57_138:
	s_or_b64 exec, exec, s[10:11]
	v_cmp_eq_u32_e64 s[10:11], 1, v24
	s_and_b64 s[66:67], s[10:11], s[0:1]
	s_barrier
	s_and_saveexec_b64 s[10:11], s[66:67]
; %bb.139:
	ds_write_b64 v23, v[10:11]
; %bb.140:
	s_or_b64 exec, exec, s[10:11]
	v_cmp_lt_u32_e64 s[10:11], 1, v24
	s_and_b64 s[68:69], s[10:11], s[0:1]
	s_waitcnt lgkmcnt(0)
	s_barrier
	s_and_saveexec_b64 s[10:11], s[68:69]
	s_cbranch_execz .LBB57_142
; %bb.141:
	ds_read_b64 v[26:27], v22 offset:4672
	ds_read_b64 v[28:29], v23
	s_waitcnt lgkmcnt(0)
	v_mul_f32_e32 v30, v29, v27
	v_mul_f32_e32 v27, v28, v27
	v_fma_f32 v28, v28, v26, -v30
	v_fmac_f32_e32 v27, v29, v26
	v_add_f32_e32 v10, v10, v28
	v_add_f32_e32 v11, v11, v27
.LBB57_142:
	s_or_b64 exec, exec, s[10:11]
	v_cmp_eq_u32_e64 s[10:11], 2, v24
	s_and_b64 s[70:71], s[10:11], s[0:1]
	s_barrier
	s_and_saveexec_b64 s[10:11], s[70:71]
; %bb.143:
	ds_write_b64 v23, v[10:11]
; %bb.144:
	s_or_b64 exec, exec, s[10:11]
	v_cmp_lt_u32_e64 s[10:11], 2, v24
	;; [unrolled: 26-line block ×5, first 2 shown]
	s_and_b64 s[84:85], s[10:11], s[0:1]
	s_waitcnt lgkmcnt(0)
	s_barrier
	s_and_saveexec_b64 s[10:11], s[84:85]
	s_cbranch_execz .LBB57_158
; %bb.157:
	ds_read_b64 v[26:27], v22 offset:6720
	ds_read_b64 v[28:29], v23
	s_waitcnt lgkmcnt(0)
	v_mul_f32_e32 v30, v29, v27
	v_mul_f32_e32 v27, v28, v27
	v_fma_f32 v28, v28, v26, -v30
	v_fmac_f32_e32 v27, v29, v26
	v_add_f32_e32 v10, v10, v28
	v_add_f32_e32 v11, v11, v27
.LBB57_158:
	s_or_b64 exec, exec, s[10:11]
	v_cmp_eq_u32_e64 s[10:11], 6, v24
	s_and_b64 s[86:87], s[10:11], s[0:1]
	s_barrier
	s_and_saveexec_b64 s[10:11], s[86:87]
; %bb.159:
	ds_write_b64 v23, v[10:11]
; %bb.160:
	s_or_b64 exec, exec, s[10:11]
	v_cmp_eq_u32_e64 s[10:11], 7, v24
	s_and_b64 s[60:61], s[10:11], s[0:1]
	s_waitcnt lgkmcnt(0)
	s_barrier
	s_and_saveexec_b64 s[0:1], s[60:61]
	s_cbranch_execz .LBB57_162
; %bb.161:
	v_mov_b32_e32 v26, 0
	ds_read_b64 v[26:27], v26 offset:7288
	ds_read_b64 v[28:29], v23
	s_waitcnt lgkmcnt(0)
	v_mul_f32_e32 v30, v29, v27
	v_mul_f32_e32 v27, v28, v27
	v_fma_f32 v28, v28, v26, -v30
	v_fmac_f32_e32 v27, v29, v26
	v_add_f32_e32 v10, v10, v28
	v_add_f32_e32 v11, v11, v27
.LBB57_162:
	s_or_b64 exec, exec, s[0:1]
	s_barrier
	s_and_saveexec_b64 s[0:1], s[60:61]
; %bb.163:
	ds_write_b64 v23, v[10:11]
; %bb.164:
	s_or_b64 exec, exec, s[0:1]
	s_waitcnt lgkmcnt(0)
	s_barrier
	s_barrier
	s_and_saveexec_b64 s[0:1], s[8:9]
; %bb.165:
	v_xor_b32_e32 v11, 0x80000000, v11
	v_xor_b32_e32 v10, 0x80000000, v10
	ds_write_b64 v21, v[10:11] offset:64
; %bb.166:
	s_or_b64 exec, exec, s[0:1]
	v_cmp_gt_u32_e64 s[10:11], 8, v0
	s_and_b64 s[88:89], s[12:13], s[10:11]
	s_waitcnt lgkmcnt(0)
	s_barrier
	s_barrier
	s_and_saveexec_b64 s[0:1], s[88:89]
	s_cbranch_execz .LBB57_168
; %bb.167:
	v_lshlrev_b32_e32 v26, 9, v0
	ds_read_b64 v[10:11], v26 offset:64
	s_movk_i32 s10, 0xfe08
	v_mad_i32_i24 v27, v0, s10, v26
	s_waitcnt lgkmcnt(0)
	ds_write_b64 v27, v[10:11] offset:4096
	ds_read_b64 v[10:11], v26 offset:72
	s_waitcnt lgkmcnt(0)
	ds_write_b64 v27, v[10:11] offset:4608
	ds_read_b64 v[10:11], v26 offset:80
	;; [unrolled: 3-line block ×7, first 2 shown]
	s_waitcnt lgkmcnt(0)
	ds_write_b64 v27, v[10:11] offset:7680
.LBB57_168:
	s_or_b64 exec, exec, s[0:1]
	s_waitcnt lgkmcnt(0)
	s_barrier
	s_and_saveexec_b64 s[0:1], vcc
	s_cbranch_execz .LBB57_170
; %bb.169:
	v_mov_b32_e32 v28, 0
	ds_read_b64 v[10:11], v28 offset:4168
	s_mov_b64 s[10:11], 0x3f800000
	v_mov_b32_e32 v27, s11
	v_mov_b32_e32 v26, s10
	ds_write_b64 v28, v[26:27] offset:4680
	v_add_u32_e64 v28, 64, 0
	s_waitcnt lgkmcnt(1)
	ds_write2st64_b64 v28, v[26:27], v[10:11] offset0:8 offset1:9
.LBB57_170:
	s_or_b64 exec, exec, s[0:1]
	v_mov_b32_e32 v11, 0
	v_mov_b32_e32 v10, 0
	s_waitcnt lgkmcnt(0)
	s_barrier
	s_and_saveexec_b64 s[0:1], s[2:3]
	s_cbranch_execz .LBB57_174
; %bb.171:
	v_mul_u32_u24_e32 v26, 0x208, v14
	ds_read_b64 v[10:11], v12 offset:4176
	ds_read_b64 v[26:27], v26 offset:4160
	v_cmp_gt_u32_e64 s[10:11], 2, v17
	s_waitcnt lgkmcnt(0)
	v_mul_f32_e32 v28, v27, v11
	v_mul_f32_e32 v11, v26, v11
	v_fma_f32 v26, v26, v10, -v28
	v_fmac_f32_e32 v11, v27, v10
	v_add_f32_e32 v10, 0, v26
	v_add_f32_e32 v11, 0, v11
	s_and_saveexec_b64 s[14:15], s[10:11]
	s_cbranch_execz .LBB57_173
; %bb.172:
	v_lshlrev_b32_e32 v26, 3, v0
	v_mov_b32_e32 v28, 0
	ds_read_b64 v[26:27], v26 offset:4688
	ds_read_b64 v[28:29], v28 offset:4168
	s_waitcnt lgkmcnt(0)
	v_mul_f32_e32 v30, v29, v27
	v_mul_f32_e32 v27, v28, v27
	v_fma_f32 v28, v28, v26, -v30
	v_fmac_f32_e32 v27, v29, v26
	v_add_f32_e32 v10, v10, v28
	v_add_f32_e32 v11, v11, v27
.LBB57_173:
	s_or_b64 exec, exec, s[14:15]
	v_xor_b32_e32 v10, 0x80000000, v10
	v_xor_b32_e32 v11, 0x80000000, v11
.LBB57_174:
	s_or_b64 exec, exec, s[0:1]
	s_and_saveexec_b64 s[0:1], s[34:35]
; %bb.175:
	ds_write_b64 v13, v[10:11]
; %bb.176:
	s_or_b64 exec, exec, s[0:1]
	s_waitcnt lgkmcnt(0)
	s_barrier
	s_and_saveexec_b64 s[0:1], s[30:31]
	s_cbranch_execz .LBB57_178
; %bb.177:
	v_mov_b32_e32 v26, 0
	ds_read_b64 v[26:27], v26 offset:5208
	ds_read_b64 v[28:29], v13
	s_waitcnt lgkmcnt(0)
	v_mul_f32_e32 v30, v29, v27
	v_mul_f32_e32 v27, v28, v27
	v_fma_f32 v28, v28, v26, -v30
	v_fmac_f32_e32 v27, v29, v26
	v_add_f32_e32 v10, v10, v28
	v_add_f32_e32 v11, v11, v27
.LBB57_178:
	s_or_b64 exec, exec, s[0:1]
	s_barrier
	s_and_saveexec_b64 s[0:1], s[30:31]
; %bb.179:
	ds_write_b64 v13, v[10:11]
; %bb.180:
	s_or_b64 exec, exec, s[0:1]
	s_waitcnt lgkmcnt(0)
	s_barrier
	s_barrier
	s_and_saveexec_b64 s[0:1], s[2:3]
; %bb.181:
	v_xor_b32_e32 v11, 0x80000000, v11
	v_xor_b32_e32 v10, 0x80000000, v10
	ds_write_b64 v12, v[10:11] offset:4176
; %bb.182:
	s_or_b64 exec, exec, s[0:1]
	s_waitcnt lgkmcnt(0)
	s_barrier
	s_barrier
	s_and_saveexec_b64 s[0:1], s[36:37]
	s_cbranch_execz .LBB57_184
; %bb.183:
	v_lshlrev_b32_e32 v26, 3, v0
	s_movk_i32 s10, 0x1f8
	v_mad_u32_u24 v27, v0, s10, v26
	ds_read_b64 v[10:11], v27 offset:4176
	s_waitcnt lgkmcnt(0)
	ds_write_b64 v26, v[10:11] offset:5184
	ds_read_b64 v[10:11], v27 offset:4184
	s_waitcnt lgkmcnt(0)
	ds_write_b64 v26, v[10:11] offset:5696
.LBB57_184:
	s_or_b64 exec, exec, s[0:1]
	s_waitcnt lgkmcnt(0)
	s_barrier
	s_and_saveexec_b64 s[0:1], vcc
	s_cbranch_execz .LBB57_186
; %bb.185:
	v_mov_b32_e32 v28, 0
	ds_read_b64 v[10:11], v28 offset:5208
	s_mov_b64 s[10:11], 0x3f800000
	v_mov_b32_e32 v27, s11
	v_mov_b32_e32 v26, s10
	s_movk_i32 s10, 0x50
	ds_write_b64 v28, v[26:27] offset:5720
	v_add_u32_e64 v28, s10, 0
	s_waitcnt lgkmcnt(1)
	ds_write2st64_b64 v28, v[26:27], v[10:11] offset0:10 offset1:11
.LBB57_186:
	s_or_b64 exec, exec, s[0:1]
	v_mov_b32_e32 v11, 0
	v_mov_b32_e32 v10, 0
	s_waitcnt lgkmcnt(0)
	s_barrier
	s_and_saveexec_b64 s[0:1], s[18:19]
	s_cbranch_execz .LBB57_192
; %bb.187:
	v_mul_u32_u24_e32 v26, 0x208, v20
	ds_read_b64 v[10:11], v15 offset:4192
	ds_read_b64 v[27:28], v26 offset:4160
	v_cmp_gt_u32_e64 s[10:11], 12, v17
	s_waitcnt lgkmcnt(0)
	v_mul_f32_e32 v29, v28, v11
	v_mul_f32_e32 v11, v27, v11
	v_fma_f32 v27, v27, v10, -v29
	v_fmac_f32_e32 v11, v28, v10
	v_add_f32_e32 v10, 0, v27
	v_add_f32_e32 v11, 0, v11
	s_and_saveexec_b64 s[14:15], s[10:11]
	s_cbranch_execnz .LBB57_1067
; %bb.188:
	s_or_b64 exec, exec, s[14:15]
	v_cmp_gt_u32_e64 s[10:11], 8, v17
	s_and_saveexec_b64 s[14:15], s[10:11]
	s_cbranch_execnz .LBB57_1068
.LBB57_189:
	s_or_b64 exec, exec, s[14:15]
	v_cmp_gt_u32_e64 s[10:11], 4, v17
	s_and_saveexec_b64 s[14:15], s[10:11]
	s_cbranch_execz .LBB57_191
.LBB57_190:
	v_lshlrev_b32_e32 v26, 3, v0
	v_mov_b32_e32 v28, 0
	ds_read_b64 v[26:27], v26 offset:5728
	ds_read_b64 v[28:29], v28 offset:4184
	s_waitcnt lgkmcnt(0)
	v_mul_f32_e32 v30, v29, v27
	v_mul_f32_e32 v27, v28, v27
	v_fma_f32 v28, v28, v26, -v30
	v_fmac_f32_e32 v27, v29, v26
	v_add_f32_e32 v10, v10, v28
	v_add_f32_e32 v11, v11, v27
.LBB57_191:
	s_or_b64 exec, exec, s[14:15]
	v_xor_b32_e32 v10, 0x80000000, v10
	v_xor_b32_e32 v11, 0x80000000, v11
.LBB57_192:
	s_or_b64 exec, exec, s[0:1]
	s_and_saveexec_b64 s[0:1], s[42:43]
; %bb.193:
	ds_write_b64 v18, v[10:11]
; %bb.194:
	s_or_b64 exec, exec, s[0:1]
	s_waitcnt lgkmcnt(0)
	s_barrier
	s_and_saveexec_b64 s[0:1], s[44:45]
	s_cbranch_execz .LBB57_196
; %bb.195:
	ds_read_b64 v[26:27], v16 offset:6240
	ds_read_b64 v[28:29], v18
	s_waitcnt lgkmcnt(0)
	v_mul_f32_e32 v30, v29, v27
	v_mul_f32_e32 v27, v28, v27
	v_fma_f32 v28, v28, v26, -v30
	v_fmac_f32_e32 v27, v29, v26
	v_add_f32_e32 v10, v10, v28
	v_add_f32_e32 v11, v11, v27
.LBB57_196:
	s_or_b64 exec, exec, s[0:1]
	s_barrier
	s_and_saveexec_b64 s[0:1], s[52:53]
; %bb.197:
	ds_write_b64 v18, v[10:11]
; %bb.198:
	s_or_b64 exec, exec, s[0:1]
	s_waitcnt lgkmcnt(0)
	s_barrier
	s_and_saveexec_b64 s[0:1], s[54:55]
	s_cbranch_execz .LBB57_200
; %bb.199:
	ds_read_b64 v[26:27], v16 offset:6752
	ds_read_b64 v[28:29], v18
	s_waitcnt lgkmcnt(0)
	v_mul_f32_e32 v30, v29, v27
	v_mul_f32_e32 v27, v28, v27
	v_fma_f32 v28, v28, v26, -v30
	v_fmac_f32_e32 v27, v29, v26
	v_add_f32_e32 v10, v10, v28
	v_add_f32_e32 v11, v11, v27
.LBB57_200:
	s_or_b64 exec, exec, s[0:1]
	s_barrier
	s_and_saveexec_b64 s[0:1], s[56:57]
; %bb.201:
	ds_write_b64 v18, v[10:11]
; %bb.202:
	s_or_b64 exec, exec, s[0:1]
	s_waitcnt lgkmcnt(0)
	s_barrier
	s_and_saveexec_b64 s[0:1], s[38:39]
	s_cbranch_execz .LBB57_204
; %bb.203:
	v_mov_b32_e32 v26, 0
	ds_read_b64 v[26:27], v26 offset:7288
	ds_read_b64 v[28:29], v18
	s_waitcnt lgkmcnt(0)
	v_mul_f32_e32 v30, v29, v27
	v_mul_f32_e32 v27, v28, v27
	v_fma_f32 v28, v28, v26, -v30
	v_fmac_f32_e32 v27, v29, v26
	v_add_f32_e32 v10, v10, v28
	v_add_f32_e32 v11, v11, v27
.LBB57_204:
	s_or_b64 exec, exec, s[0:1]
	s_barrier
	s_and_saveexec_b64 s[0:1], s[38:39]
; %bb.205:
	ds_write_b64 v18, v[10:11]
; %bb.206:
	s_or_b64 exec, exec, s[0:1]
	s_waitcnt lgkmcnt(0)
	s_barrier
	s_barrier
	s_and_saveexec_b64 s[0:1], s[18:19]
; %bb.207:
	v_xor_b32_e32 v10, 0x80000000, v10
	v_xor_b32_e32 v11, 0x80000000, v11
	ds_write_b64 v15, v[10:11] offset:4192
; %bb.208:
	s_or_b64 exec, exec, s[0:1]
	s_waitcnt lgkmcnt(0)
	s_barrier
	s_barrier
	s_and_saveexec_b64 s[0:1], s[58:59]
	s_cbranch_execz .LBB57_210
; %bb.209:
	v_lshlrev_b32_e32 v26, 9, v0
	ds_read_b64 v[10:11], v26 offset:4192
	s_movk_i32 s10, 0xfe08
	v_mad_i32_i24 v27, v0, s10, v26
	s_waitcnt lgkmcnt(0)
	ds_write_b64 v27, v[10:11] offset:6208
	ds_read_b64 v[10:11], v26 offset:4200
	s_waitcnt lgkmcnt(0)
	ds_write_b64 v27, v[10:11] offset:6720
	ds_read_b64 v[10:11], v26 offset:4208
	;; [unrolled: 3-line block ×3, first 2 shown]
	s_waitcnt lgkmcnt(0)
	ds_write_b64 v27, v[10:11] offset:7744
.LBB57_210:
	s_or_b64 exec, exec, s[0:1]
	s_waitcnt lgkmcnt(0)
	s_barrier
	s_and_saveexec_b64 s[0:1], vcc
	s_cbranch_execz .LBB57_212
; %bb.211:
	v_mov_b32_e32 v28, 0
	ds_read_b64 v[10:11], v28 offset:6248
	s_mov_b64 s[10:11], 0x3f800000
	v_mov_b32_e32 v27, s11
	v_mov_b32_e32 v26, s10
	s_movk_i32 s10, 0x60
	ds_write_b64 v28, v[26:27] offset:6760
	v_add_u32_e64 v28, s10, 0
	s_waitcnt lgkmcnt(1)
	ds_write2st64_b64 v28, v[26:27], v[10:11] offset0:12 offset1:13
.LBB57_212:
	s_or_b64 exec, exec, s[0:1]
	v_mov_b32_e32 v11, 0
	v_mov_b32_e32 v10, 0
	s_waitcnt lgkmcnt(0)
	s_barrier
	s_and_saveexec_b64 s[0:1], s[2:3]
	s_cbranch_execz .LBB57_216
; %bb.213:
	v_mul_u32_u24_e32 v26, 0x208, v14
	ds_read_b64 v[10:11], v12 offset:6256
	ds_read_b64 v[26:27], v26 offset:6240
	v_cmp_gt_u32_e64 s[10:11], 2, v17
	s_waitcnt lgkmcnt(0)
	v_mul_f32_e32 v28, v27, v11
	v_mul_f32_e32 v11, v26, v11
	v_fma_f32 v26, v26, v10, -v28
	v_fmac_f32_e32 v11, v27, v10
	v_add_f32_e32 v10, 0, v26
	v_add_f32_e32 v11, 0, v11
	s_and_saveexec_b64 s[14:15], s[10:11]
	s_cbranch_execz .LBB57_215
; %bb.214:
	v_lshlrev_b32_e32 v26, 3, v0
	v_mov_b32_e32 v28, 0
	ds_read_b64 v[26:27], v26 offset:6768
	ds_read_b64 v[28:29], v28 offset:6248
	s_waitcnt lgkmcnt(0)
	v_mul_f32_e32 v30, v29, v27
	v_mul_f32_e32 v27, v28, v27
	v_fma_f32 v28, v28, v26, -v30
	v_fmac_f32_e32 v27, v29, v26
	v_add_f32_e32 v10, v10, v28
	v_add_f32_e32 v11, v11, v27
.LBB57_215:
	s_or_b64 exec, exec, s[14:15]
	v_xor_b32_e32 v10, 0x80000000, v10
	v_xor_b32_e32 v11, 0x80000000, v11
.LBB57_216:
	s_or_b64 exec, exec, s[0:1]
	s_and_saveexec_b64 s[0:1], s[34:35]
; %bb.217:
	ds_write_b64 v13, v[10:11]
; %bb.218:
	s_or_b64 exec, exec, s[0:1]
	s_waitcnt lgkmcnt(0)
	s_barrier
	s_and_saveexec_b64 s[0:1], s[30:31]
	s_cbranch_execz .LBB57_220
; %bb.219:
	v_mov_b32_e32 v26, 0
	ds_read_b64 v[26:27], v26 offset:7288
	ds_read_b64 v[28:29], v13
	s_waitcnt lgkmcnt(0)
	v_mul_f32_e32 v30, v29, v27
	v_mul_f32_e32 v27, v28, v27
	v_fma_f32 v28, v28, v26, -v30
	v_fmac_f32_e32 v27, v29, v26
	v_add_f32_e32 v10, v10, v28
	v_add_f32_e32 v11, v11, v27
.LBB57_220:
	s_or_b64 exec, exec, s[0:1]
	s_barrier
	s_and_saveexec_b64 s[0:1], s[30:31]
; %bb.221:
	ds_write_b64 v13, v[10:11]
; %bb.222:
	s_or_b64 exec, exec, s[0:1]
	s_waitcnt lgkmcnt(0)
	s_barrier
	s_barrier
	s_and_saveexec_b64 s[0:1], s[2:3]
; %bb.223:
	v_xor_b32_e32 v11, 0x80000000, v11
	v_xor_b32_e32 v10, 0x80000000, v10
	ds_write_b64 v12, v[10:11] offset:6256
; %bb.224:
	s_or_b64 exec, exec, s[0:1]
	s_waitcnt lgkmcnt(0)
	s_barrier
	s_barrier
	s_and_saveexec_b64 s[0:1], s[36:37]
	s_cbranch_execz .LBB57_226
; %bb.225:
	v_lshlrev_b32_e32 v26, 3, v0
	s_movk_i32 s10, 0x1f8
	v_mad_u32_u24 v27, v0, s10, v26
	ds_read_b64 v[10:11], v27 offset:6256
	s_waitcnt lgkmcnt(0)
	ds_write_b64 v26, v[10:11] offset:7264
	ds_read_b64 v[10:11], v27 offset:6264
	s_waitcnt lgkmcnt(0)
	ds_write_b64 v26, v[10:11] offset:7776
.LBB57_226:
	s_or_b64 exec, exec, s[0:1]
	s_waitcnt lgkmcnt(0)
	s_barrier
	s_and_saveexec_b64 s[0:1], vcc
	s_cbranch_execz .LBB57_228
; %bb.227:
	v_mov_b32_e32 v28, 0
	ds_read_b64 v[10:11], v28 offset:7288
	s_mov_b64 s[10:11], 0x3f800000
	v_mov_b32_e32 v27, s11
	v_mov_b32_e32 v26, s10
	s_movk_i32 s10, 0x70
	ds_write_b64 v28, v[26:27] offset:7800
	v_add_u32_e64 v28, s10, 0
	s_waitcnt lgkmcnt(1)
	ds_write2st64_b64 v28, v[26:27], v[10:11] offset0:14 offset1:15
.LBB57_228:
	s_or_b64 exec, exec, s[0:1]
	v_lshrrev_b32_e32 v30, 4, v17
	v_and_b32_e32 v27, 15, v0
	s_movk_i32 s0, 0xff
	v_lshlrev_b32_e32 v29, 6, v30
	v_cmp_lt_u32_e64 s[14:15], s0, v17
	s_movk_i32 s0, 0x100
	v_or_b32_e32 v10, v29, v27
	v_cmp_gt_u32_e64 s[10:11], s0, v17
	v_lshlrev_b32_e32 v26, 3, v10
	v_mov_b32_e32 v11, 0
	v_mov_b32_e32 v10, 0
	s_waitcnt lgkmcnt(0)
	s_barrier
	s_and_saveexec_b64 s[0:1], s[10:11]
	s_cbranch_execz .LBB57_256
; %bb.229:
	v_mul_u32_u24_e32 v28, 0x208, v30
	ds_read_b64 v[10:11], v26 offset:128
	ds_read_b64 v[31:32], v28
	s_movk_i32 s16, 0xf0
	v_cmp_gt_u32_e64 s[16:17], s16, v17
	s_waitcnt lgkmcnt(0)
	v_mul_f32_e32 v33, v32, v11
	v_mul_f32_e32 v11, v31, v11
	v_fma_f32 v31, v31, v10, -v33
	v_fmac_f32_e32 v11, v32, v10
	v_add_f32_e32 v10, 0, v31
	v_add_f32_e32 v11, 0, v11
	s_and_saveexec_b64 s[20:21], s[16:17]
	s_cbranch_execz .LBB57_231
; %bb.230:
	v_lshlrev_b32_e32 v31, 3, v30
	v_sub_u32_e32 v31, v28, v31
	v_lshl_add_u32 v31, v27, 3, v31
	ds_read_b64 v[31:32], v31 offset:640
	ds_read_b64 v[33:34], v28 offset:8
	s_waitcnt lgkmcnt(0)
	v_mul_f32_e32 v35, v34, v32
	v_mul_f32_e32 v32, v33, v32
	v_fma_f32 v33, v33, v31, -v35
	v_fmac_f32_e32 v32, v34, v31
	v_add_f32_e32 v10, v10, v33
	v_add_f32_e32 v11, v11, v32
.LBB57_231:
	s_or_b64 exec, exec, s[20:21]
	s_movk_i32 s16, 0xe0
	v_cmp_gt_u32_e64 s[16:17], s16, v17
	s_and_saveexec_b64 s[20:21], s[16:17]
	s_cbranch_execz .LBB57_233
; %bb.232:
	v_lshlrev_b32_e32 v31, 3, v30
	v_sub_u32_e32 v31, v28, v31
	v_lshl_add_u32 v31, v27, 3, v31
	ds_read_b64 v[31:32], v31 offset:1152
	ds_read_b64 v[33:34], v28 offset:16
	s_waitcnt lgkmcnt(0)
	v_mul_f32_e32 v35, v34, v32
	v_mul_f32_e32 v32, v33, v32
	v_fma_f32 v33, v33, v31, -v35
	v_fmac_f32_e32 v32, v34, v31
	v_add_f32_e32 v10, v10, v33
	v_add_f32_e32 v11, v11, v32
.LBB57_233:
	s_or_b64 exec, exec, s[20:21]
	s_movk_i32 s16, 0xd0
	v_cmp_gt_u32_e64 s[16:17], s16, v17
	;; [unrolled: 19-line block ×7, first 2 shown]
	s_and_saveexec_b64 s[20:21], s[16:17]
	s_cbranch_execz .LBB57_245
; %bb.244:
	ds_read_b64 v[31:32], v26 offset:4224
	ds_read_b64 v[33:34], v28 offset:64
	s_waitcnt lgkmcnt(0)
	v_mul_f32_e32 v35, v34, v32
	v_mul_f32_e32 v32, v33, v32
	v_fma_f32 v33, v33, v31, -v35
	v_fmac_f32_e32 v32, v34, v31
	v_add_f32_e32 v10, v10, v33
	v_add_f32_e32 v11, v11, v32
.LBB57_245:
	s_or_b64 exec, exec, s[20:21]
	s_movk_i32 s16, 0x70
	v_cmp_gt_u32_e64 s[16:17], s16, v17
	s_and_saveexec_b64 s[20:21], s[16:17]
	s_cbranch_execz .LBB57_247
; %bb.246:
	v_lshlrev_b32_e32 v31, 3, v27
	v_lshl_add_u32 v31, v29, 3, v31
	ds_read_b64 v[31:32], v31 offset:4736
	ds_read_b64 v[33:34], v28 offset:72
	s_waitcnt lgkmcnt(0)
	v_mul_f32_e32 v35, v34, v32
	v_mul_f32_e32 v32, v33, v32
	v_fma_f32 v33, v33, v31, -v35
	v_fmac_f32_e32 v32, v34, v31
	v_add_f32_e32 v10, v10, v33
	v_add_f32_e32 v11, v11, v32
.LBB57_247:
	s_or_b64 exec, exec, s[20:21]
	s_movk_i32 s16, 0x60
	v_cmp_gt_u32_e64 s[16:17], s16, v17
	s_and_saveexec_b64 s[20:21], s[16:17]
	s_cbranch_execz .LBB57_249
; %bb.248:
	v_lshlrev_b32_e32 v31, 3, v27
	v_lshl_add_u32 v31, v29, 3, v31
	ds_read_b64 v[31:32], v31 offset:5248
	ds_read_b64 v[33:34], v28 offset:80
	s_waitcnt lgkmcnt(0)
	v_mul_f32_e32 v35, v34, v32
	v_mul_f32_e32 v32, v33, v32
	v_fma_f32 v33, v33, v31, -v35
	v_fmac_f32_e32 v32, v34, v31
	v_add_f32_e32 v10, v10, v33
	v_add_f32_e32 v11, v11, v32
.LBB57_249:
	s_or_b64 exec, exec, s[20:21]
	s_movk_i32 s16, 0x50
	v_cmp_gt_u32_e64 s[16:17], s16, v17
	s_and_saveexec_b64 s[20:21], s[16:17]
	s_cbranch_execnz .LBB57_1069
; %bb.250:
	s_or_b64 exec, exec, s[20:21]
	v_cmp_gt_u32_e64 s[16:17], 64, v17
	s_and_saveexec_b64 s[20:21], s[16:17]
	s_cbranch_execnz .LBB57_1070
.LBB57_251:
	s_or_b64 exec, exec, s[20:21]
	v_cmp_gt_u32_e64 s[16:17], 48, v17
	s_and_saveexec_b64 s[20:21], s[16:17]
	s_cbranch_execnz .LBB57_1071
.LBB57_252:
	s_or_b64 exec, exec, s[20:21]
	v_cmp_gt_u32_e64 s[16:17], 32, v17
	s_and_saveexec_b64 s[20:21], s[16:17]
	s_cbranch_execnz .LBB57_1072
.LBB57_253:
	s_or_b64 exec, exec, s[20:21]
	v_cmp_gt_u32_e64 s[16:17], 16, v17
	s_and_saveexec_b64 s[20:21], s[16:17]
	s_cbranch_execz .LBB57_255
.LBB57_254:
	v_lshlrev_b32_e32 v28, 3, v0
	v_mov_b32_e32 v33, 0
	ds_read_b64 v[31:32], v28 offset:7808
	ds_read_b64 v[33:34], v33 offset:120
	s_waitcnt lgkmcnt(0)
	v_mul_f32_e32 v28, v34, v32
	v_mul_f32_e32 v32, v33, v32
	v_fma_f32 v28, v33, v31, -v28
	v_fmac_f32_e32 v32, v34, v31
	v_add_f32_e32 v10, v10, v28
	v_add_f32_e32 v11, v11, v32
.LBB57_255:
	s_or_b64 exec, exec, s[20:21]
	v_xor_b32_e32 v10, 0x80000000, v10
	v_xor_b32_e32 v11, 0x80000000, v11
.LBB57_256:
	s_or_b64 exec, exec, s[0:1]
	v_mov_b32_e32 v28, 0x8000
	v_lshl_add_u32 v28, v30, 3, v28
	v_cmp_eq_u32_e64 s[16:17], 0, v27
	s_xor_b64 s[0:1], s[14:15], -1
	s_and_b64 s[16:17], s[16:17], s[0:1]
	s_mov_b64 s[14:15], exec
	v_writelane_b32 v42, s16, 4
	v_writelane_b32 v42, s17, 5
	s_and_b64 s[16:17], s[14:15], s[16:17]
	s_mov_b64 exec, s[16:17]
; %bb.257:
	ds_write_b64 v28, v[10:11]
; %bb.258:
	s_or_b64 exec, exec, s[14:15]
	v_cmp_ne_u32_e64 s[14:15], 0, v27
	s_waitcnt lgkmcnt(0)
	s_barrier
	s_and_b64 s[16:17], s[14:15], s[0:1]
	s_mov_b64 s[14:15], exec
	v_writelane_b32 v42, s16, 6
	v_writelane_b32 v42, s17, 7
	s_and_b64 s[16:17], s[14:15], s[16:17]
	s_mov_b64 exec, s[16:17]
	s_cbranch_execz .LBB57_260
; %bb.259:
	v_lshlrev_b32_e32 v31, 3, v27
	ds_read_b64 v[31:32], v31 offset:8320
	ds_read_b64 v[33:34], v28
	s_waitcnt lgkmcnt(0)
	v_mul_f32_e32 v35, v34, v32
	v_mul_f32_e32 v32, v33, v32
	v_fma_f32 v33, v33, v31, -v35
	v_fmac_f32_e32 v32, v34, v31
	v_add_f32_e32 v10, v10, v33
	v_add_f32_e32 v11, v11, v32
.LBB57_260:
	s_or_b64 exec, exec, s[14:15]
	v_cmp_eq_u32_e64 s[14:15], 1, v27
	s_barrier
	s_and_b64 s[16:17], s[14:15], s[0:1]
	s_mov_b64 s[14:15], exec
	v_writelane_b32 v42, s16, 8
	v_writelane_b32 v42, s17, 9
	s_and_b64 s[16:17], s[14:15], s[16:17]
	s_mov_b64 exec, s[16:17]
; %bb.261:
	ds_write_b64 v28, v[10:11]
; %bb.262:
	s_or_b64 exec, exec, s[14:15]
	v_cmp_lt_u32_e64 s[14:15], 1, v27
	s_waitcnt lgkmcnt(0)
	s_barrier
	s_and_b64 s[16:17], s[14:15], s[0:1]
	s_mov_b64 s[14:15], exec
	v_writelane_b32 v42, s16, 10
	v_writelane_b32 v42, s17, 11
	s_and_b64 s[16:17], s[14:15], s[16:17]
	s_mov_b64 exec, s[16:17]
	s_cbranch_execz .LBB57_264
; %bb.263:
	v_lshlrev_b32_e32 v31, 3, v27
	ds_read_b64 v[31:32], v31 offset:8832
	ds_read_b64 v[33:34], v28
	s_waitcnt lgkmcnt(0)
	v_mul_f32_e32 v35, v34, v32
	v_mul_f32_e32 v32, v33, v32
	v_fma_f32 v33, v33, v31, -v35
	v_fmac_f32_e32 v32, v34, v31
	v_add_f32_e32 v10, v10, v33
	v_add_f32_e32 v11, v11, v32
.LBB57_264:
	s_or_b64 exec, exec, s[14:15]
	v_cmp_eq_u32_e64 s[14:15], 2, v27
	s_barrier
	s_and_b64 s[16:17], s[14:15], s[0:1]
	s_mov_b64 s[14:15], exec
	v_writelane_b32 v42, s16, 12
	v_writelane_b32 v42, s17, 13
	s_and_b64 s[16:17], s[14:15], s[16:17]
	s_mov_b64 exec, s[16:17]
; %bb.265:
	ds_write_b64 v28, v[10:11]
; %bb.266:
	s_or_b64 exec, exec, s[14:15]
	v_cmp_lt_u32_e64 s[14:15], 2, v27
	;; [unrolled: 35-line block ×13, first 2 shown]
	s_waitcnt lgkmcnt(0)
	s_barrier
	s_and_b64 s[16:17], s[14:15], s[0:1]
	s_mov_b64 s[14:15], exec
	v_writelane_b32 v42, s16, 58
	v_writelane_b32 v42, s17, 59
	s_and_b64 s[16:17], s[14:15], s[16:17]
	s_mov_b64 exec, s[16:17]
	s_cbranch_execz .LBB57_312
; %bb.311:
	v_lshlrev_b32_e32 v31, 3, v27
	ds_read_b64 v[31:32], v31 offset:14976
	ds_read_b64 v[33:34], v28
	s_waitcnt lgkmcnt(0)
	v_mul_f32_e32 v35, v34, v32
	v_mul_f32_e32 v32, v33, v32
	v_fma_f32 v33, v33, v31, -v35
	v_fmac_f32_e32 v32, v34, v31
	v_add_f32_e32 v10, v10, v33
	v_add_f32_e32 v11, v11, v32
.LBB57_312:
	s_or_b64 exec, exec, s[14:15]
	v_cmp_eq_u32_e64 s[14:15], 14, v27
	s_barrier
	s_and_b64 s[16:17], s[14:15], s[0:1]
	s_mov_b64 s[14:15], exec
	v_writelane_b32 v42, s16, 60
	v_writelane_b32 v42, s17, 61
	s_and_b64 s[16:17], s[14:15], s[16:17]
	s_mov_b64 exec, s[16:17]
; %bb.313:
	ds_write_b64 v28, v[10:11]
; %bb.314:
	s_or_b64 exec, exec, s[14:15]
	v_cmp_eq_u32_e64 s[14:15], 15, v27
	s_and_b64 s[0:1], s[14:15], s[0:1]
	s_waitcnt lgkmcnt(0)
	s_barrier
	s_and_saveexec_b64 s[14:15], s[0:1]
	s_cbranch_execz .LBB57_316
; %bb.315:
	v_mov_b32_e32 v31, 0
	ds_read_b64 v[31:32], v31 offset:15608
	ds_read_b64 v[33:34], v28
	s_waitcnt lgkmcnt(0)
	v_mul_f32_e32 v35, v34, v32
	v_mul_f32_e32 v32, v33, v32
	v_fma_f32 v33, v33, v31, -v35
	v_fmac_f32_e32 v32, v34, v31
	v_add_f32_e32 v10, v10, v33
	v_add_f32_e32 v11, v11, v32
.LBB57_316:
	s_or_b64 exec, exec, s[14:15]
	s_barrier
	s_and_saveexec_b64 s[14:15], s[0:1]
; %bb.317:
	ds_write_b64 v28, v[10:11]
; %bb.318:
	s_or_b64 exec, exec, s[14:15]
	s_waitcnt lgkmcnt(0)
	s_barrier
	s_barrier
	s_and_saveexec_b64 s[14:15], s[10:11]
; %bb.319:
	v_xor_b32_e32 v10, 0x80000000, v10
	v_xor_b32_e32 v11, 0x80000000, v11
	ds_write_b64 v26, v[10:11] offset:128
; %bb.320:
	s_or_b64 exec, exec, s[14:15]
	v_cmp_gt_u32_e64 s[14:15], 16, v0
	s_waitcnt lgkmcnt(0)
	s_barrier
	s_barrier
	s_and_b64 s[16:17], s[12:13], s[14:15]
	s_mov_b64 s[14:15], exec
	v_writelane_b32 v42, s16, 62
	v_writelane_b32 v42, s17, 63
	s_and_b64 s[16:17], s[14:15], s[16:17]
	s_mov_b64 exec, s[16:17]
	s_cbranch_execz .LBB57_322
; %bb.321:
	v_lshlrev_b32_e32 v31, 9, v0
	ds_read_b64 v[10:11], v31 offset:128
	s_movk_i32 s16, 0xfe08
	v_mad_i32_i24 v32, v0, s16, v31
	s_waitcnt lgkmcnt(0)
	ds_write_b64 v32, v[10:11] offset:8192
	ds_read_b64 v[10:11], v31 offset:136
	s_waitcnt lgkmcnt(0)
	ds_write_b64 v32, v[10:11] offset:8704
	ds_read_b64 v[10:11], v31 offset:144
	;; [unrolled: 3-line block ×15, first 2 shown]
	s_waitcnt lgkmcnt(0)
	ds_write_b64 v32, v[10:11] offset:15872
.LBB57_322:
	s_or_b64 exec, exec, s[14:15]
	s_waitcnt lgkmcnt(0)
	s_barrier
	s_and_saveexec_b64 s[14:15], vcc
	s_cbranch_execz .LBB57_324
; %bb.323:
	v_mov_b32_e32 v33, 0
	ds_read_b64 v[10:11], v33 offset:8328
	s_mov_b64 s[16:17], 0x3f800000
	v_mov_b32_e32 v32, s17
	v_mov_b32_e32 v31, s16
	s_movk_i32 s16, 0x80
	ds_write_b64 v33, v[31:32] offset:8840
	v_add_u32_e64 v33, s16, 0
	s_waitcnt lgkmcnt(1)
	ds_write2st64_b64 v33, v[31:32], v[10:11] offset0:16 offset1:17
.LBB57_324:
	s_or_b64 exec, exec, s[14:15]
	v_mov_b32_e32 v11, 0
	v_mov_b32_e32 v10, 0
	s_waitcnt lgkmcnt(0)
	s_barrier
	s_and_saveexec_b64 s[16:17], s[2:3]
	s_cbranch_execz .LBB57_328
; %bb.325:
	v_mul_u32_u24_e32 v31, 0x208, v14
	ds_read_b64 v[10:11], v12 offset:8336
	ds_read_b64 v[31:32], v31 offset:8320
	v_cmp_gt_u32_e64 s[14:15], 2, v17
	s_waitcnt lgkmcnt(0)
	v_mul_f32_e32 v33, v32, v11
	v_mul_f32_e32 v11, v31, v11
	v_fma_f32 v31, v31, v10, -v33
	v_fmac_f32_e32 v11, v32, v10
	v_add_f32_e32 v10, 0, v31
	v_add_f32_e32 v11, 0, v11
	s_and_saveexec_b64 s[20:21], s[14:15]
	s_cbranch_execz .LBB57_327
; %bb.326:
	v_lshlrev_b32_e32 v31, 3, v0
	v_mov_b32_e32 v33, 0
	ds_read_b64 v[31:32], v31 offset:8848
	ds_read_b64 v[33:34], v33 offset:8328
	s_waitcnt lgkmcnt(0)
	v_mul_f32_e32 v35, v34, v32
	v_mul_f32_e32 v32, v33, v32
	v_fma_f32 v33, v33, v31, -v35
	v_fmac_f32_e32 v32, v34, v31
	v_add_f32_e32 v10, v10, v33
	v_add_f32_e32 v11, v11, v32
.LBB57_327:
	s_or_b64 exec, exec, s[20:21]
	v_xor_b32_e32 v10, 0x80000000, v10
	v_xor_b32_e32 v11, 0x80000000, v11
.LBB57_328:
	s_or_b64 exec, exec, s[16:17]
	s_and_saveexec_b64 s[14:15], s[34:35]
; %bb.329:
	ds_write_b64 v13, v[10:11]
; %bb.330:
	s_or_b64 exec, exec, s[14:15]
	s_waitcnt lgkmcnt(0)
	s_barrier
	s_and_saveexec_b64 s[14:15], s[30:31]
	s_cbranch_execz .LBB57_332
; %bb.331:
	v_mov_b32_e32 v31, 0
	ds_read_b64 v[31:32], v31 offset:9368
	ds_read_b64 v[33:34], v13
	s_waitcnt lgkmcnt(0)
	v_mul_f32_e32 v35, v34, v32
	v_mul_f32_e32 v32, v33, v32
	v_fma_f32 v33, v33, v31, -v35
	v_fmac_f32_e32 v32, v34, v31
	v_add_f32_e32 v10, v10, v33
	v_add_f32_e32 v11, v11, v32
.LBB57_332:
	s_or_b64 exec, exec, s[14:15]
	s_barrier
	s_and_saveexec_b64 s[14:15], s[30:31]
; %bb.333:
	ds_write_b64 v13, v[10:11]
; %bb.334:
	s_or_b64 exec, exec, s[14:15]
	s_waitcnt lgkmcnt(0)
	s_barrier
	s_barrier
	s_and_saveexec_b64 s[14:15], s[2:3]
; %bb.335:
	v_xor_b32_e32 v11, 0x80000000, v11
	v_xor_b32_e32 v10, 0x80000000, v10
	ds_write_b64 v12, v[10:11] offset:8336
; %bb.336:
	s_or_b64 exec, exec, s[14:15]
	s_waitcnt lgkmcnt(0)
	s_barrier
	s_barrier
	s_and_saveexec_b64 s[14:15], s[36:37]
	s_cbranch_execz .LBB57_338
; %bb.337:
	v_lshlrev_b32_e32 v31, 3, v0
	s_movk_i32 s16, 0x1f8
	v_mad_u32_u24 v32, v0, s16, v31
	ds_read_b64 v[10:11], v32 offset:8336
	s_waitcnt lgkmcnt(0)
	ds_write_b64 v31, v[10:11] offset:9344
	ds_read_b64 v[10:11], v32 offset:8344
	s_waitcnt lgkmcnt(0)
	ds_write_b64 v31, v[10:11] offset:9856
.LBB57_338:
	s_or_b64 exec, exec, s[14:15]
	s_waitcnt lgkmcnt(0)
	s_barrier
	s_and_saveexec_b64 s[14:15], vcc
	s_cbranch_execz .LBB57_340
; %bb.339:
	v_mov_b32_e32 v33, 0
	ds_read_b64 v[10:11], v33 offset:9368
	s_mov_b64 s[16:17], 0x3f800000
	v_mov_b32_e32 v32, s17
	v_mov_b32_e32 v31, s16
	s_movk_i32 s16, 0x90
	ds_write_b64 v33, v[31:32] offset:9880
	v_add_u32_e64 v33, s16, 0
	s_waitcnt lgkmcnt(1)
	ds_write2st64_b64 v33, v[31:32], v[10:11] offset0:18 offset1:19
.LBB57_340:
	s_or_b64 exec, exec, s[14:15]
	v_mov_b32_e32 v11, 0
	v_mov_b32_e32 v10, 0
	s_waitcnt lgkmcnt(0)
	s_barrier
	s_and_saveexec_b64 s[16:17], s[18:19]
	s_cbranch_execz .LBB57_346
; %bb.341:
	v_mul_u32_u24_e32 v31, 0x208, v20
	ds_read_b64 v[10:11], v15 offset:8352
	ds_read_b64 v[32:33], v31 offset:8320
	v_cmp_gt_u32_e64 s[14:15], 12, v17
	s_waitcnt lgkmcnt(0)
	v_mul_f32_e32 v34, v33, v11
	v_mul_f32_e32 v11, v32, v11
	v_fma_f32 v32, v32, v10, -v34
	v_fmac_f32_e32 v11, v33, v10
	v_add_f32_e32 v10, 0, v32
	v_add_f32_e32 v11, 0, v11
	s_and_saveexec_b64 s[20:21], s[14:15]
	s_cbranch_execnz .LBB57_1073
; %bb.342:
	s_or_b64 exec, exec, s[20:21]
	v_cmp_gt_u32_e64 s[14:15], 8, v17
	s_and_saveexec_b64 s[20:21], s[14:15]
	s_cbranch_execnz .LBB57_1074
.LBB57_343:
	s_or_b64 exec, exec, s[20:21]
	v_cmp_gt_u32_e64 s[14:15], 4, v17
	s_and_saveexec_b64 s[20:21], s[14:15]
	s_cbranch_execz .LBB57_345
.LBB57_344:
	v_lshlrev_b32_e32 v31, 3, v0
	v_mov_b32_e32 v33, 0
	ds_read_b64 v[31:32], v31 offset:9888
	ds_read_b64 v[33:34], v33 offset:8344
	s_waitcnt lgkmcnt(0)
	v_mul_f32_e32 v35, v34, v32
	v_mul_f32_e32 v32, v33, v32
	v_fma_f32 v33, v33, v31, -v35
	v_fmac_f32_e32 v32, v34, v31
	v_add_f32_e32 v10, v10, v33
	v_add_f32_e32 v11, v11, v32
.LBB57_345:
	s_or_b64 exec, exec, s[20:21]
	v_xor_b32_e32 v10, 0x80000000, v10
	v_xor_b32_e32 v11, 0x80000000, v11
.LBB57_346:
	s_or_b64 exec, exec, s[16:17]
	s_and_saveexec_b64 s[14:15], s[42:43]
; %bb.347:
	ds_write_b64 v18, v[10:11]
; %bb.348:
	s_or_b64 exec, exec, s[14:15]
	s_waitcnt lgkmcnt(0)
	s_barrier
	s_and_saveexec_b64 s[14:15], s[44:45]
	s_cbranch_execz .LBB57_350
; %bb.349:
	ds_read_b64 v[31:32], v16 offset:10400
	ds_read_b64 v[33:34], v18
	s_waitcnt lgkmcnt(0)
	v_mul_f32_e32 v35, v34, v32
	v_mul_f32_e32 v32, v33, v32
	v_fma_f32 v33, v33, v31, -v35
	v_fmac_f32_e32 v32, v34, v31
	v_add_f32_e32 v10, v10, v33
	v_add_f32_e32 v11, v11, v32
.LBB57_350:
	s_or_b64 exec, exec, s[14:15]
	s_barrier
	s_and_saveexec_b64 s[14:15], s[52:53]
; %bb.351:
	ds_write_b64 v18, v[10:11]
; %bb.352:
	s_or_b64 exec, exec, s[14:15]
	s_waitcnt lgkmcnt(0)
	s_barrier
	s_and_saveexec_b64 s[14:15], s[54:55]
	s_cbranch_execz .LBB57_354
; %bb.353:
	ds_read_b64 v[31:32], v16 offset:10912
	ds_read_b64 v[33:34], v18
	s_waitcnt lgkmcnt(0)
	v_mul_f32_e32 v35, v34, v32
	v_mul_f32_e32 v32, v33, v32
	v_fma_f32 v33, v33, v31, -v35
	v_fmac_f32_e32 v32, v34, v31
	v_add_f32_e32 v10, v10, v33
	v_add_f32_e32 v11, v11, v32
.LBB57_354:
	s_or_b64 exec, exec, s[14:15]
	s_barrier
	s_and_saveexec_b64 s[14:15], s[56:57]
; %bb.355:
	ds_write_b64 v18, v[10:11]
; %bb.356:
	s_or_b64 exec, exec, s[14:15]
	s_waitcnt lgkmcnt(0)
	s_barrier
	s_and_saveexec_b64 s[14:15], s[38:39]
	s_cbranch_execz .LBB57_358
; %bb.357:
	v_mov_b32_e32 v31, 0
	ds_read_b64 v[31:32], v31 offset:11448
	ds_read_b64 v[33:34], v18
	s_waitcnt lgkmcnt(0)
	v_mul_f32_e32 v35, v34, v32
	v_mul_f32_e32 v32, v33, v32
	v_fma_f32 v33, v33, v31, -v35
	v_fmac_f32_e32 v32, v34, v31
	v_add_f32_e32 v10, v10, v33
	v_add_f32_e32 v11, v11, v32
.LBB57_358:
	s_or_b64 exec, exec, s[14:15]
	s_barrier
	s_and_saveexec_b64 s[14:15], s[38:39]
; %bb.359:
	ds_write_b64 v18, v[10:11]
; %bb.360:
	s_or_b64 exec, exec, s[14:15]
	s_waitcnt lgkmcnt(0)
	s_barrier
	s_barrier
	s_and_saveexec_b64 s[14:15], s[18:19]
; %bb.361:
	v_xor_b32_e32 v10, 0x80000000, v10
	v_xor_b32_e32 v11, 0x80000000, v11
	ds_write_b64 v15, v[10:11] offset:8352
; %bb.362:
	s_or_b64 exec, exec, s[14:15]
	s_waitcnt lgkmcnt(0)
	s_barrier
	s_barrier
	s_and_saveexec_b64 s[14:15], s[58:59]
	s_cbranch_execz .LBB57_364
; %bb.363:
	v_lshlrev_b32_e32 v31, 9, v0
	ds_read_b64 v[10:11], v31 offset:8352
	s_movk_i32 s16, 0xfe08
	v_mad_i32_i24 v32, v0, s16, v31
	s_waitcnt lgkmcnt(0)
	ds_write_b64 v32, v[10:11] offset:10368
	ds_read_b64 v[10:11], v31 offset:8360
	s_waitcnt lgkmcnt(0)
	ds_write_b64 v32, v[10:11] offset:10880
	ds_read_b64 v[10:11], v31 offset:8368
	;; [unrolled: 3-line block ×3, first 2 shown]
	s_waitcnt lgkmcnt(0)
	ds_write_b64 v32, v[10:11] offset:11904
.LBB57_364:
	s_or_b64 exec, exec, s[14:15]
	s_waitcnt lgkmcnt(0)
	s_barrier
	s_and_saveexec_b64 s[14:15], vcc
	s_cbranch_execz .LBB57_366
; %bb.365:
	v_mov_b32_e32 v33, 0
	ds_read_b64 v[10:11], v33 offset:10408
	s_mov_b64 s[16:17], 0x3f800000
	v_mov_b32_e32 v32, s17
	v_mov_b32_e32 v31, s16
	s_movk_i32 s16, 0xa0
	ds_write_b64 v33, v[31:32] offset:10920
	v_add_u32_e64 v33, s16, 0
	s_waitcnt lgkmcnt(1)
	ds_write2st64_b64 v33, v[31:32], v[10:11] offset0:20 offset1:21
.LBB57_366:
	s_or_b64 exec, exec, s[14:15]
	v_mov_b32_e32 v11, 0
	v_mov_b32_e32 v10, 0
	s_waitcnt lgkmcnt(0)
	s_barrier
	s_and_saveexec_b64 s[16:17], s[2:3]
	s_cbranch_execz .LBB57_370
; %bb.367:
	v_mul_u32_u24_e32 v31, 0x208, v14
	ds_read_b64 v[10:11], v12 offset:10416
	ds_read_b64 v[31:32], v31 offset:10400
	v_cmp_gt_u32_e64 s[14:15], 2, v17
	s_waitcnt lgkmcnt(0)
	v_mul_f32_e32 v33, v32, v11
	v_mul_f32_e32 v11, v31, v11
	v_fma_f32 v31, v31, v10, -v33
	v_fmac_f32_e32 v11, v32, v10
	v_add_f32_e32 v10, 0, v31
	v_add_f32_e32 v11, 0, v11
	s_and_saveexec_b64 s[20:21], s[14:15]
	s_cbranch_execz .LBB57_369
; %bb.368:
	v_lshlrev_b32_e32 v31, 3, v0
	v_mov_b32_e32 v33, 0
	ds_read_b64 v[31:32], v31 offset:10928
	ds_read_b64 v[33:34], v33 offset:10408
	s_waitcnt lgkmcnt(0)
	v_mul_f32_e32 v35, v34, v32
	v_mul_f32_e32 v32, v33, v32
	v_fma_f32 v33, v33, v31, -v35
	v_fmac_f32_e32 v32, v34, v31
	v_add_f32_e32 v10, v10, v33
	v_add_f32_e32 v11, v11, v32
.LBB57_369:
	s_or_b64 exec, exec, s[20:21]
	v_xor_b32_e32 v10, 0x80000000, v10
	v_xor_b32_e32 v11, 0x80000000, v11
.LBB57_370:
	s_or_b64 exec, exec, s[16:17]
	s_and_saveexec_b64 s[14:15], s[34:35]
; %bb.371:
	ds_write_b64 v13, v[10:11]
; %bb.372:
	s_or_b64 exec, exec, s[14:15]
	s_waitcnt lgkmcnt(0)
	s_barrier
	s_and_saveexec_b64 s[14:15], s[30:31]
	s_cbranch_execz .LBB57_374
; %bb.373:
	v_mov_b32_e32 v31, 0
	ds_read_b64 v[31:32], v31 offset:11448
	ds_read_b64 v[33:34], v13
	s_waitcnt lgkmcnt(0)
	v_mul_f32_e32 v35, v34, v32
	v_mul_f32_e32 v32, v33, v32
	v_fma_f32 v33, v33, v31, -v35
	v_fmac_f32_e32 v32, v34, v31
	v_add_f32_e32 v10, v10, v33
	v_add_f32_e32 v11, v11, v32
.LBB57_374:
	s_or_b64 exec, exec, s[14:15]
	s_barrier
	s_and_saveexec_b64 s[14:15], s[30:31]
; %bb.375:
	ds_write_b64 v13, v[10:11]
; %bb.376:
	s_or_b64 exec, exec, s[14:15]
	s_waitcnt lgkmcnt(0)
	s_barrier
	s_barrier
	s_and_saveexec_b64 s[14:15], s[2:3]
; %bb.377:
	v_xor_b32_e32 v11, 0x80000000, v11
	v_xor_b32_e32 v10, 0x80000000, v10
	ds_write_b64 v12, v[10:11] offset:10416
; %bb.378:
	s_or_b64 exec, exec, s[14:15]
	s_waitcnt lgkmcnt(0)
	s_barrier
	s_barrier
	s_and_saveexec_b64 s[14:15], s[36:37]
	s_cbranch_execz .LBB57_380
; %bb.379:
	v_lshlrev_b32_e32 v31, 3, v0
	s_movk_i32 s16, 0x1f8
	v_mad_u32_u24 v32, v0, s16, v31
	ds_read_b64 v[10:11], v32 offset:10416
	s_waitcnt lgkmcnt(0)
	ds_write_b64 v31, v[10:11] offset:11424
	ds_read_b64 v[10:11], v32 offset:10424
	s_waitcnt lgkmcnt(0)
	ds_write_b64 v31, v[10:11] offset:11936
.LBB57_380:
	s_or_b64 exec, exec, s[14:15]
	s_waitcnt lgkmcnt(0)
	s_barrier
	s_and_saveexec_b64 s[14:15], vcc
	s_cbranch_execz .LBB57_382
; %bb.381:
	v_mov_b32_e32 v33, 0
	ds_read_b64 v[10:11], v33 offset:11448
	s_mov_b64 s[16:17], 0x3f800000
	v_mov_b32_e32 v32, s17
	v_mov_b32_e32 v31, s16
	s_movk_i32 s16, 0xb0
	ds_write_b64 v33, v[31:32] offset:11960
	v_add_u32_e64 v33, s16, 0
	s_waitcnt lgkmcnt(1)
	ds_write2st64_b64 v33, v[31:32], v[10:11] offset0:22 offset1:23
.LBB57_382:
	s_or_b64 exec, exec, s[14:15]
	v_mov_b32_e32 v11, 0
	v_mov_b32_e32 v10, 0
	s_waitcnt lgkmcnt(0)
	s_barrier
	s_and_saveexec_b64 s[16:17], s[8:9]
	s_cbranch_execz .LBB57_392
; %bb.383:
	v_mul_u32_u24_e32 v31, 0x208, v25
	ds_read_b64 v[10:11], v21 offset:8384
	ds_read_b64 v[32:33], v31 offset:8320
	v_cmp_gt_u32_e64 s[14:15], 56, v17
	s_waitcnt lgkmcnt(0)
	v_mul_f32_e32 v34, v33, v11
	v_mul_f32_e32 v11, v32, v11
	v_fma_f32 v32, v32, v10, -v34
	v_fmac_f32_e32 v11, v33, v10
	v_add_f32_e32 v10, 0, v32
	v_add_f32_e32 v11, 0, v11
	s_and_saveexec_b64 s[20:21], s[14:15]
	s_cbranch_execnz .LBB57_1075
; %bb.384:
	s_or_b64 exec, exec, s[20:21]
	v_cmp_gt_u32_e64 s[14:15], 48, v17
	s_and_saveexec_b64 s[20:21], s[14:15]
	s_cbranch_execnz .LBB57_1076
.LBB57_385:
	s_or_b64 exec, exec, s[20:21]
	v_cmp_gt_u32_e64 s[14:15], 40, v17
	s_and_saveexec_b64 s[20:21], s[14:15]
	s_cbranch_execnz .LBB57_1077
.LBB57_386:
	s_or_b64 exec, exec, s[20:21]
	v_cmp_gt_u32_e64 s[14:15], 32, v17
	s_and_saveexec_b64 s[20:21], s[14:15]
	s_cbranch_execnz .LBB57_1078
.LBB57_387:
	s_or_b64 exec, exec, s[20:21]
	v_cmp_gt_u32_e64 s[14:15], 24, v17
	s_and_saveexec_b64 s[20:21], s[14:15]
	s_cbranch_execnz .LBB57_1079
.LBB57_388:
	s_or_b64 exec, exec, s[20:21]
	v_cmp_gt_u32_e64 s[14:15], 16, v17
	s_and_saveexec_b64 s[20:21], s[14:15]
	s_cbranch_execnz .LBB57_1080
.LBB57_389:
	s_or_b64 exec, exec, s[20:21]
	v_cmp_gt_u32_e64 s[14:15], 8, v17
	s_and_saveexec_b64 s[20:21], s[14:15]
	s_cbranch_execz .LBB57_391
.LBB57_390:
	v_lshlrev_b32_e32 v31, 3, v0
	v_mov_b32_e32 v33, 0
	ds_read_b64 v[31:32], v31 offset:11968
	ds_read_b64 v[33:34], v33 offset:8376
	s_waitcnt lgkmcnt(0)
	v_mul_f32_e32 v35, v34, v32
	v_mul_f32_e32 v32, v33, v32
	v_fma_f32 v33, v33, v31, -v35
	v_fmac_f32_e32 v32, v34, v31
	v_add_f32_e32 v10, v10, v33
	v_add_f32_e32 v11, v11, v32
.LBB57_391:
	s_or_b64 exec, exec, s[20:21]
	v_xor_b32_e32 v10, 0x80000000, v10
	v_xor_b32_e32 v11, 0x80000000, v11
.LBB57_392:
	s_or_b64 exec, exec, s[16:17]
	s_and_saveexec_b64 s[14:15], s[62:63]
; %bb.393:
	ds_write_b64 v23, v[10:11]
; %bb.394:
	s_or_b64 exec, exec, s[14:15]
	s_waitcnt lgkmcnt(0)
	s_barrier
	s_and_saveexec_b64 s[14:15], s[64:65]
	s_cbranch_execz .LBB57_396
; %bb.395:
	ds_read_b64 v[31:32], v22 offset:12480
	ds_read_b64 v[33:34], v23
	s_waitcnt lgkmcnt(0)
	v_mul_f32_e32 v35, v34, v32
	v_mul_f32_e32 v32, v33, v32
	v_fma_f32 v33, v33, v31, -v35
	v_fmac_f32_e32 v32, v34, v31
	v_add_f32_e32 v10, v10, v33
	v_add_f32_e32 v11, v11, v32
.LBB57_396:
	s_or_b64 exec, exec, s[14:15]
	s_barrier
	s_and_saveexec_b64 s[14:15], s[66:67]
; %bb.397:
	ds_write_b64 v23, v[10:11]
; %bb.398:
	s_or_b64 exec, exec, s[14:15]
	s_waitcnt lgkmcnt(0)
	s_barrier
	s_and_saveexec_b64 s[14:15], s[68:69]
	s_cbranch_execz .LBB57_400
; %bb.399:
	ds_read_b64 v[31:32], v22 offset:12992
	ds_read_b64 v[33:34], v23
	s_waitcnt lgkmcnt(0)
	v_mul_f32_e32 v35, v34, v32
	v_mul_f32_e32 v32, v33, v32
	v_fma_f32 v33, v33, v31, -v35
	v_fmac_f32_e32 v32, v34, v31
	v_add_f32_e32 v10, v10, v33
	v_add_f32_e32 v11, v11, v32
.LBB57_400:
	s_or_b64 exec, exec, s[14:15]
	s_barrier
	;; [unrolled: 22-line block ×6, first 2 shown]
	s_and_saveexec_b64 s[14:15], s[86:87]
; %bb.417:
	ds_write_b64 v23, v[10:11]
; %bb.418:
	s_or_b64 exec, exec, s[14:15]
	s_waitcnt lgkmcnt(0)
	s_barrier
	s_and_saveexec_b64 s[14:15], s[60:61]
	s_cbranch_execz .LBB57_420
; %bb.419:
	v_mov_b32_e32 v31, 0
	ds_read_b64 v[31:32], v31 offset:15608
	ds_read_b64 v[33:34], v23
	s_waitcnt lgkmcnt(0)
	v_mul_f32_e32 v35, v34, v32
	v_mul_f32_e32 v32, v33, v32
	v_fma_f32 v33, v33, v31, -v35
	v_fmac_f32_e32 v32, v34, v31
	v_add_f32_e32 v10, v10, v33
	v_add_f32_e32 v11, v11, v32
.LBB57_420:
	s_or_b64 exec, exec, s[14:15]
	s_barrier
	s_and_saveexec_b64 s[14:15], s[60:61]
; %bb.421:
	ds_write_b64 v23, v[10:11]
; %bb.422:
	s_or_b64 exec, exec, s[14:15]
	s_waitcnt lgkmcnt(0)
	s_barrier
	s_barrier
	s_and_saveexec_b64 s[14:15], s[8:9]
; %bb.423:
	v_xor_b32_e32 v11, 0x80000000, v11
	v_xor_b32_e32 v10, 0x80000000, v10
	ds_write_b64 v21, v[10:11] offset:8384
; %bb.424:
	s_or_b64 exec, exec, s[14:15]
	s_waitcnt lgkmcnt(0)
	s_barrier
	s_barrier
	s_and_saveexec_b64 s[14:15], s[88:89]
	s_cbranch_execz .LBB57_426
; %bb.425:
	v_lshlrev_b32_e32 v31, 9, v0
	ds_read_b64 v[10:11], v31 offset:8384
	s_movk_i32 s16, 0xfe08
	v_mad_i32_i24 v32, v0, s16, v31
	s_waitcnt lgkmcnt(0)
	ds_write_b64 v32, v[10:11] offset:12416
	ds_read_b64 v[10:11], v31 offset:8392
	s_waitcnt lgkmcnt(0)
	ds_write_b64 v32, v[10:11] offset:12928
	ds_read_b64 v[10:11], v31 offset:8400
	;; [unrolled: 3-line block ×7, first 2 shown]
	s_waitcnt lgkmcnt(0)
	ds_write_b64 v32, v[10:11] offset:16000
.LBB57_426:
	s_or_b64 exec, exec, s[14:15]
	s_waitcnt lgkmcnt(0)
	s_barrier
	s_and_saveexec_b64 s[14:15], vcc
	s_cbranch_execz .LBB57_428
; %bb.427:
	v_mov_b32_e32 v33, 0
	ds_read_b64 v[10:11], v33 offset:12488
	s_mov_b64 s[16:17], 0x3f800000
	v_mov_b32_e32 v32, s17
	v_mov_b32_e32 v31, s16
	s_movk_i32 s16, 0xc0
	ds_write_b64 v33, v[31:32] offset:13000
	v_add_u32_e64 v33, s16, 0
	s_waitcnt lgkmcnt(1)
	ds_write2st64_b64 v33, v[31:32], v[10:11] offset0:24 offset1:25
.LBB57_428:
	s_or_b64 exec, exec, s[14:15]
	v_mov_b32_e32 v11, 0
	v_mov_b32_e32 v10, 0
	s_waitcnt lgkmcnt(0)
	s_barrier
	s_and_saveexec_b64 s[16:17], s[2:3]
	s_cbranch_execz .LBB57_432
; %bb.429:
	v_mul_u32_u24_e32 v31, 0x208, v14
	ds_read_b64 v[10:11], v12 offset:12496
	ds_read_b64 v[31:32], v31 offset:12480
	v_cmp_gt_u32_e64 s[14:15], 2, v17
	s_waitcnt lgkmcnt(0)
	v_mul_f32_e32 v33, v32, v11
	v_mul_f32_e32 v11, v31, v11
	v_fma_f32 v31, v31, v10, -v33
	v_fmac_f32_e32 v11, v32, v10
	v_add_f32_e32 v10, 0, v31
	v_add_f32_e32 v11, 0, v11
	s_and_saveexec_b64 s[20:21], s[14:15]
	s_cbranch_execz .LBB57_431
; %bb.430:
	v_lshlrev_b32_e32 v31, 3, v0
	v_mov_b32_e32 v33, 0
	ds_read_b64 v[31:32], v31 offset:13008
	ds_read_b64 v[33:34], v33 offset:12488
	s_waitcnt lgkmcnt(0)
	v_mul_f32_e32 v35, v34, v32
	v_mul_f32_e32 v32, v33, v32
	v_fma_f32 v33, v33, v31, -v35
	v_fmac_f32_e32 v32, v34, v31
	v_add_f32_e32 v10, v10, v33
	v_add_f32_e32 v11, v11, v32
.LBB57_431:
	s_or_b64 exec, exec, s[20:21]
	v_xor_b32_e32 v10, 0x80000000, v10
	v_xor_b32_e32 v11, 0x80000000, v11
.LBB57_432:
	s_or_b64 exec, exec, s[16:17]
	s_and_saveexec_b64 s[14:15], s[34:35]
; %bb.433:
	ds_write_b64 v13, v[10:11]
; %bb.434:
	s_or_b64 exec, exec, s[14:15]
	s_waitcnt lgkmcnt(0)
	s_barrier
	s_and_saveexec_b64 s[14:15], s[30:31]
	s_cbranch_execz .LBB57_436
; %bb.435:
	v_mov_b32_e32 v31, 0
	ds_read_b64 v[31:32], v31 offset:13528
	ds_read_b64 v[33:34], v13
	s_waitcnt lgkmcnt(0)
	v_mul_f32_e32 v35, v34, v32
	v_mul_f32_e32 v32, v33, v32
	v_fma_f32 v33, v33, v31, -v35
	v_fmac_f32_e32 v32, v34, v31
	v_add_f32_e32 v10, v10, v33
	v_add_f32_e32 v11, v11, v32
.LBB57_436:
	s_or_b64 exec, exec, s[14:15]
	s_barrier
	s_and_saveexec_b64 s[14:15], s[30:31]
; %bb.437:
	ds_write_b64 v13, v[10:11]
; %bb.438:
	s_or_b64 exec, exec, s[14:15]
	s_waitcnt lgkmcnt(0)
	s_barrier
	s_barrier
	s_and_saveexec_b64 s[14:15], s[2:3]
; %bb.439:
	v_xor_b32_e32 v11, 0x80000000, v11
	v_xor_b32_e32 v10, 0x80000000, v10
	ds_write_b64 v12, v[10:11] offset:12496
; %bb.440:
	s_or_b64 exec, exec, s[14:15]
	s_waitcnt lgkmcnt(0)
	s_barrier
	s_barrier
	s_and_saveexec_b64 s[14:15], s[36:37]
	s_cbranch_execz .LBB57_442
; %bb.441:
	v_lshlrev_b32_e32 v31, 3, v0
	s_movk_i32 s16, 0x1f8
	v_mad_u32_u24 v32, v0, s16, v31
	ds_read_b64 v[10:11], v32 offset:12496
	s_waitcnt lgkmcnt(0)
	ds_write_b64 v31, v[10:11] offset:13504
	ds_read_b64 v[10:11], v32 offset:12504
	s_waitcnt lgkmcnt(0)
	ds_write_b64 v31, v[10:11] offset:14016
.LBB57_442:
	s_or_b64 exec, exec, s[14:15]
	s_waitcnt lgkmcnt(0)
	s_barrier
	s_and_saveexec_b64 s[14:15], vcc
	s_cbranch_execz .LBB57_444
; %bb.443:
	v_mov_b32_e32 v33, 0
	ds_read_b64 v[10:11], v33 offset:13528
	s_mov_b64 s[16:17], 0x3f800000
	v_mov_b32_e32 v32, s17
	v_mov_b32_e32 v31, s16
	s_movk_i32 s16, 0xd0
	ds_write_b64 v33, v[31:32] offset:14040
	v_add_u32_e64 v33, s16, 0
	s_waitcnt lgkmcnt(1)
	ds_write2st64_b64 v33, v[31:32], v[10:11] offset0:26 offset1:27
.LBB57_444:
	s_or_b64 exec, exec, s[14:15]
	v_mov_b32_e32 v11, 0
	v_mov_b32_e32 v10, 0
	s_waitcnt lgkmcnt(0)
	s_barrier
	s_and_saveexec_b64 s[16:17], s[18:19]
	s_cbranch_execz .LBB57_450
; %bb.445:
	v_mul_u32_u24_e32 v31, 0x208, v20
	ds_read_b64 v[10:11], v15 offset:12512
	ds_read_b64 v[32:33], v31 offset:12480
	v_cmp_gt_u32_e64 s[14:15], 12, v17
	s_waitcnt lgkmcnt(0)
	v_mul_f32_e32 v34, v33, v11
	v_mul_f32_e32 v11, v32, v11
	v_fma_f32 v32, v32, v10, -v34
	v_fmac_f32_e32 v11, v33, v10
	v_add_f32_e32 v10, 0, v32
	v_add_f32_e32 v11, 0, v11
	s_and_saveexec_b64 s[20:21], s[14:15]
	s_cbranch_execnz .LBB57_1081
; %bb.446:
	s_or_b64 exec, exec, s[20:21]
	v_cmp_gt_u32_e64 s[14:15], 8, v17
	s_and_saveexec_b64 s[20:21], s[14:15]
	s_cbranch_execnz .LBB57_1082
.LBB57_447:
	s_or_b64 exec, exec, s[20:21]
	v_cmp_gt_u32_e64 s[14:15], 4, v17
	s_and_saveexec_b64 s[20:21], s[14:15]
	s_cbranch_execz .LBB57_449
.LBB57_448:
	v_lshlrev_b32_e32 v31, 3, v0
	v_mov_b32_e32 v33, 0
	ds_read_b64 v[31:32], v31 offset:14048
	ds_read_b64 v[33:34], v33 offset:12504
	s_waitcnt lgkmcnt(0)
	v_mul_f32_e32 v35, v34, v32
	v_mul_f32_e32 v32, v33, v32
	v_fma_f32 v33, v33, v31, -v35
	v_fmac_f32_e32 v32, v34, v31
	v_add_f32_e32 v10, v10, v33
	v_add_f32_e32 v11, v11, v32
.LBB57_449:
	s_or_b64 exec, exec, s[20:21]
	v_xor_b32_e32 v10, 0x80000000, v10
	v_xor_b32_e32 v11, 0x80000000, v11
.LBB57_450:
	s_or_b64 exec, exec, s[16:17]
	s_and_saveexec_b64 s[14:15], s[42:43]
; %bb.451:
	ds_write_b64 v18, v[10:11]
; %bb.452:
	s_or_b64 exec, exec, s[14:15]
	s_waitcnt lgkmcnt(0)
	s_barrier
	s_and_saveexec_b64 s[14:15], s[44:45]
	s_cbranch_execz .LBB57_454
; %bb.453:
	ds_read_b64 v[31:32], v16 offset:14560
	ds_read_b64 v[33:34], v18
	s_waitcnt lgkmcnt(0)
	v_mul_f32_e32 v35, v34, v32
	v_mul_f32_e32 v32, v33, v32
	v_fma_f32 v33, v33, v31, -v35
	v_fmac_f32_e32 v32, v34, v31
	v_add_f32_e32 v10, v10, v33
	v_add_f32_e32 v11, v11, v32
.LBB57_454:
	s_or_b64 exec, exec, s[14:15]
	s_barrier
	s_and_saveexec_b64 s[14:15], s[52:53]
; %bb.455:
	ds_write_b64 v18, v[10:11]
; %bb.456:
	s_or_b64 exec, exec, s[14:15]
	s_waitcnt lgkmcnt(0)
	s_barrier
	s_and_saveexec_b64 s[14:15], s[54:55]
	s_cbranch_execz .LBB57_458
; %bb.457:
	ds_read_b64 v[31:32], v16 offset:15072
	ds_read_b64 v[33:34], v18
	s_waitcnt lgkmcnt(0)
	v_mul_f32_e32 v35, v34, v32
	v_mul_f32_e32 v32, v33, v32
	v_fma_f32 v33, v33, v31, -v35
	v_fmac_f32_e32 v32, v34, v31
	v_add_f32_e32 v10, v10, v33
	v_add_f32_e32 v11, v11, v32
.LBB57_458:
	s_or_b64 exec, exec, s[14:15]
	s_barrier
	s_and_saveexec_b64 s[14:15], s[56:57]
; %bb.459:
	ds_write_b64 v18, v[10:11]
; %bb.460:
	s_or_b64 exec, exec, s[14:15]
	s_waitcnt lgkmcnt(0)
	s_barrier
	s_and_saveexec_b64 s[14:15], s[38:39]
	s_cbranch_execz .LBB57_462
; %bb.461:
	v_mov_b32_e32 v31, 0
	ds_read_b64 v[31:32], v31 offset:15608
	ds_read_b64 v[33:34], v18
	s_waitcnt lgkmcnt(0)
	v_mul_f32_e32 v35, v34, v32
	v_mul_f32_e32 v32, v33, v32
	v_fma_f32 v33, v33, v31, -v35
	v_fmac_f32_e32 v32, v34, v31
	v_add_f32_e32 v10, v10, v33
	v_add_f32_e32 v11, v11, v32
.LBB57_462:
	s_or_b64 exec, exec, s[14:15]
	s_barrier
	s_and_saveexec_b64 s[14:15], s[38:39]
; %bb.463:
	ds_write_b64 v18, v[10:11]
; %bb.464:
	s_or_b64 exec, exec, s[14:15]
	s_waitcnt lgkmcnt(0)
	s_barrier
	s_barrier
	s_and_saveexec_b64 s[14:15], s[18:19]
; %bb.465:
	v_xor_b32_e32 v10, 0x80000000, v10
	v_xor_b32_e32 v11, 0x80000000, v11
	ds_write_b64 v15, v[10:11] offset:12512
; %bb.466:
	s_or_b64 exec, exec, s[14:15]
	s_waitcnt lgkmcnt(0)
	s_barrier
	s_barrier
	s_and_saveexec_b64 s[14:15], s[58:59]
	s_cbranch_execz .LBB57_468
; %bb.467:
	v_lshlrev_b32_e32 v31, 9, v0
	ds_read_b64 v[10:11], v31 offset:12512
	s_movk_i32 s16, 0xfe08
	v_mad_i32_i24 v32, v0, s16, v31
	s_waitcnt lgkmcnt(0)
	ds_write_b64 v32, v[10:11] offset:14528
	ds_read_b64 v[10:11], v31 offset:12520
	s_waitcnt lgkmcnt(0)
	ds_write_b64 v32, v[10:11] offset:15040
	ds_read_b64 v[10:11], v31 offset:12528
	;; [unrolled: 3-line block ×3, first 2 shown]
	s_waitcnt lgkmcnt(0)
	ds_write_b64 v32, v[10:11] offset:16064
.LBB57_468:
	s_or_b64 exec, exec, s[14:15]
	s_waitcnt lgkmcnt(0)
	s_barrier
	s_and_saveexec_b64 s[14:15], vcc
	s_cbranch_execz .LBB57_470
; %bb.469:
	v_mov_b32_e32 v33, 0
	ds_read_b64 v[10:11], v33 offset:14568
	s_mov_b64 s[16:17], 0x3f800000
	v_mov_b32_e32 v32, s17
	v_mov_b32_e32 v31, s16
	s_movk_i32 s16, 0xe0
	ds_write_b64 v33, v[31:32] offset:15080
	v_add_u32_e64 v33, s16, 0
	s_waitcnt lgkmcnt(1)
	ds_write2st64_b64 v33, v[31:32], v[10:11] offset0:28 offset1:29
.LBB57_470:
	s_or_b64 exec, exec, s[14:15]
	v_mov_b32_e32 v11, 0
	v_mov_b32_e32 v10, 0
	s_waitcnt lgkmcnt(0)
	s_barrier
	s_and_saveexec_b64 s[16:17], s[2:3]
	s_cbranch_execz .LBB57_474
; %bb.471:
	v_mul_u32_u24_e32 v31, 0x208, v14
	ds_read_b64 v[10:11], v12 offset:14576
	ds_read_b64 v[31:32], v31 offset:14560
	v_cmp_gt_u32_e64 s[14:15], 2, v17
	s_waitcnt lgkmcnt(0)
	v_mul_f32_e32 v33, v32, v11
	v_mul_f32_e32 v11, v31, v11
	v_fma_f32 v31, v31, v10, -v33
	v_fmac_f32_e32 v11, v32, v10
	v_add_f32_e32 v10, 0, v31
	v_add_f32_e32 v11, 0, v11
	s_and_saveexec_b64 s[20:21], s[14:15]
	s_cbranch_execz .LBB57_473
; %bb.472:
	v_lshlrev_b32_e32 v31, 3, v0
	v_mov_b32_e32 v33, 0
	ds_read_b64 v[31:32], v31 offset:15088
	ds_read_b64 v[33:34], v33 offset:14568
	s_waitcnt lgkmcnt(0)
	v_mul_f32_e32 v35, v34, v32
	v_mul_f32_e32 v32, v33, v32
	v_fma_f32 v33, v33, v31, -v35
	v_fmac_f32_e32 v32, v34, v31
	v_add_f32_e32 v10, v10, v33
	v_add_f32_e32 v11, v11, v32
.LBB57_473:
	s_or_b64 exec, exec, s[20:21]
	v_xor_b32_e32 v10, 0x80000000, v10
	v_xor_b32_e32 v11, 0x80000000, v11
.LBB57_474:
	s_or_b64 exec, exec, s[16:17]
	s_and_saveexec_b64 s[14:15], s[34:35]
; %bb.475:
	ds_write_b64 v13, v[10:11]
; %bb.476:
	s_or_b64 exec, exec, s[14:15]
	s_waitcnt lgkmcnt(0)
	s_barrier
	s_and_saveexec_b64 s[14:15], s[30:31]
	s_cbranch_execz .LBB57_478
; %bb.477:
	v_mov_b32_e32 v31, 0
	ds_read_b64 v[31:32], v31 offset:15608
	ds_read_b64 v[33:34], v13
	s_waitcnt lgkmcnt(0)
	v_mul_f32_e32 v35, v34, v32
	v_mul_f32_e32 v32, v33, v32
	v_fma_f32 v33, v33, v31, -v35
	v_fmac_f32_e32 v32, v34, v31
	v_add_f32_e32 v10, v10, v33
	v_add_f32_e32 v11, v11, v32
.LBB57_478:
	s_or_b64 exec, exec, s[14:15]
	s_barrier
	s_and_saveexec_b64 s[14:15], s[30:31]
; %bb.479:
	ds_write_b64 v13, v[10:11]
; %bb.480:
	s_or_b64 exec, exec, s[14:15]
	s_waitcnt lgkmcnt(0)
	s_barrier
	s_barrier
	s_and_saveexec_b64 s[14:15], s[2:3]
; %bb.481:
	v_xor_b32_e32 v11, 0x80000000, v11
	v_xor_b32_e32 v10, 0x80000000, v10
	ds_write_b64 v12, v[10:11] offset:14576
; %bb.482:
	s_or_b64 exec, exec, s[14:15]
	s_waitcnt lgkmcnt(0)
	s_barrier
	s_barrier
	s_and_saveexec_b64 s[14:15], s[36:37]
	s_cbranch_execz .LBB57_484
; %bb.483:
	v_lshlrev_b32_e32 v31, 3, v0
	s_movk_i32 s16, 0x1f8
	v_mad_u32_u24 v32, v0, s16, v31
	ds_read_b64 v[10:11], v32 offset:14576
	s_waitcnt lgkmcnt(0)
	ds_write_b64 v31, v[10:11] offset:15584
	ds_read_b64 v[10:11], v32 offset:14584
	s_waitcnt lgkmcnt(0)
	ds_write_b64 v31, v[10:11] offset:16096
.LBB57_484:
	s_or_b64 exec, exec, s[14:15]
	s_waitcnt lgkmcnt(0)
	s_barrier
	s_and_saveexec_b64 s[14:15], vcc
	s_cbranch_execz .LBB57_486
; %bb.485:
	v_mov_b32_e32 v33, 0
	ds_read_b64 v[10:11], v33 offset:15608
	s_mov_b64 s[16:17], 0x3f800000
	v_mov_b32_e32 v32, s17
	v_mov_b32_e32 v31, s16
	s_movk_i32 s16, 0xf0
	ds_write_b64 v33, v[31:32] offset:16120
	v_add_u32_e64 v33, s16, 0
	s_waitcnt lgkmcnt(1)
	ds_write2st64_b64 v33, v[31:32], v[10:11] offset0:30 offset1:31
.LBB57_486:
	s_or_b64 exec, exec, s[14:15]
	s_movk_i32 s14, 0x3ff
	v_lshrrev_b32_e32 v33, 5, v17
	v_cmp_lt_u32_e64 s[16:17], s14, v17
	s_movk_i32 s14, 0x400
	v_mov_b32_e32 v11, 0
	v_and_b32_e32 v31, 31, v0
	v_cmp_gt_u32_e64 s[14:15], s14, v17
	v_lshlrev_b32_e32 v32, 9, v33
	v_mov_b32_e32 v10, v11
	s_waitcnt lgkmcnt(0)
	s_barrier
	s_and_saveexec_b64 s[94:95], s[14:15]
	s_cbranch_execz .LBB57_548
; %bb.487:
	v_lshlrev_b32_e32 v34, 3, v31
	v_add_u32_e32 v36, v34, v32
	v_mul_u32_u24_e32 v35, 0x208, v33
	ds_read_b64 v[10:11], v36 offset:256
	ds_read_b64 v[37:38], v35
	s_movk_i32 s20, 0x3e0
	v_cmp_gt_u32_e64 s[20:21], s20, v17
	s_waitcnt lgkmcnt(0)
	v_mul_f32_e32 v39, v38, v11
	v_mul_f32_e32 v11, v37, v11
	v_fma_f32 v37, v37, v10, -v39
	v_fmac_f32_e32 v11, v38, v10
	v_add_f32_e32 v10, 0, v37
	v_add_f32_e32 v11, 0, v11
	s_and_saveexec_b64 s[92:93], s[20:21]
	s_cbranch_execz .LBB57_489
; %bb.488:
	ds_read_b64 v[37:38], v36 offset:768
	ds_read_b64 v[39:40], v35 offset:8
	s_waitcnt lgkmcnt(0)
	v_mul_f32_e32 v41, v40, v38
	v_mul_f32_e32 v38, v39, v38
	v_fma_f32 v39, v39, v37, -v41
	v_fmac_f32_e32 v38, v40, v37
	v_add_f32_e32 v10, v10, v39
	v_add_f32_e32 v11, v11, v38
.LBB57_489:
	s_or_b64 exec, exec, s[92:93]
	s_movk_i32 s20, 0x3c0
	v_cmp_gt_u32_e64 s[20:21], s20, v17
	s_and_saveexec_b64 s[92:93], s[20:21]
	s_cbranch_execz .LBB57_491
; %bb.490:
	ds_read_b64 v[37:38], v36 offset:1280
	ds_read_b64 v[39:40], v35 offset:16
	s_waitcnt lgkmcnt(0)
	v_mul_f32_e32 v41, v40, v38
	v_mul_f32_e32 v38, v39, v38
	v_fma_f32 v39, v39, v37, -v41
	v_fmac_f32_e32 v38, v40, v37
	v_add_f32_e32 v10, v10, v39
	v_add_f32_e32 v11, v11, v38
.LBB57_491:
	s_or_b64 exec, exec, s[92:93]
	s_movk_i32 s20, 0x3a0
	v_cmp_gt_u32_e64 s[20:21], s20, v17
	;; [unrolled: 16-line block ×28, first 2 shown]
	s_and_saveexec_b64 s[92:93], s[20:21]
	s_cbranch_execnz .LBB57_1083
; %bb.544:
	s_or_b64 exec, exec, s[92:93]
	v_cmp_gt_u32_e64 s[20:21], 64, v17
	s_and_saveexec_b64 s[92:93], s[20:21]
	s_cbranch_execnz .LBB57_1084
.LBB57_545:
	s_or_b64 exec, exec, s[92:93]
	v_cmp_gt_u32_e64 s[20:21], 32, v17
	s_and_saveexec_b64 s[92:93], s[20:21]
	s_cbranch_execz .LBB57_547
.LBB57_546:
	ds_read_b64 v[36:37], v34 offset:16128
	ds_read_b64 v[34:35], v35 offset:248
	s_waitcnt lgkmcnt(0)
	v_mul_f32_e32 v38, v35, v37
	v_mul_f32_e32 v37, v34, v37
	v_fma_f32 v34, v34, v36, -v38
	v_fmac_f32_e32 v37, v35, v36
	v_add_f32_e32 v10, v10, v34
	v_add_f32_e32 v11, v11, v37
.LBB57_547:
	s_or_b64 exec, exec, s[92:93]
	v_xor_b32_e32 v10, 0x80000000, v10
	v_xor_b32_e32 v11, 0x80000000, v11
.LBB57_548:
	s_or_b64 exec, exec, s[94:95]
	v_mov_b32_e32 v34, 0x8000
	v_lshl_or_b32 v33, v33, 3, v34
	v_mov_b32_e32 v34, 0x4100
	v_lshl_or_b32 v34, v31, 3, v34
	s_mov_b32 s92, 0
	s_xor_b64 s[20:21], s[16:17], -1
	v_mov_b32_e32 v35, v31
	s_branch .LBB57_550
.LBB57_549:                             ;   in Loop: Header=BB57_550 Depth=1
	s_or_b64 exec, exec, s[16:17]
	s_add_i32 s92, s92, 2
	v_add_u32_e32 v34, 0x400, v34
	s_cmp_eq_u32 s92, 32
	v_add_u32_e32 v35, -2, v35
	s_barrier
	s_cbranch_scc1 .LBB57_558
.LBB57_550:                             ; =>This Inner Loop Header: Depth=1
	v_cmp_eq_u32_e64 s[16:17], 0, v35
	s_and_b64 s[94:95], s[20:21], s[16:17]
	s_and_saveexec_b64 s[16:17], s[94:95]
; %bb.551:                              ;   in Loop: Header=BB57_550 Depth=1
	ds_write_b64 v33, v[10:11]
; %bb.552:                              ;   in Loop: Header=BB57_550 Depth=1
	s_or_b64 exec, exec, s[16:17]
	v_cmp_lt_u32_e64 s[16:17], s92, v31
	s_and_b64 s[94:95], s[20:21], s[16:17]
	s_waitcnt lgkmcnt(0)
	s_barrier
	s_and_saveexec_b64 s[16:17], s[94:95]
	s_cbranch_execz .LBB57_554
; %bb.553:                              ;   in Loop: Header=BB57_550 Depth=1
	ds_read_b64 v[36:37], v34
	ds_read_b64 v[38:39], v33
	s_waitcnt lgkmcnt(0)
	v_mul_f32_e32 v40, v39, v37
	v_mul_f32_e32 v37, v38, v37
	v_fma_f32 v38, v38, v36, -v40
	v_fmac_f32_e32 v37, v39, v36
	v_add_f32_e32 v10, v10, v38
	v_add_f32_e32 v11, v11, v37
.LBB57_554:                             ;   in Loop: Header=BB57_550 Depth=1
	s_or_b64 exec, exec, s[16:17]
	s_or_b32 s93, s92, 1
	v_cmp_eq_u32_e64 s[16:17], s93, v31
	s_and_b64 s[94:95], s[20:21], s[16:17]
	s_barrier
	s_and_saveexec_b64 s[16:17], s[94:95]
; %bb.555:                              ;   in Loop: Header=BB57_550 Depth=1
	ds_write_b64 v33, v[10:11]
; %bb.556:                              ;   in Loop: Header=BB57_550 Depth=1
	s_or_b64 exec, exec, s[16:17]
	v_cmp_lt_u32_e64 s[16:17], s93, v31
	s_and_b64 s[94:95], s[20:21], s[16:17]
	s_waitcnt lgkmcnt(0)
	s_barrier
	s_and_saveexec_b64 s[16:17], s[94:95]
	s_cbranch_execz .LBB57_549
; %bb.557:                              ;   in Loop: Header=BB57_550 Depth=1
	ds_read_b64 v[36:37], v34 offset:512
	ds_read_b64 v[38:39], v33
	s_waitcnt lgkmcnt(0)
	v_mul_f32_e32 v40, v39, v37
	v_mul_f32_e32 v37, v38, v37
	v_fma_f32 v38, v38, v36, -v40
	v_fmac_f32_e32 v37, v39, v36
	v_add_f32_e32 v10, v10, v38
	v_add_f32_e32 v11, v11, v37
	s_branch .LBB57_549
.LBB57_558:
	s_and_saveexec_b64 s[16:17], s[14:15]
; %bb.559:
	v_lshl_add_u32 v31, v31, 3, v32
	v_xor_b32_e32 v11, 0x80000000, v11
	v_xor_b32_e32 v10, 0x80000000, v10
	ds_write_b64 v31, v[10:11] offset:256
; %bb.560:
	s_or_b64 exec, exec, s[16:17]
	v_cmp_gt_u32_e64 s[14:15], 32, v0
	s_and_b64 s[14:15], s[12:13], s[14:15]
	s_waitcnt lgkmcnt(0)
	s_barrier
	s_barrier
	s_and_saveexec_b64 s[12:13], s[14:15]
	s_cbranch_execz .LBB57_562
; %bb.561:
	v_lshlrev_b32_e32 v31, 9, v0
	ds_read_b64 v[10:11], v31 offset:256
	s_movk_i32 s14, 0xfe08
	v_mad_i32_i24 v32, v0, s14, v31
	s_waitcnt lgkmcnt(0)
	ds_write_b64 v32, v[10:11] offset:16384
	ds_read_b64 v[10:11], v31 offset:264
	s_waitcnt lgkmcnt(0)
	ds_write_b64 v32, v[10:11] offset:16896
	ds_read_b64 v[10:11], v31 offset:272
	;; [unrolled: 3-line block ×31, first 2 shown]
	s_waitcnt lgkmcnt(0)
	ds_write_b64 v32, v[10:11] offset:32256
.LBB57_562:
	s_or_b64 exec, exec, s[12:13]
	s_waitcnt lgkmcnt(0)
	s_barrier
	s_and_saveexec_b64 s[12:13], vcc
	s_cbranch_execz .LBB57_564
; %bb.563:
	v_mov_b32_e32 v33, 0
	ds_read_b64 v[10:11], v33 offset:16648
	s_mov_b64 s[14:15], 0x3f800000
	v_mov_b32_e32 v32, s15
	v_mov_b32_e32 v31, s14
	s_movk_i32 s14, 0x100
	ds_write_b64 v33, v[31:32] offset:17160
	v_add_u32_e64 v33, s14, 0
	s_waitcnt lgkmcnt(1)
	ds_write2st64_b64 v33, v[31:32], v[10:11] offset0:32 offset1:33
.LBB57_564:
	s_or_b64 exec, exec, s[12:13]
	v_mov_b32_e32 v11, 0
	v_mov_b32_e32 v10, 0
	s_waitcnt lgkmcnt(0)
	s_barrier
	s_and_saveexec_b64 s[14:15], s[2:3]
	s_cbranch_execz .LBB57_568
; %bb.565:
	v_mul_u32_u24_e32 v31, 0x208, v14
	ds_read_b64 v[10:11], v12 offset:16656
	ds_read_b64 v[31:32], v31 offset:16640
	v_cmp_gt_u32_e64 s[12:13], 2, v17
	s_waitcnt lgkmcnt(0)
	v_mul_f32_e32 v33, v32, v11
	v_mul_f32_e32 v11, v31, v11
	v_fma_f32 v31, v31, v10, -v33
	v_fmac_f32_e32 v11, v32, v10
	v_add_f32_e32 v10, 0, v31
	v_add_f32_e32 v11, 0, v11
	s_and_saveexec_b64 s[16:17], s[12:13]
	s_cbranch_execz .LBB57_567
; %bb.566:
	v_lshlrev_b32_e32 v31, 3, v0
	v_mov_b32_e32 v33, 0
	ds_read_b64 v[31:32], v31 offset:17168
	ds_read_b64 v[33:34], v33 offset:16648
	s_waitcnt lgkmcnt(0)
	v_mul_f32_e32 v35, v34, v32
	v_mul_f32_e32 v32, v33, v32
	v_fma_f32 v33, v33, v31, -v35
	v_fmac_f32_e32 v32, v34, v31
	v_add_f32_e32 v10, v10, v33
	v_add_f32_e32 v11, v11, v32
.LBB57_567:
	s_or_b64 exec, exec, s[16:17]
	v_xor_b32_e32 v10, 0x80000000, v10
	v_xor_b32_e32 v11, 0x80000000, v11
.LBB57_568:
	s_or_b64 exec, exec, s[14:15]
	s_and_saveexec_b64 s[12:13], s[34:35]
; %bb.569:
	ds_write_b64 v13, v[10:11]
; %bb.570:
	s_or_b64 exec, exec, s[12:13]
	s_waitcnt lgkmcnt(0)
	s_barrier
	s_and_saveexec_b64 s[12:13], s[30:31]
	s_cbranch_execz .LBB57_572
; %bb.571:
	v_mov_b32_e32 v31, 0
	ds_read_b64 v[31:32], v31 offset:17688
	ds_read_b64 v[33:34], v13
	s_waitcnt lgkmcnt(0)
	v_mul_f32_e32 v35, v34, v32
	v_mul_f32_e32 v32, v33, v32
	v_fma_f32 v33, v33, v31, -v35
	v_fmac_f32_e32 v32, v34, v31
	v_add_f32_e32 v10, v10, v33
	v_add_f32_e32 v11, v11, v32
.LBB57_572:
	s_or_b64 exec, exec, s[12:13]
	s_barrier
	s_and_saveexec_b64 s[12:13], s[30:31]
; %bb.573:
	ds_write_b64 v13, v[10:11]
; %bb.574:
	s_or_b64 exec, exec, s[12:13]
	s_waitcnt lgkmcnt(0)
	s_barrier
	s_barrier
	s_and_saveexec_b64 s[12:13], s[2:3]
; %bb.575:
	v_xor_b32_e32 v11, 0x80000000, v11
	v_xor_b32_e32 v10, 0x80000000, v10
	ds_write_b64 v12, v[10:11] offset:16656
; %bb.576:
	s_or_b64 exec, exec, s[12:13]
	s_waitcnt lgkmcnt(0)
	s_barrier
	s_barrier
	s_and_saveexec_b64 s[12:13], s[36:37]
	s_cbranch_execz .LBB57_578
; %bb.577:
	v_lshlrev_b32_e32 v31, 3, v0
	s_movk_i32 s14, 0x1f8
	v_mad_u32_u24 v32, v0, s14, v31
	ds_read_b64 v[10:11], v32 offset:16656
	s_waitcnt lgkmcnt(0)
	ds_write_b64 v31, v[10:11] offset:17664
	ds_read_b64 v[10:11], v32 offset:16664
	s_waitcnt lgkmcnt(0)
	ds_write_b64 v31, v[10:11] offset:18176
.LBB57_578:
	s_or_b64 exec, exec, s[12:13]
	s_waitcnt lgkmcnt(0)
	s_barrier
	s_and_saveexec_b64 s[12:13], vcc
	s_cbranch_execz .LBB57_580
; %bb.579:
	v_mov_b32_e32 v33, 0
	ds_read_b64 v[10:11], v33 offset:17688
	s_mov_b64 s[14:15], 0x3f800000
	v_mov_b32_e32 v32, s15
	v_mov_b32_e32 v31, s14
	s_movk_i32 s14, 0x110
	ds_write_b64 v33, v[31:32] offset:18200
	v_add_u32_e64 v33, s14, 0
	s_waitcnt lgkmcnt(1)
	ds_write2st64_b64 v33, v[31:32], v[10:11] offset0:34 offset1:35
.LBB57_580:
	s_or_b64 exec, exec, s[12:13]
	v_mov_b32_e32 v11, 0
	v_mov_b32_e32 v10, 0
	s_waitcnt lgkmcnt(0)
	s_barrier
	s_and_saveexec_b64 s[14:15], s[18:19]
	s_cbranch_execz .LBB57_586
; %bb.581:
	v_mul_u32_u24_e32 v31, 0x208, v20
	ds_read_b64 v[10:11], v15 offset:16672
	ds_read_b64 v[32:33], v31 offset:16640
	v_cmp_gt_u32_e64 s[12:13], 12, v17
	s_waitcnt lgkmcnt(0)
	v_mul_f32_e32 v34, v33, v11
	v_mul_f32_e32 v11, v32, v11
	v_fma_f32 v32, v32, v10, -v34
	v_fmac_f32_e32 v11, v33, v10
	v_add_f32_e32 v10, 0, v32
	v_add_f32_e32 v11, 0, v11
	s_and_saveexec_b64 s[16:17], s[12:13]
	s_cbranch_execnz .LBB57_1085
; %bb.582:
	s_or_b64 exec, exec, s[16:17]
	v_cmp_gt_u32_e64 s[12:13], 8, v17
	s_and_saveexec_b64 s[16:17], s[12:13]
	s_cbranch_execnz .LBB57_1086
.LBB57_583:
	s_or_b64 exec, exec, s[16:17]
	v_cmp_gt_u32_e64 s[12:13], 4, v17
	s_and_saveexec_b64 s[16:17], s[12:13]
	s_cbranch_execz .LBB57_585
.LBB57_584:
	v_lshlrev_b32_e32 v31, 3, v0
	v_mov_b32_e32 v33, 0
	ds_read_b64 v[31:32], v31 offset:18208
	ds_read_b64 v[33:34], v33 offset:16664
	s_waitcnt lgkmcnt(0)
	v_mul_f32_e32 v35, v34, v32
	v_mul_f32_e32 v32, v33, v32
	v_fma_f32 v33, v33, v31, -v35
	v_fmac_f32_e32 v32, v34, v31
	v_add_f32_e32 v10, v10, v33
	v_add_f32_e32 v11, v11, v32
.LBB57_585:
	s_or_b64 exec, exec, s[16:17]
	v_xor_b32_e32 v10, 0x80000000, v10
	v_xor_b32_e32 v11, 0x80000000, v11
.LBB57_586:
	s_or_b64 exec, exec, s[14:15]
	s_and_saveexec_b64 s[12:13], s[42:43]
; %bb.587:
	ds_write_b64 v18, v[10:11]
; %bb.588:
	s_or_b64 exec, exec, s[12:13]
	s_waitcnt lgkmcnt(0)
	s_barrier
	s_and_saveexec_b64 s[12:13], s[44:45]
	s_cbranch_execz .LBB57_590
; %bb.589:
	ds_read_b64 v[31:32], v16 offset:18720
	ds_read_b64 v[33:34], v18
	s_waitcnt lgkmcnt(0)
	v_mul_f32_e32 v35, v34, v32
	v_mul_f32_e32 v32, v33, v32
	v_fma_f32 v33, v33, v31, -v35
	v_fmac_f32_e32 v32, v34, v31
	v_add_f32_e32 v10, v10, v33
	v_add_f32_e32 v11, v11, v32
.LBB57_590:
	s_or_b64 exec, exec, s[12:13]
	s_barrier
	s_and_saveexec_b64 s[12:13], s[52:53]
; %bb.591:
	ds_write_b64 v18, v[10:11]
; %bb.592:
	s_or_b64 exec, exec, s[12:13]
	s_waitcnt lgkmcnt(0)
	s_barrier
	s_and_saveexec_b64 s[12:13], s[54:55]
	s_cbranch_execz .LBB57_594
; %bb.593:
	ds_read_b64 v[31:32], v16 offset:19232
	ds_read_b64 v[33:34], v18
	s_waitcnt lgkmcnt(0)
	v_mul_f32_e32 v35, v34, v32
	v_mul_f32_e32 v32, v33, v32
	v_fma_f32 v33, v33, v31, -v35
	v_fmac_f32_e32 v32, v34, v31
	v_add_f32_e32 v10, v10, v33
	v_add_f32_e32 v11, v11, v32
.LBB57_594:
	s_or_b64 exec, exec, s[12:13]
	s_barrier
	s_and_saveexec_b64 s[12:13], s[56:57]
; %bb.595:
	ds_write_b64 v18, v[10:11]
; %bb.596:
	s_or_b64 exec, exec, s[12:13]
	s_waitcnt lgkmcnt(0)
	s_barrier
	s_and_saveexec_b64 s[12:13], s[38:39]
	s_cbranch_execz .LBB57_598
; %bb.597:
	v_mov_b32_e32 v31, 0
	ds_read_b64 v[31:32], v31 offset:19768
	ds_read_b64 v[33:34], v18
	s_waitcnt lgkmcnt(0)
	v_mul_f32_e32 v35, v34, v32
	v_mul_f32_e32 v32, v33, v32
	v_fma_f32 v33, v33, v31, -v35
	v_fmac_f32_e32 v32, v34, v31
	v_add_f32_e32 v10, v10, v33
	v_add_f32_e32 v11, v11, v32
.LBB57_598:
	s_or_b64 exec, exec, s[12:13]
	s_barrier
	s_and_saveexec_b64 s[12:13], s[38:39]
; %bb.599:
	ds_write_b64 v18, v[10:11]
; %bb.600:
	s_or_b64 exec, exec, s[12:13]
	s_waitcnt lgkmcnt(0)
	s_barrier
	s_barrier
	s_and_saveexec_b64 s[12:13], s[18:19]
; %bb.601:
	v_xor_b32_e32 v10, 0x80000000, v10
	v_xor_b32_e32 v11, 0x80000000, v11
	ds_write_b64 v15, v[10:11] offset:16672
; %bb.602:
	s_or_b64 exec, exec, s[12:13]
	s_waitcnt lgkmcnt(0)
	s_barrier
	s_barrier
	s_and_saveexec_b64 s[12:13], s[58:59]
	s_cbranch_execz .LBB57_604
; %bb.603:
	v_lshlrev_b32_e32 v31, 9, v0
	ds_read_b64 v[10:11], v31 offset:16672
	s_movk_i32 s14, 0xfe08
	v_mad_i32_i24 v32, v0, s14, v31
	s_waitcnt lgkmcnt(0)
	ds_write_b64 v32, v[10:11] offset:18688
	ds_read_b64 v[10:11], v31 offset:16680
	s_waitcnt lgkmcnt(0)
	ds_write_b64 v32, v[10:11] offset:19200
	ds_read_b64 v[10:11], v31 offset:16688
	;; [unrolled: 3-line block ×3, first 2 shown]
	s_waitcnt lgkmcnt(0)
	ds_write_b64 v32, v[10:11] offset:20224
.LBB57_604:
	s_or_b64 exec, exec, s[12:13]
	s_waitcnt lgkmcnt(0)
	s_barrier
	s_and_saveexec_b64 s[12:13], vcc
	s_cbranch_execz .LBB57_606
; %bb.605:
	v_mov_b32_e32 v33, 0
	ds_read_b64 v[10:11], v33 offset:18728
	s_mov_b64 s[14:15], 0x3f800000
	v_mov_b32_e32 v32, s15
	v_mov_b32_e32 v31, s14
	s_movk_i32 s14, 0x120
	ds_write_b64 v33, v[31:32] offset:19240
	v_add_u32_e64 v33, s14, 0
	s_waitcnt lgkmcnt(1)
	ds_write2st64_b64 v33, v[31:32], v[10:11] offset0:36 offset1:37
.LBB57_606:
	s_or_b64 exec, exec, s[12:13]
	v_mov_b32_e32 v11, 0
	v_mov_b32_e32 v10, 0
	s_waitcnt lgkmcnt(0)
	s_barrier
	s_and_saveexec_b64 s[14:15], s[2:3]
	s_cbranch_execz .LBB57_610
; %bb.607:
	v_mul_u32_u24_e32 v31, 0x208, v14
	ds_read_b64 v[10:11], v12 offset:18736
	ds_read_b64 v[31:32], v31 offset:18720
	v_cmp_gt_u32_e64 s[12:13], 2, v17
	s_waitcnt lgkmcnt(0)
	v_mul_f32_e32 v33, v32, v11
	v_mul_f32_e32 v11, v31, v11
	v_fma_f32 v31, v31, v10, -v33
	v_fmac_f32_e32 v11, v32, v10
	v_add_f32_e32 v10, 0, v31
	v_add_f32_e32 v11, 0, v11
	s_and_saveexec_b64 s[16:17], s[12:13]
	s_cbranch_execz .LBB57_609
; %bb.608:
	v_lshlrev_b32_e32 v31, 3, v0
	v_mov_b32_e32 v33, 0
	ds_read_b64 v[31:32], v31 offset:19248
	ds_read_b64 v[33:34], v33 offset:18728
	s_waitcnt lgkmcnt(0)
	v_mul_f32_e32 v35, v34, v32
	v_mul_f32_e32 v32, v33, v32
	v_fma_f32 v33, v33, v31, -v35
	v_fmac_f32_e32 v32, v34, v31
	v_add_f32_e32 v10, v10, v33
	v_add_f32_e32 v11, v11, v32
.LBB57_609:
	s_or_b64 exec, exec, s[16:17]
	v_xor_b32_e32 v10, 0x80000000, v10
	v_xor_b32_e32 v11, 0x80000000, v11
.LBB57_610:
	s_or_b64 exec, exec, s[14:15]
	s_and_saveexec_b64 s[12:13], s[34:35]
; %bb.611:
	ds_write_b64 v13, v[10:11]
; %bb.612:
	s_or_b64 exec, exec, s[12:13]
	s_waitcnt lgkmcnt(0)
	s_barrier
	s_and_saveexec_b64 s[12:13], s[30:31]
	s_cbranch_execz .LBB57_614
; %bb.613:
	v_mov_b32_e32 v31, 0
	ds_read_b64 v[31:32], v31 offset:19768
	ds_read_b64 v[33:34], v13
	s_waitcnt lgkmcnt(0)
	v_mul_f32_e32 v35, v34, v32
	v_mul_f32_e32 v32, v33, v32
	v_fma_f32 v33, v33, v31, -v35
	v_fmac_f32_e32 v32, v34, v31
	v_add_f32_e32 v10, v10, v33
	v_add_f32_e32 v11, v11, v32
.LBB57_614:
	s_or_b64 exec, exec, s[12:13]
	s_barrier
	s_and_saveexec_b64 s[12:13], s[30:31]
; %bb.615:
	ds_write_b64 v13, v[10:11]
; %bb.616:
	s_or_b64 exec, exec, s[12:13]
	s_waitcnt lgkmcnt(0)
	s_barrier
	s_barrier
	s_and_saveexec_b64 s[12:13], s[2:3]
; %bb.617:
	v_xor_b32_e32 v11, 0x80000000, v11
	v_xor_b32_e32 v10, 0x80000000, v10
	ds_write_b64 v12, v[10:11] offset:18736
; %bb.618:
	s_or_b64 exec, exec, s[12:13]
	s_waitcnt lgkmcnt(0)
	s_barrier
	s_barrier
	s_and_saveexec_b64 s[12:13], s[36:37]
	s_cbranch_execz .LBB57_620
; %bb.619:
	v_lshlrev_b32_e32 v31, 3, v0
	s_movk_i32 s14, 0x1f8
	v_mad_u32_u24 v32, v0, s14, v31
	ds_read_b64 v[10:11], v32 offset:18736
	s_waitcnt lgkmcnt(0)
	ds_write_b64 v31, v[10:11] offset:19744
	ds_read_b64 v[10:11], v32 offset:18744
	s_waitcnt lgkmcnt(0)
	ds_write_b64 v31, v[10:11] offset:20256
.LBB57_620:
	s_or_b64 exec, exec, s[12:13]
	s_waitcnt lgkmcnt(0)
	s_barrier
	s_and_saveexec_b64 s[12:13], vcc
	s_cbranch_execz .LBB57_622
; %bb.621:
	v_mov_b32_e32 v33, 0
	ds_read_b64 v[10:11], v33 offset:19768
	s_mov_b64 s[14:15], 0x3f800000
	v_mov_b32_e32 v32, s15
	v_mov_b32_e32 v31, s14
	s_movk_i32 s14, 0x130
	ds_write_b64 v33, v[31:32] offset:20280
	v_add_u32_e64 v33, s14, 0
	s_waitcnt lgkmcnt(1)
	ds_write2st64_b64 v33, v[31:32], v[10:11] offset0:38 offset1:39
.LBB57_622:
	s_or_b64 exec, exec, s[12:13]
	v_mov_b32_e32 v11, 0
	v_mov_b32_e32 v10, 0
	s_waitcnt lgkmcnt(0)
	s_barrier
	s_and_saveexec_b64 s[14:15], s[8:9]
	s_cbranch_execz .LBB57_632
; %bb.623:
	v_mul_u32_u24_e32 v31, 0x208, v25
	ds_read_b64 v[10:11], v21 offset:16704
	ds_read_b64 v[32:33], v31 offset:16640
	v_cmp_gt_u32_e64 s[12:13], 56, v17
	s_waitcnt lgkmcnt(0)
	v_mul_f32_e32 v34, v33, v11
	v_mul_f32_e32 v11, v32, v11
	v_fma_f32 v32, v32, v10, -v34
	v_fmac_f32_e32 v11, v33, v10
	v_add_f32_e32 v10, 0, v32
	v_add_f32_e32 v11, 0, v11
	s_and_saveexec_b64 s[16:17], s[12:13]
	s_cbranch_execnz .LBB57_1087
; %bb.624:
	s_or_b64 exec, exec, s[16:17]
	v_cmp_gt_u32_e64 s[12:13], 48, v17
	s_and_saveexec_b64 s[16:17], s[12:13]
	s_cbranch_execnz .LBB57_1088
.LBB57_625:
	s_or_b64 exec, exec, s[16:17]
	v_cmp_gt_u32_e64 s[12:13], 40, v17
	s_and_saveexec_b64 s[16:17], s[12:13]
	s_cbranch_execnz .LBB57_1089
.LBB57_626:
	s_or_b64 exec, exec, s[16:17]
	v_cmp_gt_u32_e64 s[12:13], 32, v17
	s_and_saveexec_b64 s[16:17], s[12:13]
	s_cbranch_execnz .LBB57_1090
.LBB57_627:
	s_or_b64 exec, exec, s[16:17]
	v_cmp_gt_u32_e64 s[12:13], 24, v17
	s_and_saveexec_b64 s[16:17], s[12:13]
	s_cbranch_execnz .LBB57_1091
.LBB57_628:
	s_or_b64 exec, exec, s[16:17]
	v_cmp_gt_u32_e64 s[12:13], 16, v17
	s_and_saveexec_b64 s[16:17], s[12:13]
	s_cbranch_execnz .LBB57_1092
.LBB57_629:
	s_or_b64 exec, exec, s[16:17]
	v_cmp_gt_u32_e64 s[12:13], 8, v17
	s_and_saveexec_b64 s[16:17], s[12:13]
	s_cbranch_execz .LBB57_631
.LBB57_630:
	v_lshlrev_b32_e32 v31, 3, v0
	v_mov_b32_e32 v33, 0
	ds_read_b64 v[31:32], v31 offset:20288
	ds_read_b64 v[33:34], v33 offset:16696
	s_waitcnt lgkmcnt(0)
	v_mul_f32_e32 v35, v34, v32
	v_mul_f32_e32 v32, v33, v32
	v_fma_f32 v33, v33, v31, -v35
	v_fmac_f32_e32 v32, v34, v31
	v_add_f32_e32 v10, v10, v33
	v_add_f32_e32 v11, v11, v32
.LBB57_631:
	s_or_b64 exec, exec, s[16:17]
	v_xor_b32_e32 v10, 0x80000000, v10
	v_xor_b32_e32 v11, 0x80000000, v11
.LBB57_632:
	s_or_b64 exec, exec, s[14:15]
	s_and_saveexec_b64 s[12:13], s[62:63]
; %bb.633:
	ds_write_b64 v23, v[10:11]
; %bb.634:
	s_or_b64 exec, exec, s[12:13]
	s_waitcnt lgkmcnt(0)
	s_barrier
	s_and_saveexec_b64 s[12:13], s[64:65]
	s_cbranch_execz .LBB57_636
; %bb.635:
	ds_read_b64 v[31:32], v22 offset:20800
	ds_read_b64 v[33:34], v23
	s_waitcnt lgkmcnt(0)
	v_mul_f32_e32 v35, v34, v32
	v_mul_f32_e32 v32, v33, v32
	v_fma_f32 v33, v33, v31, -v35
	v_fmac_f32_e32 v32, v34, v31
	v_add_f32_e32 v10, v10, v33
	v_add_f32_e32 v11, v11, v32
.LBB57_636:
	s_or_b64 exec, exec, s[12:13]
	s_barrier
	s_and_saveexec_b64 s[12:13], s[66:67]
; %bb.637:
	ds_write_b64 v23, v[10:11]
; %bb.638:
	s_or_b64 exec, exec, s[12:13]
	s_waitcnt lgkmcnt(0)
	s_barrier
	s_and_saveexec_b64 s[12:13], s[68:69]
	s_cbranch_execz .LBB57_640
; %bb.639:
	ds_read_b64 v[31:32], v22 offset:21312
	ds_read_b64 v[33:34], v23
	s_waitcnt lgkmcnt(0)
	v_mul_f32_e32 v35, v34, v32
	v_mul_f32_e32 v32, v33, v32
	v_fma_f32 v33, v33, v31, -v35
	v_fmac_f32_e32 v32, v34, v31
	v_add_f32_e32 v10, v10, v33
	v_add_f32_e32 v11, v11, v32
.LBB57_640:
	s_or_b64 exec, exec, s[12:13]
	s_barrier
	;; [unrolled: 22-line block ×6, first 2 shown]
	s_and_saveexec_b64 s[12:13], s[86:87]
; %bb.657:
	ds_write_b64 v23, v[10:11]
; %bb.658:
	s_or_b64 exec, exec, s[12:13]
	s_waitcnt lgkmcnt(0)
	s_barrier
	s_and_saveexec_b64 s[12:13], s[60:61]
	s_cbranch_execz .LBB57_660
; %bb.659:
	v_mov_b32_e32 v31, 0
	ds_read_b64 v[31:32], v31 offset:23928
	ds_read_b64 v[33:34], v23
	s_waitcnt lgkmcnt(0)
	v_mul_f32_e32 v35, v34, v32
	v_mul_f32_e32 v32, v33, v32
	v_fma_f32 v33, v33, v31, -v35
	v_fmac_f32_e32 v32, v34, v31
	v_add_f32_e32 v10, v10, v33
	v_add_f32_e32 v11, v11, v32
.LBB57_660:
	s_or_b64 exec, exec, s[12:13]
	s_barrier
	s_and_saveexec_b64 s[12:13], s[60:61]
; %bb.661:
	ds_write_b64 v23, v[10:11]
; %bb.662:
	s_or_b64 exec, exec, s[12:13]
	s_waitcnt lgkmcnt(0)
	s_barrier
	s_barrier
	s_and_saveexec_b64 s[12:13], s[8:9]
; %bb.663:
	v_xor_b32_e32 v11, 0x80000000, v11
	v_xor_b32_e32 v10, 0x80000000, v10
	ds_write_b64 v21, v[10:11] offset:16704
; %bb.664:
	s_or_b64 exec, exec, s[12:13]
	s_waitcnt lgkmcnt(0)
	s_barrier
	s_barrier
	s_and_saveexec_b64 s[12:13], s[88:89]
	s_cbranch_execz .LBB57_666
; %bb.665:
	v_lshlrev_b32_e32 v31, 9, v0
	ds_read_b64 v[10:11], v31 offset:16704
	s_movk_i32 s14, 0xfe08
	v_mad_i32_i24 v32, v0, s14, v31
	s_waitcnt lgkmcnt(0)
	ds_write_b64 v32, v[10:11] offset:20736
	ds_read_b64 v[10:11], v31 offset:16712
	s_waitcnt lgkmcnt(0)
	ds_write_b64 v32, v[10:11] offset:21248
	ds_read_b64 v[10:11], v31 offset:16720
	;; [unrolled: 3-line block ×7, first 2 shown]
	s_waitcnt lgkmcnt(0)
	ds_write_b64 v32, v[10:11] offset:24320
.LBB57_666:
	s_or_b64 exec, exec, s[12:13]
	s_waitcnt lgkmcnt(0)
	s_barrier
	s_and_saveexec_b64 s[12:13], vcc
	s_cbranch_execz .LBB57_668
; %bb.667:
	v_mov_b32_e32 v33, 0
	ds_read_b64 v[10:11], v33 offset:20808
	s_mov_b64 s[14:15], 0x3f800000
	v_mov_b32_e32 v32, s15
	v_mov_b32_e32 v31, s14
	s_movk_i32 s14, 0x140
	ds_write_b64 v33, v[31:32] offset:21320
	v_add_u32_e64 v33, s14, 0
	s_waitcnt lgkmcnt(1)
	ds_write2st64_b64 v33, v[31:32], v[10:11] offset0:40 offset1:41
.LBB57_668:
	s_or_b64 exec, exec, s[12:13]
	v_mov_b32_e32 v11, 0
	v_mov_b32_e32 v10, 0
	s_waitcnt lgkmcnt(0)
	s_barrier
	s_and_saveexec_b64 s[14:15], s[2:3]
	s_cbranch_execz .LBB57_672
; %bb.669:
	v_mul_u32_u24_e32 v31, 0x208, v14
	ds_read_b64 v[10:11], v12 offset:20816
	ds_read_b64 v[31:32], v31 offset:20800
	v_cmp_gt_u32_e64 s[12:13], 2, v17
	s_waitcnt lgkmcnt(0)
	v_mul_f32_e32 v33, v32, v11
	v_mul_f32_e32 v11, v31, v11
	v_fma_f32 v31, v31, v10, -v33
	v_fmac_f32_e32 v11, v32, v10
	v_add_f32_e32 v10, 0, v31
	v_add_f32_e32 v11, 0, v11
	s_and_saveexec_b64 s[16:17], s[12:13]
	s_cbranch_execz .LBB57_671
; %bb.670:
	v_lshlrev_b32_e32 v31, 3, v0
	v_mov_b32_e32 v33, 0
	ds_read_b64 v[31:32], v31 offset:21328
	ds_read_b64 v[33:34], v33 offset:20808
	s_waitcnt lgkmcnt(0)
	v_mul_f32_e32 v35, v34, v32
	v_mul_f32_e32 v32, v33, v32
	v_fma_f32 v33, v33, v31, -v35
	v_fmac_f32_e32 v32, v34, v31
	v_add_f32_e32 v10, v10, v33
	v_add_f32_e32 v11, v11, v32
.LBB57_671:
	s_or_b64 exec, exec, s[16:17]
	v_xor_b32_e32 v10, 0x80000000, v10
	v_xor_b32_e32 v11, 0x80000000, v11
.LBB57_672:
	s_or_b64 exec, exec, s[14:15]
	s_and_saveexec_b64 s[12:13], s[34:35]
; %bb.673:
	ds_write_b64 v13, v[10:11]
; %bb.674:
	s_or_b64 exec, exec, s[12:13]
	s_waitcnt lgkmcnt(0)
	s_barrier
	s_and_saveexec_b64 s[12:13], s[30:31]
	s_cbranch_execz .LBB57_676
; %bb.675:
	v_mov_b32_e32 v31, 0
	ds_read_b64 v[31:32], v31 offset:21848
	ds_read_b64 v[33:34], v13
	s_waitcnt lgkmcnt(0)
	v_mul_f32_e32 v35, v34, v32
	v_mul_f32_e32 v32, v33, v32
	v_fma_f32 v33, v33, v31, -v35
	v_fmac_f32_e32 v32, v34, v31
	v_add_f32_e32 v10, v10, v33
	v_add_f32_e32 v11, v11, v32
.LBB57_676:
	s_or_b64 exec, exec, s[12:13]
	s_barrier
	s_and_saveexec_b64 s[12:13], s[30:31]
; %bb.677:
	ds_write_b64 v13, v[10:11]
; %bb.678:
	s_or_b64 exec, exec, s[12:13]
	s_waitcnt lgkmcnt(0)
	s_barrier
	s_barrier
	s_and_saveexec_b64 s[12:13], s[2:3]
; %bb.679:
	v_xor_b32_e32 v11, 0x80000000, v11
	v_xor_b32_e32 v10, 0x80000000, v10
	ds_write_b64 v12, v[10:11] offset:20816
; %bb.680:
	s_or_b64 exec, exec, s[12:13]
	s_waitcnt lgkmcnt(0)
	s_barrier
	s_barrier
	s_and_saveexec_b64 s[12:13], s[36:37]
	s_cbranch_execz .LBB57_682
; %bb.681:
	v_lshlrev_b32_e32 v31, 3, v0
	s_movk_i32 s14, 0x1f8
	v_mad_u32_u24 v32, v0, s14, v31
	ds_read_b64 v[10:11], v32 offset:20816
	s_waitcnt lgkmcnt(0)
	ds_write_b64 v31, v[10:11] offset:21824
	ds_read_b64 v[10:11], v32 offset:20824
	s_waitcnt lgkmcnt(0)
	ds_write_b64 v31, v[10:11] offset:22336
.LBB57_682:
	s_or_b64 exec, exec, s[12:13]
	s_waitcnt lgkmcnt(0)
	s_barrier
	s_and_saveexec_b64 s[12:13], vcc
	s_cbranch_execz .LBB57_684
; %bb.683:
	v_mov_b32_e32 v33, 0
	ds_read_b64 v[10:11], v33 offset:21848
	s_mov_b64 s[14:15], 0x3f800000
	v_mov_b32_e32 v32, s15
	v_mov_b32_e32 v31, s14
	s_movk_i32 s14, 0x150
	ds_write_b64 v33, v[31:32] offset:22360
	v_add_u32_e64 v33, s14, 0
	s_waitcnt lgkmcnt(1)
	ds_write2st64_b64 v33, v[31:32], v[10:11] offset0:42 offset1:43
.LBB57_684:
	s_or_b64 exec, exec, s[12:13]
	v_mov_b32_e32 v11, 0
	v_mov_b32_e32 v10, 0
	s_waitcnt lgkmcnt(0)
	s_barrier
	s_and_saveexec_b64 s[14:15], s[18:19]
	s_cbranch_execz .LBB57_690
; %bb.685:
	v_mul_u32_u24_e32 v31, 0x208, v20
	ds_read_b64 v[10:11], v15 offset:20832
	ds_read_b64 v[32:33], v31 offset:20800
	v_cmp_gt_u32_e64 s[12:13], 12, v17
	s_waitcnt lgkmcnt(0)
	v_mul_f32_e32 v34, v33, v11
	v_mul_f32_e32 v11, v32, v11
	v_fma_f32 v32, v32, v10, -v34
	v_fmac_f32_e32 v11, v33, v10
	v_add_f32_e32 v10, 0, v32
	v_add_f32_e32 v11, 0, v11
	s_and_saveexec_b64 s[16:17], s[12:13]
	s_cbranch_execnz .LBB57_1093
; %bb.686:
	s_or_b64 exec, exec, s[16:17]
	v_cmp_gt_u32_e64 s[12:13], 8, v17
	s_and_saveexec_b64 s[16:17], s[12:13]
	s_cbranch_execnz .LBB57_1094
.LBB57_687:
	s_or_b64 exec, exec, s[16:17]
	v_cmp_gt_u32_e64 s[12:13], 4, v17
	s_and_saveexec_b64 s[16:17], s[12:13]
	s_cbranch_execz .LBB57_689
.LBB57_688:
	v_lshlrev_b32_e32 v31, 3, v0
	v_mov_b32_e32 v33, 0
	ds_read_b64 v[31:32], v31 offset:22368
	ds_read_b64 v[33:34], v33 offset:20824
	s_waitcnt lgkmcnt(0)
	v_mul_f32_e32 v35, v34, v32
	v_mul_f32_e32 v32, v33, v32
	v_fma_f32 v33, v33, v31, -v35
	v_fmac_f32_e32 v32, v34, v31
	v_add_f32_e32 v10, v10, v33
	v_add_f32_e32 v11, v11, v32
.LBB57_689:
	s_or_b64 exec, exec, s[16:17]
	v_xor_b32_e32 v10, 0x80000000, v10
	v_xor_b32_e32 v11, 0x80000000, v11
.LBB57_690:
	s_or_b64 exec, exec, s[14:15]
	s_and_saveexec_b64 s[12:13], s[42:43]
; %bb.691:
	ds_write_b64 v18, v[10:11]
; %bb.692:
	s_or_b64 exec, exec, s[12:13]
	s_waitcnt lgkmcnt(0)
	s_barrier
	s_and_saveexec_b64 s[12:13], s[44:45]
	s_cbranch_execz .LBB57_694
; %bb.693:
	ds_read_b64 v[31:32], v16 offset:22880
	ds_read_b64 v[33:34], v18
	s_waitcnt lgkmcnt(0)
	v_mul_f32_e32 v35, v34, v32
	v_mul_f32_e32 v32, v33, v32
	v_fma_f32 v33, v33, v31, -v35
	v_fmac_f32_e32 v32, v34, v31
	v_add_f32_e32 v10, v10, v33
	v_add_f32_e32 v11, v11, v32
.LBB57_694:
	s_or_b64 exec, exec, s[12:13]
	s_barrier
	s_and_saveexec_b64 s[12:13], s[52:53]
; %bb.695:
	ds_write_b64 v18, v[10:11]
; %bb.696:
	s_or_b64 exec, exec, s[12:13]
	s_waitcnt lgkmcnt(0)
	s_barrier
	s_and_saveexec_b64 s[12:13], s[54:55]
	s_cbranch_execz .LBB57_698
; %bb.697:
	ds_read_b64 v[31:32], v16 offset:23392
	ds_read_b64 v[33:34], v18
	s_waitcnt lgkmcnt(0)
	v_mul_f32_e32 v35, v34, v32
	v_mul_f32_e32 v32, v33, v32
	v_fma_f32 v33, v33, v31, -v35
	v_fmac_f32_e32 v32, v34, v31
	v_add_f32_e32 v10, v10, v33
	v_add_f32_e32 v11, v11, v32
.LBB57_698:
	s_or_b64 exec, exec, s[12:13]
	s_barrier
	s_and_saveexec_b64 s[12:13], s[56:57]
; %bb.699:
	ds_write_b64 v18, v[10:11]
; %bb.700:
	s_or_b64 exec, exec, s[12:13]
	s_waitcnt lgkmcnt(0)
	s_barrier
	s_and_saveexec_b64 s[12:13], s[38:39]
	s_cbranch_execz .LBB57_702
; %bb.701:
	v_mov_b32_e32 v31, 0
	ds_read_b64 v[31:32], v31 offset:23928
	ds_read_b64 v[33:34], v18
	s_waitcnt lgkmcnt(0)
	v_mul_f32_e32 v35, v34, v32
	v_mul_f32_e32 v32, v33, v32
	v_fma_f32 v33, v33, v31, -v35
	v_fmac_f32_e32 v32, v34, v31
	v_add_f32_e32 v10, v10, v33
	v_add_f32_e32 v11, v11, v32
.LBB57_702:
	s_or_b64 exec, exec, s[12:13]
	s_barrier
	s_and_saveexec_b64 s[12:13], s[38:39]
; %bb.703:
	ds_write_b64 v18, v[10:11]
; %bb.704:
	s_or_b64 exec, exec, s[12:13]
	s_waitcnt lgkmcnt(0)
	s_barrier
	s_barrier
	s_and_saveexec_b64 s[12:13], s[18:19]
; %bb.705:
	v_xor_b32_e32 v10, 0x80000000, v10
	v_xor_b32_e32 v11, 0x80000000, v11
	ds_write_b64 v15, v[10:11] offset:20832
; %bb.706:
	s_or_b64 exec, exec, s[12:13]
	s_waitcnt lgkmcnt(0)
	s_barrier
	s_barrier
	s_and_saveexec_b64 s[12:13], s[58:59]
	s_cbranch_execz .LBB57_708
; %bb.707:
	v_lshlrev_b32_e32 v31, 9, v0
	ds_read_b64 v[10:11], v31 offset:20832
	s_movk_i32 s14, 0xfe08
	v_mad_i32_i24 v32, v0, s14, v31
	s_waitcnt lgkmcnt(0)
	ds_write_b64 v32, v[10:11] offset:22848
	ds_read_b64 v[10:11], v31 offset:20840
	s_waitcnt lgkmcnt(0)
	ds_write_b64 v32, v[10:11] offset:23360
	ds_read_b64 v[10:11], v31 offset:20848
	;; [unrolled: 3-line block ×3, first 2 shown]
	s_waitcnt lgkmcnt(0)
	ds_write_b64 v32, v[10:11] offset:24384
.LBB57_708:
	s_or_b64 exec, exec, s[12:13]
	s_waitcnt lgkmcnt(0)
	s_barrier
	s_and_saveexec_b64 s[12:13], vcc
	s_cbranch_execz .LBB57_710
; %bb.709:
	v_mov_b32_e32 v33, 0
	ds_read_b64 v[10:11], v33 offset:22888
	s_mov_b64 s[14:15], 0x3f800000
	v_mov_b32_e32 v32, s15
	v_mov_b32_e32 v31, s14
	s_movk_i32 s14, 0x160
	ds_write_b64 v33, v[31:32] offset:23400
	v_add_u32_e64 v33, s14, 0
	s_waitcnt lgkmcnt(1)
	ds_write2st64_b64 v33, v[31:32], v[10:11] offset0:44 offset1:45
.LBB57_710:
	s_or_b64 exec, exec, s[12:13]
	v_mov_b32_e32 v11, 0
	v_mov_b32_e32 v10, 0
	s_waitcnt lgkmcnt(0)
	s_barrier
	s_and_saveexec_b64 s[14:15], s[2:3]
	s_cbranch_execz .LBB57_714
; %bb.711:
	v_mul_u32_u24_e32 v31, 0x208, v14
	ds_read_b64 v[10:11], v12 offset:22896
	ds_read_b64 v[31:32], v31 offset:22880
	v_cmp_gt_u32_e64 s[12:13], 2, v17
	s_waitcnt lgkmcnt(0)
	v_mul_f32_e32 v33, v32, v11
	v_mul_f32_e32 v11, v31, v11
	v_fma_f32 v31, v31, v10, -v33
	v_fmac_f32_e32 v11, v32, v10
	v_add_f32_e32 v10, 0, v31
	v_add_f32_e32 v11, 0, v11
	s_and_saveexec_b64 s[16:17], s[12:13]
	s_cbranch_execz .LBB57_713
; %bb.712:
	v_lshlrev_b32_e32 v31, 3, v0
	v_mov_b32_e32 v33, 0
	ds_read_b64 v[31:32], v31 offset:23408
	ds_read_b64 v[33:34], v33 offset:22888
	s_waitcnt lgkmcnt(0)
	v_mul_f32_e32 v35, v34, v32
	v_mul_f32_e32 v32, v33, v32
	v_fma_f32 v33, v33, v31, -v35
	v_fmac_f32_e32 v32, v34, v31
	v_add_f32_e32 v10, v10, v33
	v_add_f32_e32 v11, v11, v32
.LBB57_713:
	s_or_b64 exec, exec, s[16:17]
	v_xor_b32_e32 v10, 0x80000000, v10
	v_xor_b32_e32 v11, 0x80000000, v11
.LBB57_714:
	s_or_b64 exec, exec, s[14:15]
	s_and_saveexec_b64 s[12:13], s[34:35]
; %bb.715:
	ds_write_b64 v13, v[10:11]
; %bb.716:
	s_or_b64 exec, exec, s[12:13]
	s_waitcnt lgkmcnt(0)
	s_barrier
	s_and_saveexec_b64 s[12:13], s[30:31]
	s_cbranch_execz .LBB57_718
; %bb.717:
	v_mov_b32_e32 v31, 0
	ds_read_b64 v[31:32], v31 offset:23928
	ds_read_b64 v[33:34], v13
	s_waitcnt lgkmcnt(0)
	v_mul_f32_e32 v35, v34, v32
	v_mul_f32_e32 v32, v33, v32
	v_fma_f32 v33, v33, v31, -v35
	v_fmac_f32_e32 v32, v34, v31
	v_add_f32_e32 v10, v10, v33
	v_add_f32_e32 v11, v11, v32
.LBB57_718:
	s_or_b64 exec, exec, s[12:13]
	s_barrier
	s_and_saveexec_b64 s[12:13], s[30:31]
; %bb.719:
	ds_write_b64 v13, v[10:11]
; %bb.720:
	s_or_b64 exec, exec, s[12:13]
	s_waitcnt lgkmcnt(0)
	s_barrier
	s_barrier
	s_and_saveexec_b64 s[12:13], s[2:3]
; %bb.721:
	v_xor_b32_e32 v11, 0x80000000, v11
	v_xor_b32_e32 v10, 0x80000000, v10
	ds_write_b64 v12, v[10:11] offset:22896
; %bb.722:
	s_or_b64 exec, exec, s[12:13]
	s_waitcnt lgkmcnt(0)
	s_barrier
	s_barrier
	s_and_saveexec_b64 s[12:13], s[36:37]
	s_cbranch_execz .LBB57_724
; %bb.723:
	v_lshlrev_b32_e32 v31, 3, v0
	s_movk_i32 s14, 0x1f8
	v_mad_u32_u24 v32, v0, s14, v31
	ds_read_b64 v[10:11], v32 offset:22896
	s_waitcnt lgkmcnt(0)
	ds_write_b64 v31, v[10:11] offset:23904
	ds_read_b64 v[10:11], v32 offset:22904
	s_waitcnt lgkmcnt(0)
	ds_write_b64 v31, v[10:11] offset:24416
.LBB57_724:
	s_or_b64 exec, exec, s[12:13]
	s_waitcnt lgkmcnt(0)
	s_barrier
	s_and_saveexec_b64 s[12:13], vcc
	s_cbranch_execz .LBB57_726
; %bb.725:
	v_mov_b32_e32 v33, 0
	ds_read_b64 v[10:11], v33 offset:23928
	s_mov_b64 s[14:15], 0x3f800000
	v_mov_b32_e32 v32, s15
	v_mov_b32_e32 v31, s14
	s_movk_i32 s14, 0x170
	ds_write_b64 v33, v[31:32] offset:24440
	v_add_u32_e64 v33, s14, 0
	s_waitcnt lgkmcnt(1)
	ds_write2st64_b64 v33, v[31:32], v[10:11] offset0:46 offset1:47
.LBB57_726:
	s_or_b64 exec, exec, s[12:13]
	v_mov_b32_e32 v11, 0
	v_mov_b32_e32 v10, 0
	s_waitcnt lgkmcnt(0)
	s_barrier
	s_and_saveexec_b64 s[14:15], s[10:11]
	s_cbranch_execz .LBB57_754
; %bb.727:
	v_mul_u32_u24_e32 v31, 0x208, v30
	ds_read_b64 v[10:11], v26 offset:16768
	ds_read_b64 v[32:33], v31 offset:16640
	s_movk_i32 s12, 0xf0
	v_cmp_gt_u32_e64 s[12:13], s12, v17
	s_waitcnt lgkmcnt(0)
	v_mul_f32_e32 v34, v33, v11
	v_mul_f32_e32 v11, v32, v11
	v_fma_f32 v32, v32, v10, -v34
	v_fmac_f32_e32 v11, v33, v10
	v_add_f32_e32 v10, 0, v32
	v_add_f32_e32 v11, 0, v11
	s_and_saveexec_b64 s[16:17], s[12:13]
	s_cbranch_execz .LBB57_729
; %bb.728:
	v_lshlrev_b32_e32 v32, 3, v30
	v_sub_u32_e32 v32, v31, v32
	v_lshl_add_u32 v32, v27, 3, v32
	ds_read_b64 v[32:33], v32 offset:17280
	ds_read_b64 v[34:35], v31 offset:16648
	s_waitcnt lgkmcnt(0)
	v_mul_f32_e32 v36, v35, v33
	v_mul_f32_e32 v33, v34, v33
	v_fma_f32 v34, v34, v32, -v36
	v_fmac_f32_e32 v33, v35, v32
	v_add_f32_e32 v10, v10, v34
	v_add_f32_e32 v11, v11, v33
.LBB57_729:
	s_or_b64 exec, exec, s[16:17]
	s_movk_i32 s12, 0xe0
	v_cmp_gt_u32_e64 s[12:13], s12, v17
	s_and_saveexec_b64 s[16:17], s[12:13]
	s_cbranch_execz .LBB57_731
; %bb.730:
	v_lshlrev_b32_e32 v32, 3, v30
	v_sub_u32_e32 v32, v31, v32
	v_lshl_add_u32 v32, v27, 3, v32
	ds_read_b64 v[32:33], v32 offset:17792
	ds_read_b64 v[34:35], v31 offset:16656
	s_waitcnt lgkmcnt(0)
	v_mul_f32_e32 v36, v35, v33
	v_mul_f32_e32 v33, v34, v33
	v_fma_f32 v34, v34, v32, -v36
	v_fmac_f32_e32 v33, v35, v32
	v_add_f32_e32 v10, v10, v34
	v_add_f32_e32 v11, v11, v33
.LBB57_731:
	s_or_b64 exec, exec, s[16:17]
	s_movk_i32 s12, 0xd0
	v_cmp_gt_u32_e64 s[12:13], s12, v17
	;; [unrolled: 19-line block ×6, first 2 shown]
	s_and_saveexec_b64 s[16:17], s[12:13]
	s_cbranch_execz .LBB57_741
; %bb.740:
	v_lshlrev_b32_e32 v30, 3, v27
	v_lshl_add_u32 v30, v29, 3, v30
	ds_read_b64 v[32:33], v30 offset:20352
	ds_read_b64 v[34:35], v31 offset:16696
	s_waitcnt lgkmcnt(0)
	v_mul_f32_e32 v30, v35, v33
	v_mul_f32_e32 v33, v34, v33
	v_fma_f32 v30, v34, v32, -v30
	v_fmac_f32_e32 v33, v35, v32
	v_add_f32_e32 v10, v10, v30
	v_add_f32_e32 v11, v11, v33
.LBB57_741:
	s_or_b64 exec, exec, s[16:17]
	s_movk_i32 s12, 0x80
	v_cmp_gt_u32_e64 s[12:13], s12, v17
	s_and_saveexec_b64 s[16:17], s[12:13]
	s_cbranch_execz .LBB57_743
; %bb.742:
	ds_read_b64 v[32:33], v26 offset:20864
	ds_read_b64 v[34:35], v31 offset:16704
	s_waitcnt lgkmcnt(0)
	v_mul_f32_e32 v30, v35, v33
	v_mul_f32_e32 v33, v34, v33
	v_fma_f32 v30, v34, v32, -v30
	v_fmac_f32_e32 v33, v35, v32
	v_add_f32_e32 v10, v10, v30
	v_add_f32_e32 v11, v11, v33
.LBB57_743:
	s_or_b64 exec, exec, s[16:17]
	s_movk_i32 s12, 0x70
	v_cmp_gt_u32_e64 s[12:13], s12, v17
	s_and_saveexec_b64 s[16:17], s[12:13]
	s_cbranch_execz .LBB57_745
; %bb.744:
	v_lshlrev_b32_e32 v30, 3, v27
	v_lshl_add_u32 v30, v29, 3, v30
	ds_read_b64 v[32:33], v30 offset:21376
	ds_read_b64 v[34:35], v31 offset:16712
	s_waitcnt lgkmcnt(0)
	v_mul_f32_e32 v30, v35, v33
	v_mul_f32_e32 v33, v34, v33
	v_fma_f32 v30, v34, v32, -v30
	v_fmac_f32_e32 v33, v35, v32
	v_add_f32_e32 v10, v10, v30
	v_add_f32_e32 v11, v11, v33
.LBB57_745:
	s_or_b64 exec, exec, s[16:17]
	s_movk_i32 s12, 0x60
	v_cmp_gt_u32_e64 s[12:13], s12, v17
	s_and_saveexec_b64 s[16:17], s[12:13]
	s_cbranch_execz .LBB57_747
; %bb.746:
	v_lshlrev_b32_e32 v30, 3, v27
	v_lshl_add_u32 v30, v29, 3, v30
	ds_read_b64 v[32:33], v30 offset:21888
	ds_read_b64 v[34:35], v31 offset:16720
	s_waitcnt lgkmcnt(0)
	v_mul_f32_e32 v30, v35, v33
	v_mul_f32_e32 v33, v34, v33
	v_fma_f32 v30, v34, v32, -v30
	v_fmac_f32_e32 v33, v35, v32
	v_add_f32_e32 v10, v10, v30
	v_add_f32_e32 v11, v11, v33
.LBB57_747:
	s_or_b64 exec, exec, s[16:17]
	s_movk_i32 s12, 0x50
	v_cmp_gt_u32_e64 s[12:13], s12, v17
	s_and_saveexec_b64 s[16:17], s[12:13]
	s_cbranch_execnz .LBB57_1095
; %bb.748:
	s_or_b64 exec, exec, s[16:17]
	v_cmp_gt_u32_e64 s[12:13], 64, v17
	s_and_saveexec_b64 s[16:17], s[12:13]
	s_cbranch_execnz .LBB57_1096
.LBB57_749:
	s_or_b64 exec, exec, s[16:17]
	v_cmp_gt_u32_e64 s[12:13], 48, v17
	s_and_saveexec_b64 s[16:17], s[12:13]
	s_cbranch_execnz .LBB57_1097
.LBB57_750:
	s_or_b64 exec, exec, s[16:17]
	v_cmp_gt_u32_e64 s[12:13], 32, v17
	s_and_saveexec_b64 s[16:17], s[12:13]
	s_cbranch_execnz .LBB57_1098
.LBB57_751:
	s_or_b64 exec, exec, s[16:17]
	v_cmp_gt_u32_e64 s[12:13], 16, v17
	s_and_saveexec_b64 s[16:17], s[12:13]
	s_cbranch_execz .LBB57_753
.LBB57_752:
	v_lshlrev_b32_e32 v29, 3, v0
	v_mov_b32_e32 v31, 0
	ds_read_b64 v[29:30], v29 offset:24448
	ds_read_b64 v[31:32], v31 offset:16760
	s_waitcnt lgkmcnt(0)
	v_mul_f32_e32 v33, v32, v30
	v_mul_f32_e32 v30, v31, v30
	v_fma_f32 v31, v31, v29, -v33
	v_fmac_f32_e32 v30, v32, v29
	v_add_f32_e32 v10, v10, v31
	v_add_f32_e32 v11, v11, v30
.LBB57_753:
	s_or_b64 exec, exec, s[16:17]
	v_xor_b32_e32 v10, 0x80000000, v10
	v_xor_b32_e32 v11, 0x80000000, v11
.LBB57_754:
	s_or_b64 exec, exec, s[14:15]
	s_mov_b64 s[12:13], exec
	v_readlane_b32 s14, v42, 4
	v_readlane_b32 s15, v42, 5
	s_and_b64 s[14:15], s[12:13], s[14:15]
	s_mov_b64 exec, s[14:15]
; %bb.755:
	ds_write_b64 v28, v[10:11]
; %bb.756:
	s_or_b64 exec, exec, s[12:13]
	s_waitcnt lgkmcnt(0)
	s_barrier
	s_mov_b64 s[12:13], exec
	v_readlane_b32 s14, v42, 6
	v_readlane_b32 s15, v42, 7
	s_and_b64 s[14:15], s[12:13], s[14:15]
	s_mov_b64 exec, s[14:15]
	s_cbranch_execz .LBB57_758
; %bb.757:
	v_lshlrev_b32_e32 v29, 3, v27
	ds_read_b64 v[29:30], v29 offset:24960
	ds_read_b64 v[31:32], v28
	s_waitcnt lgkmcnt(0)
	v_mul_f32_e32 v33, v32, v30
	v_mul_f32_e32 v30, v31, v30
	v_fma_f32 v31, v31, v29, -v33
	v_fmac_f32_e32 v30, v32, v29
	v_add_f32_e32 v10, v10, v31
	v_add_f32_e32 v11, v11, v30
.LBB57_758:
	s_or_b64 exec, exec, s[12:13]
	s_barrier
	s_mov_b64 s[12:13], exec
	v_readlane_b32 s14, v42, 8
	v_readlane_b32 s15, v42, 9
	s_and_b64 s[14:15], s[12:13], s[14:15]
	s_mov_b64 exec, s[14:15]
; %bb.759:
	ds_write_b64 v28, v[10:11]
; %bb.760:
	s_or_b64 exec, exec, s[12:13]
	s_waitcnt lgkmcnt(0)
	s_barrier
	s_mov_b64 s[12:13], exec
	v_readlane_b32 s14, v42, 10
	v_readlane_b32 s15, v42, 11
	s_and_b64 s[14:15], s[12:13], s[14:15]
	s_mov_b64 exec, s[14:15]
	s_cbranch_execz .LBB57_762
; %bb.761:
	v_lshlrev_b32_e32 v29, 3, v27
	ds_read_b64 v[29:30], v29 offset:25472
	ds_read_b64 v[31:32], v28
	s_waitcnt lgkmcnt(0)
	v_mul_f32_e32 v33, v32, v30
	v_mul_f32_e32 v30, v31, v30
	v_fma_f32 v31, v31, v29, -v33
	v_fmac_f32_e32 v30, v32, v29
	v_add_f32_e32 v10, v10, v31
	v_add_f32_e32 v11, v11, v30
.LBB57_762:
	s_or_b64 exec, exec, s[12:13]
	s_barrier
	;; [unrolled: 31-line block ×14, first 2 shown]
	s_mov_b64 s[12:13], exec
	v_readlane_b32 s14, v42, 60
	v_readlane_b32 s15, v42, 61
	s_and_b64 s[14:15], s[12:13], s[14:15]
	s_mov_b64 exec, s[14:15]
; %bb.811:
	ds_write_b64 v28, v[10:11]
; %bb.812:
	s_or_b64 exec, exec, s[12:13]
	s_waitcnt lgkmcnt(0)
	s_barrier
	s_and_saveexec_b64 s[12:13], s[0:1]
	s_cbranch_execz .LBB57_814
; %bb.813:
	v_mov_b32_e32 v27, 0
	ds_read_b64 v[29:30], v27 offset:32248
	ds_read_b64 v[31:32], v28
	s_waitcnt lgkmcnt(0)
	v_mul_f32_e32 v27, v32, v30
	v_mul_f32_e32 v30, v31, v30
	v_fma_f32 v27, v31, v29, -v27
	v_fmac_f32_e32 v30, v32, v29
	v_add_f32_e32 v10, v10, v27
	v_add_f32_e32 v11, v11, v30
.LBB57_814:
	s_or_b64 exec, exec, s[12:13]
	s_barrier
	s_and_saveexec_b64 s[12:13], s[0:1]
; %bb.815:
	ds_write_b64 v28, v[10:11]
; %bb.816:
	s_or_b64 exec, exec, s[12:13]
	s_waitcnt lgkmcnt(0)
	s_barrier
	s_barrier
	s_and_saveexec_b64 s[0:1], s[10:11]
; %bb.817:
	v_xor_b32_e32 v10, 0x80000000, v10
	v_xor_b32_e32 v11, 0x80000000, v11
	ds_write_b64 v26, v[10:11] offset:16768
; %bb.818:
	s_or_b64 exec, exec, s[0:1]
	s_waitcnt lgkmcnt(0)
	s_barrier
	s_barrier
	s_mov_b64 s[0:1], exec
	v_readlane_b32 s10, v42, 62
	v_readlane_b32 s11, v42, 63
	s_and_b64 s[10:11], s[0:1], s[10:11]
	s_mov_b64 exec, s[10:11]
	s_cbranch_execz .LBB57_820
; %bb.819:
	v_lshlrev_b32_e32 v26, 9, v0
	ds_read_b64 v[10:11], v26 offset:16768
	s_movk_i32 s10, 0xfe08
	v_mad_i32_i24 v27, v0, s10, v26
	s_waitcnt lgkmcnt(0)
	ds_write_b64 v27, v[10:11] offset:24832
	ds_read_b64 v[10:11], v26 offset:16776
	s_waitcnt lgkmcnt(0)
	ds_write_b64 v27, v[10:11] offset:25344
	ds_read_b64 v[10:11], v26 offset:16784
	;; [unrolled: 3-line block ×15, first 2 shown]
	s_waitcnt lgkmcnt(0)
	ds_write_b64 v27, v[10:11] offset:32512
.LBB57_820:
	s_or_b64 exec, exec, s[0:1]
	s_waitcnt lgkmcnt(0)
	s_barrier
	s_and_saveexec_b64 s[0:1], vcc
	s_cbranch_execz .LBB57_822
; %bb.821:
	v_mov_b32_e32 v28, 0
	ds_read_b64 v[10:11], v28 offset:24968
	s_mov_b64 s[10:11], 0x3f800000
	v_mov_b32_e32 v27, s11
	v_mov_b32_e32 v26, s10
	s_movk_i32 s10, 0x180
	ds_write_b64 v28, v[26:27] offset:25480
	v_add_u32_e64 v28, s10, 0
	s_waitcnt lgkmcnt(1)
	ds_write2st64_b64 v28, v[26:27], v[10:11] offset0:48 offset1:49
.LBB57_822:
	s_or_b64 exec, exec, s[0:1]
	v_mov_b32_e32 v11, 0
	v_mov_b32_e32 v10, 0
	s_waitcnt lgkmcnt(0)
	s_barrier
	s_and_saveexec_b64 s[0:1], s[2:3]
	s_cbranch_execz .LBB57_826
; %bb.823:
	v_mul_u32_u24_e32 v26, 0x208, v14
	ds_read_b64 v[10:11], v12 offset:24976
	ds_read_b64 v[26:27], v26 offset:24960
	v_cmp_gt_u32_e64 s[10:11], 2, v17
	s_waitcnt lgkmcnt(0)
	v_mul_f32_e32 v28, v27, v11
	v_mul_f32_e32 v11, v26, v11
	v_fma_f32 v26, v26, v10, -v28
	v_fmac_f32_e32 v11, v27, v10
	v_add_f32_e32 v10, 0, v26
	v_add_f32_e32 v11, 0, v11
	s_and_saveexec_b64 s[12:13], s[10:11]
	s_cbranch_execz .LBB57_825
; %bb.824:
	v_lshlrev_b32_e32 v26, 3, v0
	v_mov_b32_e32 v28, 0
	ds_read_b64 v[26:27], v26 offset:25488
	ds_read_b64 v[28:29], v28 offset:24968
	s_waitcnt lgkmcnt(0)
	v_mul_f32_e32 v30, v29, v27
	v_mul_f32_e32 v27, v28, v27
	v_fma_f32 v28, v28, v26, -v30
	v_fmac_f32_e32 v27, v29, v26
	v_add_f32_e32 v10, v10, v28
	v_add_f32_e32 v11, v11, v27
.LBB57_825:
	s_or_b64 exec, exec, s[12:13]
	v_xor_b32_e32 v10, 0x80000000, v10
	v_xor_b32_e32 v11, 0x80000000, v11
.LBB57_826:
	s_or_b64 exec, exec, s[0:1]
	s_and_saveexec_b64 s[0:1], s[34:35]
; %bb.827:
	ds_write_b64 v13, v[10:11]
; %bb.828:
	s_or_b64 exec, exec, s[0:1]
	s_waitcnt lgkmcnt(0)
	s_barrier
	s_and_saveexec_b64 s[0:1], s[30:31]
	s_cbranch_execz .LBB57_830
; %bb.829:
	v_mov_b32_e32 v26, 0
	ds_read_b64 v[26:27], v26 offset:26008
	ds_read_b64 v[28:29], v13
	s_waitcnt lgkmcnt(0)
	v_mul_f32_e32 v30, v29, v27
	v_mul_f32_e32 v27, v28, v27
	v_fma_f32 v28, v28, v26, -v30
	v_fmac_f32_e32 v27, v29, v26
	v_add_f32_e32 v10, v10, v28
	v_add_f32_e32 v11, v11, v27
.LBB57_830:
	s_or_b64 exec, exec, s[0:1]
	s_barrier
	s_and_saveexec_b64 s[0:1], s[30:31]
; %bb.831:
	ds_write_b64 v13, v[10:11]
; %bb.832:
	s_or_b64 exec, exec, s[0:1]
	s_waitcnt lgkmcnt(0)
	s_barrier
	s_barrier
	s_and_saveexec_b64 s[0:1], s[2:3]
; %bb.833:
	v_xor_b32_e32 v11, 0x80000000, v11
	v_xor_b32_e32 v10, 0x80000000, v10
	ds_write_b64 v12, v[10:11] offset:24976
; %bb.834:
	s_or_b64 exec, exec, s[0:1]
	s_waitcnt lgkmcnt(0)
	s_barrier
	s_barrier
	s_and_saveexec_b64 s[0:1], s[36:37]
	s_cbranch_execz .LBB57_836
; %bb.835:
	v_lshlrev_b32_e32 v26, 3, v0
	s_movk_i32 s10, 0x1f8
	v_mad_u32_u24 v27, v0, s10, v26
	ds_read_b64 v[10:11], v27 offset:24976
	s_waitcnt lgkmcnt(0)
	ds_write_b64 v26, v[10:11] offset:25984
	ds_read_b64 v[10:11], v27 offset:24984
	s_waitcnt lgkmcnt(0)
	ds_write_b64 v26, v[10:11] offset:26496
.LBB57_836:
	s_or_b64 exec, exec, s[0:1]
	s_waitcnt lgkmcnt(0)
	s_barrier
	s_and_saveexec_b64 s[0:1], vcc
	s_cbranch_execz .LBB57_838
; %bb.837:
	v_mov_b32_e32 v28, 0
	ds_read_b64 v[10:11], v28 offset:26008
	s_mov_b64 s[10:11], 0x3f800000
	v_mov_b32_e32 v27, s11
	v_mov_b32_e32 v26, s10
	s_movk_i32 s10, 0x190
	ds_write_b64 v28, v[26:27] offset:26520
	v_add_u32_e64 v28, s10, 0
	s_waitcnt lgkmcnt(1)
	ds_write2st64_b64 v28, v[26:27], v[10:11] offset0:50 offset1:51
.LBB57_838:
	s_or_b64 exec, exec, s[0:1]
	v_mov_b32_e32 v11, 0
	v_mov_b32_e32 v10, 0
	s_waitcnt lgkmcnt(0)
	s_barrier
	s_and_saveexec_b64 s[0:1], s[18:19]
	s_cbranch_execz .LBB57_844
; %bb.839:
	v_mul_u32_u24_e32 v26, 0x208, v20
	ds_read_b64 v[10:11], v15 offset:24992
	ds_read_b64 v[27:28], v26 offset:24960
	v_cmp_gt_u32_e64 s[10:11], 12, v17
	s_waitcnt lgkmcnt(0)
	v_mul_f32_e32 v29, v28, v11
	v_mul_f32_e32 v11, v27, v11
	v_fma_f32 v27, v27, v10, -v29
	v_fmac_f32_e32 v11, v28, v10
	v_add_f32_e32 v10, 0, v27
	v_add_f32_e32 v11, 0, v11
	s_and_saveexec_b64 s[12:13], s[10:11]
	s_cbranch_execnz .LBB57_1099
; %bb.840:
	s_or_b64 exec, exec, s[12:13]
	v_cmp_gt_u32_e64 s[10:11], 8, v17
	s_and_saveexec_b64 s[12:13], s[10:11]
	s_cbranch_execnz .LBB57_1100
.LBB57_841:
	s_or_b64 exec, exec, s[12:13]
	v_cmp_gt_u32_e64 s[10:11], 4, v17
	s_and_saveexec_b64 s[12:13], s[10:11]
	s_cbranch_execz .LBB57_843
.LBB57_842:
	v_lshlrev_b32_e32 v26, 3, v0
	v_mov_b32_e32 v28, 0
	ds_read_b64 v[26:27], v26 offset:26528
	ds_read_b64 v[28:29], v28 offset:24984
	s_waitcnt lgkmcnt(0)
	v_mul_f32_e32 v30, v29, v27
	v_mul_f32_e32 v27, v28, v27
	v_fma_f32 v28, v28, v26, -v30
	v_fmac_f32_e32 v27, v29, v26
	v_add_f32_e32 v10, v10, v28
	v_add_f32_e32 v11, v11, v27
.LBB57_843:
	s_or_b64 exec, exec, s[12:13]
	v_xor_b32_e32 v10, 0x80000000, v10
	v_xor_b32_e32 v11, 0x80000000, v11
.LBB57_844:
	s_or_b64 exec, exec, s[0:1]
	s_and_saveexec_b64 s[0:1], s[42:43]
; %bb.845:
	ds_write_b64 v18, v[10:11]
; %bb.846:
	s_or_b64 exec, exec, s[0:1]
	s_waitcnt lgkmcnt(0)
	s_barrier
	s_and_saveexec_b64 s[0:1], s[44:45]
	s_cbranch_execz .LBB57_848
; %bb.847:
	ds_read_b64 v[26:27], v16 offset:27040
	ds_read_b64 v[28:29], v18
	s_waitcnt lgkmcnt(0)
	v_mul_f32_e32 v30, v29, v27
	v_mul_f32_e32 v27, v28, v27
	v_fma_f32 v28, v28, v26, -v30
	v_fmac_f32_e32 v27, v29, v26
	v_add_f32_e32 v10, v10, v28
	v_add_f32_e32 v11, v11, v27
.LBB57_848:
	s_or_b64 exec, exec, s[0:1]
	s_barrier
	s_and_saveexec_b64 s[0:1], s[52:53]
; %bb.849:
	ds_write_b64 v18, v[10:11]
; %bb.850:
	s_or_b64 exec, exec, s[0:1]
	s_waitcnt lgkmcnt(0)
	s_barrier
	s_and_saveexec_b64 s[0:1], s[54:55]
	s_cbranch_execz .LBB57_852
; %bb.851:
	ds_read_b64 v[26:27], v16 offset:27552
	ds_read_b64 v[28:29], v18
	s_waitcnt lgkmcnt(0)
	v_mul_f32_e32 v30, v29, v27
	v_mul_f32_e32 v27, v28, v27
	v_fma_f32 v28, v28, v26, -v30
	v_fmac_f32_e32 v27, v29, v26
	v_add_f32_e32 v10, v10, v28
	v_add_f32_e32 v11, v11, v27
.LBB57_852:
	s_or_b64 exec, exec, s[0:1]
	s_barrier
	s_and_saveexec_b64 s[0:1], s[56:57]
; %bb.853:
	ds_write_b64 v18, v[10:11]
; %bb.854:
	s_or_b64 exec, exec, s[0:1]
	s_waitcnt lgkmcnt(0)
	s_barrier
	s_and_saveexec_b64 s[0:1], s[38:39]
	s_cbranch_execz .LBB57_856
; %bb.855:
	v_mov_b32_e32 v26, 0
	ds_read_b64 v[26:27], v26 offset:28088
	ds_read_b64 v[28:29], v18
	s_waitcnt lgkmcnt(0)
	v_mul_f32_e32 v30, v29, v27
	v_mul_f32_e32 v27, v28, v27
	v_fma_f32 v28, v28, v26, -v30
	v_fmac_f32_e32 v27, v29, v26
	v_add_f32_e32 v10, v10, v28
	v_add_f32_e32 v11, v11, v27
.LBB57_856:
	s_or_b64 exec, exec, s[0:1]
	s_barrier
	s_and_saveexec_b64 s[0:1], s[38:39]
; %bb.857:
	ds_write_b64 v18, v[10:11]
; %bb.858:
	s_or_b64 exec, exec, s[0:1]
	s_waitcnt lgkmcnt(0)
	s_barrier
	s_barrier
	s_and_saveexec_b64 s[0:1], s[18:19]
; %bb.859:
	v_xor_b32_e32 v10, 0x80000000, v10
	v_xor_b32_e32 v11, 0x80000000, v11
	ds_write_b64 v15, v[10:11] offset:24992
; %bb.860:
	s_or_b64 exec, exec, s[0:1]
	s_waitcnt lgkmcnt(0)
	s_barrier
	s_barrier
	s_and_saveexec_b64 s[0:1], s[58:59]
	s_cbranch_execz .LBB57_862
; %bb.861:
	v_lshlrev_b32_e32 v26, 9, v0
	ds_read_b64 v[10:11], v26 offset:24992
	s_movk_i32 s10, 0xfe08
	v_mad_i32_i24 v27, v0, s10, v26
	s_waitcnt lgkmcnt(0)
	ds_write_b64 v27, v[10:11] offset:27008
	ds_read_b64 v[10:11], v26 offset:25000
	s_waitcnt lgkmcnt(0)
	ds_write_b64 v27, v[10:11] offset:27520
	ds_read_b64 v[10:11], v26 offset:25008
	;; [unrolled: 3-line block ×3, first 2 shown]
	s_waitcnt lgkmcnt(0)
	ds_write_b64 v27, v[10:11] offset:28544
.LBB57_862:
	s_or_b64 exec, exec, s[0:1]
	s_waitcnt lgkmcnt(0)
	s_barrier
	s_and_saveexec_b64 s[0:1], vcc
	s_cbranch_execz .LBB57_864
; %bb.863:
	v_mov_b32_e32 v28, 0
	ds_read_b64 v[10:11], v28 offset:27048
	s_mov_b64 s[10:11], 0x3f800000
	v_mov_b32_e32 v27, s11
	v_mov_b32_e32 v26, s10
	s_movk_i32 s10, 0x1a0
	ds_write_b64 v28, v[26:27] offset:27560
	v_add_u32_e64 v28, s10, 0
	s_waitcnt lgkmcnt(1)
	ds_write2st64_b64 v28, v[26:27], v[10:11] offset0:52 offset1:53
.LBB57_864:
	s_or_b64 exec, exec, s[0:1]
	v_mov_b32_e32 v11, 0
	v_mov_b32_e32 v10, 0
	s_waitcnt lgkmcnt(0)
	s_barrier
	s_and_saveexec_b64 s[0:1], s[2:3]
	s_cbranch_execz .LBB57_868
; %bb.865:
	v_mul_u32_u24_e32 v26, 0x208, v14
	ds_read_b64 v[10:11], v12 offset:27056
	ds_read_b64 v[26:27], v26 offset:27040
	v_cmp_gt_u32_e64 s[10:11], 2, v17
	s_waitcnt lgkmcnt(0)
	v_mul_f32_e32 v28, v27, v11
	v_mul_f32_e32 v11, v26, v11
	v_fma_f32 v26, v26, v10, -v28
	v_fmac_f32_e32 v11, v27, v10
	v_add_f32_e32 v10, 0, v26
	v_add_f32_e32 v11, 0, v11
	s_and_saveexec_b64 s[12:13], s[10:11]
	s_cbranch_execz .LBB57_867
; %bb.866:
	v_lshlrev_b32_e32 v26, 3, v0
	v_mov_b32_e32 v28, 0
	ds_read_b64 v[26:27], v26 offset:27568
	ds_read_b64 v[28:29], v28 offset:27048
	s_waitcnt lgkmcnt(0)
	v_mul_f32_e32 v30, v29, v27
	v_mul_f32_e32 v27, v28, v27
	v_fma_f32 v28, v28, v26, -v30
	v_fmac_f32_e32 v27, v29, v26
	v_add_f32_e32 v10, v10, v28
	v_add_f32_e32 v11, v11, v27
.LBB57_867:
	s_or_b64 exec, exec, s[12:13]
	v_xor_b32_e32 v10, 0x80000000, v10
	v_xor_b32_e32 v11, 0x80000000, v11
.LBB57_868:
	s_or_b64 exec, exec, s[0:1]
	s_and_saveexec_b64 s[0:1], s[34:35]
; %bb.869:
	ds_write_b64 v13, v[10:11]
; %bb.870:
	s_or_b64 exec, exec, s[0:1]
	s_waitcnt lgkmcnt(0)
	s_barrier
	s_and_saveexec_b64 s[0:1], s[30:31]
	s_cbranch_execz .LBB57_872
; %bb.871:
	v_mov_b32_e32 v26, 0
	ds_read_b64 v[26:27], v26 offset:28088
	ds_read_b64 v[28:29], v13
	s_waitcnt lgkmcnt(0)
	v_mul_f32_e32 v30, v29, v27
	v_mul_f32_e32 v27, v28, v27
	v_fma_f32 v28, v28, v26, -v30
	v_fmac_f32_e32 v27, v29, v26
	v_add_f32_e32 v10, v10, v28
	v_add_f32_e32 v11, v11, v27
.LBB57_872:
	s_or_b64 exec, exec, s[0:1]
	s_barrier
	s_and_saveexec_b64 s[0:1], s[30:31]
; %bb.873:
	ds_write_b64 v13, v[10:11]
; %bb.874:
	s_or_b64 exec, exec, s[0:1]
	s_waitcnt lgkmcnt(0)
	s_barrier
	s_barrier
	s_and_saveexec_b64 s[0:1], s[2:3]
; %bb.875:
	v_xor_b32_e32 v11, 0x80000000, v11
	v_xor_b32_e32 v10, 0x80000000, v10
	ds_write_b64 v12, v[10:11] offset:27056
; %bb.876:
	s_or_b64 exec, exec, s[0:1]
	s_waitcnt lgkmcnt(0)
	s_barrier
	s_barrier
	s_and_saveexec_b64 s[0:1], s[36:37]
	s_cbranch_execz .LBB57_878
; %bb.877:
	v_lshlrev_b32_e32 v26, 3, v0
	s_movk_i32 s10, 0x1f8
	v_mad_u32_u24 v27, v0, s10, v26
	ds_read_b64 v[10:11], v27 offset:27056
	s_waitcnt lgkmcnt(0)
	ds_write_b64 v26, v[10:11] offset:28064
	ds_read_b64 v[10:11], v27 offset:27064
	s_waitcnt lgkmcnt(0)
	ds_write_b64 v26, v[10:11] offset:28576
.LBB57_878:
	s_or_b64 exec, exec, s[0:1]
	s_waitcnt lgkmcnt(0)
	s_barrier
	s_and_saveexec_b64 s[0:1], vcc
	s_cbranch_execz .LBB57_880
; %bb.879:
	v_mov_b32_e32 v28, 0
	ds_read_b64 v[10:11], v28 offset:28088
	s_mov_b64 s[10:11], 0x3f800000
	v_mov_b32_e32 v27, s11
	v_mov_b32_e32 v26, s10
	s_movk_i32 s10, 0x1b0
	ds_write_b64 v28, v[26:27] offset:28600
	v_add_u32_e64 v28, s10, 0
	s_waitcnt lgkmcnt(1)
	ds_write2st64_b64 v28, v[26:27], v[10:11] offset0:54 offset1:55
.LBB57_880:
	s_or_b64 exec, exec, s[0:1]
	v_mov_b32_e32 v11, 0
	v_mov_b32_e32 v10, 0
	s_waitcnt lgkmcnt(0)
	s_barrier
	s_and_saveexec_b64 s[0:1], s[8:9]
	s_cbranch_execz .LBB57_890
; %bb.881:
	v_mul_u32_u24_e32 v26, 0x208, v25
	ds_read_b64 v[10:11], v21 offset:25024
	ds_read_b64 v[27:28], v26 offset:24960
	v_cmp_gt_u32_e64 s[10:11], 56, v17
	s_waitcnt lgkmcnt(0)
	v_mul_f32_e32 v29, v28, v11
	v_mul_f32_e32 v11, v27, v11
	v_fma_f32 v27, v27, v10, -v29
	v_fmac_f32_e32 v11, v28, v10
	v_add_f32_e32 v10, 0, v27
	v_add_f32_e32 v11, 0, v11
	s_and_saveexec_b64 s[12:13], s[10:11]
	s_cbranch_execnz .LBB57_1101
; %bb.882:
	s_or_b64 exec, exec, s[12:13]
	v_cmp_gt_u32_e64 s[10:11], 48, v17
	s_and_saveexec_b64 s[12:13], s[10:11]
	s_cbranch_execnz .LBB57_1102
.LBB57_883:
	s_or_b64 exec, exec, s[12:13]
	v_cmp_gt_u32_e64 s[10:11], 40, v17
	s_and_saveexec_b64 s[12:13], s[10:11]
	s_cbranch_execnz .LBB57_1103
.LBB57_884:
	s_or_b64 exec, exec, s[12:13]
	v_cmp_gt_u32_e64 s[10:11], 32, v17
	s_and_saveexec_b64 s[12:13], s[10:11]
	s_cbranch_execnz .LBB57_1104
.LBB57_885:
	s_or_b64 exec, exec, s[12:13]
	v_cmp_gt_u32_e64 s[10:11], 24, v17
	s_and_saveexec_b64 s[12:13], s[10:11]
	s_cbranch_execnz .LBB57_1105
.LBB57_886:
	s_or_b64 exec, exec, s[12:13]
	v_cmp_gt_u32_e64 s[10:11], 16, v17
	s_and_saveexec_b64 s[12:13], s[10:11]
	s_cbranch_execnz .LBB57_1106
.LBB57_887:
	s_or_b64 exec, exec, s[12:13]
	v_cmp_gt_u32_e64 s[10:11], 8, v17
	s_and_saveexec_b64 s[12:13], s[10:11]
	s_cbranch_execz .LBB57_889
.LBB57_888:
	v_lshlrev_b32_e32 v24, 3, v0
	v_mov_b32_e32 v26, 0
	ds_read_b64 v[24:25], v24 offset:28608
	ds_read_b64 v[26:27], v26 offset:25016
	s_waitcnt lgkmcnt(0)
	v_mul_f32_e32 v28, v27, v25
	v_mul_f32_e32 v25, v26, v25
	v_fma_f32 v26, v26, v24, -v28
	v_fmac_f32_e32 v25, v27, v24
	v_add_f32_e32 v10, v10, v26
	v_add_f32_e32 v11, v11, v25
.LBB57_889:
	s_or_b64 exec, exec, s[12:13]
	v_xor_b32_e32 v10, 0x80000000, v10
	v_xor_b32_e32 v11, 0x80000000, v11
.LBB57_890:
	s_or_b64 exec, exec, s[0:1]
	s_and_saveexec_b64 s[0:1], s[62:63]
; %bb.891:
	ds_write_b64 v23, v[10:11]
; %bb.892:
	s_or_b64 exec, exec, s[0:1]
	s_waitcnt lgkmcnt(0)
	s_barrier
	s_and_saveexec_b64 s[0:1], s[64:65]
	s_cbranch_execz .LBB57_894
; %bb.893:
	ds_read_b64 v[24:25], v22 offset:29120
	ds_read_b64 v[26:27], v23
	s_waitcnt lgkmcnt(0)
	v_mul_f32_e32 v28, v27, v25
	v_mul_f32_e32 v25, v26, v25
	v_fma_f32 v26, v26, v24, -v28
	v_fmac_f32_e32 v25, v27, v24
	v_add_f32_e32 v10, v10, v26
	v_add_f32_e32 v11, v11, v25
.LBB57_894:
	s_or_b64 exec, exec, s[0:1]
	s_barrier
	s_and_saveexec_b64 s[0:1], s[66:67]
; %bb.895:
	ds_write_b64 v23, v[10:11]
; %bb.896:
	s_or_b64 exec, exec, s[0:1]
	s_waitcnt lgkmcnt(0)
	s_barrier
	s_and_saveexec_b64 s[0:1], s[68:69]
	s_cbranch_execz .LBB57_898
; %bb.897:
	ds_read_b64 v[24:25], v22 offset:29632
	ds_read_b64 v[26:27], v23
	s_waitcnt lgkmcnt(0)
	v_mul_f32_e32 v28, v27, v25
	v_mul_f32_e32 v25, v26, v25
	v_fma_f32 v26, v26, v24, -v28
	v_fmac_f32_e32 v25, v27, v24
	v_add_f32_e32 v10, v10, v26
	v_add_f32_e32 v11, v11, v25
.LBB57_898:
	s_or_b64 exec, exec, s[0:1]
	s_barrier
	;; [unrolled: 22-line block ×6, first 2 shown]
	s_and_saveexec_b64 s[0:1], s[86:87]
; %bb.915:
	ds_write_b64 v23, v[10:11]
; %bb.916:
	s_or_b64 exec, exec, s[0:1]
	s_waitcnt lgkmcnt(0)
	s_barrier
	s_and_saveexec_b64 s[0:1], s[60:61]
	s_cbranch_execz .LBB57_918
; %bb.917:
	v_mov_b32_e32 v22, 0
	ds_read_b64 v[24:25], v22 offset:32248
	ds_read_b64 v[26:27], v23
	s_waitcnt lgkmcnt(0)
	v_mul_f32_e32 v22, v27, v25
	v_mul_f32_e32 v25, v26, v25
	v_fma_f32 v22, v26, v24, -v22
	v_fmac_f32_e32 v25, v27, v24
	v_add_f32_e32 v10, v10, v22
	v_add_f32_e32 v11, v11, v25
.LBB57_918:
	s_or_b64 exec, exec, s[0:1]
	s_barrier
	s_and_saveexec_b64 s[0:1], s[60:61]
; %bb.919:
	ds_write_b64 v23, v[10:11]
; %bb.920:
	s_or_b64 exec, exec, s[0:1]
	s_waitcnt lgkmcnt(0)
	s_barrier
	s_barrier
	s_and_saveexec_b64 s[0:1], s[8:9]
; %bb.921:
	v_xor_b32_e32 v11, 0x80000000, v11
	v_xor_b32_e32 v10, 0x80000000, v10
	ds_write_b64 v21, v[10:11] offset:25024
; %bb.922:
	s_or_b64 exec, exec, s[0:1]
	s_waitcnt lgkmcnt(0)
	s_barrier
	s_barrier
	s_and_saveexec_b64 s[0:1], s[88:89]
	s_cbranch_execz .LBB57_924
; %bb.923:
	v_lshlrev_b32_e32 v21, 9, v0
	ds_read_b64 v[10:11], v21 offset:25024
	s_movk_i32 s8, 0xfe08
	v_mad_i32_i24 v22, v0, s8, v21
	s_waitcnt lgkmcnt(0)
	ds_write_b64 v22, v[10:11] offset:29056
	ds_read_b64 v[10:11], v21 offset:25032
	s_waitcnt lgkmcnt(0)
	ds_write_b64 v22, v[10:11] offset:29568
	ds_read_b64 v[10:11], v21 offset:25040
	;; [unrolled: 3-line block ×7, first 2 shown]
	s_waitcnt lgkmcnt(0)
	ds_write_b64 v22, v[10:11] offset:32640
.LBB57_924:
	s_or_b64 exec, exec, s[0:1]
	s_waitcnt lgkmcnt(0)
	s_barrier
	s_and_saveexec_b64 s[0:1], vcc
	s_cbranch_execz .LBB57_926
; %bb.925:
	v_mov_b32_e32 v23, 0
	ds_read_b64 v[10:11], v23 offset:29128
	s_mov_b64 s[8:9], 0x3f800000
	v_mov_b32_e32 v22, s9
	v_mov_b32_e32 v21, s8
	s_movk_i32 s8, 0x1c0
	ds_write_b64 v23, v[21:22] offset:29640
	v_add_u32_e64 v23, s8, 0
	s_waitcnt lgkmcnt(1)
	ds_write2st64_b64 v23, v[21:22], v[10:11] offset0:56 offset1:57
.LBB57_926:
	s_or_b64 exec, exec, s[0:1]
	v_mov_b32_e32 v11, 0
	v_mov_b32_e32 v10, 0
	s_waitcnt lgkmcnt(0)
	s_barrier
	s_and_saveexec_b64 s[0:1], s[2:3]
	s_cbranch_execz .LBB57_930
; %bb.927:
	v_mul_u32_u24_e32 v21, 0x208, v14
	ds_read_b64 v[10:11], v12 offset:29136
	ds_read_b64 v[21:22], v21 offset:29120
	v_cmp_gt_u32_e64 s[8:9], 2, v17
	s_waitcnt lgkmcnt(0)
	v_mul_f32_e32 v23, v22, v11
	v_mul_f32_e32 v11, v21, v11
	v_fma_f32 v21, v21, v10, -v23
	v_fmac_f32_e32 v11, v22, v10
	v_add_f32_e32 v10, 0, v21
	v_add_f32_e32 v11, 0, v11
	s_and_saveexec_b64 s[10:11], s[8:9]
	s_cbranch_execz .LBB57_929
; %bb.928:
	v_lshlrev_b32_e32 v21, 3, v0
	v_mov_b32_e32 v23, 0
	ds_read_b64 v[21:22], v21 offset:29648
	ds_read_b64 v[23:24], v23 offset:29128
	s_waitcnt lgkmcnt(0)
	v_mul_f32_e32 v25, v24, v22
	v_mul_f32_e32 v22, v23, v22
	v_fma_f32 v23, v23, v21, -v25
	v_fmac_f32_e32 v22, v24, v21
	v_add_f32_e32 v10, v10, v23
	v_add_f32_e32 v11, v11, v22
.LBB57_929:
	s_or_b64 exec, exec, s[10:11]
	v_xor_b32_e32 v10, 0x80000000, v10
	v_xor_b32_e32 v11, 0x80000000, v11
.LBB57_930:
	s_or_b64 exec, exec, s[0:1]
	s_and_saveexec_b64 s[0:1], s[34:35]
; %bb.931:
	ds_write_b64 v13, v[10:11]
; %bb.932:
	s_or_b64 exec, exec, s[0:1]
	s_waitcnt lgkmcnt(0)
	s_barrier
	s_and_saveexec_b64 s[0:1], s[30:31]
	s_cbranch_execz .LBB57_934
; %bb.933:
	v_mov_b32_e32 v21, 0
	ds_read_b64 v[21:22], v21 offset:30168
	ds_read_b64 v[23:24], v13
	s_waitcnt lgkmcnt(0)
	v_mul_f32_e32 v25, v24, v22
	v_mul_f32_e32 v22, v23, v22
	v_fma_f32 v23, v23, v21, -v25
	v_fmac_f32_e32 v22, v24, v21
	v_add_f32_e32 v10, v10, v23
	v_add_f32_e32 v11, v11, v22
.LBB57_934:
	s_or_b64 exec, exec, s[0:1]
	s_barrier
	s_and_saveexec_b64 s[0:1], s[30:31]
; %bb.935:
	ds_write_b64 v13, v[10:11]
; %bb.936:
	s_or_b64 exec, exec, s[0:1]
	s_waitcnt lgkmcnt(0)
	s_barrier
	s_barrier
	s_and_saveexec_b64 s[0:1], s[2:3]
; %bb.937:
	v_xor_b32_e32 v11, 0x80000000, v11
	v_xor_b32_e32 v10, 0x80000000, v10
	ds_write_b64 v12, v[10:11] offset:29136
; %bb.938:
	s_or_b64 exec, exec, s[0:1]
	s_waitcnt lgkmcnt(0)
	s_barrier
	s_barrier
	s_and_saveexec_b64 s[0:1], s[36:37]
	s_cbranch_execz .LBB57_940
; %bb.939:
	v_lshlrev_b32_e32 v21, 3, v0
	s_movk_i32 s8, 0x1f8
	v_mad_u32_u24 v22, v0, s8, v21
	ds_read_b64 v[10:11], v22 offset:29136
	s_waitcnt lgkmcnt(0)
	ds_write_b64 v21, v[10:11] offset:30144
	ds_read_b64 v[10:11], v22 offset:29144
	s_waitcnt lgkmcnt(0)
	ds_write_b64 v21, v[10:11] offset:30656
.LBB57_940:
	s_or_b64 exec, exec, s[0:1]
	s_waitcnt lgkmcnt(0)
	s_barrier
	s_and_saveexec_b64 s[0:1], vcc
	s_cbranch_execz .LBB57_942
; %bb.941:
	v_mov_b32_e32 v23, 0
	ds_read_b64 v[10:11], v23 offset:30168
	s_mov_b64 s[8:9], 0x3f800000
	v_mov_b32_e32 v22, s9
	v_mov_b32_e32 v21, s8
	s_movk_i32 s8, 0x1d0
	ds_write_b64 v23, v[21:22] offset:30680
	v_add_u32_e64 v23, s8, 0
	s_waitcnt lgkmcnt(1)
	ds_write2st64_b64 v23, v[21:22], v[10:11] offset0:58 offset1:59
.LBB57_942:
	s_or_b64 exec, exec, s[0:1]
	v_mov_b32_e32 v11, 0
	v_mov_b32_e32 v10, 0
	s_waitcnt lgkmcnt(0)
	s_barrier
	s_and_saveexec_b64 s[0:1], s[18:19]
	s_cbranch_execz .LBB57_948
; %bb.943:
	v_mul_u32_u24_e32 v21, 0x208, v20
	ds_read_b64 v[10:11], v15 offset:29152
	ds_read_b64 v[22:23], v21 offset:29120
	v_cmp_gt_u32_e64 s[8:9], 12, v17
	s_waitcnt lgkmcnt(0)
	v_mul_f32_e32 v24, v23, v11
	v_mul_f32_e32 v11, v22, v11
	v_fma_f32 v22, v22, v10, -v24
	v_fmac_f32_e32 v11, v23, v10
	v_add_f32_e32 v10, 0, v22
	v_add_f32_e32 v11, 0, v11
	s_and_saveexec_b64 s[10:11], s[8:9]
	s_cbranch_execnz .LBB57_1107
; %bb.944:
	s_or_b64 exec, exec, s[10:11]
	v_cmp_gt_u32_e64 s[8:9], 8, v17
	s_and_saveexec_b64 s[10:11], s[8:9]
	s_cbranch_execnz .LBB57_1108
.LBB57_945:
	s_or_b64 exec, exec, s[10:11]
	v_cmp_gt_u32_e64 s[8:9], 4, v17
	s_and_saveexec_b64 s[10:11], s[8:9]
	s_cbranch_execz .LBB57_947
.LBB57_946:
	v_lshlrev_b32_e32 v19, 3, v0
	v_mov_b32_e32 v21, 0
	ds_read_b64 v[19:20], v19 offset:30688
	ds_read_b64 v[21:22], v21 offset:29144
	s_waitcnt lgkmcnt(0)
	v_mul_f32_e32 v23, v22, v20
	v_mul_f32_e32 v20, v21, v20
	v_fma_f32 v21, v21, v19, -v23
	v_fmac_f32_e32 v20, v22, v19
	v_add_f32_e32 v10, v10, v21
	v_add_f32_e32 v11, v11, v20
.LBB57_947:
	s_or_b64 exec, exec, s[10:11]
	v_xor_b32_e32 v10, 0x80000000, v10
	v_xor_b32_e32 v11, 0x80000000, v11
.LBB57_948:
	s_or_b64 exec, exec, s[0:1]
	s_and_saveexec_b64 s[0:1], s[42:43]
; %bb.949:
	ds_write_b64 v18, v[10:11]
; %bb.950:
	s_or_b64 exec, exec, s[0:1]
	s_waitcnt lgkmcnt(0)
	s_barrier
	s_and_saveexec_b64 s[0:1], s[44:45]
	v_readlane_b32 s42, v42, 2
	v_readlane_b32 s43, v42, 3
	s_cbranch_execz .LBB57_952
; %bb.951:
	ds_read_b64 v[19:20], v16 offset:31200
	ds_read_b64 v[21:22], v18
	s_waitcnt lgkmcnt(0)
	v_mul_f32_e32 v23, v22, v20
	v_mul_f32_e32 v20, v21, v20
	v_fma_f32 v21, v21, v19, -v23
	v_fmac_f32_e32 v20, v22, v19
	v_add_f32_e32 v10, v10, v21
	v_add_f32_e32 v11, v11, v20
.LBB57_952:
	s_or_b64 exec, exec, s[0:1]
	s_barrier
	s_and_saveexec_b64 s[0:1], s[52:53]
; %bb.953:
	ds_write_b64 v18, v[10:11]
; %bb.954:
	s_or_b64 exec, exec, s[0:1]
	s_waitcnt lgkmcnt(0)
	s_barrier
	s_and_saveexec_b64 s[0:1], s[54:55]
	s_cbranch_execz .LBB57_956
; %bb.955:
	ds_read_b64 v[19:20], v16 offset:31712
	ds_read_b64 v[21:22], v18
	s_waitcnt lgkmcnt(0)
	v_mul_f32_e32 v16, v22, v20
	v_mul_f32_e32 v20, v21, v20
	v_fma_f32 v16, v21, v19, -v16
	v_fmac_f32_e32 v20, v22, v19
	v_add_f32_e32 v10, v10, v16
	v_add_f32_e32 v11, v11, v20
.LBB57_956:
	s_or_b64 exec, exec, s[0:1]
	s_barrier
	s_and_saveexec_b64 s[0:1], s[56:57]
; %bb.957:
	ds_write_b64 v18, v[10:11]
; %bb.958:
	s_or_b64 exec, exec, s[0:1]
	s_waitcnt lgkmcnt(0)
	s_barrier
	s_and_saveexec_b64 s[0:1], s[38:39]
	s_cbranch_execz .LBB57_960
; %bb.959:
	v_mov_b32_e32 v16, 0
	ds_read_b64 v[19:20], v16 offset:32248
	ds_read_b64 v[21:22], v18
	s_waitcnt lgkmcnt(0)
	v_mul_f32_e32 v16, v22, v20
	v_mul_f32_e32 v20, v21, v20
	v_fma_f32 v16, v21, v19, -v16
	v_fmac_f32_e32 v20, v22, v19
	v_add_f32_e32 v10, v10, v16
	v_add_f32_e32 v11, v11, v20
.LBB57_960:
	s_or_b64 exec, exec, s[0:1]
	s_barrier
	s_and_saveexec_b64 s[0:1], s[38:39]
; %bb.961:
	ds_write_b64 v18, v[10:11]
; %bb.962:
	s_or_b64 exec, exec, s[0:1]
	s_waitcnt lgkmcnt(0)
	s_barrier
	s_barrier
	s_and_saveexec_b64 s[0:1], s[18:19]
; %bb.963:
	v_xor_b32_e32 v10, 0x80000000, v10
	v_xor_b32_e32 v11, 0x80000000, v11
	ds_write_b64 v15, v[10:11] offset:29152
; %bb.964:
	s_or_b64 exec, exec, s[0:1]
	s_waitcnt lgkmcnt(0)
	s_barrier
	s_barrier
	s_and_saveexec_b64 s[0:1], s[58:59]
	s_cbranch_execz .LBB57_966
; %bb.965:
	v_lshlrev_b32_e32 v15, 9, v0
	ds_read_b64 v[10:11], v15 offset:29152
	s_movk_i32 s8, 0xfe08
	v_mad_i32_i24 v16, v0, s8, v15
	s_waitcnt lgkmcnt(0)
	ds_write_b64 v16, v[10:11] offset:31168
	ds_read_b64 v[10:11], v15 offset:29160
	s_waitcnt lgkmcnt(0)
	ds_write_b64 v16, v[10:11] offset:31680
	ds_read_b64 v[10:11], v15 offset:29168
	;; [unrolled: 3-line block ×3, first 2 shown]
	s_waitcnt lgkmcnt(0)
	ds_write_b64 v16, v[10:11] offset:32704
.LBB57_966:
	s_or_b64 exec, exec, s[0:1]
	s_waitcnt lgkmcnt(0)
	s_barrier
	s_and_saveexec_b64 s[0:1], vcc
	s_cbranch_execz .LBB57_968
; %bb.967:
	v_mov_b32_e32 v18, 0
	ds_read_b64 v[10:11], v18 offset:31208
	s_mov_b64 s[8:9], 0x3f800000
	v_mov_b32_e32 v16, s9
	v_mov_b32_e32 v15, s8
	s_movk_i32 s8, 0x1e0
	ds_write_b64 v18, v[15:16] offset:31720
	v_add_u32_e64 v18, s8, 0
	s_waitcnt lgkmcnt(1)
	ds_write2st64_b64 v18, v[15:16], v[10:11] offset0:60 offset1:61
.LBB57_968:
	s_or_b64 exec, exec, s[0:1]
	v_mov_b32_e32 v11, 0
	v_mov_b32_e32 v10, 0
	s_waitcnt lgkmcnt(0)
	s_barrier
	s_and_saveexec_b64 s[0:1], s[2:3]
	s_cbranch_execz .LBB57_972
; %bb.969:
	v_mul_u32_u24_e32 v14, 0x208, v14
	ds_read_b64 v[10:11], v12 offset:31216
	ds_read_b64 v[14:15], v14 offset:31200
	v_cmp_gt_u32_e64 s[8:9], 2, v17
	s_waitcnt lgkmcnt(0)
	v_mul_f32_e32 v16, v15, v11
	v_mul_f32_e32 v11, v14, v11
	v_fma_f32 v14, v14, v10, -v16
	v_fmac_f32_e32 v11, v15, v10
	v_add_f32_e32 v10, 0, v14
	v_add_f32_e32 v11, 0, v11
	s_and_saveexec_b64 s[10:11], s[8:9]
	s_cbranch_execz .LBB57_971
; %bb.970:
	v_lshlrev_b32_e32 v14, 3, v0
	v_mov_b32_e32 v16, 0
	ds_read_b64 v[14:15], v14 offset:31728
	ds_read_b64 v[18:19], v16 offset:31208
	s_waitcnt lgkmcnt(0)
	v_mul_f32_e32 v16, v19, v15
	v_mul_f32_e32 v15, v18, v15
	v_fma_f32 v16, v18, v14, -v16
	v_fmac_f32_e32 v15, v19, v14
	v_add_f32_e32 v10, v10, v16
	v_add_f32_e32 v11, v11, v15
.LBB57_971:
	s_or_b64 exec, exec, s[10:11]
	v_xor_b32_e32 v10, 0x80000000, v10
	v_xor_b32_e32 v11, 0x80000000, v11
.LBB57_972:
	s_or_b64 exec, exec, s[0:1]
	s_and_saveexec_b64 s[0:1], s[34:35]
; %bb.973:
	ds_write_b64 v13, v[10:11]
; %bb.974:
	s_or_b64 exec, exec, s[0:1]
	s_waitcnt lgkmcnt(0)
	s_barrier
	s_and_saveexec_b64 s[0:1], s[30:31]
	v_readlane_b32 s16, v42, 0
	v_readlane_b32 s17, v42, 1
	s_cbranch_execz .LBB57_976
; %bb.975:
	v_mov_b32_e32 v14, 0
	ds_read_b64 v[14:15], v14 offset:32248
	ds_read_b64 v[18:19], v13
	s_waitcnt lgkmcnt(0)
	v_mul_f32_e32 v16, v19, v15
	v_mul_f32_e32 v15, v18, v15
	v_fma_f32 v16, v18, v14, -v16
	v_fmac_f32_e32 v15, v19, v14
	v_add_f32_e32 v10, v10, v16
	v_add_f32_e32 v11, v11, v15
.LBB57_976:
	s_or_b64 exec, exec, s[0:1]
	s_barrier
	s_and_saveexec_b64 s[0:1], s[30:31]
; %bb.977:
	ds_write_b64 v13, v[10:11]
; %bb.978:
	s_or_b64 exec, exec, s[0:1]
	s_waitcnt lgkmcnt(0)
	s_barrier
	s_barrier
	s_and_saveexec_b64 s[0:1], s[2:3]
; %bb.979:
	v_xor_b32_e32 v11, 0x80000000, v11
	v_xor_b32_e32 v10, 0x80000000, v10
	ds_write_b64 v12, v[10:11] offset:31216
; %bb.980:
	s_or_b64 exec, exec, s[0:1]
	s_waitcnt lgkmcnt(0)
	s_barrier
	s_barrier
	s_and_saveexec_b64 s[0:1], s[36:37]
	s_cbranch_execz .LBB57_982
; %bb.981:
	v_lshlrev_b32_e32 v12, 3, v0
	s_movk_i32 s2, 0x1f8
	v_mad_u32_u24 v13, v0, s2, v12
	ds_read_b64 v[10:11], v13 offset:31216
	s_waitcnt lgkmcnt(0)
	ds_write_b64 v12, v[10:11] offset:32224
	ds_read_b64 v[10:11], v13 offset:31224
	s_waitcnt lgkmcnt(0)
	ds_write_b64 v12, v[10:11] offset:32736
.LBB57_982:
	s_or_b64 exec, exec, s[0:1]
	s_waitcnt lgkmcnt(0)
	s_barrier
	s_and_saveexec_b64 s[0:1], vcc
	s_cbranch_execz .LBB57_984
; %bb.983:
	v_mov_b32_e32 v14, 0
	ds_read_b64 v[10:11], v14 offset:32248
	s_mov_b64 s[2:3], 0x3f800000
	v_mov_b32_e32 v13, s3
	v_mov_b32_e32 v12, s2
	s_movk_i32 s2, 0x1f0
	ds_write_b64 v14, v[12:13] offset:32760
	v_add_u32_e64 v14, s2, 0
	s_waitcnt lgkmcnt(1)
	ds_write2st64_b64 v14, v[12:13], v[10:11] offset0:62 offset1:63
.LBB57_984:
	s_or_b64 exec, exec, s[0:1]
.LBB57_985:
	s_load_dwordx4 s[12:15], s[4:5], 0x48
	v_cmp_le_i32_e32 vcc, s90, v0
	v_mov_b32_e32 v10, 0
	v_lshl_add_u32 v12, s33, 6, v0
	v_mov_b32_e32 v11, v10
	s_waitcnt lgkmcnt(0)
	s_mul_i32 s1, s13, s22
	s_mul_hi_u32 s2, s12, s22
	s_mul_i32 s0, s12, s22
	s_add_i32 s1, s2, s1
	s_lshl_b64 s[0:1], s[0:1], 3
	s_add_u32 s2, s46, s0
	s_addc_u32 s3, s47, s1
	s_lshl_b64 s[0:1], s[48:49], 3
	s_add_u32 s20, s2, s0
	s_addc_u32 s21, s3, s1
	s_and_b64 s[0:1], vcc, s[26:27]
	v_cmp_eq_u32_e64 s[2:3], 0, v1
	s_xor_b64 s[4:5], s[0:1], -1
	s_and_b64 s[8:9], s[2:3], s[4:5]
	s_barrier
	s_and_saveexec_b64 s[4:5], s[8:9]
	s_cbranch_execz .LBB57_987
; %bb.986:
	v_ashrrev_i32_e32 v13, 31, v12
	v_mul_lo_u32 v14, s51, v12
	v_mad_u64_u32 v[10:11], s[8:9], s50, v12, 0
	v_mul_lo_u32 v13, s50, v13
	v_add3_u32 v11, v11, v13, v14
	v_lshlrev_b64 v[10:11], 3, v[10:11]
	v_mov_b32_e32 v13, s21
	v_add_co_u32_e32 v10, vcc, s20, v10
	v_addc_co_u32_e32 v11, vcc, v13, v11, vcc
	global_load_dwordx2 v[13:14], v[10:11], off
	s_waitcnt vmcnt(0)
	v_mul_f32_e32 v10, s16, v13
	v_mul_f32_e32 v11, s16, v14
	v_fma_f32 v10, s17, v14, -v10
	v_fma_f32 v11, v13, -s17, -v11
.LBB57_987:
	s_or_b64 exec, exec, s[4:5]
	s_and_b32 s4, 0xffff, s29
	v_mad_u32_u24 v18, v1, s4, v0
	s_cmp_lt_i32 s6, 1
	v_cmp_eq_u32_e64 s[4:5], 0, v18
	s_cbranch_scc1 .LBB57_1022
; %bb.988:
	v_ashrrev_i32_e32 v15, 31, v12
	v_mul_lo_u32 v16, s41, v12
	v_mad_u64_u32 v[13:14], s[8:9], s40, v12, 0
	v_mul_lo_u32 v15, s40, v15
	s_lshl_b64 s[8:9], s[22:23], 2
	s_add_u32 s16, s14, s8
	s_addc_u32 s17, s15, s9
	v_add3_u32 v14, v14, v15, v16
	v_cmp_gt_i32_e64 s[8:9], s24, v12
	v_lshlrev_b64 v[12:13], 3, v[13:14]
	v_mov_b32_e32 v15, 0xa000
	v_mov_b32_e32 v14, s28
	v_add_co_u32_e32 v21, vcc, s91, v12
	s_mov_b32 s29, 0
	v_cmp_gt_u32_e64 s[12:13], 64, v18
	v_lshl_add_u32 v19, v18, 3, v15
	v_lshl_or_b32 v20, v1, 3, v15
	s_add_i32 s30, s33, 1
	v_addc_co_u32_e32 v22, vcc, v14, v13, vcc
	v_mov_b32_e32 v23, -1
	v_mov_b32_e32 v12, 0
	s_branch .LBB57_991
.LBB57_989:                             ;   in Loop: Header=BB57_991 Depth=1
	ds_read_b64 v[13:14], v20 offset:384
	s_waitcnt vmcnt(0) lgkmcnt(0)
	v_mul_f32_e32 v24, v16, v14
	v_mul_f32_e32 v16, v16, v13
	v_fmac_f32_e32 v24, v15, v13
	v_fma_f32 v13, v15, v14, -v16
	v_add_f32_e32 v10, v10, v24
	v_add_f32_e32 v11, v11, v13
.LBB57_990:                             ;   in Loop: Header=BB57_991 Depth=1
	s_or_b64 exec, exec, s[18:19]
	s_add_i32 s29, s29, 1
	s_cmp_eq_u32 s29, s6
	s_cbranch_scc1 .LBB57_1022
.LBB57_991:                             ; =>This Loop Header: Depth=1
                                        ;     Child Loop BB57_993 Depth 2
	v_cmp_gt_i32_e32 vcc, s29, v23
	s_and_b64 s[18:19], s[4:5], vcc
	s_and_saveexec_b64 s[10:11], s[18:19]
	s_cbranch_execz .LBB57_994
; %bb.992:                              ;   in Loop: Header=BB57_991 Depth=1
	global_load_dword v23, v12, s[16:17]
	s_waitcnt vmcnt(0)
	v_cmp_le_i32_e32 vcc, s29, v23
	s_cbranch_vccnz .LBB57_994
.LBB57_993:                             ;   Parent Loop BB57_991 Depth=1
                                        ; =>  This Inner Loop Header: Depth=2
	buffer_wbinvl1_vol
	global_load_dword v23, v12, s[16:17]
	s_waitcnt vmcnt(0)
	v_cmp_gt_i32_e32 vcc, s29, v23
	s_cbranch_vccnz .LBB57_993
.LBB57_994:                             ;   in Loop: Header=BB57_991 Depth=1
	s_or_b64 exec, exec, s[10:11]
	s_sub_i32 s28, s7, s29
	s_lshl_b32 s31, s28, 6
	buffer_wbinvl1_vol
	s_barrier
	s_and_saveexec_b64 s[10:11], s[12:13]
	s_cbranch_execz .LBB57_999
; %bb.995:                              ;   in Loop: Header=BB57_991 Depth=1
	s_ashr_i32 s18, s31, 31
	v_mov_b32_e32 v14, s18
	v_or_b32_e32 v13, s31, v18
	v_cmp_le_i64_e32 vcc, s[24:25], v[13:14]
	s_and_saveexec_b64 s[18:19], vcc
	s_xor_b64 s[18:19], exec, s[18:19]
; %bb.996:                              ;   in Loop: Header=BB57_991 Depth=1
	v_mov_b32_e32 v13, v12
	ds_write_b64 v19, v[12:13]
                                        ; implicit-def: $vgpr13_vgpr14
; %bb.997:                              ;   in Loop: Header=BB57_991 Depth=1
	s_andn2_saveexec_b64 s[18:19], s[18:19]
	s_cbranch_execz .LBB57_999
; %bb.998:                              ;   in Loop: Header=BB57_991 Depth=1
	v_mul_lo_u32 v15, v14, s50
	v_mul_lo_u32 v16, v13, s51
	v_mad_u64_u32 v[13:14], s[18:19], v13, s50, 0
	v_add3_u32 v14, v14, v16, v15
	v_lshlrev_b64 v[13:14], 3, v[13:14]
	v_mov_b32_e32 v15, s21
	v_add_co_u32_e32 v13, vcc, s20, v13
	v_addc_co_u32_e32 v14, vcc, v15, v14, vcc
	global_load_dwordx2 v[13:14], v[13:14], off
	s_waitcnt vmcnt(0)
	ds_write_b64 v19, v[13:14]
.LBB57_999:                             ;   in Loop: Header=BB57_991 Depth=1
	s_or_b64 exec, exec, s[10:11]
	v_add_u32_e32 v15, s31, v1
	v_ashrrev_i32_e32 v16, 31, v15
	v_lshlrev_b64 v[13:14], 3, v[15:16]
	s_cmp_lg_u32 s28, s30
	v_add_co_u32_e32 v13, vcc, v21, v13
	s_cselect_b64 s[10:11], -1, 0
	v_addc_co_u32_e32 v14, vcc, v22, v14, vcc
	v_cmp_gt_i32_e32 vcc, s24, v15
	v_cndmask_b32_e64 v16, 0, 1, s[10:11]
	s_and_b64 s[34:35], vcc, s[8:9]
	v_cmp_ne_u32_e64 s[10:11], 1, v16
	s_waitcnt lgkmcnt(0)
	s_barrier
	s_and_saveexec_b64 s[18:19], s[34:35]
	s_cbranch_execz .LBB57_1005
; %bb.1000:                             ;   in Loop: Header=BB57_991 Depth=1
	s_and_b64 vcc, exec, s[10:11]
	v_mov_b32_e32 v16, v4
	s_cbranch_vccnz .LBB57_1002
; %bb.1001:                             ;   in Loop: Header=BB57_991 Depth=1
	global_load_dword v16, v[13:14], off
.LBB57_1002:                            ;   in Loop: Header=BB57_991 Depth=1
	s_and_b64 vcc, exec, s[10:11]
	v_mov_b32_e32 v24, v5
	s_cbranch_vccnz .LBB57_1004
; %bb.1003:                             ;   in Loop: Header=BB57_991 Depth=1
	global_load_dword v24, v[13:14], off offset:4
.LBB57_1004:                            ;   in Loop: Header=BB57_991 Depth=1
	ds_read_b64 v[25:26], v20
	s_waitcnt vmcnt(0) lgkmcnt(0)
	v_mul_f32_e32 v27, v24, v26
	v_mul_f32_e32 v24, v24, v25
	v_fmac_f32_e32 v27, v16, v25
	v_fma_f32 v16, v16, v26, -v24
	v_add_f32_e32 v10, v10, v27
	v_add_f32_e32 v11, v11, v16
.LBB57_1005:                            ;   in Loop: Header=BB57_991 Depth=1
	s_or_b64 exec, exec, s[18:19]
	v_add_u32_e32 v16, 16, v15
	v_cmp_gt_i32_e32 vcc, s24, v16
	s_and_b64 s[34:35], vcc, s[8:9]
	s_and_saveexec_b64 s[18:19], s[34:35]
	s_cbranch_execz .LBB57_1011
; %bb.1006:                             ;   in Loop: Header=BB57_991 Depth=1
	s_and_b64 vcc, exec, s[10:11]
	v_mov_b32_e32 v16, v2
	s_cbranch_vccnz .LBB57_1008
; %bb.1007:                             ;   in Loop: Header=BB57_991 Depth=1
	global_load_dword v16, v[13:14], off offset:128
.LBB57_1008:                            ;   in Loop: Header=BB57_991 Depth=1
	s_and_b64 vcc, exec, s[10:11]
	v_mov_b32_e32 v24, v3
	s_cbranch_vccnz .LBB57_1010
; %bb.1009:                             ;   in Loop: Header=BB57_991 Depth=1
	global_load_dword v24, v[13:14], off offset:132
.LBB57_1010:                            ;   in Loop: Header=BB57_991 Depth=1
	ds_read_b64 v[25:26], v20 offset:128
	s_waitcnt vmcnt(0) lgkmcnt(0)
	v_mul_f32_e32 v27, v24, v26
	v_mul_f32_e32 v24, v24, v25
	v_fmac_f32_e32 v27, v16, v25
	v_fma_f32 v16, v16, v26, -v24
	v_add_f32_e32 v10, v10, v27
	v_add_f32_e32 v11, v11, v16
.LBB57_1011:                            ;   in Loop: Header=BB57_991 Depth=1
	s_or_b64 exec, exec, s[18:19]
	v_add_u32_e32 v16, 32, v15
	v_cmp_gt_i32_e32 vcc, s24, v16
	s_and_b64 s[34:35], vcc, s[8:9]
	s_and_saveexec_b64 s[18:19], s[34:35]
	s_cbranch_execz .LBB57_1017
; %bb.1012:                             ;   in Loop: Header=BB57_991 Depth=1
	s_and_b64 vcc, exec, s[10:11]
	v_mov_b32_e32 v16, v8
	s_cbranch_vccnz .LBB57_1014
; %bb.1013:                             ;   in Loop: Header=BB57_991 Depth=1
	global_load_dword v16, v[13:14], off offset:256
.LBB57_1014:                            ;   in Loop: Header=BB57_991 Depth=1
	s_and_b64 vcc, exec, s[10:11]
	v_mov_b32_e32 v24, v9
	s_cbranch_vccnz .LBB57_1016
; %bb.1015:                             ;   in Loop: Header=BB57_991 Depth=1
	global_load_dword v24, v[13:14], off offset:260
.LBB57_1016:                            ;   in Loop: Header=BB57_991 Depth=1
	ds_read_b64 v[25:26], v20 offset:256
	s_waitcnt vmcnt(0) lgkmcnt(0)
	v_mul_f32_e32 v27, v24, v26
	v_mul_f32_e32 v24, v24, v25
	v_fmac_f32_e32 v27, v16, v25
	v_fma_f32 v16, v16, v26, -v24
	v_add_f32_e32 v10, v10, v27
	v_add_f32_e32 v11, v11, v16
.LBB57_1017:                            ;   in Loop: Header=BB57_991 Depth=1
	s_or_b64 exec, exec, s[18:19]
	v_add_u32_e32 v15, 48, v15
	v_cmp_gt_i32_e32 vcc, s24, v15
	s_and_b64 s[34:35], vcc, s[8:9]
	s_and_saveexec_b64 s[18:19], s[34:35]
	s_cbranch_execz .LBB57_990
; %bb.1018:                             ;   in Loop: Header=BB57_991 Depth=1
	s_and_b64 vcc, exec, s[10:11]
	v_mov_b32_e32 v15, v6
	s_cbranch_vccnz .LBB57_1020
; %bb.1019:                             ;   in Loop: Header=BB57_991 Depth=1
	global_load_dword v15, v[13:14], off offset:384
.LBB57_1020:                            ;   in Loop: Header=BB57_991 Depth=1
	s_and_b64 vcc, exec, s[10:11]
	v_mov_b32_e32 v16, v7
	s_cbranch_vccnz .LBB57_989
; %bb.1021:                             ;   in Loop: Header=BB57_991 Depth=1
	global_load_dword v16, v[13:14], off offset:388
	s_branch .LBB57_989
.LBB57_1022:
	s_xor_b64 s[4:5], s[26:27], -1
	v_lshlrev_b32_e32 v4, 3, v17
	ds_write_b64 v4, v[10:11] offset:32768
	s_waitcnt lgkmcnt(0)
	s_barrier
	s_and_saveexec_b64 s[6:7], s[2:3]
	s_cbranch_execz .LBB57_1024
; %bb.1023:
	v_lshlrev_b32_e32 v16, 3, v0
	ds_read2st64_b64 v[5:8], v16 offset0:65 offset1:66
	ds_read2st64_b64 v[12:15], v16 offset0:67 offset1:68
	ds_read_b64 v[2:3], v16 offset:40448
	s_waitcnt lgkmcnt(2)
	v_add_f32_e32 v5, v10, v5
	v_add_f32_e32 v6, v11, v6
	v_add_f32_e32 v9, v5, v7
	v_add_f32_e32 v10, v6, v8
	ds_read2st64_b64 v[5:8], v16 offset0:69 offset1:70
	s_waitcnt lgkmcnt(2)
	v_add_f32_e32 v9, v9, v12
	v_add_f32_e32 v10, v10, v13
	;; [unrolled: 1-line block ×4, first 2 shown]
	s_waitcnt lgkmcnt(0)
	v_add_f32_e32 v5, v9, v5
	ds_read2st64_b64 v[9:12], v16 offset0:71 offset1:72
	v_add_f32_e32 v6, v13, v6
	v_add_f32_e32 v13, v5, v7
	;; [unrolled: 1-line block ×3, first 2 shown]
	ds_read2st64_b64 v[5:8], v16 offset0:73 offset1:74
	s_waitcnt lgkmcnt(1)
	v_add_f32_e32 v9, v13, v9
	v_add_f32_e32 v10, v14, v10
	;; [unrolled: 1-line block ×4, first 2 shown]
	s_waitcnt lgkmcnt(0)
	v_add_f32_e32 v5, v9, v5
	ds_read2st64_b64 v[9:12], v16 offset0:75 offset1:76
	v_add_f32_e32 v6, v13, v6
	v_add_f32_e32 v13, v5, v7
	;; [unrolled: 1-line block ×3, first 2 shown]
	ds_read2st64_b64 v[5:8], v16 offset0:77 offset1:78
	s_waitcnt lgkmcnt(1)
	v_add_f32_e32 v9, v13, v9
	v_add_f32_e32 v10, v14, v10
	;; [unrolled: 1-line block ×4, first 2 shown]
	s_waitcnt lgkmcnt(0)
	v_add_f32_e32 v5, v9, v5
	v_add_f32_e32 v6, v10, v6
	v_add_f32_e32 v5, v5, v7
	v_add_f32_e32 v6, v6, v8
	v_add_f32_e32 v2, v5, v2
	v_add_f32_e32 v3, v6, v3
	v_cndmask_b32_e64 v10, -v2, 0, s[0:1]
	v_cndmask_b32_e64 v11, -v3, 0, s[0:1]
.LBB57_1024:
	s_or_b64 exec, exec, s[6:7]
	s_and_b64 vcc, exec, s[42:43]
	s_cbranch_vccnz .LBB57_1037
; %bb.1025:
	v_mov_b32_e32 v2, 0xa000
	v_lshl_or_b32 v5, v1, 3, v2
	s_and_saveexec_b64 s[0:1], s[2:3]
; %bb.1026:
	v_lshl_add_u32 v2, v0, 3, v5
	ds_write_b64 v2, v[10:11]
; %bb.1027:
	s_or_b64 exec, exec, s[0:1]
	v_cmp_le_u32_e32 vcc, v0, v1
	v_mov_b32_e32 v2, 0
	v_mov_b32_e32 v3, 0
	s_waitcnt lgkmcnt(0)
	s_barrier
	s_and_saveexec_b64 s[0:1], vcc
	s_cbranch_execz .LBB57_1029
; %bb.1028:
	ds_read_b64 v[2:3], v4
	ds_read_b64 v[6:7], v5
	s_waitcnt lgkmcnt(0)
	v_mul_f32_e32 v8, v7, v3
	v_mul_f32_e32 v3, v6, v3
	v_fma_f32 v6, v6, v2, -v8
	v_fmac_f32_e32 v3, v7, v2
	v_add_f32_e32 v2, 0, v6
	v_add_f32_e32 v3, 0, v3
.LBB57_1029:
	s_or_b64 exec, exec, s[0:1]
	v_add_u32_e32 v6, 16, v1
	v_cmp_le_u32_e32 vcc, v0, v6
	s_and_saveexec_b64 s[0:1], vcc
	s_cbranch_execz .LBB57_1031
; %bb.1030:
	ds_read_b64 v[6:7], v4 offset:8192
	ds_read_b64 v[8:9], v5 offset:128
	s_waitcnt lgkmcnt(0)
	v_mul_f32_e32 v12, v9, v7
	v_mul_f32_e32 v7, v8, v7
	v_fma_f32 v8, v8, v6, -v12
	v_fmac_f32_e32 v7, v9, v6
	v_add_f32_e32 v2, v2, v8
	v_add_f32_e32 v3, v3, v7
.LBB57_1031:
	s_or_b64 exec, exec, s[0:1]
	v_add_u32_e32 v6, 32, v1
	v_cmp_le_u32_e32 vcc, v0, v6
	s_and_saveexec_b64 s[0:1], vcc
	s_cbranch_execz .LBB57_1033
; %bb.1032:
	ds_read_b64 v[6:7], v4 offset:16384
	ds_read_b64 v[8:9], v5 offset:256
	s_waitcnt lgkmcnt(0)
	v_mul_f32_e32 v12, v9, v7
	v_mul_f32_e32 v7, v8, v7
	v_fma_f32 v8, v8, v6, -v12
	v_fmac_f32_e32 v7, v9, v6
	v_add_f32_e32 v2, v2, v8
	v_add_f32_e32 v3, v3, v7
.LBB57_1033:
	s_or_b64 exec, exec, s[0:1]
	v_add_u32_e32 v1, 48, v1
	v_add_u32_e32 v6, 0x8000, v4
	v_cmp_le_u32_e32 vcc, v0, v1
	s_and_saveexec_b64 s[0:1], vcc
	s_cbranch_execz .LBB57_1035
; %bb.1034:
	ds_read_b64 v[7:8], v4 offset:24576
	ds_read_b64 v[4:5], v5 offset:384
	s_waitcnt lgkmcnt(0)
	v_mul_f32_e32 v1, v5, v8
	v_mul_f32_e32 v8, v4, v8
	v_fma_f32 v1, v4, v7, -v1
	v_fmac_f32_e32 v8, v5, v7
	v_add_f32_e32 v2, v2, v1
	v_add_f32_e32 v3, v3, v8
.LBB57_1035:
	s_or_b64 exec, exec, s[0:1]
	s_mov_b64 s[6:7], 0
	s_mov_b64 s[0:1], 0
	ds_write_b64 v6, v[2:3]
	s_waitcnt lgkmcnt(0)
	s_barrier
                                        ; implicit-def: $vgpr1
                                        ; implicit-def: $vgpr4
	s_and_saveexec_b64 s[8:9], s[2:3]
	s_cbranch_execz .LBB57_1055
; %bb.1036:
	v_lshlrev_b32_e32 v9, 3, v0
	ds_read2st64_b64 v[4:7], v9 offset0:65 offset1:66
	ds_read2st64_b64 v[12:15], v9 offset0:67 offset1:68
	ds_read_b64 v[16:17], v9 offset:40448
	s_mov_b64 s[0:1], exec
	s_waitcnt lgkmcnt(2)
	v_add_f32_e32 v1, v2, v4
	v_add_f32_e32 v2, v3, v5
	;; [unrolled: 1-line block ×4, first 2 shown]
	ds_read2st64_b64 v[1:4], v9 offset0:69 offset1:70
	s_waitcnt lgkmcnt(2)
	v_add_f32_e32 v5, v5, v12
	v_add_f32_e32 v6, v6, v13
	;; [unrolled: 1-line block ×4, first 2 shown]
	s_waitcnt lgkmcnt(0)
	v_add_f32_e32 v1, v5, v1
	ds_read2st64_b64 v[5:8], v9 offset0:71 offset1:72
	v_add_f32_e32 v2, v12, v2
	v_add_f32_e32 v12, v1, v3
	;; [unrolled: 1-line block ×3, first 2 shown]
	ds_read2st64_b64 v[1:4], v9 offset0:73 offset1:74
	s_waitcnt lgkmcnt(1)
	v_add_f32_e32 v5, v12, v5
	v_add_f32_e32 v6, v13, v6
	;; [unrolled: 1-line block ×4, first 2 shown]
	s_waitcnt lgkmcnt(0)
	v_add_f32_e32 v1, v5, v1
	ds_read2st64_b64 v[5:8], v9 offset0:75 offset1:76
	v_add_f32_e32 v2, v12, v2
	v_add_f32_e32 v12, v1, v3
	;; [unrolled: 1-line block ×3, first 2 shown]
	ds_read2st64_b64 v[1:4], v9 offset0:77 offset1:78
	s_waitcnt lgkmcnt(1)
	v_add_f32_e32 v5, v12, v5
	v_add_f32_e32 v6, v13, v6
	;; [unrolled: 1-line block ×4, first 2 shown]
	s_waitcnt lgkmcnt(0)
	v_add_f32_e32 v1, v5, v1
	v_add_f32_e32 v2, v6, v2
	;; [unrolled: 1-line block ×6, first 2 shown]
	s_or_b64 exec, exec, s[8:9]
	s_and_b64 vcc, exec, s[6:7]
	s_cbranch_vccnz .LBB57_1038
	s_branch .LBB57_1056
.LBB57_1037:
	s_mov_b64 s[0:1], 0
                                        ; implicit-def: $vgpr1
                                        ; implicit-def: $vgpr4
	s_cbranch_execz .LBB57_1056
.LBB57_1038:
	v_mov_b32_e32 v1, 0x7c00
	v_lshl_add_u32 v1, v0, 3, v1
	v_mov_b32_e32 v3, 63
	v_mov_b32_e32 v2, 0
	s_branch .LBB57_1040
.LBB57_1039:                            ;   in Loop: Header=BB57_1040 Depth=1
	s_or_b64 exec, exec, s[6:7]
	v_subrev_co_u32_e32 v3, vcc, 1, v3
	s_andn2_b64 vcc, exec, vcc
	v_add_u32_e32 v1, 0xfffffc00, v1
	s_barrier
	s_cbranch_vccz .LBB57_1048
.LBB57_1040:                            ; =>This Inner Loop Header: Depth=1
	v_cmp_eq_u32_e32 vcc, v0, v3
	s_and_b64 s[8:9], s[2:3], vcc
	s_and_saveexec_b64 s[6:7], s[8:9]
; %bb.1041:                             ;   in Loop: Header=BB57_1040 Depth=1
	ds_write_b64 v2, v[10:11] offset:41472
; %bb.1042:                             ;   in Loop: Header=BB57_1040 Depth=1
	s_or_b64 exec, exec, s[6:7]
	v_cmp_lt_u32_e32 vcc, v0, v3
	s_and_b64 s[8:9], s[2:3], vcc
	s_waitcnt lgkmcnt(0)
	s_barrier
	s_and_saveexec_b64 s[6:7], s[8:9]
	s_cbranch_execz .LBB57_1044
; %bb.1043:                             ;   in Loop: Header=BB57_1040 Depth=1
	ds_read_b64 v[4:5], v1 offset:512
	ds_read_b64 v[6:7], v2 offset:41472
	s_waitcnt lgkmcnt(0)
	v_mul_f32_e32 v8, v7, v5
	v_mul_f32_e32 v5, v6, v5
	v_fma_f32 v6, v6, v4, -v8
	v_fmac_f32_e32 v5, v7, v4
	v_add_f32_e32 v10, v10, v6
	v_add_f32_e32 v11, v11, v5
.LBB57_1044:                            ;   in Loop: Header=BB57_1040 Depth=1
	s_or_b64 exec, exec, s[6:7]
	v_add_u32_e32 v3, -1, v3
	v_cmp_eq_u32_e32 vcc, v0, v3
	s_and_b64 s[8:9], s[2:3], vcc
	s_barrier
	s_and_saveexec_b64 s[6:7], s[8:9]
; %bb.1045:                             ;   in Loop: Header=BB57_1040 Depth=1
	ds_write_b64 v2, v[10:11] offset:41472
; %bb.1046:                             ;   in Loop: Header=BB57_1040 Depth=1
	s_or_b64 exec, exec, s[6:7]
	v_cmp_lt_u32_e32 vcc, v0, v3
	s_and_b64 s[8:9], s[2:3], vcc
	s_waitcnt lgkmcnt(0)
	s_barrier
	s_and_saveexec_b64 s[6:7], s[8:9]
	s_cbranch_execz .LBB57_1039
; %bb.1047:                             ;   in Loop: Header=BB57_1040 Depth=1
	ds_read_b64 v[4:5], v1
	ds_read_b64 v[6:7], v2 offset:41472
	s_waitcnt lgkmcnt(0)
	v_mul_f32_e32 v8, v7, v5
	v_mul_f32_e32 v5, v6, v5
	v_fma_f32 v6, v6, v4, -v8
	v_fmac_f32_e32 v5, v7, v4
	v_add_f32_e32 v10, v10, v6
	v_add_f32_e32 v11, v11, v5
	s_branch .LBB57_1039
.LBB57_1048:
	s_mov_b64 s[6:7], -1
	s_and_b64 vcc, exec, s[4:5]
	s_cbranch_vccnz .LBB57_1057
; %bb.1049:
	s_andn2_b64 vcc, exec, s[6:7]
	s_cbranch_vccz .LBB57_1058
.LBB57_1050:
	s_and_saveexec_b64 s[2:3], s[0:1]
	s_cbranch_execz .LBB57_1052
.LBB57_1051:
	s_lshl_b32 s0, s33, 6
	s_ashr_i32 s1, s0, 31
	v_mov_b32_e32 v0, s1
	v_add_co_u32_e32 v1, vcc, s0, v18
	v_addc_co_u32_e32 v0, vcc, 0, v0, vcc
	v_mul_lo_u32 v2, v0, s50
	v_mul_lo_u32 v3, v1, s51
	v_mad_u64_u32 v[0:1], s[0:1], v1, s50, 0
	v_add3_u32 v1, v1, v3, v2
	v_lshlrev_b64 v[0:1], 3, v[0:1]
	v_mov_b32_e32 v2, s21
	v_add_co_u32_e32 v0, vcc, s20, v0
	v_addc_co_u32_e32 v1, vcc, v2, v1, vcc
	global_store_dwordx2 v[0:1], v[10:11], off
.LBB57_1052:
	s_or_b64 exec, exec, s[2:3]
	v_cmp_eq_u32_e32 vcc, 0, v18
	s_waitcnt vmcnt(0)
	buffer_wbinvl1_vol
	s_barrier
	s_and_saveexec_b64 s[0:1], vcc
	s_cbranch_execz .LBB57_1054
; %bb.1053:
	s_lshl_b64 s[2:3], s[22:23], 2
	s_add_u32 s2, s14, s2
	s_addc_u32 s3, s15, s3
	v_mov_b32_e32 v0, 0
	global_load_dword v1, v0, s[2:3]
	s_waitcnt vmcnt(0)
	v_add_u32_e32 v1, 1, v1
	global_store_dword v0, v1, s[2:3]
.LBB57_1054:
	s_or_b64 exec, exec, s[0:1]
	s_waitcnt vmcnt(0)
	buffer_wbinvl1_vol
	s_endpgm
.LBB57_1055:
	s_or_b64 exec, exec, s[8:9]
	s_and_b64 vcc, exec, s[6:7]
	s_cbranch_vccnz .LBB57_1038
.LBB57_1056:
	v_mov_b32_e32 v11, v1
	v_mov_b32_e32 v10, v4
	s_and_saveexec_b64 s[2:3], s[0:1]
	s_cbranch_execnz .LBB57_1051
	s_branch .LBB57_1052
.LBB57_1057:
	s_andn2_b64 s[0:1], s[0:1], exec
	s_and_b64 s[4:5], s[2:3], exec
	s_or_b64 s[0:1], s[0:1], s[4:5]
	s_cbranch_execnz .LBB57_1050
.LBB57_1058:
	v_cmp_gt_i32_e32 vcc, s90, v0
	s_and_b64 s[2:3], s[2:3], vcc
	s_andn2_b64 s[0:1], s[0:1], exec
	s_and_b64 s[2:3], s[2:3], exec
	s_or_b64 s[0:1], s[0:1], s[2:3]
	s_and_saveexec_b64 s[2:3], s[0:1]
	s_cbranch_execnz .LBB57_1051
	s_branch .LBB57_1052
.LBB57_1059:
	v_lshlrev_b32_e32 v21, 3, v20
	v_sub_u32_e32 v21, v18, v21
	v_lshl_add_u32 v21, v19, 3, v21
	ds_read_b64 v[21:22], v21 offset:544
	ds_read_b64 v[23:24], v18 offset:8
	s_waitcnt lgkmcnt(0)
	v_mul_f32_e32 v25, v24, v22
	v_mul_f32_e32 v22, v23, v22
	v_fma_f32 v23, v23, v21, -v25
	v_fmac_f32_e32 v22, v24, v21
	v_add_f32_e32 v10, v10, v23
	v_add_f32_e32 v11, v11, v22
	s_or_b64 exec, exec, s[14:15]
	v_cmp_gt_u32_e64 s[10:11], 8, v17
	s_and_saveexec_b64 s[14:15], s[10:11]
	s_cbranch_execz .LBB57_85
.LBB57_1060:
	ds_read_b64 v[21:22], v15 offset:1056
	ds_read_b64 v[23:24], v18 offset:16
	s_waitcnt lgkmcnt(0)
	v_mul_f32_e32 v18, v24, v22
	v_mul_f32_e32 v22, v23, v22
	v_fma_f32 v18, v23, v21, -v18
	v_fmac_f32_e32 v22, v24, v21
	v_add_f32_e32 v10, v10, v18
	v_add_f32_e32 v11, v11, v22
	s_or_b64 exec, exec, s[14:15]
	v_cmp_gt_u32_e64 s[10:11], 4, v17
	s_and_saveexec_b64 s[14:15], s[10:11]
	s_cbranch_execnz .LBB57_86
	s_branch .LBB57_87
.LBB57_1061:
	v_lshlrev_b32_e32 v26, 3, v25
	v_sub_u32_e32 v26, v23, v26
	v_lshl_add_u32 v26, v24, 3, v26
	ds_read_b64 v[26:27], v26 offset:576
	ds_read_b64 v[28:29], v23 offset:8
	s_waitcnt lgkmcnt(0)
	v_mul_f32_e32 v30, v29, v27
	v_mul_f32_e32 v27, v28, v27
	v_fma_f32 v28, v28, v26, -v30
	v_fmac_f32_e32 v27, v29, v26
	v_add_f32_e32 v10, v10, v28
	v_add_f32_e32 v11, v11, v27
	s_or_b64 exec, exec, s[16:17]
	v_cmp_gt_u32_e64 s[14:15], 48, v17
	s_and_saveexec_b64 s[16:17], s[14:15]
	s_cbranch_execz .LBB57_127
.LBB57_1062:
	v_lshlrev_b32_e32 v26, 3, v25
	v_sub_u32_e32 v26, v23, v26
	v_lshl_add_u32 v26, v24, 3, v26
	ds_read_b64 v[26:27], v26 offset:1088
	ds_read_b64 v[28:29], v23 offset:16
	s_waitcnt lgkmcnt(0)
	v_mul_f32_e32 v30, v29, v27
	v_mul_f32_e32 v27, v28, v27
	v_fma_f32 v28, v28, v26, -v30
	v_fmac_f32_e32 v27, v29, v26
	v_add_f32_e32 v10, v10, v28
	v_add_f32_e32 v11, v11, v27
	s_or_b64 exec, exec, s[16:17]
	v_cmp_gt_u32_e64 s[14:15], 40, v17
	s_and_saveexec_b64 s[16:17], s[14:15]
	s_cbranch_execz .LBB57_128
.LBB57_1063:
	v_lshlrev_b32_e32 v26, 3, v25
	v_sub_u32_e32 v26, v23, v26
	v_lshl_add_u32 v26, v24, 3, v26
	ds_read_b64 v[26:27], v26 offset:1600
	ds_read_b64 v[28:29], v23 offset:24
	s_waitcnt lgkmcnt(0)
	v_mul_f32_e32 v30, v29, v27
	v_mul_f32_e32 v27, v28, v27
	v_fma_f32 v28, v28, v26, -v30
	v_fmac_f32_e32 v27, v29, v26
	v_add_f32_e32 v10, v10, v28
	v_add_f32_e32 v11, v11, v27
	s_or_b64 exec, exec, s[16:17]
	v_cmp_gt_u32_e64 s[14:15], 32, v17
	s_and_saveexec_b64 s[16:17], s[14:15]
	s_cbranch_execz .LBB57_129
.LBB57_1064:
	ds_read_b64 v[26:27], v21 offset:2112
	ds_read_b64 v[28:29], v23 offset:32
	s_waitcnt lgkmcnt(0)
	v_mul_f32_e32 v30, v29, v27
	v_mul_f32_e32 v27, v28, v27
	v_fma_f32 v28, v28, v26, -v30
	v_fmac_f32_e32 v27, v29, v26
	v_add_f32_e32 v10, v10, v28
	v_add_f32_e32 v11, v11, v27
	s_or_b64 exec, exec, s[16:17]
	v_cmp_gt_u32_e64 s[14:15], 24, v17
	s_and_saveexec_b64 s[16:17], s[14:15]
	s_cbranch_execz .LBB57_130
.LBB57_1065:
	v_lshlrev_b32_e32 v26, 3, v25
	v_sub_u32_e32 v26, v23, v26
	v_lshl_add_u32 v26, v24, 3, v26
	ds_read_b64 v[26:27], v26 offset:2624
	ds_read_b64 v[28:29], v23 offset:40
	s_waitcnt lgkmcnt(0)
	v_mul_f32_e32 v30, v29, v27
	v_mul_f32_e32 v27, v28, v27
	v_fma_f32 v28, v28, v26, -v30
	v_fmac_f32_e32 v27, v29, v26
	v_add_f32_e32 v10, v10, v28
	v_add_f32_e32 v11, v11, v27
	s_or_b64 exec, exec, s[16:17]
	v_cmp_gt_u32_e64 s[14:15], 16, v17
	s_and_saveexec_b64 s[16:17], s[14:15]
	s_cbranch_execz .LBB57_131
.LBB57_1066:
	ds_read_b64 v[26:27], v21 offset:3136
	ds_read_b64 v[28:29], v23 offset:48
	s_waitcnt lgkmcnt(0)
	v_mul_f32_e32 v23, v29, v27
	v_mul_f32_e32 v27, v28, v27
	v_fma_f32 v23, v28, v26, -v23
	v_fmac_f32_e32 v27, v29, v26
	v_add_f32_e32 v10, v10, v23
	v_add_f32_e32 v11, v11, v27
	s_or_b64 exec, exec, s[16:17]
	v_cmp_gt_u32_e64 s[14:15], 8, v17
	s_and_saveexec_b64 s[16:17], s[14:15]
	s_cbranch_execnz .LBB57_132
	s_branch .LBB57_133
.LBB57_1067:
	v_lshlrev_b32_e32 v27, 3, v20
	v_sub_u32_e32 v27, v26, v27
	v_lshl_add_u32 v27, v19, 3, v27
	ds_read_b64 v[27:28], v27 offset:4704
	ds_read_b64 v[29:30], v26 offset:4168
	s_waitcnt lgkmcnt(0)
	v_mul_f32_e32 v31, v30, v28
	v_mul_f32_e32 v28, v29, v28
	v_fma_f32 v29, v29, v27, -v31
	v_fmac_f32_e32 v28, v30, v27
	v_add_f32_e32 v10, v10, v29
	v_add_f32_e32 v11, v11, v28
	s_or_b64 exec, exec, s[14:15]
	v_cmp_gt_u32_e64 s[10:11], 8, v17
	s_and_saveexec_b64 s[14:15], s[10:11]
	s_cbranch_execz .LBB57_189
.LBB57_1068:
	ds_read_b64 v[27:28], v15 offset:5216
	ds_read_b64 v[29:30], v26 offset:4176
	s_waitcnt lgkmcnt(0)
	v_mul_f32_e32 v26, v30, v28
	v_mul_f32_e32 v28, v29, v28
	v_fma_f32 v26, v29, v27, -v26
	v_fmac_f32_e32 v28, v30, v27
	v_add_f32_e32 v10, v10, v26
	v_add_f32_e32 v11, v11, v28
	s_or_b64 exec, exec, s[14:15]
	v_cmp_gt_u32_e64 s[10:11], 4, v17
	s_and_saveexec_b64 s[14:15], s[10:11]
	s_cbranch_execnz .LBB57_190
	s_branch .LBB57_191
.LBB57_1069:
	v_lshlrev_b32_e32 v31, 3, v27
	v_lshl_add_u32 v31, v29, 3, v31
	ds_read_b64 v[31:32], v31 offset:5760
	ds_read_b64 v[33:34], v28 offset:88
	s_waitcnt lgkmcnt(0)
	v_mul_f32_e32 v35, v34, v32
	v_mul_f32_e32 v32, v33, v32
	v_fma_f32 v33, v33, v31, -v35
	v_fmac_f32_e32 v32, v34, v31
	v_add_f32_e32 v10, v10, v33
	v_add_f32_e32 v11, v11, v32
	s_or_b64 exec, exec, s[20:21]
	v_cmp_gt_u32_e64 s[16:17], 64, v17
	s_and_saveexec_b64 s[20:21], s[16:17]
	s_cbranch_execz .LBB57_251
.LBB57_1070:
	ds_read_b64 v[31:32], v26 offset:6272
	ds_read_b64 v[33:34], v28 offset:96
	s_waitcnt lgkmcnt(0)
	v_mul_f32_e32 v35, v34, v32
	v_mul_f32_e32 v32, v33, v32
	v_fma_f32 v33, v33, v31, -v35
	v_fmac_f32_e32 v32, v34, v31
	v_add_f32_e32 v10, v10, v33
	v_add_f32_e32 v11, v11, v32
	s_or_b64 exec, exec, s[20:21]
	v_cmp_gt_u32_e64 s[16:17], 48, v17
	s_and_saveexec_b64 s[20:21], s[16:17]
	s_cbranch_execz .LBB57_252
.LBB57_1071:
	v_lshlrev_b32_e32 v31, 3, v27
	v_lshl_add_u32 v31, v29, 3, v31
	ds_read_b64 v[31:32], v31 offset:6784
	ds_read_b64 v[33:34], v28 offset:104
	s_waitcnt lgkmcnt(0)
	v_mul_f32_e32 v35, v34, v32
	v_mul_f32_e32 v32, v33, v32
	v_fma_f32 v33, v33, v31, -v35
	v_fmac_f32_e32 v32, v34, v31
	v_add_f32_e32 v10, v10, v33
	v_add_f32_e32 v11, v11, v32
	s_or_b64 exec, exec, s[20:21]
	v_cmp_gt_u32_e64 s[16:17], 32, v17
	s_and_saveexec_b64 s[20:21], s[16:17]
	s_cbranch_execz .LBB57_253
.LBB57_1072:
	ds_read_b64 v[31:32], v26 offset:7296
	ds_read_b64 v[33:34], v28 offset:112
	s_waitcnt lgkmcnt(0)
	v_mul_f32_e32 v28, v34, v32
	v_mul_f32_e32 v32, v33, v32
	v_fma_f32 v28, v33, v31, -v28
	v_fmac_f32_e32 v32, v34, v31
	v_add_f32_e32 v10, v10, v28
	v_add_f32_e32 v11, v11, v32
	s_or_b64 exec, exec, s[20:21]
	v_cmp_gt_u32_e64 s[16:17], 16, v17
	s_and_saveexec_b64 s[20:21], s[16:17]
	s_cbranch_execnz .LBB57_254
	s_branch .LBB57_255
.LBB57_1073:
	v_lshlrev_b32_e32 v32, 3, v20
	v_sub_u32_e32 v32, v31, v32
	v_lshl_add_u32 v32, v19, 3, v32
	ds_read_b64 v[32:33], v32 offset:8864
	ds_read_b64 v[34:35], v31 offset:8328
	s_waitcnt lgkmcnt(0)
	v_mul_f32_e32 v36, v35, v33
	v_mul_f32_e32 v33, v34, v33
	v_fma_f32 v34, v34, v32, -v36
	v_fmac_f32_e32 v33, v35, v32
	v_add_f32_e32 v10, v10, v34
	v_add_f32_e32 v11, v11, v33
	s_or_b64 exec, exec, s[20:21]
	v_cmp_gt_u32_e64 s[14:15], 8, v17
	s_and_saveexec_b64 s[20:21], s[14:15]
	s_cbranch_execz .LBB57_343
.LBB57_1074:
	ds_read_b64 v[32:33], v15 offset:9376
	ds_read_b64 v[34:35], v31 offset:8336
	s_waitcnt lgkmcnt(0)
	v_mul_f32_e32 v31, v35, v33
	v_mul_f32_e32 v33, v34, v33
	v_fma_f32 v31, v34, v32, -v31
	v_fmac_f32_e32 v33, v35, v32
	v_add_f32_e32 v10, v10, v31
	v_add_f32_e32 v11, v11, v33
	s_or_b64 exec, exec, s[20:21]
	v_cmp_gt_u32_e64 s[14:15], 4, v17
	s_and_saveexec_b64 s[20:21], s[14:15]
	s_cbranch_execnz .LBB57_344
	s_branch .LBB57_345
.LBB57_1075:
	v_lshlrev_b32_e32 v32, 3, v25
	v_sub_u32_e32 v32, v31, v32
	v_lshl_add_u32 v32, v24, 3, v32
	ds_read_b64 v[32:33], v32 offset:8896
	ds_read_b64 v[34:35], v31 offset:8328
	s_waitcnt lgkmcnt(0)
	v_mul_f32_e32 v36, v35, v33
	v_mul_f32_e32 v33, v34, v33
	v_fma_f32 v34, v34, v32, -v36
	v_fmac_f32_e32 v33, v35, v32
	v_add_f32_e32 v10, v10, v34
	v_add_f32_e32 v11, v11, v33
	s_or_b64 exec, exec, s[20:21]
	v_cmp_gt_u32_e64 s[14:15], 48, v17
	s_and_saveexec_b64 s[20:21], s[14:15]
	s_cbranch_execz .LBB57_385
.LBB57_1076:
	v_lshlrev_b32_e32 v32, 3, v25
	v_sub_u32_e32 v32, v31, v32
	v_lshl_add_u32 v32, v24, 3, v32
	ds_read_b64 v[32:33], v32 offset:9408
	ds_read_b64 v[34:35], v31 offset:8336
	s_waitcnt lgkmcnt(0)
	v_mul_f32_e32 v36, v35, v33
	v_mul_f32_e32 v33, v34, v33
	v_fma_f32 v34, v34, v32, -v36
	v_fmac_f32_e32 v33, v35, v32
	v_add_f32_e32 v10, v10, v34
	v_add_f32_e32 v11, v11, v33
	s_or_b64 exec, exec, s[20:21]
	v_cmp_gt_u32_e64 s[14:15], 40, v17
	s_and_saveexec_b64 s[20:21], s[14:15]
	s_cbranch_execz .LBB57_386
.LBB57_1077:
	v_lshlrev_b32_e32 v32, 3, v25
	v_sub_u32_e32 v32, v31, v32
	v_lshl_add_u32 v32, v24, 3, v32
	ds_read_b64 v[32:33], v32 offset:9920
	ds_read_b64 v[34:35], v31 offset:8344
	s_waitcnt lgkmcnt(0)
	v_mul_f32_e32 v36, v35, v33
	v_mul_f32_e32 v33, v34, v33
	v_fma_f32 v34, v34, v32, -v36
	v_fmac_f32_e32 v33, v35, v32
	v_add_f32_e32 v10, v10, v34
	v_add_f32_e32 v11, v11, v33
	s_or_b64 exec, exec, s[20:21]
	v_cmp_gt_u32_e64 s[14:15], 32, v17
	s_and_saveexec_b64 s[20:21], s[14:15]
	s_cbranch_execz .LBB57_387
.LBB57_1078:
	ds_read_b64 v[32:33], v21 offset:10432
	ds_read_b64 v[34:35], v31 offset:8352
	s_waitcnt lgkmcnt(0)
	v_mul_f32_e32 v36, v35, v33
	v_mul_f32_e32 v33, v34, v33
	v_fma_f32 v34, v34, v32, -v36
	v_fmac_f32_e32 v33, v35, v32
	v_add_f32_e32 v10, v10, v34
	v_add_f32_e32 v11, v11, v33
	s_or_b64 exec, exec, s[20:21]
	v_cmp_gt_u32_e64 s[14:15], 24, v17
	s_and_saveexec_b64 s[20:21], s[14:15]
	s_cbranch_execz .LBB57_388
.LBB57_1079:
	v_lshlrev_b32_e32 v32, 3, v25
	v_sub_u32_e32 v32, v31, v32
	v_lshl_add_u32 v32, v24, 3, v32
	ds_read_b64 v[32:33], v32 offset:10944
	ds_read_b64 v[34:35], v31 offset:8360
	s_waitcnt lgkmcnt(0)
	v_mul_f32_e32 v36, v35, v33
	v_mul_f32_e32 v33, v34, v33
	v_fma_f32 v34, v34, v32, -v36
	v_fmac_f32_e32 v33, v35, v32
	v_add_f32_e32 v10, v10, v34
	v_add_f32_e32 v11, v11, v33
	s_or_b64 exec, exec, s[20:21]
	v_cmp_gt_u32_e64 s[14:15], 16, v17
	s_and_saveexec_b64 s[20:21], s[14:15]
	s_cbranch_execz .LBB57_389
.LBB57_1080:
	ds_read_b64 v[32:33], v21 offset:11456
	ds_read_b64 v[34:35], v31 offset:8368
	s_waitcnt lgkmcnt(0)
	v_mul_f32_e32 v31, v35, v33
	v_mul_f32_e32 v33, v34, v33
	v_fma_f32 v31, v34, v32, -v31
	v_fmac_f32_e32 v33, v35, v32
	v_add_f32_e32 v10, v10, v31
	v_add_f32_e32 v11, v11, v33
	s_or_b64 exec, exec, s[20:21]
	v_cmp_gt_u32_e64 s[14:15], 8, v17
	s_and_saveexec_b64 s[20:21], s[14:15]
	s_cbranch_execnz .LBB57_390
	s_branch .LBB57_391
.LBB57_1081:
	v_lshlrev_b32_e32 v32, 3, v20
	v_sub_u32_e32 v32, v31, v32
	v_lshl_add_u32 v32, v19, 3, v32
	ds_read_b64 v[32:33], v32 offset:13024
	ds_read_b64 v[34:35], v31 offset:12488
	s_waitcnt lgkmcnt(0)
	v_mul_f32_e32 v36, v35, v33
	v_mul_f32_e32 v33, v34, v33
	v_fma_f32 v34, v34, v32, -v36
	v_fmac_f32_e32 v33, v35, v32
	v_add_f32_e32 v10, v10, v34
	v_add_f32_e32 v11, v11, v33
	s_or_b64 exec, exec, s[20:21]
	v_cmp_gt_u32_e64 s[14:15], 8, v17
	s_and_saveexec_b64 s[20:21], s[14:15]
	s_cbranch_execz .LBB57_447
.LBB57_1082:
	ds_read_b64 v[32:33], v15 offset:13536
	ds_read_b64 v[34:35], v31 offset:12496
	s_waitcnt lgkmcnt(0)
	v_mul_f32_e32 v31, v35, v33
	v_mul_f32_e32 v33, v34, v33
	v_fma_f32 v31, v34, v32, -v31
	v_fmac_f32_e32 v33, v35, v32
	v_add_f32_e32 v10, v10, v31
	v_add_f32_e32 v11, v11, v33
	s_or_b64 exec, exec, s[20:21]
	v_cmp_gt_u32_e64 s[14:15], 4, v17
	s_and_saveexec_b64 s[20:21], s[14:15]
	s_cbranch_execnz .LBB57_448
	s_branch .LBB57_449
.LBB57_1083:
	ds_read_b64 v[37:38], v36 offset:15104
	ds_read_b64 v[39:40], v35 offset:232
	s_waitcnt lgkmcnt(0)
	v_mul_f32_e32 v41, v40, v38
	v_mul_f32_e32 v38, v39, v38
	v_fma_f32 v39, v39, v37, -v41
	v_fmac_f32_e32 v38, v40, v37
	v_add_f32_e32 v10, v10, v39
	v_add_f32_e32 v11, v11, v38
	s_or_b64 exec, exec, s[92:93]
	v_cmp_gt_u32_e64 s[20:21], 64, v17
	s_and_saveexec_b64 s[92:93], s[20:21]
	s_cbranch_execz .LBB57_545
.LBB57_1084:
	ds_read_b64 v[36:37], v36 offset:15616
	ds_read_b64 v[38:39], v35 offset:240
	s_waitcnt lgkmcnt(0)
	v_mul_f32_e32 v40, v39, v37
	v_mul_f32_e32 v37, v38, v37
	v_fma_f32 v38, v38, v36, -v40
	v_fmac_f32_e32 v37, v39, v36
	v_add_f32_e32 v10, v10, v38
	v_add_f32_e32 v11, v11, v37
	s_or_b64 exec, exec, s[92:93]
	v_cmp_gt_u32_e64 s[20:21], 32, v17
	s_and_saveexec_b64 s[92:93], s[20:21]
	s_cbranch_execnz .LBB57_546
	s_branch .LBB57_547
.LBB57_1085:
	v_lshlrev_b32_e32 v32, 3, v20
	v_sub_u32_e32 v32, v31, v32
	v_lshl_add_u32 v32, v19, 3, v32
	ds_read_b64 v[32:33], v32 offset:17184
	ds_read_b64 v[34:35], v31 offset:16648
	s_waitcnt lgkmcnt(0)
	v_mul_f32_e32 v36, v35, v33
	v_mul_f32_e32 v33, v34, v33
	v_fma_f32 v34, v34, v32, -v36
	v_fmac_f32_e32 v33, v35, v32
	v_add_f32_e32 v10, v10, v34
	v_add_f32_e32 v11, v11, v33
	s_or_b64 exec, exec, s[16:17]
	v_cmp_gt_u32_e64 s[12:13], 8, v17
	s_and_saveexec_b64 s[16:17], s[12:13]
	s_cbranch_execz .LBB57_583
.LBB57_1086:
	ds_read_b64 v[32:33], v15 offset:17696
	ds_read_b64 v[34:35], v31 offset:16656
	s_waitcnt lgkmcnt(0)
	v_mul_f32_e32 v31, v35, v33
	v_mul_f32_e32 v33, v34, v33
	v_fma_f32 v31, v34, v32, -v31
	v_fmac_f32_e32 v33, v35, v32
	v_add_f32_e32 v10, v10, v31
	v_add_f32_e32 v11, v11, v33
	s_or_b64 exec, exec, s[16:17]
	v_cmp_gt_u32_e64 s[12:13], 4, v17
	s_and_saveexec_b64 s[16:17], s[12:13]
	s_cbranch_execnz .LBB57_584
	s_branch .LBB57_585
.LBB57_1087:
	v_lshlrev_b32_e32 v32, 3, v25
	v_sub_u32_e32 v32, v31, v32
	v_lshl_add_u32 v32, v24, 3, v32
	ds_read_b64 v[32:33], v32 offset:17216
	ds_read_b64 v[34:35], v31 offset:16648
	s_waitcnt lgkmcnt(0)
	v_mul_f32_e32 v36, v35, v33
	v_mul_f32_e32 v33, v34, v33
	v_fma_f32 v34, v34, v32, -v36
	v_fmac_f32_e32 v33, v35, v32
	v_add_f32_e32 v10, v10, v34
	v_add_f32_e32 v11, v11, v33
	s_or_b64 exec, exec, s[16:17]
	v_cmp_gt_u32_e64 s[12:13], 48, v17
	s_and_saveexec_b64 s[16:17], s[12:13]
	s_cbranch_execz .LBB57_625
.LBB57_1088:
	v_lshlrev_b32_e32 v32, 3, v25
	v_sub_u32_e32 v32, v31, v32
	v_lshl_add_u32 v32, v24, 3, v32
	ds_read_b64 v[32:33], v32 offset:17728
	ds_read_b64 v[34:35], v31 offset:16656
	s_waitcnt lgkmcnt(0)
	v_mul_f32_e32 v36, v35, v33
	v_mul_f32_e32 v33, v34, v33
	v_fma_f32 v34, v34, v32, -v36
	v_fmac_f32_e32 v33, v35, v32
	v_add_f32_e32 v10, v10, v34
	v_add_f32_e32 v11, v11, v33
	s_or_b64 exec, exec, s[16:17]
	v_cmp_gt_u32_e64 s[12:13], 40, v17
	s_and_saveexec_b64 s[16:17], s[12:13]
	s_cbranch_execz .LBB57_626
.LBB57_1089:
	v_lshlrev_b32_e32 v32, 3, v25
	v_sub_u32_e32 v32, v31, v32
	v_lshl_add_u32 v32, v24, 3, v32
	ds_read_b64 v[32:33], v32 offset:18240
	ds_read_b64 v[34:35], v31 offset:16664
	s_waitcnt lgkmcnt(0)
	v_mul_f32_e32 v36, v35, v33
	v_mul_f32_e32 v33, v34, v33
	v_fma_f32 v34, v34, v32, -v36
	v_fmac_f32_e32 v33, v35, v32
	v_add_f32_e32 v10, v10, v34
	v_add_f32_e32 v11, v11, v33
	s_or_b64 exec, exec, s[16:17]
	v_cmp_gt_u32_e64 s[12:13], 32, v17
	s_and_saveexec_b64 s[16:17], s[12:13]
	s_cbranch_execz .LBB57_627
.LBB57_1090:
	ds_read_b64 v[32:33], v21 offset:18752
	ds_read_b64 v[34:35], v31 offset:16672
	s_waitcnt lgkmcnt(0)
	v_mul_f32_e32 v36, v35, v33
	v_mul_f32_e32 v33, v34, v33
	v_fma_f32 v34, v34, v32, -v36
	v_fmac_f32_e32 v33, v35, v32
	v_add_f32_e32 v10, v10, v34
	v_add_f32_e32 v11, v11, v33
	s_or_b64 exec, exec, s[16:17]
	v_cmp_gt_u32_e64 s[12:13], 24, v17
	s_and_saveexec_b64 s[16:17], s[12:13]
	s_cbranch_execz .LBB57_628
.LBB57_1091:
	v_lshlrev_b32_e32 v32, 3, v25
	v_sub_u32_e32 v32, v31, v32
	v_lshl_add_u32 v32, v24, 3, v32
	ds_read_b64 v[32:33], v32 offset:19264
	ds_read_b64 v[34:35], v31 offset:16680
	s_waitcnt lgkmcnt(0)
	v_mul_f32_e32 v36, v35, v33
	v_mul_f32_e32 v33, v34, v33
	v_fma_f32 v34, v34, v32, -v36
	v_fmac_f32_e32 v33, v35, v32
	v_add_f32_e32 v10, v10, v34
	v_add_f32_e32 v11, v11, v33
	s_or_b64 exec, exec, s[16:17]
	v_cmp_gt_u32_e64 s[12:13], 16, v17
	s_and_saveexec_b64 s[16:17], s[12:13]
	s_cbranch_execz .LBB57_629
.LBB57_1092:
	ds_read_b64 v[32:33], v21 offset:19776
	ds_read_b64 v[34:35], v31 offset:16688
	s_waitcnt lgkmcnt(0)
	v_mul_f32_e32 v31, v35, v33
	v_mul_f32_e32 v33, v34, v33
	v_fma_f32 v31, v34, v32, -v31
	v_fmac_f32_e32 v33, v35, v32
	v_add_f32_e32 v10, v10, v31
	v_add_f32_e32 v11, v11, v33
	s_or_b64 exec, exec, s[16:17]
	v_cmp_gt_u32_e64 s[12:13], 8, v17
	s_and_saveexec_b64 s[16:17], s[12:13]
	s_cbranch_execnz .LBB57_630
	s_branch .LBB57_631
.LBB57_1093:
	v_lshlrev_b32_e32 v32, 3, v20
	v_sub_u32_e32 v32, v31, v32
	v_lshl_add_u32 v32, v19, 3, v32
	ds_read_b64 v[32:33], v32 offset:21344
	ds_read_b64 v[34:35], v31 offset:20808
	s_waitcnt lgkmcnt(0)
	v_mul_f32_e32 v36, v35, v33
	v_mul_f32_e32 v33, v34, v33
	v_fma_f32 v34, v34, v32, -v36
	v_fmac_f32_e32 v33, v35, v32
	v_add_f32_e32 v10, v10, v34
	v_add_f32_e32 v11, v11, v33
	s_or_b64 exec, exec, s[16:17]
	v_cmp_gt_u32_e64 s[12:13], 8, v17
	s_and_saveexec_b64 s[16:17], s[12:13]
	s_cbranch_execz .LBB57_687
.LBB57_1094:
	ds_read_b64 v[32:33], v15 offset:21856
	ds_read_b64 v[34:35], v31 offset:20816
	s_waitcnt lgkmcnt(0)
	v_mul_f32_e32 v31, v35, v33
	v_mul_f32_e32 v33, v34, v33
	v_fma_f32 v31, v34, v32, -v31
	v_fmac_f32_e32 v33, v35, v32
	v_add_f32_e32 v10, v10, v31
	v_add_f32_e32 v11, v11, v33
	s_or_b64 exec, exec, s[16:17]
	v_cmp_gt_u32_e64 s[12:13], 4, v17
	s_and_saveexec_b64 s[16:17], s[12:13]
	s_cbranch_execnz .LBB57_688
	s_branch .LBB57_689
.LBB57_1095:
	v_lshlrev_b32_e32 v30, 3, v27
	v_lshl_add_u32 v30, v29, 3, v30
	ds_read_b64 v[32:33], v30 offset:22400
	ds_read_b64 v[34:35], v31 offset:16728
	s_waitcnt lgkmcnt(0)
	v_mul_f32_e32 v30, v35, v33
	v_mul_f32_e32 v33, v34, v33
	v_fma_f32 v30, v34, v32, -v30
	v_fmac_f32_e32 v33, v35, v32
	v_add_f32_e32 v10, v10, v30
	v_add_f32_e32 v11, v11, v33
	s_or_b64 exec, exec, s[16:17]
	v_cmp_gt_u32_e64 s[12:13], 64, v17
	s_and_saveexec_b64 s[16:17], s[12:13]
	s_cbranch_execz .LBB57_749
.LBB57_1096:
	ds_read_b64 v[32:33], v26 offset:22912
	ds_read_b64 v[34:35], v31 offset:16736
	s_waitcnt lgkmcnt(0)
	v_mul_f32_e32 v30, v35, v33
	v_mul_f32_e32 v33, v34, v33
	v_fma_f32 v30, v34, v32, -v30
	v_fmac_f32_e32 v33, v35, v32
	v_add_f32_e32 v10, v10, v30
	v_add_f32_e32 v11, v11, v33
	s_or_b64 exec, exec, s[16:17]
	v_cmp_gt_u32_e64 s[12:13], 48, v17
	s_and_saveexec_b64 s[16:17], s[12:13]
	s_cbranch_execz .LBB57_750
.LBB57_1097:
	v_lshlrev_b32_e32 v30, 3, v27
	v_lshl_add_u32 v29, v29, 3, v30
	ds_read_b64 v[29:30], v29 offset:23424
	ds_read_b64 v[32:33], v31 offset:16744
	s_waitcnt lgkmcnt(0)
	v_mul_f32_e32 v34, v33, v30
	v_mul_f32_e32 v30, v32, v30
	v_fma_f32 v32, v32, v29, -v34
	v_fmac_f32_e32 v30, v33, v29
	v_add_f32_e32 v10, v10, v32
	v_add_f32_e32 v11, v11, v30
	s_or_b64 exec, exec, s[16:17]
	v_cmp_gt_u32_e64 s[12:13], 32, v17
	s_and_saveexec_b64 s[16:17], s[12:13]
	s_cbranch_execz .LBB57_751
.LBB57_1098:
	ds_read_b64 v[29:30], v26 offset:23936
	ds_read_b64 v[31:32], v31 offset:16752
	s_waitcnt lgkmcnt(0)
	v_mul_f32_e32 v33, v32, v30
	v_mul_f32_e32 v30, v31, v30
	v_fma_f32 v31, v31, v29, -v33
	v_fmac_f32_e32 v30, v32, v29
	v_add_f32_e32 v10, v10, v31
	v_add_f32_e32 v11, v11, v30
	s_or_b64 exec, exec, s[16:17]
	v_cmp_gt_u32_e64 s[12:13], 16, v17
	s_and_saveexec_b64 s[16:17], s[12:13]
	s_cbranch_execnz .LBB57_752
	s_branch .LBB57_753
.LBB57_1099:
	v_lshlrev_b32_e32 v27, 3, v20
	v_sub_u32_e32 v27, v26, v27
	v_lshl_add_u32 v27, v19, 3, v27
	ds_read_b64 v[27:28], v27 offset:25504
	ds_read_b64 v[29:30], v26 offset:24968
	s_waitcnt lgkmcnt(0)
	v_mul_f32_e32 v31, v30, v28
	v_mul_f32_e32 v28, v29, v28
	v_fma_f32 v29, v29, v27, -v31
	v_fmac_f32_e32 v28, v30, v27
	v_add_f32_e32 v10, v10, v29
	v_add_f32_e32 v11, v11, v28
	s_or_b64 exec, exec, s[12:13]
	v_cmp_gt_u32_e64 s[10:11], 8, v17
	s_and_saveexec_b64 s[12:13], s[10:11]
	s_cbranch_execz .LBB57_841
.LBB57_1100:
	ds_read_b64 v[27:28], v15 offset:26016
	ds_read_b64 v[29:30], v26 offset:24976
	s_waitcnt lgkmcnt(0)
	v_mul_f32_e32 v26, v30, v28
	v_mul_f32_e32 v28, v29, v28
	v_fma_f32 v26, v29, v27, -v26
	v_fmac_f32_e32 v28, v30, v27
	v_add_f32_e32 v10, v10, v26
	v_add_f32_e32 v11, v11, v28
	s_or_b64 exec, exec, s[12:13]
	v_cmp_gt_u32_e64 s[10:11], 4, v17
	s_and_saveexec_b64 s[12:13], s[10:11]
	s_cbranch_execnz .LBB57_842
	s_branch .LBB57_843
.LBB57_1101:
	v_lshlrev_b32_e32 v27, 3, v25
	v_sub_u32_e32 v27, v26, v27
	v_lshl_add_u32 v27, v24, 3, v27
	ds_read_b64 v[27:28], v27 offset:25536
	ds_read_b64 v[29:30], v26 offset:24968
	s_waitcnt lgkmcnt(0)
	v_mul_f32_e32 v31, v30, v28
	v_mul_f32_e32 v28, v29, v28
	v_fma_f32 v29, v29, v27, -v31
	v_fmac_f32_e32 v28, v30, v27
	v_add_f32_e32 v10, v10, v29
	v_add_f32_e32 v11, v11, v28
	s_or_b64 exec, exec, s[12:13]
	v_cmp_gt_u32_e64 s[10:11], 48, v17
	s_and_saveexec_b64 s[12:13], s[10:11]
	s_cbranch_execz .LBB57_883
.LBB57_1102:
	v_lshlrev_b32_e32 v27, 3, v25
	v_sub_u32_e32 v27, v26, v27
	v_lshl_add_u32 v27, v24, 3, v27
	ds_read_b64 v[27:28], v27 offset:26048
	ds_read_b64 v[29:30], v26 offset:24976
	s_waitcnt lgkmcnt(0)
	v_mul_f32_e32 v31, v30, v28
	v_mul_f32_e32 v28, v29, v28
	v_fma_f32 v29, v29, v27, -v31
	v_fmac_f32_e32 v28, v30, v27
	v_add_f32_e32 v10, v10, v29
	v_add_f32_e32 v11, v11, v28
	s_or_b64 exec, exec, s[12:13]
	v_cmp_gt_u32_e64 s[10:11], 40, v17
	s_and_saveexec_b64 s[12:13], s[10:11]
	s_cbranch_execz .LBB57_884
.LBB57_1103:
	v_lshlrev_b32_e32 v27, 3, v25
	v_sub_u32_e32 v27, v26, v27
	v_lshl_add_u32 v27, v24, 3, v27
	ds_read_b64 v[27:28], v27 offset:26560
	ds_read_b64 v[29:30], v26 offset:24984
	s_waitcnt lgkmcnt(0)
	v_mul_f32_e32 v31, v30, v28
	v_mul_f32_e32 v28, v29, v28
	v_fma_f32 v29, v29, v27, -v31
	v_fmac_f32_e32 v28, v30, v27
	v_add_f32_e32 v10, v10, v29
	v_add_f32_e32 v11, v11, v28
	s_or_b64 exec, exec, s[12:13]
	v_cmp_gt_u32_e64 s[10:11], 32, v17
	s_and_saveexec_b64 s[12:13], s[10:11]
	s_cbranch_execz .LBB57_885
.LBB57_1104:
	ds_read_b64 v[27:28], v21 offset:27072
	ds_read_b64 v[29:30], v26 offset:24992
	s_waitcnt lgkmcnt(0)
	v_mul_f32_e32 v31, v30, v28
	v_mul_f32_e32 v28, v29, v28
	v_fma_f32 v29, v29, v27, -v31
	v_fmac_f32_e32 v28, v30, v27
	v_add_f32_e32 v10, v10, v29
	v_add_f32_e32 v11, v11, v28
	s_or_b64 exec, exec, s[12:13]
	v_cmp_gt_u32_e64 s[10:11], 24, v17
	s_and_saveexec_b64 s[12:13], s[10:11]
	s_cbranch_execz .LBB57_886
.LBB57_1105:
	v_lshlrev_b32_e32 v25, 3, v25
	v_sub_u32_e32 v25, v26, v25
	v_lshl_add_u32 v24, v24, 3, v25
	ds_read_b64 v[24:25], v24 offset:27584
	ds_read_b64 v[27:28], v26 offset:25000
	s_waitcnt lgkmcnt(0)
	v_mul_f32_e32 v29, v28, v25
	v_mul_f32_e32 v25, v27, v25
	v_fma_f32 v27, v27, v24, -v29
	v_fmac_f32_e32 v25, v28, v24
	v_add_f32_e32 v10, v10, v27
	v_add_f32_e32 v11, v11, v25
	s_or_b64 exec, exec, s[12:13]
	v_cmp_gt_u32_e64 s[10:11], 16, v17
	s_and_saveexec_b64 s[12:13], s[10:11]
	s_cbranch_execz .LBB57_887
.LBB57_1106:
	ds_read_b64 v[24:25], v21 offset:28096
	ds_read_b64 v[26:27], v26 offset:25008
	s_waitcnt lgkmcnt(0)
	v_mul_f32_e32 v28, v27, v25
	v_mul_f32_e32 v25, v26, v25
	v_fma_f32 v26, v26, v24, -v28
	v_fmac_f32_e32 v25, v27, v24
	v_add_f32_e32 v10, v10, v26
	v_add_f32_e32 v11, v11, v25
	s_or_b64 exec, exec, s[12:13]
	v_cmp_gt_u32_e64 s[10:11], 8, v17
	s_and_saveexec_b64 s[12:13], s[10:11]
	s_cbranch_execnz .LBB57_888
	s_branch .LBB57_889
.LBB57_1107:
	v_lshlrev_b32_e32 v20, 3, v20
	v_sub_u32_e32 v20, v21, v20
	v_lshl_add_u32 v19, v19, 3, v20
	ds_read_b64 v[19:20], v19 offset:29664
	ds_read_b64 v[22:23], v21 offset:29128
	s_waitcnt lgkmcnt(0)
	v_mul_f32_e32 v24, v23, v20
	v_mul_f32_e32 v20, v22, v20
	v_fma_f32 v22, v22, v19, -v24
	v_fmac_f32_e32 v20, v23, v19
	v_add_f32_e32 v10, v10, v22
	v_add_f32_e32 v11, v11, v20
	s_or_b64 exec, exec, s[10:11]
	v_cmp_gt_u32_e64 s[8:9], 8, v17
	s_and_saveexec_b64 s[10:11], s[8:9]
	s_cbranch_execz .LBB57_945
.LBB57_1108:
	ds_read_b64 v[19:20], v15 offset:30176
	ds_read_b64 v[21:22], v21 offset:29136
	s_waitcnt lgkmcnt(0)
	v_mul_f32_e32 v23, v22, v20
	v_mul_f32_e32 v20, v21, v20
	v_fma_f32 v21, v21, v19, -v23
	v_fmac_f32_e32 v20, v22, v19
	v_add_f32_e32 v10, v10, v21
	v_add_f32_e32 v11, v11, v20
	s_or_b64 exec, exec, s[10:11]
	v_cmp_gt_u32_e64 s[8:9], 4, v17
	s_and_saveexec_b64 s[10:11], s[8:9]
	s_cbranch_execnz .LBB57_946
	s_branch .LBB57_947
	.section	.rodata,"a",@progbits
	.p2align	6, 0x0
	.amdhsa_kernel _ZL19rocblas_trsv_deviceILi64ELi16ELb1ELb1ELb1ELb1E19rocblas_complex_numIfEPKS1_S3_PS1_EviT7_lllT6_T8_lllPii
		.amdhsa_group_segment_fixed_size 41480
		.amdhsa_private_segment_fixed_size 0
		.amdhsa_kernarg_size 352
		.amdhsa_user_sgpr_count 6
		.amdhsa_user_sgpr_private_segment_buffer 1
		.amdhsa_user_sgpr_dispatch_ptr 0
		.amdhsa_user_sgpr_queue_ptr 0
		.amdhsa_user_sgpr_kernarg_segment_ptr 1
		.amdhsa_user_sgpr_dispatch_id 0
		.amdhsa_user_sgpr_flat_scratch_init 0
		.amdhsa_user_sgpr_private_segment_size 0
		.amdhsa_uses_dynamic_stack 0
		.amdhsa_system_sgpr_private_segment_wavefront_offset 0
		.amdhsa_system_sgpr_workgroup_id_x 1
		.amdhsa_system_sgpr_workgroup_id_y 0
		.amdhsa_system_sgpr_workgroup_id_z 1
		.amdhsa_system_sgpr_workgroup_info 0
		.amdhsa_system_vgpr_workitem_id 1
		.amdhsa_next_free_vgpr 49
		.amdhsa_next_free_sgpr 98
		.amdhsa_reserve_vcc 1
		.amdhsa_reserve_flat_scratch 0
		.amdhsa_float_round_mode_32 0
		.amdhsa_float_round_mode_16_64 0
		.amdhsa_float_denorm_mode_32 3
		.amdhsa_float_denorm_mode_16_64 3
		.amdhsa_dx10_clamp 1
		.amdhsa_ieee_mode 1
		.amdhsa_fp16_overflow 0
		.amdhsa_exception_fp_ieee_invalid_op 0
		.amdhsa_exception_fp_denorm_src 0
		.amdhsa_exception_fp_ieee_div_zero 0
		.amdhsa_exception_fp_ieee_overflow 0
		.amdhsa_exception_fp_ieee_underflow 0
		.amdhsa_exception_fp_ieee_inexact 0
		.amdhsa_exception_int_div_zero 0
	.end_amdhsa_kernel
	.section	.text._ZL19rocblas_trsv_deviceILi64ELi16ELb1ELb1ELb1ELb1E19rocblas_complex_numIfEPKS1_S3_PS1_EviT7_lllT6_T8_lllPii,"axG",@progbits,_ZL19rocblas_trsv_deviceILi64ELi16ELb1ELb1ELb1ELb1E19rocblas_complex_numIfEPKS1_S3_PS1_EviT7_lllT6_T8_lllPii,comdat
.Lfunc_end57:
	.size	_ZL19rocblas_trsv_deviceILi64ELi16ELb1ELb1ELb1ELb1E19rocblas_complex_numIfEPKS1_S3_PS1_EviT7_lllT6_T8_lllPii, .Lfunc_end57-_ZL19rocblas_trsv_deviceILi64ELi16ELb1ELb1ELb1ELb1E19rocblas_complex_numIfEPKS1_S3_PS1_EviT7_lllT6_T8_lllPii
                                        ; -- End function
	.set _ZL19rocblas_trsv_deviceILi64ELi16ELb1ELb1ELb1ELb1E19rocblas_complex_numIfEPKS1_S3_PS1_EviT7_lllT6_T8_lllPii.num_vgpr, 43
	.set _ZL19rocblas_trsv_deviceILi64ELi16ELb1ELb1ELb1ELb1E19rocblas_complex_numIfEPKS1_S3_PS1_EviT7_lllT6_T8_lllPii.num_agpr, 0
	.set _ZL19rocblas_trsv_deviceILi64ELi16ELb1ELb1ELb1ELb1E19rocblas_complex_numIfEPKS1_S3_PS1_EviT7_lllT6_T8_lllPii.numbered_sgpr, 96
	.set _ZL19rocblas_trsv_deviceILi64ELi16ELb1ELb1ELb1ELb1E19rocblas_complex_numIfEPKS1_S3_PS1_EviT7_lllT6_T8_lllPii.num_named_barrier, 0
	.set _ZL19rocblas_trsv_deviceILi64ELi16ELb1ELb1ELb1ELb1E19rocblas_complex_numIfEPKS1_S3_PS1_EviT7_lllT6_T8_lllPii.private_seg_size, 0
	.set _ZL19rocblas_trsv_deviceILi64ELi16ELb1ELb1ELb1ELb1E19rocblas_complex_numIfEPKS1_S3_PS1_EviT7_lllT6_T8_lllPii.uses_vcc, 1
	.set _ZL19rocblas_trsv_deviceILi64ELi16ELb1ELb1ELb1ELb1E19rocblas_complex_numIfEPKS1_S3_PS1_EviT7_lllT6_T8_lllPii.uses_flat_scratch, 0
	.set _ZL19rocblas_trsv_deviceILi64ELi16ELb1ELb1ELb1ELb1E19rocblas_complex_numIfEPKS1_S3_PS1_EviT7_lllT6_T8_lllPii.has_dyn_sized_stack, 0
	.set _ZL19rocblas_trsv_deviceILi64ELi16ELb1ELb1ELb1ELb1E19rocblas_complex_numIfEPKS1_S3_PS1_EviT7_lllT6_T8_lllPii.has_recursion, 0
	.set _ZL19rocblas_trsv_deviceILi64ELi16ELb1ELb1ELb1ELb1E19rocblas_complex_numIfEPKS1_S3_PS1_EviT7_lllT6_T8_lllPii.has_indirect_call, 0
	.section	.AMDGPU.csdata,"",@progbits
; Kernel info:
; codeLenInByte = 39068
; TotalNumSgprs: 100
; NumVgprs: 43
; ScratchSize: 0
; MemoryBound: 0
; FloatMode: 240
; IeeeMode: 1
; LDSByteSize: 41480 bytes/workgroup (compile time only)
; SGPRBlocks: 12
; VGPRBlocks: 12
; NumSGPRsForWavesPerEU: 102
; NumVGPRsForWavesPerEU: 49
; Occupancy: 4
; WaveLimiterHint : 0
; COMPUTE_PGM_RSRC2:SCRATCH_EN: 0
; COMPUTE_PGM_RSRC2:USER_SGPR: 6
; COMPUTE_PGM_RSRC2:TRAP_HANDLER: 0
; COMPUTE_PGM_RSRC2:TGID_X_EN: 1
; COMPUTE_PGM_RSRC2:TGID_Y_EN: 0
; COMPUTE_PGM_RSRC2:TGID_Z_EN: 1
; COMPUTE_PGM_RSRC2:TIDIG_COMP_CNT: 1
	.section	.text._ZL19rocblas_trsv_deviceILi64ELi16ELb1ELb0ELb0ELb0E19rocblas_complex_numIfEPKS1_S3_PS1_EviT7_lllT6_T8_lllPii,"axG",@progbits,_ZL19rocblas_trsv_deviceILi64ELi16ELb1ELb0ELb0ELb0E19rocblas_complex_numIfEPKS1_S3_PS1_EviT7_lllT6_T8_lllPii,comdat
	.globl	_ZL19rocblas_trsv_deviceILi64ELi16ELb1ELb0ELb0ELb0E19rocblas_complex_numIfEPKS1_S3_PS1_EviT7_lllT6_T8_lllPii ; -- Begin function _ZL19rocblas_trsv_deviceILi64ELi16ELb1ELb0ELb0ELb0E19rocblas_complex_numIfEPKS1_S3_PS1_EviT7_lllT6_T8_lllPii
	.p2align	8
	.type	_ZL19rocblas_trsv_deviceILi64ELi16ELb1ELb0ELb0ELb0E19rocblas_complex_numIfEPKS1_S3_PS1_EviT7_lllT6_T8_lllPii,@function
_ZL19rocblas_trsv_deviceILi64ELi16ELb1ELb0ELb0ELb0E19rocblas_complex_numIfEPKS1_S3_PS1_EviT7_lllT6_T8_lllPii: ; @_ZL19rocblas_trsv_deviceILi64ELi16ELb1ELb0ELb0ELb0E19rocblas_complex_numIfEPKS1_S3_PS1_EviT7_lllT6_T8_lllPii
; %bb.0:
	s_mov_b32 s22, s9
	s_load_dwordx16 s[36:51], s[4:5], 0x8
	s_load_dword s9, s[4:5], 0x0
	s_add_u32 flat_scratch_lo, s6, s10
	s_addc_u32 flat_scratch_hi, s7, 0
	s_add_u32 s0, s0, s10
	s_waitcnt lgkmcnt(0)
	s_mul_i32 s6, s43, s22
	s_mul_hi_u32 s7, s42, s22
	s_addc_u32 s1, s1, 0
	s_add_i32 s7, s7, s6
	s_mul_i32 s6, s42, s22
	s_lshl_b64 s[6:7], s[6:7], 3
	s_add_u32 s10, s36, s6
	s_load_dwordx2 s[20:21], s[44:45], 0x0
	s_load_dword s99, s[4:5], 0x6c
	s_addc_u32 s11, s37, s7
	s_lshl_b64 s[6:7], s[38:39], 3
	s_add_u32 s97, s10, s6
	s_mov_b32 s23, 0
	s_addc_u32 s98, s11, s7
	v_mov_b32_e32 v2, v1
	s_cmp_eq_u32 s8, 0
	s_mov_b32 s33, s23
	s_cbranch_scc1 .LBB58_18
; %bb.1:
	s_lshl_b32 s33, s8, 6
	v_add_u32_e32 v1, s33, v2
	v_subrev_u32_e32 v1, 64, v1
	v_ashrrev_i32_e32 v3, 31, v1
	v_mul_lo_u32 v7, s40, v3
	v_mul_lo_u32 v8, s41, v1
	v_mad_u64_u32 v[3:4], s[6:7], s40, v1, 0
	v_add_u32_e32 v5, s33, v0
	v_ashrrev_i32_e32 v6, 31, v5
	v_add3_u32 v4, v4, v7, v8
	v_lshlrev_b64 v[3:4], 3, v[3:4]
	v_mov_b32_e32 v7, s98
	v_add_co_u32_e64 v8, s[6:7], s97, v3
	v_addc_co_u32_e64 v7, s[6:7], v7, v4, s[6:7]
	v_lshlrev_b64 v[3:4], 3, v[5:6]
	v_cmp_gt_i32_e32 vcc, s9, v5
	v_add_co_u32_e64 v3, s[6:7], v8, v3
	v_addc_co_u32_e64 v4, s[6:7], v7, v4, s[6:7]
	v_max_i32_e32 v5, v5, v1
	v_cmp_le_i32_e64 s[6:7], s9, v5
	s_waitcnt lgkmcnt(0)
	s_barrier
	s_and_saveexec_b64 s[10:11], s[6:7]
	s_xor_b64 s[6:7], exec, s[10:11]
	s_cbranch_execz .LBB58_3
; %bb.2:
	v_mov_b32_e32 v5, 0
	buffer_store_dword v5, off, s[0:3], 0
	buffer_store_dword v5, off, s[0:3], 0 offset:4
.LBB58_3:
	s_andn2_saveexec_b64 s[6:7], s[6:7]
	s_cbranch_execz .LBB58_5
; %bb.4:
	global_load_dwordx2 v[5:6], v[3:4], off
	s_waitcnt vmcnt(0)
	buffer_store_dword v6, off, s[0:3], 0 offset:4
	buffer_store_dword v5, off, s[0:3], 0
.LBB58_5:
	s_or_b64 exec, exec, s[6:7]
	v_add_u32_e32 v5, 16, v1
	v_cmp_le_i32_e64 s[6:7], s9, v5
	s_xor_b64 s[10:11], vcc, -1
	s_or_b64 s[6:7], s[10:11], s[6:7]
	s_waitcnt vmcnt(0)
	s_barrier
	s_and_saveexec_b64 s[12:13], s[6:7]
	s_xor_b64 s[6:7], exec, s[12:13]
	s_cbranch_execz .LBB58_7
; %bb.6:
	v_mov_b32_e32 v5, 0
	buffer_store_dword v5, off, s[0:3], 0 offset:8
	buffer_store_dword v5, off, s[0:3], 0 offset:12
.LBB58_7:
	s_andn2_saveexec_b64 s[6:7], s[6:7]
	s_cbranch_execz .LBB58_9
; %bb.8:
	s_lshl_b64 s[12:13], s[40:41], 7
	v_mov_b32_e32 v6, s13
	v_add_co_u32_e32 v5, vcc, s12, v3
	v_addc_co_u32_e32 v6, vcc, v4, v6, vcc
	global_load_dwordx2 v[5:6], v[5:6], off
	s_waitcnt vmcnt(0)
	buffer_store_dword v6, off, s[0:3], 0 offset:12
	buffer_store_dword v5, off, s[0:3], 0 offset:8
.LBB58_9:
	s_or_b64 exec, exec, s[6:7]
	v_add_u32_e32 v5, 32, v1
	v_cmp_le_i32_e32 vcc, s9, v5
	s_or_b64 s[6:7], s[10:11], vcc
	s_waitcnt vmcnt(0)
	s_barrier
	s_and_saveexec_b64 s[12:13], s[6:7]
	s_xor_b64 s[6:7], exec, s[12:13]
	s_cbranch_execz .LBB58_11
; %bb.10:
	v_mov_b32_e32 v5, 0
	buffer_store_dword v5, off, s[0:3], 0 offset:16
	buffer_store_dword v5, off, s[0:3], 0 offset:20
.LBB58_11:
	s_andn2_saveexec_b64 s[6:7], s[6:7]
	s_cbranch_execz .LBB58_13
; %bb.12:
	s_lshl_b64 s[12:13], s[40:41], 8
	v_mov_b32_e32 v6, s13
	v_add_co_u32_e32 v5, vcc, s12, v3
	v_addc_co_u32_e32 v6, vcc, v4, v6, vcc
	global_load_dwordx2 v[5:6], v[5:6], off
	s_waitcnt vmcnt(0)
	buffer_store_dword v6, off, s[0:3], 0 offset:20
	buffer_store_dword v5, off, s[0:3], 0 offset:16
.LBB58_13:
	s_or_b64 exec, exec, s[6:7]
	v_add_u32_e32 v1, 48, v1
	v_cmp_le_i32_e32 vcc, s9, v1
	s_or_b64 s[6:7], s[10:11], vcc
	s_waitcnt vmcnt(0)
	s_barrier
	s_and_saveexec_b64 s[10:11], s[6:7]
	s_xor_b64 s[6:7], exec, s[10:11]
	s_cbranch_execz .LBB58_15
; %bb.14:
	v_mov_b32_e32 v1, 0
	buffer_store_dword v1, off, s[0:3], 0 offset:24
	buffer_store_dword v1, off, s[0:3], 0 offset:28
                                        ; implicit-def: $vgpr3_vgpr4
.LBB58_15:
	s_andn2_saveexec_b64 s[6:7], s[6:7]
	s_cbranch_execz .LBB58_17
; %bb.16:
	v_mov_b32_e32 v1, 0x180
	v_mad_u64_u32 v[3:4], s[10:11], s40, v1, v[3:4]
	s_mul_i32 s10, s41, 0x180
	v_add_u32_e32 v4, s10, v4
	global_load_dwordx2 v[3:4], v[3:4], off
	s_waitcnt vmcnt(0)
	buffer_store_dword v4, off, s[0:3], 0 offset:28
	buffer_store_dword v3, off, s[0:3], 0 offset:24
.LBB58_17:
	s_or_b64 exec, exec, s[6:7]
.LBB58_18:
	s_ashr_i32 s6, s9, 31
	s_lshr_b32 s6, s6, 26
	s_add_i32 s6, s9, s6
	s_andn2_b32 s6, s6, 63
	s_sub_i32 s96, s9, s6
	s_add_i32 s6, s9, -1
	s_ashr_i32 s7, s6, 31
	s_lshr_b32 s7, s7, 26
	s_add_i32 s6, s6, s7
	s_ashr_i32 s6, s6, 6
	s_cmp_eq_u32 s6, s8
	s_cselect_b64 s[6:7], -1, 0
	s_cmp_lg_u32 s96, 0
	s_cselect_b64 s[10:11], -1, 0
	s_and_b64 s[24:25], s[10:11], s[6:7]
	s_ashr_i32 s58, s33, 31
	s_add_u32 s12, s40, 1
	v_mov_b32_e32 v1, 0
	v_mov_b32_e32 v3, s33
	v_mad_u64_u32 v[3:4], s[6:7], s12, v3, v[0:1]
	s_addc_u32 s13, s41, 0
	s_mul_i32 s6, s12, s58
	s_mul_i32 s13, s13, s33
	s_add_i32 s6, s6, s13
	s_mov_b64 s[10:11], -1
	v_add_u32_e32 v4, s6, v4
	s_and_b64 vcc, exec, s[24:25]
	v_cmp_le_u32_e64 s[6:7], v0, v2
	v_lshl_add_u32 v1, v2, 6, v0
	s_cbranch_vccnz .LBB58_76
; %bb.19:
	v_mad_u64_u32 v[5:6], s[10:11], s40, v2, v[3:4]
	v_mad_u64_u32 v[6:7], s[10:11], s41, v2, v[6:7]
	s_and_saveexec_b64 s[10:11], s[6:7]
	s_xor_b64 s[6:7], exec, s[10:11]
	s_cbranch_execz .LBB58_31
; %bb.20:
	v_cmp_ne_u32_e32 vcc, v0, v2
	s_and_saveexec_b64 s[10:11], vcc
	s_xor_b64 s[10:11], exec, s[10:11]
	s_cbranch_execz .LBB58_24
; %bb.21:
	v_or_b32_e32 v5, v2, v0
	v_cmp_gt_u32_e32 vcc, 64, v5
	s_and_saveexec_b64 s[12:13], vcc
; %bb.22:
	v_mov_b32_e32 v5, 0
	v_lshlrev_b32_e32 v7, 3, v1
	v_mov_b32_e32 v6, v5
	ds_write_b64 v7, v[5:6]
; %bb.23:
	s_or_b64 exec, exec, s[12:13]
                                        ; implicit-def: $vgpr5_vgpr6
.LBB58_24:
	s_andn2_saveexec_b64 s[10:11], s[10:11]
	s_cbranch_execz .LBB58_30
; %bb.25:
	v_lshlrev_b64 v[5:6], 3, v[5:6]
	v_mov_b32_e32 v7, s98
	v_add_co_u32_e32 v5, vcc, s97, v5
	v_addc_co_u32_e32 v6, vcc, v7, v6, vcc
	global_load_dwordx2 v[5:6], v[5:6], off
                                        ; implicit-def: $vgpr7
	s_waitcnt vmcnt(0)
	v_cmp_ngt_f32_e64 s[12:13], |v5|, |v6|
	s_and_saveexec_b64 s[14:15], s[12:13]
	s_xor_b64 s[12:13], exec, s[14:15]
	s_cbranch_execz .LBB58_27
; %bb.26:
	v_div_scale_f32 v7, s[14:15], v6, v6, v5
	v_div_scale_f32 v8, vcc, v5, v6, v5
	v_rcp_f32_e32 v9, v7
	v_fma_f32 v10, -v7, v9, 1.0
	v_fmac_f32_e32 v9, v10, v9
	v_mul_f32_e32 v10, v8, v9
	v_fma_f32 v11, -v7, v10, v8
	v_fmac_f32_e32 v10, v11, v9
	v_fma_f32 v7, -v7, v10, v8
	v_div_fmas_f32 v7, v7, v9, v10
	v_div_fixup_f32 v7, v7, v6, v5
	v_fmac_f32_e32 v6, v5, v7
	v_div_scale_f32 v5, s[14:15], v6, v6, 1.0
	v_div_scale_f32 v8, vcc, 1.0, v6, 1.0
	v_rcp_f32_e32 v9, v5
	v_fma_f32 v10, -v5, v9, 1.0
	v_fmac_f32_e32 v9, v10, v9
	v_mul_f32_e32 v10, v8, v9
	v_fma_f32 v11, -v5, v10, v8
	v_fmac_f32_e32 v10, v11, v9
	v_fma_f32 v5, -v5, v10, v8
	v_div_fmas_f32 v5, v5, v9, v10
	v_div_fixup_f32 v5, v5, v6, 1.0
	v_mul_f32_e32 v7, v7, v5
	v_xor_b32_e32 v8, 0x80000000, v5
                                        ; implicit-def: $vgpr5_vgpr6
.LBB58_27:
	s_andn2_saveexec_b64 s[12:13], s[12:13]
	s_cbranch_execz .LBB58_29
; %bb.28:
	v_div_scale_f32 v7, s[14:15], v5, v5, v6
	v_div_scale_f32 v8, vcc, v6, v5, v6
	v_rcp_f32_e32 v9, v7
	v_fma_f32 v10, -v7, v9, 1.0
	v_fmac_f32_e32 v9, v10, v9
	v_mul_f32_e32 v10, v8, v9
	v_fma_f32 v11, -v7, v10, v8
	v_fmac_f32_e32 v10, v11, v9
	v_fma_f32 v7, -v7, v10, v8
	v_div_fmas_f32 v7, v7, v9, v10
	v_div_fixup_f32 v8, v7, v5, v6
	v_fmac_f32_e32 v5, v6, v8
	v_div_scale_f32 v6, s[14:15], v5, v5, 1.0
	v_div_scale_f32 v7, vcc, 1.0, v5, 1.0
	v_rcp_f32_e32 v9, v6
	v_fma_f32 v10, -v6, v9, 1.0
	v_fmac_f32_e32 v9, v10, v9
	v_mul_f32_e32 v10, v7, v9
	v_fma_f32 v11, -v6, v10, v7
	v_fmac_f32_e32 v10, v11, v9
	v_fma_f32 v6, -v6, v10, v7
	v_div_fmas_f32 v6, v6, v9, v10
	v_div_fixup_f32 v7, v6, v5, 1.0
	v_mul_f32_e64 v8, v8, -v7
.LBB58_29:
	s_or_b64 exec, exec, s[12:13]
	v_lshlrev_b32_e32 v5, 3, v1
	ds_write_b64 v5, v[7:8]
.LBB58_30:
	s_or_b64 exec, exec, s[10:11]
                                        ; implicit-def: $vgpr5_vgpr6
.LBB58_31:
	s_andn2_saveexec_b64 s[6:7], s[6:7]
	s_cbranch_execz .LBB58_33
; %bb.32:
	v_lshlrev_b64 v[5:6], 3, v[5:6]
	v_mov_b32_e32 v7, s98
	v_add_co_u32_e32 v5, vcc, s97, v5
	v_addc_co_u32_e32 v6, vcc, v7, v6, vcc
	global_load_dwordx2 v[5:6], v[5:6], off
	v_lshlrev_b32_e32 v7, 3, v1
	s_waitcnt vmcnt(0)
	v_xor_b32_e32 v5, 0x80000000, v5
	v_xor_b32_e32 v6, 0x80000000, v6
	ds_write_b64 v7, v[5:6]
.LBB58_33:
	s_or_b64 exec, exec, s[6:7]
	v_add_u32_e32 v7, 16, v2
	v_mad_u64_u32 v[5:6], s[6:7], s40, v7, v[3:4]
	v_cmp_le_u32_e32 vcc, v0, v7
	v_mad_u64_u32 v[8:9], s[6:7], s41, v7, v[6:7]
	v_lshl_add_u32 v9, v7, 6, v0
	v_mov_b32_e32 v6, v8
	s_and_saveexec_b64 s[6:7], vcc
	s_xor_b64 s[6:7], exec, s[6:7]
	s_cbranch_execz .LBB58_45
; %bb.34:
	v_cmp_ne_u32_e32 vcc, v0, v7
	s_and_saveexec_b64 s[10:11], vcc
	s_xor_b64 s[10:11], exec, s[10:11]
	s_cbranch_execz .LBB58_38
; %bb.35:
	v_or_b32_e32 v5, v7, v0
	v_cmp_gt_u32_e32 vcc, 64, v5
	s_and_saveexec_b64 s[12:13], vcc
; %bb.36:
	v_mov_b32_e32 v5, 0
	v_lshlrev_b32_e32 v7, 3, v9
	v_mov_b32_e32 v6, v5
	ds_write_b64 v7, v[5:6]
; %bb.37:
	s_or_b64 exec, exec, s[12:13]
                                        ; implicit-def: $vgpr9
                                        ; implicit-def: $vgpr5_vgpr6
.LBB58_38:
	s_andn2_saveexec_b64 s[10:11], s[10:11]
	s_cbranch_execz .LBB58_44
; %bb.39:
	v_lshlrev_b64 v[5:6], 3, v[5:6]
	v_mov_b32_e32 v7, s98
	v_add_co_u32_e32 v5, vcc, s97, v5
	v_addc_co_u32_e32 v6, vcc, v7, v6, vcc
	global_load_dwordx2 v[5:6], v[5:6], off
                                        ; implicit-def: $vgpr7
	s_waitcnt vmcnt(0)
	v_cmp_ngt_f32_e64 s[12:13], |v5|, |v6|
	s_and_saveexec_b64 s[14:15], s[12:13]
	s_xor_b64 s[12:13], exec, s[14:15]
	s_cbranch_execz .LBB58_41
; %bb.40:
	v_div_scale_f32 v7, s[14:15], v6, v6, v5
	v_div_scale_f32 v8, vcc, v5, v6, v5
	v_rcp_f32_e32 v10, v7
	v_fma_f32 v11, -v7, v10, 1.0
	v_fmac_f32_e32 v10, v11, v10
	v_mul_f32_e32 v11, v8, v10
	v_fma_f32 v12, -v7, v11, v8
	v_fmac_f32_e32 v11, v12, v10
	v_fma_f32 v7, -v7, v11, v8
	v_div_fmas_f32 v7, v7, v10, v11
	v_div_fixup_f32 v7, v7, v6, v5
	v_fmac_f32_e32 v6, v5, v7
	v_div_scale_f32 v5, s[14:15], v6, v6, 1.0
	v_div_scale_f32 v8, vcc, 1.0, v6, 1.0
	v_rcp_f32_e32 v10, v5
	v_fma_f32 v11, -v5, v10, 1.0
	v_fmac_f32_e32 v10, v11, v10
	v_mul_f32_e32 v11, v8, v10
	v_fma_f32 v12, -v5, v11, v8
	v_fmac_f32_e32 v11, v12, v10
	v_fma_f32 v5, -v5, v11, v8
	v_div_fmas_f32 v5, v5, v10, v11
	v_div_fixup_f32 v5, v5, v6, 1.0
	v_mul_f32_e32 v7, v7, v5
	v_xor_b32_e32 v8, 0x80000000, v5
                                        ; implicit-def: $vgpr5_vgpr6
.LBB58_41:
	s_andn2_saveexec_b64 s[12:13], s[12:13]
	s_cbranch_execz .LBB58_43
; %bb.42:
	v_div_scale_f32 v7, s[14:15], v5, v5, v6
	v_div_scale_f32 v8, vcc, v6, v5, v6
	v_rcp_f32_e32 v10, v7
	v_fma_f32 v11, -v7, v10, 1.0
	v_fmac_f32_e32 v10, v11, v10
	v_mul_f32_e32 v11, v8, v10
	v_fma_f32 v12, -v7, v11, v8
	v_fmac_f32_e32 v11, v12, v10
	v_fma_f32 v7, -v7, v11, v8
	v_div_fmas_f32 v7, v7, v10, v11
	v_div_fixup_f32 v8, v7, v5, v6
	v_fmac_f32_e32 v5, v6, v8
	v_div_scale_f32 v6, s[14:15], v5, v5, 1.0
	v_div_scale_f32 v7, vcc, 1.0, v5, 1.0
	v_rcp_f32_e32 v10, v6
	v_fma_f32 v11, -v6, v10, 1.0
	v_fmac_f32_e32 v10, v11, v10
	v_mul_f32_e32 v11, v7, v10
	v_fma_f32 v12, -v6, v11, v7
	v_fmac_f32_e32 v11, v12, v10
	v_fma_f32 v6, -v6, v11, v7
	v_div_fmas_f32 v6, v6, v10, v11
	v_div_fixup_f32 v7, v6, v5, 1.0
	v_mul_f32_e64 v8, v8, -v7
.LBB58_43:
	s_or_b64 exec, exec, s[12:13]
	v_lshlrev_b32_e32 v5, 3, v9
	ds_write_b64 v5, v[7:8]
.LBB58_44:
	s_or_b64 exec, exec, s[10:11]
                                        ; implicit-def: $vgpr5_vgpr6
                                        ; implicit-def: $vgpr9
.LBB58_45:
	s_andn2_saveexec_b64 s[6:7], s[6:7]
	s_cbranch_execz .LBB58_47
; %bb.46:
	v_lshlrev_b64 v[5:6], 3, v[5:6]
	v_mov_b32_e32 v7, s98
	v_add_co_u32_e32 v5, vcc, s97, v5
	v_addc_co_u32_e32 v6, vcc, v7, v6, vcc
	global_load_dwordx2 v[5:6], v[5:6], off
	v_lshlrev_b32_e32 v7, 3, v9
	s_waitcnt vmcnt(0)
	v_xor_b32_e32 v5, 0x80000000, v5
	v_xor_b32_e32 v6, 0x80000000, v6
	ds_write_b64 v7, v[5:6]
.LBB58_47:
	s_or_b64 exec, exec, s[6:7]
	v_add_u32_e32 v7, 32, v2
	v_mad_u64_u32 v[5:6], s[6:7], s40, v7, v[3:4]
	v_cmp_le_u32_e32 vcc, v0, v7
	v_mad_u64_u32 v[8:9], s[6:7], s41, v7, v[6:7]
	v_lshl_add_u32 v9, v7, 6, v0
	v_mov_b32_e32 v6, v8
	s_and_saveexec_b64 s[6:7], vcc
	s_xor_b64 s[6:7], exec, s[6:7]
	s_cbranch_execz .LBB58_59
; %bb.48:
	v_cmp_ne_u32_e32 vcc, v0, v7
	s_and_saveexec_b64 s[10:11], vcc
	s_xor_b64 s[10:11], exec, s[10:11]
	s_cbranch_execz .LBB58_52
; %bb.49:
	v_or_b32_e32 v5, v7, v0
	v_cmp_gt_u32_e32 vcc, 64, v5
	s_and_saveexec_b64 s[12:13], vcc
; %bb.50:
	v_mov_b32_e32 v5, 0
	v_lshlrev_b32_e32 v7, 3, v9
	v_mov_b32_e32 v6, v5
	ds_write_b64 v7, v[5:6]
; %bb.51:
	s_or_b64 exec, exec, s[12:13]
                                        ; implicit-def: $vgpr9
                                        ; implicit-def: $vgpr5_vgpr6
.LBB58_52:
	s_andn2_saveexec_b64 s[10:11], s[10:11]
	s_cbranch_execz .LBB58_58
; %bb.53:
	v_lshlrev_b64 v[5:6], 3, v[5:6]
	v_mov_b32_e32 v7, s98
	v_add_co_u32_e32 v5, vcc, s97, v5
	v_addc_co_u32_e32 v6, vcc, v7, v6, vcc
	global_load_dwordx2 v[5:6], v[5:6], off
                                        ; implicit-def: $vgpr7
	s_waitcnt vmcnt(0)
	v_cmp_ngt_f32_e64 s[12:13], |v5|, |v6|
	s_and_saveexec_b64 s[14:15], s[12:13]
	s_xor_b64 s[12:13], exec, s[14:15]
	s_cbranch_execz .LBB58_55
; %bb.54:
	v_div_scale_f32 v7, s[14:15], v6, v6, v5
	v_div_scale_f32 v8, vcc, v5, v6, v5
	v_rcp_f32_e32 v10, v7
	v_fma_f32 v11, -v7, v10, 1.0
	v_fmac_f32_e32 v10, v11, v10
	v_mul_f32_e32 v11, v8, v10
	v_fma_f32 v12, -v7, v11, v8
	v_fmac_f32_e32 v11, v12, v10
	v_fma_f32 v7, -v7, v11, v8
	v_div_fmas_f32 v7, v7, v10, v11
	v_div_fixup_f32 v7, v7, v6, v5
	v_fmac_f32_e32 v6, v5, v7
	v_div_scale_f32 v5, s[14:15], v6, v6, 1.0
	v_div_scale_f32 v8, vcc, 1.0, v6, 1.0
	v_rcp_f32_e32 v10, v5
	v_fma_f32 v11, -v5, v10, 1.0
	v_fmac_f32_e32 v10, v11, v10
	v_mul_f32_e32 v11, v8, v10
	v_fma_f32 v12, -v5, v11, v8
	v_fmac_f32_e32 v11, v12, v10
	v_fma_f32 v5, -v5, v11, v8
	v_div_fmas_f32 v5, v5, v10, v11
	v_div_fixup_f32 v5, v5, v6, 1.0
	v_mul_f32_e32 v7, v7, v5
	v_xor_b32_e32 v8, 0x80000000, v5
                                        ; implicit-def: $vgpr5_vgpr6
.LBB58_55:
	s_andn2_saveexec_b64 s[12:13], s[12:13]
	s_cbranch_execz .LBB58_57
; %bb.56:
	v_div_scale_f32 v7, s[14:15], v5, v5, v6
	v_div_scale_f32 v8, vcc, v6, v5, v6
	v_rcp_f32_e32 v10, v7
	v_fma_f32 v11, -v7, v10, 1.0
	v_fmac_f32_e32 v10, v11, v10
	v_mul_f32_e32 v11, v8, v10
	v_fma_f32 v12, -v7, v11, v8
	v_fmac_f32_e32 v11, v12, v10
	v_fma_f32 v7, -v7, v11, v8
	v_div_fmas_f32 v7, v7, v10, v11
	v_div_fixup_f32 v8, v7, v5, v6
	v_fmac_f32_e32 v5, v6, v8
	v_div_scale_f32 v6, s[14:15], v5, v5, 1.0
	v_div_scale_f32 v7, vcc, 1.0, v5, 1.0
	v_rcp_f32_e32 v10, v6
	v_fma_f32 v11, -v6, v10, 1.0
	v_fmac_f32_e32 v10, v11, v10
	v_mul_f32_e32 v11, v7, v10
	v_fma_f32 v12, -v6, v11, v7
	v_fmac_f32_e32 v11, v12, v10
	v_fma_f32 v6, -v6, v11, v7
	v_div_fmas_f32 v6, v6, v10, v11
	v_div_fixup_f32 v7, v6, v5, 1.0
	v_mul_f32_e64 v8, v8, -v7
.LBB58_57:
	s_or_b64 exec, exec, s[12:13]
	v_lshlrev_b32_e32 v5, 3, v9
	ds_write_b64 v5, v[7:8]
.LBB58_58:
	s_or_b64 exec, exec, s[10:11]
                                        ; implicit-def: $vgpr5_vgpr6
                                        ; implicit-def: $vgpr9
.LBB58_59:
	s_andn2_saveexec_b64 s[6:7], s[6:7]
	s_cbranch_execz .LBB58_61
; %bb.60:
	v_lshlrev_b64 v[5:6], 3, v[5:6]
	v_mov_b32_e32 v7, s98
	v_add_co_u32_e32 v5, vcc, s97, v5
	v_addc_co_u32_e32 v6, vcc, v7, v6, vcc
	global_load_dwordx2 v[5:6], v[5:6], off
	v_lshlrev_b32_e32 v7, 3, v9
	s_waitcnt vmcnt(0)
	v_xor_b32_e32 v5, 0x80000000, v5
	v_xor_b32_e32 v6, 0x80000000, v6
	ds_write_b64 v7, v[5:6]
.LBB58_61:
	s_or_b64 exec, exec, s[6:7]
	v_add_u32_e32 v7, 48, v2
	v_mad_u64_u32 v[5:6], s[6:7], s40, v7, v[3:4]
	v_cmp_le_u32_e32 vcc, v0, v7
	v_mad_u64_u32 v[8:9], s[6:7], s41, v7, v[6:7]
	v_lshl_add_u32 v9, v7, 6, v0
	v_mov_b32_e32 v6, v8
	s_and_saveexec_b64 s[6:7], vcc
	s_xor_b64 s[6:7], exec, s[6:7]
	s_cbranch_execz .LBB58_73
; %bb.62:
	v_cmp_ne_u32_e32 vcc, v0, v7
	s_and_saveexec_b64 s[10:11], vcc
	s_xor_b64 s[10:11], exec, s[10:11]
	s_cbranch_execz .LBB58_66
; %bb.63:
	v_or_b32_e32 v5, v7, v0
	v_cmp_gt_u32_e32 vcc, 64, v5
	s_and_saveexec_b64 s[12:13], vcc
; %bb.64:
	v_mov_b32_e32 v5, 0
	v_lshlrev_b32_e32 v7, 3, v9
	v_mov_b32_e32 v6, v5
	ds_write_b64 v7, v[5:6]
; %bb.65:
	s_or_b64 exec, exec, s[12:13]
                                        ; implicit-def: $vgpr9
                                        ; implicit-def: $vgpr5_vgpr6
.LBB58_66:
	s_andn2_saveexec_b64 s[10:11], s[10:11]
	s_cbranch_execz .LBB58_72
; %bb.67:
	v_lshlrev_b64 v[5:6], 3, v[5:6]
	v_mov_b32_e32 v7, s98
	v_add_co_u32_e32 v5, vcc, s97, v5
	v_addc_co_u32_e32 v6, vcc, v7, v6, vcc
	global_load_dwordx2 v[5:6], v[5:6], off
                                        ; implicit-def: $vgpr7
	s_waitcnt vmcnt(0)
	v_cmp_ngt_f32_e64 s[12:13], |v5|, |v6|
	s_and_saveexec_b64 s[14:15], s[12:13]
	s_xor_b64 s[12:13], exec, s[14:15]
	s_cbranch_execz .LBB58_69
; %bb.68:
	v_div_scale_f32 v7, s[14:15], v6, v6, v5
	v_div_scale_f32 v8, vcc, v5, v6, v5
	v_rcp_f32_e32 v10, v7
	v_fma_f32 v11, -v7, v10, 1.0
	v_fmac_f32_e32 v10, v11, v10
	v_mul_f32_e32 v11, v8, v10
	v_fma_f32 v12, -v7, v11, v8
	v_fmac_f32_e32 v11, v12, v10
	v_fma_f32 v7, -v7, v11, v8
	v_div_fmas_f32 v7, v7, v10, v11
	v_div_fixup_f32 v7, v7, v6, v5
	v_fmac_f32_e32 v6, v5, v7
	v_div_scale_f32 v5, s[14:15], v6, v6, 1.0
	v_div_scale_f32 v8, vcc, 1.0, v6, 1.0
	v_rcp_f32_e32 v10, v5
	v_fma_f32 v11, -v5, v10, 1.0
	v_fmac_f32_e32 v10, v11, v10
	v_mul_f32_e32 v11, v8, v10
	v_fma_f32 v12, -v5, v11, v8
	v_fmac_f32_e32 v11, v12, v10
	v_fma_f32 v5, -v5, v11, v8
	v_div_fmas_f32 v5, v5, v10, v11
	v_div_fixup_f32 v5, v5, v6, 1.0
	v_mul_f32_e32 v7, v7, v5
	v_xor_b32_e32 v8, 0x80000000, v5
                                        ; implicit-def: $vgpr5_vgpr6
.LBB58_69:
	s_andn2_saveexec_b64 s[12:13], s[12:13]
	s_cbranch_execz .LBB58_71
; %bb.70:
	v_div_scale_f32 v7, s[14:15], v5, v5, v6
	v_div_scale_f32 v8, vcc, v6, v5, v6
	v_rcp_f32_e32 v10, v7
	v_fma_f32 v11, -v7, v10, 1.0
	v_fmac_f32_e32 v10, v11, v10
	v_mul_f32_e32 v11, v8, v10
	v_fma_f32 v12, -v7, v11, v8
	v_fmac_f32_e32 v11, v12, v10
	v_fma_f32 v7, -v7, v11, v8
	v_div_fmas_f32 v7, v7, v10, v11
	v_div_fixup_f32 v8, v7, v5, v6
	v_fmac_f32_e32 v5, v6, v8
	v_div_scale_f32 v6, s[14:15], v5, v5, 1.0
	v_div_scale_f32 v7, vcc, 1.0, v5, 1.0
	v_rcp_f32_e32 v10, v6
	v_fma_f32 v11, -v6, v10, 1.0
	v_fmac_f32_e32 v10, v11, v10
	v_mul_f32_e32 v11, v7, v10
	v_fma_f32 v12, -v6, v11, v7
	v_fmac_f32_e32 v11, v12, v10
	v_fma_f32 v6, -v6, v11, v7
	v_div_fmas_f32 v6, v6, v10, v11
	v_div_fixup_f32 v7, v6, v5, 1.0
	v_mul_f32_e64 v8, v8, -v7
.LBB58_71:
	s_or_b64 exec, exec, s[12:13]
	v_lshlrev_b32_e32 v5, 3, v9
	ds_write_b64 v5, v[7:8]
.LBB58_72:
	s_or_b64 exec, exec, s[10:11]
                                        ; implicit-def: $vgpr5_vgpr6
                                        ; implicit-def: $vgpr9
.LBB58_73:
	s_andn2_saveexec_b64 s[6:7], s[6:7]
	s_cbranch_execz .LBB58_75
; %bb.74:
	v_lshlrev_b64 v[5:6], 3, v[5:6]
	v_mov_b32_e32 v7, s98
	v_add_co_u32_e32 v5, vcc, s97, v5
	v_addc_co_u32_e32 v6, vcc, v7, v6, vcc
	global_load_dwordx2 v[5:6], v[5:6], off
	v_lshlrev_b32_e32 v7, 3, v9
	s_waitcnt vmcnt(0)
	v_xor_b32_e32 v5, 0x80000000, v5
	v_xor_b32_e32 v6, 0x80000000, v6
	ds_write_b64 v7, v[5:6]
.LBB58_75:
	s_or_b64 exec, exec, s[6:7]
	s_mov_b64 s[10:11], 0
.LBB58_76:
	s_and_b64 vcc, exec, s[10:11]
	s_cbranch_vccz .LBB58_134
; %bb.77:
	v_mad_u64_u32 v[5:6], s[6:7], s40, v2, v[3:4]
	v_cmp_le_u32_e32 vcc, v0, v2
	v_cmp_gt_i32_e64 s[6:7], s96, v0
	v_mad_u64_u32 v[6:7], s[10:11], s41, v2, v[6:7]
	v_max_i32_e32 v7, v2, v0
	v_cmp_le_i32_e64 s[10:11], s96, v7
	s_or_b64 s[10:11], s[10:11], vcc
	s_and_saveexec_b64 s[12:13], s[10:11]
	s_xor_b64 s[10:11], exec, s[12:13]
	s_cbranch_execz .LBB58_89
; %bb.78:
	v_cmp_ne_u32_e32 vcc, v0, v2
	s_xor_b64 s[12:13], s[6:7], -1
	s_or_b64 s[12:13], s[12:13], vcc
	s_and_saveexec_b64 s[14:15], s[12:13]
	s_xor_b64 s[12:13], exec, s[14:15]
	s_cbranch_execz .LBB58_82
; %bb.79:
	v_or_b32_e32 v5, v2, v0
	v_cmp_gt_u32_e32 vcc, 64, v5
	s_and_saveexec_b64 s[14:15], vcc
; %bb.80:
	v_mov_b32_e32 v5, 0
	v_lshlrev_b32_e32 v7, 3, v1
	v_mov_b32_e32 v6, v5
	ds_write_b64 v7, v[5:6]
; %bb.81:
	s_or_b64 exec, exec, s[14:15]
                                        ; implicit-def: $vgpr5_vgpr6
.LBB58_82:
	s_andn2_saveexec_b64 s[12:13], s[12:13]
	s_cbranch_execz .LBB58_88
; %bb.83:
	v_lshlrev_b64 v[5:6], 3, v[5:6]
	v_mov_b32_e32 v7, s98
	v_add_co_u32_e32 v5, vcc, s97, v5
	v_addc_co_u32_e32 v6, vcc, v7, v6, vcc
	global_load_dwordx2 v[5:6], v[5:6], off
                                        ; implicit-def: $vgpr7
	s_waitcnt vmcnt(0)
	v_cmp_ngt_f32_e64 s[14:15], |v5|, |v6|
	s_and_saveexec_b64 s[16:17], s[14:15]
	s_xor_b64 s[14:15], exec, s[16:17]
	s_cbranch_execz .LBB58_85
; %bb.84:
	v_div_scale_f32 v7, s[16:17], v6, v6, v5
	v_div_scale_f32 v8, vcc, v5, v6, v5
	v_rcp_f32_e32 v9, v7
	v_fma_f32 v10, -v7, v9, 1.0
	v_fmac_f32_e32 v9, v10, v9
	v_mul_f32_e32 v10, v8, v9
	v_fma_f32 v11, -v7, v10, v8
	v_fmac_f32_e32 v10, v11, v9
	v_fma_f32 v7, -v7, v10, v8
	v_div_fmas_f32 v7, v7, v9, v10
	v_div_fixup_f32 v7, v7, v6, v5
	v_fmac_f32_e32 v6, v5, v7
	v_div_scale_f32 v5, s[16:17], v6, v6, 1.0
	v_div_scale_f32 v8, vcc, 1.0, v6, 1.0
	v_rcp_f32_e32 v9, v5
	v_fma_f32 v10, -v5, v9, 1.0
	v_fmac_f32_e32 v9, v10, v9
	v_mul_f32_e32 v10, v8, v9
	v_fma_f32 v11, -v5, v10, v8
	v_fmac_f32_e32 v10, v11, v9
	v_fma_f32 v5, -v5, v10, v8
	v_div_fmas_f32 v5, v5, v9, v10
	v_div_fixup_f32 v5, v5, v6, 1.0
	v_mul_f32_e32 v7, v7, v5
	v_xor_b32_e32 v8, 0x80000000, v5
                                        ; implicit-def: $vgpr5_vgpr6
.LBB58_85:
	s_andn2_saveexec_b64 s[14:15], s[14:15]
	s_cbranch_execz .LBB58_87
; %bb.86:
	v_div_scale_f32 v7, s[16:17], v5, v5, v6
	v_div_scale_f32 v8, vcc, v6, v5, v6
	v_rcp_f32_e32 v9, v7
	v_fma_f32 v10, -v7, v9, 1.0
	v_fmac_f32_e32 v9, v10, v9
	v_mul_f32_e32 v10, v8, v9
	v_fma_f32 v11, -v7, v10, v8
	v_fmac_f32_e32 v10, v11, v9
	v_fma_f32 v7, -v7, v10, v8
	v_div_fmas_f32 v7, v7, v9, v10
	v_div_fixup_f32 v8, v7, v5, v6
	v_fmac_f32_e32 v5, v6, v8
	v_div_scale_f32 v6, s[16:17], v5, v5, 1.0
	v_div_scale_f32 v7, vcc, 1.0, v5, 1.0
	v_rcp_f32_e32 v9, v6
	v_fma_f32 v10, -v6, v9, 1.0
	v_fmac_f32_e32 v9, v10, v9
	v_mul_f32_e32 v10, v7, v9
	v_fma_f32 v11, -v6, v10, v7
	v_fmac_f32_e32 v10, v11, v9
	v_fma_f32 v6, -v6, v10, v7
	v_div_fmas_f32 v6, v6, v9, v10
	v_div_fixup_f32 v7, v6, v5, 1.0
	v_mul_f32_e64 v8, v8, -v7
.LBB58_87:
	s_or_b64 exec, exec, s[14:15]
	v_lshlrev_b32_e32 v5, 3, v1
	ds_write_b64 v5, v[7:8]
.LBB58_88:
	s_or_b64 exec, exec, s[12:13]
                                        ; implicit-def: $vgpr5_vgpr6
.LBB58_89:
	s_andn2_saveexec_b64 s[10:11], s[10:11]
	s_cbranch_execz .LBB58_91
; %bb.90:
	v_lshlrev_b64 v[5:6], 3, v[5:6]
	v_mov_b32_e32 v7, s98
	v_add_co_u32_e32 v5, vcc, s97, v5
	v_addc_co_u32_e32 v6, vcc, v7, v6, vcc
	global_load_dwordx2 v[5:6], v[5:6], off
	v_lshlrev_b32_e32 v7, 3, v1
	s_waitcnt vmcnt(0)
	v_xor_b32_e32 v5, 0x80000000, v5
	v_xor_b32_e32 v6, 0x80000000, v6
	ds_write_b64 v7, v[5:6]
.LBB58_91:
	s_or_b64 exec, exec, s[10:11]
	v_add_u32_e32 v7, 16, v2
	v_mad_u64_u32 v[5:6], s[10:11], s40, v7, v[3:4]
	v_cmp_gt_u32_e32 vcc, v0, v7
	v_lshl_add_u32 v9, v7, 6, v0
	v_mad_u64_u32 v[10:11], s[10:11], s41, v7, v[6:7]
	v_cmp_gt_i32_e64 s[10:11], s96, v7
	s_and_b64 s[10:11], vcc, s[10:11]
	s_and_b64 s[10:11], s[6:7], s[10:11]
	v_mov_b32_e32 v6, v10
	s_xor_b64 s[10:11], s[10:11], -1
	s_and_saveexec_b64 s[12:13], s[10:11]
	s_xor_b64 s[10:11], exec, s[12:13]
	s_cbranch_execz .LBB58_103
; %bb.92:
	v_cmp_ne_u32_e32 vcc, v0, v7
	s_xor_b64 s[12:13], s[6:7], -1
	s_or_b64 s[12:13], s[12:13], vcc
	s_and_saveexec_b64 s[14:15], s[12:13]
	s_xor_b64 s[12:13], exec, s[14:15]
	s_cbranch_execz .LBB58_96
; %bb.93:
	v_or_b32_e32 v5, v7, v0
	v_cmp_gt_u32_e32 vcc, 64, v5
	s_and_saveexec_b64 s[14:15], vcc
; %bb.94:
	v_mov_b32_e32 v5, 0
	v_lshlrev_b32_e32 v7, 3, v9
	v_mov_b32_e32 v6, v5
	ds_write_b64 v7, v[5:6]
; %bb.95:
	s_or_b64 exec, exec, s[14:15]
                                        ; implicit-def: $vgpr9
                                        ; implicit-def: $vgpr5_vgpr6
.LBB58_96:
	s_andn2_saveexec_b64 s[12:13], s[12:13]
	s_cbranch_execz .LBB58_102
; %bb.97:
	v_lshlrev_b64 v[5:6], 3, v[5:6]
	v_mov_b32_e32 v7, s98
	v_add_co_u32_e32 v5, vcc, s97, v5
	v_addc_co_u32_e32 v6, vcc, v7, v6, vcc
	global_load_dwordx2 v[5:6], v[5:6], off
                                        ; implicit-def: $vgpr7
	s_waitcnt vmcnt(0)
	v_cmp_ngt_f32_e64 s[14:15], |v5|, |v6|
	s_and_saveexec_b64 s[16:17], s[14:15]
	s_xor_b64 s[14:15], exec, s[16:17]
	s_cbranch_execz .LBB58_99
; %bb.98:
	v_div_scale_f32 v7, s[16:17], v6, v6, v5
	v_div_scale_f32 v8, vcc, v5, v6, v5
	v_rcp_f32_e32 v10, v7
	v_fma_f32 v11, -v7, v10, 1.0
	v_fmac_f32_e32 v10, v11, v10
	v_mul_f32_e32 v11, v8, v10
	v_fma_f32 v12, -v7, v11, v8
	v_fmac_f32_e32 v11, v12, v10
	v_fma_f32 v7, -v7, v11, v8
	v_div_fmas_f32 v7, v7, v10, v11
	v_div_fixup_f32 v7, v7, v6, v5
	v_fmac_f32_e32 v6, v5, v7
	v_div_scale_f32 v5, s[16:17], v6, v6, 1.0
	v_div_scale_f32 v8, vcc, 1.0, v6, 1.0
	v_rcp_f32_e32 v10, v5
	v_fma_f32 v11, -v5, v10, 1.0
	v_fmac_f32_e32 v10, v11, v10
	v_mul_f32_e32 v11, v8, v10
	v_fma_f32 v12, -v5, v11, v8
	v_fmac_f32_e32 v11, v12, v10
	v_fma_f32 v5, -v5, v11, v8
	v_div_fmas_f32 v5, v5, v10, v11
	v_div_fixup_f32 v5, v5, v6, 1.0
	v_mul_f32_e32 v7, v7, v5
	v_xor_b32_e32 v8, 0x80000000, v5
                                        ; implicit-def: $vgpr5_vgpr6
.LBB58_99:
	s_andn2_saveexec_b64 s[14:15], s[14:15]
	s_cbranch_execz .LBB58_101
; %bb.100:
	v_div_scale_f32 v7, s[16:17], v5, v5, v6
	v_div_scale_f32 v8, vcc, v6, v5, v6
	v_rcp_f32_e32 v10, v7
	v_fma_f32 v11, -v7, v10, 1.0
	v_fmac_f32_e32 v10, v11, v10
	v_mul_f32_e32 v11, v8, v10
	v_fma_f32 v12, -v7, v11, v8
	v_fmac_f32_e32 v11, v12, v10
	v_fma_f32 v7, -v7, v11, v8
	v_div_fmas_f32 v7, v7, v10, v11
	v_div_fixup_f32 v8, v7, v5, v6
	v_fmac_f32_e32 v5, v6, v8
	v_div_scale_f32 v6, s[16:17], v5, v5, 1.0
	v_div_scale_f32 v7, vcc, 1.0, v5, 1.0
	v_rcp_f32_e32 v10, v6
	v_fma_f32 v11, -v6, v10, 1.0
	v_fmac_f32_e32 v10, v11, v10
	v_mul_f32_e32 v11, v7, v10
	v_fma_f32 v12, -v6, v11, v7
	v_fmac_f32_e32 v11, v12, v10
	v_fma_f32 v6, -v6, v11, v7
	v_div_fmas_f32 v6, v6, v10, v11
	v_div_fixup_f32 v7, v6, v5, 1.0
	v_mul_f32_e64 v8, v8, -v7
.LBB58_101:
	s_or_b64 exec, exec, s[14:15]
	v_lshlrev_b32_e32 v5, 3, v9
	ds_write_b64 v5, v[7:8]
.LBB58_102:
	s_or_b64 exec, exec, s[12:13]
                                        ; implicit-def: $vgpr5_vgpr6
                                        ; implicit-def: $vgpr9
.LBB58_103:
	s_andn2_saveexec_b64 s[10:11], s[10:11]
	s_cbranch_execz .LBB58_105
; %bb.104:
	v_lshlrev_b64 v[5:6], 3, v[5:6]
	v_mov_b32_e32 v7, s98
	v_add_co_u32_e32 v5, vcc, s97, v5
	v_addc_co_u32_e32 v6, vcc, v7, v6, vcc
	global_load_dwordx2 v[5:6], v[5:6], off
	v_lshlrev_b32_e32 v7, 3, v9
	s_waitcnt vmcnt(0)
	v_xor_b32_e32 v5, 0x80000000, v5
	v_xor_b32_e32 v6, 0x80000000, v6
	ds_write_b64 v7, v[5:6]
.LBB58_105:
	s_or_b64 exec, exec, s[10:11]
	v_add_u32_e32 v7, 32, v2
	v_mad_u64_u32 v[5:6], s[10:11], s40, v7, v[3:4]
	v_cmp_gt_u32_e32 vcc, v0, v7
	v_lshl_add_u32 v9, v7, 6, v0
	v_mad_u64_u32 v[10:11], s[10:11], s41, v7, v[6:7]
	v_cmp_gt_i32_e64 s[10:11], s96, v7
	s_and_b64 s[10:11], vcc, s[10:11]
	s_and_b64 s[10:11], s[6:7], s[10:11]
	v_mov_b32_e32 v6, v10
	s_xor_b64 s[10:11], s[10:11], -1
	s_and_saveexec_b64 s[12:13], s[10:11]
	s_xor_b64 s[10:11], exec, s[12:13]
	s_cbranch_execz .LBB58_117
; %bb.106:
	v_cmp_ne_u32_e32 vcc, v0, v7
	s_xor_b64 s[12:13], s[6:7], -1
	s_or_b64 s[12:13], s[12:13], vcc
	s_and_saveexec_b64 s[14:15], s[12:13]
	s_xor_b64 s[12:13], exec, s[14:15]
	s_cbranch_execz .LBB58_110
; %bb.107:
	v_or_b32_e32 v5, v7, v0
	v_cmp_gt_u32_e32 vcc, 64, v5
	s_and_saveexec_b64 s[14:15], vcc
; %bb.108:
	v_mov_b32_e32 v5, 0
	v_lshlrev_b32_e32 v7, 3, v9
	v_mov_b32_e32 v6, v5
	ds_write_b64 v7, v[5:6]
; %bb.109:
	s_or_b64 exec, exec, s[14:15]
                                        ; implicit-def: $vgpr9
                                        ; implicit-def: $vgpr5_vgpr6
.LBB58_110:
	s_andn2_saveexec_b64 s[12:13], s[12:13]
	s_cbranch_execz .LBB58_116
; %bb.111:
	v_lshlrev_b64 v[5:6], 3, v[5:6]
	v_mov_b32_e32 v7, s98
	v_add_co_u32_e32 v5, vcc, s97, v5
	v_addc_co_u32_e32 v6, vcc, v7, v6, vcc
	global_load_dwordx2 v[5:6], v[5:6], off
                                        ; implicit-def: $vgpr7
	s_waitcnt vmcnt(0)
	v_cmp_ngt_f32_e64 s[14:15], |v5|, |v6|
	s_and_saveexec_b64 s[16:17], s[14:15]
	s_xor_b64 s[14:15], exec, s[16:17]
	s_cbranch_execz .LBB58_113
; %bb.112:
	v_div_scale_f32 v7, s[16:17], v6, v6, v5
	v_div_scale_f32 v8, vcc, v5, v6, v5
	v_rcp_f32_e32 v10, v7
	v_fma_f32 v11, -v7, v10, 1.0
	v_fmac_f32_e32 v10, v11, v10
	v_mul_f32_e32 v11, v8, v10
	v_fma_f32 v12, -v7, v11, v8
	v_fmac_f32_e32 v11, v12, v10
	v_fma_f32 v7, -v7, v11, v8
	v_div_fmas_f32 v7, v7, v10, v11
	v_div_fixup_f32 v7, v7, v6, v5
	v_fmac_f32_e32 v6, v5, v7
	v_div_scale_f32 v5, s[16:17], v6, v6, 1.0
	v_div_scale_f32 v8, vcc, 1.0, v6, 1.0
	v_rcp_f32_e32 v10, v5
	v_fma_f32 v11, -v5, v10, 1.0
	v_fmac_f32_e32 v10, v11, v10
	v_mul_f32_e32 v11, v8, v10
	v_fma_f32 v12, -v5, v11, v8
	v_fmac_f32_e32 v11, v12, v10
	v_fma_f32 v5, -v5, v11, v8
	v_div_fmas_f32 v5, v5, v10, v11
	v_div_fixup_f32 v5, v5, v6, 1.0
	v_mul_f32_e32 v7, v7, v5
	v_xor_b32_e32 v8, 0x80000000, v5
                                        ; implicit-def: $vgpr5_vgpr6
.LBB58_113:
	s_andn2_saveexec_b64 s[14:15], s[14:15]
	s_cbranch_execz .LBB58_115
; %bb.114:
	v_div_scale_f32 v7, s[16:17], v5, v5, v6
	v_div_scale_f32 v8, vcc, v6, v5, v6
	v_rcp_f32_e32 v10, v7
	v_fma_f32 v11, -v7, v10, 1.0
	v_fmac_f32_e32 v10, v11, v10
	v_mul_f32_e32 v11, v8, v10
	v_fma_f32 v12, -v7, v11, v8
	v_fmac_f32_e32 v11, v12, v10
	v_fma_f32 v7, -v7, v11, v8
	v_div_fmas_f32 v7, v7, v10, v11
	v_div_fixup_f32 v8, v7, v5, v6
	v_fmac_f32_e32 v5, v6, v8
	v_div_scale_f32 v6, s[16:17], v5, v5, 1.0
	v_div_scale_f32 v7, vcc, 1.0, v5, 1.0
	v_rcp_f32_e32 v10, v6
	v_fma_f32 v11, -v6, v10, 1.0
	v_fmac_f32_e32 v10, v11, v10
	v_mul_f32_e32 v11, v7, v10
	v_fma_f32 v12, -v6, v11, v7
	v_fmac_f32_e32 v11, v12, v10
	v_fma_f32 v6, -v6, v11, v7
	v_div_fmas_f32 v6, v6, v10, v11
	v_div_fixup_f32 v7, v6, v5, 1.0
	v_mul_f32_e64 v8, v8, -v7
.LBB58_115:
	s_or_b64 exec, exec, s[14:15]
	v_lshlrev_b32_e32 v5, 3, v9
	ds_write_b64 v5, v[7:8]
.LBB58_116:
	s_or_b64 exec, exec, s[12:13]
                                        ; implicit-def: $vgpr5_vgpr6
                                        ; implicit-def: $vgpr9
.LBB58_117:
	s_andn2_saveexec_b64 s[10:11], s[10:11]
	s_cbranch_execz .LBB58_119
; %bb.118:
	v_lshlrev_b64 v[5:6], 3, v[5:6]
	v_mov_b32_e32 v7, s98
	v_add_co_u32_e32 v5, vcc, s97, v5
	v_addc_co_u32_e32 v6, vcc, v7, v6, vcc
	global_load_dwordx2 v[5:6], v[5:6], off
	v_lshlrev_b32_e32 v7, 3, v9
	s_waitcnt vmcnt(0)
	v_xor_b32_e32 v5, 0x80000000, v5
	v_xor_b32_e32 v6, 0x80000000, v6
	ds_write_b64 v7, v[5:6]
.LBB58_119:
	s_or_b64 exec, exec, s[10:11]
	v_add_u32_e32 v5, 48, v2
	v_mad_u64_u32 v[3:4], s[10:11], s40, v5, v[3:4]
	v_cmp_gt_u32_e32 vcc, v0, v5
	v_lshl_add_u32 v7, v5, 6, v0
	v_mad_u64_u32 v[8:9], s[10:11], s41, v5, v[4:5]
	v_cmp_gt_i32_e64 s[10:11], s96, v5
	s_and_b64 s[10:11], vcc, s[10:11]
	s_and_b64 s[10:11], s[6:7], s[10:11]
	v_mov_b32_e32 v4, v8
	s_xor_b64 s[10:11], s[10:11], -1
	s_and_saveexec_b64 s[12:13], s[10:11]
	s_xor_b64 s[10:11], exec, s[12:13]
	s_cbranch_execz .LBB58_131
; %bb.120:
	v_cmp_ne_u32_e32 vcc, v0, v5
	s_xor_b64 s[6:7], s[6:7], -1
	s_or_b64 s[6:7], s[6:7], vcc
	s_and_saveexec_b64 s[12:13], s[6:7]
	s_xor_b64 s[6:7], exec, s[12:13]
	s_cbranch_execz .LBB58_124
; %bb.121:
	v_or_b32_e32 v3, v5, v0
	v_cmp_gt_u32_e32 vcc, 64, v3
	s_and_saveexec_b64 s[12:13], vcc
; %bb.122:
	v_mov_b32_e32 v3, 0
	v_lshlrev_b32_e32 v5, 3, v7
	v_mov_b32_e32 v4, v3
	ds_write_b64 v5, v[3:4]
; %bb.123:
	s_or_b64 exec, exec, s[12:13]
                                        ; implicit-def: $vgpr7
                                        ; implicit-def: $vgpr3_vgpr4
.LBB58_124:
	s_andn2_saveexec_b64 s[6:7], s[6:7]
	s_cbranch_execz .LBB58_130
; %bb.125:
	v_lshlrev_b64 v[3:4], 3, v[3:4]
	v_mov_b32_e32 v5, s98
	v_add_co_u32_e32 v3, vcc, s97, v3
	v_addc_co_u32_e32 v4, vcc, v5, v4, vcc
	global_load_dwordx2 v[3:4], v[3:4], off
                                        ; implicit-def: $vgpr5
	s_waitcnt vmcnt(0)
	v_cmp_ngt_f32_e64 s[12:13], |v3|, |v4|
	s_and_saveexec_b64 s[14:15], s[12:13]
	s_xor_b64 s[12:13], exec, s[14:15]
	s_cbranch_execz .LBB58_127
; %bb.126:
	v_div_scale_f32 v5, s[14:15], v4, v4, v3
	v_div_scale_f32 v6, vcc, v3, v4, v3
	v_rcp_f32_e32 v8, v5
	v_fma_f32 v9, -v5, v8, 1.0
	v_fmac_f32_e32 v8, v9, v8
	v_mul_f32_e32 v9, v6, v8
	v_fma_f32 v10, -v5, v9, v6
	v_fmac_f32_e32 v9, v10, v8
	v_fma_f32 v5, -v5, v9, v6
	v_div_fmas_f32 v5, v5, v8, v9
	v_div_fixup_f32 v5, v5, v4, v3
	v_fmac_f32_e32 v4, v3, v5
	v_div_scale_f32 v3, s[14:15], v4, v4, 1.0
	v_div_scale_f32 v6, vcc, 1.0, v4, 1.0
	v_rcp_f32_e32 v8, v3
	v_fma_f32 v9, -v3, v8, 1.0
	v_fmac_f32_e32 v8, v9, v8
	v_mul_f32_e32 v9, v6, v8
	v_fma_f32 v10, -v3, v9, v6
	v_fmac_f32_e32 v9, v10, v8
	v_fma_f32 v3, -v3, v9, v6
	v_div_fmas_f32 v3, v3, v8, v9
	v_div_fixup_f32 v3, v3, v4, 1.0
	v_mul_f32_e32 v5, v5, v3
	v_xor_b32_e32 v6, 0x80000000, v3
                                        ; implicit-def: $vgpr3_vgpr4
.LBB58_127:
	s_andn2_saveexec_b64 s[12:13], s[12:13]
	s_cbranch_execz .LBB58_129
; %bb.128:
	v_div_scale_f32 v5, s[14:15], v3, v3, v4
	v_div_scale_f32 v6, vcc, v4, v3, v4
	v_rcp_f32_e32 v8, v5
	v_fma_f32 v9, -v5, v8, 1.0
	v_fmac_f32_e32 v8, v9, v8
	v_mul_f32_e32 v9, v6, v8
	v_fma_f32 v10, -v5, v9, v6
	v_fmac_f32_e32 v9, v10, v8
	v_fma_f32 v5, -v5, v9, v6
	v_div_fmas_f32 v5, v5, v8, v9
	v_div_fixup_f32 v6, v5, v3, v4
	v_fmac_f32_e32 v3, v4, v6
	v_div_scale_f32 v4, s[14:15], v3, v3, 1.0
	v_div_scale_f32 v5, vcc, 1.0, v3, 1.0
	v_rcp_f32_e32 v8, v4
	v_fma_f32 v9, -v4, v8, 1.0
	v_fmac_f32_e32 v8, v9, v8
	v_mul_f32_e32 v9, v5, v8
	v_fma_f32 v10, -v4, v9, v5
	v_fmac_f32_e32 v9, v10, v8
	v_fma_f32 v4, -v4, v9, v5
	v_div_fmas_f32 v4, v4, v8, v9
	v_div_fixup_f32 v5, v4, v3, 1.0
	v_mul_f32_e64 v6, v6, -v5
.LBB58_129:
	s_or_b64 exec, exec, s[12:13]
	v_lshlrev_b32_e32 v3, 3, v7
	ds_write_b64 v3, v[5:6]
.LBB58_130:
	s_or_b64 exec, exec, s[6:7]
                                        ; implicit-def: $vgpr3_vgpr4
                                        ; implicit-def: $vgpr7
.LBB58_131:
	s_andn2_saveexec_b64 s[6:7], s[10:11]
	s_cbranch_execz .LBB58_133
; %bb.132:
	v_lshlrev_b64 v[3:4], 3, v[3:4]
	v_mov_b32_e32 v5, s98
	v_add_co_u32_e32 v3, vcc, s97, v3
	v_addc_co_u32_e32 v4, vcc, v5, v4, vcc
	global_load_dwordx2 v[3:4], v[3:4], off
	v_lshlrev_b32_e32 v5, 3, v7
	s_waitcnt vmcnt(0)
	v_xor_b32_e32 v3, 0x80000000, v3
	v_xor_b32_e32 v4, 0x80000000, v4
	ds_write_b64 v5, v[3:4]
.LBB58_133:
	s_or_b64 exec, exec, s[6:7]
.LBB58_134:
	s_cmp_lt_i32 s8, 5
	s_cselect_b64 s[6:7], -1, 0
	s_or_b64 s[28:29], s[6:7], s[24:25]
	s_and_b64 vcc, exec, s[28:29]
	s_waitcnt vmcnt(0) lgkmcnt(0)
	s_barrier
	s_cbranch_vccnz .LBB58_994
; %bb.135:
	v_or_b32_e32 v3, v0, v2
	v_cmp_eq_u32_e32 vcc, 0, v3
	s_and_saveexec_b64 s[6:7], vcc
	s_cbranch_execz .LBB58_137
; %bb.136:
	v_mov_b32_e32 v9, 0
	ds_read_b128 v[3:6], v9
	ds_read_b64 v[7:8], v9 offset:520
	s_waitcnt lgkmcnt(0)
	v_mul_f32_e32 v10, v8, v4
	v_mul_f32_e32 v11, v7, v4
	v_fma_f32 v7, v7, v3, -v10
	v_fmac_f32_e32 v11, v8, v3
	v_mul_f32_e32 v3, v11, v6
	v_mul_f32_e32 v4, v7, v6
	v_fma_f32 v3, v7, v5, -v3
	v_fmac_f32_e32 v4, v11, v5
	ds_write_b64 v9, v[3:4] offset:8
.LBB58_137:
	s_or_b64 exec, exec, s[6:7]
	v_and_b32_e32 v8, 1, v0
	v_lshrrev_b32_e32 v5, 1, v1
	v_lshlrev_b32_e32 v3, 3, v8
	v_cmp_lt_u32_e64 s[10:11], 3, v1
	v_cmp_gt_u32_e64 s[6:7], 4, v1
	v_lshl_or_b32 v3, v5, 9, v3
	v_mov_b32_e32 v6, 0
	v_mov_b32_e32 v7, 0
	s_waitcnt lgkmcnt(0)
	s_barrier
	s_and_saveexec_b64 s[14:15], s[6:7]
	s_cbranch_execz .LBB58_141
; %bb.138:
	v_mul_u32_u24_e32 v4, 0x208, v5
	ds_read_b64 v[6:7], v3 offset:16
	ds_read_b64 v[9:10], v4
	v_cmp_gt_u32_e64 s[12:13], 2, v1
	s_waitcnt lgkmcnt(0)
	v_mul_f32_e32 v4, v10, v7
	v_mul_f32_e32 v7, v9, v7
	v_fma_f32 v4, v9, v6, -v4
	v_fmac_f32_e32 v7, v10, v6
	v_add_f32_e32 v4, 0, v4
	v_add_f32_e32 v6, 0, v7
	s_and_saveexec_b64 s[16:17], s[12:13]
	s_cbranch_execz .LBB58_140
; %bb.139:
	v_lshlrev_b32_e32 v7, 3, v0
	v_mov_b32_e32 v11, 0
	ds_read_b64 v[9:10], v7 offset:528
	ds_read_b64 v[11:12], v11 offset:8
	s_waitcnt lgkmcnt(0)
	v_mul_f32_e32 v7, v12, v10
	v_mul_f32_e32 v10, v11, v10
	v_fma_f32 v7, v11, v9, -v7
	v_fmac_f32_e32 v10, v12, v9
	v_add_f32_e32 v4, v4, v7
	v_add_f32_e32 v6, v6, v10
.LBB58_140:
	s_or_b64 exec, exec, s[16:17]
	v_xor_b32_e32 v7, 0x80000000, v4
	v_xor_b32_e32 v6, 0x80000000, v6
.LBB58_141:
                                        ; implicit-def: $vgpr34 : SGPR spill to VGPR lane
	v_writelane_b32 v34, s20, 0
	v_writelane_b32 v34, s21, 1
	s_or_b64 exec, exec, s[14:15]
	v_mov_b32_e32 v4, 0x8000
	v_cmp_eq_u32_e64 s[12:13], 0, v8
	s_xor_b64 s[14:15], s[10:11], -1
	v_lshl_add_u32 v4, v5, 3, v4
	s_and_b64 s[34:35], s[12:13], s[14:15]
	s_and_saveexec_b64 s[10:11], s[34:35]
	s_cbranch_execz .LBB58_143
; %bb.142:
	v_mov_b32_e32 v9, 0
	ds_read_b64 v[9:10], v9 offset:1040
	s_waitcnt lgkmcnt(0)
	v_mul_f32_e32 v12, v6, v10
	v_mul_f32_e32 v11, v7, v10
	v_fma_f32 v10, v7, v9, -v12
	v_fmac_f32_e32 v11, v6, v9
	v_mov_b32_e32 v7, v10
	v_mov_b32_e32 v6, v11
	ds_write_b64 v4, v[10:11]
.LBB58_143:
	s_or_b64 exec, exec, s[10:11]
	v_cmp_ne_u32_e64 s[10:11], 0, v8
	s_and_b64 s[30:31], s[10:11], s[14:15]
	s_waitcnt lgkmcnt(0)
	s_barrier
	s_and_saveexec_b64 s[10:11], s[30:31]
	s_cbranch_execz .LBB58_145
; %bb.144:
	v_mov_b32_e32 v8, 0
	ds_read_b64 v[8:9], v8 offset:1048
	ds_read_b64 v[10:11], v4
	s_waitcnt lgkmcnt(0)
	v_mul_f32_e32 v12, v11, v9
	v_mul_f32_e32 v9, v10, v9
	v_fma_f32 v10, v10, v8, -v12
	v_fmac_f32_e32 v9, v11, v8
	v_add_f32_e32 v7, v7, v10
	v_add_f32_e32 v6, v6, v9
.LBB58_145:
	s_or_b64 exec, exec, s[10:11]
	s_barrier
	s_and_saveexec_b64 s[10:11], s[30:31]
	s_cbranch_execz .LBB58_147
; %bb.146:
	v_mov_b32_e32 v8, 0
	ds_read_b64 v[8:9], v8 offset:1560
	s_waitcnt lgkmcnt(0)
	v_mul_f32_e32 v11, v6, v9
	v_mul_f32_e32 v10, v7, v9
	v_fma_f32 v9, v7, v8, -v11
	v_fmac_f32_e32 v10, v6, v8
	v_mov_b32_e32 v7, v9
	v_mov_b32_e32 v6, v10
	ds_write_b64 v4, v[9:10]
.LBB58_147:
	s_or_b64 exec, exec, s[10:11]
	s_waitcnt lgkmcnt(0)
	s_barrier
	s_barrier
	s_and_saveexec_b64 s[10:11], s[6:7]
; %bb.148:
	v_xor_b32_e32 v8, 0x80000000, v6
	v_xor_b32_e32 v7, 0x80000000, v7
	ds_write_b64 v3, v[7:8] offset:16
; %bb.149:
	s_or_b64 exec, exec, s[10:11]
	s_waitcnt lgkmcnt(0)
	s_barrier
	s_barrier
	s_and_saveexec_b64 s[10:11], vcc
	s_cbranch_execz .LBB58_151
; %bb.150:
	v_mov_b32_e32 v12, 0
	ds_read_b128 v[6:9], v12 offset:1040
	ds_read_b64 v[10:11], v12 offset:1560
	s_waitcnt lgkmcnt(0)
	v_mul_f32_e32 v13, v11, v7
	v_mul_f32_e32 v14, v10, v7
	v_fma_f32 v10, v10, v6, -v13
	v_fmac_f32_e32 v14, v11, v6
	v_mul_f32_e32 v6, v14, v9
	v_mul_f32_e32 v7, v10, v9
	v_fma_f32 v6, v10, v8, -v6
	v_fmac_f32_e32 v7, v14, v8
	ds_write_b64 v12, v[6:7] offset:1048
.LBB58_151:
	s_or_b64 exec, exec, s[10:11]
	v_and_b32_e32 v9, 3, v0
	v_lshrrev_b32_e32 v10, 2, v1
	v_lshlrev_b32_e32 v7, 3, v9
	v_cmp_lt_u32_e64 s[10:11], 15, v1
	v_cmp_gt_u32_e64 s[18:19], 16, v1
	v_lshl_or_b32 v6, v10, 9, v7
	v_mov_b32_e32 v11, 0
	v_mov_b32_e32 v12, 0
	s_waitcnt lgkmcnt(0)
	s_barrier
	s_and_saveexec_b64 s[14:15], s[18:19]
	s_cbranch_execz .LBB58_157
; %bb.152:
	v_mul_u32_u24_e32 v12, 0x208, v10
	ds_read_b64 v[13:14], v6 offset:32
	ds_read_b64 v[15:16], v12
	v_cmp_gt_u32_e64 s[12:13], 12, v1
	s_waitcnt lgkmcnt(0)
	v_mul_f32_e32 v8, v16, v14
	v_mul_f32_e32 v11, v15, v14
	v_fma_f32 v8, v15, v13, -v8
	v_fmac_f32_e32 v11, v16, v13
	v_add_f32_e32 v8, 0, v8
	v_add_f32_e32 v11, 0, v11
	s_and_saveexec_b64 s[16:17], s[12:13]
	s_cbranch_execnz .LBB58_1054
; %bb.153:
	s_or_b64 exec, exec, s[16:17]
	v_cmp_gt_u32_e64 s[12:13], 8, v1
	s_and_saveexec_b64 s[16:17], s[12:13]
	s_cbranch_execnz .LBB58_1055
.LBB58_154:
	s_or_b64 exec, exec, s[16:17]
	v_cmp_gt_u32_e64 s[12:13], 4, v1
	s_and_saveexec_b64 s[16:17], s[12:13]
	s_cbranch_execz .LBB58_156
.LBB58_155:
	v_lshlrev_b32_e32 v12, 3, v0
	v_mov_b32_e32 v14, 0
	ds_read_b64 v[12:13], v12 offset:1568
	ds_read_b64 v[14:15], v14 offset:24
	s_waitcnt lgkmcnt(0)
	v_mul_f32_e32 v16, v15, v13
	v_mul_f32_e32 v13, v14, v13
	v_fma_f32 v14, v14, v12, -v16
	v_fmac_f32_e32 v13, v15, v12
	v_add_f32_e32 v8, v8, v14
	v_add_f32_e32 v11, v11, v13
.LBB58_156:
	s_or_b64 exec, exec, s[16:17]
	v_xor_b32_e32 v12, 0x80000000, v8
	v_xor_b32_e32 v11, 0x80000000, v11
.LBB58_157:
	s_or_b64 exec, exec, s[14:15]
	v_mov_b32_e32 v8, 0x8000
	v_cmp_eq_u32_e64 s[12:13], 0, v9
	s_xor_b64 s[14:15], s[10:11], -1
	v_lshl_add_u32 v8, v10, 3, v8
	s_and_b64 s[38:39], s[12:13], s[14:15]
	s_and_saveexec_b64 s[10:11], s[38:39]
	s_cbranch_execz .LBB58_159
; %bb.158:
	v_mov_b32_e32 v13, 0
	ds_read_b64 v[13:14], v13 offset:2080
	s_waitcnt lgkmcnt(0)
	v_mul_f32_e32 v16, v11, v14
	v_mul_f32_e32 v15, v12, v14
	v_fma_f32 v14, v12, v13, -v16
	v_fmac_f32_e32 v15, v11, v13
	v_mov_b32_e32 v12, v14
	v_mov_b32_e32 v11, v15
	ds_write_b64 v8, v[14:15]
.LBB58_159:
	s_or_b64 exec, exec, s[10:11]
	v_cmp_ne_u32_e64 s[10:11], 0, v9
	s_and_b64 s[42:43], s[10:11], s[14:15]
	s_waitcnt lgkmcnt(0)
	s_barrier
	s_and_saveexec_b64 s[10:11], s[42:43]
	s_cbranch_execz .LBB58_161
; %bb.160:
	ds_read_b64 v[13:14], v7 offset:2080
	ds_read_b64 v[15:16], v8
	s_waitcnt lgkmcnt(0)
	v_mul_f32_e32 v17, v16, v14
	v_mul_f32_e32 v14, v15, v14
	v_fma_f32 v15, v15, v13, -v17
	v_fmac_f32_e32 v14, v16, v13
	v_add_f32_e32 v12, v12, v15
	v_add_f32_e32 v11, v11, v14
.LBB58_161:
	s_or_b64 exec, exec, s[10:11]
	v_cmp_eq_u32_e64 s[10:11], 1, v9
	s_and_b64 s[44:45], s[10:11], s[14:15]
	s_barrier
	s_and_saveexec_b64 s[10:11], s[44:45]
	s_cbranch_execz .LBB58_163
; %bb.162:
	v_mov_b32_e32 v13, 0
	ds_read_b64 v[13:14], v13 offset:2600
	s_waitcnt lgkmcnt(0)
	v_mul_f32_e32 v16, v11, v14
	v_mul_f32_e32 v15, v12, v14
	v_fma_f32 v14, v12, v13, -v16
	v_fmac_f32_e32 v15, v11, v13
	v_mov_b32_e32 v12, v14
	v_mov_b32_e32 v11, v15
	ds_write_b64 v8, v[14:15]
.LBB58_163:
	s_or_b64 exec, exec, s[10:11]
	v_cmp_lt_u32_e64 s[10:11], 1, v9
	s_and_b64 s[52:53], s[10:11], s[14:15]
	s_waitcnt lgkmcnt(0)
	s_barrier
	s_and_saveexec_b64 s[10:11], s[52:53]
	s_cbranch_execz .LBB58_165
; %bb.164:
	ds_read_b64 v[13:14], v7 offset:2592
	ds_read_b64 v[15:16], v8
	s_waitcnt lgkmcnt(0)
	v_mul_f32_e32 v17, v16, v14
	v_mul_f32_e32 v14, v15, v14
	v_fma_f32 v15, v15, v13, -v17
	v_fmac_f32_e32 v14, v16, v13
	v_add_f32_e32 v12, v12, v15
	v_add_f32_e32 v11, v11, v14
.LBB58_165:
	s_or_b64 exec, exec, s[10:11]
	v_cmp_eq_u32_e64 s[10:11], 2, v9
	s_and_b64 s[54:55], s[10:11], s[14:15]
	s_barrier
	s_and_saveexec_b64 s[10:11], s[54:55]
	s_cbranch_execz .LBB58_167
; %bb.166:
	v_mov_b32_e32 v13, 0
	ds_read_b64 v[13:14], v13 offset:3120
	s_waitcnt lgkmcnt(0)
	v_mul_f32_e32 v16, v11, v14
	v_mul_f32_e32 v15, v12, v14
	v_fma_f32 v14, v12, v13, -v16
	v_fmac_f32_e32 v15, v11, v13
	v_mov_b32_e32 v12, v14
	v_mov_b32_e32 v11, v15
	ds_write_b64 v8, v[14:15]
.LBB58_167:
	s_or_b64 exec, exec, s[10:11]
	v_cmp_eq_u32_e64 s[10:11], 3, v9
	s_and_b64 s[36:37], s[10:11], s[14:15]
	s_waitcnt lgkmcnt(0)
	s_barrier
	s_and_saveexec_b64 s[10:11], s[36:37]
	s_cbranch_execz .LBB58_169
; %bb.168:
	v_mov_b32_e32 v13, 0
	ds_read_b64 v[13:14], v13 offset:3128
	ds_read_b64 v[15:16], v8
	s_waitcnt lgkmcnt(0)
	v_mul_f32_e32 v17, v16, v14
	v_mul_f32_e32 v14, v15, v14
	v_fma_f32 v15, v15, v13, -v17
	v_fmac_f32_e32 v14, v16, v13
	v_add_f32_e32 v12, v12, v15
	v_add_f32_e32 v11, v11, v14
.LBB58_169:
	s_or_b64 exec, exec, s[10:11]
	s_barrier
	s_and_saveexec_b64 s[10:11], s[36:37]
	s_cbranch_execz .LBB58_171
; %bb.170:
	v_mov_b32_e32 v13, 0
	ds_read_b64 v[13:14], v13 offset:3640
	s_waitcnt lgkmcnt(0)
	v_mul_f32_e32 v16, v11, v14
	v_mul_f32_e32 v15, v12, v14
	v_fma_f32 v14, v12, v13, -v16
	v_fmac_f32_e32 v15, v11, v13
	v_mov_b32_e32 v12, v14
	v_mov_b32_e32 v11, v15
	ds_write_b64 v8, v[14:15]
.LBB58_171:
	s_or_b64 exec, exec, s[10:11]
	s_waitcnt lgkmcnt(0)
	s_barrier
	s_barrier
	s_and_saveexec_b64 s[10:11], s[18:19]
; %bb.172:
	v_xor_b32_e32 v12, 0x80000000, v12
	v_xor_b32_e32 v13, 0x80000000, v11
	ds_write_b64 v6, v[12:13] offset:32
; %bb.173:
	s_or_b64 exec, exec, s[10:11]
	s_waitcnt lgkmcnt(0)
	s_barrier
	s_barrier
	s_and_saveexec_b64 s[10:11], vcc
	s_cbranch_execz .LBB58_175
; %bb.174:
	v_mov_b32_e32 v17, 0
	ds_read_b128 v[11:14], v17 offset:2080
	ds_read_b64 v[15:16], v17 offset:2600
	s_waitcnt lgkmcnt(0)
	v_mul_f32_e32 v18, v16, v12
	v_mul_f32_e32 v19, v15, v12
	v_fma_f32 v15, v15, v11, -v18
	v_fmac_f32_e32 v19, v16, v11
	v_mul_f32_e32 v11, v19, v14
	v_mul_f32_e32 v12, v15, v14
	v_fma_f32 v11, v15, v13, -v11
	v_fmac_f32_e32 v12, v19, v13
	ds_write_b64 v17, v[11:12] offset:2088
.LBB58_175:
	s_or_b64 exec, exec, s[10:11]
	v_mov_b32_e32 v11, 0
	v_mov_b32_e32 v12, 0
	s_waitcnt lgkmcnt(0)
	s_barrier
	s_and_saveexec_b64 s[12:13], s[6:7]
	s_cbranch_execz .LBB58_179
; %bb.176:
	v_mul_u32_u24_e32 v13, 0x208, v5
	ds_read_b64 v[11:12], v3 offset:2096
	ds_read_b64 v[13:14], v13 offset:2080
	v_cmp_gt_u32_e64 s[10:11], 2, v1
	s_waitcnt lgkmcnt(0)
	v_mul_f32_e32 v15, v14, v12
	v_mul_f32_e32 v12, v13, v12
	v_fma_f32 v13, v13, v11, -v15
	v_fmac_f32_e32 v12, v14, v11
	v_add_f32_e32 v11, 0, v13
	v_add_f32_e32 v13, 0, v12
	s_and_saveexec_b64 s[14:15], s[10:11]
	s_cbranch_execz .LBB58_178
; %bb.177:
	v_lshlrev_b32_e32 v12, 3, v0
	v_mov_b32_e32 v16, 0
	ds_read_b64 v[14:15], v12 offset:2608
	ds_read_b64 v[16:17], v16 offset:2088
	s_waitcnt lgkmcnt(0)
	v_mul_f32_e32 v12, v17, v15
	v_mul_f32_e32 v15, v16, v15
	v_fma_f32 v12, v16, v14, -v12
	v_fmac_f32_e32 v15, v17, v14
	v_add_f32_e32 v11, v11, v12
	v_add_f32_e32 v13, v13, v15
.LBB58_178:
	s_or_b64 exec, exec, s[14:15]
	v_xor_b32_e32 v12, 0x80000000, v11
	v_xor_b32_e32 v11, 0x80000000, v13
.LBB58_179:
	s_or_b64 exec, exec, s[12:13]
	s_and_saveexec_b64 s[10:11], s[34:35]
	s_cbranch_execz .LBB58_181
; %bb.180:
	v_mov_b32_e32 v13, 0
	ds_read_b64 v[13:14], v13 offset:3120
	s_waitcnt lgkmcnt(0)
	v_mul_f32_e32 v16, v11, v14
	v_mul_f32_e32 v15, v12, v14
	v_fma_f32 v14, v12, v13, -v16
	v_fmac_f32_e32 v15, v11, v13
	v_mov_b32_e32 v12, v14
	v_mov_b32_e32 v11, v15
	ds_write_b64 v4, v[14:15]
.LBB58_181:
	s_or_b64 exec, exec, s[10:11]
	s_waitcnt lgkmcnt(0)
	s_barrier
	s_and_saveexec_b64 s[10:11], s[30:31]
	s_cbranch_execz .LBB58_183
; %bb.182:
	v_mov_b32_e32 v13, 0
	ds_read_b64 v[13:14], v13 offset:3128
	ds_read_b64 v[15:16], v4
	s_waitcnt lgkmcnt(0)
	v_mul_f32_e32 v17, v16, v14
	v_mul_f32_e32 v14, v15, v14
	v_fma_f32 v15, v15, v13, -v17
	v_fmac_f32_e32 v14, v16, v13
	v_add_f32_e32 v12, v12, v15
	v_add_f32_e32 v11, v11, v14
.LBB58_183:
	s_or_b64 exec, exec, s[10:11]
	s_barrier
	s_and_saveexec_b64 s[10:11], s[30:31]
	s_cbranch_execz .LBB58_185
; %bb.184:
	v_mov_b32_e32 v13, 0
	ds_read_b64 v[13:14], v13 offset:3640
	s_waitcnt lgkmcnt(0)
	v_mul_f32_e32 v16, v11, v14
	v_mul_f32_e32 v15, v12, v14
	v_fma_f32 v14, v12, v13, -v16
	v_fmac_f32_e32 v15, v11, v13
	v_mov_b32_e32 v12, v14
	v_mov_b32_e32 v11, v15
	ds_write_b64 v4, v[14:15]
.LBB58_185:
	s_or_b64 exec, exec, s[10:11]
	s_waitcnt lgkmcnt(0)
	s_barrier
	s_barrier
	s_and_saveexec_b64 s[10:11], s[6:7]
; %bb.186:
	v_xor_b32_e32 v13, 0x80000000, v11
	v_xor_b32_e32 v12, 0x80000000, v12
	ds_write_b64 v3, v[12:13] offset:2096
; %bb.187:
	s_or_b64 exec, exec, s[10:11]
	s_waitcnt lgkmcnt(0)
	s_barrier
	s_barrier
	s_and_saveexec_b64 s[10:11], vcc
	s_cbranch_execz .LBB58_189
; %bb.188:
	v_mov_b32_e32 v17, 0
	ds_read_b128 v[11:14], v17 offset:3120
	ds_read_b64 v[15:16], v17 offset:3640
	s_waitcnt lgkmcnt(0)
	v_mul_f32_e32 v18, v16, v12
	v_mul_f32_e32 v19, v15, v12
	v_fma_f32 v15, v15, v11, -v18
	v_fmac_f32_e32 v19, v16, v11
	v_mul_f32_e32 v11, v19, v14
	v_mul_f32_e32 v12, v15, v14
	v_fma_f32 v11, v15, v13, -v11
	v_fmac_f32_e32 v12, v19, v13
	ds_write_b64 v17, v[11:12] offset:3128
.LBB58_189:
	s_or_b64 exec, exec, s[10:11]
	v_and_b32_e32 v14, 7, v0
	v_lshrrev_b32_e32 v15, 3, v1
	v_lshlrev_b32_e32 v12, 3, v14
	v_cmp_lt_u32_e64 s[12:13], 63, v1
	v_cmp_gt_u32_e64 s[10:11], 64, v1
	v_lshl_or_b32 v11, v15, 9, v12
	v_mov_b32_e32 v16, 0
	v_mov_b32_e32 v17, 0
	s_waitcnt lgkmcnt(0)
	s_barrier
	s_and_saveexec_b64 s[16:17], s[10:11]
	s_cbranch_execz .LBB58_199
; %bb.190:
	v_mul_u32_u24_e32 v17, 0x208, v15
	ds_read_b64 v[18:19], v11 offset:64
	ds_read_b64 v[20:21], v17
	v_cmp_gt_u32_e64 s[14:15], 56, v1
	s_waitcnt lgkmcnt(0)
	v_mul_f32_e32 v13, v21, v19
	v_mul_f32_e32 v16, v20, v19
	v_fma_f32 v13, v20, v18, -v13
	v_fmac_f32_e32 v16, v21, v18
	v_add_f32_e32 v13, 0, v13
	v_add_f32_e32 v16, 0, v16
	s_and_saveexec_b64 s[20:21], s[14:15]
	s_cbranch_execnz .LBB58_1056
; %bb.191:
	s_or_b64 exec, exec, s[20:21]
	v_cmp_gt_u32_e64 s[14:15], 48, v1
	s_and_saveexec_b64 s[20:21], s[14:15]
	s_cbranch_execnz .LBB58_1057
.LBB58_192:
	s_or_b64 exec, exec, s[20:21]
	v_cmp_gt_u32_e64 s[14:15], 40, v1
	s_and_saveexec_b64 s[20:21], s[14:15]
	s_cbranch_execnz .LBB58_1058
.LBB58_193:
	s_or_b64 exec, exec, s[20:21]
	v_cmp_gt_u32_e64 s[14:15], 32, v1
	s_and_saveexec_b64 s[20:21], s[14:15]
	s_cbranch_execnz .LBB58_1059
.LBB58_194:
	s_or_b64 exec, exec, s[20:21]
	v_cmp_gt_u32_e64 s[14:15], 24, v1
	s_and_saveexec_b64 s[20:21], s[14:15]
	s_cbranch_execnz .LBB58_1060
.LBB58_195:
	s_or_b64 exec, exec, s[20:21]
	v_cmp_gt_u32_e64 s[14:15], 16, v1
	s_and_saveexec_b64 s[20:21], s[14:15]
	s_cbranch_execnz .LBB58_1061
.LBB58_196:
	s_or_b64 exec, exec, s[20:21]
	v_cmp_gt_u32_e64 s[14:15], 8, v1
	s_and_saveexec_b64 s[20:21], s[14:15]
	s_cbranch_execz .LBB58_198
.LBB58_197:
	v_lshlrev_b32_e32 v17, 3, v0
	v_mov_b32_e32 v19, 0
	ds_read_b64 v[17:18], v17 offset:3648
	ds_read_b64 v[19:20], v19 offset:56
	s_waitcnt lgkmcnt(0)
	v_mul_f32_e32 v21, v20, v18
	v_mul_f32_e32 v18, v19, v18
	v_fma_f32 v19, v19, v17, -v21
	v_fmac_f32_e32 v18, v20, v17
	v_add_f32_e32 v13, v13, v19
	v_add_f32_e32 v16, v16, v18
.LBB58_198:
	s_or_b64 exec, exec, s[20:21]
	v_xor_b32_e32 v17, 0x80000000, v13
	v_xor_b32_e32 v16, 0x80000000, v16
.LBB58_199:
	v_writelane_b32 v34, s58, 2
	s_or_b64 exec, exec, s[16:17]
	v_mov_b32_e32 v13, 0x8000
	v_cmp_eq_u32_e64 s[14:15], 0, v14
	s_xor_b64 s[16:17], s[12:13], -1
	v_lshl_add_u32 v13, v15, 3, v13
	s_and_b64 s[58:59], s[14:15], s[16:17]
	s_and_saveexec_b64 s[12:13], s[58:59]
	s_cbranch_execz .LBB58_201
; %bb.200:
	v_mov_b32_e32 v18, 0
	ds_read_b64 v[18:19], v18 offset:4160
	s_waitcnt lgkmcnt(0)
	v_mul_f32_e32 v21, v16, v19
	v_mul_f32_e32 v20, v17, v19
	v_fma_f32 v19, v17, v18, -v21
	v_fmac_f32_e32 v20, v16, v18
	v_mov_b32_e32 v17, v19
	v_mov_b32_e32 v16, v20
	ds_write_b64 v13, v[19:20]
.LBB58_201:
	s_or_b64 exec, exec, s[12:13]
	v_cmp_ne_u32_e64 s[12:13], 0, v14
	s_and_b64 s[60:61], s[12:13], s[16:17]
	s_waitcnt lgkmcnt(0)
	s_barrier
	s_and_saveexec_b64 s[12:13], s[60:61]
	s_cbranch_execz .LBB58_203
; %bb.202:
	ds_read_b64 v[18:19], v12 offset:4160
	ds_read_b64 v[20:21], v13
	s_waitcnt lgkmcnt(0)
	v_mul_f32_e32 v22, v21, v19
	v_mul_f32_e32 v19, v20, v19
	v_fma_f32 v20, v20, v18, -v22
	v_fmac_f32_e32 v19, v21, v18
	v_add_f32_e32 v17, v17, v20
	v_add_f32_e32 v16, v16, v19
.LBB58_203:
	s_or_b64 exec, exec, s[12:13]
	v_cmp_eq_u32_e64 s[12:13], 1, v14
	s_and_b64 s[62:63], s[12:13], s[16:17]
	s_barrier
	s_and_saveexec_b64 s[12:13], s[62:63]
	s_cbranch_execz .LBB58_205
; %bb.204:
	v_mov_b32_e32 v18, 0
	ds_read_b64 v[18:19], v18 offset:4680
	s_waitcnt lgkmcnt(0)
	v_mul_f32_e32 v21, v16, v19
	v_mul_f32_e32 v20, v17, v19
	v_fma_f32 v19, v17, v18, -v21
	v_fmac_f32_e32 v20, v16, v18
	v_mov_b32_e32 v17, v19
	v_mov_b32_e32 v16, v20
	ds_write_b64 v13, v[19:20]
.LBB58_205:
	s_or_b64 exec, exec, s[12:13]
	v_cmp_lt_u32_e64 s[12:13], 1, v14
	s_and_b64 s[64:65], s[12:13], s[16:17]
	s_waitcnt lgkmcnt(0)
	s_barrier
	s_and_saveexec_b64 s[12:13], s[64:65]
	s_cbranch_execz .LBB58_207
; %bb.206:
	ds_read_b64 v[18:19], v12 offset:4672
	ds_read_b64 v[20:21], v13
	s_waitcnt lgkmcnt(0)
	v_mul_f32_e32 v22, v21, v19
	v_mul_f32_e32 v19, v20, v19
	v_fma_f32 v20, v20, v18, -v22
	v_fmac_f32_e32 v19, v21, v18
	v_add_f32_e32 v17, v17, v20
	v_add_f32_e32 v16, v16, v19
.LBB58_207:
	s_or_b64 exec, exec, s[12:13]
	v_cmp_eq_u32_e64 s[12:13], 2, v14
	s_and_b64 s[66:67], s[12:13], s[16:17]
	s_barrier
	s_and_saveexec_b64 s[12:13], s[66:67]
	s_cbranch_execz .LBB58_209
; %bb.208:
	v_mov_b32_e32 v18, 0
	ds_read_b64 v[18:19], v18 offset:5200
	s_waitcnt lgkmcnt(0)
	v_mul_f32_e32 v21, v16, v19
	v_mul_f32_e32 v20, v17, v19
	v_fma_f32 v19, v17, v18, -v21
	v_fmac_f32_e32 v20, v16, v18
	v_mov_b32_e32 v17, v19
	v_mov_b32_e32 v16, v20
	ds_write_b64 v13, v[19:20]
.LBB58_209:
	s_or_b64 exec, exec, s[12:13]
	v_cmp_lt_u32_e64 s[12:13], 2, v14
	;; [unrolled: 36-line block ×5, first 2 shown]
	s_and_b64 s[80:81], s[12:13], s[16:17]
	s_waitcnt lgkmcnt(0)
	s_barrier
	s_and_saveexec_b64 s[12:13], s[80:81]
	s_cbranch_execz .LBB58_223
; %bb.222:
	ds_read_b64 v[18:19], v12 offset:6720
	ds_read_b64 v[20:21], v13
	s_waitcnt lgkmcnt(0)
	v_mul_f32_e32 v22, v21, v19
	v_mul_f32_e32 v19, v20, v19
	v_fma_f32 v20, v20, v18, -v22
	v_fmac_f32_e32 v19, v21, v18
	v_add_f32_e32 v17, v17, v20
	v_add_f32_e32 v16, v16, v19
.LBB58_223:
	s_or_b64 exec, exec, s[12:13]
	v_cmp_eq_u32_e64 s[12:13], 6, v14
	s_and_b64 s[82:83], s[12:13], s[16:17]
	s_barrier
	s_and_saveexec_b64 s[12:13], s[82:83]
	s_cbranch_execz .LBB58_225
; %bb.224:
	v_mov_b32_e32 v18, 0
	ds_read_b64 v[18:19], v18 offset:7280
	s_waitcnt lgkmcnt(0)
	v_mul_f32_e32 v21, v16, v19
	v_mul_f32_e32 v20, v17, v19
	v_fma_f32 v19, v17, v18, -v21
	v_fmac_f32_e32 v20, v16, v18
	v_mov_b32_e32 v17, v19
	v_mov_b32_e32 v16, v20
	ds_write_b64 v13, v[19:20]
.LBB58_225:
	s_or_b64 exec, exec, s[12:13]
	v_cmp_eq_u32_e64 s[12:13], 7, v14
	s_and_b64 s[56:57], s[12:13], s[16:17]
	s_waitcnt lgkmcnt(0)
	s_barrier
	s_and_saveexec_b64 s[12:13], s[56:57]
	s_cbranch_execz .LBB58_227
; %bb.226:
	v_mov_b32_e32 v18, 0
	ds_read_b64 v[18:19], v18 offset:7288
	ds_read_b64 v[20:21], v13
	s_waitcnt lgkmcnt(0)
	v_mul_f32_e32 v22, v21, v19
	v_mul_f32_e32 v19, v20, v19
	v_fma_f32 v20, v20, v18, -v22
	v_fmac_f32_e32 v19, v21, v18
	v_add_f32_e32 v17, v17, v20
	v_add_f32_e32 v16, v16, v19
.LBB58_227:
	s_or_b64 exec, exec, s[12:13]
	s_barrier
	s_and_saveexec_b64 s[12:13], s[56:57]
	s_cbranch_execz .LBB58_229
; %bb.228:
	v_mov_b32_e32 v18, 0
	ds_read_b64 v[18:19], v18 offset:7800
	s_waitcnt lgkmcnt(0)
	v_mul_f32_e32 v21, v16, v19
	v_mul_f32_e32 v20, v17, v19
	v_fma_f32 v19, v17, v18, -v21
	v_fmac_f32_e32 v20, v16, v18
	v_mov_b32_e32 v17, v19
	v_mov_b32_e32 v16, v20
	ds_write_b64 v13, v[19:20]
.LBB58_229:
	s_or_b64 exec, exec, s[12:13]
	s_waitcnt lgkmcnt(0)
	s_barrier
	s_barrier
	s_and_saveexec_b64 s[12:13], s[10:11]
; %bb.230:
	v_xor_b32_e32 v18, 0x80000000, v16
	v_xor_b32_e32 v17, 0x80000000, v17
	ds_write_b64 v11, v[17:18] offset:64
; %bb.231:
	s_or_b64 exec, exec, s[12:13]
	s_waitcnt lgkmcnt(0)
	s_barrier
	s_barrier
	s_and_saveexec_b64 s[12:13], vcc
	s_cbranch_execz .LBB58_233
; %bb.232:
	v_mov_b32_e32 v22, 0
	ds_read_b128 v[16:19], v22 offset:4160
	ds_read_b64 v[20:21], v22 offset:4680
	s_waitcnt lgkmcnt(0)
	v_mul_f32_e32 v23, v21, v17
	v_mul_f32_e32 v24, v20, v17
	v_fma_f32 v20, v20, v16, -v23
	v_fmac_f32_e32 v24, v21, v16
	v_mul_f32_e32 v16, v24, v19
	v_mul_f32_e32 v17, v20, v19
	v_fma_f32 v16, v20, v18, -v16
	v_fmac_f32_e32 v17, v24, v18
	ds_write_b64 v22, v[16:17] offset:4168
.LBB58_233:
	s_or_b64 exec, exec, s[12:13]
	v_mov_b32_e32 v16, 0
	v_mov_b32_e32 v17, 0
	s_waitcnt lgkmcnt(0)
	s_barrier
	s_and_saveexec_b64 s[14:15], s[6:7]
	s_cbranch_execz .LBB58_237
; %bb.234:
	v_mul_u32_u24_e32 v18, 0x208, v5
	ds_read_b64 v[16:17], v3 offset:4176
	ds_read_b64 v[18:19], v18 offset:4160
	v_cmp_gt_u32_e64 s[12:13], 2, v1
	s_waitcnt lgkmcnt(0)
	v_mul_f32_e32 v20, v19, v17
	v_mul_f32_e32 v17, v18, v17
	v_fma_f32 v18, v18, v16, -v20
	v_fmac_f32_e32 v17, v19, v16
	v_add_f32_e32 v16, 0, v18
	v_add_f32_e32 v18, 0, v17
	s_and_saveexec_b64 s[16:17], s[12:13]
	s_cbranch_execz .LBB58_236
; %bb.235:
	v_lshlrev_b32_e32 v17, 3, v0
	v_mov_b32_e32 v21, 0
	ds_read_b64 v[19:20], v17 offset:4688
	ds_read_b64 v[21:22], v21 offset:4168
	s_waitcnt lgkmcnt(0)
	v_mul_f32_e32 v17, v22, v20
	v_mul_f32_e32 v20, v21, v20
	v_fma_f32 v17, v21, v19, -v17
	v_fmac_f32_e32 v20, v22, v19
	v_add_f32_e32 v16, v16, v17
	v_add_f32_e32 v18, v18, v20
.LBB58_236:
	s_or_b64 exec, exec, s[16:17]
	v_xor_b32_e32 v17, 0x80000000, v16
	v_xor_b32_e32 v16, 0x80000000, v18
.LBB58_237:
	s_or_b64 exec, exec, s[14:15]
	s_and_saveexec_b64 s[12:13], s[34:35]
	s_cbranch_execz .LBB58_239
; %bb.238:
	v_mov_b32_e32 v18, 0
	ds_read_b64 v[18:19], v18 offset:5200
	s_waitcnt lgkmcnt(0)
	v_mul_f32_e32 v21, v16, v19
	v_mul_f32_e32 v20, v17, v19
	v_fma_f32 v19, v17, v18, -v21
	v_fmac_f32_e32 v20, v16, v18
	v_mov_b32_e32 v17, v19
	v_mov_b32_e32 v16, v20
	ds_write_b64 v4, v[19:20]
.LBB58_239:
	s_or_b64 exec, exec, s[12:13]
	s_waitcnt lgkmcnt(0)
	s_barrier
	s_and_saveexec_b64 s[12:13], s[30:31]
	s_cbranch_execz .LBB58_241
; %bb.240:
	v_mov_b32_e32 v18, 0
	ds_read_b64 v[18:19], v18 offset:5208
	ds_read_b64 v[20:21], v4
	s_waitcnt lgkmcnt(0)
	v_mul_f32_e32 v22, v21, v19
	v_mul_f32_e32 v19, v20, v19
	v_fma_f32 v20, v20, v18, -v22
	v_fmac_f32_e32 v19, v21, v18
	v_add_f32_e32 v17, v17, v20
	v_add_f32_e32 v16, v16, v19
.LBB58_241:
	s_or_b64 exec, exec, s[12:13]
	s_barrier
	s_and_saveexec_b64 s[12:13], s[30:31]
	s_cbranch_execz .LBB58_243
; %bb.242:
	v_mov_b32_e32 v18, 0
	ds_read_b64 v[18:19], v18 offset:5720
	s_waitcnt lgkmcnt(0)
	v_mul_f32_e32 v21, v16, v19
	v_mul_f32_e32 v20, v17, v19
	v_fma_f32 v19, v17, v18, -v21
	v_fmac_f32_e32 v20, v16, v18
	v_mov_b32_e32 v17, v19
	v_mov_b32_e32 v16, v20
	ds_write_b64 v4, v[19:20]
.LBB58_243:
	s_or_b64 exec, exec, s[12:13]
	s_waitcnt lgkmcnt(0)
	s_barrier
	s_barrier
	s_and_saveexec_b64 s[12:13], s[6:7]
; %bb.244:
	v_xor_b32_e32 v18, 0x80000000, v16
	v_xor_b32_e32 v17, 0x80000000, v17
	ds_write_b64 v3, v[17:18] offset:4176
; %bb.245:
	s_or_b64 exec, exec, s[12:13]
	s_waitcnt lgkmcnt(0)
	s_barrier
	s_barrier
	s_and_saveexec_b64 s[12:13], vcc
	s_cbranch_execz .LBB58_247
; %bb.246:
	v_mov_b32_e32 v22, 0
	ds_read_b128 v[16:19], v22 offset:5200
	ds_read_b64 v[20:21], v22 offset:5720
	s_waitcnt lgkmcnt(0)
	v_mul_f32_e32 v23, v21, v17
	v_mul_f32_e32 v24, v20, v17
	v_fma_f32 v20, v20, v16, -v23
	v_fmac_f32_e32 v24, v21, v16
	v_mul_f32_e32 v16, v24, v19
	v_mul_f32_e32 v17, v20, v19
	v_fma_f32 v16, v20, v18, -v16
	v_fmac_f32_e32 v17, v24, v18
	ds_write_b64 v22, v[16:17] offset:5208
.LBB58_247:
	s_or_b64 exec, exec, s[12:13]
	v_mov_b32_e32 v16, 0
	v_mov_b32_e32 v17, 0
	s_waitcnt lgkmcnt(0)
	s_barrier
	s_and_saveexec_b64 s[14:15], s[18:19]
	s_cbranch_execz .LBB58_253
; %bb.248:
	v_mul_u32_u24_e32 v17, 0x208, v10
	ds_read_b64 v[18:19], v6 offset:4192
	ds_read_b64 v[20:21], v17 offset:4160
	v_cmp_gt_u32_e64 s[12:13], 12, v1
	s_waitcnt lgkmcnt(0)
	v_mul_f32_e32 v16, v21, v19
	v_mul_f32_e32 v19, v20, v19
	v_fma_f32 v16, v20, v18, -v16
	v_fmac_f32_e32 v19, v21, v18
	v_add_f32_e32 v16, 0, v16
	v_add_f32_e32 v18, 0, v19
	s_and_saveexec_b64 s[16:17], s[12:13]
	s_cbranch_execnz .LBB58_1062
; %bb.249:
	s_or_b64 exec, exec, s[16:17]
	v_cmp_gt_u32_e64 s[12:13], 8, v1
	s_and_saveexec_b64 s[16:17], s[12:13]
	s_cbranch_execnz .LBB58_1063
.LBB58_250:
	s_or_b64 exec, exec, s[16:17]
	v_cmp_gt_u32_e64 s[12:13], 4, v1
	s_and_saveexec_b64 s[16:17], s[12:13]
	s_cbranch_execz .LBB58_252
.LBB58_251:
	v_lshlrev_b32_e32 v17, 3, v0
	v_mov_b32_e32 v21, 0
	ds_read_b64 v[19:20], v17 offset:5728
	ds_read_b64 v[21:22], v21 offset:4184
	s_waitcnt lgkmcnt(0)
	v_mul_f32_e32 v17, v22, v20
	v_mul_f32_e32 v20, v21, v20
	v_fma_f32 v17, v21, v19, -v17
	v_fmac_f32_e32 v20, v22, v19
	v_add_f32_e32 v16, v16, v17
	v_add_f32_e32 v18, v18, v20
.LBB58_252:
	s_or_b64 exec, exec, s[16:17]
	v_xor_b32_e32 v17, 0x80000000, v16
	v_xor_b32_e32 v16, 0x80000000, v18
.LBB58_253:
	s_or_b64 exec, exec, s[14:15]
	s_and_saveexec_b64 s[12:13], s[38:39]
	s_cbranch_execz .LBB58_255
; %bb.254:
	v_mov_b32_e32 v18, 0
	ds_read_b64 v[18:19], v18 offset:6240
	s_waitcnt lgkmcnt(0)
	v_mul_f32_e32 v21, v16, v19
	v_mul_f32_e32 v20, v17, v19
	v_fma_f32 v19, v17, v18, -v21
	v_fmac_f32_e32 v20, v16, v18
	v_mov_b32_e32 v17, v19
	v_mov_b32_e32 v16, v20
	ds_write_b64 v8, v[19:20]
.LBB58_255:
	s_or_b64 exec, exec, s[12:13]
	s_waitcnt lgkmcnt(0)
	s_barrier
	s_and_saveexec_b64 s[12:13], s[42:43]
	s_cbranch_execz .LBB58_257
; %bb.256:
	ds_read_b64 v[18:19], v7 offset:6240
	ds_read_b64 v[20:21], v8
	s_waitcnt lgkmcnt(0)
	v_mul_f32_e32 v22, v21, v19
	v_mul_f32_e32 v19, v20, v19
	v_fma_f32 v20, v20, v18, -v22
	v_fmac_f32_e32 v19, v21, v18
	v_add_f32_e32 v17, v17, v20
	v_add_f32_e32 v16, v16, v19
.LBB58_257:
	s_or_b64 exec, exec, s[12:13]
	s_barrier
	s_and_saveexec_b64 s[12:13], s[44:45]
	s_cbranch_execz .LBB58_259
; %bb.258:
	v_mov_b32_e32 v18, 0
	ds_read_b64 v[18:19], v18 offset:6760
	s_waitcnt lgkmcnt(0)
	v_mul_f32_e32 v21, v16, v19
	v_mul_f32_e32 v20, v17, v19
	v_fma_f32 v19, v17, v18, -v21
	v_fmac_f32_e32 v20, v16, v18
	v_mov_b32_e32 v17, v19
	v_mov_b32_e32 v16, v20
	ds_write_b64 v8, v[19:20]
.LBB58_259:
	s_or_b64 exec, exec, s[12:13]
	s_waitcnt lgkmcnt(0)
	s_barrier
	s_and_saveexec_b64 s[12:13], s[52:53]
	s_cbranch_execz .LBB58_261
; %bb.260:
	ds_read_b64 v[18:19], v7 offset:6752
	ds_read_b64 v[20:21], v8
	s_waitcnt lgkmcnt(0)
	v_mul_f32_e32 v22, v21, v19
	v_mul_f32_e32 v19, v20, v19
	v_fma_f32 v20, v20, v18, -v22
	v_fmac_f32_e32 v19, v21, v18
	v_add_f32_e32 v17, v17, v20
	v_add_f32_e32 v16, v16, v19
.LBB58_261:
	s_or_b64 exec, exec, s[12:13]
	s_barrier
	s_and_saveexec_b64 s[12:13], s[54:55]
	s_cbranch_execz .LBB58_263
; %bb.262:
	v_mov_b32_e32 v18, 0
	ds_read_b64 v[18:19], v18 offset:7280
	s_waitcnt lgkmcnt(0)
	v_mul_f32_e32 v21, v16, v19
	v_mul_f32_e32 v20, v17, v19
	v_fma_f32 v19, v17, v18, -v21
	v_fmac_f32_e32 v20, v16, v18
	v_mov_b32_e32 v17, v19
	v_mov_b32_e32 v16, v20
	ds_write_b64 v8, v[19:20]
.LBB58_263:
	s_or_b64 exec, exec, s[12:13]
	s_waitcnt lgkmcnt(0)
	s_barrier
	s_and_saveexec_b64 s[12:13], s[36:37]
	s_cbranch_execz .LBB58_265
; %bb.264:
	v_mov_b32_e32 v18, 0
	ds_read_b64 v[18:19], v18 offset:7288
	ds_read_b64 v[20:21], v8
	s_waitcnt lgkmcnt(0)
	v_mul_f32_e32 v22, v21, v19
	v_mul_f32_e32 v19, v20, v19
	v_fma_f32 v20, v20, v18, -v22
	v_fmac_f32_e32 v19, v21, v18
	v_add_f32_e32 v17, v17, v20
	v_add_f32_e32 v16, v16, v19
.LBB58_265:
	s_or_b64 exec, exec, s[12:13]
	s_barrier
	s_and_saveexec_b64 s[12:13], s[36:37]
	s_cbranch_execz .LBB58_267
; %bb.266:
	v_mov_b32_e32 v18, 0
	ds_read_b64 v[18:19], v18 offset:7800
	s_waitcnt lgkmcnt(0)
	v_mul_f32_e32 v21, v16, v19
	v_mul_f32_e32 v20, v17, v19
	v_fma_f32 v19, v17, v18, -v21
	v_fmac_f32_e32 v20, v16, v18
	v_mov_b32_e32 v17, v19
	v_mov_b32_e32 v16, v20
	ds_write_b64 v8, v[19:20]
.LBB58_267:
	s_or_b64 exec, exec, s[12:13]
	s_waitcnt lgkmcnt(0)
	s_barrier
	s_barrier
	s_and_saveexec_b64 s[12:13], s[18:19]
; %bb.268:
	v_xor_b32_e32 v17, 0x80000000, v17
	v_xor_b32_e32 v18, 0x80000000, v16
	ds_write_b64 v6, v[17:18] offset:4192
; %bb.269:
	s_or_b64 exec, exec, s[12:13]
	s_waitcnt lgkmcnt(0)
	s_barrier
	s_barrier
	s_and_saveexec_b64 s[12:13], vcc
	s_cbranch_execz .LBB58_271
; %bb.270:
	v_mov_b32_e32 v22, 0
	ds_read_b128 v[16:19], v22 offset:6240
	ds_read_b64 v[20:21], v22 offset:6760
	s_waitcnt lgkmcnt(0)
	v_mul_f32_e32 v23, v21, v17
	v_mul_f32_e32 v24, v20, v17
	v_fma_f32 v20, v20, v16, -v23
	v_fmac_f32_e32 v24, v21, v16
	v_mul_f32_e32 v16, v24, v19
	v_mul_f32_e32 v17, v20, v19
	v_fma_f32 v16, v20, v18, -v16
	v_fmac_f32_e32 v17, v24, v18
	ds_write_b64 v22, v[16:17] offset:6248
.LBB58_271:
	s_or_b64 exec, exec, s[12:13]
	v_mov_b32_e32 v16, 0
	v_mov_b32_e32 v17, 0
	s_waitcnt lgkmcnt(0)
	s_barrier
	s_and_saveexec_b64 s[14:15], s[6:7]
	s_cbranch_execz .LBB58_275
; %bb.272:
	v_mul_u32_u24_e32 v18, 0x208, v5
	ds_read_b64 v[16:17], v3 offset:6256
	ds_read_b64 v[18:19], v18 offset:6240
	v_cmp_gt_u32_e64 s[12:13], 2, v1
	s_waitcnt lgkmcnt(0)
	v_mul_f32_e32 v20, v19, v17
	v_mul_f32_e32 v17, v18, v17
	v_fma_f32 v18, v18, v16, -v20
	v_fmac_f32_e32 v17, v19, v16
	v_add_f32_e32 v16, 0, v18
	v_add_f32_e32 v18, 0, v17
	s_and_saveexec_b64 s[16:17], s[12:13]
	s_cbranch_execz .LBB58_274
; %bb.273:
	v_lshlrev_b32_e32 v17, 3, v0
	v_mov_b32_e32 v21, 0
	ds_read_b64 v[19:20], v17 offset:6768
	ds_read_b64 v[21:22], v21 offset:6248
	s_waitcnt lgkmcnt(0)
	v_mul_f32_e32 v17, v22, v20
	v_mul_f32_e32 v20, v21, v20
	v_fma_f32 v17, v21, v19, -v17
	v_fmac_f32_e32 v20, v22, v19
	v_add_f32_e32 v16, v16, v17
	v_add_f32_e32 v18, v18, v20
.LBB58_274:
	s_or_b64 exec, exec, s[16:17]
	v_xor_b32_e32 v17, 0x80000000, v16
	v_xor_b32_e32 v16, 0x80000000, v18
.LBB58_275:
	s_or_b64 exec, exec, s[14:15]
	s_and_saveexec_b64 s[12:13], s[34:35]
	s_cbranch_execz .LBB58_277
; %bb.276:
	v_mov_b32_e32 v18, 0
	ds_read_b64 v[18:19], v18 offset:7280
	s_waitcnt lgkmcnt(0)
	v_mul_f32_e32 v21, v16, v19
	v_mul_f32_e32 v20, v17, v19
	v_fma_f32 v19, v17, v18, -v21
	v_fmac_f32_e32 v20, v16, v18
	v_mov_b32_e32 v17, v19
	v_mov_b32_e32 v16, v20
	ds_write_b64 v4, v[19:20]
.LBB58_277:
	s_or_b64 exec, exec, s[12:13]
	s_waitcnt lgkmcnt(0)
	s_barrier
	s_and_saveexec_b64 s[12:13], s[30:31]
	s_cbranch_execz .LBB58_279
; %bb.278:
	v_mov_b32_e32 v18, 0
	ds_read_b64 v[18:19], v18 offset:7288
	ds_read_b64 v[20:21], v4
	s_waitcnt lgkmcnt(0)
	v_mul_f32_e32 v22, v21, v19
	v_mul_f32_e32 v19, v20, v19
	v_fma_f32 v20, v20, v18, -v22
	v_fmac_f32_e32 v19, v21, v18
	v_add_f32_e32 v17, v17, v20
	v_add_f32_e32 v16, v16, v19
.LBB58_279:
	s_or_b64 exec, exec, s[12:13]
	s_barrier
	s_and_saveexec_b64 s[12:13], s[30:31]
	s_cbranch_execz .LBB58_281
; %bb.280:
	v_mov_b32_e32 v18, 0
	ds_read_b64 v[18:19], v18 offset:7800
	s_waitcnt lgkmcnt(0)
	v_mul_f32_e32 v21, v16, v19
	v_mul_f32_e32 v20, v17, v19
	v_fma_f32 v19, v17, v18, -v21
	v_fmac_f32_e32 v20, v16, v18
	v_mov_b32_e32 v17, v19
	v_mov_b32_e32 v16, v20
	ds_write_b64 v4, v[19:20]
.LBB58_281:
	s_or_b64 exec, exec, s[12:13]
	s_waitcnt lgkmcnt(0)
	s_barrier
	s_barrier
	s_and_saveexec_b64 s[12:13], s[6:7]
; %bb.282:
	v_xor_b32_e32 v18, 0x80000000, v16
	v_xor_b32_e32 v17, 0x80000000, v17
	ds_write_b64 v3, v[17:18] offset:6256
; %bb.283:
	s_or_b64 exec, exec, s[12:13]
	s_waitcnt lgkmcnt(0)
	s_barrier
	s_barrier
	s_and_saveexec_b64 s[12:13], vcc
	s_cbranch_execz .LBB58_285
; %bb.284:
	v_mov_b32_e32 v22, 0
	ds_read_b128 v[16:19], v22 offset:7280
	ds_read_b64 v[20:21], v22 offset:7800
	s_waitcnt lgkmcnt(0)
	v_mul_f32_e32 v23, v21, v17
	v_mul_f32_e32 v24, v20, v17
	v_fma_f32 v20, v20, v16, -v23
	v_fmac_f32_e32 v24, v21, v16
	v_mul_f32_e32 v16, v24, v19
	v_mul_f32_e32 v17, v20, v19
	v_fma_f32 v16, v20, v18, -v16
	v_fmac_f32_e32 v17, v24, v18
	ds_write_b64 v22, v[16:17] offset:7288
.LBB58_285:
	s_or_b64 exec, exec, s[12:13]
	v_lshrrev_b32_e32 v20, 4, v1
	v_and_b32_e32 v17, 15, v0
	s_movk_i32 s12, 0xff
	v_lshlrev_b32_e32 v19, 6, v20
	v_cmp_lt_u32_e64 s[14:15], s12, v1
	s_movk_i32 s12, 0x100
	v_or_b32_e32 v16, v19, v17
	v_cmp_gt_u32_e64 s[12:13], s12, v1
	v_lshlrev_b32_e32 v16, 3, v16
	v_mov_b32_e32 v21, 0
	v_mov_b32_e32 v22, 0
	s_waitcnt lgkmcnt(0)
	s_barrier
	s_and_saveexec_b64 s[20:21], s[12:13]
	s_cbranch_execz .LBB58_313
; %bb.286:
	v_mul_u32_u24_e32 v22, 0x208, v20
	ds_read_b64 v[23:24], v16 offset:128
	ds_read_b64 v[25:26], v22
	s_movk_i32 s16, 0xf0
	v_cmp_gt_u32_e64 s[16:17], s16, v1
	s_waitcnt lgkmcnt(0)
	v_mul_f32_e32 v18, v26, v24
	v_mul_f32_e32 v21, v25, v24
	v_fma_f32 v18, v25, v23, -v18
	v_fmac_f32_e32 v21, v26, v23
	v_add_f32_e32 v18, 0, v18
	v_add_f32_e32 v21, 0, v21
	s_and_saveexec_b64 s[26:27], s[16:17]
	s_cbranch_execz .LBB58_288
; %bb.287:
	v_lshlrev_b32_e32 v23, 3, v20
	v_sub_u32_e32 v23, v22, v23
	v_lshl_add_u32 v23, v17, 3, v23
	ds_read_b64 v[23:24], v23 offset:640
	ds_read_b64 v[25:26], v22 offset:8
	s_waitcnt lgkmcnt(0)
	v_mul_f32_e32 v27, v26, v24
	v_mul_f32_e32 v24, v25, v24
	v_fma_f32 v25, v25, v23, -v27
	v_fmac_f32_e32 v24, v26, v23
	v_add_f32_e32 v18, v18, v25
	v_add_f32_e32 v21, v21, v24
.LBB58_288:
	s_or_b64 exec, exec, s[26:27]
	s_movk_i32 s16, 0xe0
	v_cmp_gt_u32_e64 s[16:17], s16, v1
	s_and_saveexec_b64 s[26:27], s[16:17]
	s_cbranch_execz .LBB58_290
; %bb.289:
	v_lshlrev_b32_e32 v23, 3, v20
	v_sub_u32_e32 v23, v22, v23
	v_lshl_add_u32 v23, v17, 3, v23
	ds_read_b64 v[23:24], v23 offset:1152
	ds_read_b64 v[25:26], v22 offset:16
	s_waitcnt lgkmcnt(0)
	v_mul_f32_e32 v27, v26, v24
	v_mul_f32_e32 v24, v25, v24
	v_fma_f32 v25, v25, v23, -v27
	v_fmac_f32_e32 v24, v26, v23
	v_add_f32_e32 v18, v18, v25
	v_add_f32_e32 v21, v21, v24
.LBB58_290:
	s_or_b64 exec, exec, s[26:27]
	s_movk_i32 s16, 0xd0
	v_cmp_gt_u32_e64 s[16:17], s16, v1
	;; [unrolled: 19-line block ×7, first 2 shown]
	s_and_saveexec_b64 s[26:27], s[16:17]
	s_cbranch_execz .LBB58_302
; %bb.301:
	ds_read_b64 v[23:24], v16 offset:4224
	ds_read_b64 v[25:26], v22 offset:64
	s_waitcnt lgkmcnt(0)
	v_mul_f32_e32 v27, v26, v24
	v_mul_f32_e32 v24, v25, v24
	v_fma_f32 v25, v25, v23, -v27
	v_fmac_f32_e32 v24, v26, v23
	v_add_f32_e32 v18, v18, v25
	v_add_f32_e32 v21, v21, v24
.LBB58_302:
	s_or_b64 exec, exec, s[26:27]
	s_movk_i32 s16, 0x70
	v_cmp_gt_u32_e64 s[16:17], s16, v1
	s_and_saveexec_b64 s[26:27], s[16:17]
	s_cbranch_execz .LBB58_304
; %bb.303:
	v_lshlrev_b32_e32 v23, 3, v17
	v_lshl_add_u32 v23, v19, 3, v23
	ds_read_b64 v[23:24], v23 offset:4736
	ds_read_b64 v[25:26], v22 offset:72
	s_waitcnt lgkmcnt(0)
	v_mul_f32_e32 v27, v26, v24
	v_mul_f32_e32 v24, v25, v24
	v_fma_f32 v25, v25, v23, -v27
	v_fmac_f32_e32 v24, v26, v23
	v_add_f32_e32 v18, v18, v25
	v_add_f32_e32 v21, v21, v24
.LBB58_304:
	s_or_b64 exec, exec, s[26:27]
	s_movk_i32 s16, 0x60
	v_cmp_gt_u32_e64 s[16:17], s16, v1
	s_and_saveexec_b64 s[26:27], s[16:17]
	s_cbranch_execz .LBB58_306
; %bb.305:
	v_lshlrev_b32_e32 v23, 3, v17
	v_lshl_add_u32 v23, v19, 3, v23
	ds_read_b64 v[23:24], v23 offset:5248
	ds_read_b64 v[25:26], v22 offset:80
	s_waitcnt lgkmcnt(0)
	v_mul_f32_e32 v27, v26, v24
	v_mul_f32_e32 v24, v25, v24
	v_fma_f32 v25, v25, v23, -v27
	v_fmac_f32_e32 v24, v26, v23
	v_add_f32_e32 v18, v18, v25
	v_add_f32_e32 v21, v21, v24
.LBB58_306:
	s_or_b64 exec, exec, s[26:27]
	s_movk_i32 s16, 0x50
	v_cmp_gt_u32_e64 s[16:17], s16, v1
	s_and_saveexec_b64 s[26:27], s[16:17]
	s_cbranch_execnz .LBB58_1064
; %bb.307:
	s_or_b64 exec, exec, s[26:27]
	v_cmp_gt_u32_e64 s[16:17], 64, v1
	s_and_saveexec_b64 s[26:27], s[16:17]
	s_cbranch_execnz .LBB58_1065
.LBB58_308:
	s_or_b64 exec, exec, s[26:27]
	v_cmp_gt_u32_e64 s[16:17], 48, v1
	s_and_saveexec_b64 s[26:27], s[16:17]
	s_cbranch_execnz .LBB58_1066
.LBB58_309:
	s_or_b64 exec, exec, s[26:27]
	v_cmp_gt_u32_e64 s[16:17], 32, v1
	s_and_saveexec_b64 s[26:27], s[16:17]
	s_cbranch_execnz .LBB58_1067
.LBB58_310:
	s_or_b64 exec, exec, s[26:27]
	v_cmp_gt_u32_e64 s[16:17], 16, v1
	s_and_saveexec_b64 s[26:27], s[16:17]
	s_cbranch_execz .LBB58_312
.LBB58_311:
	v_lshlrev_b32_e32 v22, 3, v0
	v_mov_b32_e32 v24, 0
	ds_read_b64 v[22:23], v22 offset:7808
	ds_read_b64 v[24:25], v24 offset:120
	s_waitcnt lgkmcnt(0)
	v_mul_f32_e32 v26, v25, v23
	v_mul_f32_e32 v23, v24, v23
	v_fma_f32 v24, v24, v22, -v26
	v_fmac_f32_e32 v23, v25, v22
	v_add_f32_e32 v18, v18, v24
	v_add_f32_e32 v21, v21, v23
.LBB58_312:
	s_or_b64 exec, exec, s[26:27]
	v_xor_b32_e32 v22, 0x80000000, v18
	v_xor_b32_e32 v21, 0x80000000, v21
.LBB58_313:
	s_or_b64 exec, exec, s[20:21]
	v_mov_b32_e32 v18, 0x8000
	v_lshl_add_u32 v18, v20, 3, v18
	v_cmp_eq_u32_e64 s[16:17], 0, v17
	s_xor_b64 s[20:21], s[14:15], -1
	s_and_b64 s[16:17], s[16:17], s[20:21]
	s_mov_b64 s[14:15], exec
	v_writelane_b32 v34, s16, 3
	v_writelane_b32 v34, s17, 4
	s_and_b64 s[16:17], s[14:15], s[16:17]
	s_mov_b64 exec, s[16:17]
	s_cbranch_execz .LBB58_315
; %bb.314:
	v_mov_b32_e32 v23, 0
	ds_read_b64 v[23:24], v23 offset:8320
	s_waitcnt lgkmcnt(0)
	v_mul_f32_e32 v26, v21, v24
	v_mul_f32_e32 v25, v22, v24
	v_fma_f32 v24, v22, v23, -v26
	v_fmac_f32_e32 v25, v21, v23
	v_mov_b32_e32 v22, v24
	v_mov_b32_e32 v21, v25
	ds_write_b64 v18, v[24:25]
.LBB58_315:
	s_or_b64 exec, exec, s[14:15]
	v_cmp_ne_u32_e64 s[14:15], 0, v17
	s_waitcnt lgkmcnt(0)
	s_barrier
	s_and_b64 s[16:17], s[14:15], s[20:21]
	s_mov_b64 s[14:15], exec
	v_writelane_b32 v34, s16, 5
	v_writelane_b32 v34, s17, 6
	s_and_b64 s[16:17], s[14:15], s[16:17]
	s_mov_b64 exec, s[16:17]
	s_cbranch_execz .LBB58_317
; %bb.316:
	v_lshlrev_b32_e32 v23, 3, v17
	ds_read_b64 v[23:24], v23 offset:8320
	ds_read_b64 v[25:26], v18
	s_waitcnt lgkmcnt(0)
	v_mul_f32_e32 v27, v26, v24
	v_mul_f32_e32 v24, v25, v24
	v_fma_f32 v25, v25, v23, -v27
	v_fmac_f32_e32 v24, v26, v23
	v_add_f32_e32 v22, v22, v25
	v_add_f32_e32 v21, v21, v24
.LBB58_317:
	s_or_b64 exec, exec, s[14:15]
	v_cmp_eq_u32_e64 s[14:15], 1, v17
	s_barrier
	s_and_b64 s[16:17], s[14:15], s[20:21]
	s_mov_b64 s[14:15], exec
	v_writelane_b32 v34, s16, 7
	v_writelane_b32 v34, s17, 8
	s_and_b64 s[16:17], s[14:15], s[16:17]
	s_mov_b64 exec, s[16:17]
	s_cbranch_execz .LBB58_319
; %bb.318:
	v_mov_b32_e32 v23, 0
	ds_read_b64 v[23:24], v23 offset:8840
	s_waitcnt lgkmcnt(0)
	v_mul_f32_e32 v26, v21, v24
	v_mul_f32_e32 v25, v22, v24
	v_fma_f32 v24, v22, v23, -v26
	v_fmac_f32_e32 v25, v21, v23
	v_mov_b32_e32 v22, v24
	v_mov_b32_e32 v21, v25
	ds_write_b64 v18, v[24:25]
.LBB58_319:
	s_or_b64 exec, exec, s[14:15]
	v_cmp_lt_u32_e64 s[14:15], 1, v17
	s_waitcnt lgkmcnt(0)
	s_barrier
	s_and_b64 s[16:17], s[14:15], s[20:21]
	s_mov_b64 s[14:15], exec
	v_writelane_b32 v34, s16, 9
	v_writelane_b32 v34, s17, 10
	s_and_b64 s[16:17], s[14:15], s[16:17]
	s_mov_b64 exec, s[16:17]
	s_cbranch_execz .LBB58_321
; %bb.320:
	v_lshlrev_b32_e32 v23, 3, v17
	ds_read_b64 v[23:24], v23 offset:8832
	ds_read_b64 v[25:26], v18
	s_waitcnt lgkmcnt(0)
	v_mul_f32_e32 v27, v26, v24
	v_mul_f32_e32 v24, v25, v24
	v_fma_f32 v25, v25, v23, -v27
	v_fmac_f32_e32 v24, v26, v23
	v_add_f32_e32 v22, v22, v25
	v_add_f32_e32 v21, v21, v24
.LBB58_321:
	s_or_b64 exec, exec, s[14:15]
	v_cmp_eq_u32_e64 s[14:15], 2, v17
	s_barrier
	s_and_b64 s[16:17], s[14:15], s[20:21]
	s_mov_b64 s[14:15], exec
	v_writelane_b32 v34, s16, 11
	v_writelane_b32 v34, s17, 12
	s_and_b64 s[16:17], s[14:15], s[16:17]
	s_mov_b64 exec, s[16:17]
	s_cbranch_execz .LBB58_323
; %bb.322:
	v_mov_b32_e32 v23, 0
	ds_read_b64 v[23:24], v23 offset:9360
	s_waitcnt lgkmcnt(0)
	v_mul_f32_e32 v26, v21, v24
	v_mul_f32_e32 v25, v22, v24
	v_fma_f32 v24, v22, v23, -v26
	v_fmac_f32_e32 v25, v21, v23
	v_mov_b32_e32 v22, v24
	v_mov_b32_e32 v21, v25
	ds_write_b64 v18, v[24:25]
.LBB58_323:
	s_or_b64 exec, exec, s[14:15]
	v_cmp_lt_u32_e64 s[14:15], 2, v17
	;; [unrolled: 45-line block ×12, first 2 shown]
	s_and_b64 s[26:27], s[14:15], s[20:21]
	s_waitcnt lgkmcnt(0)
	s_barrier
	s_and_saveexec_b64 s[14:15], s[26:27]
	s_cbranch_execz .LBB58_365
; %bb.364:
	v_lshlrev_b32_e32 v23, 3, v17
	ds_read_b64 v[23:24], v23 offset:14464
	ds_read_b64 v[25:26], v18
	s_waitcnt lgkmcnt(0)
	v_mul_f32_e32 v27, v26, v24
	v_mul_f32_e32 v24, v25, v24
	v_fma_f32 v25, v25, v23, -v27
	v_fmac_f32_e32 v24, v26, v23
	v_add_f32_e32 v22, v22, v25
	v_add_f32_e32 v21, v21, v24
.LBB58_365:
	s_or_b64 exec, exec, s[14:15]
	v_cmp_eq_u32_e64 s[14:15], 13, v17
	s_and_b64 s[84:85], s[14:15], s[20:21]
	s_barrier
	s_and_saveexec_b64 s[14:15], s[84:85]
	s_cbranch_execz .LBB58_367
; %bb.366:
	v_mov_b32_e32 v23, 0
	ds_read_b64 v[23:24], v23 offset:15080
	s_waitcnt lgkmcnt(0)
	v_mul_f32_e32 v26, v21, v24
	v_mul_f32_e32 v25, v22, v24
	v_fma_f32 v24, v22, v23, -v26
	v_fmac_f32_e32 v25, v21, v23
	v_mov_b32_e32 v22, v24
	v_mov_b32_e32 v21, v25
	ds_write_b64 v18, v[24:25]
.LBB58_367:
	s_or_b64 exec, exec, s[14:15]
	v_cmp_lt_u32_e64 s[14:15], 13, v17
	s_and_b64 s[86:87], s[14:15], s[20:21]
	s_waitcnt lgkmcnt(0)
	s_barrier
	s_and_saveexec_b64 s[14:15], s[86:87]
	s_cbranch_execz .LBB58_369
; %bb.368:
	v_lshlrev_b32_e32 v23, 3, v17
	ds_read_b64 v[23:24], v23 offset:14976
	ds_read_b64 v[25:26], v18
	s_waitcnt lgkmcnt(0)
	v_mul_f32_e32 v27, v26, v24
	v_mul_f32_e32 v24, v25, v24
	v_fma_f32 v25, v25, v23, -v27
	v_fmac_f32_e32 v24, v26, v23
	v_add_f32_e32 v22, v22, v25
	v_add_f32_e32 v21, v21, v24
.LBB58_369:
	s_or_b64 exec, exec, s[14:15]
	v_cmp_eq_u32_e64 s[14:15], 14, v17
	s_and_b64 s[90:91], s[14:15], s[20:21]
	s_barrier
	s_and_saveexec_b64 s[14:15], s[90:91]
	s_cbranch_execz .LBB58_371
; %bb.370:
	v_mov_b32_e32 v23, 0
	ds_read_b64 v[23:24], v23 offset:15600
	s_waitcnt lgkmcnt(0)
	v_mul_f32_e32 v26, v21, v24
	v_mul_f32_e32 v25, v22, v24
	v_fma_f32 v24, v22, v23, -v26
	v_fmac_f32_e32 v25, v21, v23
	v_mov_b32_e32 v22, v24
	v_mov_b32_e32 v21, v25
	ds_write_b64 v18, v[24:25]
.LBB58_371:
	s_or_b64 exec, exec, s[14:15]
	v_cmp_eq_u32_e64 s[14:15], 15, v17
	s_and_b64 s[88:89], s[14:15], s[20:21]
	s_waitcnt lgkmcnt(0)
	s_barrier
	s_and_saveexec_b64 s[14:15], s[88:89]
	s_cbranch_execz .LBB58_373
; %bb.372:
	v_mov_b32_e32 v23, 0
	ds_read_b64 v[23:24], v23 offset:15608
	ds_read_b64 v[25:26], v18
	s_waitcnt lgkmcnt(0)
	v_mul_f32_e32 v27, v26, v24
	v_mul_f32_e32 v24, v25, v24
	v_fma_f32 v25, v25, v23, -v27
	v_fmac_f32_e32 v24, v26, v23
	v_add_f32_e32 v22, v22, v25
	v_add_f32_e32 v21, v21, v24
.LBB58_373:
	s_or_b64 exec, exec, s[14:15]
	s_barrier
	s_and_saveexec_b64 s[14:15], s[88:89]
	s_cbranch_execz .LBB58_375
; %bb.374:
	v_mov_b32_e32 v23, 0
	ds_read_b64 v[23:24], v23 offset:16120
	s_waitcnt lgkmcnt(0)
	v_mul_f32_e32 v26, v21, v24
	v_mul_f32_e32 v25, v22, v24
	v_fma_f32 v24, v22, v23, -v26
	v_fmac_f32_e32 v25, v21, v23
	v_mov_b32_e32 v22, v24
	v_mov_b32_e32 v21, v25
	ds_write_b64 v18, v[24:25]
.LBB58_375:
	s_or_b64 exec, exec, s[14:15]
	s_waitcnt lgkmcnt(0)
	s_barrier
	s_barrier
	s_and_saveexec_b64 s[14:15], s[12:13]
; %bb.376:
	v_xor_b32_e32 v22, 0x80000000, v22
	v_xor_b32_e32 v23, 0x80000000, v21
	ds_write_b64 v16, v[22:23] offset:128
; %bb.377:
	s_or_b64 exec, exec, s[14:15]
	s_waitcnt lgkmcnt(0)
	s_barrier
	s_barrier
	s_and_saveexec_b64 s[14:15], vcc
	s_cbranch_execz .LBB58_379
; %bb.378:
	v_mov_b32_e32 v27, 0
	ds_read_b128 v[21:24], v27 offset:8320
	ds_read_b64 v[25:26], v27 offset:8840
	s_waitcnt lgkmcnt(0)
	v_mul_f32_e32 v28, v26, v22
	v_mul_f32_e32 v29, v25, v22
	v_fma_f32 v25, v25, v21, -v28
	v_fmac_f32_e32 v29, v26, v21
	v_mul_f32_e32 v21, v29, v24
	v_mul_f32_e32 v22, v25, v24
	v_fma_f32 v21, v25, v23, -v21
	v_fmac_f32_e32 v22, v29, v23
	ds_write_b64 v27, v[21:22] offset:8328
.LBB58_379:
	s_or_b64 exec, exec, s[14:15]
	v_mov_b32_e32 v21, 0
	v_mov_b32_e32 v22, 0
	s_waitcnt lgkmcnt(0)
	s_barrier
	s_and_saveexec_b64 s[16:17], s[6:7]
	s_cbranch_execz .LBB58_383
; %bb.380:
	v_mul_u32_u24_e32 v23, 0x208, v5
	ds_read_b64 v[21:22], v3 offset:8336
	ds_read_b64 v[23:24], v23 offset:8320
	v_cmp_gt_u32_e64 s[14:15], 2, v1
	s_waitcnt lgkmcnt(0)
	v_mul_f32_e32 v25, v24, v22
	v_mul_f32_e32 v22, v23, v22
	v_fma_f32 v23, v23, v21, -v25
	v_fmac_f32_e32 v22, v24, v21
	v_add_f32_e32 v21, 0, v23
	v_add_f32_e32 v23, 0, v22
	s_and_saveexec_b64 s[20:21], s[14:15]
	s_cbranch_execz .LBB58_382
; %bb.381:
	v_lshlrev_b32_e32 v22, 3, v0
	v_mov_b32_e32 v26, 0
	ds_read_b64 v[24:25], v22 offset:8848
	ds_read_b64 v[26:27], v26 offset:8328
	s_waitcnt lgkmcnt(0)
	v_mul_f32_e32 v22, v27, v25
	v_mul_f32_e32 v25, v26, v25
	v_fma_f32 v22, v26, v24, -v22
	v_fmac_f32_e32 v25, v27, v24
	v_add_f32_e32 v21, v21, v22
	v_add_f32_e32 v23, v23, v25
.LBB58_382:
	s_or_b64 exec, exec, s[20:21]
	v_xor_b32_e32 v22, 0x80000000, v21
	v_xor_b32_e32 v21, 0x80000000, v23
.LBB58_383:
	s_or_b64 exec, exec, s[16:17]
	s_and_saveexec_b64 s[14:15], s[34:35]
	s_cbranch_execz .LBB58_385
; %bb.384:
	v_mov_b32_e32 v23, 0
	ds_read_b64 v[23:24], v23 offset:9360
	s_waitcnt lgkmcnt(0)
	v_mul_f32_e32 v26, v21, v24
	v_mul_f32_e32 v25, v22, v24
	v_fma_f32 v24, v22, v23, -v26
	v_fmac_f32_e32 v25, v21, v23
	v_mov_b32_e32 v22, v24
	v_mov_b32_e32 v21, v25
	ds_write_b64 v4, v[24:25]
.LBB58_385:
	s_or_b64 exec, exec, s[14:15]
	s_waitcnt lgkmcnt(0)
	s_barrier
	s_and_saveexec_b64 s[14:15], s[30:31]
	s_cbranch_execz .LBB58_387
; %bb.386:
	v_mov_b32_e32 v23, 0
	ds_read_b64 v[23:24], v23 offset:9368
	ds_read_b64 v[25:26], v4
	s_waitcnt lgkmcnt(0)
	v_mul_f32_e32 v27, v26, v24
	v_mul_f32_e32 v24, v25, v24
	v_fma_f32 v25, v25, v23, -v27
	v_fmac_f32_e32 v24, v26, v23
	v_add_f32_e32 v22, v22, v25
	v_add_f32_e32 v21, v21, v24
.LBB58_387:
	s_or_b64 exec, exec, s[14:15]
	s_barrier
	s_and_saveexec_b64 s[14:15], s[30:31]
	s_cbranch_execz .LBB58_389
; %bb.388:
	v_mov_b32_e32 v23, 0
	ds_read_b64 v[23:24], v23 offset:9880
	s_waitcnt lgkmcnt(0)
	v_mul_f32_e32 v26, v21, v24
	v_mul_f32_e32 v25, v22, v24
	v_fma_f32 v24, v22, v23, -v26
	v_fmac_f32_e32 v25, v21, v23
	v_mov_b32_e32 v22, v24
	v_mov_b32_e32 v21, v25
	ds_write_b64 v4, v[24:25]
.LBB58_389:
	s_or_b64 exec, exec, s[14:15]
	s_waitcnt lgkmcnt(0)
	s_barrier
	s_barrier
	s_and_saveexec_b64 s[14:15], s[6:7]
; %bb.390:
	v_xor_b32_e32 v23, 0x80000000, v21
	v_xor_b32_e32 v22, 0x80000000, v22
	ds_write_b64 v3, v[22:23] offset:8336
; %bb.391:
	s_or_b64 exec, exec, s[14:15]
	s_waitcnt lgkmcnt(0)
	s_barrier
	s_barrier
	s_and_saveexec_b64 s[14:15], vcc
	s_cbranch_execz .LBB58_393
; %bb.392:
	v_mov_b32_e32 v27, 0
	ds_read_b128 v[21:24], v27 offset:9360
	ds_read_b64 v[25:26], v27 offset:9880
	s_waitcnt lgkmcnt(0)
	v_mul_f32_e32 v28, v26, v22
	v_mul_f32_e32 v29, v25, v22
	v_fma_f32 v25, v25, v21, -v28
	v_fmac_f32_e32 v29, v26, v21
	v_mul_f32_e32 v21, v29, v24
	v_mul_f32_e32 v22, v25, v24
	v_fma_f32 v21, v25, v23, -v21
	v_fmac_f32_e32 v22, v29, v23
	ds_write_b64 v27, v[21:22] offset:9368
.LBB58_393:
	s_or_b64 exec, exec, s[14:15]
	v_mov_b32_e32 v21, 0
	v_mov_b32_e32 v22, 0
	s_waitcnt lgkmcnt(0)
	s_barrier
	s_and_saveexec_b64 s[16:17], s[18:19]
	s_cbranch_execz .LBB58_399
; %bb.394:
	v_mul_u32_u24_e32 v22, 0x208, v10
	ds_read_b64 v[23:24], v6 offset:8352
	ds_read_b64 v[25:26], v22 offset:8320
	v_cmp_gt_u32_e64 s[14:15], 12, v1
	s_waitcnt lgkmcnt(0)
	v_mul_f32_e32 v21, v26, v24
	v_mul_f32_e32 v24, v25, v24
	v_fma_f32 v21, v25, v23, -v21
	v_fmac_f32_e32 v24, v26, v23
	v_add_f32_e32 v21, 0, v21
	v_add_f32_e32 v23, 0, v24
	s_and_saveexec_b64 s[20:21], s[14:15]
	s_cbranch_execnz .LBB58_1068
; %bb.395:
	s_or_b64 exec, exec, s[20:21]
	v_cmp_gt_u32_e64 s[14:15], 8, v1
	s_and_saveexec_b64 s[20:21], s[14:15]
	s_cbranch_execnz .LBB58_1069
.LBB58_396:
	s_or_b64 exec, exec, s[20:21]
	v_cmp_gt_u32_e64 s[14:15], 4, v1
	s_and_saveexec_b64 s[20:21], s[14:15]
	s_cbranch_execz .LBB58_398
.LBB58_397:
	v_lshlrev_b32_e32 v22, 3, v0
	v_mov_b32_e32 v26, 0
	ds_read_b64 v[24:25], v22 offset:9888
	ds_read_b64 v[26:27], v26 offset:8344
	s_waitcnt lgkmcnt(0)
	v_mul_f32_e32 v22, v27, v25
	v_mul_f32_e32 v25, v26, v25
	v_fma_f32 v22, v26, v24, -v22
	v_fmac_f32_e32 v25, v27, v24
	v_add_f32_e32 v21, v21, v22
	v_add_f32_e32 v23, v23, v25
.LBB58_398:
	s_or_b64 exec, exec, s[20:21]
	v_xor_b32_e32 v22, 0x80000000, v21
	v_xor_b32_e32 v21, 0x80000000, v23
.LBB58_399:
	s_or_b64 exec, exec, s[16:17]
	s_and_saveexec_b64 s[14:15], s[38:39]
	s_cbranch_execz .LBB58_401
; %bb.400:
	v_mov_b32_e32 v23, 0
	ds_read_b64 v[23:24], v23 offset:10400
	s_waitcnt lgkmcnt(0)
	v_mul_f32_e32 v26, v21, v24
	v_mul_f32_e32 v25, v22, v24
	v_fma_f32 v24, v22, v23, -v26
	v_fmac_f32_e32 v25, v21, v23
	v_mov_b32_e32 v22, v24
	v_mov_b32_e32 v21, v25
	ds_write_b64 v8, v[24:25]
.LBB58_401:
	s_or_b64 exec, exec, s[14:15]
	s_waitcnt lgkmcnt(0)
	s_barrier
	s_and_saveexec_b64 s[14:15], s[42:43]
	s_cbranch_execz .LBB58_403
; %bb.402:
	ds_read_b64 v[23:24], v7 offset:10400
	ds_read_b64 v[25:26], v8
	s_waitcnt lgkmcnt(0)
	v_mul_f32_e32 v27, v26, v24
	v_mul_f32_e32 v24, v25, v24
	v_fma_f32 v25, v25, v23, -v27
	v_fmac_f32_e32 v24, v26, v23
	v_add_f32_e32 v22, v22, v25
	v_add_f32_e32 v21, v21, v24
.LBB58_403:
	s_or_b64 exec, exec, s[14:15]
	s_barrier
	s_and_saveexec_b64 s[14:15], s[44:45]
	s_cbranch_execz .LBB58_405
; %bb.404:
	v_mov_b32_e32 v23, 0
	ds_read_b64 v[23:24], v23 offset:10920
	s_waitcnt lgkmcnt(0)
	v_mul_f32_e32 v26, v21, v24
	v_mul_f32_e32 v25, v22, v24
	v_fma_f32 v24, v22, v23, -v26
	v_fmac_f32_e32 v25, v21, v23
	v_mov_b32_e32 v22, v24
	v_mov_b32_e32 v21, v25
	ds_write_b64 v8, v[24:25]
.LBB58_405:
	s_or_b64 exec, exec, s[14:15]
	s_waitcnt lgkmcnt(0)
	s_barrier
	s_and_saveexec_b64 s[14:15], s[52:53]
	s_cbranch_execz .LBB58_407
; %bb.406:
	ds_read_b64 v[23:24], v7 offset:10912
	ds_read_b64 v[25:26], v8
	s_waitcnt lgkmcnt(0)
	v_mul_f32_e32 v27, v26, v24
	v_mul_f32_e32 v24, v25, v24
	v_fma_f32 v25, v25, v23, -v27
	v_fmac_f32_e32 v24, v26, v23
	v_add_f32_e32 v22, v22, v25
	v_add_f32_e32 v21, v21, v24
.LBB58_407:
	s_or_b64 exec, exec, s[14:15]
	s_barrier
	s_and_saveexec_b64 s[14:15], s[54:55]
	s_cbranch_execz .LBB58_409
; %bb.408:
	v_mov_b32_e32 v23, 0
	ds_read_b64 v[23:24], v23 offset:11440
	s_waitcnt lgkmcnt(0)
	v_mul_f32_e32 v26, v21, v24
	v_mul_f32_e32 v25, v22, v24
	v_fma_f32 v24, v22, v23, -v26
	v_fmac_f32_e32 v25, v21, v23
	v_mov_b32_e32 v22, v24
	v_mov_b32_e32 v21, v25
	ds_write_b64 v8, v[24:25]
.LBB58_409:
	s_or_b64 exec, exec, s[14:15]
	s_waitcnt lgkmcnt(0)
	s_barrier
	s_and_saveexec_b64 s[14:15], s[36:37]
	s_cbranch_execz .LBB58_411
; %bb.410:
	v_mov_b32_e32 v23, 0
	ds_read_b64 v[23:24], v23 offset:11448
	ds_read_b64 v[25:26], v8
	s_waitcnt lgkmcnt(0)
	v_mul_f32_e32 v27, v26, v24
	v_mul_f32_e32 v24, v25, v24
	v_fma_f32 v25, v25, v23, -v27
	v_fmac_f32_e32 v24, v26, v23
	v_add_f32_e32 v22, v22, v25
	v_add_f32_e32 v21, v21, v24
.LBB58_411:
	s_or_b64 exec, exec, s[14:15]
	s_barrier
	s_and_saveexec_b64 s[14:15], s[36:37]
	s_cbranch_execz .LBB58_413
; %bb.412:
	v_mov_b32_e32 v23, 0
	ds_read_b64 v[23:24], v23 offset:11960
	s_waitcnt lgkmcnt(0)
	v_mul_f32_e32 v26, v21, v24
	v_mul_f32_e32 v25, v22, v24
	v_fma_f32 v24, v22, v23, -v26
	v_fmac_f32_e32 v25, v21, v23
	v_mov_b32_e32 v22, v24
	v_mov_b32_e32 v21, v25
	ds_write_b64 v8, v[24:25]
.LBB58_413:
	s_or_b64 exec, exec, s[14:15]
	s_waitcnt lgkmcnt(0)
	s_barrier
	s_barrier
	s_and_saveexec_b64 s[14:15], s[18:19]
; %bb.414:
	v_xor_b32_e32 v22, 0x80000000, v22
	v_xor_b32_e32 v23, 0x80000000, v21
	ds_write_b64 v6, v[22:23] offset:8352
; %bb.415:
	s_or_b64 exec, exec, s[14:15]
	s_waitcnt lgkmcnt(0)
	s_barrier
	s_barrier
	s_and_saveexec_b64 s[14:15], vcc
	s_cbranch_execz .LBB58_417
; %bb.416:
	v_mov_b32_e32 v27, 0
	ds_read_b128 v[21:24], v27 offset:10400
	ds_read_b64 v[25:26], v27 offset:10920
	s_waitcnt lgkmcnt(0)
	v_mul_f32_e32 v28, v26, v22
	v_mul_f32_e32 v29, v25, v22
	v_fma_f32 v25, v25, v21, -v28
	v_fmac_f32_e32 v29, v26, v21
	v_mul_f32_e32 v21, v29, v24
	v_mul_f32_e32 v22, v25, v24
	v_fma_f32 v21, v25, v23, -v21
	v_fmac_f32_e32 v22, v29, v23
	ds_write_b64 v27, v[21:22] offset:10408
.LBB58_417:
	s_or_b64 exec, exec, s[14:15]
	v_mov_b32_e32 v21, 0
	v_mov_b32_e32 v22, 0
	s_waitcnt lgkmcnt(0)
	s_barrier
	s_and_saveexec_b64 s[16:17], s[6:7]
	s_cbranch_execz .LBB58_421
; %bb.418:
	v_mul_u32_u24_e32 v23, 0x208, v5
	ds_read_b64 v[21:22], v3 offset:10416
	ds_read_b64 v[23:24], v23 offset:10400
	v_cmp_gt_u32_e64 s[14:15], 2, v1
	s_waitcnt lgkmcnt(0)
	v_mul_f32_e32 v25, v24, v22
	v_mul_f32_e32 v22, v23, v22
	v_fma_f32 v23, v23, v21, -v25
	v_fmac_f32_e32 v22, v24, v21
	v_add_f32_e32 v21, 0, v23
	v_add_f32_e32 v23, 0, v22
	s_and_saveexec_b64 s[20:21], s[14:15]
	s_cbranch_execz .LBB58_420
; %bb.419:
	v_lshlrev_b32_e32 v22, 3, v0
	v_mov_b32_e32 v26, 0
	ds_read_b64 v[24:25], v22 offset:10928
	ds_read_b64 v[26:27], v26 offset:10408
	s_waitcnt lgkmcnt(0)
	v_mul_f32_e32 v22, v27, v25
	v_mul_f32_e32 v25, v26, v25
	v_fma_f32 v22, v26, v24, -v22
	v_fmac_f32_e32 v25, v27, v24
	v_add_f32_e32 v21, v21, v22
	v_add_f32_e32 v23, v23, v25
.LBB58_420:
	s_or_b64 exec, exec, s[20:21]
	v_xor_b32_e32 v22, 0x80000000, v21
	v_xor_b32_e32 v21, 0x80000000, v23
.LBB58_421:
	s_or_b64 exec, exec, s[16:17]
	s_and_saveexec_b64 s[14:15], s[34:35]
	s_cbranch_execz .LBB58_423
; %bb.422:
	v_mov_b32_e32 v23, 0
	ds_read_b64 v[23:24], v23 offset:11440
	s_waitcnt lgkmcnt(0)
	v_mul_f32_e32 v26, v21, v24
	v_mul_f32_e32 v25, v22, v24
	v_fma_f32 v24, v22, v23, -v26
	v_fmac_f32_e32 v25, v21, v23
	v_mov_b32_e32 v22, v24
	v_mov_b32_e32 v21, v25
	ds_write_b64 v4, v[24:25]
.LBB58_423:
	s_or_b64 exec, exec, s[14:15]
	s_waitcnt lgkmcnt(0)
	s_barrier
	s_and_saveexec_b64 s[14:15], s[30:31]
	s_cbranch_execz .LBB58_425
; %bb.424:
	v_mov_b32_e32 v23, 0
	ds_read_b64 v[23:24], v23 offset:11448
	ds_read_b64 v[25:26], v4
	s_waitcnt lgkmcnt(0)
	v_mul_f32_e32 v27, v26, v24
	v_mul_f32_e32 v24, v25, v24
	v_fma_f32 v25, v25, v23, -v27
	v_fmac_f32_e32 v24, v26, v23
	v_add_f32_e32 v22, v22, v25
	v_add_f32_e32 v21, v21, v24
.LBB58_425:
	s_or_b64 exec, exec, s[14:15]
	s_barrier
	s_and_saveexec_b64 s[14:15], s[30:31]
	s_cbranch_execz .LBB58_427
; %bb.426:
	v_mov_b32_e32 v23, 0
	ds_read_b64 v[23:24], v23 offset:11960
	s_waitcnt lgkmcnt(0)
	v_mul_f32_e32 v26, v21, v24
	v_mul_f32_e32 v25, v22, v24
	v_fma_f32 v24, v22, v23, -v26
	v_fmac_f32_e32 v25, v21, v23
	v_mov_b32_e32 v22, v24
	v_mov_b32_e32 v21, v25
	ds_write_b64 v4, v[24:25]
.LBB58_427:
	s_or_b64 exec, exec, s[14:15]
	s_waitcnt lgkmcnt(0)
	s_barrier
	s_barrier
	s_and_saveexec_b64 s[14:15], s[6:7]
; %bb.428:
	v_xor_b32_e32 v23, 0x80000000, v21
	v_xor_b32_e32 v22, 0x80000000, v22
	ds_write_b64 v3, v[22:23] offset:10416
; %bb.429:
	s_or_b64 exec, exec, s[14:15]
	s_waitcnt lgkmcnt(0)
	s_barrier
	s_barrier
	s_and_saveexec_b64 s[14:15], vcc
	s_cbranch_execz .LBB58_431
; %bb.430:
	v_mov_b32_e32 v27, 0
	ds_read_b128 v[21:24], v27 offset:11440
	ds_read_b64 v[25:26], v27 offset:11960
	s_waitcnt lgkmcnt(0)
	v_mul_f32_e32 v28, v26, v22
	v_mul_f32_e32 v29, v25, v22
	v_fma_f32 v25, v25, v21, -v28
	v_fmac_f32_e32 v29, v26, v21
	v_mul_f32_e32 v21, v29, v24
	v_mul_f32_e32 v22, v25, v24
	v_fma_f32 v21, v25, v23, -v21
	v_fmac_f32_e32 v22, v29, v23
	ds_write_b64 v27, v[21:22] offset:11448
.LBB58_431:
	s_or_b64 exec, exec, s[14:15]
	v_mov_b32_e32 v21, 0
	v_mov_b32_e32 v22, 0
	s_waitcnt lgkmcnt(0)
	s_barrier
	s_and_saveexec_b64 s[16:17], s[10:11]
	s_cbranch_execz .LBB58_441
; %bb.432:
	v_mul_u32_u24_e32 v22, 0x208, v15
	ds_read_b64 v[23:24], v11 offset:8384
	ds_read_b64 v[25:26], v22 offset:8320
	v_cmp_gt_u32_e64 s[14:15], 56, v1
	s_waitcnt lgkmcnt(0)
	v_mul_f32_e32 v21, v26, v24
	v_mul_f32_e32 v24, v25, v24
	v_fma_f32 v21, v25, v23, -v21
	v_fmac_f32_e32 v24, v26, v23
	v_add_f32_e32 v21, 0, v21
	v_add_f32_e32 v23, 0, v24
	s_and_saveexec_b64 s[20:21], s[14:15]
	s_cbranch_execnz .LBB58_1070
; %bb.433:
	s_or_b64 exec, exec, s[20:21]
	v_cmp_gt_u32_e64 s[14:15], 48, v1
	s_and_saveexec_b64 s[20:21], s[14:15]
	s_cbranch_execnz .LBB58_1071
.LBB58_434:
	s_or_b64 exec, exec, s[20:21]
	v_cmp_gt_u32_e64 s[14:15], 40, v1
	s_and_saveexec_b64 s[20:21], s[14:15]
	s_cbranch_execnz .LBB58_1072
.LBB58_435:
	s_or_b64 exec, exec, s[20:21]
	v_cmp_gt_u32_e64 s[14:15], 32, v1
	s_and_saveexec_b64 s[20:21], s[14:15]
	s_cbranch_execnz .LBB58_1073
.LBB58_436:
	s_or_b64 exec, exec, s[20:21]
	v_cmp_gt_u32_e64 s[14:15], 24, v1
	s_and_saveexec_b64 s[20:21], s[14:15]
	s_cbranch_execnz .LBB58_1074
.LBB58_437:
	s_or_b64 exec, exec, s[20:21]
	v_cmp_gt_u32_e64 s[14:15], 16, v1
	s_and_saveexec_b64 s[20:21], s[14:15]
	s_cbranch_execnz .LBB58_1075
.LBB58_438:
	s_or_b64 exec, exec, s[20:21]
	v_cmp_gt_u32_e64 s[14:15], 8, v1
	s_and_saveexec_b64 s[20:21], s[14:15]
	s_cbranch_execz .LBB58_440
.LBB58_439:
	v_lshlrev_b32_e32 v22, 3, v0
	v_mov_b32_e32 v26, 0
	ds_read_b64 v[24:25], v22 offset:11968
	ds_read_b64 v[26:27], v26 offset:8376
	s_waitcnt lgkmcnt(0)
	v_mul_f32_e32 v22, v27, v25
	v_mul_f32_e32 v25, v26, v25
	v_fma_f32 v22, v26, v24, -v22
	v_fmac_f32_e32 v25, v27, v24
	v_add_f32_e32 v21, v21, v22
	v_add_f32_e32 v23, v23, v25
.LBB58_440:
	s_or_b64 exec, exec, s[20:21]
	v_xor_b32_e32 v22, 0x80000000, v21
	v_xor_b32_e32 v21, 0x80000000, v23
.LBB58_441:
	s_or_b64 exec, exec, s[16:17]
	s_and_saveexec_b64 s[14:15], s[58:59]
	s_cbranch_execz .LBB58_443
; %bb.442:
	v_mov_b32_e32 v23, 0
	ds_read_b64 v[23:24], v23 offset:12480
	s_waitcnt lgkmcnt(0)
	v_mul_f32_e32 v26, v21, v24
	v_mul_f32_e32 v25, v22, v24
	v_fma_f32 v24, v22, v23, -v26
	v_fmac_f32_e32 v25, v21, v23
	v_mov_b32_e32 v22, v24
	v_mov_b32_e32 v21, v25
	ds_write_b64 v13, v[24:25]
.LBB58_443:
	s_or_b64 exec, exec, s[14:15]
	s_waitcnt lgkmcnt(0)
	s_barrier
	s_and_saveexec_b64 s[14:15], s[60:61]
	s_cbranch_execz .LBB58_445
; %bb.444:
	ds_read_b64 v[23:24], v12 offset:12480
	ds_read_b64 v[25:26], v13
	s_waitcnt lgkmcnt(0)
	v_mul_f32_e32 v27, v26, v24
	v_mul_f32_e32 v24, v25, v24
	v_fma_f32 v25, v25, v23, -v27
	v_fmac_f32_e32 v24, v26, v23
	v_add_f32_e32 v22, v22, v25
	v_add_f32_e32 v21, v21, v24
.LBB58_445:
	s_or_b64 exec, exec, s[14:15]
	s_barrier
	s_and_saveexec_b64 s[14:15], s[62:63]
	s_cbranch_execz .LBB58_447
; %bb.446:
	v_mov_b32_e32 v23, 0
	ds_read_b64 v[23:24], v23 offset:13000
	s_waitcnt lgkmcnt(0)
	v_mul_f32_e32 v26, v21, v24
	v_mul_f32_e32 v25, v22, v24
	v_fma_f32 v24, v22, v23, -v26
	v_fmac_f32_e32 v25, v21, v23
	v_mov_b32_e32 v22, v24
	v_mov_b32_e32 v21, v25
	ds_write_b64 v13, v[24:25]
.LBB58_447:
	s_or_b64 exec, exec, s[14:15]
	s_waitcnt lgkmcnt(0)
	s_barrier
	s_and_saveexec_b64 s[14:15], s[64:65]
	s_cbranch_execz .LBB58_449
; %bb.448:
	ds_read_b64 v[23:24], v12 offset:12992
	ds_read_b64 v[25:26], v13
	s_waitcnt lgkmcnt(0)
	v_mul_f32_e32 v27, v26, v24
	v_mul_f32_e32 v24, v25, v24
	v_fma_f32 v25, v25, v23, -v27
	v_fmac_f32_e32 v24, v26, v23
	v_add_f32_e32 v22, v22, v25
	v_add_f32_e32 v21, v21, v24
.LBB58_449:
	s_or_b64 exec, exec, s[14:15]
	s_barrier
	;; [unrolled: 32-line block ×6, first 2 shown]
	s_and_saveexec_b64 s[14:15], s[82:83]
	s_cbranch_execz .LBB58_467
; %bb.466:
	v_mov_b32_e32 v23, 0
	ds_read_b64 v[23:24], v23 offset:15600
	s_waitcnt lgkmcnt(0)
	v_mul_f32_e32 v26, v21, v24
	v_mul_f32_e32 v25, v22, v24
	v_fma_f32 v24, v22, v23, -v26
	v_fmac_f32_e32 v25, v21, v23
	v_mov_b32_e32 v22, v24
	v_mov_b32_e32 v21, v25
	ds_write_b64 v13, v[24:25]
.LBB58_467:
	s_or_b64 exec, exec, s[14:15]
	s_waitcnt lgkmcnt(0)
	s_barrier
	s_and_saveexec_b64 s[14:15], s[56:57]
	s_cbranch_execz .LBB58_469
; %bb.468:
	v_mov_b32_e32 v23, 0
	ds_read_b64 v[23:24], v23 offset:15608
	ds_read_b64 v[25:26], v13
	s_waitcnt lgkmcnt(0)
	v_mul_f32_e32 v27, v26, v24
	v_mul_f32_e32 v24, v25, v24
	v_fma_f32 v25, v25, v23, -v27
	v_fmac_f32_e32 v24, v26, v23
	v_add_f32_e32 v22, v22, v25
	v_add_f32_e32 v21, v21, v24
.LBB58_469:
	s_or_b64 exec, exec, s[14:15]
	s_barrier
	s_and_saveexec_b64 s[14:15], s[56:57]
	s_cbranch_execz .LBB58_471
; %bb.470:
	v_mov_b32_e32 v23, 0
	ds_read_b64 v[23:24], v23 offset:16120
	s_waitcnt lgkmcnt(0)
	v_mul_f32_e32 v26, v21, v24
	v_mul_f32_e32 v25, v22, v24
	v_fma_f32 v24, v22, v23, -v26
	v_fmac_f32_e32 v25, v21, v23
	v_mov_b32_e32 v22, v24
	v_mov_b32_e32 v21, v25
	ds_write_b64 v13, v[24:25]
.LBB58_471:
	s_or_b64 exec, exec, s[14:15]
	s_waitcnt lgkmcnt(0)
	s_barrier
	s_barrier
	s_and_saveexec_b64 s[14:15], s[10:11]
; %bb.472:
	v_xor_b32_e32 v23, 0x80000000, v21
	v_xor_b32_e32 v22, 0x80000000, v22
	ds_write_b64 v11, v[22:23] offset:8384
; %bb.473:
	s_or_b64 exec, exec, s[14:15]
	s_waitcnt lgkmcnt(0)
	s_barrier
	s_barrier
	s_and_saveexec_b64 s[14:15], vcc
	s_cbranch_execz .LBB58_475
; %bb.474:
	v_mov_b32_e32 v27, 0
	ds_read_b128 v[21:24], v27 offset:12480
	ds_read_b64 v[25:26], v27 offset:13000
	s_waitcnt lgkmcnt(0)
	v_mul_f32_e32 v28, v26, v22
	v_mul_f32_e32 v29, v25, v22
	v_fma_f32 v25, v25, v21, -v28
	v_fmac_f32_e32 v29, v26, v21
	v_mul_f32_e32 v21, v29, v24
	v_mul_f32_e32 v22, v25, v24
	v_fma_f32 v21, v25, v23, -v21
	v_fmac_f32_e32 v22, v29, v23
	ds_write_b64 v27, v[21:22] offset:12488
.LBB58_475:
	s_or_b64 exec, exec, s[14:15]
	v_mov_b32_e32 v21, 0
	v_mov_b32_e32 v22, 0
	s_waitcnt lgkmcnt(0)
	s_barrier
	s_and_saveexec_b64 s[16:17], s[6:7]
	s_cbranch_execz .LBB58_479
; %bb.476:
	v_mul_u32_u24_e32 v23, 0x208, v5
	ds_read_b64 v[21:22], v3 offset:12496
	ds_read_b64 v[23:24], v23 offset:12480
	v_cmp_gt_u32_e64 s[14:15], 2, v1
	s_waitcnt lgkmcnt(0)
	v_mul_f32_e32 v25, v24, v22
	v_mul_f32_e32 v22, v23, v22
	v_fma_f32 v23, v23, v21, -v25
	v_fmac_f32_e32 v22, v24, v21
	v_add_f32_e32 v21, 0, v23
	v_add_f32_e32 v23, 0, v22
	s_and_saveexec_b64 s[20:21], s[14:15]
	s_cbranch_execz .LBB58_478
; %bb.477:
	v_lshlrev_b32_e32 v22, 3, v0
	v_mov_b32_e32 v26, 0
	ds_read_b64 v[24:25], v22 offset:13008
	ds_read_b64 v[26:27], v26 offset:12488
	s_waitcnt lgkmcnt(0)
	v_mul_f32_e32 v22, v27, v25
	v_mul_f32_e32 v25, v26, v25
	v_fma_f32 v22, v26, v24, -v22
	v_fmac_f32_e32 v25, v27, v24
	v_add_f32_e32 v21, v21, v22
	v_add_f32_e32 v23, v23, v25
.LBB58_478:
	s_or_b64 exec, exec, s[20:21]
	v_xor_b32_e32 v22, 0x80000000, v21
	v_xor_b32_e32 v21, 0x80000000, v23
.LBB58_479:
	s_or_b64 exec, exec, s[16:17]
	s_and_saveexec_b64 s[14:15], s[34:35]
	s_cbranch_execz .LBB58_481
; %bb.480:
	v_mov_b32_e32 v23, 0
	ds_read_b64 v[23:24], v23 offset:13520
	s_waitcnt lgkmcnt(0)
	v_mul_f32_e32 v26, v21, v24
	v_mul_f32_e32 v25, v22, v24
	v_fma_f32 v24, v22, v23, -v26
	v_fmac_f32_e32 v25, v21, v23
	v_mov_b32_e32 v22, v24
	v_mov_b32_e32 v21, v25
	ds_write_b64 v4, v[24:25]
.LBB58_481:
	s_or_b64 exec, exec, s[14:15]
	s_waitcnt lgkmcnt(0)
	s_barrier
	s_and_saveexec_b64 s[14:15], s[30:31]
	s_cbranch_execz .LBB58_483
; %bb.482:
	v_mov_b32_e32 v23, 0
	ds_read_b64 v[23:24], v23 offset:13528
	ds_read_b64 v[25:26], v4
	s_waitcnt lgkmcnt(0)
	v_mul_f32_e32 v27, v26, v24
	v_mul_f32_e32 v24, v25, v24
	v_fma_f32 v25, v25, v23, -v27
	v_fmac_f32_e32 v24, v26, v23
	v_add_f32_e32 v22, v22, v25
	v_add_f32_e32 v21, v21, v24
.LBB58_483:
	s_or_b64 exec, exec, s[14:15]
	s_barrier
	s_and_saveexec_b64 s[14:15], s[30:31]
	s_cbranch_execz .LBB58_485
; %bb.484:
	v_mov_b32_e32 v23, 0
	ds_read_b64 v[23:24], v23 offset:14040
	s_waitcnt lgkmcnt(0)
	v_mul_f32_e32 v26, v21, v24
	v_mul_f32_e32 v25, v22, v24
	v_fma_f32 v24, v22, v23, -v26
	v_fmac_f32_e32 v25, v21, v23
	v_mov_b32_e32 v22, v24
	v_mov_b32_e32 v21, v25
	ds_write_b64 v4, v[24:25]
.LBB58_485:
	s_or_b64 exec, exec, s[14:15]
	s_waitcnt lgkmcnt(0)
	s_barrier
	s_barrier
	s_and_saveexec_b64 s[14:15], s[6:7]
; %bb.486:
	v_xor_b32_e32 v23, 0x80000000, v21
	v_xor_b32_e32 v22, 0x80000000, v22
	ds_write_b64 v3, v[22:23] offset:12496
; %bb.487:
	s_or_b64 exec, exec, s[14:15]
	s_waitcnt lgkmcnt(0)
	s_barrier
	s_barrier
	s_and_saveexec_b64 s[14:15], vcc
	s_cbranch_execz .LBB58_489
; %bb.488:
	v_mov_b32_e32 v27, 0
	ds_read_b128 v[21:24], v27 offset:13520
	ds_read_b64 v[25:26], v27 offset:14040
	s_waitcnt lgkmcnt(0)
	v_mul_f32_e32 v28, v26, v22
	v_mul_f32_e32 v29, v25, v22
	v_fma_f32 v25, v25, v21, -v28
	v_fmac_f32_e32 v29, v26, v21
	v_mul_f32_e32 v21, v29, v24
	v_mul_f32_e32 v22, v25, v24
	v_fma_f32 v21, v25, v23, -v21
	v_fmac_f32_e32 v22, v29, v23
	ds_write_b64 v27, v[21:22] offset:13528
.LBB58_489:
	s_or_b64 exec, exec, s[14:15]
	v_mov_b32_e32 v21, 0
	v_mov_b32_e32 v22, 0
	s_waitcnt lgkmcnt(0)
	s_barrier
	s_and_saveexec_b64 s[16:17], s[18:19]
	s_cbranch_execz .LBB58_495
; %bb.490:
	v_mul_u32_u24_e32 v22, 0x208, v10
	ds_read_b64 v[23:24], v6 offset:12512
	ds_read_b64 v[25:26], v22 offset:12480
	v_cmp_gt_u32_e64 s[14:15], 12, v1
	s_waitcnt lgkmcnt(0)
	v_mul_f32_e32 v21, v26, v24
	v_mul_f32_e32 v24, v25, v24
	v_fma_f32 v21, v25, v23, -v21
	v_fmac_f32_e32 v24, v26, v23
	v_add_f32_e32 v21, 0, v21
	v_add_f32_e32 v23, 0, v24
	s_and_saveexec_b64 s[20:21], s[14:15]
	s_cbranch_execnz .LBB58_1076
; %bb.491:
	s_or_b64 exec, exec, s[20:21]
	v_cmp_gt_u32_e64 s[14:15], 8, v1
	s_and_saveexec_b64 s[20:21], s[14:15]
	s_cbranch_execnz .LBB58_1077
.LBB58_492:
	s_or_b64 exec, exec, s[20:21]
	v_cmp_gt_u32_e64 s[14:15], 4, v1
	s_and_saveexec_b64 s[20:21], s[14:15]
	s_cbranch_execz .LBB58_494
.LBB58_493:
	v_lshlrev_b32_e32 v22, 3, v0
	v_mov_b32_e32 v26, 0
	ds_read_b64 v[24:25], v22 offset:14048
	ds_read_b64 v[26:27], v26 offset:12504
	s_waitcnt lgkmcnt(0)
	v_mul_f32_e32 v22, v27, v25
	v_mul_f32_e32 v25, v26, v25
	v_fma_f32 v22, v26, v24, -v22
	v_fmac_f32_e32 v25, v27, v24
	v_add_f32_e32 v21, v21, v22
	v_add_f32_e32 v23, v23, v25
.LBB58_494:
	s_or_b64 exec, exec, s[20:21]
	v_xor_b32_e32 v22, 0x80000000, v21
	v_xor_b32_e32 v21, 0x80000000, v23
.LBB58_495:
	s_or_b64 exec, exec, s[16:17]
	s_and_saveexec_b64 s[14:15], s[38:39]
	s_cbranch_execz .LBB58_497
; %bb.496:
	v_mov_b32_e32 v23, 0
	ds_read_b64 v[23:24], v23 offset:14560
	s_waitcnt lgkmcnt(0)
	v_mul_f32_e32 v26, v21, v24
	v_mul_f32_e32 v25, v22, v24
	v_fma_f32 v24, v22, v23, -v26
	v_fmac_f32_e32 v25, v21, v23
	v_mov_b32_e32 v22, v24
	v_mov_b32_e32 v21, v25
	ds_write_b64 v8, v[24:25]
.LBB58_497:
	s_or_b64 exec, exec, s[14:15]
	s_waitcnt lgkmcnt(0)
	s_barrier
	s_and_saveexec_b64 s[14:15], s[42:43]
	s_cbranch_execz .LBB58_499
; %bb.498:
	ds_read_b64 v[23:24], v7 offset:14560
	ds_read_b64 v[25:26], v8
	s_waitcnt lgkmcnt(0)
	v_mul_f32_e32 v27, v26, v24
	v_mul_f32_e32 v24, v25, v24
	v_fma_f32 v25, v25, v23, -v27
	v_fmac_f32_e32 v24, v26, v23
	v_add_f32_e32 v22, v22, v25
	v_add_f32_e32 v21, v21, v24
.LBB58_499:
	s_or_b64 exec, exec, s[14:15]
	s_barrier
	s_and_saveexec_b64 s[14:15], s[44:45]
	s_cbranch_execz .LBB58_501
; %bb.500:
	v_mov_b32_e32 v23, 0
	ds_read_b64 v[23:24], v23 offset:15080
	s_waitcnt lgkmcnt(0)
	v_mul_f32_e32 v26, v21, v24
	v_mul_f32_e32 v25, v22, v24
	v_fma_f32 v24, v22, v23, -v26
	v_fmac_f32_e32 v25, v21, v23
	v_mov_b32_e32 v22, v24
	v_mov_b32_e32 v21, v25
	ds_write_b64 v8, v[24:25]
.LBB58_501:
	s_or_b64 exec, exec, s[14:15]
	s_waitcnt lgkmcnt(0)
	s_barrier
	s_and_saveexec_b64 s[14:15], s[52:53]
	s_cbranch_execz .LBB58_503
; %bb.502:
	ds_read_b64 v[23:24], v7 offset:15072
	ds_read_b64 v[25:26], v8
	s_waitcnt lgkmcnt(0)
	v_mul_f32_e32 v27, v26, v24
	v_mul_f32_e32 v24, v25, v24
	v_fma_f32 v25, v25, v23, -v27
	v_fmac_f32_e32 v24, v26, v23
	v_add_f32_e32 v22, v22, v25
	v_add_f32_e32 v21, v21, v24
.LBB58_503:
	s_or_b64 exec, exec, s[14:15]
	s_barrier
	s_and_saveexec_b64 s[14:15], s[54:55]
	s_cbranch_execz .LBB58_505
; %bb.504:
	v_mov_b32_e32 v23, 0
	ds_read_b64 v[23:24], v23 offset:15600
	s_waitcnt lgkmcnt(0)
	v_mul_f32_e32 v26, v21, v24
	v_mul_f32_e32 v25, v22, v24
	v_fma_f32 v24, v22, v23, -v26
	v_fmac_f32_e32 v25, v21, v23
	v_mov_b32_e32 v22, v24
	v_mov_b32_e32 v21, v25
	ds_write_b64 v8, v[24:25]
.LBB58_505:
	s_or_b64 exec, exec, s[14:15]
	s_waitcnt lgkmcnt(0)
	s_barrier
	s_and_saveexec_b64 s[14:15], s[36:37]
	s_cbranch_execz .LBB58_507
; %bb.506:
	v_mov_b32_e32 v23, 0
	ds_read_b64 v[23:24], v23 offset:15608
	ds_read_b64 v[25:26], v8
	s_waitcnt lgkmcnt(0)
	v_mul_f32_e32 v27, v26, v24
	v_mul_f32_e32 v24, v25, v24
	v_fma_f32 v25, v25, v23, -v27
	v_fmac_f32_e32 v24, v26, v23
	v_add_f32_e32 v22, v22, v25
	v_add_f32_e32 v21, v21, v24
.LBB58_507:
	s_or_b64 exec, exec, s[14:15]
	s_barrier
	s_and_saveexec_b64 s[14:15], s[36:37]
	s_cbranch_execz .LBB58_509
; %bb.508:
	v_mov_b32_e32 v23, 0
	ds_read_b64 v[23:24], v23 offset:16120
	s_waitcnt lgkmcnt(0)
	v_mul_f32_e32 v26, v21, v24
	v_mul_f32_e32 v25, v22, v24
	v_fma_f32 v24, v22, v23, -v26
	v_fmac_f32_e32 v25, v21, v23
	v_mov_b32_e32 v22, v24
	v_mov_b32_e32 v21, v25
	ds_write_b64 v8, v[24:25]
.LBB58_509:
	s_or_b64 exec, exec, s[14:15]
	s_waitcnt lgkmcnt(0)
	s_barrier
	s_barrier
	s_and_saveexec_b64 s[14:15], s[18:19]
; %bb.510:
	v_xor_b32_e32 v22, 0x80000000, v22
	v_xor_b32_e32 v23, 0x80000000, v21
	ds_write_b64 v6, v[22:23] offset:12512
; %bb.511:
	s_or_b64 exec, exec, s[14:15]
	s_waitcnt lgkmcnt(0)
	s_barrier
	s_barrier
	s_and_saveexec_b64 s[14:15], vcc
	s_cbranch_execz .LBB58_513
; %bb.512:
	v_mov_b32_e32 v27, 0
	ds_read_b128 v[21:24], v27 offset:14560
	ds_read_b64 v[25:26], v27 offset:15080
	s_waitcnt lgkmcnt(0)
	v_mul_f32_e32 v28, v26, v22
	v_mul_f32_e32 v29, v25, v22
	v_fma_f32 v25, v25, v21, -v28
	v_fmac_f32_e32 v29, v26, v21
	v_mul_f32_e32 v21, v29, v24
	v_mul_f32_e32 v22, v25, v24
	v_fma_f32 v21, v25, v23, -v21
	v_fmac_f32_e32 v22, v29, v23
	ds_write_b64 v27, v[21:22] offset:14568
.LBB58_513:
	s_or_b64 exec, exec, s[14:15]
	v_mov_b32_e32 v21, 0
	v_mov_b32_e32 v22, 0
	s_waitcnt lgkmcnt(0)
	s_barrier
	s_and_saveexec_b64 s[16:17], s[6:7]
	s_cbranch_execz .LBB58_517
; %bb.514:
	v_mul_u32_u24_e32 v23, 0x208, v5
	ds_read_b64 v[21:22], v3 offset:14576
	ds_read_b64 v[23:24], v23 offset:14560
	v_cmp_gt_u32_e64 s[14:15], 2, v1
	s_waitcnt lgkmcnt(0)
	v_mul_f32_e32 v25, v24, v22
	v_mul_f32_e32 v22, v23, v22
	v_fma_f32 v23, v23, v21, -v25
	v_fmac_f32_e32 v22, v24, v21
	v_add_f32_e32 v21, 0, v23
	v_add_f32_e32 v23, 0, v22
	s_and_saveexec_b64 s[20:21], s[14:15]
	s_cbranch_execz .LBB58_516
; %bb.515:
	v_lshlrev_b32_e32 v22, 3, v0
	v_mov_b32_e32 v26, 0
	ds_read_b64 v[24:25], v22 offset:15088
	ds_read_b64 v[26:27], v26 offset:14568
	s_waitcnt lgkmcnt(0)
	v_mul_f32_e32 v22, v27, v25
	v_mul_f32_e32 v25, v26, v25
	v_fma_f32 v22, v26, v24, -v22
	v_fmac_f32_e32 v25, v27, v24
	v_add_f32_e32 v21, v21, v22
	v_add_f32_e32 v23, v23, v25
.LBB58_516:
	s_or_b64 exec, exec, s[20:21]
	v_xor_b32_e32 v22, 0x80000000, v21
	v_xor_b32_e32 v21, 0x80000000, v23
.LBB58_517:
	s_or_b64 exec, exec, s[16:17]
	s_and_saveexec_b64 s[14:15], s[34:35]
	s_cbranch_execz .LBB58_519
; %bb.518:
	v_mov_b32_e32 v23, 0
	ds_read_b64 v[23:24], v23 offset:15600
	s_waitcnt lgkmcnt(0)
	v_mul_f32_e32 v26, v21, v24
	v_mul_f32_e32 v25, v22, v24
	v_fma_f32 v24, v22, v23, -v26
	v_fmac_f32_e32 v25, v21, v23
	v_mov_b32_e32 v22, v24
	v_mov_b32_e32 v21, v25
	ds_write_b64 v4, v[24:25]
.LBB58_519:
	s_or_b64 exec, exec, s[14:15]
	s_waitcnt lgkmcnt(0)
	s_barrier
	s_and_saveexec_b64 s[14:15], s[30:31]
	s_cbranch_execz .LBB58_521
; %bb.520:
	v_mov_b32_e32 v23, 0
	ds_read_b64 v[23:24], v23 offset:15608
	ds_read_b64 v[25:26], v4
	s_waitcnt lgkmcnt(0)
	v_mul_f32_e32 v27, v26, v24
	v_mul_f32_e32 v24, v25, v24
	v_fma_f32 v25, v25, v23, -v27
	v_fmac_f32_e32 v24, v26, v23
	v_add_f32_e32 v22, v22, v25
	v_add_f32_e32 v21, v21, v24
.LBB58_521:
	s_or_b64 exec, exec, s[14:15]
	s_barrier
	s_and_saveexec_b64 s[14:15], s[30:31]
	s_cbranch_execz .LBB58_523
; %bb.522:
	v_mov_b32_e32 v23, 0
	ds_read_b64 v[23:24], v23 offset:16120
	s_waitcnt lgkmcnt(0)
	v_mul_f32_e32 v26, v21, v24
	v_mul_f32_e32 v25, v22, v24
	v_fma_f32 v24, v22, v23, -v26
	v_fmac_f32_e32 v25, v21, v23
	v_mov_b32_e32 v22, v24
	v_mov_b32_e32 v21, v25
	ds_write_b64 v4, v[24:25]
.LBB58_523:
	s_or_b64 exec, exec, s[14:15]
	s_waitcnt lgkmcnt(0)
	s_barrier
	s_barrier
	s_and_saveexec_b64 s[14:15], s[6:7]
; %bb.524:
	v_xor_b32_e32 v23, 0x80000000, v21
	v_xor_b32_e32 v22, 0x80000000, v22
	ds_write_b64 v3, v[22:23] offset:14576
; %bb.525:
	s_or_b64 exec, exec, s[14:15]
	s_waitcnt lgkmcnt(0)
	s_barrier
	s_barrier
	s_and_saveexec_b64 s[14:15], vcc
	s_cbranch_execz .LBB58_527
; %bb.526:
	v_mov_b32_e32 v27, 0
	ds_read_b128 v[21:24], v27 offset:15600
	ds_read_b64 v[25:26], v27 offset:16120
	s_waitcnt lgkmcnt(0)
	v_mul_f32_e32 v28, v26, v22
	v_mul_f32_e32 v29, v25, v22
	v_fma_f32 v25, v25, v21, -v28
	v_fmac_f32_e32 v29, v26, v21
	v_mul_f32_e32 v21, v29, v24
	v_mul_f32_e32 v22, v25, v24
	v_fma_f32 v21, v25, v23, -v21
	v_fmac_f32_e32 v22, v29, v23
	ds_write_b64 v27, v[21:22] offset:15608
.LBB58_527:
	s_or_b64 exec, exec, s[14:15]
	s_movk_i32 s14, 0x3ff
	v_lshrrev_b32_e32 v23, 5, v1
	v_cmp_lt_u32_e64 s[16:17], s14, v1
	s_movk_i32 s14, 0x400
	v_and_b32_e32 v21, 31, v0
	v_cmp_gt_u32_e64 s[14:15], s14, v1
	v_lshlrev_b32_e32 v22, 9, v23
	v_mov_b32_e32 v24, 0
	v_mov_b32_e32 v26, 0
	s_waitcnt lgkmcnt(0)
	s_barrier
	s_and_saveexec_b64 s[92:93], s[14:15]
	s_cbranch_execz .LBB58_589
; %bb.528:
	v_lshlrev_b32_e32 v26, 3, v21
	v_add_u32_e32 v28, v26, v22
	v_mul_u32_u24_e32 v27, 0x208, v23
	ds_read_b64 v[24:25], v28 offset:256
	ds_read_b64 v[29:30], v27
	s_movk_i32 s20, 0x3e0
	v_cmp_gt_u32_e64 s[20:21], s20, v1
	s_waitcnt lgkmcnt(0)
	v_mul_f32_e32 v31, v30, v25
	v_mul_f32_e32 v25, v29, v25
	v_fma_f32 v29, v29, v24, -v31
	v_fmac_f32_e32 v25, v30, v24
	v_add_f32_e32 v24, 0, v29
	v_add_f32_e32 v25, 0, v25
	s_and_saveexec_b64 s[94:95], s[20:21]
	s_cbranch_execz .LBB58_530
; %bb.529:
	ds_read_b64 v[29:30], v28 offset:768
	ds_read_b64 v[31:32], v27 offset:8
	s_waitcnt lgkmcnt(0)
	v_mul_f32_e32 v33, v32, v30
	v_mul_f32_e32 v30, v31, v30
	v_fma_f32 v31, v31, v29, -v33
	v_fmac_f32_e32 v30, v32, v29
	v_add_f32_e32 v24, v24, v31
	v_add_f32_e32 v25, v25, v30
.LBB58_530:
	s_or_b64 exec, exec, s[94:95]
	s_movk_i32 s20, 0x3c0
	v_cmp_gt_u32_e64 s[20:21], s20, v1
	s_and_saveexec_b64 s[94:95], s[20:21]
	s_cbranch_execz .LBB58_532
; %bb.531:
	ds_read_b64 v[29:30], v28 offset:1280
	ds_read_b64 v[31:32], v27 offset:16
	s_waitcnt lgkmcnt(0)
	v_mul_f32_e32 v33, v32, v30
	v_mul_f32_e32 v30, v31, v30
	v_fma_f32 v31, v31, v29, -v33
	v_fmac_f32_e32 v30, v32, v29
	v_add_f32_e32 v24, v24, v31
	v_add_f32_e32 v25, v25, v30
.LBB58_532:
	s_or_b64 exec, exec, s[94:95]
	s_movk_i32 s20, 0x3a0
	v_cmp_gt_u32_e64 s[20:21], s20, v1
	;; [unrolled: 16-line block ×28, first 2 shown]
	s_and_saveexec_b64 s[94:95], s[20:21]
	s_cbranch_execnz .LBB58_1078
; %bb.585:
	s_or_b64 exec, exec, s[94:95]
	v_cmp_gt_u32_e64 s[20:21], 64, v1
	s_and_saveexec_b64 s[94:95], s[20:21]
	s_cbranch_execnz .LBB58_1079
.LBB58_586:
	s_or_b64 exec, exec, s[94:95]
	v_cmp_gt_u32_e64 s[20:21], 32, v1
	s_and_saveexec_b64 s[94:95], s[20:21]
	s_cbranch_execz .LBB58_588
.LBB58_587:
	ds_read_b64 v[28:29], v26 offset:16128
	ds_read_b64 v[26:27], v27 offset:248
	s_waitcnt lgkmcnt(0)
	v_mul_f32_e32 v30, v27, v29
	v_mul_f32_e32 v29, v26, v29
	v_fma_f32 v26, v26, v28, -v30
	v_fmac_f32_e32 v29, v27, v28
	v_add_f32_e32 v24, v24, v26
	v_add_f32_e32 v25, v25, v29
.LBB58_588:
	s_or_b64 exec, exec, s[94:95]
	v_xor_b32_e32 v26, 0x80000000, v24
	v_xor_b32_e32 v24, 0x80000000, v25
.LBB58_589:
	s_or_b64 exec, exec, s[92:93]
	v_mov_b32_e32 v25, 0x8000
	v_lshl_or_b32 v23, v23, 3, v25
	v_mul_u32_u24_e32 v25, 0x208, v21
	v_lshlrev_b32_e32 v27, 9, v21
	v_sub_u32_e32 v27, v25, v27
	v_add_u32_e32 v27, 0x4100, v27
	s_mov_b32 s92, 0
	s_xor_b64 s[20:21], s[16:17], -1
	v_mov_b32_e32 v28, v21
	s_branch .LBB58_591
.LBB58_590:                             ;   in Loop: Header=BB58_591 Depth=1
	s_or_b64 exec, exec, s[16:17]
	s_add_i32 s92, s92, 2
	v_add_u32_e32 v27, 0x400, v27
	s_cmp_eq_u32 s92, 32
	v_add_u32_e32 v28, -2, v28
	s_barrier
	s_cbranch_scc1 .LBB58_599
.LBB58_591:                             ; =>This Inner Loop Header: Depth=1
	v_cmp_eq_u32_e64 s[16:17], 0, v28
	s_and_b64 s[94:95], s[20:21], s[16:17]
	s_and_saveexec_b64 s[16:17], s[94:95]
	s_cbranch_execz .LBB58_593
; %bb.592:                              ;   in Loop: Header=BB58_591 Depth=1
	ds_read_b64 v[29:30], v25 offset:16640
	s_waitcnt lgkmcnt(0)
	v_mul_f32_e32 v32, v24, v30
	v_mul_f32_e32 v31, v26, v30
	v_fma_f32 v30, v26, v29, -v32
	v_fmac_f32_e32 v31, v24, v29
	v_mov_b32_e32 v26, v30
	v_mov_b32_e32 v24, v31
	ds_write_b64 v23, v[30:31]
.LBB58_593:                             ;   in Loop: Header=BB58_591 Depth=1
	s_or_b64 exec, exec, s[16:17]
	v_cmp_lt_u32_e64 s[16:17], s92, v21
	s_and_b64 s[94:95], s[20:21], s[16:17]
	s_waitcnt lgkmcnt(0)
	s_barrier
	s_and_saveexec_b64 s[16:17], s[94:95]
	s_cbranch_execz .LBB58_595
; %bb.594:                              ;   in Loop: Header=BB58_591 Depth=1
	ds_read_b64 v[29:30], v27
	ds_read_b64 v[31:32], v23
	s_waitcnt lgkmcnt(0)
	v_mul_f32_e32 v33, v32, v30
	v_mul_f32_e32 v30, v31, v30
	v_fma_f32 v31, v31, v29, -v33
	v_fmac_f32_e32 v30, v32, v29
	v_add_f32_e32 v26, v26, v31
	v_add_f32_e32 v24, v24, v30
.LBB58_595:                             ;   in Loop: Header=BB58_591 Depth=1
	s_or_b64 exec, exec, s[16:17]
	s_or_b32 s93, s92, 1
	v_cmp_eq_u32_e64 s[16:17], s93, v21
	s_and_b64 s[94:95], s[20:21], s[16:17]
	s_barrier
	s_and_saveexec_b64 s[16:17], s[94:95]
	s_cbranch_execz .LBB58_597
; %bb.596:                              ;   in Loop: Header=BB58_591 Depth=1
	ds_read_b64 v[29:30], v25 offset:16640
	s_waitcnt lgkmcnt(0)
	v_mul_f32_e32 v32, v24, v30
	v_mul_f32_e32 v31, v26, v30
	v_fma_f32 v30, v26, v29, -v32
	v_fmac_f32_e32 v31, v24, v29
	v_mov_b32_e32 v26, v30
	v_mov_b32_e32 v24, v31
	ds_write_b64 v23, v[30:31]
.LBB58_597:                             ;   in Loop: Header=BB58_591 Depth=1
	s_or_b64 exec, exec, s[16:17]
	v_cmp_lt_u32_e64 s[16:17], s93, v21
	s_and_b64 s[94:95], s[20:21], s[16:17]
	s_waitcnt lgkmcnt(0)
	s_barrier
	s_and_saveexec_b64 s[16:17], s[94:95]
	s_cbranch_execz .LBB58_590
; %bb.598:                              ;   in Loop: Header=BB58_591 Depth=1
	ds_read_b64 v[29:30], v27 offset:512
	ds_read_b64 v[31:32], v23
	s_waitcnt lgkmcnt(0)
	v_mul_f32_e32 v33, v32, v30
	v_mul_f32_e32 v30, v31, v30
	v_fma_f32 v31, v31, v29, -v33
	v_fmac_f32_e32 v30, v32, v29
	v_add_f32_e32 v26, v26, v31
	v_add_f32_e32 v24, v24, v30
	s_branch .LBB58_590
.LBB58_599:
	s_and_saveexec_b64 s[16:17], s[14:15]
; %bb.600:
	v_lshl_add_u32 v23, v21, 3, v22
	v_xor_b32_e32 v22, 0x80000000, v24
	v_xor_b32_e32 v21, 0x80000000, v26
	ds_write_b64 v23, v[21:22] offset:256
; %bb.601:
	s_or_b64 exec, exec, s[16:17]
	s_waitcnt lgkmcnt(0)
	s_barrier
	s_barrier
	s_and_saveexec_b64 s[14:15], vcc
	s_cbranch_execz .LBB58_603
; %bb.602:
	v_mov_b32_e32 v27, 0
	ds_read_b128 v[21:24], v27 offset:16640
	ds_read_b64 v[25:26], v27 offset:17160
	s_waitcnt lgkmcnt(0)
	v_mul_f32_e32 v28, v26, v22
	v_mul_f32_e32 v29, v25, v22
	v_fma_f32 v25, v25, v21, -v28
	v_fmac_f32_e32 v29, v26, v21
	v_mul_f32_e32 v21, v29, v24
	v_mul_f32_e32 v22, v25, v24
	v_fma_f32 v21, v25, v23, -v21
	v_fmac_f32_e32 v22, v29, v23
	ds_write_b64 v27, v[21:22] offset:16648
.LBB58_603:
	s_or_b64 exec, exec, s[14:15]
	v_mov_b32_e32 v21, 0
	v_mov_b32_e32 v22, 0
	s_waitcnt lgkmcnt(0)
	s_barrier
	s_and_saveexec_b64 s[16:17], s[6:7]
	s_cbranch_execz .LBB58_607
; %bb.604:
	v_mul_u32_u24_e32 v23, 0x208, v5
	ds_read_b64 v[21:22], v3 offset:16656
	ds_read_b64 v[23:24], v23 offset:16640
	v_cmp_gt_u32_e64 s[14:15], 2, v1
	s_waitcnt lgkmcnt(0)
	v_mul_f32_e32 v25, v24, v22
	v_mul_f32_e32 v22, v23, v22
	v_fma_f32 v23, v23, v21, -v25
	v_fmac_f32_e32 v22, v24, v21
	v_add_f32_e32 v21, 0, v23
	v_add_f32_e32 v23, 0, v22
	s_and_saveexec_b64 s[20:21], s[14:15]
	s_cbranch_execz .LBB58_606
; %bb.605:
	v_lshlrev_b32_e32 v22, 3, v0
	v_mov_b32_e32 v26, 0
	ds_read_b64 v[24:25], v22 offset:17168
	ds_read_b64 v[26:27], v26 offset:16648
	s_waitcnt lgkmcnt(0)
	v_mul_f32_e32 v22, v27, v25
	v_mul_f32_e32 v25, v26, v25
	v_fma_f32 v22, v26, v24, -v22
	v_fmac_f32_e32 v25, v27, v24
	v_add_f32_e32 v21, v21, v22
	v_add_f32_e32 v23, v23, v25
.LBB58_606:
	s_or_b64 exec, exec, s[20:21]
	v_xor_b32_e32 v22, 0x80000000, v21
	v_xor_b32_e32 v21, 0x80000000, v23
.LBB58_607:
	s_or_b64 exec, exec, s[16:17]
	s_and_saveexec_b64 s[14:15], s[34:35]
	s_cbranch_execz .LBB58_609
; %bb.608:
	v_mov_b32_e32 v23, 0
	ds_read_b64 v[23:24], v23 offset:17680
	s_waitcnt lgkmcnt(0)
	v_mul_f32_e32 v26, v21, v24
	v_mul_f32_e32 v25, v22, v24
	v_fma_f32 v24, v22, v23, -v26
	v_fmac_f32_e32 v25, v21, v23
	v_mov_b32_e32 v22, v24
	v_mov_b32_e32 v21, v25
	ds_write_b64 v4, v[24:25]
.LBB58_609:
	s_or_b64 exec, exec, s[14:15]
	s_waitcnt lgkmcnt(0)
	s_barrier
	s_and_saveexec_b64 s[14:15], s[30:31]
	s_cbranch_execz .LBB58_611
; %bb.610:
	v_mov_b32_e32 v23, 0
	ds_read_b64 v[23:24], v23 offset:17688
	ds_read_b64 v[25:26], v4
	s_waitcnt lgkmcnt(0)
	v_mul_f32_e32 v27, v26, v24
	v_mul_f32_e32 v24, v25, v24
	v_fma_f32 v25, v25, v23, -v27
	v_fmac_f32_e32 v24, v26, v23
	v_add_f32_e32 v22, v22, v25
	v_add_f32_e32 v21, v21, v24
.LBB58_611:
	s_or_b64 exec, exec, s[14:15]
	s_barrier
	s_and_saveexec_b64 s[14:15], s[30:31]
	s_cbranch_execz .LBB58_613
; %bb.612:
	v_mov_b32_e32 v23, 0
	ds_read_b64 v[23:24], v23 offset:18200
	s_waitcnt lgkmcnt(0)
	v_mul_f32_e32 v26, v21, v24
	v_mul_f32_e32 v25, v22, v24
	v_fma_f32 v24, v22, v23, -v26
	v_fmac_f32_e32 v25, v21, v23
	v_mov_b32_e32 v22, v24
	v_mov_b32_e32 v21, v25
	ds_write_b64 v4, v[24:25]
.LBB58_613:
	s_or_b64 exec, exec, s[14:15]
	s_waitcnt lgkmcnt(0)
	s_barrier
	s_barrier
	s_and_saveexec_b64 s[14:15], s[6:7]
; %bb.614:
	v_xor_b32_e32 v23, 0x80000000, v21
	v_xor_b32_e32 v22, 0x80000000, v22
	ds_write_b64 v3, v[22:23] offset:16656
; %bb.615:
	s_or_b64 exec, exec, s[14:15]
	s_waitcnt lgkmcnt(0)
	s_barrier
	s_barrier
	s_and_saveexec_b64 s[14:15], vcc
	s_cbranch_execz .LBB58_617
; %bb.616:
	v_mov_b32_e32 v27, 0
	ds_read_b128 v[21:24], v27 offset:17680
	ds_read_b64 v[25:26], v27 offset:18200
	s_waitcnt lgkmcnt(0)
	v_mul_f32_e32 v28, v26, v22
	v_mul_f32_e32 v29, v25, v22
	v_fma_f32 v25, v25, v21, -v28
	v_fmac_f32_e32 v29, v26, v21
	v_mul_f32_e32 v21, v29, v24
	v_mul_f32_e32 v22, v25, v24
	v_fma_f32 v21, v25, v23, -v21
	v_fmac_f32_e32 v22, v29, v23
	ds_write_b64 v27, v[21:22] offset:17688
.LBB58_617:
	s_or_b64 exec, exec, s[14:15]
	v_mov_b32_e32 v21, 0
	v_mov_b32_e32 v22, 0
	s_waitcnt lgkmcnt(0)
	s_barrier
	s_and_saveexec_b64 s[16:17], s[18:19]
	s_cbranch_execz .LBB58_623
; %bb.618:
	v_mul_u32_u24_e32 v22, 0x208, v10
	ds_read_b64 v[23:24], v6 offset:16672
	ds_read_b64 v[25:26], v22 offset:16640
	v_cmp_gt_u32_e64 s[14:15], 12, v1
	s_waitcnt lgkmcnt(0)
	v_mul_f32_e32 v21, v26, v24
	v_mul_f32_e32 v24, v25, v24
	v_fma_f32 v21, v25, v23, -v21
	v_fmac_f32_e32 v24, v26, v23
	v_add_f32_e32 v21, 0, v21
	v_add_f32_e32 v23, 0, v24
	s_and_saveexec_b64 s[20:21], s[14:15]
	s_cbranch_execnz .LBB58_1080
; %bb.619:
	s_or_b64 exec, exec, s[20:21]
	v_cmp_gt_u32_e64 s[14:15], 8, v1
	s_and_saveexec_b64 s[20:21], s[14:15]
	s_cbranch_execnz .LBB58_1081
.LBB58_620:
	s_or_b64 exec, exec, s[20:21]
	v_cmp_gt_u32_e64 s[14:15], 4, v1
	s_and_saveexec_b64 s[20:21], s[14:15]
	s_cbranch_execz .LBB58_622
.LBB58_621:
	v_lshlrev_b32_e32 v22, 3, v0
	v_mov_b32_e32 v26, 0
	ds_read_b64 v[24:25], v22 offset:18208
	ds_read_b64 v[26:27], v26 offset:16664
	s_waitcnt lgkmcnt(0)
	v_mul_f32_e32 v22, v27, v25
	v_mul_f32_e32 v25, v26, v25
	v_fma_f32 v22, v26, v24, -v22
	v_fmac_f32_e32 v25, v27, v24
	v_add_f32_e32 v21, v21, v22
	v_add_f32_e32 v23, v23, v25
.LBB58_622:
	s_or_b64 exec, exec, s[20:21]
	v_xor_b32_e32 v22, 0x80000000, v21
	v_xor_b32_e32 v21, 0x80000000, v23
.LBB58_623:
	s_or_b64 exec, exec, s[16:17]
	s_and_saveexec_b64 s[14:15], s[38:39]
	s_cbranch_execz .LBB58_625
; %bb.624:
	v_mov_b32_e32 v23, 0
	ds_read_b64 v[23:24], v23 offset:18720
	s_waitcnt lgkmcnt(0)
	v_mul_f32_e32 v26, v21, v24
	v_mul_f32_e32 v25, v22, v24
	v_fma_f32 v24, v22, v23, -v26
	v_fmac_f32_e32 v25, v21, v23
	v_mov_b32_e32 v22, v24
	v_mov_b32_e32 v21, v25
	ds_write_b64 v8, v[24:25]
.LBB58_625:
	s_or_b64 exec, exec, s[14:15]
	s_waitcnt lgkmcnt(0)
	s_barrier
	s_and_saveexec_b64 s[14:15], s[42:43]
	s_cbranch_execz .LBB58_627
; %bb.626:
	ds_read_b64 v[23:24], v7 offset:18720
	ds_read_b64 v[25:26], v8
	s_waitcnt lgkmcnt(0)
	v_mul_f32_e32 v27, v26, v24
	v_mul_f32_e32 v24, v25, v24
	v_fma_f32 v25, v25, v23, -v27
	v_fmac_f32_e32 v24, v26, v23
	v_add_f32_e32 v22, v22, v25
	v_add_f32_e32 v21, v21, v24
.LBB58_627:
	s_or_b64 exec, exec, s[14:15]
	s_barrier
	s_and_saveexec_b64 s[14:15], s[44:45]
	s_cbranch_execz .LBB58_629
; %bb.628:
	v_mov_b32_e32 v23, 0
	ds_read_b64 v[23:24], v23 offset:19240
	s_waitcnt lgkmcnt(0)
	v_mul_f32_e32 v26, v21, v24
	v_mul_f32_e32 v25, v22, v24
	v_fma_f32 v24, v22, v23, -v26
	v_fmac_f32_e32 v25, v21, v23
	v_mov_b32_e32 v22, v24
	v_mov_b32_e32 v21, v25
	ds_write_b64 v8, v[24:25]
.LBB58_629:
	s_or_b64 exec, exec, s[14:15]
	s_waitcnt lgkmcnt(0)
	s_barrier
	s_and_saveexec_b64 s[14:15], s[52:53]
	s_cbranch_execz .LBB58_631
; %bb.630:
	ds_read_b64 v[23:24], v7 offset:19232
	ds_read_b64 v[25:26], v8
	s_waitcnt lgkmcnt(0)
	v_mul_f32_e32 v27, v26, v24
	v_mul_f32_e32 v24, v25, v24
	v_fma_f32 v25, v25, v23, -v27
	v_fmac_f32_e32 v24, v26, v23
	v_add_f32_e32 v22, v22, v25
	v_add_f32_e32 v21, v21, v24
.LBB58_631:
	s_or_b64 exec, exec, s[14:15]
	s_barrier
	s_and_saveexec_b64 s[14:15], s[54:55]
	s_cbranch_execz .LBB58_633
; %bb.632:
	v_mov_b32_e32 v23, 0
	ds_read_b64 v[23:24], v23 offset:19760
	s_waitcnt lgkmcnt(0)
	v_mul_f32_e32 v26, v21, v24
	v_mul_f32_e32 v25, v22, v24
	v_fma_f32 v24, v22, v23, -v26
	v_fmac_f32_e32 v25, v21, v23
	v_mov_b32_e32 v22, v24
	v_mov_b32_e32 v21, v25
	ds_write_b64 v8, v[24:25]
.LBB58_633:
	s_or_b64 exec, exec, s[14:15]
	s_waitcnt lgkmcnt(0)
	s_barrier
	s_and_saveexec_b64 s[14:15], s[36:37]
	s_cbranch_execz .LBB58_635
; %bb.634:
	v_mov_b32_e32 v23, 0
	ds_read_b64 v[23:24], v23 offset:19768
	ds_read_b64 v[25:26], v8
	s_waitcnt lgkmcnt(0)
	v_mul_f32_e32 v27, v26, v24
	v_mul_f32_e32 v24, v25, v24
	v_fma_f32 v25, v25, v23, -v27
	v_fmac_f32_e32 v24, v26, v23
	v_add_f32_e32 v22, v22, v25
	v_add_f32_e32 v21, v21, v24
.LBB58_635:
	s_or_b64 exec, exec, s[14:15]
	s_barrier
	s_and_saveexec_b64 s[14:15], s[36:37]
	s_cbranch_execz .LBB58_637
; %bb.636:
	v_mov_b32_e32 v23, 0
	ds_read_b64 v[23:24], v23 offset:20280
	s_waitcnt lgkmcnt(0)
	v_mul_f32_e32 v26, v21, v24
	v_mul_f32_e32 v25, v22, v24
	v_fma_f32 v24, v22, v23, -v26
	v_fmac_f32_e32 v25, v21, v23
	v_mov_b32_e32 v22, v24
	v_mov_b32_e32 v21, v25
	ds_write_b64 v8, v[24:25]
.LBB58_637:
	s_or_b64 exec, exec, s[14:15]
	s_waitcnt lgkmcnt(0)
	s_barrier
	s_barrier
	s_and_saveexec_b64 s[14:15], s[18:19]
; %bb.638:
	v_xor_b32_e32 v22, 0x80000000, v22
	v_xor_b32_e32 v23, 0x80000000, v21
	ds_write_b64 v6, v[22:23] offset:16672
; %bb.639:
	s_or_b64 exec, exec, s[14:15]
	s_waitcnt lgkmcnt(0)
	s_barrier
	s_barrier
	s_and_saveexec_b64 s[14:15], vcc
	s_cbranch_execz .LBB58_641
; %bb.640:
	v_mov_b32_e32 v27, 0
	ds_read_b128 v[21:24], v27 offset:18720
	ds_read_b64 v[25:26], v27 offset:19240
	s_waitcnt lgkmcnt(0)
	v_mul_f32_e32 v28, v26, v22
	v_mul_f32_e32 v29, v25, v22
	v_fma_f32 v25, v25, v21, -v28
	v_fmac_f32_e32 v29, v26, v21
	v_mul_f32_e32 v21, v29, v24
	v_mul_f32_e32 v22, v25, v24
	v_fma_f32 v21, v25, v23, -v21
	v_fmac_f32_e32 v22, v29, v23
	ds_write_b64 v27, v[21:22] offset:18728
.LBB58_641:
	s_or_b64 exec, exec, s[14:15]
	v_mov_b32_e32 v21, 0
	v_mov_b32_e32 v22, 0
	s_waitcnt lgkmcnt(0)
	s_barrier
	s_and_saveexec_b64 s[16:17], s[6:7]
	s_cbranch_execz .LBB58_645
; %bb.642:
	v_mul_u32_u24_e32 v23, 0x208, v5
	ds_read_b64 v[21:22], v3 offset:18736
	ds_read_b64 v[23:24], v23 offset:18720
	v_cmp_gt_u32_e64 s[14:15], 2, v1
	s_waitcnt lgkmcnt(0)
	v_mul_f32_e32 v25, v24, v22
	v_mul_f32_e32 v22, v23, v22
	v_fma_f32 v23, v23, v21, -v25
	v_fmac_f32_e32 v22, v24, v21
	v_add_f32_e32 v21, 0, v23
	v_add_f32_e32 v23, 0, v22
	s_and_saveexec_b64 s[20:21], s[14:15]
	s_cbranch_execz .LBB58_644
; %bb.643:
	v_lshlrev_b32_e32 v22, 3, v0
	v_mov_b32_e32 v26, 0
	ds_read_b64 v[24:25], v22 offset:19248
	ds_read_b64 v[26:27], v26 offset:18728
	s_waitcnt lgkmcnt(0)
	v_mul_f32_e32 v22, v27, v25
	v_mul_f32_e32 v25, v26, v25
	v_fma_f32 v22, v26, v24, -v22
	v_fmac_f32_e32 v25, v27, v24
	v_add_f32_e32 v21, v21, v22
	v_add_f32_e32 v23, v23, v25
.LBB58_644:
	s_or_b64 exec, exec, s[20:21]
	v_xor_b32_e32 v22, 0x80000000, v21
	v_xor_b32_e32 v21, 0x80000000, v23
.LBB58_645:
	s_or_b64 exec, exec, s[16:17]
	s_and_saveexec_b64 s[14:15], s[34:35]
	s_cbranch_execz .LBB58_647
; %bb.646:
	v_mov_b32_e32 v23, 0
	ds_read_b64 v[23:24], v23 offset:19760
	s_waitcnt lgkmcnt(0)
	v_mul_f32_e32 v26, v21, v24
	v_mul_f32_e32 v25, v22, v24
	v_fma_f32 v24, v22, v23, -v26
	v_fmac_f32_e32 v25, v21, v23
	v_mov_b32_e32 v22, v24
	v_mov_b32_e32 v21, v25
	ds_write_b64 v4, v[24:25]
.LBB58_647:
	s_or_b64 exec, exec, s[14:15]
	s_waitcnt lgkmcnt(0)
	s_barrier
	s_and_saveexec_b64 s[14:15], s[30:31]
	s_cbranch_execz .LBB58_649
; %bb.648:
	v_mov_b32_e32 v23, 0
	ds_read_b64 v[23:24], v23 offset:19768
	ds_read_b64 v[25:26], v4
	s_waitcnt lgkmcnt(0)
	v_mul_f32_e32 v27, v26, v24
	v_mul_f32_e32 v24, v25, v24
	v_fma_f32 v25, v25, v23, -v27
	v_fmac_f32_e32 v24, v26, v23
	v_add_f32_e32 v22, v22, v25
	v_add_f32_e32 v21, v21, v24
.LBB58_649:
	s_or_b64 exec, exec, s[14:15]
	s_barrier
	s_and_saveexec_b64 s[14:15], s[30:31]
	s_cbranch_execz .LBB58_651
; %bb.650:
	v_mov_b32_e32 v23, 0
	ds_read_b64 v[23:24], v23 offset:20280
	s_waitcnt lgkmcnt(0)
	v_mul_f32_e32 v26, v21, v24
	v_mul_f32_e32 v25, v22, v24
	v_fma_f32 v24, v22, v23, -v26
	v_fmac_f32_e32 v25, v21, v23
	v_mov_b32_e32 v22, v24
	v_mov_b32_e32 v21, v25
	ds_write_b64 v4, v[24:25]
.LBB58_651:
	s_or_b64 exec, exec, s[14:15]
	s_waitcnt lgkmcnt(0)
	s_barrier
	s_barrier
	s_and_saveexec_b64 s[14:15], s[6:7]
; %bb.652:
	v_xor_b32_e32 v23, 0x80000000, v21
	v_xor_b32_e32 v22, 0x80000000, v22
	ds_write_b64 v3, v[22:23] offset:18736
; %bb.653:
	s_or_b64 exec, exec, s[14:15]
	s_waitcnt lgkmcnt(0)
	s_barrier
	s_barrier
	s_and_saveexec_b64 s[14:15], vcc
	s_cbranch_execz .LBB58_655
; %bb.654:
	v_mov_b32_e32 v27, 0
	ds_read_b128 v[21:24], v27 offset:19760
	ds_read_b64 v[25:26], v27 offset:20280
	s_waitcnt lgkmcnt(0)
	v_mul_f32_e32 v28, v26, v22
	v_mul_f32_e32 v29, v25, v22
	v_fma_f32 v25, v25, v21, -v28
	v_fmac_f32_e32 v29, v26, v21
	v_mul_f32_e32 v21, v29, v24
	v_mul_f32_e32 v22, v25, v24
	v_fma_f32 v21, v25, v23, -v21
	v_fmac_f32_e32 v22, v29, v23
	ds_write_b64 v27, v[21:22] offset:19768
.LBB58_655:
	s_or_b64 exec, exec, s[14:15]
	v_mov_b32_e32 v21, 0
	v_mov_b32_e32 v22, 0
	s_waitcnt lgkmcnt(0)
	s_barrier
	s_and_saveexec_b64 s[16:17], s[10:11]
	s_cbranch_execz .LBB58_665
; %bb.656:
	v_mul_u32_u24_e32 v22, 0x208, v15
	ds_read_b64 v[23:24], v11 offset:16704
	ds_read_b64 v[25:26], v22 offset:16640
	v_cmp_gt_u32_e64 s[14:15], 56, v1
	s_waitcnt lgkmcnt(0)
	v_mul_f32_e32 v21, v26, v24
	v_mul_f32_e32 v24, v25, v24
	v_fma_f32 v21, v25, v23, -v21
	v_fmac_f32_e32 v24, v26, v23
	v_add_f32_e32 v21, 0, v21
	v_add_f32_e32 v23, 0, v24
	s_and_saveexec_b64 s[20:21], s[14:15]
	s_cbranch_execnz .LBB58_1082
; %bb.657:
	s_or_b64 exec, exec, s[20:21]
	v_cmp_gt_u32_e64 s[14:15], 48, v1
	s_and_saveexec_b64 s[20:21], s[14:15]
	s_cbranch_execnz .LBB58_1083
.LBB58_658:
	s_or_b64 exec, exec, s[20:21]
	v_cmp_gt_u32_e64 s[14:15], 40, v1
	s_and_saveexec_b64 s[20:21], s[14:15]
	s_cbranch_execnz .LBB58_1084
.LBB58_659:
	s_or_b64 exec, exec, s[20:21]
	v_cmp_gt_u32_e64 s[14:15], 32, v1
	s_and_saveexec_b64 s[20:21], s[14:15]
	s_cbranch_execnz .LBB58_1085
.LBB58_660:
	s_or_b64 exec, exec, s[20:21]
	v_cmp_gt_u32_e64 s[14:15], 24, v1
	s_and_saveexec_b64 s[20:21], s[14:15]
	s_cbranch_execnz .LBB58_1086
.LBB58_661:
	s_or_b64 exec, exec, s[20:21]
	v_cmp_gt_u32_e64 s[14:15], 16, v1
	s_and_saveexec_b64 s[20:21], s[14:15]
	s_cbranch_execnz .LBB58_1087
.LBB58_662:
	s_or_b64 exec, exec, s[20:21]
	v_cmp_gt_u32_e64 s[14:15], 8, v1
	s_and_saveexec_b64 s[20:21], s[14:15]
	s_cbranch_execz .LBB58_664
.LBB58_663:
	v_lshlrev_b32_e32 v22, 3, v0
	v_mov_b32_e32 v26, 0
	ds_read_b64 v[24:25], v22 offset:20288
	ds_read_b64 v[26:27], v26 offset:16696
	s_waitcnt lgkmcnt(0)
	v_mul_f32_e32 v22, v27, v25
	v_mul_f32_e32 v25, v26, v25
	v_fma_f32 v22, v26, v24, -v22
	v_fmac_f32_e32 v25, v27, v24
	v_add_f32_e32 v21, v21, v22
	v_add_f32_e32 v23, v23, v25
.LBB58_664:
	s_or_b64 exec, exec, s[20:21]
	v_xor_b32_e32 v22, 0x80000000, v21
	v_xor_b32_e32 v21, 0x80000000, v23
.LBB58_665:
	s_or_b64 exec, exec, s[16:17]
	s_and_saveexec_b64 s[14:15], s[58:59]
	s_cbranch_execz .LBB58_667
; %bb.666:
	v_mov_b32_e32 v23, 0
	ds_read_b64 v[23:24], v23 offset:20800
	s_waitcnt lgkmcnt(0)
	v_mul_f32_e32 v26, v21, v24
	v_mul_f32_e32 v25, v22, v24
	v_fma_f32 v24, v22, v23, -v26
	v_fmac_f32_e32 v25, v21, v23
	v_mov_b32_e32 v22, v24
	v_mov_b32_e32 v21, v25
	ds_write_b64 v13, v[24:25]
.LBB58_667:
	s_or_b64 exec, exec, s[14:15]
	s_waitcnt lgkmcnt(0)
	s_barrier
	s_and_saveexec_b64 s[14:15], s[60:61]
	s_cbranch_execz .LBB58_669
; %bb.668:
	ds_read_b64 v[23:24], v12 offset:20800
	ds_read_b64 v[25:26], v13
	s_waitcnt lgkmcnt(0)
	v_mul_f32_e32 v27, v26, v24
	v_mul_f32_e32 v24, v25, v24
	v_fma_f32 v25, v25, v23, -v27
	v_fmac_f32_e32 v24, v26, v23
	v_add_f32_e32 v22, v22, v25
	v_add_f32_e32 v21, v21, v24
.LBB58_669:
	s_or_b64 exec, exec, s[14:15]
	s_barrier
	s_and_saveexec_b64 s[14:15], s[62:63]
	s_cbranch_execz .LBB58_671
; %bb.670:
	v_mov_b32_e32 v23, 0
	ds_read_b64 v[23:24], v23 offset:21320
	s_waitcnt lgkmcnt(0)
	v_mul_f32_e32 v26, v21, v24
	v_mul_f32_e32 v25, v22, v24
	v_fma_f32 v24, v22, v23, -v26
	v_fmac_f32_e32 v25, v21, v23
	v_mov_b32_e32 v22, v24
	v_mov_b32_e32 v21, v25
	ds_write_b64 v13, v[24:25]
.LBB58_671:
	s_or_b64 exec, exec, s[14:15]
	s_waitcnt lgkmcnt(0)
	s_barrier
	s_and_saveexec_b64 s[14:15], s[64:65]
	s_cbranch_execz .LBB58_673
; %bb.672:
	ds_read_b64 v[23:24], v12 offset:21312
	ds_read_b64 v[25:26], v13
	s_waitcnt lgkmcnt(0)
	v_mul_f32_e32 v27, v26, v24
	v_mul_f32_e32 v24, v25, v24
	v_fma_f32 v25, v25, v23, -v27
	v_fmac_f32_e32 v24, v26, v23
	v_add_f32_e32 v22, v22, v25
	v_add_f32_e32 v21, v21, v24
.LBB58_673:
	s_or_b64 exec, exec, s[14:15]
	s_barrier
	;; [unrolled: 32-line block ×6, first 2 shown]
	s_and_saveexec_b64 s[14:15], s[82:83]
	s_cbranch_execz .LBB58_691
; %bb.690:
	v_mov_b32_e32 v23, 0
	ds_read_b64 v[23:24], v23 offset:23920
	s_waitcnt lgkmcnt(0)
	v_mul_f32_e32 v26, v21, v24
	v_mul_f32_e32 v25, v22, v24
	v_fma_f32 v24, v22, v23, -v26
	v_fmac_f32_e32 v25, v21, v23
	v_mov_b32_e32 v22, v24
	v_mov_b32_e32 v21, v25
	ds_write_b64 v13, v[24:25]
.LBB58_691:
	s_or_b64 exec, exec, s[14:15]
	s_waitcnt lgkmcnt(0)
	s_barrier
	s_and_saveexec_b64 s[14:15], s[56:57]
	s_cbranch_execz .LBB58_693
; %bb.692:
	v_mov_b32_e32 v23, 0
	ds_read_b64 v[23:24], v23 offset:23928
	ds_read_b64 v[25:26], v13
	s_waitcnt lgkmcnt(0)
	v_mul_f32_e32 v27, v26, v24
	v_mul_f32_e32 v24, v25, v24
	v_fma_f32 v25, v25, v23, -v27
	v_fmac_f32_e32 v24, v26, v23
	v_add_f32_e32 v22, v22, v25
	v_add_f32_e32 v21, v21, v24
.LBB58_693:
	s_or_b64 exec, exec, s[14:15]
	s_barrier
	s_and_saveexec_b64 s[14:15], s[56:57]
	s_cbranch_execz .LBB58_695
; %bb.694:
	v_mov_b32_e32 v23, 0
	ds_read_b64 v[23:24], v23 offset:24440
	s_waitcnt lgkmcnt(0)
	v_mul_f32_e32 v26, v21, v24
	v_mul_f32_e32 v25, v22, v24
	v_fma_f32 v24, v22, v23, -v26
	v_fmac_f32_e32 v25, v21, v23
	v_mov_b32_e32 v22, v24
	v_mov_b32_e32 v21, v25
	ds_write_b64 v13, v[24:25]
.LBB58_695:
	s_or_b64 exec, exec, s[14:15]
	s_waitcnt lgkmcnt(0)
	s_barrier
	s_barrier
	s_and_saveexec_b64 s[14:15], s[10:11]
; %bb.696:
	v_xor_b32_e32 v23, 0x80000000, v21
	v_xor_b32_e32 v22, 0x80000000, v22
	ds_write_b64 v11, v[22:23] offset:16704
; %bb.697:
	s_or_b64 exec, exec, s[14:15]
	s_waitcnt lgkmcnt(0)
	s_barrier
	s_barrier
	s_and_saveexec_b64 s[14:15], vcc
	s_cbranch_execz .LBB58_699
; %bb.698:
	v_mov_b32_e32 v27, 0
	ds_read_b128 v[21:24], v27 offset:20800
	ds_read_b64 v[25:26], v27 offset:21320
	s_waitcnt lgkmcnt(0)
	v_mul_f32_e32 v28, v26, v22
	v_mul_f32_e32 v29, v25, v22
	v_fma_f32 v25, v25, v21, -v28
	v_fmac_f32_e32 v29, v26, v21
	v_mul_f32_e32 v21, v29, v24
	v_mul_f32_e32 v22, v25, v24
	v_fma_f32 v21, v25, v23, -v21
	v_fmac_f32_e32 v22, v29, v23
	ds_write_b64 v27, v[21:22] offset:20808
.LBB58_699:
	s_or_b64 exec, exec, s[14:15]
	v_mov_b32_e32 v21, 0
	v_mov_b32_e32 v22, 0
	s_waitcnt lgkmcnt(0)
	s_barrier
	s_and_saveexec_b64 s[16:17], s[6:7]
	s_cbranch_execz .LBB58_703
; %bb.700:
	v_mul_u32_u24_e32 v23, 0x208, v5
	ds_read_b64 v[21:22], v3 offset:20816
	ds_read_b64 v[23:24], v23 offset:20800
	v_cmp_gt_u32_e64 s[14:15], 2, v1
	s_waitcnt lgkmcnt(0)
	v_mul_f32_e32 v25, v24, v22
	v_mul_f32_e32 v22, v23, v22
	v_fma_f32 v23, v23, v21, -v25
	v_fmac_f32_e32 v22, v24, v21
	v_add_f32_e32 v21, 0, v23
	v_add_f32_e32 v23, 0, v22
	s_and_saveexec_b64 s[20:21], s[14:15]
	s_cbranch_execz .LBB58_702
; %bb.701:
	v_lshlrev_b32_e32 v22, 3, v0
	v_mov_b32_e32 v26, 0
	ds_read_b64 v[24:25], v22 offset:21328
	ds_read_b64 v[26:27], v26 offset:20808
	s_waitcnt lgkmcnt(0)
	v_mul_f32_e32 v22, v27, v25
	v_mul_f32_e32 v25, v26, v25
	v_fma_f32 v22, v26, v24, -v22
	v_fmac_f32_e32 v25, v27, v24
	v_add_f32_e32 v21, v21, v22
	v_add_f32_e32 v23, v23, v25
.LBB58_702:
	s_or_b64 exec, exec, s[20:21]
	v_xor_b32_e32 v22, 0x80000000, v21
	v_xor_b32_e32 v21, 0x80000000, v23
.LBB58_703:
	s_or_b64 exec, exec, s[16:17]
	s_and_saveexec_b64 s[14:15], s[34:35]
	s_cbranch_execz .LBB58_705
; %bb.704:
	v_mov_b32_e32 v23, 0
	ds_read_b64 v[23:24], v23 offset:21840
	s_waitcnt lgkmcnt(0)
	v_mul_f32_e32 v26, v21, v24
	v_mul_f32_e32 v25, v22, v24
	v_fma_f32 v24, v22, v23, -v26
	v_fmac_f32_e32 v25, v21, v23
	v_mov_b32_e32 v22, v24
	v_mov_b32_e32 v21, v25
	ds_write_b64 v4, v[24:25]
.LBB58_705:
	s_or_b64 exec, exec, s[14:15]
	s_waitcnt lgkmcnt(0)
	s_barrier
	s_and_saveexec_b64 s[14:15], s[30:31]
	s_cbranch_execz .LBB58_707
; %bb.706:
	v_mov_b32_e32 v23, 0
	ds_read_b64 v[23:24], v23 offset:21848
	ds_read_b64 v[25:26], v4
	s_waitcnt lgkmcnt(0)
	v_mul_f32_e32 v27, v26, v24
	v_mul_f32_e32 v24, v25, v24
	v_fma_f32 v25, v25, v23, -v27
	v_fmac_f32_e32 v24, v26, v23
	v_add_f32_e32 v22, v22, v25
	v_add_f32_e32 v21, v21, v24
.LBB58_707:
	s_or_b64 exec, exec, s[14:15]
	s_barrier
	s_and_saveexec_b64 s[14:15], s[30:31]
	s_cbranch_execz .LBB58_709
; %bb.708:
	v_mov_b32_e32 v23, 0
	ds_read_b64 v[23:24], v23 offset:22360
	s_waitcnt lgkmcnt(0)
	v_mul_f32_e32 v26, v21, v24
	v_mul_f32_e32 v25, v22, v24
	v_fma_f32 v24, v22, v23, -v26
	v_fmac_f32_e32 v25, v21, v23
	v_mov_b32_e32 v22, v24
	v_mov_b32_e32 v21, v25
	ds_write_b64 v4, v[24:25]
.LBB58_709:
	s_or_b64 exec, exec, s[14:15]
	s_waitcnt lgkmcnt(0)
	s_barrier
	s_barrier
	s_and_saveexec_b64 s[14:15], s[6:7]
; %bb.710:
	v_xor_b32_e32 v23, 0x80000000, v21
	v_xor_b32_e32 v22, 0x80000000, v22
	ds_write_b64 v3, v[22:23] offset:20816
; %bb.711:
	s_or_b64 exec, exec, s[14:15]
	s_waitcnt lgkmcnt(0)
	s_barrier
	s_barrier
	s_and_saveexec_b64 s[14:15], vcc
	s_cbranch_execz .LBB58_713
; %bb.712:
	v_mov_b32_e32 v27, 0
	ds_read_b128 v[21:24], v27 offset:21840
	ds_read_b64 v[25:26], v27 offset:22360
	s_waitcnt lgkmcnt(0)
	v_mul_f32_e32 v28, v26, v22
	v_mul_f32_e32 v29, v25, v22
	v_fma_f32 v25, v25, v21, -v28
	v_fmac_f32_e32 v29, v26, v21
	v_mul_f32_e32 v21, v29, v24
	v_mul_f32_e32 v22, v25, v24
	v_fma_f32 v21, v25, v23, -v21
	v_fmac_f32_e32 v22, v29, v23
	ds_write_b64 v27, v[21:22] offset:21848
.LBB58_713:
	s_or_b64 exec, exec, s[14:15]
	v_mov_b32_e32 v21, 0
	v_mov_b32_e32 v22, 0
	s_waitcnt lgkmcnt(0)
	s_barrier
	s_and_saveexec_b64 s[16:17], s[18:19]
	s_cbranch_execz .LBB58_719
; %bb.714:
	v_mul_u32_u24_e32 v22, 0x208, v10
	ds_read_b64 v[23:24], v6 offset:20832
	ds_read_b64 v[25:26], v22 offset:20800
	v_cmp_gt_u32_e64 s[14:15], 12, v1
	s_waitcnt lgkmcnt(0)
	v_mul_f32_e32 v21, v26, v24
	v_mul_f32_e32 v24, v25, v24
	v_fma_f32 v21, v25, v23, -v21
	v_fmac_f32_e32 v24, v26, v23
	v_add_f32_e32 v21, 0, v21
	v_add_f32_e32 v23, 0, v24
	s_and_saveexec_b64 s[20:21], s[14:15]
	s_cbranch_execnz .LBB58_1088
; %bb.715:
	s_or_b64 exec, exec, s[20:21]
	v_cmp_gt_u32_e64 s[14:15], 8, v1
	s_and_saveexec_b64 s[20:21], s[14:15]
	s_cbranch_execnz .LBB58_1089
.LBB58_716:
	s_or_b64 exec, exec, s[20:21]
	v_cmp_gt_u32_e64 s[14:15], 4, v1
	s_and_saveexec_b64 s[20:21], s[14:15]
	s_cbranch_execz .LBB58_718
.LBB58_717:
	v_lshlrev_b32_e32 v22, 3, v0
	v_mov_b32_e32 v26, 0
	ds_read_b64 v[24:25], v22 offset:22368
	ds_read_b64 v[26:27], v26 offset:20824
	s_waitcnt lgkmcnt(0)
	v_mul_f32_e32 v22, v27, v25
	v_mul_f32_e32 v25, v26, v25
	v_fma_f32 v22, v26, v24, -v22
	v_fmac_f32_e32 v25, v27, v24
	v_add_f32_e32 v21, v21, v22
	v_add_f32_e32 v23, v23, v25
.LBB58_718:
	s_or_b64 exec, exec, s[20:21]
	v_xor_b32_e32 v22, 0x80000000, v21
	v_xor_b32_e32 v21, 0x80000000, v23
.LBB58_719:
	s_or_b64 exec, exec, s[16:17]
	s_and_saveexec_b64 s[14:15], s[38:39]
	s_cbranch_execz .LBB58_721
; %bb.720:
	v_mov_b32_e32 v23, 0
	ds_read_b64 v[23:24], v23 offset:22880
	s_waitcnt lgkmcnt(0)
	v_mul_f32_e32 v26, v21, v24
	v_mul_f32_e32 v25, v22, v24
	v_fma_f32 v24, v22, v23, -v26
	v_fmac_f32_e32 v25, v21, v23
	v_mov_b32_e32 v22, v24
	v_mov_b32_e32 v21, v25
	ds_write_b64 v8, v[24:25]
.LBB58_721:
	s_or_b64 exec, exec, s[14:15]
	s_waitcnt lgkmcnt(0)
	s_barrier
	s_and_saveexec_b64 s[14:15], s[42:43]
	s_cbranch_execz .LBB58_723
; %bb.722:
	ds_read_b64 v[23:24], v7 offset:22880
	ds_read_b64 v[25:26], v8
	s_waitcnt lgkmcnt(0)
	v_mul_f32_e32 v27, v26, v24
	v_mul_f32_e32 v24, v25, v24
	v_fma_f32 v25, v25, v23, -v27
	v_fmac_f32_e32 v24, v26, v23
	v_add_f32_e32 v22, v22, v25
	v_add_f32_e32 v21, v21, v24
.LBB58_723:
	s_or_b64 exec, exec, s[14:15]
	s_barrier
	s_and_saveexec_b64 s[14:15], s[44:45]
	s_cbranch_execz .LBB58_725
; %bb.724:
	v_mov_b32_e32 v23, 0
	ds_read_b64 v[23:24], v23 offset:23400
	s_waitcnt lgkmcnt(0)
	v_mul_f32_e32 v26, v21, v24
	v_mul_f32_e32 v25, v22, v24
	v_fma_f32 v24, v22, v23, -v26
	v_fmac_f32_e32 v25, v21, v23
	v_mov_b32_e32 v22, v24
	v_mov_b32_e32 v21, v25
	ds_write_b64 v8, v[24:25]
.LBB58_725:
	s_or_b64 exec, exec, s[14:15]
	s_waitcnt lgkmcnt(0)
	s_barrier
	s_and_saveexec_b64 s[14:15], s[52:53]
	s_cbranch_execz .LBB58_727
; %bb.726:
	ds_read_b64 v[23:24], v7 offset:23392
	ds_read_b64 v[25:26], v8
	s_waitcnt lgkmcnt(0)
	v_mul_f32_e32 v27, v26, v24
	v_mul_f32_e32 v24, v25, v24
	v_fma_f32 v25, v25, v23, -v27
	v_fmac_f32_e32 v24, v26, v23
	v_add_f32_e32 v22, v22, v25
	v_add_f32_e32 v21, v21, v24
.LBB58_727:
	s_or_b64 exec, exec, s[14:15]
	s_barrier
	s_and_saveexec_b64 s[14:15], s[54:55]
	s_cbranch_execz .LBB58_729
; %bb.728:
	v_mov_b32_e32 v23, 0
	ds_read_b64 v[23:24], v23 offset:23920
	s_waitcnt lgkmcnt(0)
	v_mul_f32_e32 v26, v21, v24
	v_mul_f32_e32 v25, v22, v24
	v_fma_f32 v24, v22, v23, -v26
	v_fmac_f32_e32 v25, v21, v23
	v_mov_b32_e32 v22, v24
	v_mov_b32_e32 v21, v25
	ds_write_b64 v8, v[24:25]
.LBB58_729:
	s_or_b64 exec, exec, s[14:15]
	s_waitcnt lgkmcnt(0)
	s_barrier
	s_and_saveexec_b64 s[14:15], s[36:37]
	s_cbranch_execz .LBB58_731
; %bb.730:
	v_mov_b32_e32 v23, 0
	ds_read_b64 v[23:24], v23 offset:23928
	ds_read_b64 v[25:26], v8
	s_waitcnt lgkmcnt(0)
	v_mul_f32_e32 v27, v26, v24
	v_mul_f32_e32 v24, v25, v24
	v_fma_f32 v25, v25, v23, -v27
	v_fmac_f32_e32 v24, v26, v23
	v_add_f32_e32 v22, v22, v25
	v_add_f32_e32 v21, v21, v24
.LBB58_731:
	s_or_b64 exec, exec, s[14:15]
	s_barrier
	s_and_saveexec_b64 s[14:15], s[36:37]
	s_cbranch_execz .LBB58_733
; %bb.732:
	v_mov_b32_e32 v23, 0
	ds_read_b64 v[23:24], v23 offset:24440
	s_waitcnt lgkmcnt(0)
	v_mul_f32_e32 v26, v21, v24
	v_mul_f32_e32 v25, v22, v24
	v_fma_f32 v24, v22, v23, -v26
	v_fmac_f32_e32 v25, v21, v23
	v_mov_b32_e32 v22, v24
	v_mov_b32_e32 v21, v25
	ds_write_b64 v8, v[24:25]
.LBB58_733:
	s_or_b64 exec, exec, s[14:15]
	s_waitcnt lgkmcnt(0)
	s_barrier
	s_barrier
	s_and_saveexec_b64 s[14:15], s[18:19]
; %bb.734:
	v_xor_b32_e32 v22, 0x80000000, v22
	v_xor_b32_e32 v23, 0x80000000, v21
	ds_write_b64 v6, v[22:23] offset:20832
; %bb.735:
	s_or_b64 exec, exec, s[14:15]
	s_waitcnt lgkmcnt(0)
	s_barrier
	s_barrier
	s_and_saveexec_b64 s[14:15], vcc
	s_cbranch_execz .LBB58_737
; %bb.736:
	v_mov_b32_e32 v27, 0
	ds_read_b128 v[21:24], v27 offset:22880
	ds_read_b64 v[25:26], v27 offset:23400
	s_waitcnt lgkmcnt(0)
	v_mul_f32_e32 v28, v26, v22
	v_mul_f32_e32 v29, v25, v22
	v_fma_f32 v25, v25, v21, -v28
	v_fmac_f32_e32 v29, v26, v21
	v_mul_f32_e32 v21, v29, v24
	v_mul_f32_e32 v22, v25, v24
	v_fma_f32 v21, v25, v23, -v21
	v_fmac_f32_e32 v22, v29, v23
	ds_write_b64 v27, v[21:22] offset:22888
.LBB58_737:
	s_or_b64 exec, exec, s[14:15]
	v_mov_b32_e32 v21, 0
	v_mov_b32_e32 v22, 0
	s_waitcnt lgkmcnt(0)
	s_barrier
	s_and_saveexec_b64 s[16:17], s[6:7]
	s_cbranch_execz .LBB58_741
; %bb.738:
	v_mul_u32_u24_e32 v23, 0x208, v5
	ds_read_b64 v[21:22], v3 offset:22896
	ds_read_b64 v[23:24], v23 offset:22880
	v_cmp_gt_u32_e64 s[14:15], 2, v1
	s_waitcnt lgkmcnt(0)
	v_mul_f32_e32 v25, v24, v22
	v_mul_f32_e32 v22, v23, v22
	v_fma_f32 v23, v23, v21, -v25
	v_fmac_f32_e32 v22, v24, v21
	v_add_f32_e32 v21, 0, v23
	v_add_f32_e32 v23, 0, v22
	s_and_saveexec_b64 s[20:21], s[14:15]
	s_cbranch_execz .LBB58_740
; %bb.739:
	v_lshlrev_b32_e32 v22, 3, v0
	v_mov_b32_e32 v26, 0
	ds_read_b64 v[24:25], v22 offset:23408
	ds_read_b64 v[26:27], v26 offset:22888
	s_waitcnt lgkmcnt(0)
	v_mul_f32_e32 v22, v27, v25
	v_mul_f32_e32 v25, v26, v25
	v_fma_f32 v22, v26, v24, -v22
	v_fmac_f32_e32 v25, v27, v24
	v_add_f32_e32 v21, v21, v22
	v_add_f32_e32 v23, v23, v25
.LBB58_740:
	s_or_b64 exec, exec, s[20:21]
	v_xor_b32_e32 v22, 0x80000000, v21
	v_xor_b32_e32 v21, 0x80000000, v23
.LBB58_741:
	s_or_b64 exec, exec, s[16:17]
	s_and_saveexec_b64 s[14:15], s[34:35]
	s_cbranch_execz .LBB58_743
; %bb.742:
	v_mov_b32_e32 v23, 0
	ds_read_b64 v[23:24], v23 offset:23920
	s_waitcnt lgkmcnt(0)
	v_mul_f32_e32 v26, v21, v24
	v_mul_f32_e32 v25, v22, v24
	v_fma_f32 v24, v22, v23, -v26
	v_fmac_f32_e32 v25, v21, v23
	v_mov_b32_e32 v22, v24
	v_mov_b32_e32 v21, v25
	ds_write_b64 v4, v[24:25]
.LBB58_743:
	s_or_b64 exec, exec, s[14:15]
	s_waitcnt lgkmcnt(0)
	s_barrier
	s_and_saveexec_b64 s[14:15], s[30:31]
	s_cbranch_execz .LBB58_745
; %bb.744:
	v_mov_b32_e32 v23, 0
	ds_read_b64 v[23:24], v23 offset:23928
	ds_read_b64 v[25:26], v4
	s_waitcnt lgkmcnt(0)
	v_mul_f32_e32 v27, v26, v24
	v_mul_f32_e32 v24, v25, v24
	v_fma_f32 v25, v25, v23, -v27
	v_fmac_f32_e32 v24, v26, v23
	v_add_f32_e32 v22, v22, v25
	v_add_f32_e32 v21, v21, v24
.LBB58_745:
	s_or_b64 exec, exec, s[14:15]
	s_barrier
	s_and_saveexec_b64 s[14:15], s[30:31]
	s_cbranch_execz .LBB58_747
; %bb.746:
	v_mov_b32_e32 v23, 0
	ds_read_b64 v[23:24], v23 offset:24440
	s_waitcnt lgkmcnt(0)
	v_mul_f32_e32 v26, v21, v24
	v_mul_f32_e32 v25, v22, v24
	v_fma_f32 v24, v22, v23, -v26
	v_fmac_f32_e32 v25, v21, v23
	v_mov_b32_e32 v22, v24
	v_mov_b32_e32 v21, v25
	ds_write_b64 v4, v[24:25]
.LBB58_747:
	s_or_b64 exec, exec, s[14:15]
	s_waitcnt lgkmcnt(0)
	s_barrier
	s_barrier
	s_and_saveexec_b64 s[14:15], s[6:7]
; %bb.748:
	v_xor_b32_e32 v23, 0x80000000, v21
	v_xor_b32_e32 v22, 0x80000000, v22
	ds_write_b64 v3, v[22:23] offset:22896
; %bb.749:
	s_or_b64 exec, exec, s[14:15]
	s_waitcnt lgkmcnt(0)
	s_barrier
	s_barrier
	s_and_saveexec_b64 s[14:15], vcc
	s_cbranch_execz .LBB58_751
; %bb.750:
	v_mov_b32_e32 v27, 0
	ds_read_b128 v[21:24], v27 offset:23920
	ds_read_b64 v[25:26], v27 offset:24440
	s_waitcnt lgkmcnt(0)
	v_mul_f32_e32 v28, v26, v22
	v_mul_f32_e32 v29, v25, v22
	v_fma_f32 v25, v25, v21, -v28
	v_fmac_f32_e32 v29, v26, v21
	v_mul_f32_e32 v21, v29, v24
	v_mul_f32_e32 v22, v25, v24
	v_fma_f32 v21, v25, v23, -v21
	v_fmac_f32_e32 v22, v29, v23
	ds_write_b64 v27, v[21:22] offset:23928
.LBB58_751:
	s_or_b64 exec, exec, s[14:15]
	v_mov_b32_e32 v21, 0
	v_mov_b32_e32 v22, 0
	s_waitcnt lgkmcnt(0)
	s_barrier
	s_and_saveexec_b64 s[16:17], s[12:13]
	s_cbranch_execz .LBB58_779
; %bb.752:
	v_mul_u32_u24_e32 v22, 0x208, v20
	ds_read_b64 v[23:24], v16 offset:16768
	ds_read_b64 v[25:26], v22 offset:16640
	s_movk_i32 s14, 0xf0
	v_cmp_gt_u32_e64 s[14:15], s14, v1
	s_waitcnt lgkmcnt(0)
	v_mul_f32_e32 v21, v26, v24
	v_mul_f32_e32 v24, v25, v24
	v_fma_f32 v21, v25, v23, -v21
	v_fmac_f32_e32 v24, v26, v23
	v_add_f32_e32 v21, 0, v21
	v_add_f32_e32 v23, 0, v24
	s_and_saveexec_b64 s[20:21], s[14:15]
	s_cbranch_execz .LBB58_754
; %bb.753:
	v_lshlrev_b32_e32 v24, 3, v20
	v_sub_u32_e32 v24, v22, v24
	v_lshl_add_u32 v24, v17, 3, v24
	ds_read_b64 v[24:25], v24 offset:17280
	ds_read_b64 v[26:27], v22 offset:16648
	s_waitcnt lgkmcnt(0)
	v_mul_f32_e32 v28, v27, v25
	v_mul_f32_e32 v25, v26, v25
	v_fma_f32 v26, v26, v24, -v28
	v_fmac_f32_e32 v25, v27, v24
	v_add_f32_e32 v21, v21, v26
	v_add_f32_e32 v23, v23, v25
.LBB58_754:
	s_or_b64 exec, exec, s[20:21]
	s_movk_i32 s14, 0xe0
	v_cmp_gt_u32_e64 s[14:15], s14, v1
	s_and_saveexec_b64 s[20:21], s[14:15]
	s_cbranch_execz .LBB58_756
; %bb.755:
	v_lshlrev_b32_e32 v24, 3, v20
	v_sub_u32_e32 v24, v22, v24
	v_lshl_add_u32 v24, v17, 3, v24
	ds_read_b64 v[24:25], v24 offset:17792
	ds_read_b64 v[26:27], v22 offset:16656
	s_waitcnt lgkmcnt(0)
	v_mul_f32_e32 v28, v27, v25
	v_mul_f32_e32 v25, v26, v25
	v_fma_f32 v26, v26, v24, -v28
	v_fmac_f32_e32 v25, v27, v24
	v_add_f32_e32 v21, v21, v26
	v_add_f32_e32 v23, v23, v25
.LBB58_756:
	s_or_b64 exec, exec, s[20:21]
	s_movk_i32 s14, 0xd0
	v_cmp_gt_u32_e64 s[14:15], s14, v1
	;; [unrolled: 19-line block ×6, first 2 shown]
	s_and_saveexec_b64 s[20:21], s[14:15]
	s_cbranch_execz .LBB58_766
; %bb.765:
	v_lshlrev_b32_e32 v20, 3, v17
	v_lshl_add_u32 v20, v19, 3, v20
	ds_read_b64 v[24:25], v20 offset:20352
	ds_read_b64 v[26:27], v22 offset:16696
	s_waitcnt lgkmcnt(0)
	v_mul_f32_e32 v20, v27, v25
	v_mul_f32_e32 v25, v26, v25
	v_fma_f32 v20, v26, v24, -v20
	v_fmac_f32_e32 v25, v27, v24
	v_add_f32_e32 v21, v21, v20
	v_add_f32_e32 v23, v23, v25
.LBB58_766:
	s_or_b64 exec, exec, s[20:21]
	s_movk_i32 s14, 0x80
	v_cmp_gt_u32_e64 s[14:15], s14, v1
	s_and_saveexec_b64 s[20:21], s[14:15]
	s_cbranch_execz .LBB58_768
; %bb.767:
	ds_read_b64 v[24:25], v16 offset:20864
	ds_read_b64 v[26:27], v22 offset:16704
	s_waitcnt lgkmcnt(0)
	v_mul_f32_e32 v20, v27, v25
	v_mul_f32_e32 v25, v26, v25
	v_fma_f32 v20, v26, v24, -v20
	v_fmac_f32_e32 v25, v27, v24
	v_add_f32_e32 v21, v21, v20
	v_add_f32_e32 v23, v23, v25
.LBB58_768:
	s_or_b64 exec, exec, s[20:21]
	s_movk_i32 s14, 0x70
	v_cmp_gt_u32_e64 s[14:15], s14, v1
	s_and_saveexec_b64 s[20:21], s[14:15]
	s_cbranch_execz .LBB58_770
; %bb.769:
	v_lshlrev_b32_e32 v20, 3, v17
	v_lshl_add_u32 v20, v19, 3, v20
	ds_read_b64 v[24:25], v20 offset:21376
	ds_read_b64 v[26:27], v22 offset:16712
	s_waitcnt lgkmcnt(0)
	v_mul_f32_e32 v20, v27, v25
	v_mul_f32_e32 v25, v26, v25
	v_fma_f32 v20, v26, v24, -v20
	v_fmac_f32_e32 v25, v27, v24
	v_add_f32_e32 v21, v21, v20
	v_add_f32_e32 v23, v23, v25
.LBB58_770:
	s_or_b64 exec, exec, s[20:21]
	s_movk_i32 s14, 0x60
	v_cmp_gt_u32_e64 s[14:15], s14, v1
	s_and_saveexec_b64 s[20:21], s[14:15]
	s_cbranch_execz .LBB58_772
; %bb.771:
	v_lshlrev_b32_e32 v20, 3, v17
	v_lshl_add_u32 v20, v19, 3, v20
	ds_read_b64 v[24:25], v20 offset:21888
	ds_read_b64 v[26:27], v22 offset:16720
	s_waitcnt lgkmcnt(0)
	v_mul_f32_e32 v20, v27, v25
	v_mul_f32_e32 v25, v26, v25
	v_fma_f32 v20, v26, v24, -v20
	v_fmac_f32_e32 v25, v27, v24
	v_add_f32_e32 v21, v21, v20
	v_add_f32_e32 v23, v23, v25
.LBB58_772:
	s_or_b64 exec, exec, s[20:21]
	s_movk_i32 s14, 0x50
	v_cmp_gt_u32_e64 s[14:15], s14, v1
	s_and_saveexec_b64 s[20:21], s[14:15]
	s_cbranch_execnz .LBB58_1090
; %bb.773:
	s_or_b64 exec, exec, s[20:21]
	v_cmp_gt_u32_e64 s[14:15], 64, v1
	s_and_saveexec_b64 s[20:21], s[14:15]
	s_cbranch_execnz .LBB58_1091
.LBB58_774:
	s_or_b64 exec, exec, s[20:21]
	v_cmp_gt_u32_e64 s[14:15], 48, v1
	s_and_saveexec_b64 s[20:21], s[14:15]
	s_cbranch_execnz .LBB58_1092
.LBB58_775:
	s_or_b64 exec, exec, s[20:21]
	v_cmp_gt_u32_e64 s[14:15], 32, v1
	s_and_saveexec_b64 s[20:21], s[14:15]
	s_cbranch_execnz .LBB58_1093
.LBB58_776:
	s_or_b64 exec, exec, s[20:21]
	v_cmp_gt_u32_e64 s[14:15], 16, v1
	s_and_saveexec_b64 s[20:21], s[14:15]
	s_cbranch_execz .LBB58_778
.LBB58_777:
	v_lshlrev_b32_e32 v19, 3, v0
	v_mov_b32_e32 v22, 0
	ds_read_b64 v[19:20], v19 offset:24448
	ds_read_b64 v[24:25], v22 offset:16760
	s_waitcnt lgkmcnt(0)
	v_mul_f32_e32 v22, v25, v20
	v_mul_f32_e32 v20, v24, v20
	v_fma_f32 v22, v24, v19, -v22
	v_fmac_f32_e32 v20, v25, v19
	v_add_f32_e32 v21, v21, v22
	v_add_f32_e32 v23, v23, v20
.LBB58_778:
	s_or_b64 exec, exec, s[20:21]
	v_xor_b32_e32 v22, 0x80000000, v21
	v_xor_b32_e32 v21, 0x80000000, v23
.LBB58_779:
	s_or_b64 exec, exec, s[16:17]
	s_mov_b64 s[14:15], exec
	v_readlane_b32 s16, v34, 3
	v_readlane_b32 s17, v34, 4
	s_and_b64 s[16:17], s[14:15], s[16:17]
	s_mov_b64 exec, s[16:17]
	s_cbranch_execz .LBB58_781
; %bb.780:
	v_mov_b32_e32 v19, 0
	ds_read_b64 v[19:20], v19 offset:24960
	s_waitcnt lgkmcnt(0)
	v_mul_f32_e32 v23, v22, v20
	v_mul_f32_e32 v24, v21, v20
	v_fmac_f32_e32 v23, v21, v19
	v_fma_f32 v22, v22, v19, -v24
	v_mov_b32_e32 v21, v23
	ds_write_b64 v18, v[22:23]
.LBB58_781:
	s_or_b64 exec, exec, s[14:15]
	s_waitcnt lgkmcnt(0)
	s_barrier
	s_mov_b64 s[14:15], exec
	v_readlane_b32 s16, v34, 5
	v_readlane_b32 s17, v34, 6
	s_and_b64 s[16:17], s[14:15], s[16:17]
	s_mov_b64 exec, s[16:17]
	s_cbranch_execz .LBB58_783
; %bb.782:
	v_lshlrev_b32_e32 v19, 3, v17
	ds_read_b64 v[19:20], v19 offset:24960
	ds_read_b64 v[23:24], v18
	s_waitcnt lgkmcnt(0)
	v_mul_f32_e32 v25, v24, v20
	v_mul_f32_e32 v20, v23, v20
	v_fma_f32 v23, v23, v19, -v25
	v_fmac_f32_e32 v20, v24, v19
	v_add_f32_e32 v22, v22, v23
	v_add_f32_e32 v21, v21, v20
.LBB58_783:
	s_or_b64 exec, exec, s[14:15]
	s_barrier
	s_mov_b64 s[14:15], exec
	v_readlane_b32 s16, v34, 7
	v_readlane_b32 s17, v34, 8
	s_and_b64 s[16:17], s[14:15], s[16:17]
	s_mov_b64 exec, s[16:17]
	s_cbranch_execz .LBB58_785
; %bb.784:
	v_mov_b32_e32 v19, 0
	ds_read_b64 v[19:20], v19 offset:25480
	s_waitcnt lgkmcnt(0)
	v_mul_f32_e32 v23, v22, v20
	v_mul_f32_e32 v24, v21, v20
	v_fmac_f32_e32 v23, v21, v19
	v_fma_f32 v22, v22, v19, -v24
	v_mov_b32_e32 v21, v23
	ds_write_b64 v18, v[22:23]
.LBB58_785:
	s_or_b64 exec, exec, s[14:15]
	s_waitcnt lgkmcnt(0)
	s_barrier
	s_mov_b64 s[14:15], exec
	v_readlane_b32 s16, v34, 9
	v_readlane_b32 s17, v34, 10
	s_and_b64 s[16:17], s[14:15], s[16:17]
	s_mov_b64 exec, s[16:17]
	s_cbranch_execz .LBB58_787
; %bb.786:
	v_lshlrev_b32_e32 v19, 3, v17
	ds_read_b64 v[19:20], v19 offset:25472
	ds_read_b64 v[23:24], v18
	s_waitcnt lgkmcnt(0)
	v_mul_f32_e32 v25, v24, v20
	v_mul_f32_e32 v20, v23, v20
	v_fma_f32 v23, v23, v19, -v25
	v_fmac_f32_e32 v20, v24, v19
	v_add_f32_e32 v22, v22, v23
	v_add_f32_e32 v21, v21, v20
.LBB58_787:
	s_or_b64 exec, exec, s[14:15]
	s_barrier
	;; [unrolled: 40-line block ×12, first 2 shown]
	s_mov_b64 s[14:15], exec
	v_readlane_b32 s16, v34, 51
	v_readlane_b32 s17, v34, 52
	s_and_b64 s[16:17], s[14:15], s[16:17]
	s_mov_b64 exec, s[16:17]
	s_cbranch_execz .LBB58_829
; %bb.828:
	v_mov_b32_e32 v19, 0
	ds_read_b64 v[19:20], v19 offset:31200
	s_waitcnt lgkmcnt(0)
	v_mul_f32_e32 v23, v22, v20
	v_mul_f32_e32 v24, v21, v20
	v_fmac_f32_e32 v23, v21, v19
	v_fma_f32 v22, v22, v19, -v24
	v_mov_b32_e32 v21, v23
	ds_write_b64 v18, v[22:23]
.LBB58_829:
	s_or_b64 exec, exec, s[14:15]
	s_waitcnt lgkmcnt(0)
	s_barrier
	s_and_saveexec_b64 s[14:15], s[26:27]
	s_cbranch_execz .LBB58_831
; %bb.830:
	v_lshlrev_b32_e32 v19, 3, v17
	ds_read_b64 v[19:20], v19 offset:31104
	ds_read_b64 v[23:24], v18
	s_waitcnt lgkmcnt(0)
	v_mul_f32_e32 v25, v24, v20
	v_mul_f32_e32 v20, v23, v20
	v_fma_f32 v23, v23, v19, -v25
	v_fmac_f32_e32 v20, v24, v19
	v_add_f32_e32 v22, v22, v23
	v_add_f32_e32 v21, v21, v20
.LBB58_831:
	s_or_b64 exec, exec, s[14:15]
	s_barrier
	s_and_saveexec_b64 s[14:15], s[84:85]
	s_cbranch_execz .LBB58_833
; %bb.832:
	v_mov_b32_e32 v19, 0
	ds_read_b64 v[19:20], v19 offset:31720
	s_waitcnt lgkmcnt(0)
	v_mul_f32_e32 v23, v22, v20
	v_mul_f32_e32 v24, v21, v20
	v_fmac_f32_e32 v23, v21, v19
	v_fma_f32 v22, v22, v19, -v24
	v_mov_b32_e32 v21, v23
	ds_write_b64 v18, v[22:23]
.LBB58_833:
	s_or_b64 exec, exec, s[14:15]
	s_waitcnt lgkmcnt(0)
	s_barrier
	s_and_saveexec_b64 s[14:15], s[86:87]
	s_cbranch_execz .LBB58_835
; %bb.834:
	v_lshlrev_b32_e32 v17, 3, v17
	ds_read_b64 v[19:20], v17 offset:31616
	ds_read_b64 v[23:24], v18
	s_waitcnt lgkmcnt(0)
	v_mul_f32_e32 v17, v24, v20
	v_mul_f32_e32 v20, v23, v20
	v_fma_f32 v17, v23, v19, -v17
	v_fmac_f32_e32 v20, v24, v19
	v_add_f32_e32 v22, v22, v17
	v_add_f32_e32 v21, v21, v20
.LBB58_835:
	s_or_b64 exec, exec, s[14:15]
	s_barrier
	s_and_saveexec_b64 s[14:15], s[90:91]
	s_cbranch_execz .LBB58_837
; %bb.836:
	v_mov_b32_e32 v17, 0
	ds_read_b64 v[19:20], v17 offset:32240
	s_waitcnt lgkmcnt(0)
	v_mul_f32_e32 v23, v22, v20
	v_mul_f32_e32 v17, v21, v20
	v_fmac_f32_e32 v23, v21, v19
	v_fma_f32 v22, v22, v19, -v17
	v_mov_b32_e32 v21, v23
	ds_write_b64 v18, v[22:23]
.LBB58_837:
	s_or_b64 exec, exec, s[14:15]
	s_waitcnt lgkmcnt(0)
	s_barrier
	s_and_saveexec_b64 s[14:15], s[88:89]
	s_cbranch_execz .LBB58_839
; %bb.838:
	v_mov_b32_e32 v17, 0
	ds_read_b64 v[19:20], v17 offset:32248
	ds_read_b64 v[23:24], v18
	s_waitcnt lgkmcnt(0)
	v_mul_f32_e32 v17, v24, v20
	v_mul_f32_e32 v20, v23, v20
	v_fma_f32 v17, v23, v19, -v17
	v_fmac_f32_e32 v20, v24, v19
	v_add_f32_e32 v22, v22, v17
	v_add_f32_e32 v21, v21, v20
.LBB58_839:
	s_or_b64 exec, exec, s[14:15]
	s_barrier
	s_and_saveexec_b64 s[14:15], s[88:89]
	s_cbranch_execz .LBB58_841
; %bb.840:
	v_mov_b32_e32 v17, 0
	ds_read_b64 v[19:20], v17 offset:32760
	s_waitcnt lgkmcnt(0)
	v_mul_f32_e32 v23, v22, v20
	v_mul_f32_e32 v17, v21, v20
	v_fmac_f32_e32 v23, v21, v19
	v_fma_f32 v22, v22, v19, -v17
	v_mov_b32_e32 v21, v23
	ds_write_b64 v18, v[22:23]
.LBB58_841:
	s_or_b64 exec, exec, s[14:15]
	s_waitcnt lgkmcnt(0)
	s_barrier
	s_barrier
	s_and_saveexec_b64 s[14:15], s[12:13]
; %bb.842:
	v_xor_b32_e32 v17, 0x80000000, v22
	v_xor_b32_e32 v18, 0x80000000, v21
	ds_write_b64 v16, v[17:18] offset:16768
; %bb.843:
	s_or_b64 exec, exec, s[14:15]
	s_waitcnt lgkmcnt(0)
	s_barrier
	s_barrier
	s_and_saveexec_b64 s[12:13], vcc
	s_cbranch_execz .LBB58_845
; %bb.844:
	v_mov_b32_e32 v22, 0
	ds_read_b128 v[16:19], v22 offset:24960
	ds_read_b64 v[20:21], v22 offset:25480
	s_waitcnt lgkmcnt(0)
	v_mul_f32_e32 v23, v21, v17
	v_mul_f32_e32 v24, v20, v17
	v_fma_f32 v20, v20, v16, -v23
	v_fmac_f32_e32 v24, v21, v16
	v_mul_f32_e32 v16, v24, v19
	v_mul_f32_e32 v17, v20, v19
	v_fma_f32 v16, v20, v18, -v16
	v_fmac_f32_e32 v17, v24, v18
	ds_write_b64 v22, v[16:17] offset:24968
.LBB58_845:
	s_or_b64 exec, exec, s[12:13]
	v_mov_b32_e32 v16, 0
	v_mov_b32_e32 v17, 0
	s_waitcnt lgkmcnt(0)
	s_barrier
	s_and_saveexec_b64 s[14:15], s[6:7]
	s_cbranch_execz .LBB58_849
; %bb.846:
	v_mul_u32_u24_e32 v18, 0x208, v5
	ds_read_b64 v[16:17], v3 offset:24976
	ds_read_b64 v[18:19], v18 offset:24960
	v_cmp_gt_u32_e64 s[12:13], 2, v1
	s_waitcnt lgkmcnt(0)
	v_mul_f32_e32 v20, v19, v17
	v_mul_f32_e32 v17, v18, v17
	v_fma_f32 v18, v18, v16, -v20
	v_fmac_f32_e32 v17, v19, v16
	v_add_f32_e32 v16, 0, v18
	v_add_f32_e32 v18, 0, v17
	s_and_saveexec_b64 s[16:17], s[12:13]
	s_cbranch_execz .LBB58_848
; %bb.847:
	v_lshlrev_b32_e32 v17, 3, v0
	v_mov_b32_e32 v21, 0
	ds_read_b64 v[19:20], v17 offset:25488
	ds_read_b64 v[21:22], v21 offset:24968
	s_waitcnt lgkmcnt(0)
	v_mul_f32_e32 v17, v22, v20
	v_mul_f32_e32 v20, v21, v20
	v_fma_f32 v17, v21, v19, -v17
	v_fmac_f32_e32 v20, v22, v19
	v_add_f32_e32 v16, v16, v17
	v_add_f32_e32 v18, v18, v20
.LBB58_848:
	s_or_b64 exec, exec, s[16:17]
	v_xor_b32_e32 v17, 0x80000000, v16
	v_xor_b32_e32 v16, 0x80000000, v18
.LBB58_849:
	s_or_b64 exec, exec, s[14:15]
	s_and_saveexec_b64 s[12:13], s[34:35]
	s_cbranch_execz .LBB58_851
; %bb.850:
	v_mov_b32_e32 v18, 0
	ds_read_b64 v[18:19], v18 offset:26000
	s_waitcnt lgkmcnt(0)
	v_mul_f32_e32 v21, v16, v19
	v_mul_f32_e32 v20, v17, v19
	v_fma_f32 v19, v17, v18, -v21
	v_fmac_f32_e32 v20, v16, v18
	v_mov_b32_e32 v17, v19
	v_mov_b32_e32 v16, v20
	ds_write_b64 v4, v[19:20]
.LBB58_851:
	s_or_b64 exec, exec, s[12:13]
	s_waitcnt lgkmcnt(0)
	s_barrier
	s_and_saveexec_b64 s[12:13], s[30:31]
	s_cbranch_execz .LBB58_853
; %bb.852:
	v_mov_b32_e32 v18, 0
	ds_read_b64 v[18:19], v18 offset:26008
	ds_read_b64 v[20:21], v4
	s_waitcnt lgkmcnt(0)
	v_mul_f32_e32 v22, v21, v19
	v_mul_f32_e32 v19, v20, v19
	v_fma_f32 v20, v20, v18, -v22
	v_fmac_f32_e32 v19, v21, v18
	v_add_f32_e32 v17, v17, v20
	v_add_f32_e32 v16, v16, v19
.LBB58_853:
	s_or_b64 exec, exec, s[12:13]
	s_barrier
	s_and_saveexec_b64 s[12:13], s[30:31]
	s_cbranch_execz .LBB58_855
; %bb.854:
	v_mov_b32_e32 v18, 0
	ds_read_b64 v[18:19], v18 offset:26520
	s_waitcnt lgkmcnt(0)
	v_mul_f32_e32 v21, v16, v19
	v_mul_f32_e32 v20, v17, v19
	v_fma_f32 v19, v17, v18, -v21
	v_fmac_f32_e32 v20, v16, v18
	v_mov_b32_e32 v17, v19
	v_mov_b32_e32 v16, v20
	ds_write_b64 v4, v[19:20]
.LBB58_855:
	s_or_b64 exec, exec, s[12:13]
	s_waitcnt lgkmcnt(0)
	s_barrier
	s_barrier
	s_and_saveexec_b64 s[12:13], s[6:7]
; %bb.856:
	v_xor_b32_e32 v18, 0x80000000, v16
	v_xor_b32_e32 v17, 0x80000000, v17
	ds_write_b64 v3, v[17:18] offset:24976
; %bb.857:
	s_or_b64 exec, exec, s[12:13]
	s_waitcnt lgkmcnt(0)
	s_barrier
	s_barrier
	s_and_saveexec_b64 s[12:13], vcc
	s_cbranch_execz .LBB58_859
; %bb.858:
	v_mov_b32_e32 v22, 0
	ds_read_b128 v[16:19], v22 offset:26000
	ds_read_b64 v[20:21], v22 offset:26520
	s_waitcnt lgkmcnt(0)
	v_mul_f32_e32 v23, v21, v17
	v_mul_f32_e32 v24, v20, v17
	v_fma_f32 v20, v20, v16, -v23
	v_fmac_f32_e32 v24, v21, v16
	v_mul_f32_e32 v16, v24, v19
	v_mul_f32_e32 v17, v20, v19
	v_fma_f32 v16, v20, v18, -v16
	v_fmac_f32_e32 v17, v24, v18
	ds_write_b64 v22, v[16:17] offset:26008
.LBB58_859:
	s_or_b64 exec, exec, s[12:13]
	v_mov_b32_e32 v16, 0
	v_mov_b32_e32 v17, 0
	s_waitcnt lgkmcnt(0)
	s_barrier
	s_and_saveexec_b64 s[14:15], s[18:19]
	s_cbranch_execz .LBB58_865
; %bb.860:
	v_mul_u32_u24_e32 v17, 0x208, v10
	ds_read_b64 v[18:19], v6 offset:24992
	ds_read_b64 v[20:21], v17 offset:24960
	v_cmp_gt_u32_e64 s[12:13], 12, v1
	s_waitcnt lgkmcnt(0)
	v_mul_f32_e32 v16, v21, v19
	v_mul_f32_e32 v19, v20, v19
	v_fma_f32 v16, v20, v18, -v16
	v_fmac_f32_e32 v19, v21, v18
	v_add_f32_e32 v16, 0, v16
	v_add_f32_e32 v18, 0, v19
	s_and_saveexec_b64 s[16:17], s[12:13]
	s_cbranch_execnz .LBB58_1094
; %bb.861:
	s_or_b64 exec, exec, s[16:17]
	v_cmp_gt_u32_e64 s[12:13], 8, v1
	s_and_saveexec_b64 s[16:17], s[12:13]
	s_cbranch_execnz .LBB58_1095
.LBB58_862:
	s_or_b64 exec, exec, s[16:17]
	v_cmp_gt_u32_e64 s[12:13], 4, v1
	s_and_saveexec_b64 s[16:17], s[12:13]
	s_cbranch_execz .LBB58_864
.LBB58_863:
	v_lshlrev_b32_e32 v17, 3, v0
	v_mov_b32_e32 v21, 0
	ds_read_b64 v[19:20], v17 offset:26528
	ds_read_b64 v[21:22], v21 offset:24984
	s_waitcnt lgkmcnt(0)
	v_mul_f32_e32 v17, v22, v20
	v_mul_f32_e32 v20, v21, v20
	v_fma_f32 v17, v21, v19, -v17
	v_fmac_f32_e32 v20, v22, v19
	v_add_f32_e32 v16, v16, v17
	v_add_f32_e32 v18, v18, v20
.LBB58_864:
	s_or_b64 exec, exec, s[16:17]
	v_xor_b32_e32 v17, 0x80000000, v16
	v_xor_b32_e32 v16, 0x80000000, v18
.LBB58_865:
	s_or_b64 exec, exec, s[14:15]
	s_and_saveexec_b64 s[12:13], s[38:39]
	s_cbranch_execz .LBB58_867
; %bb.866:
	v_mov_b32_e32 v18, 0
	ds_read_b64 v[18:19], v18 offset:27040
	s_waitcnt lgkmcnt(0)
	v_mul_f32_e32 v21, v16, v19
	v_mul_f32_e32 v20, v17, v19
	v_fma_f32 v19, v17, v18, -v21
	v_fmac_f32_e32 v20, v16, v18
	v_mov_b32_e32 v17, v19
	v_mov_b32_e32 v16, v20
	ds_write_b64 v8, v[19:20]
.LBB58_867:
	s_or_b64 exec, exec, s[12:13]
	s_waitcnt lgkmcnt(0)
	s_barrier
	s_and_saveexec_b64 s[12:13], s[42:43]
	s_cbranch_execz .LBB58_869
; %bb.868:
	ds_read_b64 v[18:19], v7 offset:27040
	ds_read_b64 v[20:21], v8
	s_waitcnt lgkmcnt(0)
	v_mul_f32_e32 v22, v21, v19
	v_mul_f32_e32 v19, v20, v19
	v_fma_f32 v20, v20, v18, -v22
	v_fmac_f32_e32 v19, v21, v18
	v_add_f32_e32 v17, v17, v20
	v_add_f32_e32 v16, v16, v19
.LBB58_869:
	s_or_b64 exec, exec, s[12:13]
	s_barrier
	s_and_saveexec_b64 s[12:13], s[44:45]
	s_cbranch_execz .LBB58_871
; %bb.870:
	v_mov_b32_e32 v18, 0
	ds_read_b64 v[18:19], v18 offset:27560
	s_waitcnt lgkmcnt(0)
	v_mul_f32_e32 v21, v16, v19
	v_mul_f32_e32 v20, v17, v19
	v_fma_f32 v19, v17, v18, -v21
	v_fmac_f32_e32 v20, v16, v18
	v_mov_b32_e32 v17, v19
	v_mov_b32_e32 v16, v20
	ds_write_b64 v8, v[19:20]
.LBB58_871:
	s_or_b64 exec, exec, s[12:13]
	s_waitcnt lgkmcnt(0)
	s_barrier
	s_and_saveexec_b64 s[12:13], s[52:53]
	s_cbranch_execz .LBB58_873
; %bb.872:
	ds_read_b64 v[18:19], v7 offset:27552
	ds_read_b64 v[20:21], v8
	s_waitcnt lgkmcnt(0)
	v_mul_f32_e32 v22, v21, v19
	v_mul_f32_e32 v19, v20, v19
	v_fma_f32 v20, v20, v18, -v22
	v_fmac_f32_e32 v19, v21, v18
	v_add_f32_e32 v17, v17, v20
	v_add_f32_e32 v16, v16, v19
.LBB58_873:
	s_or_b64 exec, exec, s[12:13]
	s_barrier
	s_and_saveexec_b64 s[12:13], s[54:55]
	s_cbranch_execz .LBB58_875
; %bb.874:
	v_mov_b32_e32 v18, 0
	ds_read_b64 v[18:19], v18 offset:28080
	s_waitcnt lgkmcnt(0)
	v_mul_f32_e32 v21, v16, v19
	v_mul_f32_e32 v20, v17, v19
	v_fma_f32 v19, v17, v18, -v21
	v_fmac_f32_e32 v20, v16, v18
	v_mov_b32_e32 v17, v19
	v_mov_b32_e32 v16, v20
	ds_write_b64 v8, v[19:20]
.LBB58_875:
	s_or_b64 exec, exec, s[12:13]
	s_waitcnt lgkmcnt(0)
	s_barrier
	s_and_saveexec_b64 s[12:13], s[36:37]
	s_cbranch_execz .LBB58_877
; %bb.876:
	v_mov_b32_e32 v18, 0
	ds_read_b64 v[18:19], v18 offset:28088
	ds_read_b64 v[20:21], v8
	s_waitcnt lgkmcnt(0)
	v_mul_f32_e32 v22, v21, v19
	v_mul_f32_e32 v19, v20, v19
	v_fma_f32 v20, v20, v18, -v22
	v_fmac_f32_e32 v19, v21, v18
	v_add_f32_e32 v17, v17, v20
	v_add_f32_e32 v16, v16, v19
.LBB58_877:
	s_or_b64 exec, exec, s[12:13]
	s_barrier
	s_and_saveexec_b64 s[12:13], s[36:37]
	s_cbranch_execz .LBB58_879
; %bb.878:
	v_mov_b32_e32 v18, 0
	ds_read_b64 v[18:19], v18 offset:28600
	s_waitcnt lgkmcnt(0)
	v_mul_f32_e32 v21, v16, v19
	v_mul_f32_e32 v20, v17, v19
	v_fma_f32 v19, v17, v18, -v21
	v_fmac_f32_e32 v20, v16, v18
	v_mov_b32_e32 v17, v19
	v_mov_b32_e32 v16, v20
	ds_write_b64 v8, v[19:20]
.LBB58_879:
	s_or_b64 exec, exec, s[12:13]
	s_waitcnt lgkmcnt(0)
	s_barrier
	s_barrier
	s_and_saveexec_b64 s[12:13], s[18:19]
; %bb.880:
	v_xor_b32_e32 v17, 0x80000000, v17
	v_xor_b32_e32 v18, 0x80000000, v16
	ds_write_b64 v6, v[17:18] offset:24992
; %bb.881:
	s_or_b64 exec, exec, s[12:13]
	s_waitcnt lgkmcnt(0)
	s_barrier
	s_barrier
	s_and_saveexec_b64 s[12:13], vcc
	s_cbranch_execz .LBB58_883
; %bb.882:
	v_mov_b32_e32 v22, 0
	ds_read_b128 v[16:19], v22 offset:27040
	ds_read_b64 v[20:21], v22 offset:27560
	s_waitcnt lgkmcnt(0)
	v_mul_f32_e32 v23, v21, v17
	v_mul_f32_e32 v24, v20, v17
	v_fma_f32 v20, v20, v16, -v23
	v_fmac_f32_e32 v24, v21, v16
	v_mul_f32_e32 v16, v24, v19
	v_mul_f32_e32 v17, v20, v19
	v_fma_f32 v16, v20, v18, -v16
	v_fmac_f32_e32 v17, v24, v18
	ds_write_b64 v22, v[16:17] offset:27048
.LBB58_883:
	s_or_b64 exec, exec, s[12:13]
	v_mov_b32_e32 v16, 0
	v_mov_b32_e32 v17, 0
	s_waitcnt lgkmcnt(0)
	s_barrier
	s_and_saveexec_b64 s[14:15], s[6:7]
	s_cbranch_execz .LBB58_887
; %bb.884:
	v_mul_u32_u24_e32 v18, 0x208, v5
	ds_read_b64 v[16:17], v3 offset:27056
	ds_read_b64 v[18:19], v18 offset:27040
	v_cmp_gt_u32_e64 s[12:13], 2, v1
	s_waitcnt lgkmcnt(0)
	v_mul_f32_e32 v20, v19, v17
	v_mul_f32_e32 v17, v18, v17
	v_fma_f32 v18, v18, v16, -v20
	v_fmac_f32_e32 v17, v19, v16
	v_add_f32_e32 v16, 0, v18
	v_add_f32_e32 v18, 0, v17
	s_and_saveexec_b64 s[16:17], s[12:13]
	s_cbranch_execz .LBB58_886
; %bb.885:
	v_lshlrev_b32_e32 v17, 3, v0
	v_mov_b32_e32 v21, 0
	ds_read_b64 v[19:20], v17 offset:27568
	ds_read_b64 v[21:22], v21 offset:27048
	s_waitcnt lgkmcnt(0)
	v_mul_f32_e32 v17, v22, v20
	v_mul_f32_e32 v20, v21, v20
	v_fma_f32 v17, v21, v19, -v17
	v_fmac_f32_e32 v20, v22, v19
	v_add_f32_e32 v16, v16, v17
	v_add_f32_e32 v18, v18, v20
.LBB58_886:
	s_or_b64 exec, exec, s[16:17]
	v_xor_b32_e32 v17, 0x80000000, v16
	v_xor_b32_e32 v16, 0x80000000, v18
.LBB58_887:
	s_or_b64 exec, exec, s[14:15]
	s_and_saveexec_b64 s[12:13], s[34:35]
	s_cbranch_execz .LBB58_889
; %bb.888:
	v_mov_b32_e32 v18, 0
	ds_read_b64 v[18:19], v18 offset:28080
	s_waitcnt lgkmcnt(0)
	v_mul_f32_e32 v21, v16, v19
	v_mul_f32_e32 v20, v17, v19
	v_fma_f32 v19, v17, v18, -v21
	v_fmac_f32_e32 v20, v16, v18
	v_mov_b32_e32 v17, v19
	v_mov_b32_e32 v16, v20
	ds_write_b64 v4, v[19:20]
.LBB58_889:
	s_or_b64 exec, exec, s[12:13]
	s_waitcnt lgkmcnt(0)
	s_barrier
	s_and_saveexec_b64 s[12:13], s[30:31]
	s_cbranch_execz .LBB58_891
; %bb.890:
	v_mov_b32_e32 v18, 0
	ds_read_b64 v[18:19], v18 offset:28088
	ds_read_b64 v[20:21], v4
	s_waitcnt lgkmcnt(0)
	v_mul_f32_e32 v22, v21, v19
	v_mul_f32_e32 v19, v20, v19
	v_fma_f32 v20, v20, v18, -v22
	v_fmac_f32_e32 v19, v21, v18
	v_add_f32_e32 v17, v17, v20
	v_add_f32_e32 v16, v16, v19
.LBB58_891:
	s_or_b64 exec, exec, s[12:13]
	s_barrier
	s_and_saveexec_b64 s[12:13], s[30:31]
	s_cbranch_execz .LBB58_893
; %bb.892:
	v_mov_b32_e32 v18, 0
	ds_read_b64 v[18:19], v18 offset:28600
	s_waitcnt lgkmcnt(0)
	v_mul_f32_e32 v21, v16, v19
	v_mul_f32_e32 v20, v17, v19
	v_fma_f32 v19, v17, v18, -v21
	v_fmac_f32_e32 v20, v16, v18
	v_mov_b32_e32 v17, v19
	v_mov_b32_e32 v16, v20
	ds_write_b64 v4, v[19:20]
.LBB58_893:
	s_or_b64 exec, exec, s[12:13]
	s_waitcnt lgkmcnt(0)
	s_barrier
	s_barrier
	s_and_saveexec_b64 s[12:13], s[6:7]
; %bb.894:
	v_xor_b32_e32 v18, 0x80000000, v16
	v_xor_b32_e32 v17, 0x80000000, v17
	ds_write_b64 v3, v[17:18] offset:27056
; %bb.895:
	s_or_b64 exec, exec, s[12:13]
	s_waitcnt lgkmcnt(0)
	s_barrier
	s_barrier
	s_and_saveexec_b64 s[12:13], vcc
	s_cbranch_execz .LBB58_897
; %bb.896:
	v_mov_b32_e32 v22, 0
	ds_read_b128 v[16:19], v22 offset:28080
	ds_read_b64 v[20:21], v22 offset:28600
	s_waitcnt lgkmcnt(0)
	v_mul_f32_e32 v23, v21, v17
	v_mul_f32_e32 v24, v20, v17
	v_fma_f32 v20, v20, v16, -v23
	v_fmac_f32_e32 v24, v21, v16
	v_mul_f32_e32 v16, v24, v19
	v_mul_f32_e32 v17, v20, v19
	v_fma_f32 v16, v20, v18, -v16
	v_fmac_f32_e32 v17, v24, v18
	ds_write_b64 v22, v[16:17] offset:28088
.LBB58_897:
	s_or_b64 exec, exec, s[12:13]
	v_mov_b32_e32 v16, 0
	v_mov_b32_e32 v17, 0
	s_waitcnt lgkmcnt(0)
	s_barrier
	s_and_saveexec_b64 s[14:15], s[10:11]
	s_cbranch_execz .LBB58_907
; %bb.898:
	v_mul_u32_u24_e32 v17, 0x208, v15
	ds_read_b64 v[18:19], v11 offset:25024
	ds_read_b64 v[20:21], v17 offset:24960
	v_cmp_gt_u32_e64 s[12:13], 56, v1
	s_waitcnt lgkmcnt(0)
	v_mul_f32_e32 v16, v21, v19
	v_mul_f32_e32 v19, v20, v19
	v_fma_f32 v16, v20, v18, -v16
	v_fmac_f32_e32 v19, v21, v18
	v_add_f32_e32 v16, 0, v16
	v_add_f32_e32 v18, 0, v19
	s_and_saveexec_b64 s[16:17], s[12:13]
	s_cbranch_execnz .LBB58_1096
; %bb.899:
	s_or_b64 exec, exec, s[16:17]
	v_cmp_gt_u32_e64 s[12:13], 48, v1
	s_and_saveexec_b64 s[16:17], s[12:13]
	s_cbranch_execnz .LBB58_1097
.LBB58_900:
	s_or_b64 exec, exec, s[16:17]
	v_cmp_gt_u32_e64 s[12:13], 40, v1
	s_and_saveexec_b64 s[16:17], s[12:13]
	s_cbranch_execnz .LBB58_1098
.LBB58_901:
	s_or_b64 exec, exec, s[16:17]
	v_cmp_gt_u32_e64 s[12:13], 32, v1
	s_and_saveexec_b64 s[16:17], s[12:13]
	s_cbranch_execnz .LBB58_1099
.LBB58_902:
	s_or_b64 exec, exec, s[16:17]
	v_cmp_gt_u32_e64 s[12:13], 24, v1
	s_and_saveexec_b64 s[16:17], s[12:13]
	s_cbranch_execnz .LBB58_1100
.LBB58_903:
	s_or_b64 exec, exec, s[16:17]
	v_cmp_gt_u32_e64 s[12:13], 16, v1
	s_and_saveexec_b64 s[16:17], s[12:13]
	s_cbranch_execnz .LBB58_1101
.LBB58_904:
	s_or_b64 exec, exec, s[16:17]
	v_cmp_gt_u32_e64 s[12:13], 8, v1
	s_and_saveexec_b64 s[16:17], s[12:13]
	s_cbranch_execz .LBB58_906
.LBB58_905:
	v_lshlrev_b32_e32 v14, 3, v0
	v_mov_b32_e32 v17, 0
	ds_read_b64 v[14:15], v14 offset:28608
	ds_read_b64 v[19:20], v17 offset:25016
	s_waitcnt lgkmcnt(0)
	v_mul_f32_e32 v17, v20, v15
	v_mul_f32_e32 v15, v19, v15
	v_fma_f32 v17, v19, v14, -v17
	v_fmac_f32_e32 v15, v20, v14
	v_add_f32_e32 v16, v16, v17
	v_add_f32_e32 v18, v18, v15
.LBB58_906:
	s_or_b64 exec, exec, s[16:17]
	v_xor_b32_e32 v17, 0x80000000, v16
	v_xor_b32_e32 v16, 0x80000000, v18
.LBB58_907:
	s_or_b64 exec, exec, s[14:15]
	s_and_saveexec_b64 s[12:13], s[58:59]
	s_cbranch_execz .LBB58_909
; %bb.908:
	v_mov_b32_e32 v14, 0
	ds_read_b64 v[14:15], v14 offset:29120
	s_waitcnt lgkmcnt(0)
	v_mul_f32_e32 v18, v17, v15
	v_mul_f32_e32 v19, v16, v15
	v_fmac_f32_e32 v18, v16, v14
	v_fma_f32 v17, v17, v14, -v19
	v_mov_b32_e32 v16, v18
	ds_write_b64 v13, v[17:18]
.LBB58_909:
	s_or_b64 exec, exec, s[12:13]
	s_waitcnt lgkmcnt(0)
	s_barrier
	s_and_saveexec_b64 s[12:13], s[60:61]
	v_readlane_b32 s58, v34, 2
	s_cbranch_execz .LBB58_911
; %bb.910:
	ds_read_b64 v[14:15], v12 offset:29120
	ds_read_b64 v[18:19], v13
	s_waitcnt lgkmcnt(0)
	v_mul_f32_e32 v20, v19, v15
	v_mul_f32_e32 v15, v18, v15
	v_fma_f32 v18, v18, v14, -v20
	v_fmac_f32_e32 v15, v19, v14
	v_add_f32_e32 v17, v17, v18
	v_add_f32_e32 v16, v16, v15
.LBB58_911:
	s_or_b64 exec, exec, s[12:13]
	s_barrier
	s_and_saveexec_b64 s[12:13], s[62:63]
	s_cbranch_execz .LBB58_913
; %bb.912:
	v_mov_b32_e32 v14, 0
	ds_read_b64 v[14:15], v14 offset:29640
	s_waitcnt lgkmcnt(0)
	v_mul_f32_e32 v18, v17, v15
	v_mul_f32_e32 v19, v16, v15
	v_fmac_f32_e32 v18, v16, v14
	v_fma_f32 v17, v17, v14, -v19
	v_mov_b32_e32 v16, v18
	ds_write_b64 v13, v[17:18]
.LBB58_913:
	s_or_b64 exec, exec, s[12:13]
	s_waitcnt lgkmcnt(0)
	s_barrier
	s_and_saveexec_b64 s[12:13], s[64:65]
	s_cbranch_execz .LBB58_915
; %bb.914:
	ds_read_b64 v[14:15], v12 offset:29632
	ds_read_b64 v[18:19], v13
	s_waitcnt lgkmcnt(0)
	v_mul_f32_e32 v20, v19, v15
	v_mul_f32_e32 v15, v18, v15
	v_fma_f32 v18, v18, v14, -v20
	v_fmac_f32_e32 v15, v19, v14
	v_add_f32_e32 v17, v17, v18
	v_add_f32_e32 v16, v16, v15
.LBB58_915:
	s_or_b64 exec, exec, s[12:13]
	s_barrier
	s_and_saveexec_b64 s[12:13], s[66:67]
	s_cbranch_execz .LBB58_917
; %bb.916:
	v_mov_b32_e32 v14, 0
	ds_read_b64 v[14:15], v14 offset:30160
	s_waitcnt lgkmcnt(0)
	v_mul_f32_e32 v18, v17, v15
	v_mul_f32_e32 v19, v16, v15
	v_fmac_f32_e32 v18, v16, v14
	v_fma_f32 v17, v17, v14, -v19
	v_mov_b32_e32 v16, v18
	ds_write_b64 v13, v[17:18]
.LBB58_917:
	s_or_b64 exec, exec, s[12:13]
	s_waitcnt lgkmcnt(0)
	s_barrier
	s_and_saveexec_b64 s[12:13], s[68:69]
	;; [unrolled: 31-line block ×6, first 2 shown]
	s_cbranch_execz .LBB58_935
; %bb.934:
	v_mov_b32_e32 v12, 0
	ds_read_b64 v[14:15], v12 offset:32248
	ds_read_b64 v[18:19], v13
	s_waitcnt lgkmcnt(0)
	v_mul_f32_e32 v12, v19, v15
	v_mul_f32_e32 v15, v18, v15
	v_fma_f32 v12, v18, v14, -v12
	v_fmac_f32_e32 v15, v19, v14
	v_add_f32_e32 v17, v17, v12
	v_add_f32_e32 v16, v16, v15
.LBB58_935:
	s_or_b64 exec, exec, s[12:13]
	s_barrier
	s_and_saveexec_b64 s[12:13], s[56:57]
	s_cbranch_execz .LBB58_937
; %bb.936:
	v_mov_b32_e32 v12, 0
	ds_read_b64 v[14:15], v12 offset:32760
	s_waitcnt lgkmcnt(0)
	v_mul_f32_e32 v18, v17, v15
	v_mul_f32_e32 v12, v16, v15
	v_fmac_f32_e32 v18, v16, v14
	v_fma_f32 v17, v17, v14, -v12
	v_mov_b32_e32 v16, v18
	ds_write_b64 v13, v[17:18]
.LBB58_937:
	s_or_b64 exec, exec, s[12:13]
	s_waitcnt lgkmcnt(0)
	s_barrier
	s_barrier
	s_and_saveexec_b64 s[12:13], s[10:11]
; %bb.938:
	v_xor_b32_e32 v13, 0x80000000, v16
	v_xor_b32_e32 v12, 0x80000000, v17
	ds_write_b64 v11, v[12:13] offset:25024
; %bb.939:
	s_or_b64 exec, exec, s[12:13]
	s_waitcnt lgkmcnt(0)
	s_barrier
	s_barrier
	s_and_saveexec_b64 s[10:11], vcc
	s_cbranch_execz .LBB58_941
; %bb.940:
	v_mov_b32_e32 v17, 0
	ds_read_b128 v[11:14], v17 offset:29120
	ds_read_b64 v[15:16], v17 offset:29640
	s_waitcnt lgkmcnt(0)
	v_mul_f32_e32 v18, v16, v12
	v_mul_f32_e32 v19, v15, v12
	v_fma_f32 v15, v15, v11, -v18
	v_fmac_f32_e32 v19, v16, v11
	v_mul_f32_e32 v11, v19, v14
	v_mul_f32_e32 v12, v15, v14
	v_fma_f32 v11, v15, v13, -v11
	v_fmac_f32_e32 v12, v19, v13
	ds_write_b64 v17, v[11:12] offset:29128
.LBB58_941:
	s_or_b64 exec, exec, s[10:11]
	v_mov_b32_e32 v11, 0
	v_mov_b32_e32 v12, 0
	s_waitcnt lgkmcnt(0)
	s_barrier
	s_and_saveexec_b64 s[12:13], s[6:7]
	s_cbranch_execz .LBB58_945
; %bb.942:
	v_mul_u32_u24_e32 v13, 0x208, v5
	ds_read_b64 v[11:12], v3 offset:29136
	ds_read_b64 v[13:14], v13 offset:29120
	v_cmp_gt_u32_e64 s[10:11], 2, v1
	s_waitcnt lgkmcnt(0)
	v_mul_f32_e32 v15, v14, v12
	v_mul_f32_e32 v12, v13, v12
	v_fma_f32 v13, v13, v11, -v15
	v_fmac_f32_e32 v12, v14, v11
	v_add_f32_e32 v11, 0, v13
	v_add_f32_e32 v13, 0, v12
	s_and_saveexec_b64 s[14:15], s[10:11]
	s_cbranch_execz .LBB58_944
; %bb.943:
	v_lshlrev_b32_e32 v12, 3, v0
	v_mov_b32_e32 v16, 0
	ds_read_b64 v[14:15], v12 offset:29648
	ds_read_b64 v[16:17], v16 offset:29128
	s_waitcnt lgkmcnt(0)
	v_mul_f32_e32 v12, v17, v15
	v_mul_f32_e32 v15, v16, v15
	v_fma_f32 v12, v16, v14, -v12
	v_fmac_f32_e32 v15, v17, v14
	v_add_f32_e32 v11, v11, v12
	v_add_f32_e32 v13, v13, v15
.LBB58_944:
	s_or_b64 exec, exec, s[14:15]
	v_xor_b32_e32 v12, 0x80000000, v11
	v_xor_b32_e32 v11, 0x80000000, v13
.LBB58_945:
	s_or_b64 exec, exec, s[12:13]
	s_and_saveexec_b64 s[10:11], s[34:35]
	s_cbranch_execz .LBB58_947
; %bb.946:
	v_mov_b32_e32 v13, 0
	ds_read_b64 v[13:14], v13 offset:30160
	s_waitcnt lgkmcnt(0)
	v_mul_f32_e32 v16, v11, v14
	v_mul_f32_e32 v15, v12, v14
	v_fma_f32 v14, v12, v13, -v16
	v_fmac_f32_e32 v15, v11, v13
	v_mov_b32_e32 v12, v14
	v_mov_b32_e32 v11, v15
	ds_write_b64 v4, v[14:15]
.LBB58_947:
	s_or_b64 exec, exec, s[10:11]
	s_waitcnt lgkmcnt(0)
	s_barrier
	s_and_saveexec_b64 s[10:11], s[30:31]
	s_cbranch_execz .LBB58_949
; %bb.948:
	v_mov_b32_e32 v13, 0
	ds_read_b64 v[13:14], v13 offset:30168
	ds_read_b64 v[15:16], v4
	s_waitcnt lgkmcnt(0)
	v_mul_f32_e32 v17, v16, v14
	v_mul_f32_e32 v14, v15, v14
	v_fma_f32 v15, v15, v13, -v17
	v_fmac_f32_e32 v14, v16, v13
	v_add_f32_e32 v12, v12, v15
	v_add_f32_e32 v11, v11, v14
.LBB58_949:
	s_or_b64 exec, exec, s[10:11]
	s_barrier
	s_and_saveexec_b64 s[10:11], s[30:31]
	s_cbranch_execz .LBB58_951
; %bb.950:
	v_mov_b32_e32 v13, 0
	ds_read_b64 v[13:14], v13 offset:30680
	s_waitcnt lgkmcnt(0)
	v_mul_f32_e32 v16, v11, v14
	v_mul_f32_e32 v15, v12, v14
	v_fma_f32 v14, v12, v13, -v16
	v_fmac_f32_e32 v15, v11, v13
	v_mov_b32_e32 v12, v14
	v_mov_b32_e32 v11, v15
	ds_write_b64 v4, v[14:15]
.LBB58_951:
	s_or_b64 exec, exec, s[10:11]
	s_waitcnt lgkmcnt(0)
	s_barrier
	s_barrier
	s_and_saveexec_b64 s[10:11], s[6:7]
; %bb.952:
	v_xor_b32_e32 v13, 0x80000000, v11
	v_xor_b32_e32 v12, 0x80000000, v12
	ds_write_b64 v3, v[12:13] offset:29136
; %bb.953:
	s_or_b64 exec, exec, s[10:11]
	s_waitcnt lgkmcnt(0)
	s_barrier
	s_barrier
	s_and_saveexec_b64 s[10:11], vcc
	s_cbranch_execz .LBB58_955
; %bb.954:
	v_mov_b32_e32 v17, 0
	ds_read_b128 v[11:14], v17 offset:30160
	ds_read_b64 v[15:16], v17 offset:30680
	s_waitcnt lgkmcnt(0)
	v_mul_f32_e32 v18, v16, v12
	v_mul_f32_e32 v19, v15, v12
	v_fma_f32 v15, v15, v11, -v18
	v_fmac_f32_e32 v19, v16, v11
	v_mul_f32_e32 v11, v19, v14
	v_mul_f32_e32 v12, v15, v14
	v_fma_f32 v11, v15, v13, -v11
	v_fmac_f32_e32 v12, v19, v13
	ds_write_b64 v17, v[11:12] offset:30168
.LBB58_955:
	s_or_b64 exec, exec, s[10:11]
	v_mov_b32_e32 v11, 0
	v_mov_b32_e32 v12, 0
	s_waitcnt lgkmcnt(0)
	s_barrier
	s_and_saveexec_b64 s[12:13], s[18:19]
	s_cbranch_execz .LBB58_961
; %bb.956:
	v_mul_u32_u24_e32 v12, 0x208, v10
	ds_read_b64 v[13:14], v6 offset:29152
	ds_read_b64 v[15:16], v12 offset:29120
	v_cmp_gt_u32_e64 s[10:11], 12, v1
	s_waitcnt lgkmcnt(0)
	v_mul_f32_e32 v11, v16, v14
	v_mul_f32_e32 v14, v15, v14
	v_fma_f32 v11, v15, v13, -v11
	v_fmac_f32_e32 v14, v16, v13
	v_add_f32_e32 v11, 0, v11
	v_add_f32_e32 v13, 0, v14
	s_and_saveexec_b64 s[14:15], s[10:11]
	s_cbranch_execnz .LBB58_1102
; %bb.957:
	s_or_b64 exec, exec, s[14:15]
	v_cmp_gt_u32_e64 s[10:11], 8, v1
	s_and_saveexec_b64 s[14:15], s[10:11]
	s_cbranch_execnz .LBB58_1103
.LBB58_958:
	s_or_b64 exec, exec, s[14:15]
	v_cmp_gt_u32_e64 s[10:11], 4, v1
	s_and_saveexec_b64 s[14:15], s[10:11]
	s_cbranch_execz .LBB58_960
.LBB58_959:
	v_lshlrev_b32_e32 v9, 3, v0
	v_mov_b32_e32 v12, 0
	ds_read_b64 v[9:10], v9 offset:30688
	ds_read_b64 v[14:15], v12 offset:29144
	s_waitcnt lgkmcnt(0)
	v_mul_f32_e32 v12, v15, v10
	v_mul_f32_e32 v10, v14, v10
	v_fma_f32 v12, v14, v9, -v12
	v_fmac_f32_e32 v10, v15, v9
	v_add_f32_e32 v11, v11, v12
	v_add_f32_e32 v13, v13, v10
.LBB58_960:
	s_or_b64 exec, exec, s[14:15]
	v_xor_b32_e32 v12, 0x80000000, v11
	v_xor_b32_e32 v11, 0x80000000, v13
.LBB58_961:
	s_or_b64 exec, exec, s[12:13]
	s_and_saveexec_b64 s[10:11], s[38:39]
	s_cbranch_execz .LBB58_963
; %bb.962:
	v_mov_b32_e32 v9, 0
	ds_read_b64 v[9:10], v9 offset:31200
	s_waitcnt lgkmcnt(0)
	v_mul_f32_e32 v13, v12, v10
	v_mul_f32_e32 v14, v11, v10
	v_fmac_f32_e32 v13, v11, v9
	v_fma_f32 v12, v12, v9, -v14
	v_mov_b32_e32 v11, v13
	ds_write_b64 v8, v[12:13]
.LBB58_963:
	s_or_b64 exec, exec, s[10:11]
	s_waitcnt lgkmcnt(0)
	s_barrier
	s_and_saveexec_b64 s[10:11], s[42:43]
	s_cbranch_execz .LBB58_965
; %bb.964:
	ds_read_b64 v[9:10], v7 offset:31200
	ds_read_b64 v[13:14], v8
	s_waitcnt lgkmcnt(0)
	v_mul_f32_e32 v15, v14, v10
	v_mul_f32_e32 v10, v13, v10
	v_fma_f32 v13, v13, v9, -v15
	v_fmac_f32_e32 v10, v14, v9
	v_add_f32_e32 v12, v12, v13
	v_add_f32_e32 v11, v11, v10
.LBB58_965:
	s_or_b64 exec, exec, s[10:11]
	s_barrier
	s_and_saveexec_b64 s[10:11], s[44:45]
	s_cbranch_execz .LBB58_967
; %bb.966:
	v_mov_b32_e32 v9, 0
	ds_read_b64 v[9:10], v9 offset:31720
	s_waitcnt lgkmcnt(0)
	v_mul_f32_e32 v13, v12, v10
	v_mul_f32_e32 v14, v11, v10
	v_fmac_f32_e32 v13, v11, v9
	v_fma_f32 v12, v12, v9, -v14
	v_mov_b32_e32 v11, v13
	ds_write_b64 v8, v[12:13]
.LBB58_967:
	s_or_b64 exec, exec, s[10:11]
	s_waitcnt lgkmcnt(0)
	s_barrier
	s_and_saveexec_b64 s[10:11], s[52:53]
	s_cbranch_execz .LBB58_969
; %bb.968:
	ds_read_b64 v[9:10], v7 offset:31712
	ds_read_b64 v[13:14], v8
	s_waitcnt lgkmcnt(0)
	v_mul_f32_e32 v7, v14, v10
	v_mul_f32_e32 v10, v13, v10
	v_fma_f32 v7, v13, v9, -v7
	v_fmac_f32_e32 v10, v14, v9
	v_add_f32_e32 v12, v12, v7
	v_add_f32_e32 v11, v11, v10
.LBB58_969:
	s_or_b64 exec, exec, s[10:11]
	s_barrier
	s_and_saveexec_b64 s[10:11], s[54:55]
	s_cbranch_execz .LBB58_971
; %bb.970:
	v_mov_b32_e32 v7, 0
	ds_read_b64 v[9:10], v7 offset:32240
	s_waitcnt lgkmcnt(0)
	v_mul_f32_e32 v13, v12, v10
	v_mul_f32_e32 v7, v11, v10
	v_fmac_f32_e32 v13, v11, v9
	v_fma_f32 v12, v12, v9, -v7
	v_mov_b32_e32 v11, v13
	ds_write_b64 v8, v[12:13]
.LBB58_971:
	s_or_b64 exec, exec, s[10:11]
	s_waitcnt lgkmcnt(0)
	s_barrier
	s_and_saveexec_b64 s[10:11], s[36:37]
	s_cbranch_execz .LBB58_973
; %bb.972:
	v_mov_b32_e32 v7, 0
	ds_read_b64 v[9:10], v7 offset:32248
	ds_read_b64 v[13:14], v8
	s_waitcnt lgkmcnt(0)
	v_mul_f32_e32 v7, v14, v10
	v_mul_f32_e32 v10, v13, v10
	v_fma_f32 v7, v13, v9, -v7
	v_fmac_f32_e32 v10, v14, v9
	v_add_f32_e32 v12, v12, v7
	v_add_f32_e32 v11, v11, v10
.LBB58_973:
	s_or_b64 exec, exec, s[10:11]
	s_barrier
	s_and_saveexec_b64 s[10:11], s[36:37]
	s_cbranch_execz .LBB58_975
; %bb.974:
	v_mov_b32_e32 v7, 0
	ds_read_b64 v[9:10], v7 offset:32760
	s_waitcnt lgkmcnt(0)
	v_mul_f32_e32 v13, v12, v10
	v_mul_f32_e32 v7, v11, v10
	v_fmac_f32_e32 v13, v11, v9
	v_fma_f32 v12, v12, v9, -v7
	v_mov_b32_e32 v11, v13
	ds_write_b64 v8, v[12:13]
.LBB58_975:
	s_or_b64 exec, exec, s[10:11]
	s_waitcnt lgkmcnt(0)
	s_barrier
	s_barrier
	s_and_saveexec_b64 s[10:11], s[18:19]
; %bb.976:
	v_xor_b32_e32 v7, 0x80000000, v12
	v_xor_b32_e32 v8, 0x80000000, v11
	ds_write_b64 v6, v[7:8] offset:29152
; %bb.977:
	s_or_b64 exec, exec, s[10:11]
	s_waitcnt lgkmcnt(0)
	s_barrier
	s_barrier
	s_and_saveexec_b64 s[10:11], vcc
	s_cbranch_execz .LBB58_979
; %bb.978:
	v_mov_b32_e32 v12, 0
	ds_read_b128 v[6:9], v12 offset:31200
	ds_read_b64 v[10:11], v12 offset:31720
	s_waitcnt lgkmcnt(0)
	v_mul_f32_e32 v13, v11, v7
	v_mul_f32_e32 v14, v10, v7
	v_fma_f32 v10, v10, v6, -v13
	v_fmac_f32_e32 v14, v11, v6
	v_mul_f32_e32 v6, v14, v9
	v_mul_f32_e32 v7, v10, v9
	v_fma_f32 v6, v10, v8, -v6
	v_fmac_f32_e32 v7, v14, v8
	ds_write_b64 v12, v[6:7] offset:31208
.LBB58_979:
	s_or_b64 exec, exec, s[10:11]
	v_mov_b32_e32 v6, 0
	v_mov_b32_e32 v7, 0
	s_waitcnt lgkmcnt(0)
	s_barrier
	s_and_saveexec_b64 s[12:13], s[6:7]
	s_cbranch_execz .LBB58_983
; %bb.980:
	v_mul_u32_u24_e32 v7, 0x208, v5
	ds_read_b64 v[5:6], v3 offset:31216
	ds_read_b64 v[7:8], v7 offset:31200
	v_cmp_gt_u32_e64 s[10:11], 2, v1
	s_waitcnt lgkmcnt(0)
	v_mul_f32_e32 v9, v8, v6
	v_mul_f32_e32 v6, v7, v6
	v_fma_f32 v7, v7, v5, -v9
	v_fmac_f32_e32 v6, v8, v5
	v_add_f32_e32 v5, 0, v7
	v_add_f32_e32 v6, 0, v6
	s_and_saveexec_b64 s[14:15], s[10:11]
	s_cbranch_execz .LBB58_982
; %bb.981:
	v_lshlrev_b32_e32 v7, 3, v0
	v_mov_b32_e32 v9, 0
	ds_read_b64 v[7:8], v7 offset:31728
	ds_read_b64 v[9:10], v9 offset:31208
	s_waitcnt lgkmcnt(0)
	v_mul_f32_e32 v11, v10, v8
	v_mul_f32_e32 v8, v9, v8
	v_fma_f32 v9, v9, v7, -v11
	v_fmac_f32_e32 v8, v10, v7
	v_add_f32_e32 v5, v5, v9
	v_add_f32_e32 v6, v6, v8
.LBB58_982:
	s_or_b64 exec, exec, s[14:15]
	v_xor_b32_e32 v7, 0x80000000, v5
	v_xor_b32_e32 v6, 0x80000000, v6
.LBB58_983:
	s_or_b64 exec, exec, s[12:13]
	s_and_saveexec_b64 s[10:11], s[34:35]
	s_cbranch_execz .LBB58_985
; %bb.984:
	v_mov_b32_e32 v5, 0
	ds_read_b64 v[8:9], v5 offset:32240
	s_waitcnt lgkmcnt(0)
	v_mul_f32_e32 v5, v6, v9
	v_mul_f32_e32 v10, v7, v9
	v_fma_f32 v9, v7, v8, -v5
	v_fmac_f32_e32 v10, v6, v8
	v_mov_b32_e32 v7, v9
	v_mov_b32_e32 v6, v10
	ds_write_b64 v4, v[9:10]
.LBB58_985:
	s_or_b64 exec, exec, s[10:11]
	s_waitcnt lgkmcnt(0)
	s_barrier
	s_and_saveexec_b64 s[10:11], s[30:31]
	v_readlane_b32 s20, v34, 0
	v_readlane_b32 s21, v34, 1
	s_cbranch_execz .LBB58_987
; %bb.986:
	v_mov_b32_e32 v5, 0
	ds_read_b64 v[8:9], v5 offset:32248
	ds_read_b64 v[10:11], v4
	s_waitcnt lgkmcnt(0)
	v_mul_f32_e32 v5, v11, v9
	v_mul_f32_e32 v9, v10, v9
	v_fma_f32 v5, v10, v8, -v5
	v_fmac_f32_e32 v9, v11, v8
	v_add_f32_e32 v7, v7, v5
	v_add_f32_e32 v6, v6, v9
.LBB58_987:
	s_or_b64 exec, exec, s[10:11]
	s_barrier
	s_and_saveexec_b64 s[10:11], s[30:31]
	s_cbranch_execz .LBB58_989
; %bb.988:
	v_mov_b32_e32 v5, 0
	ds_read_b64 v[8:9], v5 offset:32760
	s_waitcnt lgkmcnt(0)
	v_mul_f32_e32 v5, v6, v9
	v_mul_f32_e32 v10, v7, v9
	v_fma_f32 v9, v7, v8, -v5
	v_fmac_f32_e32 v10, v6, v8
	v_mov_b32_e32 v7, v9
	v_mov_b32_e32 v6, v10
	ds_write_b64 v4, v[9:10]
.LBB58_989:
	s_or_b64 exec, exec, s[10:11]
	s_waitcnt lgkmcnt(0)
	s_barrier
	s_barrier
	s_and_saveexec_b64 s[10:11], s[6:7]
; %bb.990:
	v_xor_b32_e32 v5, 0x80000000, v6
	v_xor_b32_e32 v4, 0x80000000, v7
	ds_write_b64 v3, v[4:5] offset:31216
; %bb.991:
	s_or_b64 exec, exec, s[10:11]
	s_waitcnt lgkmcnt(0)
	s_barrier
	s_barrier
	s_and_saveexec_b64 s[6:7], vcc
	s_cbranch_execz .LBB58_993
; %bb.992:
	v_mov_b32_e32 v9, 0
	ds_read_b128 v[3:6], v9 offset:32240
	ds_read_b64 v[7:8], v9 offset:32760
	s_waitcnt lgkmcnt(0)
	v_mul_f32_e32 v10, v8, v4
	v_mul_f32_e32 v11, v7, v4
	v_fma_f32 v7, v7, v3, -v10
	v_fmac_f32_e32 v11, v8, v3
	v_mul_f32_e32 v3, v11, v6
	v_mul_f32_e32 v4, v7, v6
	v_fma_f32 v3, v7, v5, -v3
	v_fmac_f32_e32 v4, v11, v5
	ds_write_b64 v9, v[3:4] offset:32248
.LBB58_993:
	s_or_b64 exec, exec, s[6:7]
.LBB58_994:
	s_load_dwordx4 s[16:19], s[4:5], 0x48
	v_cmp_le_i32_e32 vcc, s96, v0
	v_mov_b32_e32 v3, 0
	v_add_u32_e32 v6, s33, v0
	v_mov_b32_e32 v4, 0
	s_waitcnt lgkmcnt(0)
	s_mul_i32 s5, s17, s22
	s_mul_hi_u32 s6, s16, s22
	s_mul_i32 s4, s16, s22
	s_add_i32 s5, s6, s5
	s_lshl_b64 s[4:5], s[4:5], 3
	s_add_u32 s6, s46, s4
	s_addc_u32 s7, s47, s5
	s_lshl_b64 s[4:5], s[48:49], 3
	s_add_u32 s38, s6, s4
	s_addc_u32 s39, s7, s5
	s_and_b64 s[16:17], vcc, s[24:25]
	v_cmp_eq_u32_e64 s[4:5], 0, v2
	s_xor_b64 s[6:7], s[16:17], -1
	s_and_b64 s[10:11], s[4:5], s[6:7]
	s_barrier
	s_and_saveexec_b64 s[6:7], s[10:11]
	s_cbranch_execz .LBB58_996
; %bb.995:
	v_ashrrev_i32_e32 v5, 31, v6
	v_mul_lo_u32 v7, s51, v6
	v_mad_u64_u32 v[3:4], s[10:11], s50, v6, 0
	v_mul_lo_u32 v5, s50, v5
	v_add3_u32 v4, v4, v5, v7
	v_lshlrev_b64 v[3:4], 3, v[3:4]
	v_mov_b32_e32 v5, s39
	v_add_co_u32_e32 v3, vcc, s38, v3
	v_addc_co_u32_e32 v4, vcc, v5, v4, vcc
	global_load_dwordx2 v[4:5], v[3:4], off
	s_waitcnt vmcnt(0)
	v_mul_f32_e32 v3, s20, v4
	v_mul_f32_e32 v7, s20, v5
	v_fma_f32 v3, s21, v5, -v3
	v_fma_f32 v4, v4, -s21, -v7
.LBB58_996:
	s_or_b64 exec, exec, s[6:7]
	s_and_b32 s6, 0xffff, s99
	v_mad_u32_u24 v8, v2, s6, v0
	s_cmp_lt_i32 s8, 1
	v_cmp_eq_u32_e64 s[6:7], 0, v8
	s_cbranch_scc1 .LBB58_1015
; %bb.997:
	v_mov_b32_e32 v5, 0
	v_mov_b32_e32 v7, v5
	s_lshl_b64 s[10:11], s[22:23], 2
	v_lshlrev_b64 v[11:12], 3, v[6:7]
	s_add_u32 s26, s18, s10
	s_mov_b64 s[20:21], src_private_base
	s_addc_u32 s27, s19, s11
	v_mov_b32_e32 v10, 0xa000
	v_cmp_gt_i32_e64 s[10:11], s9, v6
	v_mov_b32_e32 v6, s98
	v_add_co_u32_e32 v7, vcc, s97, v11
	s_mul_i32 s14, s41, 0x180
	s_mul_hi_u32 s15, s40, 0x180
	s_mov_b32 s20, 0
	v_cmp_gt_u32_e64 s[12:13], 64, v8
	v_lshl_add_u32 v9, v8, 3, v10
	v_lshl_or_b32 v10, v2, 3, v10
	s_add_i32 s42, s8, -1
	v_addc_co_u32_e32 v11, vcc, v6, v12, vcc
	s_lshl_b64 s[30:31], s[40:41], 7
	s_lshl_b64 s[34:35], s[40:41], 8
	s_add_i32 s43, s15, s14
	s_mul_i32 s44, s40, 0x180
	v_mov_b32_e32 v15, -1
	v_mov_b32_e32 v12, 0
	v_mov_b32_e32 v13, 8
	;; [unrolled: 1-line block ×4, first 2 shown]
	s_branch .LBB58_999
.LBB58_998:                             ;   in Loop: Header=BB58_999 Depth=1
	s_or_b64 exec, exec, s[36:37]
	s_add_i32 s20, s20, 1
	s_cmp_eq_u32 s20, s8
	s_cbranch_scc1 .LBB58_1015
.LBB58_999:                             ; =>This Loop Header: Depth=1
                                        ;     Child Loop BB58_1001 Depth 2
	v_cmp_gt_i32_e32 vcc, s20, v15
	s_and_b64 s[36:37], s[6:7], vcc
	s_and_saveexec_b64 s[14:15], s[36:37]
	s_cbranch_execz .LBB58_1002
; %bb.1000:                             ;   in Loop: Header=BB58_999 Depth=1
	global_load_dword v15, v5, s[26:27]
	s_waitcnt vmcnt(0)
	v_cmp_le_i32_e32 vcc, s20, v15
	s_cbranch_vccnz .LBB58_1002
.LBB58_1001:                            ;   Parent Loop BB58_999 Depth=1
                                        ; =>  This Inner Loop Header: Depth=2
	buffer_wbinvl1_vol
	global_load_dword v15, v5, s[26:27]
	s_waitcnt vmcnt(0)
	v_cmp_gt_i32_e32 vcc, s20, v15
	s_cbranch_vccnz .LBB58_1001
.LBB58_1002:                            ;   in Loop: Header=BB58_999 Depth=1
	s_or_b64 exec, exec, s[14:15]
	s_lshl_b32 s45, s20, 6
	buffer_wbinvl1_vol
	s_barrier
	s_and_saveexec_b64 s[14:15], s[12:13]
	s_cbranch_execz .LBB58_1007
; %bb.1003:                             ;   in Loop: Header=BB58_999 Depth=1
	v_or_b32_e32 v6, s45, v8
	v_cmp_le_i32_e32 vcc, s9, v6
	s_and_saveexec_b64 s[36:37], vcc
	s_xor_b64 s[36:37], exec, s[36:37]
; %bb.1004:                             ;   in Loop: Header=BB58_999 Depth=1
	v_mov_b32_e32 v6, v5
	ds_write_b64 v9, v[5:6]
                                        ; implicit-def: $vgpr6
; %bb.1005:                             ;   in Loop: Header=BB58_999 Depth=1
	s_andn2_saveexec_b64 s[36:37], s[36:37]
	s_cbranch_execz .LBB58_1007
; %bb.1006:                             ;   in Loop: Header=BB58_999 Depth=1
	v_mad_u64_u32 v[17:18], s[36:37], s50, v6, 0
	v_mad_u64_u32 v[18:19], s[36:37], s51, v6, v[18:19]
	v_mov_b32_e32 v6, s39
	v_lshlrev_b64 v[17:18], 3, v[17:18]
	v_add_co_u32_e32 v17, vcc, s38, v17
	v_addc_co_u32_e32 v18, vcc, v6, v18, vcc
	global_load_dwordx2 v[17:18], v[17:18], off
	s_waitcnt vmcnt(0)
	ds_write_b64 v9, v[17:18]
.LBB58_1007:                            ;   in Loop: Header=BB58_999 Depth=1
	s_or_b64 exec, exec, s[14:15]
	v_add_u32_e32 v6, s45, v2
	v_mad_u64_u32 v[17:18], s[14:15], s40, v6, 0
	s_cmp_eq_u32 s20, s42
	s_cselect_b64 vcc, -1, 0
	v_mad_u64_u32 v[18:19], s[14:15], s41, v6, v[18:19]
	s_waitcnt lgkmcnt(0)
	s_barrier
	v_lshlrev_b64 v[17:18], 3, v[17:18]
	v_add_co_u32_e64 v17, s[14:15], v7, v17
	v_addc_co_u32_e64 v18, s[14:15], v11, v18, s[14:15]
	v_cmp_gt_i32_e64 s[14:15], s9, v6
	s_and_b64 s[36:37], s[10:11], s[14:15]
	s_and_saveexec_b64 s[14:15], s[36:37]
	s_cbranch_execz .LBB58_1009
; %bb.1008:                             ;   in Loop: Header=BB58_999 Depth=1
	v_mov_b32_e32 v19, s21
	v_cndmask_b32_e32 v20, v18, v19, vcc
	v_cndmask_b32_e32 v19, v17, v12, vcc
	flat_load_dwordx2 v[19:20], v[19:20]
	ds_read_b64 v[21:22], v10
	s_waitcnt vmcnt(0) lgkmcnt(0)
	v_mul_f32_e32 v23, v22, v20
	v_mul_f32_e32 v20, v21, v20
	v_fma_f32 v21, v21, v19, -v23
	v_fmac_f32_e32 v20, v22, v19
	v_add_f32_e32 v3, v3, v21
	v_add_f32_e32 v4, v4, v20
.LBB58_1009:                            ;   in Loop: Header=BB58_999 Depth=1
	s_or_b64 exec, exec, s[14:15]
	v_add_u32_e32 v19, 16, v6
	v_cmp_gt_i32_e64 s[14:15], s9, v19
	s_and_b64 s[14:15], s[10:11], s[14:15]
	s_and_saveexec_b64 s[36:37], s[14:15]
	s_cbranch_execz .LBB58_1011
; %bb.1010:                             ;   in Loop: Header=BB58_999 Depth=1
	v_mov_b32_e32 v19, s31
	v_add_co_u32_e64 v21, s[14:15], s30, v17
	v_addc_co_u32_e64 v19, s[14:15], v18, v19, s[14:15]
	v_mov_b32_e32 v20, s21
	v_cndmask_b32_e32 v20, v19, v20, vcc
	v_cndmask_b32_e32 v19, v21, v13, vcc
	flat_load_dwordx2 v[19:20], v[19:20]
	ds_read_b64 v[21:22], v10 offset:128
	s_waitcnt vmcnt(0) lgkmcnt(0)
	v_mul_f32_e32 v23, v22, v20
	v_mul_f32_e32 v20, v21, v20
	v_fma_f32 v21, v21, v19, -v23
	v_fmac_f32_e32 v20, v22, v19
	v_add_f32_e32 v3, v3, v21
	v_add_f32_e32 v4, v4, v20
.LBB58_1011:                            ;   in Loop: Header=BB58_999 Depth=1
	s_or_b64 exec, exec, s[36:37]
	v_add_u32_e32 v19, 32, v6
	v_cmp_gt_i32_e64 s[14:15], s9, v19
	s_and_b64 s[14:15], s[10:11], s[14:15]
	s_and_saveexec_b64 s[36:37], s[14:15]
	s_cbranch_execz .LBB58_1013
; %bb.1012:                             ;   in Loop: Header=BB58_999 Depth=1
	v_mov_b32_e32 v19, s35
	v_add_co_u32_e64 v21, s[14:15], s34, v17
	v_addc_co_u32_e64 v19, s[14:15], v18, v19, s[14:15]
	v_mov_b32_e32 v20, s21
	v_cndmask_b32_e32 v20, v19, v20, vcc
	v_cndmask_b32_e32 v19, v21, v14, vcc
	flat_load_dwordx2 v[19:20], v[19:20]
	ds_read_b64 v[21:22], v10 offset:256
	s_waitcnt vmcnt(0) lgkmcnt(0)
	v_mul_f32_e32 v23, v22, v20
	v_mul_f32_e32 v20, v21, v20
	v_fma_f32 v21, v21, v19, -v23
	v_fmac_f32_e32 v20, v22, v19
	v_add_f32_e32 v3, v3, v21
	v_add_f32_e32 v4, v4, v20
.LBB58_1013:                            ;   in Loop: Header=BB58_999 Depth=1
	s_or_b64 exec, exec, s[36:37]
	v_add_u32_e32 v6, 48, v6
	v_cmp_gt_i32_e64 s[14:15], s9, v6
	s_and_b64 s[14:15], s[10:11], s[14:15]
	s_and_saveexec_b64 s[36:37], s[14:15]
	s_cbranch_execz .LBB58_998
; %bb.1014:                             ;   in Loop: Header=BB58_999 Depth=1
	v_mov_b32_e32 v6, s43
	v_add_co_u32_e64 v17, s[14:15], s44, v17
	v_addc_co_u32_e64 v6, s[14:15], v18, v6, s[14:15]
	v_mov_b32_e32 v18, s21
	v_cndmask_b32_e32 v18, v6, v18, vcc
	v_cndmask_b32_e32 v17, v17, v16, vcc
	flat_load_dwordx2 v[17:18], v[17:18]
	ds_read_b64 v[19:20], v10 offset:384
	s_waitcnt vmcnt(0) lgkmcnt(0)
	v_mul_f32_e32 v6, v20, v18
	v_mul_f32_e32 v18, v19, v18
	v_fma_f32 v6, v19, v17, -v6
	v_fmac_f32_e32 v18, v20, v17
	v_add_f32_e32 v3, v3, v6
	v_add_f32_e32 v4, v4, v18
	s_branch .LBB58_998
.LBB58_1015:
	s_xor_b64 s[6:7], s[24:25], -1
	s_xor_b64 s[8:9], s[28:29], -1
	v_lshlrev_b32_e32 v1, 3, v1
	ds_write_b64 v1, v[3:4] offset:32768
	s_waitcnt lgkmcnt(0)
	s_barrier
	s_and_saveexec_b64 s[10:11], s[4:5]
	s_cbranch_execz .LBB58_1017
; %bb.1016:
	v_lshlrev_b32_e32 v7, 3, v0
	ds_read2st64_b64 v[9:12], v7 offset0:65 offset1:66
	ds_read2st64_b64 v[13:16], v7 offset0:67 offset1:68
	ds_read_b64 v[17:18], v7 offset:40448
	s_waitcnt lgkmcnt(2)
	v_add_f32_e32 v3, v3, v9
	v_add_f32_e32 v4, v4, v10
	;; [unrolled: 1-line block ×4, first 2 shown]
	ds_read2st64_b64 v[3:6], v7 offset0:69 offset1:70
	s_waitcnt lgkmcnt(2)
	v_add_f32_e32 v9, v9, v13
	v_add_f32_e32 v10, v10, v14
	;; [unrolled: 1-line block ×4, first 2 shown]
	s_waitcnt lgkmcnt(0)
	v_add_f32_e32 v3, v9, v3
	ds_read2st64_b64 v[9:12], v7 offset0:71 offset1:72
	v_add_f32_e32 v4, v13, v4
	v_add_f32_e32 v13, v3, v5
	;; [unrolled: 1-line block ×3, first 2 shown]
	ds_read2st64_b64 v[3:6], v7 offset0:73 offset1:74
	s_waitcnt lgkmcnt(1)
	v_add_f32_e32 v9, v13, v9
	v_add_f32_e32 v10, v14, v10
	;; [unrolled: 1-line block ×4, first 2 shown]
	s_waitcnt lgkmcnt(0)
	v_add_f32_e32 v3, v9, v3
	ds_read2st64_b64 v[9:12], v7 offset0:75 offset1:76
	v_add_f32_e32 v4, v13, v4
	v_add_f32_e32 v13, v3, v5
	;; [unrolled: 1-line block ×3, first 2 shown]
	ds_read2st64_b64 v[3:6], v7 offset0:77 offset1:78
	s_waitcnt lgkmcnt(1)
	v_add_f32_e32 v7, v13, v9
	v_add_f32_e32 v9, v14, v10
	;; [unrolled: 1-line block ×4, first 2 shown]
	s_waitcnt lgkmcnt(0)
	v_add_f32_e32 v3, v7, v3
	v_add_f32_e32 v4, v9, v4
	;; [unrolled: 1-line block ×6, first 2 shown]
	v_cndmask_b32_e64 v3, -v3, 0, s[16:17]
	v_cndmask_b32_e64 v4, -v4, 0, s[16:17]
.LBB58_1017:
	s_or_b64 exec, exec, s[10:11]
	s_andn2_b64 vcc, exec, s[8:9]
	s_cbranch_vccnz .LBB58_1030
; %bb.1018:
	v_mov_b32_e32 v5, 0xa000
	v_lshl_or_b32 v7, v2, 3, v5
	s_and_saveexec_b64 s[8:9], s[4:5]
; %bb.1019:
	v_lshl_add_u32 v5, v0, 3, v7
	ds_write_b64 v5, v[3:4]
; %bb.1020:
	s_or_b64 exec, exec, s[8:9]
	v_cmp_ge_u32_e32 vcc, v0, v2
	v_mov_b32_e32 v5, 0
	v_mov_b32_e32 v6, 0
	s_waitcnt lgkmcnt(0)
	s_barrier
	s_and_saveexec_b64 s[8:9], vcc
	s_cbranch_execz .LBB58_1022
; %bb.1021:
	ds_read_b64 v[5:6], v1
	ds_read_b64 v[9:10], v7
	s_waitcnt lgkmcnt(0)
	v_mul_f32_e32 v11, v10, v6
	v_mul_f32_e32 v6, v9, v6
	v_fma_f32 v9, v9, v5, -v11
	v_fmac_f32_e32 v6, v10, v5
	v_add_f32_e32 v5, 0, v9
	v_add_f32_e32 v6, 0, v6
.LBB58_1022:
	s_or_b64 exec, exec, s[8:9]
	v_add_u32_e32 v9, 16, v2
	v_cmp_ge_u32_e32 vcc, v0, v9
	s_and_saveexec_b64 s[8:9], vcc
	s_cbranch_execz .LBB58_1024
; %bb.1023:
	ds_read_b64 v[9:10], v1 offset:8192
	ds_read_b64 v[11:12], v7 offset:128
	s_waitcnt lgkmcnt(0)
	v_mul_f32_e32 v13, v12, v10
	v_mul_f32_e32 v10, v11, v10
	v_fma_f32 v11, v11, v9, -v13
	v_fmac_f32_e32 v10, v12, v9
	v_add_f32_e32 v5, v5, v11
	v_add_f32_e32 v6, v6, v10
.LBB58_1024:
	s_or_b64 exec, exec, s[8:9]
	v_add_u32_e32 v9, 32, v2
	v_cmp_ge_u32_e32 vcc, v0, v9
	s_and_saveexec_b64 s[8:9], vcc
	s_cbranch_execz .LBB58_1026
; %bb.1025:
	ds_read_b64 v[9:10], v1 offset:16384
	ds_read_b64 v[11:12], v7 offset:256
	s_waitcnt lgkmcnt(0)
	v_mul_f32_e32 v13, v12, v10
	v_mul_f32_e32 v10, v11, v10
	v_fma_f32 v11, v11, v9, -v13
	v_fmac_f32_e32 v10, v12, v9
	v_add_f32_e32 v5, v5, v11
	v_add_f32_e32 v6, v6, v10
.LBB58_1026:
	s_or_b64 exec, exec, s[8:9]
	v_add_u32_e32 v2, 48, v2
	v_add_u32_e32 v9, 0x8000, v1
	v_cmp_ge_u32_e32 vcc, v0, v2
	s_and_saveexec_b64 s[8:9], vcc
	s_cbranch_execz .LBB58_1028
; %bb.1027:
	ds_read_b64 v[1:2], v1 offset:24576
	ds_read_b64 v[10:11], v7 offset:384
	s_waitcnt lgkmcnt(0)
	v_mul_f32_e32 v7, v11, v2
	v_mul_f32_e32 v2, v10, v2
	v_fma_f32 v7, v10, v1, -v7
	v_fmac_f32_e32 v2, v11, v1
	v_add_f32_e32 v5, v5, v7
	v_add_f32_e32 v6, v6, v2
.LBB58_1028:
	s_or_b64 exec, exec, s[8:9]
	s_mov_b64 s[10:11], 0
	s_mov_b64 s[8:9], 0
	ds_write_b64 v9, v[5:6]
	s_waitcnt lgkmcnt(0)
	s_barrier
                                        ; implicit-def: $vgpr7
                                        ; implicit-def: $vgpr9
                                        ; implicit-def: $vgpr1_vgpr2
	s_and_saveexec_b64 s[12:13], s[4:5]
	s_cbranch_execz .LBB58_1043
; %bb.1029:
	v_lshlrev_b32_e32 v1, 3, v0
	ds_read2st64_b64 v[9:12], v1 offset0:65 offset1:66
	ds_read2st64_b64 v[13:16], v1 offset0:67 offset1:68
	ds_read_b64 v[17:18], v1 offset:40448
	v_add_u32_e32 v7, s33, v8
	s_mov_b64 s[8:9], exec
	s_waitcnt lgkmcnt(2)
	v_add_f32_e32 v2, v5, v9
	v_add_f32_e32 v5, v6, v10
	v_add_f32_e32 v2, v2, v11
	v_add_f32_e32 v5, v5, v12
	ds_read2st64_b64 v[9:12], v1 offset0:69 offset1:70
	s_waitcnt lgkmcnt(2)
	v_add_f32_e32 v2, v2, v13
	v_add_f32_e32 v5, v5, v14
	v_add_f32_e32 v2, v2, v15
	v_add_f32_e32 v5, v5, v16
	ds_read2st64_b64 v[13:16], v1 offset0:71 offset1:72
	;; [unrolled: 6-line block ×5, first 2 shown]
	s_waitcnt lgkmcnt(1)
	v_add_f32_e32 v1, v2, v13
	v_add_f32_e32 v2, v5, v14
	;; [unrolled: 1-line block ×4, first 2 shown]
	v_mad_u64_u32 v[1:2], s[14:15], s50, v7, 0
	s_waitcnt lgkmcnt(0)
	v_add_f32_e32 v5, v5, v9
	v_add_f32_e32 v9, v6, v10
	;; [unrolled: 1-line block ×3, first 2 shown]
	v_mad_u64_u32 v[5:6], s[14:15], s51, v7, v[2:3]
	v_add_f32_e32 v2, v9, v12
	v_add_f32_e32 v9, v10, v17
	;; [unrolled: 1-line block ×3, first 2 shown]
	v_mov_b32_e32 v2, v5
	s_or_b64 exec, exec, s[12:13]
	s_and_b64 vcc, exec, s[10:11]
	s_cbranch_vccnz .LBB58_1031
	s_branch .LBB58_1044
.LBB58_1030:
	s_mov_b64 s[8:9], 0
                                        ; implicit-def: $vgpr7
                                        ; implicit-def: $vgpr9
                                        ; implicit-def: $vgpr1_vgpr2
	s_cbranch_execz .LBB58_1044
.LBB58_1031:
	v_mul_u32_u24_e32 v1, 0x208, v0
	v_lshlrev_b32_e32 v2, 9, v0
	v_sub_u32_e32 v2, v1, v2
	s_mov_b32 s12, 0
	v_mov_b32_e32 v5, 0
	v_mov_b32_e32 v6, v0
	s_branch .LBB58_1033
.LBB58_1032:                            ;   in Loop: Header=BB58_1033 Depth=1
	s_or_b64 exec, exec, s[10:11]
	s_add_i32 s12, s12, 2
	v_add_u32_e32 v2, 0x400, v2
	s_cmp_lg_u32 s12, 64
	v_add_u32_e32 v6, -2, v6
	s_barrier
	s_cbranch_scc0 .LBB58_1041
.LBB58_1033:                            ; =>This Inner Loop Header: Depth=1
	v_cmp_eq_u32_e32 vcc, 0, v6
	s_and_b64 s[14:15], s[4:5], vcc
	s_and_saveexec_b64 s[10:11], s[14:15]
	s_cbranch_execz .LBB58_1035
; %bb.1034:                             ;   in Loop: Header=BB58_1033 Depth=1
	ds_read_b64 v[9:10], v1
	s_waitcnt lgkmcnt(0)
	v_mul_f32_e32 v7, v4, v10
	v_mul_f32_e32 v11, v3, v10
	v_fma_f32 v10, v3, v9, -v7
	v_fmac_f32_e32 v11, v4, v9
	v_mov_b32_e32 v3, v10
	v_mov_b32_e32 v4, v11
	ds_write_b64 v5, v[10:11] offset:41472
.LBB58_1035:                            ;   in Loop: Header=BB58_1033 Depth=1
	s_or_b64 exec, exec, s[10:11]
	v_cmp_lt_u32_e32 vcc, s12, v0
	s_and_b64 s[14:15], s[4:5], vcc
	s_waitcnt lgkmcnt(0)
	s_barrier
	s_and_saveexec_b64 s[10:11], s[14:15]
	s_cbranch_execz .LBB58_1037
; %bb.1036:                             ;   in Loop: Header=BB58_1033 Depth=1
	ds_read_b64 v[9:10], v2
	ds_read_b64 v[11:12], v5 offset:41472
	s_waitcnt lgkmcnt(0)
	v_mul_f32_e32 v7, v12, v10
	v_mul_f32_e32 v10, v11, v10
	v_fma_f32 v7, v11, v9, -v7
	v_fmac_f32_e32 v10, v12, v9
	v_add_f32_e32 v3, v3, v7
	v_add_f32_e32 v4, v4, v10
.LBB58_1037:                            ;   in Loop: Header=BB58_1033 Depth=1
	s_or_b64 exec, exec, s[10:11]
	s_or_b32 s13, s12, 1
	v_cmp_eq_u32_e32 vcc, s13, v0
	s_and_b64 s[14:15], s[4:5], vcc
	s_barrier
	s_and_saveexec_b64 s[10:11], s[14:15]
	s_cbranch_execz .LBB58_1039
; %bb.1038:                             ;   in Loop: Header=BB58_1033 Depth=1
	ds_read_b64 v[9:10], v1
	s_waitcnt lgkmcnt(0)
	v_mul_f32_e32 v7, v4, v10
	v_mul_f32_e32 v11, v3, v10
	v_fma_f32 v10, v3, v9, -v7
	v_fmac_f32_e32 v11, v4, v9
	v_mov_b32_e32 v3, v10
	v_mov_b32_e32 v4, v11
	ds_write_b64 v5, v[10:11] offset:41472
.LBB58_1039:                            ;   in Loop: Header=BB58_1033 Depth=1
	s_or_b64 exec, exec, s[10:11]
	v_cmp_lt_u32_e32 vcc, s13, v0
	s_and_b64 s[14:15], s[4:5], vcc
	s_waitcnt lgkmcnt(0)
	s_barrier
	s_and_saveexec_b64 s[10:11], s[14:15]
	s_cbranch_execz .LBB58_1032
; %bb.1040:                             ;   in Loop: Header=BB58_1033 Depth=1
	ds_read_b64 v[9:10], v2 offset:512
	ds_read_b64 v[11:12], v5 offset:41472
	s_waitcnt lgkmcnt(0)
	v_mul_f32_e32 v7, v12, v10
	v_mul_f32_e32 v10, v11, v10
	v_fma_f32 v7, v11, v9, -v7
	v_fmac_f32_e32 v10, v12, v9
	v_add_f32_e32 v3, v3, v7
	v_add_f32_e32 v4, v4, v10
	s_branch .LBB58_1032
.LBB58_1041:
	s_and_b64 vcc, exec, s[6:7]
	s_cbranch_vccz .LBB58_1045
; %bb.1042:
	s_and_b64 s[6:7], s[4:5], exec
	s_cbranch_execz .LBB58_1046
	s_branch .LBB58_1047
.LBB58_1043:
	s_or_b64 exec, exec, s[12:13]
	s_and_b64 vcc, exec, s[10:11]
	s_cbranch_vccnz .LBB58_1031
.LBB58_1044:
	v_mov_b32_e32 v4, v7
	v_mov_b32_e32 v3, v9
	s_and_saveexec_b64 s[4:5], s[8:9]
	s_cbranch_execnz .LBB58_1050
	s_branch .LBB58_1051
.LBB58_1045:
	s_mov_b64 s[6:7], 0
.LBB58_1046:
	v_cmp_gt_i32_e32 vcc, s96, v0
	s_and_b64 s[4:5], s[4:5], vcc
	s_andn2_b64 s[6:7], s[6:7], exec
	s_and_b64 s[4:5], s[4:5], exec
	s_or_b64 s[6:7], s[6:7], s[4:5]
.LBB58_1047:
                                        ; implicit-def: $vgpr1_vgpr2
	s_and_saveexec_b64 s[4:5], s[6:7]
	s_cbranch_execz .LBB58_1049
; %bb.1048:
	v_mov_b32_e32 v0, s58
	v_add_co_u32_e32 v1, vcc, s33, v8
	v_addc_co_u32_e32 v0, vcc, 0, v0, vcc
	v_mul_lo_u32 v0, v0, s50
	v_mul_lo_u32 v5, v1, s51
	v_mad_u64_u32 v[1:2], s[6:7], v1, s50, 0
	s_or_b64 s[8:9], s[8:9], exec
	v_add3_u32 v2, v2, v5, v0
.LBB58_1049:
	s_or_b64 exec, exec, s[4:5]
	s_and_saveexec_b64 s[4:5], s[8:9]
	s_cbranch_execz .LBB58_1051
.LBB58_1050:
	v_lshlrev_b64 v[0:1], 3, v[1:2]
	v_mov_b32_e32 v2, s39
	v_add_co_u32_e32 v0, vcc, s38, v0
	v_addc_co_u32_e32 v1, vcc, v2, v1, vcc
	global_store_dwordx2 v[0:1], v[3:4], off
.LBB58_1051:
	s_or_b64 exec, exec, s[4:5]
	v_cmp_eq_u32_e32 vcc, 0, v8
	s_waitcnt vmcnt(0)
	buffer_wbinvl1_vol
	s_barrier
	s_and_saveexec_b64 s[4:5], vcc
	s_cbranch_execz .LBB58_1053
; %bb.1052:
	s_lshl_b64 s[6:7], s[22:23], 2
	s_add_u32 s6, s18, s6
	s_addc_u32 s7, s19, s7
	v_mov_b32_e32 v0, 0
	global_load_dword v1, v0, s[6:7]
	s_waitcnt vmcnt(0)
	v_add_u32_e32 v1, 1, v1
	global_store_dword v0, v1, s[6:7]
.LBB58_1053:
	s_or_b64 exec, exec, s[4:5]
	s_waitcnt vmcnt(0)
	buffer_wbinvl1_vol
	s_endpgm
.LBB58_1054:
	v_lshlrev_b32_e32 v13, 3, v10
	v_sub_u32_e32 v13, v12, v13
	v_lshl_add_u32 v13, v9, 3, v13
	ds_read_b64 v[13:14], v13 offset:544
	ds_read_b64 v[15:16], v12 offset:8
	s_waitcnt lgkmcnt(0)
	v_mul_f32_e32 v17, v16, v14
	v_mul_f32_e32 v14, v15, v14
	v_fma_f32 v15, v15, v13, -v17
	v_fmac_f32_e32 v14, v16, v13
	v_add_f32_e32 v8, v8, v15
	v_add_f32_e32 v11, v11, v14
	s_or_b64 exec, exec, s[16:17]
	v_cmp_gt_u32_e64 s[12:13], 8, v1
	s_and_saveexec_b64 s[16:17], s[12:13]
	s_cbranch_execz .LBB58_154
.LBB58_1055:
	ds_read_b64 v[13:14], v6 offset:1056
	ds_read_b64 v[15:16], v12 offset:16
	s_waitcnt lgkmcnt(0)
	v_mul_f32_e32 v12, v16, v14
	v_mul_f32_e32 v14, v15, v14
	v_fma_f32 v12, v15, v13, -v12
	v_fmac_f32_e32 v14, v16, v13
	v_add_f32_e32 v8, v8, v12
	v_add_f32_e32 v11, v11, v14
	s_or_b64 exec, exec, s[16:17]
	v_cmp_gt_u32_e64 s[12:13], 4, v1
	s_and_saveexec_b64 s[16:17], s[12:13]
	s_cbranch_execnz .LBB58_155
	s_branch .LBB58_156
.LBB58_1056:
	v_lshlrev_b32_e32 v18, 3, v15
	v_sub_u32_e32 v18, v17, v18
	v_lshl_add_u32 v18, v14, 3, v18
	ds_read_b64 v[18:19], v18 offset:576
	ds_read_b64 v[20:21], v17 offset:8
	s_waitcnt lgkmcnt(0)
	v_mul_f32_e32 v22, v21, v19
	v_mul_f32_e32 v19, v20, v19
	v_fma_f32 v20, v20, v18, -v22
	v_fmac_f32_e32 v19, v21, v18
	v_add_f32_e32 v13, v13, v20
	v_add_f32_e32 v16, v16, v19
	s_or_b64 exec, exec, s[20:21]
	v_cmp_gt_u32_e64 s[14:15], 48, v1
	s_and_saveexec_b64 s[20:21], s[14:15]
	s_cbranch_execz .LBB58_192
.LBB58_1057:
	v_lshlrev_b32_e32 v18, 3, v15
	v_sub_u32_e32 v18, v17, v18
	v_lshl_add_u32 v18, v14, 3, v18
	ds_read_b64 v[18:19], v18 offset:1088
	ds_read_b64 v[20:21], v17 offset:16
	s_waitcnt lgkmcnt(0)
	v_mul_f32_e32 v22, v21, v19
	v_mul_f32_e32 v19, v20, v19
	v_fma_f32 v20, v20, v18, -v22
	v_fmac_f32_e32 v19, v21, v18
	v_add_f32_e32 v13, v13, v20
	v_add_f32_e32 v16, v16, v19
	s_or_b64 exec, exec, s[20:21]
	v_cmp_gt_u32_e64 s[14:15], 40, v1
	s_and_saveexec_b64 s[20:21], s[14:15]
	s_cbranch_execz .LBB58_193
.LBB58_1058:
	v_lshlrev_b32_e32 v18, 3, v15
	v_sub_u32_e32 v18, v17, v18
	v_lshl_add_u32 v18, v14, 3, v18
	ds_read_b64 v[18:19], v18 offset:1600
	ds_read_b64 v[20:21], v17 offset:24
	s_waitcnt lgkmcnt(0)
	v_mul_f32_e32 v22, v21, v19
	v_mul_f32_e32 v19, v20, v19
	v_fma_f32 v20, v20, v18, -v22
	v_fmac_f32_e32 v19, v21, v18
	v_add_f32_e32 v13, v13, v20
	v_add_f32_e32 v16, v16, v19
	s_or_b64 exec, exec, s[20:21]
	v_cmp_gt_u32_e64 s[14:15], 32, v1
	s_and_saveexec_b64 s[20:21], s[14:15]
	s_cbranch_execz .LBB58_194
.LBB58_1059:
	ds_read_b64 v[18:19], v11 offset:2112
	ds_read_b64 v[20:21], v17 offset:32
	s_waitcnt lgkmcnt(0)
	v_mul_f32_e32 v22, v21, v19
	v_mul_f32_e32 v19, v20, v19
	v_fma_f32 v20, v20, v18, -v22
	v_fmac_f32_e32 v19, v21, v18
	v_add_f32_e32 v13, v13, v20
	v_add_f32_e32 v16, v16, v19
	s_or_b64 exec, exec, s[20:21]
	v_cmp_gt_u32_e64 s[14:15], 24, v1
	s_and_saveexec_b64 s[20:21], s[14:15]
	s_cbranch_execz .LBB58_195
.LBB58_1060:
	v_lshlrev_b32_e32 v18, 3, v15
	v_sub_u32_e32 v18, v17, v18
	v_lshl_add_u32 v18, v14, 3, v18
	ds_read_b64 v[18:19], v18 offset:2624
	ds_read_b64 v[20:21], v17 offset:40
	s_waitcnt lgkmcnt(0)
	v_mul_f32_e32 v22, v21, v19
	v_mul_f32_e32 v19, v20, v19
	v_fma_f32 v20, v20, v18, -v22
	v_fmac_f32_e32 v19, v21, v18
	v_add_f32_e32 v13, v13, v20
	v_add_f32_e32 v16, v16, v19
	s_or_b64 exec, exec, s[20:21]
	v_cmp_gt_u32_e64 s[14:15], 16, v1
	s_and_saveexec_b64 s[20:21], s[14:15]
	s_cbranch_execz .LBB58_196
.LBB58_1061:
	ds_read_b64 v[18:19], v11 offset:3136
	ds_read_b64 v[20:21], v17 offset:48
	s_waitcnt lgkmcnt(0)
	v_mul_f32_e32 v17, v21, v19
	v_mul_f32_e32 v19, v20, v19
	v_fma_f32 v17, v20, v18, -v17
	v_fmac_f32_e32 v19, v21, v18
	v_add_f32_e32 v13, v13, v17
	v_add_f32_e32 v16, v16, v19
	s_or_b64 exec, exec, s[20:21]
	v_cmp_gt_u32_e64 s[14:15], 8, v1
	s_and_saveexec_b64 s[20:21], s[14:15]
	s_cbranch_execnz .LBB58_197
	s_branch .LBB58_198
.LBB58_1062:
	v_lshlrev_b32_e32 v19, 3, v10
	v_sub_u32_e32 v19, v17, v19
	v_lshl_add_u32 v19, v9, 3, v19
	ds_read_b64 v[19:20], v19 offset:4704
	ds_read_b64 v[21:22], v17 offset:4168
	s_waitcnt lgkmcnt(0)
	v_mul_f32_e32 v23, v22, v20
	v_mul_f32_e32 v20, v21, v20
	v_fma_f32 v21, v21, v19, -v23
	v_fmac_f32_e32 v20, v22, v19
	v_add_f32_e32 v16, v16, v21
	v_add_f32_e32 v18, v18, v20
	s_or_b64 exec, exec, s[16:17]
	v_cmp_gt_u32_e64 s[12:13], 8, v1
	s_and_saveexec_b64 s[16:17], s[12:13]
	s_cbranch_execz .LBB58_250
.LBB58_1063:
	ds_read_b64 v[19:20], v6 offset:5216
	ds_read_b64 v[21:22], v17 offset:4176
	s_waitcnt lgkmcnt(0)
	v_mul_f32_e32 v17, v22, v20
	v_mul_f32_e32 v20, v21, v20
	v_fma_f32 v17, v21, v19, -v17
	v_fmac_f32_e32 v20, v22, v19
	v_add_f32_e32 v16, v16, v17
	v_add_f32_e32 v18, v18, v20
	s_or_b64 exec, exec, s[16:17]
	v_cmp_gt_u32_e64 s[12:13], 4, v1
	s_and_saveexec_b64 s[16:17], s[12:13]
	s_cbranch_execnz .LBB58_251
	s_branch .LBB58_252
.LBB58_1064:
	v_lshlrev_b32_e32 v23, 3, v17
	v_lshl_add_u32 v23, v19, 3, v23
	ds_read_b64 v[23:24], v23 offset:5760
	ds_read_b64 v[25:26], v22 offset:88
	s_waitcnt lgkmcnt(0)
	v_mul_f32_e32 v27, v26, v24
	v_mul_f32_e32 v24, v25, v24
	v_fma_f32 v25, v25, v23, -v27
	v_fmac_f32_e32 v24, v26, v23
	v_add_f32_e32 v18, v18, v25
	v_add_f32_e32 v21, v21, v24
	s_or_b64 exec, exec, s[26:27]
	v_cmp_gt_u32_e64 s[16:17], 64, v1
	s_and_saveexec_b64 s[26:27], s[16:17]
	s_cbranch_execz .LBB58_308
.LBB58_1065:
	ds_read_b64 v[23:24], v16 offset:6272
	ds_read_b64 v[25:26], v22 offset:96
	s_waitcnt lgkmcnt(0)
	v_mul_f32_e32 v27, v26, v24
	v_mul_f32_e32 v24, v25, v24
	v_fma_f32 v25, v25, v23, -v27
	v_fmac_f32_e32 v24, v26, v23
	v_add_f32_e32 v18, v18, v25
	v_add_f32_e32 v21, v21, v24
	s_or_b64 exec, exec, s[26:27]
	v_cmp_gt_u32_e64 s[16:17], 48, v1
	s_and_saveexec_b64 s[26:27], s[16:17]
	s_cbranch_execz .LBB58_309
.LBB58_1066:
	v_lshlrev_b32_e32 v23, 3, v17
	v_lshl_add_u32 v23, v19, 3, v23
	ds_read_b64 v[23:24], v23 offset:6784
	ds_read_b64 v[25:26], v22 offset:104
	s_waitcnt lgkmcnt(0)
	v_mul_f32_e32 v27, v26, v24
	v_mul_f32_e32 v24, v25, v24
	v_fma_f32 v25, v25, v23, -v27
	v_fmac_f32_e32 v24, v26, v23
	v_add_f32_e32 v18, v18, v25
	v_add_f32_e32 v21, v21, v24
	s_or_b64 exec, exec, s[26:27]
	v_cmp_gt_u32_e64 s[16:17], 32, v1
	s_and_saveexec_b64 s[26:27], s[16:17]
	s_cbranch_execz .LBB58_310
.LBB58_1067:
	ds_read_b64 v[23:24], v16 offset:7296
	ds_read_b64 v[25:26], v22 offset:112
	s_waitcnt lgkmcnt(0)
	v_mul_f32_e32 v22, v26, v24
	v_mul_f32_e32 v24, v25, v24
	v_fma_f32 v22, v25, v23, -v22
	v_fmac_f32_e32 v24, v26, v23
	v_add_f32_e32 v18, v18, v22
	v_add_f32_e32 v21, v21, v24
	s_or_b64 exec, exec, s[26:27]
	v_cmp_gt_u32_e64 s[16:17], 16, v1
	s_and_saveexec_b64 s[26:27], s[16:17]
	s_cbranch_execnz .LBB58_311
	s_branch .LBB58_312
.LBB58_1068:
	v_lshlrev_b32_e32 v24, 3, v10
	v_sub_u32_e32 v24, v22, v24
	v_lshl_add_u32 v24, v9, 3, v24
	ds_read_b64 v[24:25], v24 offset:8864
	ds_read_b64 v[26:27], v22 offset:8328
	s_waitcnt lgkmcnt(0)
	v_mul_f32_e32 v28, v27, v25
	v_mul_f32_e32 v25, v26, v25
	v_fma_f32 v26, v26, v24, -v28
	v_fmac_f32_e32 v25, v27, v24
	v_add_f32_e32 v21, v21, v26
	v_add_f32_e32 v23, v23, v25
	s_or_b64 exec, exec, s[20:21]
	v_cmp_gt_u32_e64 s[14:15], 8, v1
	s_and_saveexec_b64 s[20:21], s[14:15]
	s_cbranch_execz .LBB58_396
.LBB58_1069:
	ds_read_b64 v[24:25], v6 offset:9376
	ds_read_b64 v[26:27], v22 offset:8336
	s_waitcnt lgkmcnt(0)
	v_mul_f32_e32 v22, v27, v25
	v_mul_f32_e32 v25, v26, v25
	v_fma_f32 v22, v26, v24, -v22
	v_fmac_f32_e32 v25, v27, v24
	v_add_f32_e32 v21, v21, v22
	v_add_f32_e32 v23, v23, v25
	s_or_b64 exec, exec, s[20:21]
	v_cmp_gt_u32_e64 s[14:15], 4, v1
	s_and_saveexec_b64 s[20:21], s[14:15]
	s_cbranch_execnz .LBB58_397
	s_branch .LBB58_398
.LBB58_1070:
	v_lshlrev_b32_e32 v24, 3, v15
	v_sub_u32_e32 v24, v22, v24
	v_lshl_add_u32 v24, v14, 3, v24
	ds_read_b64 v[24:25], v24 offset:8896
	ds_read_b64 v[26:27], v22 offset:8328
	s_waitcnt lgkmcnt(0)
	v_mul_f32_e32 v28, v27, v25
	v_mul_f32_e32 v25, v26, v25
	v_fma_f32 v26, v26, v24, -v28
	v_fmac_f32_e32 v25, v27, v24
	v_add_f32_e32 v21, v21, v26
	v_add_f32_e32 v23, v23, v25
	s_or_b64 exec, exec, s[20:21]
	v_cmp_gt_u32_e64 s[14:15], 48, v1
	s_and_saveexec_b64 s[20:21], s[14:15]
	s_cbranch_execz .LBB58_434
.LBB58_1071:
	v_lshlrev_b32_e32 v24, 3, v15
	v_sub_u32_e32 v24, v22, v24
	v_lshl_add_u32 v24, v14, 3, v24
	ds_read_b64 v[24:25], v24 offset:9408
	ds_read_b64 v[26:27], v22 offset:8336
	s_waitcnt lgkmcnt(0)
	v_mul_f32_e32 v28, v27, v25
	v_mul_f32_e32 v25, v26, v25
	v_fma_f32 v26, v26, v24, -v28
	v_fmac_f32_e32 v25, v27, v24
	v_add_f32_e32 v21, v21, v26
	v_add_f32_e32 v23, v23, v25
	s_or_b64 exec, exec, s[20:21]
	v_cmp_gt_u32_e64 s[14:15], 40, v1
	s_and_saveexec_b64 s[20:21], s[14:15]
	s_cbranch_execz .LBB58_435
.LBB58_1072:
	v_lshlrev_b32_e32 v24, 3, v15
	v_sub_u32_e32 v24, v22, v24
	v_lshl_add_u32 v24, v14, 3, v24
	ds_read_b64 v[24:25], v24 offset:9920
	ds_read_b64 v[26:27], v22 offset:8344
	s_waitcnt lgkmcnt(0)
	v_mul_f32_e32 v28, v27, v25
	v_mul_f32_e32 v25, v26, v25
	v_fma_f32 v26, v26, v24, -v28
	v_fmac_f32_e32 v25, v27, v24
	v_add_f32_e32 v21, v21, v26
	v_add_f32_e32 v23, v23, v25
	s_or_b64 exec, exec, s[20:21]
	v_cmp_gt_u32_e64 s[14:15], 32, v1
	s_and_saveexec_b64 s[20:21], s[14:15]
	s_cbranch_execz .LBB58_436
.LBB58_1073:
	ds_read_b64 v[24:25], v11 offset:10432
	ds_read_b64 v[26:27], v22 offset:8352
	s_waitcnt lgkmcnt(0)
	v_mul_f32_e32 v28, v27, v25
	v_mul_f32_e32 v25, v26, v25
	v_fma_f32 v26, v26, v24, -v28
	v_fmac_f32_e32 v25, v27, v24
	v_add_f32_e32 v21, v21, v26
	v_add_f32_e32 v23, v23, v25
	s_or_b64 exec, exec, s[20:21]
	v_cmp_gt_u32_e64 s[14:15], 24, v1
	s_and_saveexec_b64 s[20:21], s[14:15]
	s_cbranch_execz .LBB58_437
.LBB58_1074:
	v_lshlrev_b32_e32 v24, 3, v15
	v_sub_u32_e32 v24, v22, v24
	v_lshl_add_u32 v24, v14, 3, v24
	ds_read_b64 v[24:25], v24 offset:10944
	ds_read_b64 v[26:27], v22 offset:8360
	s_waitcnt lgkmcnt(0)
	v_mul_f32_e32 v28, v27, v25
	v_mul_f32_e32 v25, v26, v25
	v_fma_f32 v26, v26, v24, -v28
	v_fmac_f32_e32 v25, v27, v24
	v_add_f32_e32 v21, v21, v26
	v_add_f32_e32 v23, v23, v25
	s_or_b64 exec, exec, s[20:21]
	v_cmp_gt_u32_e64 s[14:15], 16, v1
	s_and_saveexec_b64 s[20:21], s[14:15]
	s_cbranch_execz .LBB58_438
.LBB58_1075:
	ds_read_b64 v[24:25], v11 offset:11456
	ds_read_b64 v[26:27], v22 offset:8368
	s_waitcnt lgkmcnt(0)
	v_mul_f32_e32 v22, v27, v25
	v_mul_f32_e32 v25, v26, v25
	v_fma_f32 v22, v26, v24, -v22
	v_fmac_f32_e32 v25, v27, v24
	v_add_f32_e32 v21, v21, v22
	v_add_f32_e32 v23, v23, v25
	s_or_b64 exec, exec, s[20:21]
	v_cmp_gt_u32_e64 s[14:15], 8, v1
	s_and_saveexec_b64 s[20:21], s[14:15]
	s_cbranch_execnz .LBB58_439
	s_branch .LBB58_440
.LBB58_1076:
	v_lshlrev_b32_e32 v24, 3, v10
	v_sub_u32_e32 v24, v22, v24
	v_lshl_add_u32 v24, v9, 3, v24
	ds_read_b64 v[24:25], v24 offset:13024
	ds_read_b64 v[26:27], v22 offset:12488
	s_waitcnt lgkmcnt(0)
	v_mul_f32_e32 v28, v27, v25
	v_mul_f32_e32 v25, v26, v25
	v_fma_f32 v26, v26, v24, -v28
	v_fmac_f32_e32 v25, v27, v24
	v_add_f32_e32 v21, v21, v26
	v_add_f32_e32 v23, v23, v25
	s_or_b64 exec, exec, s[20:21]
	v_cmp_gt_u32_e64 s[14:15], 8, v1
	s_and_saveexec_b64 s[20:21], s[14:15]
	s_cbranch_execz .LBB58_492
.LBB58_1077:
	ds_read_b64 v[24:25], v6 offset:13536
	ds_read_b64 v[26:27], v22 offset:12496
	s_waitcnt lgkmcnt(0)
	v_mul_f32_e32 v22, v27, v25
	v_mul_f32_e32 v25, v26, v25
	v_fma_f32 v22, v26, v24, -v22
	v_fmac_f32_e32 v25, v27, v24
	v_add_f32_e32 v21, v21, v22
	v_add_f32_e32 v23, v23, v25
	s_or_b64 exec, exec, s[20:21]
	v_cmp_gt_u32_e64 s[14:15], 4, v1
	s_and_saveexec_b64 s[20:21], s[14:15]
	s_cbranch_execnz .LBB58_493
	s_branch .LBB58_494
.LBB58_1078:
	ds_read_b64 v[29:30], v28 offset:15104
	ds_read_b64 v[31:32], v27 offset:232
	s_waitcnt lgkmcnt(0)
	v_mul_f32_e32 v33, v32, v30
	v_mul_f32_e32 v30, v31, v30
	v_fma_f32 v31, v31, v29, -v33
	v_fmac_f32_e32 v30, v32, v29
	v_add_f32_e32 v24, v24, v31
	v_add_f32_e32 v25, v25, v30
	s_or_b64 exec, exec, s[94:95]
	v_cmp_gt_u32_e64 s[20:21], 64, v1
	s_and_saveexec_b64 s[94:95], s[20:21]
	s_cbranch_execz .LBB58_586
.LBB58_1079:
	ds_read_b64 v[28:29], v28 offset:15616
	ds_read_b64 v[30:31], v27 offset:240
	s_waitcnt lgkmcnt(0)
	v_mul_f32_e32 v32, v31, v29
	v_mul_f32_e32 v29, v30, v29
	v_fma_f32 v30, v30, v28, -v32
	v_fmac_f32_e32 v29, v31, v28
	v_add_f32_e32 v24, v24, v30
	v_add_f32_e32 v25, v25, v29
	s_or_b64 exec, exec, s[94:95]
	v_cmp_gt_u32_e64 s[20:21], 32, v1
	s_and_saveexec_b64 s[94:95], s[20:21]
	s_cbranch_execnz .LBB58_587
	s_branch .LBB58_588
.LBB58_1080:
	v_lshlrev_b32_e32 v24, 3, v10
	v_sub_u32_e32 v24, v22, v24
	v_lshl_add_u32 v24, v9, 3, v24
	ds_read_b64 v[24:25], v24 offset:17184
	ds_read_b64 v[26:27], v22 offset:16648
	s_waitcnt lgkmcnt(0)
	v_mul_f32_e32 v28, v27, v25
	v_mul_f32_e32 v25, v26, v25
	v_fma_f32 v26, v26, v24, -v28
	v_fmac_f32_e32 v25, v27, v24
	v_add_f32_e32 v21, v21, v26
	v_add_f32_e32 v23, v23, v25
	s_or_b64 exec, exec, s[20:21]
	v_cmp_gt_u32_e64 s[14:15], 8, v1
	s_and_saveexec_b64 s[20:21], s[14:15]
	s_cbranch_execz .LBB58_620
.LBB58_1081:
	ds_read_b64 v[24:25], v6 offset:17696
	ds_read_b64 v[26:27], v22 offset:16656
	s_waitcnt lgkmcnt(0)
	v_mul_f32_e32 v22, v27, v25
	v_mul_f32_e32 v25, v26, v25
	v_fma_f32 v22, v26, v24, -v22
	v_fmac_f32_e32 v25, v27, v24
	v_add_f32_e32 v21, v21, v22
	v_add_f32_e32 v23, v23, v25
	s_or_b64 exec, exec, s[20:21]
	v_cmp_gt_u32_e64 s[14:15], 4, v1
	s_and_saveexec_b64 s[20:21], s[14:15]
	s_cbranch_execnz .LBB58_621
	s_branch .LBB58_622
.LBB58_1082:
	v_lshlrev_b32_e32 v24, 3, v15
	v_sub_u32_e32 v24, v22, v24
	v_lshl_add_u32 v24, v14, 3, v24
	ds_read_b64 v[24:25], v24 offset:17216
	ds_read_b64 v[26:27], v22 offset:16648
	s_waitcnt lgkmcnt(0)
	v_mul_f32_e32 v28, v27, v25
	v_mul_f32_e32 v25, v26, v25
	v_fma_f32 v26, v26, v24, -v28
	v_fmac_f32_e32 v25, v27, v24
	v_add_f32_e32 v21, v21, v26
	v_add_f32_e32 v23, v23, v25
	s_or_b64 exec, exec, s[20:21]
	v_cmp_gt_u32_e64 s[14:15], 48, v1
	s_and_saveexec_b64 s[20:21], s[14:15]
	s_cbranch_execz .LBB58_658
.LBB58_1083:
	v_lshlrev_b32_e32 v24, 3, v15
	v_sub_u32_e32 v24, v22, v24
	v_lshl_add_u32 v24, v14, 3, v24
	ds_read_b64 v[24:25], v24 offset:17728
	ds_read_b64 v[26:27], v22 offset:16656
	s_waitcnt lgkmcnt(0)
	v_mul_f32_e32 v28, v27, v25
	v_mul_f32_e32 v25, v26, v25
	v_fma_f32 v26, v26, v24, -v28
	v_fmac_f32_e32 v25, v27, v24
	v_add_f32_e32 v21, v21, v26
	v_add_f32_e32 v23, v23, v25
	s_or_b64 exec, exec, s[20:21]
	v_cmp_gt_u32_e64 s[14:15], 40, v1
	s_and_saveexec_b64 s[20:21], s[14:15]
	s_cbranch_execz .LBB58_659
.LBB58_1084:
	v_lshlrev_b32_e32 v24, 3, v15
	v_sub_u32_e32 v24, v22, v24
	v_lshl_add_u32 v24, v14, 3, v24
	ds_read_b64 v[24:25], v24 offset:18240
	ds_read_b64 v[26:27], v22 offset:16664
	s_waitcnt lgkmcnt(0)
	v_mul_f32_e32 v28, v27, v25
	v_mul_f32_e32 v25, v26, v25
	v_fma_f32 v26, v26, v24, -v28
	v_fmac_f32_e32 v25, v27, v24
	v_add_f32_e32 v21, v21, v26
	v_add_f32_e32 v23, v23, v25
	s_or_b64 exec, exec, s[20:21]
	v_cmp_gt_u32_e64 s[14:15], 32, v1
	s_and_saveexec_b64 s[20:21], s[14:15]
	s_cbranch_execz .LBB58_660
.LBB58_1085:
	ds_read_b64 v[24:25], v11 offset:18752
	ds_read_b64 v[26:27], v22 offset:16672
	s_waitcnt lgkmcnt(0)
	v_mul_f32_e32 v28, v27, v25
	v_mul_f32_e32 v25, v26, v25
	v_fma_f32 v26, v26, v24, -v28
	v_fmac_f32_e32 v25, v27, v24
	v_add_f32_e32 v21, v21, v26
	v_add_f32_e32 v23, v23, v25
	s_or_b64 exec, exec, s[20:21]
	v_cmp_gt_u32_e64 s[14:15], 24, v1
	s_and_saveexec_b64 s[20:21], s[14:15]
	s_cbranch_execz .LBB58_661
.LBB58_1086:
	v_lshlrev_b32_e32 v24, 3, v15
	v_sub_u32_e32 v24, v22, v24
	v_lshl_add_u32 v24, v14, 3, v24
	ds_read_b64 v[24:25], v24 offset:19264
	ds_read_b64 v[26:27], v22 offset:16680
	s_waitcnt lgkmcnt(0)
	v_mul_f32_e32 v28, v27, v25
	v_mul_f32_e32 v25, v26, v25
	v_fma_f32 v26, v26, v24, -v28
	v_fmac_f32_e32 v25, v27, v24
	v_add_f32_e32 v21, v21, v26
	v_add_f32_e32 v23, v23, v25
	s_or_b64 exec, exec, s[20:21]
	v_cmp_gt_u32_e64 s[14:15], 16, v1
	s_and_saveexec_b64 s[20:21], s[14:15]
	s_cbranch_execz .LBB58_662
.LBB58_1087:
	ds_read_b64 v[24:25], v11 offset:19776
	ds_read_b64 v[26:27], v22 offset:16688
	s_waitcnt lgkmcnt(0)
	v_mul_f32_e32 v22, v27, v25
	v_mul_f32_e32 v25, v26, v25
	v_fma_f32 v22, v26, v24, -v22
	v_fmac_f32_e32 v25, v27, v24
	v_add_f32_e32 v21, v21, v22
	v_add_f32_e32 v23, v23, v25
	s_or_b64 exec, exec, s[20:21]
	v_cmp_gt_u32_e64 s[14:15], 8, v1
	s_and_saveexec_b64 s[20:21], s[14:15]
	s_cbranch_execnz .LBB58_663
	s_branch .LBB58_664
.LBB58_1088:
	v_lshlrev_b32_e32 v24, 3, v10
	v_sub_u32_e32 v24, v22, v24
	v_lshl_add_u32 v24, v9, 3, v24
	ds_read_b64 v[24:25], v24 offset:21344
	ds_read_b64 v[26:27], v22 offset:20808
	s_waitcnt lgkmcnt(0)
	v_mul_f32_e32 v28, v27, v25
	v_mul_f32_e32 v25, v26, v25
	v_fma_f32 v26, v26, v24, -v28
	v_fmac_f32_e32 v25, v27, v24
	v_add_f32_e32 v21, v21, v26
	v_add_f32_e32 v23, v23, v25
	s_or_b64 exec, exec, s[20:21]
	v_cmp_gt_u32_e64 s[14:15], 8, v1
	s_and_saveexec_b64 s[20:21], s[14:15]
	s_cbranch_execz .LBB58_716
.LBB58_1089:
	ds_read_b64 v[24:25], v6 offset:21856
	ds_read_b64 v[26:27], v22 offset:20816
	s_waitcnt lgkmcnt(0)
	v_mul_f32_e32 v22, v27, v25
	v_mul_f32_e32 v25, v26, v25
	v_fma_f32 v22, v26, v24, -v22
	v_fmac_f32_e32 v25, v27, v24
	v_add_f32_e32 v21, v21, v22
	v_add_f32_e32 v23, v23, v25
	s_or_b64 exec, exec, s[20:21]
	v_cmp_gt_u32_e64 s[14:15], 4, v1
	s_and_saveexec_b64 s[20:21], s[14:15]
	s_cbranch_execnz .LBB58_717
	s_branch .LBB58_718
.LBB58_1090:
	v_lshlrev_b32_e32 v20, 3, v17
	v_lshl_add_u32 v20, v19, 3, v20
	ds_read_b64 v[24:25], v20 offset:22400
	ds_read_b64 v[26:27], v22 offset:16728
	s_waitcnt lgkmcnt(0)
	v_mul_f32_e32 v20, v27, v25
	v_mul_f32_e32 v25, v26, v25
	v_fma_f32 v20, v26, v24, -v20
	v_fmac_f32_e32 v25, v27, v24
	v_add_f32_e32 v21, v21, v20
	v_add_f32_e32 v23, v23, v25
	s_or_b64 exec, exec, s[20:21]
	v_cmp_gt_u32_e64 s[14:15], 64, v1
	s_and_saveexec_b64 s[20:21], s[14:15]
	s_cbranch_execz .LBB58_774
.LBB58_1091:
	ds_read_b64 v[24:25], v16 offset:22912
	ds_read_b64 v[26:27], v22 offset:16736
	s_waitcnt lgkmcnt(0)
	v_mul_f32_e32 v20, v27, v25
	v_mul_f32_e32 v25, v26, v25
	v_fma_f32 v20, v26, v24, -v20
	v_fmac_f32_e32 v25, v27, v24
	v_add_f32_e32 v21, v21, v20
	v_add_f32_e32 v23, v23, v25
	s_or_b64 exec, exec, s[20:21]
	v_cmp_gt_u32_e64 s[14:15], 48, v1
	s_and_saveexec_b64 s[20:21], s[14:15]
	s_cbranch_execz .LBB58_775
.LBB58_1092:
	v_lshlrev_b32_e32 v20, 3, v17
	v_lshl_add_u32 v19, v19, 3, v20
	ds_read_b64 v[19:20], v19 offset:23424
	ds_read_b64 v[24:25], v22 offset:16744
	s_waitcnt lgkmcnt(0)
	v_mul_f32_e32 v26, v25, v20
	v_mul_f32_e32 v20, v24, v20
	v_fma_f32 v24, v24, v19, -v26
	v_fmac_f32_e32 v20, v25, v19
	v_add_f32_e32 v21, v21, v24
	v_add_f32_e32 v23, v23, v20
	s_or_b64 exec, exec, s[20:21]
	v_cmp_gt_u32_e64 s[14:15], 32, v1
	s_and_saveexec_b64 s[20:21], s[14:15]
	s_cbranch_execz .LBB58_776
.LBB58_1093:
	ds_read_b64 v[19:20], v16 offset:23936
	ds_read_b64 v[24:25], v22 offset:16752
	s_waitcnt lgkmcnt(0)
	v_mul_f32_e32 v22, v25, v20
	v_mul_f32_e32 v20, v24, v20
	v_fma_f32 v22, v24, v19, -v22
	v_fmac_f32_e32 v20, v25, v19
	v_add_f32_e32 v21, v21, v22
	v_add_f32_e32 v23, v23, v20
	s_or_b64 exec, exec, s[20:21]
	v_cmp_gt_u32_e64 s[14:15], 16, v1
	s_and_saveexec_b64 s[20:21], s[14:15]
	s_cbranch_execnz .LBB58_777
	s_branch .LBB58_778
.LBB58_1094:
	v_lshlrev_b32_e32 v19, 3, v10
	v_sub_u32_e32 v19, v17, v19
	v_lshl_add_u32 v19, v9, 3, v19
	ds_read_b64 v[19:20], v19 offset:25504
	ds_read_b64 v[21:22], v17 offset:24968
	s_waitcnt lgkmcnt(0)
	v_mul_f32_e32 v23, v22, v20
	v_mul_f32_e32 v20, v21, v20
	v_fma_f32 v21, v21, v19, -v23
	v_fmac_f32_e32 v20, v22, v19
	v_add_f32_e32 v16, v16, v21
	v_add_f32_e32 v18, v18, v20
	s_or_b64 exec, exec, s[16:17]
	v_cmp_gt_u32_e64 s[12:13], 8, v1
	s_and_saveexec_b64 s[16:17], s[12:13]
	s_cbranch_execz .LBB58_862
.LBB58_1095:
	ds_read_b64 v[19:20], v6 offset:26016
	ds_read_b64 v[21:22], v17 offset:24976
	s_waitcnt lgkmcnt(0)
	v_mul_f32_e32 v17, v22, v20
	v_mul_f32_e32 v20, v21, v20
	v_fma_f32 v17, v21, v19, -v17
	v_fmac_f32_e32 v20, v22, v19
	v_add_f32_e32 v16, v16, v17
	v_add_f32_e32 v18, v18, v20
	s_or_b64 exec, exec, s[16:17]
	v_cmp_gt_u32_e64 s[12:13], 4, v1
	s_and_saveexec_b64 s[16:17], s[12:13]
	s_cbranch_execnz .LBB58_863
	s_branch .LBB58_864
.LBB58_1096:
	v_lshlrev_b32_e32 v19, 3, v15
	v_sub_u32_e32 v19, v17, v19
	v_lshl_add_u32 v19, v14, 3, v19
	ds_read_b64 v[19:20], v19 offset:25536
	ds_read_b64 v[21:22], v17 offset:24968
	s_waitcnt lgkmcnt(0)
	v_mul_f32_e32 v23, v22, v20
	v_mul_f32_e32 v20, v21, v20
	v_fma_f32 v21, v21, v19, -v23
	v_fmac_f32_e32 v20, v22, v19
	v_add_f32_e32 v16, v16, v21
	v_add_f32_e32 v18, v18, v20
	s_or_b64 exec, exec, s[16:17]
	v_cmp_gt_u32_e64 s[12:13], 48, v1
	s_and_saveexec_b64 s[16:17], s[12:13]
	s_cbranch_execz .LBB58_900
.LBB58_1097:
	v_lshlrev_b32_e32 v19, 3, v15
	v_sub_u32_e32 v19, v17, v19
	v_lshl_add_u32 v19, v14, 3, v19
	ds_read_b64 v[19:20], v19 offset:26048
	ds_read_b64 v[21:22], v17 offset:24976
	s_waitcnt lgkmcnt(0)
	v_mul_f32_e32 v23, v22, v20
	v_mul_f32_e32 v20, v21, v20
	v_fma_f32 v21, v21, v19, -v23
	v_fmac_f32_e32 v20, v22, v19
	v_add_f32_e32 v16, v16, v21
	v_add_f32_e32 v18, v18, v20
	s_or_b64 exec, exec, s[16:17]
	v_cmp_gt_u32_e64 s[12:13], 40, v1
	s_and_saveexec_b64 s[16:17], s[12:13]
	s_cbranch_execz .LBB58_901
.LBB58_1098:
	v_lshlrev_b32_e32 v19, 3, v15
	v_sub_u32_e32 v19, v17, v19
	v_lshl_add_u32 v19, v14, 3, v19
	ds_read_b64 v[19:20], v19 offset:26560
	ds_read_b64 v[21:22], v17 offset:24984
	s_waitcnt lgkmcnt(0)
	v_mul_f32_e32 v23, v22, v20
	v_mul_f32_e32 v20, v21, v20
	v_fma_f32 v21, v21, v19, -v23
	v_fmac_f32_e32 v20, v22, v19
	v_add_f32_e32 v16, v16, v21
	v_add_f32_e32 v18, v18, v20
	s_or_b64 exec, exec, s[16:17]
	v_cmp_gt_u32_e64 s[12:13], 32, v1
	s_and_saveexec_b64 s[16:17], s[12:13]
	s_cbranch_execz .LBB58_902
.LBB58_1099:
	ds_read_b64 v[19:20], v11 offset:27072
	ds_read_b64 v[21:22], v17 offset:24992
	s_waitcnt lgkmcnt(0)
	v_mul_f32_e32 v23, v22, v20
	v_mul_f32_e32 v20, v21, v20
	v_fma_f32 v21, v21, v19, -v23
	v_fmac_f32_e32 v20, v22, v19
	v_add_f32_e32 v16, v16, v21
	v_add_f32_e32 v18, v18, v20
	s_or_b64 exec, exec, s[16:17]
	v_cmp_gt_u32_e64 s[12:13], 24, v1
	s_and_saveexec_b64 s[16:17], s[12:13]
	s_cbranch_execz .LBB58_903
.LBB58_1100:
	v_lshlrev_b32_e32 v15, 3, v15
	v_sub_u32_e32 v15, v17, v15
	v_lshl_add_u32 v14, v14, 3, v15
	ds_read_b64 v[14:15], v14 offset:27584
	ds_read_b64 v[19:20], v17 offset:25000
	s_waitcnt lgkmcnt(0)
	v_mul_f32_e32 v21, v20, v15
	v_mul_f32_e32 v15, v19, v15
	v_fma_f32 v19, v19, v14, -v21
	v_fmac_f32_e32 v15, v20, v14
	v_add_f32_e32 v16, v16, v19
	v_add_f32_e32 v18, v18, v15
	s_or_b64 exec, exec, s[16:17]
	v_cmp_gt_u32_e64 s[12:13], 16, v1
	s_and_saveexec_b64 s[16:17], s[12:13]
	s_cbranch_execz .LBB58_904
.LBB58_1101:
	ds_read_b64 v[14:15], v11 offset:28096
	ds_read_b64 v[19:20], v17 offset:25008
	s_waitcnt lgkmcnt(0)
	v_mul_f32_e32 v17, v20, v15
	v_mul_f32_e32 v15, v19, v15
	v_fma_f32 v17, v19, v14, -v17
	v_fmac_f32_e32 v15, v20, v14
	v_add_f32_e32 v16, v16, v17
	v_add_f32_e32 v18, v18, v15
	s_or_b64 exec, exec, s[16:17]
	v_cmp_gt_u32_e64 s[12:13], 8, v1
	s_and_saveexec_b64 s[16:17], s[12:13]
	s_cbranch_execnz .LBB58_905
	s_branch .LBB58_906
.LBB58_1102:
	v_lshlrev_b32_e32 v10, 3, v10
	v_sub_u32_e32 v10, v12, v10
	v_lshl_add_u32 v9, v9, 3, v10
	ds_read_b64 v[9:10], v9 offset:29664
	ds_read_b64 v[14:15], v12 offset:29128
	s_waitcnt lgkmcnt(0)
	v_mul_f32_e32 v16, v15, v10
	v_mul_f32_e32 v10, v14, v10
	v_fma_f32 v14, v14, v9, -v16
	v_fmac_f32_e32 v10, v15, v9
	v_add_f32_e32 v11, v11, v14
	v_add_f32_e32 v13, v13, v10
	s_or_b64 exec, exec, s[14:15]
	v_cmp_gt_u32_e64 s[10:11], 8, v1
	s_and_saveexec_b64 s[14:15], s[10:11]
	s_cbranch_execz .LBB58_958
.LBB58_1103:
	ds_read_b64 v[9:10], v6 offset:30176
	ds_read_b64 v[14:15], v12 offset:29136
	s_waitcnt lgkmcnt(0)
	v_mul_f32_e32 v12, v15, v10
	v_mul_f32_e32 v10, v14, v10
	v_fma_f32 v12, v14, v9, -v12
	v_fmac_f32_e32 v10, v15, v9
	v_add_f32_e32 v11, v11, v12
	v_add_f32_e32 v13, v13, v10
	s_or_b64 exec, exec, s[14:15]
	v_cmp_gt_u32_e64 s[10:11], 4, v1
	s_and_saveexec_b64 s[14:15], s[10:11]
	s_cbranch_execnz .LBB58_959
	s_branch .LBB58_960
	.section	.rodata,"a",@progbits
	.p2align	6, 0x0
	.amdhsa_kernel _ZL19rocblas_trsv_deviceILi64ELi16ELb1ELb0ELb0ELb0E19rocblas_complex_numIfEPKS1_S3_PS1_EviT7_lllT6_T8_lllPii
		.amdhsa_group_segment_fixed_size 41480
		.amdhsa_private_segment_fixed_size 48
		.amdhsa_kernarg_size 352
		.amdhsa_user_sgpr_count 8
		.amdhsa_user_sgpr_private_segment_buffer 1
		.amdhsa_user_sgpr_dispatch_ptr 0
		.amdhsa_user_sgpr_queue_ptr 0
		.amdhsa_user_sgpr_kernarg_segment_ptr 1
		.amdhsa_user_sgpr_dispatch_id 0
		.amdhsa_user_sgpr_flat_scratch_init 1
		.amdhsa_user_sgpr_private_segment_size 0
		.amdhsa_uses_dynamic_stack 0
		.amdhsa_system_sgpr_private_segment_wavefront_offset 1
		.amdhsa_system_sgpr_workgroup_id_x 1
		.amdhsa_system_sgpr_workgroup_id_y 0
		.amdhsa_system_sgpr_workgroup_id_z 1
		.amdhsa_system_sgpr_workgroup_info 0
		.amdhsa_system_vgpr_workitem_id 1
		.amdhsa_next_free_vgpr 49
		.amdhsa_next_free_sgpr 100
		.amdhsa_reserve_vcc 1
		.amdhsa_reserve_flat_scratch 1
		.amdhsa_float_round_mode_32 0
		.amdhsa_float_round_mode_16_64 0
		.amdhsa_float_denorm_mode_32 3
		.amdhsa_float_denorm_mode_16_64 3
		.amdhsa_dx10_clamp 1
		.amdhsa_ieee_mode 1
		.amdhsa_fp16_overflow 0
		.amdhsa_exception_fp_ieee_invalid_op 0
		.amdhsa_exception_fp_denorm_src 0
		.amdhsa_exception_fp_ieee_div_zero 0
		.amdhsa_exception_fp_ieee_overflow 0
		.amdhsa_exception_fp_ieee_underflow 0
		.amdhsa_exception_fp_ieee_inexact 0
		.amdhsa_exception_int_div_zero 0
	.end_amdhsa_kernel
	.section	.text._ZL19rocblas_trsv_deviceILi64ELi16ELb1ELb0ELb0ELb0E19rocblas_complex_numIfEPKS1_S3_PS1_EviT7_lllT6_T8_lllPii,"axG",@progbits,_ZL19rocblas_trsv_deviceILi64ELi16ELb1ELb0ELb0ELb0E19rocblas_complex_numIfEPKS1_S3_PS1_EviT7_lllT6_T8_lllPii,comdat
.Lfunc_end58:
	.size	_ZL19rocblas_trsv_deviceILi64ELi16ELb1ELb0ELb0ELb0E19rocblas_complex_numIfEPKS1_S3_PS1_EviT7_lllT6_T8_lllPii, .Lfunc_end58-_ZL19rocblas_trsv_deviceILi64ELi16ELb1ELb0ELb0ELb0E19rocblas_complex_numIfEPKS1_S3_PS1_EviT7_lllT6_T8_lllPii
                                        ; -- End function
	.set _ZL19rocblas_trsv_deviceILi64ELi16ELb1ELb0ELb0ELb0E19rocblas_complex_numIfEPKS1_S3_PS1_EviT7_lllT6_T8_lllPii.num_vgpr, 35
	.set _ZL19rocblas_trsv_deviceILi64ELi16ELb1ELb0ELb0ELb0E19rocblas_complex_numIfEPKS1_S3_PS1_EviT7_lllT6_T8_lllPii.num_agpr, 0
	.set _ZL19rocblas_trsv_deviceILi64ELi16ELb1ELb0ELb0ELb0E19rocblas_complex_numIfEPKS1_S3_PS1_EviT7_lllT6_T8_lllPii.numbered_sgpr, 100
	.set _ZL19rocblas_trsv_deviceILi64ELi16ELb1ELb0ELb0ELb0E19rocblas_complex_numIfEPKS1_S3_PS1_EviT7_lllT6_T8_lllPii.num_named_barrier, 0
	.set _ZL19rocblas_trsv_deviceILi64ELi16ELb1ELb0ELb0ELb0E19rocblas_complex_numIfEPKS1_S3_PS1_EviT7_lllT6_T8_lllPii.private_seg_size, 48
	.set _ZL19rocblas_trsv_deviceILi64ELi16ELb1ELb0ELb0ELb0E19rocblas_complex_numIfEPKS1_S3_PS1_EviT7_lllT6_T8_lllPii.uses_vcc, 1
	.set _ZL19rocblas_trsv_deviceILi64ELi16ELb1ELb0ELb0ELb0E19rocblas_complex_numIfEPKS1_S3_PS1_EviT7_lllT6_T8_lllPii.uses_flat_scratch, 1
	.set _ZL19rocblas_trsv_deviceILi64ELi16ELb1ELb0ELb0ELb0E19rocblas_complex_numIfEPKS1_S3_PS1_EviT7_lllT6_T8_lllPii.has_dyn_sized_stack, 0
	.set _ZL19rocblas_trsv_deviceILi64ELi16ELb1ELb0ELb0ELb0E19rocblas_complex_numIfEPKS1_S3_PS1_EviT7_lllT6_T8_lllPii.has_recursion, 0
	.set _ZL19rocblas_trsv_deviceILi64ELi16ELb1ELb0ELb0ELb0E19rocblas_complex_numIfEPKS1_S3_PS1_EviT7_lllT6_T8_lllPii.has_indirect_call, 0
	.section	.AMDGPU.csdata,"",@progbits
; Kernel info:
; codeLenInByte = 44532
; TotalNumSgprs: 106
; NumVgprs: 35
; ScratchSize: 48
; MemoryBound: 1
; FloatMode: 240
; IeeeMode: 1
; LDSByteSize: 41480 bytes/workgroup (compile time only)
; SGPRBlocks: 13
; VGPRBlocks: 12
; NumSGPRsForWavesPerEU: 106
; NumVGPRsForWavesPerEU: 49
; Occupancy: 4
; WaveLimiterHint : 0
; COMPUTE_PGM_RSRC2:SCRATCH_EN: 1
; COMPUTE_PGM_RSRC2:USER_SGPR: 8
; COMPUTE_PGM_RSRC2:TRAP_HANDLER: 0
; COMPUTE_PGM_RSRC2:TGID_X_EN: 1
; COMPUTE_PGM_RSRC2:TGID_Y_EN: 0
; COMPUTE_PGM_RSRC2:TGID_Z_EN: 1
; COMPUTE_PGM_RSRC2:TIDIG_COMP_CNT: 1
	.section	.text._ZL19rocblas_trsv_deviceILi64ELi16ELb1ELb1ELb0ELb0E19rocblas_complex_numIfEPKS1_S3_PS1_EviT7_lllT6_T8_lllPii,"axG",@progbits,_ZL19rocblas_trsv_deviceILi64ELi16ELb1ELb1ELb0ELb0E19rocblas_complex_numIfEPKS1_S3_PS1_EviT7_lllT6_T8_lllPii,comdat
	.globl	_ZL19rocblas_trsv_deviceILi64ELi16ELb1ELb1ELb0ELb0E19rocblas_complex_numIfEPKS1_S3_PS1_EviT7_lllT6_T8_lllPii ; -- Begin function _ZL19rocblas_trsv_deviceILi64ELi16ELb1ELb1ELb0ELb0E19rocblas_complex_numIfEPKS1_S3_PS1_EviT7_lllT6_T8_lllPii
	.p2align	8
	.type	_ZL19rocblas_trsv_deviceILi64ELi16ELb1ELb1ELb0ELb0E19rocblas_complex_numIfEPKS1_S3_PS1_EviT7_lllT6_T8_lllPii,@function
_ZL19rocblas_trsv_deviceILi64ELi16ELb1ELb1ELb0ELb0E19rocblas_complex_numIfEPKS1_S3_PS1_EviT7_lllT6_T8_lllPii: ; @_ZL19rocblas_trsv_deviceILi64ELi16ELb1ELb1ELb0ELb0E19rocblas_complex_numIfEPKS1_S3_PS1_EviT7_lllT6_T8_lllPii
; %bb.0:
	s_load_dwordx16 s[36:51], s[4:5], 0x8
	s_load_dword s28, s[4:5], 0x0
	s_add_u32 flat_scratch_lo, s6, s10
	s_addc_u32 flat_scratch_hi, s7, 0
	s_add_u32 s0, s0, s10
	s_waitcnt lgkmcnt(0)
	s_mul_i32 s6, s43, s9
	s_mul_hi_u32 s7, s42, s9
	s_addc_u32 s1, s1, 0
	s_add_i32 s7, s7, s6
	s_mul_i32 s6, s42, s9
	s_load_dword s11, s[4:5], 0x60
	s_lshl_b64 s[6:7], s[6:7], 3
	s_mov_b32 s26, s9
	s_add_u32 s9, s36, s6
	s_addc_u32 s10, s37, s7
	s_lshl_b64 s[6:7], s[38:39], 3
	s_load_dwordx2 s[38:39], s[44:45], 0x0
	s_load_dword s24, s[4:5], 0x6c
	s_add_u32 s97, s9, s6
	s_addc_u32 s98, s10, s7
	s_waitcnt lgkmcnt(0)
	s_add_i32 s9, s11, -1
	s_sub_i32 s99, s9, s8
	v_mov_b32_e32 v2, v1
	s_cmp_lg_u32 s8, 0
	s_mov_b32 s27, 0
	s_cbranch_scc0 .LBB59_1111
; %bb.1:
	s_lshl_b32 s33, s99, 6
	v_add_u32_e32 v1, s33, v0
	v_ashrrev_i32_e32 v3, 31, v1
	v_mul_lo_u32 v7, s40, v3
	v_mul_lo_u32 v8, s41, v1
	v_mad_u64_u32 v[3:4], s[6:7], s40, v1, 0
	v_add3_u32 v5, v2, s33, 64
	v_ashrrev_i32_e32 v6, 31, v5
	v_add3_u32 v4, v4, v7, v8
	v_lshlrev_b64 v[3:4], 3, v[3:4]
	v_mov_b32_e32 v7, s98
	v_add_co_u32_e64 v8, s[6:7], s97, v3
	v_addc_co_u32_e64 v7, s[6:7], v7, v4, s[6:7]
	v_lshlrev_b64 v[3:4], 3, v[5:6]
	v_cmp_gt_i32_e32 vcc, s28, v1
	v_add_co_u32_e64 v3, s[6:7], v8, v3
	v_addc_co_u32_e64 v4, s[6:7], v7, v4, s[6:7]
	v_max_i32_e32 v1, v5, v1
	v_cmp_le_i32_e64 s[6:7], s28, v1
	s_barrier
	s_and_saveexec_b64 s[10:11], s[6:7]
	s_xor_b64 s[6:7], exec, s[10:11]
	s_cbranch_execz .LBB59_3
; %bb.2:
	v_mov_b32_e32 v1, 0
	buffer_store_dword v1, off, s[0:3], 0
	buffer_store_dword v1, off, s[0:3], 0 offset:4
.LBB59_3:
	s_andn2_saveexec_b64 s[6:7], s[6:7]
	s_cbranch_execz .LBB59_5
; %bb.4:
	global_load_dwordx2 v[6:7], v[3:4], off
	s_waitcnt vmcnt(0)
	buffer_store_dword v7, off, s[0:3], 0 offset:4
	buffer_store_dword v6, off, s[0:3], 0
.LBB59_5:
	s_or_b64 exec, exec, s[6:7]
	v_add_u32_e32 v1, 16, v5
	v_cmp_le_i32_e64 s[6:7], s28, v1
	s_xor_b64 s[10:11], vcc, -1
	s_or_b64 s[6:7], s[6:7], s[10:11]
	s_waitcnt vmcnt(0)
	s_barrier
	s_and_saveexec_b64 s[12:13], s[6:7]
	s_xor_b64 s[6:7], exec, s[12:13]
	s_cbranch_execz .LBB59_7
; %bb.6:
	v_mov_b32_e32 v1, 0
	buffer_store_dword v1, off, s[0:3], 0 offset:8
	buffer_store_dword v1, off, s[0:3], 0 offset:12
.LBB59_7:
	s_andn2_saveexec_b64 s[6:7], s[6:7]
	s_cbranch_execz .LBB59_9
; %bb.8:
	global_load_dwordx2 v[6:7], v[3:4], off offset:128
	s_waitcnt vmcnt(0)
	buffer_store_dword v7, off, s[0:3], 0 offset:12
	buffer_store_dword v6, off, s[0:3], 0 offset:8
.LBB59_9:
	s_or_b64 exec, exec, s[6:7]
	v_add_u32_e32 v1, 32, v5
	v_cmp_le_i32_e32 vcc, s28, v1
	s_or_b64 s[6:7], vcc, s[10:11]
	s_waitcnt vmcnt(0)
	s_barrier
	s_and_saveexec_b64 s[12:13], s[6:7]
	s_xor_b64 s[6:7], exec, s[12:13]
	s_cbranch_execz .LBB59_11
; %bb.10:
	v_mov_b32_e32 v1, 0
	buffer_store_dword v1, off, s[0:3], 0 offset:16
	buffer_store_dword v1, off, s[0:3], 0 offset:20
.LBB59_11:
	s_andn2_saveexec_b64 s[6:7], s[6:7]
	s_cbranch_execz .LBB59_13
; %bb.12:
	global_load_dwordx2 v[6:7], v[3:4], off offset:256
	s_waitcnt vmcnt(0)
	buffer_store_dword v7, off, s[0:3], 0 offset:20
	buffer_store_dword v6, off, s[0:3], 0 offset:16
.LBB59_13:
	s_or_b64 exec, exec, s[6:7]
	v_add_u32_e32 v1, 48, v5
	v_cmp_le_i32_e32 vcc, s28, v1
	s_or_b64 s[6:7], vcc, s[10:11]
	s_waitcnt vmcnt(0)
	s_barrier
	s_and_saveexec_b64 s[10:11], s[6:7]
	s_xor_b64 s[6:7], exec, s[10:11]
	s_cbranch_execz .LBB59_15
; %bb.14:
	v_mov_b32_e32 v1, 0
	buffer_store_dword v1, off, s[0:3], 0 offset:24
	buffer_store_dword v1, off, s[0:3], 0 offset:28
                                        ; implicit-def: $vgpr3_vgpr4
.LBB59_15:
	s_andn2_saveexec_b64 s[6:7], s[6:7]
	s_cbranch_execz .LBB59_17
; %bb.16:
	global_load_dwordx2 v[3:4], v[3:4], off offset:384
	s_waitcnt vmcnt(0)
	buffer_store_dword v4, off, s[0:3], 0 offset:28
	buffer_store_dword v3, off, s[0:3], 0 offset:24
.LBB59_17:
	s_or_b64 exec, exec, s[6:7]
	s_branch .LBB59_19
.LBB59_18:
	s_lshl_b32 s33, s99, 6
.LBB59_19:
	s_ashr_i32 s29, s28, 31
	s_lshr_b32 s6, s29, 26
	s_add_i32 s6, s28, s6
	s_andn2_b32 s6, s6, 63
	s_sub_i32 s96, s28, s6
	s_add_i32 s6, s28, -1
	s_ashr_i32 s7, s6, 31
	s_lshr_b32 s7, s7, 26
	s_add_i32 s6, s6, s7
	s_ashr_i32 s6, s6, 6
	s_cmp_eq_u32 s6, s99
	s_cselect_b64 s[6:7], -1, 0
	s_cmp_lg_u32 s96, 0
	s_cselect_b64 s[10:11], -1, 0
	s_and_b64 s[30:31], s[10:11], s[6:7]
	s_cmp_lt_i32 s8, 5
	s_cselect_b64 s[12:13], -1, 0
	s_or_b64 s[6:7], s[12:13], s[30:31]
	s_ashr_i32 s52, s33, 31
	s_add_u32 s14, s40, 1
	v_mov_b32_e32 v1, 0
	v_mov_b32_e32 v3, s33
	v_mad_u64_u32 v[3:4], s[10:11], s14, v3, v[0:1]
	s_addc_u32 s15, s41, 0
	s_mul_i32 s10, s14, s52
	s_mul_i32 s15, s15, s33
	v_lshlrev_b32_e32 v9, 6, v0
	s_add_i32 s10, s10, s15
	s_mov_b64 s[16:17], -1
	v_add_u32_e32 v4, s10, v4
	s_and_b64 vcc, exec, s[30:31]
	v_add_u32_e32 v10, v2, v9
	v_cmp_le_u32_e64 s[10:11], v0, v2
	v_lshl_add_u32 v1, v2, 6, v0
	s_cbranch_vccnz .LBB59_77
; %bb.20:
	v_mad_u64_u32 v[5:6], s[14:15], s40, v2, v[3:4]
	v_cndmask_b32_e64 v11, v1, v10, s[12:13]
	v_mad_u64_u32 v[6:7], s[14:15], s41, v2, v[6:7]
	s_and_saveexec_b64 s[12:13], s[10:11]
	s_xor_b64 s[10:11], exec, s[12:13]
	s_cbranch_execz .LBB59_32
; %bb.21:
	v_cmp_ne_u32_e32 vcc, v0, v2
	s_and_saveexec_b64 s[12:13], vcc
	s_xor_b64 s[12:13], exec, s[12:13]
	s_cbranch_execz .LBB59_25
; %bb.22:
	v_or_b32_e32 v5, v2, v0
	v_cmp_gt_u32_e32 vcc, 64, v5
	s_and_saveexec_b64 s[14:15], vcc
; %bb.23:
	v_mov_b32_e32 v5, 0
	v_lshlrev_b32_e32 v7, 3, v11
	v_mov_b32_e32 v6, v5
	ds_write_b64 v7, v[5:6]
; %bb.24:
	s_or_b64 exec, exec, s[14:15]
                                        ; implicit-def: $vgpr11
                                        ; implicit-def: $vgpr5_vgpr6
.LBB59_25:
	s_andn2_saveexec_b64 s[12:13], s[12:13]
	s_cbranch_execz .LBB59_31
; %bb.26:
	v_lshlrev_b64 v[5:6], 3, v[5:6]
	v_mov_b32_e32 v7, s98
	v_add_co_u32_e32 v5, vcc, s97, v5
	v_addc_co_u32_e32 v6, vcc, v7, v6, vcc
	global_load_dwordx2 v[5:6], v[5:6], off
                                        ; implicit-def: $vgpr7
	s_waitcnt vmcnt(0)
	v_cmp_ngt_f32_e64 s[14:15], |v5|, |v6|
	s_and_saveexec_b64 s[16:17], s[14:15]
	s_xor_b64 s[14:15], exec, s[16:17]
	s_cbranch_execz .LBB59_28
; %bb.27:
	v_div_scale_f32 v7, s[16:17], v6, v6, v5
	v_div_scale_f32 v8, vcc, v5, v6, v5
	v_rcp_f32_e32 v12, v7
	v_fma_f32 v13, -v7, v12, 1.0
	v_fmac_f32_e32 v12, v13, v12
	v_mul_f32_e32 v13, v8, v12
	v_fma_f32 v14, -v7, v13, v8
	v_fmac_f32_e32 v13, v14, v12
	v_fma_f32 v7, -v7, v13, v8
	v_div_fmas_f32 v7, v7, v12, v13
	v_div_fixup_f32 v7, v7, v6, v5
	v_fmac_f32_e32 v6, v5, v7
	v_div_scale_f32 v5, s[16:17], v6, v6, 1.0
	v_div_scale_f32 v8, vcc, 1.0, v6, 1.0
	v_rcp_f32_e32 v12, v5
	v_fma_f32 v13, -v5, v12, 1.0
	v_fmac_f32_e32 v12, v13, v12
	v_mul_f32_e32 v13, v8, v12
	v_fma_f32 v14, -v5, v13, v8
	v_fmac_f32_e32 v13, v14, v12
	v_fma_f32 v5, -v5, v13, v8
	v_div_fmas_f32 v5, v5, v12, v13
	v_div_fixup_f32 v5, v5, v6, 1.0
	v_mul_f32_e32 v7, v7, v5
	v_xor_b32_e32 v8, 0x80000000, v5
                                        ; implicit-def: $vgpr5_vgpr6
.LBB59_28:
	s_andn2_saveexec_b64 s[14:15], s[14:15]
	s_cbranch_execz .LBB59_30
; %bb.29:
	v_div_scale_f32 v7, s[16:17], v5, v5, v6
	v_div_scale_f32 v8, vcc, v6, v5, v6
	v_rcp_f32_e32 v12, v7
	v_fma_f32 v13, -v7, v12, 1.0
	v_fmac_f32_e32 v12, v13, v12
	v_mul_f32_e32 v13, v8, v12
	v_fma_f32 v14, -v7, v13, v8
	v_fmac_f32_e32 v13, v14, v12
	v_fma_f32 v7, -v7, v13, v8
	v_div_fmas_f32 v7, v7, v12, v13
	v_div_fixup_f32 v8, v7, v5, v6
	v_fmac_f32_e32 v5, v6, v8
	v_div_scale_f32 v6, s[16:17], v5, v5, 1.0
	v_div_scale_f32 v7, vcc, 1.0, v5, 1.0
	v_rcp_f32_e32 v12, v6
	v_fma_f32 v13, -v6, v12, 1.0
	v_fmac_f32_e32 v12, v13, v12
	v_mul_f32_e32 v13, v7, v12
	v_fma_f32 v14, -v6, v13, v7
	v_fmac_f32_e32 v13, v14, v12
	v_fma_f32 v6, -v6, v13, v7
	v_div_fmas_f32 v6, v6, v12, v13
	v_div_fixup_f32 v7, v6, v5, 1.0
	v_mul_f32_e64 v8, v8, -v7
.LBB59_30:
	s_or_b64 exec, exec, s[14:15]
	v_lshlrev_b32_e32 v5, 3, v11
	ds_write_b64 v5, v[7:8]
.LBB59_31:
	s_or_b64 exec, exec, s[12:13]
                                        ; implicit-def: $vgpr5_vgpr6
                                        ; implicit-def: $vgpr11
.LBB59_32:
	s_andn2_saveexec_b64 s[10:11], s[10:11]
	s_cbranch_execz .LBB59_34
; %bb.33:
	v_lshlrev_b64 v[5:6], 3, v[5:6]
	v_mov_b32_e32 v7, s98
	v_add_co_u32_e32 v5, vcc, s97, v5
	v_addc_co_u32_e32 v6, vcc, v7, v6, vcc
	global_load_dwordx2 v[5:6], v[5:6], off
	v_lshlrev_b32_e32 v7, 3, v11
	s_waitcnt vmcnt(0)
	v_xor_b32_e32 v5, 0x80000000, v5
	v_xor_b32_e32 v6, 0x80000000, v6
	ds_write_b64 v7, v[5:6]
.LBB59_34:
	s_or_b64 exec, exec, s[10:11]
	v_add_u32_e32 v7, 16, v2
	v_mad_u64_u32 v[5:6], s[10:11], s40, v7, v[3:4]
	v_lshl_add_u32 v8, v7, 6, v0
	v_cmp_le_u32_e32 vcc, v0, v7
	v_mad_u64_u32 v[12:13], s[10:11], s41, v7, v[6:7]
	v_add_u32_e32 v6, v7, v9
	v_cndmask_b32_e64 v11, v8, v6, s[6:7]
	v_mov_b32_e32 v6, v12
	s_and_saveexec_b64 s[10:11], vcc
	s_xor_b64 s[10:11], exec, s[10:11]
	s_cbranch_execz .LBB59_46
; %bb.35:
	v_cmp_ne_u32_e32 vcc, v0, v7
	s_and_saveexec_b64 s[12:13], vcc
	s_xor_b64 s[12:13], exec, s[12:13]
	s_cbranch_execz .LBB59_39
; %bb.36:
	v_or_b32_e32 v5, v7, v0
	v_cmp_gt_u32_e32 vcc, 64, v5
	s_and_saveexec_b64 s[14:15], vcc
; %bb.37:
	v_mov_b32_e32 v5, 0
	v_lshlrev_b32_e32 v7, 3, v11
	v_mov_b32_e32 v6, v5
	ds_write_b64 v7, v[5:6]
; %bb.38:
	s_or_b64 exec, exec, s[14:15]
                                        ; implicit-def: $vgpr11
                                        ; implicit-def: $vgpr5_vgpr6
.LBB59_39:
	s_andn2_saveexec_b64 s[12:13], s[12:13]
	s_cbranch_execz .LBB59_45
; %bb.40:
	v_lshlrev_b64 v[5:6], 3, v[5:6]
	v_mov_b32_e32 v7, s98
	v_add_co_u32_e32 v5, vcc, s97, v5
	v_addc_co_u32_e32 v6, vcc, v7, v6, vcc
	global_load_dwordx2 v[5:6], v[5:6], off
                                        ; implicit-def: $vgpr7
	s_waitcnt vmcnt(0)
	v_cmp_ngt_f32_e64 s[14:15], |v5|, |v6|
	s_and_saveexec_b64 s[16:17], s[14:15]
	s_xor_b64 s[14:15], exec, s[16:17]
	s_cbranch_execz .LBB59_42
; %bb.41:
	v_div_scale_f32 v7, s[16:17], v6, v6, v5
	v_div_scale_f32 v8, vcc, v5, v6, v5
	v_rcp_f32_e32 v12, v7
	v_fma_f32 v13, -v7, v12, 1.0
	v_fmac_f32_e32 v12, v13, v12
	v_mul_f32_e32 v13, v8, v12
	v_fma_f32 v14, -v7, v13, v8
	v_fmac_f32_e32 v13, v14, v12
	v_fma_f32 v7, -v7, v13, v8
	v_div_fmas_f32 v7, v7, v12, v13
	v_div_fixup_f32 v7, v7, v6, v5
	v_fmac_f32_e32 v6, v5, v7
	v_div_scale_f32 v5, s[16:17], v6, v6, 1.0
	v_div_scale_f32 v8, vcc, 1.0, v6, 1.0
	v_rcp_f32_e32 v12, v5
	v_fma_f32 v13, -v5, v12, 1.0
	v_fmac_f32_e32 v12, v13, v12
	v_mul_f32_e32 v13, v8, v12
	v_fma_f32 v14, -v5, v13, v8
	v_fmac_f32_e32 v13, v14, v12
	v_fma_f32 v5, -v5, v13, v8
	v_div_fmas_f32 v5, v5, v12, v13
	v_div_fixup_f32 v5, v5, v6, 1.0
	v_mul_f32_e32 v7, v7, v5
	v_xor_b32_e32 v8, 0x80000000, v5
                                        ; implicit-def: $vgpr5_vgpr6
.LBB59_42:
	s_andn2_saveexec_b64 s[14:15], s[14:15]
	s_cbranch_execz .LBB59_44
; %bb.43:
	v_div_scale_f32 v7, s[16:17], v5, v5, v6
	v_div_scale_f32 v8, vcc, v6, v5, v6
	v_rcp_f32_e32 v12, v7
	v_fma_f32 v13, -v7, v12, 1.0
	v_fmac_f32_e32 v12, v13, v12
	v_mul_f32_e32 v13, v8, v12
	v_fma_f32 v14, -v7, v13, v8
	v_fmac_f32_e32 v13, v14, v12
	v_fma_f32 v7, -v7, v13, v8
	v_div_fmas_f32 v7, v7, v12, v13
	v_div_fixup_f32 v8, v7, v5, v6
	v_fmac_f32_e32 v5, v6, v8
	v_div_scale_f32 v6, s[16:17], v5, v5, 1.0
	v_div_scale_f32 v7, vcc, 1.0, v5, 1.0
	v_rcp_f32_e32 v12, v6
	v_fma_f32 v13, -v6, v12, 1.0
	v_fmac_f32_e32 v12, v13, v12
	v_mul_f32_e32 v13, v7, v12
	v_fma_f32 v14, -v6, v13, v7
	v_fmac_f32_e32 v13, v14, v12
	v_fma_f32 v6, -v6, v13, v7
	v_div_fmas_f32 v6, v6, v12, v13
	v_div_fixup_f32 v7, v6, v5, 1.0
	v_mul_f32_e64 v8, v8, -v7
.LBB59_44:
	s_or_b64 exec, exec, s[14:15]
	v_lshlrev_b32_e32 v5, 3, v11
	ds_write_b64 v5, v[7:8]
.LBB59_45:
	s_or_b64 exec, exec, s[12:13]
                                        ; implicit-def: $vgpr5_vgpr6
                                        ; implicit-def: $vgpr11
.LBB59_46:
	s_andn2_saveexec_b64 s[10:11], s[10:11]
	s_cbranch_execz .LBB59_48
; %bb.47:
	v_lshlrev_b64 v[5:6], 3, v[5:6]
	v_mov_b32_e32 v7, s98
	v_add_co_u32_e32 v5, vcc, s97, v5
	v_addc_co_u32_e32 v6, vcc, v7, v6, vcc
	global_load_dwordx2 v[5:6], v[5:6], off
	v_lshlrev_b32_e32 v7, 3, v11
	s_waitcnt vmcnt(0)
	v_xor_b32_e32 v5, 0x80000000, v5
	v_xor_b32_e32 v6, 0x80000000, v6
	ds_write_b64 v7, v[5:6]
.LBB59_48:
	s_or_b64 exec, exec, s[10:11]
	v_add_u32_e32 v7, 32, v2
	v_mad_u64_u32 v[5:6], s[10:11], s40, v7, v[3:4]
	v_lshl_add_u32 v8, v7, 6, v0
	v_cmp_le_u32_e32 vcc, v0, v7
	v_mad_u64_u32 v[12:13], s[10:11], s41, v7, v[6:7]
	v_add_u32_e32 v6, v7, v9
	v_cndmask_b32_e64 v11, v8, v6, s[6:7]
	v_mov_b32_e32 v6, v12
	s_and_saveexec_b64 s[10:11], vcc
	s_xor_b64 s[10:11], exec, s[10:11]
	s_cbranch_execz .LBB59_60
; %bb.49:
	v_cmp_ne_u32_e32 vcc, v0, v7
	s_and_saveexec_b64 s[12:13], vcc
	s_xor_b64 s[12:13], exec, s[12:13]
	s_cbranch_execz .LBB59_53
; %bb.50:
	v_or_b32_e32 v5, v7, v0
	v_cmp_gt_u32_e32 vcc, 64, v5
	s_and_saveexec_b64 s[14:15], vcc
; %bb.51:
	v_mov_b32_e32 v5, 0
	v_lshlrev_b32_e32 v7, 3, v11
	v_mov_b32_e32 v6, v5
	ds_write_b64 v7, v[5:6]
; %bb.52:
	s_or_b64 exec, exec, s[14:15]
                                        ; implicit-def: $vgpr11
                                        ; implicit-def: $vgpr5_vgpr6
.LBB59_53:
	s_andn2_saveexec_b64 s[12:13], s[12:13]
	s_cbranch_execz .LBB59_59
; %bb.54:
	v_lshlrev_b64 v[5:6], 3, v[5:6]
	v_mov_b32_e32 v7, s98
	v_add_co_u32_e32 v5, vcc, s97, v5
	v_addc_co_u32_e32 v6, vcc, v7, v6, vcc
	global_load_dwordx2 v[5:6], v[5:6], off
                                        ; implicit-def: $vgpr7
	s_waitcnt vmcnt(0)
	v_cmp_ngt_f32_e64 s[14:15], |v5|, |v6|
	s_and_saveexec_b64 s[16:17], s[14:15]
	s_xor_b64 s[14:15], exec, s[16:17]
	s_cbranch_execz .LBB59_56
; %bb.55:
	v_div_scale_f32 v7, s[16:17], v6, v6, v5
	v_div_scale_f32 v8, vcc, v5, v6, v5
	v_rcp_f32_e32 v12, v7
	v_fma_f32 v13, -v7, v12, 1.0
	v_fmac_f32_e32 v12, v13, v12
	v_mul_f32_e32 v13, v8, v12
	v_fma_f32 v14, -v7, v13, v8
	v_fmac_f32_e32 v13, v14, v12
	v_fma_f32 v7, -v7, v13, v8
	v_div_fmas_f32 v7, v7, v12, v13
	v_div_fixup_f32 v7, v7, v6, v5
	v_fmac_f32_e32 v6, v5, v7
	v_div_scale_f32 v5, s[16:17], v6, v6, 1.0
	v_div_scale_f32 v8, vcc, 1.0, v6, 1.0
	v_rcp_f32_e32 v12, v5
	v_fma_f32 v13, -v5, v12, 1.0
	v_fmac_f32_e32 v12, v13, v12
	v_mul_f32_e32 v13, v8, v12
	v_fma_f32 v14, -v5, v13, v8
	v_fmac_f32_e32 v13, v14, v12
	v_fma_f32 v5, -v5, v13, v8
	v_div_fmas_f32 v5, v5, v12, v13
	v_div_fixup_f32 v5, v5, v6, 1.0
	v_mul_f32_e32 v7, v7, v5
	v_xor_b32_e32 v8, 0x80000000, v5
                                        ; implicit-def: $vgpr5_vgpr6
.LBB59_56:
	s_andn2_saveexec_b64 s[14:15], s[14:15]
	s_cbranch_execz .LBB59_58
; %bb.57:
	v_div_scale_f32 v7, s[16:17], v5, v5, v6
	v_div_scale_f32 v8, vcc, v6, v5, v6
	v_rcp_f32_e32 v12, v7
	v_fma_f32 v13, -v7, v12, 1.0
	v_fmac_f32_e32 v12, v13, v12
	v_mul_f32_e32 v13, v8, v12
	v_fma_f32 v14, -v7, v13, v8
	v_fmac_f32_e32 v13, v14, v12
	v_fma_f32 v7, -v7, v13, v8
	v_div_fmas_f32 v7, v7, v12, v13
	v_div_fixup_f32 v8, v7, v5, v6
	v_fmac_f32_e32 v5, v6, v8
	v_div_scale_f32 v6, s[16:17], v5, v5, 1.0
	v_div_scale_f32 v7, vcc, 1.0, v5, 1.0
	v_rcp_f32_e32 v12, v6
	v_fma_f32 v13, -v6, v12, 1.0
	v_fmac_f32_e32 v12, v13, v12
	v_mul_f32_e32 v13, v7, v12
	v_fma_f32 v14, -v6, v13, v7
	v_fmac_f32_e32 v13, v14, v12
	v_fma_f32 v6, -v6, v13, v7
	v_div_fmas_f32 v6, v6, v12, v13
	v_div_fixup_f32 v7, v6, v5, 1.0
	v_mul_f32_e64 v8, v8, -v7
.LBB59_58:
	s_or_b64 exec, exec, s[14:15]
	v_lshlrev_b32_e32 v5, 3, v11
	ds_write_b64 v5, v[7:8]
.LBB59_59:
	s_or_b64 exec, exec, s[12:13]
                                        ; implicit-def: $vgpr5_vgpr6
                                        ; implicit-def: $vgpr11
.LBB59_60:
	s_andn2_saveexec_b64 s[10:11], s[10:11]
	s_cbranch_execz .LBB59_62
; %bb.61:
	v_lshlrev_b64 v[5:6], 3, v[5:6]
	v_mov_b32_e32 v7, s98
	v_add_co_u32_e32 v5, vcc, s97, v5
	v_addc_co_u32_e32 v6, vcc, v7, v6, vcc
	global_load_dwordx2 v[5:6], v[5:6], off
	v_lshlrev_b32_e32 v7, 3, v11
	s_waitcnt vmcnt(0)
	v_xor_b32_e32 v5, 0x80000000, v5
	v_xor_b32_e32 v6, 0x80000000, v6
	ds_write_b64 v7, v[5:6]
.LBB59_62:
	s_or_b64 exec, exec, s[10:11]
	v_add_u32_e32 v7, 48, v2
	v_mad_u64_u32 v[5:6], s[10:11], s40, v7, v[3:4]
	v_lshl_add_u32 v8, v7, 6, v0
	v_cmp_le_u32_e32 vcc, v0, v7
	v_mad_u64_u32 v[12:13], s[10:11], s41, v7, v[6:7]
	v_add_u32_e32 v6, v7, v9
	v_cndmask_b32_e64 v11, v8, v6, s[6:7]
	v_mov_b32_e32 v6, v12
	s_and_saveexec_b64 s[10:11], vcc
	s_xor_b64 s[10:11], exec, s[10:11]
	s_cbranch_execz .LBB59_74
; %bb.63:
	v_cmp_ne_u32_e32 vcc, v0, v7
	s_and_saveexec_b64 s[12:13], vcc
	s_xor_b64 s[12:13], exec, s[12:13]
	s_cbranch_execz .LBB59_67
; %bb.64:
	v_or_b32_e32 v5, v7, v0
	v_cmp_gt_u32_e32 vcc, 64, v5
	s_and_saveexec_b64 s[14:15], vcc
; %bb.65:
	v_mov_b32_e32 v5, 0
	v_lshlrev_b32_e32 v7, 3, v11
	v_mov_b32_e32 v6, v5
	ds_write_b64 v7, v[5:6]
; %bb.66:
	s_or_b64 exec, exec, s[14:15]
                                        ; implicit-def: $vgpr11
                                        ; implicit-def: $vgpr5_vgpr6
.LBB59_67:
	s_andn2_saveexec_b64 s[12:13], s[12:13]
	s_cbranch_execz .LBB59_73
; %bb.68:
	v_lshlrev_b64 v[5:6], 3, v[5:6]
	v_mov_b32_e32 v7, s98
	v_add_co_u32_e32 v5, vcc, s97, v5
	v_addc_co_u32_e32 v6, vcc, v7, v6, vcc
	global_load_dwordx2 v[5:6], v[5:6], off
                                        ; implicit-def: $vgpr7
	s_waitcnt vmcnt(0)
	v_cmp_ngt_f32_e64 s[14:15], |v5|, |v6|
	s_and_saveexec_b64 s[16:17], s[14:15]
	s_xor_b64 s[14:15], exec, s[16:17]
	s_cbranch_execz .LBB59_70
; %bb.69:
	v_div_scale_f32 v7, s[16:17], v6, v6, v5
	v_div_scale_f32 v8, vcc, v5, v6, v5
	v_rcp_f32_e32 v12, v7
	v_fma_f32 v13, -v7, v12, 1.0
	v_fmac_f32_e32 v12, v13, v12
	v_mul_f32_e32 v13, v8, v12
	v_fma_f32 v14, -v7, v13, v8
	v_fmac_f32_e32 v13, v14, v12
	v_fma_f32 v7, -v7, v13, v8
	v_div_fmas_f32 v7, v7, v12, v13
	v_div_fixup_f32 v7, v7, v6, v5
	v_fmac_f32_e32 v6, v5, v7
	v_div_scale_f32 v5, s[16:17], v6, v6, 1.0
	v_div_scale_f32 v8, vcc, 1.0, v6, 1.0
	v_rcp_f32_e32 v12, v5
	v_fma_f32 v13, -v5, v12, 1.0
	v_fmac_f32_e32 v12, v13, v12
	v_mul_f32_e32 v13, v8, v12
	v_fma_f32 v14, -v5, v13, v8
	v_fmac_f32_e32 v13, v14, v12
	v_fma_f32 v5, -v5, v13, v8
	v_div_fmas_f32 v5, v5, v12, v13
	v_div_fixup_f32 v5, v5, v6, 1.0
	v_mul_f32_e32 v7, v7, v5
	v_xor_b32_e32 v8, 0x80000000, v5
                                        ; implicit-def: $vgpr5_vgpr6
.LBB59_70:
	s_andn2_saveexec_b64 s[14:15], s[14:15]
	s_cbranch_execz .LBB59_72
; %bb.71:
	v_div_scale_f32 v7, s[16:17], v5, v5, v6
	v_div_scale_f32 v8, vcc, v6, v5, v6
	v_rcp_f32_e32 v12, v7
	v_fma_f32 v13, -v7, v12, 1.0
	v_fmac_f32_e32 v12, v13, v12
	v_mul_f32_e32 v13, v8, v12
	v_fma_f32 v14, -v7, v13, v8
	v_fmac_f32_e32 v13, v14, v12
	v_fma_f32 v7, -v7, v13, v8
	v_div_fmas_f32 v7, v7, v12, v13
	v_div_fixup_f32 v8, v7, v5, v6
	v_fmac_f32_e32 v5, v6, v8
	v_div_scale_f32 v6, s[16:17], v5, v5, 1.0
	v_div_scale_f32 v7, vcc, 1.0, v5, 1.0
	v_rcp_f32_e32 v12, v6
	v_fma_f32 v13, -v6, v12, 1.0
	v_fmac_f32_e32 v12, v13, v12
	v_mul_f32_e32 v13, v7, v12
	v_fma_f32 v14, -v6, v13, v7
	v_fmac_f32_e32 v13, v14, v12
	v_fma_f32 v6, -v6, v13, v7
	v_div_fmas_f32 v6, v6, v12, v13
	v_div_fixup_f32 v7, v6, v5, 1.0
	v_mul_f32_e64 v8, v8, -v7
.LBB59_72:
	s_or_b64 exec, exec, s[14:15]
	v_lshlrev_b32_e32 v5, 3, v11
	ds_write_b64 v5, v[7:8]
.LBB59_73:
	s_or_b64 exec, exec, s[12:13]
                                        ; implicit-def: $vgpr5_vgpr6
                                        ; implicit-def: $vgpr11
.LBB59_74:
	s_andn2_saveexec_b64 s[10:11], s[10:11]
	s_cbranch_execz .LBB59_76
; %bb.75:
	v_lshlrev_b64 v[5:6], 3, v[5:6]
	v_mov_b32_e32 v7, s98
	v_add_co_u32_e32 v5, vcc, s97, v5
	v_addc_co_u32_e32 v6, vcc, v7, v6, vcc
	global_load_dwordx2 v[5:6], v[5:6], off
	v_lshlrev_b32_e32 v7, 3, v11
	s_waitcnt vmcnt(0)
	v_xor_b32_e32 v5, 0x80000000, v5
	v_xor_b32_e32 v6, 0x80000000, v6
	ds_write_b64 v7, v[5:6]
.LBB59_76:
	s_or_b64 exec, exec, s[10:11]
	s_mov_b64 s[16:17], 0
.LBB59_77:
	s_xor_b64 s[14:15], s[6:7], -1
	s_and_b64 vcc, exec, s[16:17]
	s_cbranch_vccz .LBB59_135
; %bb.78:
	v_mad_u64_u32 v[5:6], s[10:11], s40, v2, v[3:4]
	v_cmp_le_u32_e32 vcc, v0, v2
	v_cmp_gt_i32_e64 s[10:11], s96, v0
	v_mad_u64_u32 v[6:7], s[12:13], s41, v2, v[6:7]
	v_max_i32_e32 v7, v2, v0
	v_cmp_le_i32_e64 s[12:13], s96, v7
	s_or_b64 s[12:13], s[12:13], vcc
	s_and_saveexec_b64 s[16:17], s[12:13]
	s_xor_b64 s[12:13], exec, s[16:17]
	s_cbranch_execz .LBB59_90
; %bb.79:
	v_cmp_ne_u32_e32 vcc, v0, v2
	s_xor_b64 s[16:17], s[10:11], -1
	s_or_b64 s[16:17], s[16:17], vcc
	s_and_saveexec_b64 s[18:19], s[16:17]
	s_xor_b64 s[16:17], exec, s[18:19]
	s_cbranch_execz .LBB59_83
; %bb.80:
	v_or_b32_e32 v5, v2, v0
	v_cmp_gt_u32_e32 vcc, 64, v5
	s_and_saveexec_b64 s[18:19], vcc
; %bb.81:
	v_mov_b32_e32 v5, 0
	v_lshlrev_b32_e32 v7, 3, v10
	v_mov_b32_e32 v6, v5
	ds_write_b64 v7, v[5:6]
; %bb.82:
	s_or_b64 exec, exec, s[18:19]
                                        ; implicit-def: $vgpr10
                                        ; implicit-def: $vgpr5_vgpr6
.LBB59_83:
	s_andn2_saveexec_b64 s[16:17], s[16:17]
	s_cbranch_execz .LBB59_89
; %bb.84:
	v_lshlrev_b64 v[5:6], 3, v[5:6]
	v_mov_b32_e32 v7, s98
	v_add_co_u32_e32 v5, vcc, s97, v5
	v_addc_co_u32_e32 v6, vcc, v7, v6, vcc
	global_load_dwordx2 v[5:6], v[5:6], off
                                        ; implicit-def: $vgpr7
	s_waitcnt vmcnt(0)
	v_cmp_ngt_f32_e64 s[18:19], |v5|, |v6|
	s_and_saveexec_b64 s[20:21], s[18:19]
	s_xor_b64 s[18:19], exec, s[20:21]
	s_cbranch_execz .LBB59_86
; %bb.85:
	v_div_scale_f32 v7, s[20:21], v6, v6, v5
	v_div_scale_f32 v8, vcc, v5, v6, v5
	v_rcp_f32_e32 v11, v7
	v_fma_f32 v12, -v7, v11, 1.0
	v_fmac_f32_e32 v11, v12, v11
	v_mul_f32_e32 v12, v8, v11
	v_fma_f32 v13, -v7, v12, v8
	v_fmac_f32_e32 v12, v13, v11
	v_fma_f32 v7, -v7, v12, v8
	v_div_fmas_f32 v7, v7, v11, v12
	v_div_fixup_f32 v7, v7, v6, v5
	v_fmac_f32_e32 v6, v5, v7
	v_div_scale_f32 v5, s[20:21], v6, v6, 1.0
	v_div_scale_f32 v8, vcc, 1.0, v6, 1.0
	v_rcp_f32_e32 v11, v5
	v_fma_f32 v12, -v5, v11, 1.0
	v_fmac_f32_e32 v11, v12, v11
	v_mul_f32_e32 v12, v8, v11
	v_fma_f32 v13, -v5, v12, v8
	v_fmac_f32_e32 v12, v13, v11
	v_fma_f32 v5, -v5, v12, v8
	v_div_fmas_f32 v5, v5, v11, v12
	v_div_fixup_f32 v5, v5, v6, 1.0
	v_mul_f32_e32 v7, v7, v5
	v_xor_b32_e32 v8, 0x80000000, v5
                                        ; implicit-def: $vgpr5_vgpr6
.LBB59_86:
	s_andn2_saveexec_b64 s[18:19], s[18:19]
	s_cbranch_execz .LBB59_88
; %bb.87:
	v_div_scale_f32 v7, s[20:21], v5, v5, v6
	v_div_scale_f32 v8, vcc, v6, v5, v6
	v_rcp_f32_e32 v11, v7
	v_fma_f32 v12, -v7, v11, 1.0
	v_fmac_f32_e32 v11, v12, v11
	v_mul_f32_e32 v12, v8, v11
	v_fma_f32 v13, -v7, v12, v8
	v_fmac_f32_e32 v12, v13, v11
	v_fma_f32 v7, -v7, v12, v8
	v_div_fmas_f32 v7, v7, v11, v12
	v_div_fixup_f32 v8, v7, v5, v6
	v_fmac_f32_e32 v5, v6, v8
	v_div_scale_f32 v6, s[20:21], v5, v5, 1.0
	v_div_scale_f32 v7, vcc, 1.0, v5, 1.0
	v_rcp_f32_e32 v11, v6
	v_fma_f32 v12, -v6, v11, 1.0
	v_fmac_f32_e32 v11, v12, v11
	v_mul_f32_e32 v12, v7, v11
	v_fma_f32 v13, -v6, v12, v7
	v_fmac_f32_e32 v12, v13, v11
	v_fma_f32 v6, -v6, v12, v7
	v_div_fmas_f32 v6, v6, v11, v12
	v_div_fixup_f32 v7, v6, v5, 1.0
	v_mul_f32_e64 v8, v8, -v7
.LBB59_88:
	s_or_b64 exec, exec, s[18:19]
	v_lshlrev_b32_e32 v5, 3, v10
	ds_write_b64 v5, v[7:8]
.LBB59_89:
	s_or_b64 exec, exec, s[16:17]
                                        ; implicit-def: $vgpr5_vgpr6
                                        ; implicit-def: $vgpr10
.LBB59_90:
	s_andn2_saveexec_b64 s[12:13], s[12:13]
	s_cbranch_execz .LBB59_92
; %bb.91:
	v_lshlrev_b64 v[5:6], 3, v[5:6]
	v_mov_b32_e32 v7, s98
	v_add_co_u32_e32 v5, vcc, s97, v5
	v_addc_co_u32_e32 v6, vcc, v7, v6, vcc
	global_load_dwordx2 v[5:6], v[5:6], off
	v_lshlrev_b32_e32 v7, 3, v10
	s_waitcnt vmcnt(0)
	v_xor_b32_e32 v5, 0x80000000, v5
	v_xor_b32_e32 v6, 0x80000000, v6
	ds_write_b64 v7, v[5:6]
.LBB59_92:
	s_or_b64 exec, exec, s[12:13]
	v_add_u32_e32 v7, 16, v2
	v_mad_u64_u32 v[5:6], s[12:13], s40, v7, v[3:4]
	v_cmp_gt_u32_e32 vcc, v0, v7
	v_add_u32_e32 v8, v7, v9
	v_mad_u64_u32 v[11:12], s[12:13], s41, v7, v[6:7]
	v_cmp_gt_i32_e64 s[12:13], s96, v7
	s_and_b64 s[12:13], vcc, s[12:13]
	v_lshl_add_u32 v6, v7, 6, v0
	s_and_b64 s[12:13], s[10:11], s[12:13]
	v_cndmask_b32_e64 v10, v6, v8, s[6:7]
	v_mov_b32_e32 v6, v11
	s_xor_b64 s[12:13], s[12:13], -1
	s_and_saveexec_b64 s[16:17], s[12:13]
	s_xor_b64 s[12:13], exec, s[16:17]
	s_cbranch_execz .LBB59_104
; %bb.93:
	v_cmp_ne_u32_e32 vcc, v0, v7
	s_xor_b64 s[16:17], s[10:11], -1
	s_or_b64 s[16:17], s[16:17], vcc
	s_and_saveexec_b64 s[18:19], s[16:17]
	s_xor_b64 s[16:17], exec, s[18:19]
	s_cbranch_execz .LBB59_97
; %bb.94:
	v_or_b32_e32 v5, v7, v0
	v_cmp_gt_u32_e32 vcc, 64, v5
	s_and_saveexec_b64 s[18:19], vcc
; %bb.95:
	v_mov_b32_e32 v5, 0
	v_lshlrev_b32_e32 v7, 3, v10
	v_mov_b32_e32 v6, v5
	ds_write_b64 v7, v[5:6]
; %bb.96:
	s_or_b64 exec, exec, s[18:19]
                                        ; implicit-def: $vgpr10
                                        ; implicit-def: $vgpr5_vgpr6
.LBB59_97:
	s_andn2_saveexec_b64 s[16:17], s[16:17]
	s_cbranch_execz .LBB59_103
; %bb.98:
	v_lshlrev_b64 v[5:6], 3, v[5:6]
	v_mov_b32_e32 v7, s98
	v_add_co_u32_e32 v5, vcc, s97, v5
	v_addc_co_u32_e32 v6, vcc, v7, v6, vcc
	global_load_dwordx2 v[5:6], v[5:6], off
                                        ; implicit-def: $vgpr7
	s_waitcnt vmcnt(0)
	v_cmp_ngt_f32_e64 s[18:19], |v5|, |v6|
	s_and_saveexec_b64 s[20:21], s[18:19]
	s_xor_b64 s[18:19], exec, s[20:21]
	s_cbranch_execz .LBB59_100
; %bb.99:
	v_div_scale_f32 v7, s[20:21], v6, v6, v5
	v_div_scale_f32 v8, vcc, v5, v6, v5
	v_rcp_f32_e32 v11, v7
	v_fma_f32 v12, -v7, v11, 1.0
	v_fmac_f32_e32 v11, v12, v11
	v_mul_f32_e32 v12, v8, v11
	v_fma_f32 v13, -v7, v12, v8
	v_fmac_f32_e32 v12, v13, v11
	v_fma_f32 v7, -v7, v12, v8
	v_div_fmas_f32 v7, v7, v11, v12
	v_div_fixup_f32 v7, v7, v6, v5
	v_fmac_f32_e32 v6, v5, v7
	v_div_scale_f32 v5, s[20:21], v6, v6, 1.0
	v_div_scale_f32 v8, vcc, 1.0, v6, 1.0
	v_rcp_f32_e32 v11, v5
	v_fma_f32 v12, -v5, v11, 1.0
	v_fmac_f32_e32 v11, v12, v11
	v_mul_f32_e32 v12, v8, v11
	v_fma_f32 v13, -v5, v12, v8
	v_fmac_f32_e32 v12, v13, v11
	v_fma_f32 v5, -v5, v12, v8
	v_div_fmas_f32 v5, v5, v11, v12
	v_div_fixup_f32 v5, v5, v6, 1.0
	v_mul_f32_e32 v7, v7, v5
	v_xor_b32_e32 v8, 0x80000000, v5
                                        ; implicit-def: $vgpr5_vgpr6
.LBB59_100:
	s_andn2_saveexec_b64 s[18:19], s[18:19]
	s_cbranch_execz .LBB59_102
; %bb.101:
	v_div_scale_f32 v7, s[20:21], v5, v5, v6
	v_div_scale_f32 v8, vcc, v6, v5, v6
	v_rcp_f32_e32 v11, v7
	v_fma_f32 v12, -v7, v11, 1.0
	v_fmac_f32_e32 v11, v12, v11
	v_mul_f32_e32 v12, v8, v11
	v_fma_f32 v13, -v7, v12, v8
	v_fmac_f32_e32 v12, v13, v11
	v_fma_f32 v7, -v7, v12, v8
	v_div_fmas_f32 v7, v7, v11, v12
	v_div_fixup_f32 v8, v7, v5, v6
	v_fmac_f32_e32 v5, v6, v8
	v_div_scale_f32 v6, s[20:21], v5, v5, 1.0
	v_div_scale_f32 v7, vcc, 1.0, v5, 1.0
	v_rcp_f32_e32 v11, v6
	v_fma_f32 v12, -v6, v11, 1.0
	v_fmac_f32_e32 v11, v12, v11
	v_mul_f32_e32 v12, v7, v11
	v_fma_f32 v13, -v6, v12, v7
	v_fmac_f32_e32 v12, v13, v11
	v_fma_f32 v6, -v6, v12, v7
	v_div_fmas_f32 v6, v6, v11, v12
	v_div_fixup_f32 v7, v6, v5, 1.0
	v_mul_f32_e64 v8, v8, -v7
.LBB59_102:
	s_or_b64 exec, exec, s[18:19]
	v_lshlrev_b32_e32 v5, 3, v10
	ds_write_b64 v5, v[7:8]
.LBB59_103:
	s_or_b64 exec, exec, s[16:17]
                                        ; implicit-def: $vgpr5_vgpr6
                                        ; implicit-def: $vgpr10
.LBB59_104:
	s_andn2_saveexec_b64 s[12:13], s[12:13]
	s_cbranch_execz .LBB59_106
; %bb.105:
	v_lshlrev_b64 v[5:6], 3, v[5:6]
	v_mov_b32_e32 v7, s98
	v_add_co_u32_e32 v5, vcc, s97, v5
	v_addc_co_u32_e32 v6, vcc, v7, v6, vcc
	global_load_dwordx2 v[5:6], v[5:6], off
	v_lshlrev_b32_e32 v7, 3, v10
	s_waitcnt vmcnt(0)
	v_xor_b32_e32 v5, 0x80000000, v5
	v_xor_b32_e32 v6, 0x80000000, v6
	ds_write_b64 v7, v[5:6]
.LBB59_106:
	s_or_b64 exec, exec, s[12:13]
	v_add_u32_e32 v7, 32, v2
	v_mad_u64_u32 v[5:6], s[12:13], s40, v7, v[3:4]
	v_cmp_gt_u32_e32 vcc, v0, v7
	v_add_u32_e32 v8, v7, v9
	v_mad_u64_u32 v[11:12], s[12:13], s41, v7, v[6:7]
	v_cmp_gt_i32_e64 s[12:13], s96, v7
	s_and_b64 s[12:13], vcc, s[12:13]
	v_lshl_add_u32 v6, v7, 6, v0
	s_and_b64 s[12:13], s[10:11], s[12:13]
	v_cndmask_b32_e64 v10, v6, v8, s[6:7]
	v_mov_b32_e32 v6, v11
	s_xor_b64 s[12:13], s[12:13], -1
	s_and_saveexec_b64 s[16:17], s[12:13]
	s_xor_b64 s[12:13], exec, s[16:17]
	s_cbranch_execz .LBB59_118
; %bb.107:
	v_cmp_ne_u32_e32 vcc, v0, v7
	s_xor_b64 s[16:17], s[10:11], -1
	s_or_b64 s[16:17], s[16:17], vcc
	s_and_saveexec_b64 s[18:19], s[16:17]
	s_xor_b64 s[16:17], exec, s[18:19]
	s_cbranch_execz .LBB59_111
; %bb.108:
	v_or_b32_e32 v5, v7, v0
	v_cmp_gt_u32_e32 vcc, 64, v5
	s_and_saveexec_b64 s[18:19], vcc
; %bb.109:
	v_mov_b32_e32 v5, 0
	v_lshlrev_b32_e32 v7, 3, v10
	v_mov_b32_e32 v6, v5
	ds_write_b64 v7, v[5:6]
; %bb.110:
	s_or_b64 exec, exec, s[18:19]
                                        ; implicit-def: $vgpr10
                                        ; implicit-def: $vgpr5_vgpr6
.LBB59_111:
	s_andn2_saveexec_b64 s[16:17], s[16:17]
	s_cbranch_execz .LBB59_117
; %bb.112:
	v_lshlrev_b64 v[5:6], 3, v[5:6]
	v_mov_b32_e32 v7, s98
	v_add_co_u32_e32 v5, vcc, s97, v5
	v_addc_co_u32_e32 v6, vcc, v7, v6, vcc
	global_load_dwordx2 v[5:6], v[5:6], off
                                        ; implicit-def: $vgpr7
	s_waitcnt vmcnt(0)
	v_cmp_ngt_f32_e64 s[18:19], |v5|, |v6|
	s_and_saveexec_b64 s[20:21], s[18:19]
	s_xor_b64 s[18:19], exec, s[20:21]
	s_cbranch_execz .LBB59_114
; %bb.113:
	v_div_scale_f32 v7, s[20:21], v6, v6, v5
	v_div_scale_f32 v8, vcc, v5, v6, v5
	v_rcp_f32_e32 v11, v7
	v_fma_f32 v12, -v7, v11, 1.0
	v_fmac_f32_e32 v11, v12, v11
	v_mul_f32_e32 v12, v8, v11
	v_fma_f32 v13, -v7, v12, v8
	v_fmac_f32_e32 v12, v13, v11
	v_fma_f32 v7, -v7, v12, v8
	v_div_fmas_f32 v7, v7, v11, v12
	v_div_fixup_f32 v7, v7, v6, v5
	v_fmac_f32_e32 v6, v5, v7
	v_div_scale_f32 v5, s[20:21], v6, v6, 1.0
	v_div_scale_f32 v8, vcc, 1.0, v6, 1.0
	v_rcp_f32_e32 v11, v5
	v_fma_f32 v12, -v5, v11, 1.0
	v_fmac_f32_e32 v11, v12, v11
	v_mul_f32_e32 v12, v8, v11
	v_fma_f32 v13, -v5, v12, v8
	v_fmac_f32_e32 v12, v13, v11
	v_fma_f32 v5, -v5, v12, v8
	v_div_fmas_f32 v5, v5, v11, v12
	v_div_fixup_f32 v5, v5, v6, 1.0
	v_mul_f32_e32 v7, v7, v5
	v_xor_b32_e32 v8, 0x80000000, v5
                                        ; implicit-def: $vgpr5_vgpr6
.LBB59_114:
	s_andn2_saveexec_b64 s[18:19], s[18:19]
	s_cbranch_execz .LBB59_116
; %bb.115:
	v_div_scale_f32 v7, s[20:21], v5, v5, v6
	v_div_scale_f32 v8, vcc, v6, v5, v6
	v_rcp_f32_e32 v11, v7
	v_fma_f32 v12, -v7, v11, 1.0
	v_fmac_f32_e32 v11, v12, v11
	v_mul_f32_e32 v12, v8, v11
	v_fma_f32 v13, -v7, v12, v8
	v_fmac_f32_e32 v12, v13, v11
	v_fma_f32 v7, -v7, v12, v8
	v_div_fmas_f32 v7, v7, v11, v12
	v_div_fixup_f32 v8, v7, v5, v6
	v_fmac_f32_e32 v5, v6, v8
	v_div_scale_f32 v6, s[20:21], v5, v5, 1.0
	v_div_scale_f32 v7, vcc, 1.0, v5, 1.0
	v_rcp_f32_e32 v11, v6
	v_fma_f32 v12, -v6, v11, 1.0
	v_fmac_f32_e32 v11, v12, v11
	v_mul_f32_e32 v12, v7, v11
	v_fma_f32 v13, -v6, v12, v7
	v_fmac_f32_e32 v12, v13, v11
	v_fma_f32 v6, -v6, v12, v7
	v_div_fmas_f32 v6, v6, v11, v12
	v_div_fixup_f32 v7, v6, v5, 1.0
	v_mul_f32_e64 v8, v8, -v7
.LBB59_116:
	s_or_b64 exec, exec, s[18:19]
	v_lshlrev_b32_e32 v5, 3, v10
	ds_write_b64 v5, v[7:8]
.LBB59_117:
	s_or_b64 exec, exec, s[16:17]
                                        ; implicit-def: $vgpr5_vgpr6
                                        ; implicit-def: $vgpr10
.LBB59_118:
	s_andn2_saveexec_b64 s[12:13], s[12:13]
	s_cbranch_execz .LBB59_120
; %bb.119:
	v_lshlrev_b64 v[5:6], 3, v[5:6]
	v_mov_b32_e32 v7, s98
	v_add_co_u32_e32 v5, vcc, s97, v5
	v_addc_co_u32_e32 v6, vcc, v7, v6, vcc
	global_load_dwordx2 v[5:6], v[5:6], off
	v_lshlrev_b32_e32 v7, 3, v10
	s_waitcnt vmcnt(0)
	v_xor_b32_e32 v5, 0x80000000, v5
	v_xor_b32_e32 v6, 0x80000000, v6
	ds_write_b64 v7, v[5:6]
.LBB59_120:
	s_or_b64 exec, exec, s[12:13]
	v_add_u32_e32 v5, 48, v2
	v_mad_u64_u32 v[3:4], s[12:13], s40, v5, v[3:4]
	v_add_u32_e32 v8, v5, v9
	v_cmp_gt_u32_e32 vcc, v0, v5
	v_mad_u64_u32 v[6:7], s[12:13], s41, v5, v[4:5]
	v_lshl_add_u32 v4, v5, 6, v0
	v_cndmask_b32_e64 v7, v4, v8, s[6:7]
	v_cmp_gt_i32_e64 s[6:7], s96, v5
	s_and_b64 s[6:7], vcc, s[6:7]
	s_and_b64 s[6:7], s[10:11], s[6:7]
	v_mov_b32_e32 v4, v6
	s_xor_b64 s[6:7], s[6:7], -1
	s_and_saveexec_b64 s[12:13], s[6:7]
	s_xor_b64 s[6:7], exec, s[12:13]
	s_cbranch_execz .LBB59_132
; %bb.121:
	v_cmp_ne_u32_e32 vcc, v0, v5
	s_xor_b64 s[10:11], s[10:11], -1
	s_or_b64 s[10:11], s[10:11], vcc
	s_and_saveexec_b64 s[12:13], s[10:11]
	s_xor_b64 s[10:11], exec, s[12:13]
	s_cbranch_execz .LBB59_125
; %bb.122:
	v_or_b32_e32 v3, v5, v0
	v_cmp_gt_u32_e32 vcc, 64, v3
	s_and_saveexec_b64 s[12:13], vcc
; %bb.123:
	v_mov_b32_e32 v3, 0
	v_lshlrev_b32_e32 v5, 3, v7
	v_mov_b32_e32 v4, v3
	ds_write_b64 v5, v[3:4]
; %bb.124:
	s_or_b64 exec, exec, s[12:13]
                                        ; implicit-def: $vgpr7
                                        ; implicit-def: $vgpr3_vgpr4
.LBB59_125:
	s_andn2_saveexec_b64 s[10:11], s[10:11]
	s_cbranch_execz .LBB59_131
; %bb.126:
	v_lshlrev_b64 v[3:4], 3, v[3:4]
	v_mov_b32_e32 v5, s98
	v_add_co_u32_e32 v3, vcc, s97, v3
	v_addc_co_u32_e32 v4, vcc, v5, v4, vcc
	global_load_dwordx2 v[3:4], v[3:4], off
                                        ; implicit-def: $vgpr5
	s_waitcnt vmcnt(0)
	v_cmp_ngt_f32_e64 s[12:13], |v3|, |v4|
	s_and_saveexec_b64 s[16:17], s[12:13]
	s_xor_b64 s[12:13], exec, s[16:17]
	s_cbranch_execz .LBB59_128
; %bb.127:
	v_div_scale_f32 v5, s[16:17], v4, v4, v3
	v_div_scale_f32 v6, vcc, v3, v4, v3
	v_rcp_f32_e32 v8, v5
	v_fma_f32 v9, -v5, v8, 1.0
	v_fmac_f32_e32 v8, v9, v8
	v_mul_f32_e32 v9, v6, v8
	v_fma_f32 v10, -v5, v9, v6
	v_fmac_f32_e32 v9, v10, v8
	v_fma_f32 v5, -v5, v9, v6
	v_div_fmas_f32 v5, v5, v8, v9
	v_div_fixup_f32 v5, v5, v4, v3
	v_fmac_f32_e32 v4, v3, v5
	v_div_scale_f32 v3, s[16:17], v4, v4, 1.0
	v_div_scale_f32 v6, vcc, 1.0, v4, 1.0
	v_rcp_f32_e32 v8, v3
	v_fma_f32 v9, -v3, v8, 1.0
	v_fmac_f32_e32 v8, v9, v8
	v_mul_f32_e32 v9, v6, v8
	v_fma_f32 v10, -v3, v9, v6
	v_fmac_f32_e32 v9, v10, v8
	v_fma_f32 v3, -v3, v9, v6
	v_div_fmas_f32 v3, v3, v8, v9
	v_div_fixup_f32 v3, v3, v4, 1.0
	v_mul_f32_e32 v5, v5, v3
	v_xor_b32_e32 v6, 0x80000000, v3
                                        ; implicit-def: $vgpr3_vgpr4
.LBB59_128:
	s_andn2_saveexec_b64 s[12:13], s[12:13]
	s_cbranch_execz .LBB59_130
; %bb.129:
	v_div_scale_f32 v5, s[16:17], v3, v3, v4
	v_div_scale_f32 v6, vcc, v4, v3, v4
	v_rcp_f32_e32 v8, v5
	v_fma_f32 v9, -v5, v8, 1.0
	v_fmac_f32_e32 v8, v9, v8
	v_mul_f32_e32 v9, v6, v8
	v_fma_f32 v10, -v5, v9, v6
	v_fmac_f32_e32 v9, v10, v8
	v_fma_f32 v5, -v5, v9, v6
	v_div_fmas_f32 v5, v5, v8, v9
	v_div_fixup_f32 v6, v5, v3, v4
	v_fmac_f32_e32 v3, v4, v6
	v_div_scale_f32 v4, s[16:17], v3, v3, 1.0
	v_div_scale_f32 v5, vcc, 1.0, v3, 1.0
	v_rcp_f32_e32 v8, v4
	v_fma_f32 v9, -v4, v8, 1.0
	v_fmac_f32_e32 v8, v9, v8
	v_mul_f32_e32 v9, v5, v8
	v_fma_f32 v10, -v4, v9, v5
	v_fmac_f32_e32 v9, v10, v8
	v_fma_f32 v4, -v4, v9, v5
	v_div_fmas_f32 v4, v4, v8, v9
	v_div_fixup_f32 v5, v4, v3, 1.0
	v_mul_f32_e64 v6, v6, -v5
.LBB59_130:
	s_or_b64 exec, exec, s[12:13]
	v_lshlrev_b32_e32 v3, 3, v7
	ds_write_b64 v3, v[5:6]
.LBB59_131:
	s_or_b64 exec, exec, s[10:11]
                                        ; implicit-def: $vgpr3_vgpr4
                                        ; implicit-def: $vgpr7
.LBB59_132:
	s_andn2_saveexec_b64 s[6:7], s[6:7]
	s_cbranch_execz .LBB59_134
; %bb.133:
	v_lshlrev_b64 v[3:4], 3, v[3:4]
	v_mov_b32_e32 v5, s98
	v_add_co_u32_e32 v3, vcc, s97, v3
	v_addc_co_u32_e32 v4, vcc, v5, v4, vcc
	global_load_dwordx2 v[3:4], v[3:4], off
	v_lshlrev_b32_e32 v5, 3, v7
	s_waitcnt vmcnt(0)
	v_xor_b32_e32 v3, 0x80000000, v3
	v_xor_b32_e32 v4, 0x80000000, v4
	ds_write_b64 v5, v[3:4]
.LBB59_134:
	s_or_b64 exec, exec, s[6:7]
.LBB59_135:
	v_cndmask_b32_e64 v3, 0, 1, s[14:15]
	v_cmp_ne_u32_e64 s[66:67], 1, v3
	s_andn2_b64 vcc, exec, s[14:15]
	s_waitcnt vmcnt(0) lgkmcnt(0)
	s_barrier
	s_cbranch_vccnz .LBB59_1057
; %bb.136:
	v_or_b32_e32 v3, v0, v2
	v_cmp_eq_u32_e32 vcc, 0, v3
	s_and_saveexec_b64 s[6:7], vcc
	s_cbranch_execz .LBB59_138
; %bb.137:
	v_mov_b32_e32 v9, 0
	ds_read_b128 v[3:6], v9
	ds_read_b64 v[7:8], v9 offset:520
	s_waitcnt lgkmcnt(0)
	v_mul_f32_e32 v10, v8, v4
	v_mul_f32_e32 v11, v7, v4
	v_fma_f32 v7, v7, v3, -v10
	v_fmac_f32_e32 v11, v8, v3
	v_mul_f32_e32 v3, v11, v6
	v_mul_f32_e32 v4, v7, v6
	v_fma_f32 v3, v7, v5, -v3
	v_fmac_f32_e32 v4, v11, v5
	ds_write2_b64 v9, v[3:4], v[3:4] offset0:1 offset1:64
.LBB59_138:
	s_or_b64 exec, exec, s[6:7]
	v_and_b32_e32 v8, 1, v0
	v_lshrrev_b32_e32 v5, 1, v1
	v_lshlrev_b32_e32 v3, 3, v8
	v_cmp_lt_u32_e64 s[10:11], 3, v1
	v_cmp_gt_u32_e64 s[22:23], 4, v1
	v_lshl_or_b32 v3, v5, 9, v3
	v_mov_b32_e32 v6, 0
	v_mov_b32_e32 v7, 0
	s_waitcnt lgkmcnt(0)
	s_barrier
	s_and_saveexec_b64 s[6:7], s[22:23]
	s_cbranch_execz .LBB59_142
; %bb.139:
	v_mul_u32_u24_e32 v4, 0x208, v5
	ds_read_b64 v[6:7], v3 offset:16
	ds_read_b64 v[9:10], v4
	v_cmp_gt_u32_e64 s[12:13], 2, v1
	s_waitcnt lgkmcnt(0)
	v_mul_f32_e32 v4, v10, v7
	v_mul_f32_e32 v7, v9, v7
	v_fma_f32 v4, v9, v6, -v4
	v_fmac_f32_e32 v7, v10, v6
	v_add_f32_e32 v4, 0, v4
	v_add_f32_e32 v6, 0, v7
	s_and_saveexec_b64 s[14:15], s[12:13]
	s_cbranch_execz .LBB59_141
; %bb.140:
	v_lshlrev_b32_e32 v7, 3, v0
	v_mov_b32_e32 v11, 0
	ds_read_b64 v[9:10], v7 offset:528
	ds_read_b64 v[11:12], v11 offset:8
	s_waitcnt lgkmcnt(0)
	v_mul_f32_e32 v7, v12, v10
	v_mul_f32_e32 v10, v11, v10
	v_fma_f32 v7, v11, v9, -v7
	v_fmac_f32_e32 v10, v12, v9
	v_add_f32_e32 v4, v4, v7
	v_add_f32_e32 v6, v6, v10
.LBB59_141:
	s_or_b64 exec, exec, s[14:15]
	v_xor_b32_e32 v7, 0x80000000, v4
	v_xor_b32_e32 v6, 0x80000000, v6
.LBB59_142:
                                        ; implicit-def: $vgpr35 : SGPR spill to VGPR lane
	v_writelane_b32 v35, s38, 0
	v_writelane_b32 v35, s39, 1
	s_or_b64 exec, exec, s[6:7]
	v_mov_b32_e32 v4, 0x8000
	v_cmp_eq_u32_e64 s[12:13], 0, v8
	s_xor_b64 s[6:7], s[10:11], -1
	v_lshl_add_u32 v4, v5, 3, v4
	s_and_b64 s[38:39], s[12:13], s[6:7]
	s_and_saveexec_b64 s[10:11], s[38:39]
	s_cbranch_execz .LBB59_144
; %bb.143:
	v_mov_b32_e32 v9, 0
	ds_read_b64 v[9:10], v9 offset:1040
	s_waitcnt lgkmcnt(0)
	v_mul_f32_e32 v12, v6, v10
	v_mul_f32_e32 v11, v7, v10
	v_fma_f32 v10, v7, v9, -v12
	v_fmac_f32_e32 v11, v6, v9
	v_mov_b32_e32 v7, v10
	v_mov_b32_e32 v6, v11
	ds_write_b64 v4, v[10:11]
.LBB59_144:
	s_or_b64 exec, exec, s[10:11]
	v_cmp_ne_u32_e64 s[10:11], 0, v8
	s_and_b64 s[36:37], s[10:11], s[6:7]
	s_waitcnt lgkmcnt(0)
	s_barrier
	s_and_saveexec_b64 s[6:7], s[36:37]
	s_cbranch_execz .LBB59_146
; %bb.145:
	v_mov_b32_e32 v8, 0
	ds_read_b64 v[8:9], v8 offset:1048
	ds_read_b64 v[10:11], v4
	s_waitcnt lgkmcnt(0)
	v_mul_f32_e32 v12, v11, v9
	v_mul_f32_e32 v9, v10, v9
	v_fma_f32 v10, v10, v8, -v12
	v_fmac_f32_e32 v9, v11, v8
	v_add_f32_e32 v7, v7, v10
	v_add_f32_e32 v6, v6, v9
.LBB59_146:
	s_or_b64 exec, exec, s[6:7]
	s_barrier
	s_and_saveexec_b64 s[6:7], s[36:37]
	s_cbranch_execz .LBB59_148
; %bb.147:
	v_mov_b32_e32 v8, 0
	ds_read_b64 v[8:9], v8 offset:1560
	s_waitcnt lgkmcnt(0)
	v_mul_f32_e32 v11, v6, v9
	v_mul_f32_e32 v10, v7, v9
	v_fma_f32 v9, v7, v8, -v11
	v_fmac_f32_e32 v10, v6, v8
	v_mov_b32_e32 v7, v9
	v_mov_b32_e32 v6, v10
	ds_write_b64 v4, v[9:10]
.LBB59_148:
	s_or_b64 exec, exec, s[6:7]
	s_waitcnt lgkmcnt(0)
	s_barrier
	s_barrier
	s_and_saveexec_b64 s[6:7], s[22:23]
; %bb.149:
	v_xor_b32_e32 v8, 0x80000000, v6
	v_xor_b32_e32 v7, 0x80000000, v7
	ds_write_b64 v3, v[7:8] offset:16
; %bb.150:
	s_or_b64 exec, exec, s[6:7]
	v_cmp_eq_u32_e64 s[16:17], 0, v2
	v_cmp_gt_u32_e64 s[10:11], 2, v0
	s_and_b64 s[42:43], s[16:17], s[10:11]
	s_waitcnt lgkmcnt(0)
	s_barrier
	s_barrier
	s_and_saveexec_b64 s[6:7], s[42:43]
	s_cbranch_execz .LBB59_152
; %bb.151:
	v_lshlrev_b32_e32 v8, 3, v0
	s_movk_i32 s10, 0x1f8
	v_mad_u32_u24 v9, v0, s10, v8
	ds_read_b64 v[6:7], v9 offset:16
	s_waitcnt lgkmcnt(0)
	ds_write_b64 v8, v[6:7] offset:1024
	ds_read_b64 v[6:7], v9 offset:24
	s_waitcnt lgkmcnt(0)
	ds_write_b64 v8, v[6:7] offset:1536
.LBB59_152:
	s_or_b64 exec, exec, s[6:7]
	s_waitcnt lgkmcnt(0)
	s_barrier
	s_and_saveexec_b64 s[6:7], vcc
	s_cbranch_execz .LBB59_154
; %bb.153:
	v_mov_b32_e32 v12, 0
	ds_read_b128 v[6:9], v12 offset:1040
	ds_read_b64 v[10:11], v12 offset:1560
	s_waitcnt lgkmcnt(0)
	v_mul_f32_e32 v13, v11, v7
	v_mul_f32_e32 v14, v10, v7
	v_fma_f32 v10, v10, v6, -v13
	v_fmac_f32_e32 v14, v11, v6
	v_mul_f32_e32 v6, v14, v9
	v_mul_f32_e32 v7, v10, v9
	v_fma_f32 v6, v10, v8, -v6
	v_fmac_f32_e32 v7, v14, v8
	ds_write2_b64 v12, v[6:7], v[6:7] offset0:131 offset1:194
.LBB59_154:
	s_or_b64 exec, exec, s[6:7]
	v_and_b32_e32 v9, 3, v0
	v_lshrrev_b32_e32 v10, 2, v1
	v_lshlrev_b32_e32 v7, 3, v9
	v_cmp_lt_u32_e64 s[12:13], 15, v1
	v_cmp_gt_u32_e64 s[10:11], 16, v1
	v_lshl_or_b32 v6, v10, 9, v7
	v_mov_b32_e32 v11, 0
	v_mov_b32_e32 v12, 0
	s_waitcnt lgkmcnt(0)
	s_barrier
	s_and_saveexec_b64 s[6:7], s[10:11]
	s_cbranch_execz .LBB59_160
; %bb.155:
	v_mul_u32_u24_e32 v12, 0x208, v10
	ds_read_b64 v[13:14], v6 offset:32
	ds_read_b64 v[15:16], v12
	v_cmp_gt_u32_e64 s[14:15], 12, v1
	s_waitcnt lgkmcnt(0)
	v_mul_f32_e32 v8, v16, v14
	v_mul_f32_e32 v11, v15, v14
	v_fma_f32 v8, v15, v13, -v8
	v_fmac_f32_e32 v11, v16, v13
	v_add_f32_e32 v8, 0, v8
	v_add_f32_e32 v11, 0, v11
	s_and_saveexec_b64 s[18:19], s[14:15]
	s_cbranch_execnz .LBB59_1116
; %bb.156:
	s_or_b64 exec, exec, s[18:19]
	v_cmp_gt_u32_e64 s[14:15], 8, v1
	s_and_saveexec_b64 s[18:19], s[14:15]
	s_cbranch_execnz .LBB59_1117
.LBB59_157:
	s_or_b64 exec, exec, s[18:19]
	v_cmp_gt_u32_e64 s[14:15], 4, v1
	s_and_saveexec_b64 s[18:19], s[14:15]
	s_cbranch_execz .LBB59_159
.LBB59_158:
	v_lshlrev_b32_e32 v12, 3, v0
	v_mov_b32_e32 v14, 0
	ds_read_b64 v[12:13], v12 offset:1568
	ds_read_b64 v[14:15], v14 offset:24
	s_waitcnt lgkmcnt(0)
	v_mul_f32_e32 v16, v15, v13
	v_mul_f32_e32 v13, v14, v13
	v_fma_f32 v14, v14, v12, -v16
	v_fmac_f32_e32 v13, v15, v12
	v_add_f32_e32 v8, v8, v14
	v_add_f32_e32 v11, v11, v13
.LBB59_159:
	s_or_b64 exec, exec, s[18:19]
	v_xor_b32_e32 v12, 0x80000000, v8
	v_xor_b32_e32 v11, 0x80000000, v11
.LBB59_160:
	v_writelane_b32 v35, s52, 2
	s_or_b64 exec, exec, s[6:7]
	v_mov_b32_e32 v8, 0x8000
	v_cmp_eq_u32_e64 s[14:15], 0, v9
	s_xor_b64 s[6:7], s[12:13], -1
	v_lshl_add_u32 v8, v10, 3, v8
	s_and_b64 s[52:53], s[14:15], s[6:7]
	s_and_saveexec_b64 s[12:13], s[52:53]
	s_cbranch_execz .LBB59_162
; %bb.161:
	v_mov_b32_e32 v13, 0
	ds_read_b64 v[13:14], v13 offset:2080
	s_waitcnt lgkmcnt(0)
	v_mul_f32_e32 v16, v11, v14
	v_mul_f32_e32 v15, v12, v14
	v_fma_f32 v14, v12, v13, -v16
	v_fmac_f32_e32 v15, v11, v13
	v_mov_b32_e32 v12, v14
	v_mov_b32_e32 v11, v15
	ds_write_b64 v8, v[14:15]
.LBB59_162:
	s_or_b64 exec, exec, s[12:13]
	v_cmp_ne_u32_e64 s[12:13], 0, v9
	s_and_b64 s[54:55], s[12:13], s[6:7]
	s_waitcnt lgkmcnt(0)
	s_barrier
	s_and_saveexec_b64 s[12:13], s[54:55]
	s_cbranch_execz .LBB59_164
; %bb.163:
	ds_read_b64 v[13:14], v7 offset:2080
	ds_read_b64 v[15:16], v8
	s_waitcnt lgkmcnt(0)
	v_mul_f32_e32 v17, v16, v14
	v_mul_f32_e32 v14, v15, v14
	v_fma_f32 v15, v15, v13, -v17
	v_fmac_f32_e32 v14, v16, v13
	v_add_f32_e32 v12, v12, v15
	v_add_f32_e32 v11, v11, v14
.LBB59_164:
	s_or_b64 exec, exec, s[12:13]
	v_cmp_eq_u32_e64 s[12:13], 1, v9
	s_and_b64 s[56:57], s[12:13], s[6:7]
	s_barrier
	s_and_saveexec_b64 s[12:13], s[56:57]
	s_cbranch_execz .LBB59_166
; %bb.165:
	v_mov_b32_e32 v13, 0
	ds_read_b64 v[13:14], v13 offset:2600
	s_waitcnt lgkmcnt(0)
	v_mul_f32_e32 v16, v11, v14
	v_mul_f32_e32 v15, v12, v14
	v_fma_f32 v14, v12, v13, -v16
	v_fmac_f32_e32 v15, v11, v13
	v_mov_b32_e32 v12, v14
	v_mov_b32_e32 v11, v15
	ds_write_b64 v8, v[14:15]
.LBB59_166:
	s_or_b64 exec, exec, s[12:13]
	v_cmp_lt_u32_e64 s[12:13], 1, v9
	s_and_b64 s[58:59], s[12:13], s[6:7]
	s_waitcnt lgkmcnt(0)
	s_barrier
	s_and_saveexec_b64 s[12:13], s[58:59]
	s_cbranch_execz .LBB59_168
; %bb.167:
	ds_read_b64 v[13:14], v7 offset:2592
	ds_read_b64 v[15:16], v8
	s_waitcnt lgkmcnt(0)
	v_mul_f32_e32 v17, v16, v14
	v_mul_f32_e32 v14, v15, v14
	v_fma_f32 v15, v15, v13, -v17
	v_fmac_f32_e32 v14, v16, v13
	v_add_f32_e32 v12, v12, v15
	v_add_f32_e32 v11, v11, v14
.LBB59_168:
	s_or_b64 exec, exec, s[12:13]
	v_cmp_eq_u32_e64 s[12:13], 2, v9
	s_and_b64 s[60:61], s[12:13], s[6:7]
	s_barrier
	s_and_saveexec_b64 s[12:13], s[60:61]
	s_cbranch_execz .LBB59_170
; %bb.169:
	v_mov_b32_e32 v13, 0
	ds_read_b64 v[13:14], v13 offset:3120
	s_waitcnt lgkmcnt(0)
	v_mul_f32_e32 v16, v11, v14
	v_mul_f32_e32 v15, v12, v14
	v_fma_f32 v14, v12, v13, -v16
	v_fmac_f32_e32 v15, v11, v13
	v_mov_b32_e32 v12, v14
	v_mov_b32_e32 v11, v15
	ds_write_b64 v8, v[14:15]
.LBB59_170:
	s_or_b64 exec, exec, s[12:13]
	v_cmp_eq_u32_e64 s[12:13], 3, v9
	s_and_b64 s[44:45], s[12:13], s[6:7]
	s_waitcnt lgkmcnt(0)
	s_barrier
	s_and_saveexec_b64 s[6:7], s[44:45]
	s_cbranch_execz .LBB59_172
; %bb.171:
	v_mov_b32_e32 v13, 0
	ds_read_b64 v[13:14], v13 offset:3128
	ds_read_b64 v[15:16], v8
	s_waitcnt lgkmcnt(0)
	v_mul_f32_e32 v17, v16, v14
	v_mul_f32_e32 v14, v15, v14
	v_fma_f32 v15, v15, v13, -v17
	v_fmac_f32_e32 v14, v16, v13
	v_add_f32_e32 v12, v12, v15
	v_add_f32_e32 v11, v11, v14
.LBB59_172:
	s_or_b64 exec, exec, s[6:7]
	s_barrier
	s_and_saveexec_b64 s[6:7], s[44:45]
	s_cbranch_execz .LBB59_174
; %bb.173:
	v_mov_b32_e32 v13, 0
	ds_read_b64 v[13:14], v13 offset:3640
	s_waitcnt lgkmcnt(0)
	v_mul_f32_e32 v16, v11, v14
	v_mul_f32_e32 v15, v12, v14
	v_fma_f32 v14, v12, v13, -v16
	v_fmac_f32_e32 v15, v11, v13
	v_mov_b32_e32 v12, v14
	v_mov_b32_e32 v11, v15
	ds_write_b64 v8, v[14:15]
.LBB59_174:
	s_or_b64 exec, exec, s[6:7]
	s_waitcnt lgkmcnt(0)
	s_barrier
	s_barrier
	s_and_saveexec_b64 s[6:7], s[10:11]
; %bb.175:
	v_xor_b32_e32 v12, 0x80000000, v12
	v_xor_b32_e32 v13, 0x80000000, v11
	ds_write_b64 v6, v[12:13] offset:32
; %bb.176:
	s_or_b64 exec, exec, s[6:7]
	v_cmp_gt_u32_e64 s[12:13], 4, v0
	s_and_b64 s[62:63], s[16:17], s[12:13]
	s_waitcnt lgkmcnt(0)
	s_barrier
	s_barrier
	s_and_saveexec_b64 s[6:7], s[62:63]
	s_cbranch_execz .LBB59_178
; %bb.177:
	v_lshlrev_b32_e32 v13, 9, v0
	ds_read_b64 v[11:12], v13 offset:32
	s_movk_i32 s12, 0xfe08
	v_mad_i32_i24 v14, v0, s12, v13
	s_waitcnt lgkmcnt(0)
	ds_write_b64 v14, v[11:12] offset:2048
	ds_read_b64 v[11:12], v13 offset:40
	s_waitcnt lgkmcnt(0)
	ds_write_b64 v14, v[11:12] offset:2560
	ds_read_b64 v[11:12], v13 offset:48
	;; [unrolled: 3-line block ×3, first 2 shown]
	s_waitcnt lgkmcnt(0)
	ds_write_b64 v14, v[11:12] offset:3584
.LBB59_178:
	s_or_b64 exec, exec, s[6:7]
	s_waitcnt lgkmcnt(0)
	s_barrier
	s_and_saveexec_b64 s[6:7], vcc
	s_cbranch_execz .LBB59_180
; %bb.179:
	v_mov_b32_e32 v15, 0
	ds_read_b128 v[11:14], v15 offset:2080
	ds_read_b64 v[15:16], v15 offset:2600
	s_movk_i32 s12, 0x800
	s_waitcnt lgkmcnt(0)
	v_mul_f32_e32 v17, v16, v12
	v_mul_f32_e32 v18, v15, v12
	v_fma_f32 v15, v15, v11, -v17
	v_fmac_f32_e32 v18, v16, v11
	v_mul_f32_e32 v11, v18, v14
	v_mul_f32_e32 v12, v15, v14
	v_fma_f32 v11, v15, v13, -v11
	v_fmac_f32_e32 v12, v18, v13
	v_add_u32_e64 v13, s12, 0
	ds_write2_b64 v13, v[11:12], v[11:12] offset0:5 offset1:68
.LBB59_180:
	s_or_b64 exec, exec, s[6:7]
	v_mov_b32_e32 v11, 0
	v_mov_b32_e32 v12, 0
	s_waitcnt lgkmcnt(0)
	s_barrier
	s_and_saveexec_b64 s[6:7], s[22:23]
	s_cbranch_execz .LBB59_184
; %bb.181:
	v_mul_u32_u24_e32 v13, 0x208, v5
	ds_read_b64 v[11:12], v3 offset:2096
	ds_read_b64 v[13:14], v13 offset:2080
	v_cmp_gt_u32_e64 s[12:13], 2, v1
	s_waitcnt lgkmcnt(0)
	v_mul_f32_e32 v15, v14, v12
	v_mul_f32_e32 v12, v13, v12
	v_fma_f32 v13, v13, v11, -v15
	v_fmac_f32_e32 v12, v14, v11
	v_add_f32_e32 v11, 0, v13
	v_add_f32_e32 v13, 0, v12
	s_and_saveexec_b64 s[14:15], s[12:13]
	s_cbranch_execz .LBB59_183
; %bb.182:
	v_lshlrev_b32_e32 v12, 3, v0
	v_mov_b32_e32 v16, 0
	ds_read_b64 v[14:15], v12 offset:2608
	ds_read_b64 v[16:17], v16 offset:2088
	s_waitcnt lgkmcnt(0)
	v_mul_f32_e32 v12, v17, v15
	v_mul_f32_e32 v15, v16, v15
	v_fma_f32 v12, v16, v14, -v12
	v_fmac_f32_e32 v15, v17, v14
	v_add_f32_e32 v11, v11, v12
	v_add_f32_e32 v13, v13, v15
.LBB59_183:
	s_or_b64 exec, exec, s[14:15]
	v_xor_b32_e32 v12, 0x80000000, v11
	v_xor_b32_e32 v11, 0x80000000, v13
.LBB59_184:
	s_or_b64 exec, exec, s[6:7]
	s_and_saveexec_b64 s[6:7], s[38:39]
	s_cbranch_execz .LBB59_186
; %bb.185:
	v_mov_b32_e32 v13, 0
	ds_read_b64 v[13:14], v13 offset:3120
	s_waitcnt lgkmcnt(0)
	v_mul_f32_e32 v16, v11, v14
	v_mul_f32_e32 v15, v12, v14
	v_fma_f32 v14, v12, v13, -v16
	v_fmac_f32_e32 v15, v11, v13
	v_mov_b32_e32 v12, v14
	v_mov_b32_e32 v11, v15
	ds_write_b64 v4, v[14:15]
.LBB59_186:
	s_or_b64 exec, exec, s[6:7]
	s_waitcnt lgkmcnt(0)
	s_barrier
	s_and_saveexec_b64 s[6:7], s[36:37]
	s_cbranch_execz .LBB59_188
; %bb.187:
	v_mov_b32_e32 v13, 0
	ds_read_b64 v[13:14], v13 offset:3128
	ds_read_b64 v[15:16], v4
	s_waitcnt lgkmcnt(0)
	v_mul_f32_e32 v17, v16, v14
	v_mul_f32_e32 v14, v15, v14
	v_fma_f32 v15, v15, v13, -v17
	v_fmac_f32_e32 v14, v16, v13
	v_add_f32_e32 v12, v12, v15
	v_add_f32_e32 v11, v11, v14
.LBB59_188:
	s_or_b64 exec, exec, s[6:7]
	s_barrier
	s_and_saveexec_b64 s[6:7], s[36:37]
	s_cbranch_execz .LBB59_190
; %bb.189:
	v_mov_b32_e32 v13, 0
	ds_read_b64 v[13:14], v13 offset:3640
	s_waitcnt lgkmcnt(0)
	v_mul_f32_e32 v16, v11, v14
	v_mul_f32_e32 v15, v12, v14
	v_fma_f32 v14, v12, v13, -v16
	v_fmac_f32_e32 v15, v11, v13
	v_mov_b32_e32 v12, v14
	v_mov_b32_e32 v11, v15
	ds_write_b64 v4, v[14:15]
.LBB59_190:
	s_or_b64 exec, exec, s[6:7]
	s_waitcnt lgkmcnt(0)
	s_barrier
	s_barrier
	s_and_saveexec_b64 s[6:7], s[22:23]
; %bb.191:
	v_xor_b32_e32 v13, 0x80000000, v11
	v_xor_b32_e32 v12, 0x80000000, v12
	ds_write_b64 v3, v[12:13] offset:2096
; %bb.192:
	s_or_b64 exec, exec, s[6:7]
	s_waitcnt lgkmcnt(0)
	s_barrier
	s_barrier
	s_and_saveexec_b64 s[6:7], s[42:43]
	s_cbranch_execz .LBB59_194
; %bb.193:
	v_lshlrev_b32_e32 v13, 3, v0
	s_movk_i32 s12, 0x1f8
	v_mad_u32_u24 v14, v0, s12, v13
	ds_read_b64 v[11:12], v14 offset:2096
	s_waitcnt lgkmcnt(0)
	ds_write_b64 v13, v[11:12] offset:3104
	ds_read_b64 v[11:12], v14 offset:2104
	s_waitcnt lgkmcnt(0)
	ds_write_b64 v13, v[11:12] offset:3616
.LBB59_194:
	s_or_b64 exec, exec, s[6:7]
	s_waitcnt lgkmcnt(0)
	s_barrier
	s_and_saveexec_b64 s[6:7], vcc
	s_cbranch_execz .LBB59_196
; %bb.195:
	v_mov_b32_e32 v15, 0
	ds_read_b128 v[11:14], v15 offset:3120
	ds_read_b64 v[15:16], v15 offset:3640
	s_movk_i32 s12, 0x800
	s_waitcnt lgkmcnt(0)
	v_mul_f32_e32 v17, v16, v12
	v_mul_f32_e32 v18, v15, v12
	v_fma_f32 v15, v15, v11, -v17
	v_fmac_f32_e32 v18, v16, v11
	v_mul_f32_e32 v11, v18, v14
	v_mul_f32_e32 v12, v15, v14
	v_fma_f32 v11, v15, v13, -v11
	v_fmac_f32_e32 v12, v18, v13
	v_add_u32_e64 v13, s12, 0
	ds_write2_b64 v13, v[11:12], v[11:12] offset0:135 offset1:198
.LBB59_196:
	s_or_b64 exec, exec, s[6:7]
	v_and_b32_e32 v14, 7, v0
	v_lshrrev_b32_e32 v15, 3, v1
	v_lshlrev_b32_e32 v12, 3, v14
	v_cmp_lt_u32_e64 s[14:15], 63, v1
	v_cmp_gt_u32_e64 s[12:13], 64, v1
	v_lshl_or_b32 v11, v15, 9, v12
	v_mov_b32_e32 v16, 0
	v_mov_b32_e32 v17, 0
	s_waitcnt lgkmcnt(0)
	s_barrier
	s_and_saveexec_b64 s[6:7], s[12:13]
	s_cbranch_execz .LBB59_206
; %bb.197:
	v_mul_u32_u24_e32 v17, 0x208, v15
	ds_read_b64 v[18:19], v11 offset:64
	ds_read_b64 v[20:21], v17
	v_cmp_gt_u32_e64 s[18:19], 56, v1
	s_waitcnt lgkmcnt(0)
	v_mul_f32_e32 v13, v21, v19
	v_mul_f32_e32 v16, v20, v19
	v_fma_f32 v13, v20, v18, -v13
	v_fmac_f32_e32 v16, v21, v18
	v_add_f32_e32 v13, 0, v13
	v_add_f32_e32 v16, 0, v16
	s_and_saveexec_b64 s[20:21], s[18:19]
	s_cbranch_execnz .LBB59_1118
; %bb.198:
	s_or_b64 exec, exec, s[20:21]
	v_cmp_gt_u32_e64 s[18:19], 48, v1
	s_and_saveexec_b64 s[20:21], s[18:19]
	s_cbranch_execnz .LBB59_1119
.LBB59_199:
	s_or_b64 exec, exec, s[20:21]
	v_cmp_gt_u32_e64 s[18:19], 40, v1
	s_and_saveexec_b64 s[20:21], s[18:19]
	s_cbranch_execnz .LBB59_1120
.LBB59_200:
	s_or_b64 exec, exec, s[20:21]
	v_cmp_gt_u32_e64 s[18:19], 32, v1
	s_and_saveexec_b64 s[20:21], s[18:19]
	s_cbranch_execnz .LBB59_1121
.LBB59_201:
	s_or_b64 exec, exec, s[20:21]
	v_cmp_gt_u32_e64 s[18:19], 24, v1
	s_and_saveexec_b64 s[20:21], s[18:19]
	s_cbranch_execnz .LBB59_1122
.LBB59_202:
	s_or_b64 exec, exec, s[20:21]
	v_cmp_gt_u32_e64 s[18:19], 16, v1
	s_and_saveexec_b64 s[20:21], s[18:19]
	s_cbranch_execnz .LBB59_1123
.LBB59_203:
	s_or_b64 exec, exec, s[20:21]
	v_cmp_gt_u32_e64 s[18:19], 8, v1
	s_and_saveexec_b64 s[20:21], s[18:19]
	s_cbranch_execz .LBB59_205
.LBB59_204:
	v_lshlrev_b32_e32 v17, 3, v0
	v_mov_b32_e32 v19, 0
	ds_read_b64 v[17:18], v17 offset:3648
	ds_read_b64 v[19:20], v19 offset:56
	s_waitcnt lgkmcnt(0)
	v_mul_f32_e32 v21, v20, v18
	v_mul_f32_e32 v18, v19, v18
	v_fma_f32 v19, v19, v17, -v21
	v_fmac_f32_e32 v18, v20, v17
	v_add_f32_e32 v13, v13, v19
	v_add_f32_e32 v16, v16, v18
.LBB59_205:
	s_or_b64 exec, exec, s[20:21]
	v_xor_b32_e32 v17, 0x80000000, v13
	v_xor_b32_e32 v16, 0x80000000, v16
.LBB59_206:
	v_writelane_b32 v35, s66, 3
	v_writelane_b32 v35, s67, 4
	s_or_b64 exec, exec, s[6:7]
	v_mov_b32_e32 v13, 0x8000
	v_cmp_eq_u32_e64 s[18:19], 0, v14
	s_xor_b64 s[6:7], s[14:15], -1
	v_lshl_add_u32 v13, v15, 3, v13
	s_and_b64 s[66:67], s[18:19], s[6:7]
	s_and_saveexec_b64 s[14:15], s[66:67]
	s_cbranch_execz .LBB59_208
; %bb.207:
	v_mov_b32_e32 v18, 0
	ds_read_b64 v[18:19], v18 offset:4160
	s_waitcnt lgkmcnt(0)
	v_mul_f32_e32 v21, v16, v19
	v_mul_f32_e32 v20, v17, v19
	v_fma_f32 v19, v17, v18, -v21
	v_fmac_f32_e32 v20, v16, v18
	v_mov_b32_e32 v17, v19
	v_mov_b32_e32 v16, v20
	ds_write_b64 v13, v[19:20]
.LBB59_208:
	s_or_b64 exec, exec, s[14:15]
	v_cmp_ne_u32_e64 s[14:15], 0, v14
	s_and_b64 s[68:69], s[14:15], s[6:7]
	s_waitcnt lgkmcnt(0)
	s_barrier
	s_and_saveexec_b64 s[14:15], s[68:69]
	s_cbranch_execz .LBB59_210
; %bb.209:
	ds_read_b64 v[18:19], v12 offset:4160
	ds_read_b64 v[20:21], v13
	s_waitcnt lgkmcnt(0)
	v_mul_f32_e32 v22, v21, v19
	v_mul_f32_e32 v19, v20, v19
	v_fma_f32 v20, v20, v18, -v22
	v_fmac_f32_e32 v19, v21, v18
	v_add_f32_e32 v17, v17, v20
	v_add_f32_e32 v16, v16, v19
.LBB59_210:
	s_or_b64 exec, exec, s[14:15]
	v_cmp_eq_u32_e64 s[14:15], 1, v14
	s_and_b64 s[70:71], s[14:15], s[6:7]
	s_barrier
	s_and_saveexec_b64 s[14:15], s[70:71]
	s_cbranch_execz .LBB59_212
; %bb.211:
	v_mov_b32_e32 v18, 0
	ds_read_b64 v[18:19], v18 offset:4680
	s_waitcnt lgkmcnt(0)
	v_mul_f32_e32 v21, v16, v19
	v_mul_f32_e32 v20, v17, v19
	v_fma_f32 v19, v17, v18, -v21
	v_fmac_f32_e32 v20, v16, v18
	v_mov_b32_e32 v17, v19
	v_mov_b32_e32 v16, v20
	ds_write_b64 v13, v[19:20]
.LBB59_212:
	s_or_b64 exec, exec, s[14:15]
	v_cmp_lt_u32_e64 s[14:15], 1, v14
	s_and_b64 s[72:73], s[14:15], s[6:7]
	s_waitcnt lgkmcnt(0)
	s_barrier
	s_and_saveexec_b64 s[14:15], s[72:73]
	s_cbranch_execz .LBB59_214
; %bb.213:
	ds_read_b64 v[18:19], v12 offset:4672
	ds_read_b64 v[20:21], v13
	s_waitcnt lgkmcnt(0)
	v_mul_f32_e32 v22, v21, v19
	v_mul_f32_e32 v19, v20, v19
	v_fma_f32 v20, v20, v18, -v22
	v_fmac_f32_e32 v19, v21, v18
	v_add_f32_e32 v17, v17, v20
	v_add_f32_e32 v16, v16, v19
.LBB59_214:
	s_or_b64 exec, exec, s[14:15]
	v_cmp_eq_u32_e64 s[14:15], 2, v14
	s_and_b64 s[74:75], s[14:15], s[6:7]
	s_barrier
	s_and_saveexec_b64 s[14:15], s[74:75]
	s_cbranch_execz .LBB59_216
; %bb.215:
	v_mov_b32_e32 v18, 0
	ds_read_b64 v[18:19], v18 offset:5200
	s_waitcnt lgkmcnt(0)
	v_mul_f32_e32 v21, v16, v19
	v_mul_f32_e32 v20, v17, v19
	v_fma_f32 v19, v17, v18, -v21
	v_fmac_f32_e32 v20, v16, v18
	v_mov_b32_e32 v17, v19
	v_mov_b32_e32 v16, v20
	ds_write_b64 v13, v[19:20]
.LBB59_216:
	s_or_b64 exec, exec, s[14:15]
	v_cmp_lt_u32_e64 s[14:15], 2, v14
	;; [unrolled: 36-line block ×5, first 2 shown]
	s_and_b64 s[88:89], s[14:15], s[6:7]
	s_waitcnt lgkmcnt(0)
	s_barrier
	s_and_saveexec_b64 s[14:15], s[88:89]
	s_cbranch_execz .LBB59_230
; %bb.229:
	ds_read_b64 v[18:19], v12 offset:6720
	ds_read_b64 v[20:21], v13
	s_waitcnt lgkmcnt(0)
	v_mul_f32_e32 v22, v21, v19
	v_mul_f32_e32 v19, v20, v19
	v_fma_f32 v20, v20, v18, -v22
	v_fmac_f32_e32 v19, v21, v18
	v_add_f32_e32 v17, v17, v20
	v_add_f32_e32 v16, v16, v19
.LBB59_230:
	s_or_b64 exec, exec, s[14:15]
	v_cmp_eq_u32_e64 s[14:15], 6, v14
	s_and_b64 s[90:91], s[14:15], s[6:7]
	s_barrier
	s_and_saveexec_b64 s[14:15], s[90:91]
	s_cbranch_execz .LBB59_232
; %bb.231:
	v_mov_b32_e32 v18, 0
	ds_read_b64 v[18:19], v18 offset:7280
	s_waitcnt lgkmcnt(0)
	v_mul_f32_e32 v21, v16, v19
	v_mul_f32_e32 v20, v17, v19
	v_fma_f32 v19, v17, v18, -v21
	v_fmac_f32_e32 v20, v16, v18
	v_mov_b32_e32 v17, v19
	v_mov_b32_e32 v16, v20
	ds_write_b64 v13, v[19:20]
.LBB59_232:
	s_or_b64 exec, exec, s[14:15]
	v_cmp_eq_u32_e64 s[14:15], 7, v14
	s_and_b64 s[64:65], s[14:15], s[6:7]
	s_waitcnt lgkmcnt(0)
	s_barrier
	s_and_saveexec_b64 s[6:7], s[64:65]
	s_cbranch_execz .LBB59_234
; %bb.233:
	v_mov_b32_e32 v18, 0
	ds_read_b64 v[18:19], v18 offset:7288
	ds_read_b64 v[20:21], v13
	s_waitcnt lgkmcnt(0)
	v_mul_f32_e32 v22, v21, v19
	v_mul_f32_e32 v19, v20, v19
	v_fma_f32 v20, v20, v18, -v22
	v_fmac_f32_e32 v19, v21, v18
	v_add_f32_e32 v17, v17, v20
	v_add_f32_e32 v16, v16, v19
.LBB59_234:
	s_or_b64 exec, exec, s[6:7]
	s_barrier
	s_and_saveexec_b64 s[6:7], s[64:65]
	s_cbranch_execz .LBB59_236
; %bb.235:
	v_mov_b32_e32 v18, 0
	ds_read_b64 v[18:19], v18 offset:7800
	s_waitcnt lgkmcnt(0)
	v_mul_f32_e32 v21, v16, v19
	v_mul_f32_e32 v20, v17, v19
	v_fma_f32 v19, v17, v18, -v21
	v_fmac_f32_e32 v20, v16, v18
	v_mov_b32_e32 v17, v19
	v_mov_b32_e32 v16, v20
	ds_write_b64 v13, v[19:20]
.LBB59_236:
	s_or_b64 exec, exec, s[6:7]
	s_waitcnt lgkmcnt(0)
	s_barrier
	s_barrier
	s_and_saveexec_b64 s[6:7], s[12:13]
; %bb.237:
	v_xor_b32_e32 v18, 0x80000000, v16
	v_xor_b32_e32 v17, 0x80000000, v17
	ds_write_b64 v11, v[17:18] offset:64
; %bb.238:
	s_or_b64 exec, exec, s[6:7]
	v_cmp_gt_u32_e64 s[14:15], 8, v0
	s_and_b64 s[92:93], s[16:17], s[14:15]
	s_waitcnt lgkmcnt(0)
	s_barrier
	s_barrier
	s_and_saveexec_b64 s[6:7], s[92:93]
	s_cbranch_execz .LBB59_240
; %bb.239:
	v_lshlrev_b32_e32 v18, 9, v0
	ds_read_b64 v[16:17], v18 offset:64
	s_movk_i32 s14, 0xfe08
	v_mad_i32_i24 v19, v0, s14, v18
	s_waitcnt lgkmcnt(0)
	ds_write_b64 v19, v[16:17] offset:4096
	ds_read_b64 v[16:17], v18 offset:72
	s_waitcnt lgkmcnt(0)
	ds_write_b64 v19, v[16:17] offset:4608
	ds_read_b64 v[16:17], v18 offset:80
	;; [unrolled: 3-line block ×7, first 2 shown]
	s_waitcnt lgkmcnt(0)
	ds_write_b64 v19, v[16:17] offset:7680
.LBB59_240:
	s_or_b64 exec, exec, s[6:7]
	s_waitcnt lgkmcnt(0)
	s_barrier
	s_and_saveexec_b64 s[6:7], vcc
	s_cbranch_execz .LBB59_242
; %bb.241:
	v_mov_b32_e32 v20, 0
	ds_read_b128 v[16:19], v20 offset:4160
	ds_read_b64 v[20:21], v20 offset:4680
	s_movk_i32 s14, 0x1000
	s_waitcnt lgkmcnt(0)
	v_mul_f32_e32 v22, v21, v17
	v_mul_f32_e32 v23, v20, v17
	v_fma_f32 v20, v20, v16, -v22
	v_fmac_f32_e32 v23, v21, v16
	v_mul_f32_e32 v16, v23, v19
	v_mul_f32_e32 v17, v20, v19
	v_fma_f32 v16, v20, v18, -v16
	v_fmac_f32_e32 v17, v23, v18
	v_add_u32_e64 v18, s14, 0
	ds_write2_b64 v18, v[16:17], v[16:17] offset0:9 offset1:72
.LBB59_242:
	s_or_b64 exec, exec, s[6:7]
	v_mov_b32_e32 v16, 0
	v_mov_b32_e32 v17, 0
	s_waitcnt lgkmcnt(0)
	s_barrier
	s_and_saveexec_b64 s[6:7], s[22:23]
	s_cbranch_execz .LBB59_246
; %bb.243:
	v_mul_u32_u24_e32 v18, 0x208, v5
	ds_read_b64 v[16:17], v3 offset:4176
	ds_read_b64 v[18:19], v18 offset:4160
	v_cmp_gt_u32_e64 s[14:15], 2, v1
	s_waitcnt lgkmcnt(0)
	v_mul_f32_e32 v20, v19, v17
	v_mul_f32_e32 v17, v18, v17
	v_fma_f32 v18, v18, v16, -v20
	v_fmac_f32_e32 v17, v19, v16
	v_add_f32_e32 v16, 0, v18
	v_add_f32_e32 v18, 0, v17
	s_and_saveexec_b64 s[18:19], s[14:15]
	s_cbranch_execz .LBB59_245
; %bb.244:
	v_lshlrev_b32_e32 v17, 3, v0
	v_mov_b32_e32 v21, 0
	ds_read_b64 v[19:20], v17 offset:4688
	ds_read_b64 v[21:22], v21 offset:4168
	s_waitcnt lgkmcnt(0)
	v_mul_f32_e32 v17, v22, v20
	v_mul_f32_e32 v20, v21, v20
	v_fma_f32 v17, v21, v19, -v17
	v_fmac_f32_e32 v20, v22, v19
	v_add_f32_e32 v16, v16, v17
	v_add_f32_e32 v18, v18, v20
.LBB59_245:
	s_or_b64 exec, exec, s[18:19]
	v_xor_b32_e32 v17, 0x80000000, v16
	v_xor_b32_e32 v16, 0x80000000, v18
.LBB59_246:
	s_or_b64 exec, exec, s[6:7]
	s_and_saveexec_b64 s[6:7], s[38:39]
	s_cbranch_execz .LBB59_248
; %bb.247:
	v_mov_b32_e32 v18, 0
	ds_read_b64 v[18:19], v18 offset:5200
	s_waitcnt lgkmcnt(0)
	v_mul_f32_e32 v21, v16, v19
	v_mul_f32_e32 v20, v17, v19
	v_fma_f32 v19, v17, v18, -v21
	v_fmac_f32_e32 v20, v16, v18
	v_mov_b32_e32 v17, v19
	v_mov_b32_e32 v16, v20
	ds_write_b64 v4, v[19:20]
.LBB59_248:
	s_or_b64 exec, exec, s[6:7]
	s_waitcnt lgkmcnt(0)
	s_barrier
	s_and_saveexec_b64 s[6:7], s[36:37]
	s_cbranch_execz .LBB59_250
; %bb.249:
	v_mov_b32_e32 v18, 0
	ds_read_b64 v[18:19], v18 offset:5208
	ds_read_b64 v[20:21], v4
	s_waitcnt lgkmcnt(0)
	v_mul_f32_e32 v22, v21, v19
	v_mul_f32_e32 v19, v20, v19
	v_fma_f32 v20, v20, v18, -v22
	v_fmac_f32_e32 v19, v21, v18
	v_add_f32_e32 v17, v17, v20
	v_add_f32_e32 v16, v16, v19
.LBB59_250:
	s_or_b64 exec, exec, s[6:7]
	s_barrier
	s_and_saveexec_b64 s[6:7], s[36:37]
	s_cbranch_execz .LBB59_252
; %bb.251:
	v_mov_b32_e32 v18, 0
	ds_read_b64 v[18:19], v18 offset:5720
	s_waitcnt lgkmcnt(0)
	v_mul_f32_e32 v21, v16, v19
	v_mul_f32_e32 v20, v17, v19
	v_fma_f32 v19, v17, v18, -v21
	v_fmac_f32_e32 v20, v16, v18
	v_mov_b32_e32 v17, v19
	v_mov_b32_e32 v16, v20
	ds_write_b64 v4, v[19:20]
.LBB59_252:
	s_or_b64 exec, exec, s[6:7]
	s_waitcnt lgkmcnt(0)
	s_barrier
	s_barrier
	s_and_saveexec_b64 s[6:7], s[22:23]
; %bb.253:
	v_xor_b32_e32 v18, 0x80000000, v16
	v_xor_b32_e32 v17, 0x80000000, v17
	ds_write_b64 v3, v[17:18] offset:4176
; %bb.254:
	s_or_b64 exec, exec, s[6:7]
	s_waitcnt lgkmcnt(0)
	s_barrier
	s_barrier
	s_and_saveexec_b64 s[6:7], s[42:43]
	s_cbranch_execz .LBB59_256
; %bb.255:
	v_lshlrev_b32_e32 v18, 3, v0
	s_movk_i32 s14, 0x1f8
	v_mad_u32_u24 v19, v0, s14, v18
	ds_read_b64 v[16:17], v19 offset:4176
	s_waitcnt lgkmcnt(0)
	ds_write_b64 v18, v[16:17] offset:5184
	ds_read_b64 v[16:17], v19 offset:4184
	s_waitcnt lgkmcnt(0)
	ds_write_b64 v18, v[16:17] offset:5696
.LBB59_256:
	s_or_b64 exec, exec, s[6:7]
	s_waitcnt lgkmcnt(0)
	s_barrier
	s_and_saveexec_b64 s[6:7], vcc
	s_cbranch_execz .LBB59_258
; %bb.257:
	v_mov_b32_e32 v20, 0
	ds_read_b128 v[16:19], v20 offset:5200
	ds_read_b64 v[20:21], v20 offset:5720
	s_movk_i32 s14, 0x1000
	s_waitcnt lgkmcnt(0)
	v_mul_f32_e32 v22, v21, v17
	v_mul_f32_e32 v23, v20, v17
	v_fma_f32 v20, v20, v16, -v22
	v_fmac_f32_e32 v23, v21, v16
	v_mul_f32_e32 v16, v23, v19
	v_mul_f32_e32 v17, v20, v19
	v_fma_f32 v16, v20, v18, -v16
	v_fmac_f32_e32 v17, v23, v18
	v_add_u32_e64 v18, s14, 0
	ds_write2_b64 v18, v[16:17], v[16:17] offset0:139 offset1:202
.LBB59_258:
	s_or_b64 exec, exec, s[6:7]
	v_mov_b32_e32 v16, 0
	v_mov_b32_e32 v17, 0
	s_waitcnt lgkmcnt(0)
	s_barrier
	s_and_saveexec_b64 s[6:7], s[10:11]
	s_cbranch_execz .LBB59_264
; %bb.259:
	v_mul_u32_u24_e32 v17, 0x208, v10
	ds_read_b64 v[18:19], v6 offset:4192
	ds_read_b64 v[20:21], v17 offset:4160
	v_cmp_gt_u32_e64 s[14:15], 12, v1
	s_waitcnt lgkmcnt(0)
	v_mul_f32_e32 v16, v21, v19
	v_mul_f32_e32 v19, v20, v19
	v_fma_f32 v16, v20, v18, -v16
	v_fmac_f32_e32 v19, v21, v18
	v_add_f32_e32 v16, 0, v16
	v_add_f32_e32 v18, 0, v19
	s_and_saveexec_b64 s[18:19], s[14:15]
	s_cbranch_execnz .LBB59_1124
; %bb.260:
	s_or_b64 exec, exec, s[18:19]
	v_cmp_gt_u32_e64 s[14:15], 8, v1
	s_and_saveexec_b64 s[18:19], s[14:15]
	s_cbranch_execnz .LBB59_1125
.LBB59_261:
	s_or_b64 exec, exec, s[18:19]
	v_cmp_gt_u32_e64 s[14:15], 4, v1
	s_and_saveexec_b64 s[18:19], s[14:15]
	s_cbranch_execz .LBB59_263
.LBB59_262:
	v_lshlrev_b32_e32 v17, 3, v0
	v_mov_b32_e32 v21, 0
	ds_read_b64 v[19:20], v17 offset:5728
	ds_read_b64 v[21:22], v21 offset:4184
	s_waitcnt lgkmcnt(0)
	v_mul_f32_e32 v17, v22, v20
	v_mul_f32_e32 v20, v21, v20
	v_fma_f32 v17, v21, v19, -v17
	v_fmac_f32_e32 v20, v22, v19
	v_add_f32_e32 v16, v16, v17
	v_add_f32_e32 v18, v18, v20
.LBB59_263:
	s_or_b64 exec, exec, s[18:19]
	v_xor_b32_e32 v17, 0x80000000, v16
	v_xor_b32_e32 v16, 0x80000000, v18
.LBB59_264:
	s_or_b64 exec, exec, s[6:7]
	s_and_saveexec_b64 s[6:7], s[52:53]
	s_cbranch_execz .LBB59_266
; %bb.265:
	v_mov_b32_e32 v18, 0
	ds_read_b64 v[18:19], v18 offset:6240
	s_waitcnt lgkmcnt(0)
	v_mul_f32_e32 v21, v16, v19
	v_mul_f32_e32 v20, v17, v19
	v_fma_f32 v19, v17, v18, -v21
	v_fmac_f32_e32 v20, v16, v18
	v_mov_b32_e32 v17, v19
	v_mov_b32_e32 v16, v20
	ds_write_b64 v8, v[19:20]
.LBB59_266:
	s_or_b64 exec, exec, s[6:7]
	s_waitcnt lgkmcnt(0)
	s_barrier
	s_and_saveexec_b64 s[6:7], s[54:55]
	s_cbranch_execz .LBB59_268
; %bb.267:
	ds_read_b64 v[18:19], v7 offset:6240
	ds_read_b64 v[20:21], v8
	s_waitcnt lgkmcnt(0)
	v_mul_f32_e32 v22, v21, v19
	v_mul_f32_e32 v19, v20, v19
	v_fma_f32 v20, v20, v18, -v22
	v_fmac_f32_e32 v19, v21, v18
	v_add_f32_e32 v17, v17, v20
	v_add_f32_e32 v16, v16, v19
.LBB59_268:
	s_or_b64 exec, exec, s[6:7]
	s_barrier
	s_and_saveexec_b64 s[6:7], s[56:57]
	s_cbranch_execz .LBB59_270
; %bb.269:
	v_mov_b32_e32 v18, 0
	ds_read_b64 v[18:19], v18 offset:6760
	s_waitcnt lgkmcnt(0)
	v_mul_f32_e32 v21, v16, v19
	v_mul_f32_e32 v20, v17, v19
	v_fma_f32 v19, v17, v18, -v21
	v_fmac_f32_e32 v20, v16, v18
	v_mov_b32_e32 v17, v19
	v_mov_b32_e32 v16, v20
	ds_write_b64 v8, v[19:20]
.LBB59_270:
	s_or_b64 exec, exec, s[6:7]
	s_waitcnt lgkmcnt(0)
	s_barrier
	s_and_saveexec_b64 s[6:7], s[58:59]
	s_cbranch_execz .LBB59_272
; %bb.271:
	ds_read_b64 v[18:19], v7 offset:6752
	ds_read_b64 v[20:21], v8
	s_waitcnt lgkmcnt(0)
	v_mul_f32_e32 v22, v21, v19
	v_mul_f32_e32 v19, v20, v19
	v_fma_f32 v20, v20, v18, -v22
	v_fmac_f32_e32 v19, v21, v18
	v_add_f32_e32 v17, v17, v20
	v_add_f32_e32 v16, v16, v19
.LBB59_272:
	s_or_b64 exec, exec, s[6:7]
	s_barrier
	s_and_saveexec_b64 s[6:7], s[60:61]
	s_cbranch_execz .LBB59_274
; %bb.273:
	v_mov_b32_e32 v18, 0
	ds_read_b64 v[18:19], v18 offset:7280
	s_waitcnt lgkmcnt(0)
	v_mul_f32_e32 v21, v16, v19
	v_mul_f32_e32 v20, v17, v19
	v_fma_f32 v19, v17, v18, -v21
	v_fmac_f32_e32 v20, v16, v18
	v_mov_b32_e32 v17, v19
	v_mov_b32_e32 v16, v20
	ds_write_b64 v8, v[19:20]
.LBB59_274:
	s_or_b64 exec, exec, s[6:7]
	s_waitcnt lgkmcnt(0)
	s_barrier
	s_and_saveexec_b64 s[6:7], s[44:45]
	s_cbranch_execz .LBB59_276
; %bb.275:
	v_mov_b32_e32 v18, 0
	ds_read_b64 v[18:19], v18 offset:7288
	ds_read_b64 v[20:21], v8
	s_waitcnt lgkmcnt(0)
	v_mul_f32_e32 v22, v21, v19
	v_mul_f32_e32 v19, v20, v19
	v_fma_f32 v20, v20, v18, -v22
	v_fmac_f32_e32 v19, v21, v18
	v_add_f32_e32 v17, v17, v20
	v_add_f32_e32 v16, v16, v19
.LBB59_276:
	s_or_b64 exec, exec, s[6:7]
	s_barrier
	s_and_saveexec_b64 s[6:7], s[44:45]
	s_cbranch_execz .LBB59_278
; %bb.277:
	v_mov_b32_e32 v18, 0
	ds_read_b64 v[18:19], v18 offset:7800
	s_waitcnt lgkmcnt(0)
	v_mul_f32_e32 v21, v16, v19
	v_mul_f32_e32 v20, v17, v19
	v_fma_f32 v19, v17, v18, -v21
	v_fmac_f32_e32 v20, v16, v18
	v_mov_b32_e32 v17, v19
	v_mov_b32_e32 v16, v20
	ds_write_b64 v8, v[19:20]
.LBB59_278:
	s_or_b64 exec, exec, s[6:7]
	s_waitcnt lgkmcnt(0)
	s_barrier
	s_barrier
	s_and_saveexec_b64 s[6:7], s[10:11]
; %bb.279:
	v_xor_b32_e32 v17, 0x80000000, v17
	v_xor_b32_e32 v18, 0x80000000, v16
	ds_write_b64 v6, v[17:18] offset:4192
; %bb.280:
	s_or_b64 exec, exec, s[6:7]
	s_waitcnt lgkmcnt(0)
	s_barrier
	s_barrier
	s_and_saveexec_b64 s[6:7], s[62:63]
	s_cbranch_execz .LBB59_282
; %bb.281:
	v_lshlrev_b32_e32 v18, 9, v0
	ds_read_b64 v[16:17], v18 offset:4192
	s_movk_i32 s14, 0xfe08
	v_mad_i32_i24 v19, v0, s14, v18
	s_waitcnt lgkmcnt(0)
	ds_write_b64 v19, v[16:17] offset:6208
	ds_read_b64 v[16:17], v18 offset:4200
	s_waitcnt lgkmcnt(0)
	ds_write_b64 v19, v[16:17] offset:6720
	ds_read_b64 v[16:17], v18 offset:4208
	;; [unrolled: 3-line block ×3, first 2 shown]
	s_waitcnt lgkmcnt(0)
	ds_write_b64 v19, v[16:17] offset:7744
.LBB59_282:
	s_or_b64 exec, exec, s[6:7]
	s_waitcnt lgkmcnt(0)
	s_barrier
	s_and_saveexec_b64 s[6:7], vcc
	s_cbranch_execz .LBB59_284
; %bb.283:
	v_mov_b32_e32 v20, 0
	ds_read_b128 v[16:19], v20 offset:6240
	ds_read_b64 v[20:21], v20 offset:6760
	s_movk_i32 s14, 0x1800
	s_waitcnt lgkmcnt(0)
	v_mul_f32_e32 v22, v21, v17
	v_mul_f32_e32 v23, v20, v17
	v_fma_f32 v20, v20, v16, -v22
	v_fmac_f32_e32 v23, v21, v16
	v_mul_f32_e32 v16, v23, v19
	v_mul_f32_e32 v17, v20, v19
	v_fma_f32 v16, v20, v18, -v16
	v_fmac_f32_e32 v17, v23, v18
	v_add_u32_e64 v18, s14, 0
	ds_write2_b64 v18, v[16:17], v[16:17] offset0:13 offset1:76
.LBB59_284:
	s_or_b64 exec, exec, s[6:7]
	v_mov_b32_e32 v16, 0
	v_mov_b32_e32 v17, 0
	s_waitcnt lgkmcnt(0)
	s_barrier
	s_and_saveexec_b64 s[6:7], s[22:23]
	s_cbranch_execz .LBB59_288
; %bb.285:
	v_mul_u32_u24_e32 v18, 0x208, v5
	ds_read_b64 v[16:17], v3 offset:6256
	ds_read_b64 v[18:19], v18 offset:6240
	v_cmp_gt_u32_e64 s[14:15], 2, v1
	s_waitcnt lgkmcnt(0)
	v_mul_f32_e32 v20, v19, v17
	v_mul_f32_e32 v17, v18, v17
	v_fma_f32 v18, v18, v16, -v20
	v_fmac_f32_e32 v17, v19, v16
	v_add_f32_e32 v16, 0, v18
	v_add_f32_e32 v18, 0, v17
	s_and_saveexec_b64 s[18:19], s[14:15]
	s_cbranch_execz .LBB59_287
; %bb.286:
	v_lshlrev_b32_e32 v17, 3, v0
	v_mov_b32_e32 v21, 0
	ds_read_b64 v[19:20], v17 offset:6768
	ds_read_b64 v[21:22], v21 offset:6248
	s_waitcnt lgkmcnt(0)
	v_mul_f32_e32 v17, v22, v20
	v_mul_f32_e32 v20, v21, v20
	v_fma_f32 v17, v21, v19, -v17
	v_fmac_f32_e32 v20, v22, v19
	v_add_f32_e32 v16, v16, v17
	v_add_f32_e32 v18, v18, v20
.LBB59_287:
	s_or_b64 exec, exec, s[18:19]
	v_xor_b32_e32 v17, 0x80000000, v16
	v_xor_b32_e32 v16, 0x80000000, v18
.LBB59_288:
	s_or_b64 exec, exec, s[6:7]
	s_and_saveexec_b64 s[6:7], s[38:39]
	s_cbranch_execz .LBB59_290
; %bb.289:
	v_mov_b32_e32 v18, 0
	ds_read_b64 v[18:19], v18 offset:7280
	s_waitcnt lgkmcnt(0)
	v_mul_f32_e32 v21, v16, v19
	v_mul_f32_e32 v20, v17, v19
	v_fma_f32 v19, v17, v18, -v21
	v_fmac_f32_e32 v20, v16, v18
	v_mov_b32_e32 v17, v19
	v_mov_b32_e32 v16, v20
	ds_write_b64 v4, v[19:20]
.LBB59_290:
	s_or_b64 exec, exec, s[6:7]
	s_waitcnt lgkmcnt(0)
	s_barrier
	s_and_saveexec_b64 s[6:7], s[36:37]
	s_cbranch_execz .LBB59_292
; %bb.291:
	v_mov_b32_e32 v18, 0
	ds_read_b64 v[18:19], v18 offset:7288
	ds_read_b64 v[20:21], v4
	s_waitcnt lgkmcnt(0)
	v_mul_f32_e32 v22, v21, v19
	v_mul_f32_e32 v19, v20, v19
	v_fma_f32 v20, v20, v18, -v22
	v_fmac_f32_e32 v19, v21, v18
	v_add_f32_e32 v17, v17, v20
	v_add_f32_e32 v16, v16, v19
.LBB59_292:
	s_or_b64 exec, exec, s[6:7]
	s_barrier
	s_and_saveexec_b64 s[6:7], s[36:37]
	s_cbranch_execz .LBB59_294
; %bb.293:
	v_mov_b32_e32 v18, 0
	ds_read_b64 v[18:19], v18 offset:7800
	s_waitcnt lgkmcnt(0)
	v_mul_f32_e32 v21, v16, v19
	v_mul_f32_e32 v20, v17, v19
	v_fma_f32 v19, v17, v18, -v21
	v_fmac_f32_e32 v20, v16, v18
	v_mov_b32_e32 v17, v19
	v_mov_b32_e32 v16, v20
	ds_write_b64 v4, v[19:20]
.LBB59_294:
	s_or_b64 exec, exec, s[6:7]
	s_waitcnt lgkmcnt(0)
	s_barrier
	s_barrier
	s_and_saveexec_b64 s[6:7], s[22:23]
; %bb.295:
	v_xor_b32_e32 v18, 0x80000000, v16
	v_xor_b32_e32 v17, 0x80000000, v17
	ds_write_b64 v3, v[17:18] offset:6256
; %bb.296:
	s_or_b64 exec, exec, s[6:7]
	s_waitcnt lgkmcnt(0)
	s_barrier
	s_barrier
	s_and_saveexec_b64 s[6:7], s[42:43]
	s_cbranch_execz .LBB59_298
; %bb.297:
	v_lshlrev_b32_e32 v18, 3, v0
	s_movk_i32 s14, 0x1f8
	v_mad_u32_u24 v19, v0, s14, v18
	ds_read_b64 v[16:17], v19 offset:6256
	s_waitcnt lgkmcnt(0)
	ds_write_b64 v18, v[16:17] offset:7264
	ds_read_b64 v[16:17], v19 offset:6264
	s_waitcnt lgkmcnt(0)
	ds_write_b64 v18, v[16:17] offset:7776
.LBB59_298:
	s_or_b64 exec, exec, s[6:7]
	s_waitcnt lgkmcnt(0)
	s_barrier
	s_and_saveexec_b64 s[6:7], vcc
	s_cbranch_execz .LBB59_300
; %bb.299:
	v_mov_b32_e32 v20, 0
	ds_read_b128 v[16:19], v20 offset:7280
	ds_read_b64 v[20:21], v20 offset:7800
	s_movk_i32 s14, 0x1800
	s_waitcnt lgkmcnt(0)
	v_mul_f32_e32 v22, v21, v17
	v_mul_f32_e32 v23, v20, v17
	v_fma_f32 v20, v20, v16, -v22
	v_fmac_f32_e32 v23, v21, v16
	v_mul_f32_e32 v16, v23, v19
	v_mul_f32_e32 v17, v20, v19
	v_fma_f32 v16, v20, v18, -v16
	v_fmac_f32_e32 v17, v23, v18
	v_add_u32_e64 v18, s14, 0
	ds_write2_b64 v18, v[16:17], v[16:17] offset0:143 offset1:206
.LBB59_300:
	s_or_b64 exec, exec, s[6:7]
	v_lshrrev_b32_e32 v20, 4, v1
	v_and_b32_e32 v17, 15, v0
	s_movk_i32 s6, 0xff
	v_lshlrev_b32_e32 v19, 6, v20
	v_cmp_lt_u32_e64 s[18:19], s6, v1
	s_movk_i32 s6, 0x100
	v_or_b32_e32 v16, v19, v17
	v_cmp_gt_u32_e64 s[14:15], s6, v1
	v_lshlrev_b32_e32 v16, 3, v16
	v_mov_b32_e32 v21, 0
	v_mov_b32_e32 v22, 0
	s_waitcnt lgkmcnt(0)
	s_barrier
	s_and_saveexec_b64 s[6:7], s[14:15]
	s_cbranch_execz .LBB59_328
; %bb.301:
	v_mul_u32_u24_e32 v22, 0x208, v20
	ds_read_b64 v[23:24], v16 offset:128
	ds_read_b64 v[25:26], v22
	s_movk_i32 s20, 0xf0
	v_cmp_gt_u32_e64 s[20:21], s20, v1
	s_waitcnt lgkmcnt(0)
	v_mul_f32_e32 v18, v26, v24
	v_mul_f32_e32 v21, v25, v24
	v_fma_f32 v18, v25, v23, -v18
	v_fmac_f32_e32 v21, v26, v23
	v_add_f32_e32 v18, 0, v18
	v_add_f32_e32 v21, 0, v21
	s_and_saveexec_b64 s[24:25], s[20:21]
	s_cbranch_execz .LBB59_303
; %bb.302:
	v_lshlrev_b32_e32 v23, 3, v20
	v_sub_u32_e32 v23, v22, v23
	v_lshl_add_u32 v23, v17, 3, v23
	ds_read_b64 v[23:24], v23 offset:640
	ds_read_b64 v[25:26], v22 offset:8
	s_waitcnt lgkmcnt(0)
	v_mul_f32_e32 v27, v26, v24
	v_mul_f32_e32 v24, v25, v24
	v_fma_f32 v25, v25, v23, -v27
	v_fmac_f32_e32 v24, v26, v23
	v_add_f32_e32 v18, v18, v25
	v_add_f32_e32 v21, v21, v24
.LBB59_303:
	s_or_b64 exec, exec, s[24:25]
	s_movk_i32 s20, 0xe0
	v_cmp_gt_u32_e64 s[20:21], s20, v1
	s_and_saveexec_b64 s[24:25], s[20:21]
	s_cbranch_execz .LBB59_305
; %bb.304:
	v_lshlrev_b32_e32 v23, 3, v20
	v_sub_u32_e32 v23, v22, v23
	v_lshl_add_u32 v23, v17, 3, v23
	ds_read_b64 v[23:24], v23 offset:1152
	ds_read_b64 v[25:26], v22 offset:16
	s_waitcnt lgkmcnt(0)
	v_mul_f32_e32 v27, v26, v24
	v_mul_f32_e32 v24, v25, v24
	v_fma_f32 v25, v25, v23, -v27
	v_fmac_f32_e32 v24, v26, v23
	v_add_f32_e32 v18, v18, v25
	v_add_f32_e32 v21, v21, v24
.LBB59_305:
	s_or_b64 exec, exec, s[24:25]
	s_movk_i32 s20, 0xd0
	v_cmp_gt_u32_e64 s[20:21], s20, v1
	;; [unrolled: 19-line block ×7, first 2 shown]
	s_and_saveexec_b64 s[24:25], s[20:21]
	s_cbranch_execz .LBB59_317
; %bb.316:
	ds_read_b64 v[23:24], v16 offset:4224
	ds_read_b64 v[25:26], v22 offset:64
	s_waitcnt lgkmcnt(0)
	v_mul_f32_e32 v27, v26, v24
	v_mul_f32_e32 v24, v25, v24
	v_fma_f32 v25, v25, v23, -v27
	v_fmac_f32_e32 v24, v26, v23
	v_add_f32_e32 v18, v18, v25
	v_add_f32_e32 v21, v21, v24
.LBB59_317:
	s_or_b64 exec, exec, s[24:25]
	s_movk_i32 s20, 0x70
	v_cmp_gt_u32_e64 s[20:21], s20, v1
	s_and_saveexec_b64 s[24:25], s[20:21]
	s_cbranch_execz .LBB59_319
; %bb.318:
	v_lshlrev_b32_e32 v23, 3, v17
	v_lshl_add_u32 v23, v19, 3, v23
	ds_read_b64 v[23:24], v23 offset:4736
	ds_read_b64 v[25:26], v22 offset:72
	s_waitcnt lgkmcnt(0)
	v_mul_f32_e32 v27, v26, v24
	v_mul_f32_e32 v24, v25, v24
	v_fma_f32 v25, v25, v23, -v27
	v_fmac_f32_e32 v24, v26, v23
	v_add_f32_e32 v18, v18, v25
	v_add_f32_e32 v21, v21, v24
.LBB59_319:
	s_or_b64 exec, exec, s[24:25]
	s_movk_i32 s20, 0x60
	v_cmp_gt_u32_e64 s[20:21], s20, v1
	s_and_saveexec_b64 s[24:25], s[20:21]
	s_cbranch_execz .LBB59_321
; %bb.320:
	v_lshlrev_b32_e32 v23, 3, v17
	v_lshl_add_u32 v23, v19, 3, v23
	ds_read_b64 v[23:24], v23 offset:5248
	ds_read_b64 v[25:26], v22 offset:80
	s_waitcnt lgkmcnt(0)
	v_mul_f32_e32 v27, v26, v24
	v_mul_f32_e32 v24, v25, v24
	v_fma_f32 v25, v25, v23, -v27
	v_fmac_f32_e32 v24, v26, v23
	v_add_f32_e32 v18, v18, v25
	v_add_f32_e32 v21, v21, v24
.LBB59_321:
	s_or_b64 exec, exec, s[24:25]
	s_movk_i32 s20, 0x50
	v_cmp_gt_u32_e64 s[20:21], s20, v1
	s_and_saveexec_b64 s[24:25], s[20:21]
	s_cbranch_execnz .LBB59_1126
; %bb.322:
	s_or_b64 exec, exec, s[24:25]
	v_cmp_gt_u32_e64 s[20:21], 64, v1
	s_and_saveexec_b64 s[24:25], s[20:21]
	s_cbranch_execnz .LBB59_1127
.LBB59_323:
	s_or_b64 exec, exec, s[24:25]
	v_cmp_gt_u32_e64 s[20:21], 48, v1
	s_and_saveexec_b64 s[24:25], s[20:21]
	s_cbranch_execnz .LBB59_1128
.LBB59_324:
	s_or_b64 exec, exec, s[24:25]
	v_cmp_gt_u32_e64 s[20:21], 32, v1
	s_and_saveexec_b64 s[24:25], s[20:21]
	s_cbranch_execnz .LBB59_1129
.LBB59_325:
	s_or_b64 exec, exec, s[24:25]
	v_cmp_gt_u32_e64 s[20:21], 16, v1
	s_and_saveexec_b64 s[24:25], s[20:21]
	s_cbranch_execz .LBB59_327
.LBB59_326:
	v_lshlrev_b32_e32 v22, 3, v0
	v_mov_b32_e32 v24, 0
	ds_read_b64 v[22:23], v22 offset:7808
	ds_read_b64 v[24:25], v24 offset:120
	s_waitcnt lgkmcnt(0)
	v_mul_f32_e32 v26, v25, v23
	v_mul_f32_e32 v23, v24, v23
	v_fma_f32 v24, v24, v22, -v26
	v_fmac_f32_e32 v23, v25, v22
	v_add_f32_e32 v18, v18, v24
	v_add_f32_e32 v21, v21, v23
.LBB59_327:
	s_or_b64 exec, exec, s[24:25]
	v_xor_b32_e32 v22, 0x80000000, v18
	v_xor_b32_e32 v21, 0x80000000, v21
.LBB59_328:
	s_or_b64 exec, exec, s[6:7]
	v_mov_b32_e32 v18, 0x8000
	v_lshl_add_u32 v18, v20, 3, v18
	v_cmp_eq_u32_e64 s[20:21], 0, v17
	s_xor_b64 s[6:7], s[18:19], -1
	s_and_b64 s[20:21], s[20:21], s[6:7]
	s_mov_b64 s[18:19], exec
	v_writelane_b32 v35, s20, 5
	v_writelane_b32 v35, s21, 6
	s_and_b64 s[20:21], s[18:19], s[20:21]
	s_mov_b64 exec, s[20:21]
	s_cbranch_execz .LBB59_330
; %bb.329:
	v_mov_b32_e32 v23, 0
	ds_read_b64 v[23:24], v23 offset:8320
	s_waitcnt lgkmcnt(0)
	v_mul_f32_e32 v26, v21, v24
	v_mul_f32_e32 v25, v22, v24
	v_fma_f32 v24, v22, v23, -v26
	v_fmac_f32_e32 v25, v21, v23
	v_mov_b32_e32 v22, v24
	v_mov_b32_e32 v21, v25
	ds_write_b64 v18, v[24:25]
.LBB59_330:
	s_or_b64 exec, exec, s[18:19]
	v_cmp_ne_u32_e64 s[18:19], 0, v17
	s_waitcnt lgkmcnt(0)
	s_barrier
	s_and_b64 s[20:21], s[18:19], s[6:7]
	s_mov_b64 s[18:19], exec
	v_writelane_b32 v35, s20, 7
	v_writelane_b32 v35, s21, 8
	s_and_b64 s[20:21], s[18:19], s[20:21]
	s_mov_b64 exec, s[20:21]
	s_cbranch_execz .LBB59_332
; %bb.331:
	v_lshlrev_b32_e32 v23, 3, v17
	ds_read_b64 v[23:24], v23 offset:8320
	ds_read_b64 v[25:26], v18
	s_waitcnt lgkmcnt(0)
	v_mul_f32_e32 v27, v26, v24
	v_mul_f32_e32 v24, v25, v24
	v_fma_f32 v25, v25, v23, -v27
	v_fmac_f32_e32 v24, v26, v23
	v_add_f32_e32 v22, v22, v25
	v_add_f32_e32 v21, v21, v24
.LBB59_332:
	s_or_b64 exec, exec, s[18:19]
	v_cmp_eq_u32_e64 s[18:19], 1, v17
	s_barrier
	s_and_b64 s[20:21], s[18:19], s[6:7]
	s_mov_b64 s[18:19], exec
	v_writelane_b32 v35, s20, 9
	v_writelane_b32 v35, s21, 10
	s_and_b64 s[20:21], s[18:19], s[20:21]
	s_mov_b64 exec, s[20:21]
	s_cbranch_execz .LBB59_334
; %bb.333:
	v_mov_b32_e32 v23, 0
	ds_read_b64 v[23:24], v23 offset:8840
	s_waitcnt lgkmcnt(0)
	v_mul_f32_e32 v26, v21, v24
	v_mul_f32_e32 v25, v22, v24
	v_fma_f32 v24, v22, v23, -v26
	v_fmac_f32_e32 v25, v21, v23
	v_mov_b32_e32 v22, v24
	v_mov_b32_e32 v21, v25
	ds_write_b64 v18, v[24:25]
.LBB59_334:
	s_or_b64 exec, exec, s[18:19]
	v_cmp_lt_u32_e64 s[18:19], 1, v17
	s_waitcnt lgkmcnt(0)
	s_barrier
	s_and_b64 s[20:21], s[18:19], s[6:7]
	s_mov_b64 s[18:19], exec
	v_writelane_b32 v35, s20, 11
	v_writelane_b32 v35, s21, 12
	s_and_b64 s[20:21], s[18:19], s[20:21]
	s_mov_b64 exec, s[20:21]
	s_cbranch_execz .LBB59_336
; %bb.335:
	v_lshlrev_b32_e32 v23, 3, v17
	ds_read_b64 v[23:24], v23 offset:8832
	ds_read_b64 v[25:26], v18
	s_waitcnt lgkmcnt(0)
	v_mul_f32_e32 v27, v26, v24
	v_mul_f32_e32 v24, v25, v24
	v_fma_f32 v25, v25, v23, -v27
	v_fmac_f32_e32 v24, v26, v23
	v_add_f32_e32 v22, v22, v25
	v_add_f32_e32 v21, v21, v24
.LBB59_336:
	s_or_b64 exec, exec, s[18:19]
	v_cmp_eq_u32_e64 s[18:19], 2, v17
	s_barrier
	s_and_b64 s[20:21], s[18:19], s[6:7]
	s_mov_b64 s[18:19], exec
	v_writelane_b32 v35, s20, 13
	v_writelane_b32 v35, s21, 14
	s_and_b64 s[20:21], s[18:19], s[20:21]
	s_mov_b64 exec, s[20:21]
	s_cbranch_execz .LBB59_338
; %bb.337:
	v_mov_b32_e32 v23, 0
	ds_read_b64 v[23:24], v23 offset:9360
	s_waitcnt lgkmcnt(0)
	v_mul_f32_e32 v26, v21, v24
	v_mul_f32_e32 v25, v22, v24
	v_fma_f32 v24, v22, v23, -v26
	v_fmac_f32_e32 v25, v21, v23
	v_mov_b32_e32 v22, v24
	v_mov_b32_e32 v21, v25
	ds_write_b64 v18, v[24:25]
.LBB59_338:
	s_or_b64 exec, exec, s[18:19]
	v_cmp_lt_u32_e64 s[18:19], 2, v17
	;; [unrolled: 45-line block ×13, first 2 shown]
	s_waitcnt lgkmcnt(0)
	s_barrier
	s_and_b64 s[20:21], s[18:19], s[6:7]
	s_mov_b64 s[18:19], exec
	v_writelane_b32 v35, s20, 59
	v_writelane_b32 v35, s21, 60
	s_and_b64 s[20:21], s[18:19], s[20:21]
	s_mov_b64 exec, s[20:21]
	s_cbranch_execz .LBB59_384
; %bb.383:
	v_lshlrev_b32_e32 v23, 3, v17
	ds_read_b64 v[23:24], v23 offset:14976
	ds_read_b64 v[25:26], v18
	s_waitcnt lgkmcnt(0)
	v_mul_f32_e32 v27, v26, v24
	v_mul_f32_e32 v24, v25, v24
	v_fma_f32 v25, v25, v23, -v27
	v_fmac_f32_e32 v24, v26, v23
	v_add_f32_e32 v22, v22, v25
	v_add_f32_e32 v21, v21, v24
.LBB59_384:
	s_or_b64 exec, exec, s[18:19]
	v_cmp_eq_u32_e64 s[18:19], 14, v17
	s_barrier
	s_and_b64 s[20:21], s[18:19], s[6:7]
	s_mov_b64 s[18:19], exec
	v_writelane_b32 v35, s20, 61
	v_writelane_b32 v35, s21, 62
	s_and_b64 s[20:21], s[18:19], s[20:21]
	s_mov_b64 exec, s[20:21]
	s_cbranch_execz .LBB59_386
; %bb.385:
	v_mov_b32_e32 v23, 0
	ds_read_b64 v[23:24], v23 offset:15600
	s_waitcnt lgkmcnt(0)
	v_mul_f32_e32 v26, v21, v24
	v_mul_f32_e32 v25, v22, v24
	v_fma_f32 v24, v22, v23, -v26
	v_fmac_f32_e32 v25, v21, v23
	v_mov_b32_e32 v22, v24
	v_mov_b32_e32 v21, v25
	ds_write_b64 v18, v[24:25]
.LBB59_386:
	s_or_b64 exec, exec, s[18:19]
	v_cmp_eq_u32_e64 s[18:19], 15, v17
	s_and_b64 s[6:7], s[18:19], s[6:7]
	s_waitcnt lgkmcnt(0)
	s_barrier
	s_and_saveexec_b64 s[18:19], s[6:7]
	s_cbranch_execz .LBB59_388
; %bb.387:
	v_mov_b32_e32 v23, 0
	ds_read_b64 v[23:24], v23 offset:15608
	ds_read_b64 v[25:26], v18
	s_waitcnt lgkmcnt(0)
	v_mul_f32_e32 v27, v26, v24
	v_mul_f32_e32 v24, v25, v24
	v_fma_f32 v25, v25, v23, -v27
	v_fmac_f32_e32 v24, v26, v23
	v_add_f32_e32 v22, v22, v25
	v_add_f32_e32 v21, v21, v24
.LBB59_388:
	s_or_b64 exec, exec, s[18:19]
	s_barrier
	s_and_saveexec_b64 s[18:19], s[6:7]
	s_cbranch_execz .LBB59_390
; %bb.389:
	v_mov_b32_e32 v23, 0
	ds_read_b64 v[23:24], v23 offset:16120
	s_waitcnt lgkmcnt(0)
	v_mul_f32_e32 v26, v21, v24
	v_mul_f32_e32 v25, v22, v24
	v_fma_f32 v24, v22, v23, -v26
	v_fmac_f32_e32 v25, v21, v23
	v_mov_b32_e32 v22, v24
	v_mov_b32_e32 v21, v25
	ds_write_b64 v18, v[24:25]
.LBB59_390:
	s_or_b64 exec, exec, s[18:19]
	s_waitcnt lgkmcnt(0)
	s_barrier
	s_barrier
	s_and_saveexec_b64 s[18:19], s[14:15]
; %bb.391:
	v_xor_b32_e32 v22, 0x80000000, v22
	v_xor_b32_e32 v23, 0x80000000, v21
	ds_write_b64 v16, v[22:23] offset:128
; %bb.392:
	s_or_b64 exec, exec, s[18:19]
	v_cmp_gt_u32_e64 s[18:19], 16, v0
	s_waitcnt lgkmcnt(0)
	s_barrier
	s_barrier
	s_and_b64 s[20:21], s[16:17], s[18:19]
	s_mov_b64 s[18:19], exec
                                        ; implicit-def: $vgpr34 : SGPR spill to VGPR lane
	v_writelane_b32 v35, s20, 63
	v_writelane_b32 v34, s21, 0
	s_and_b64 s[20:21], s[18:19], s[20:21]
	s_mov_b64 exec, s[20:21]
	s_cbranch_execz .LBB59_394
; %bb.393:
	v_lshlrev_b32_e32 v23, 9, v0
	ds_read_b64 v[21:22], v23 offset:128
	s_movk_i32 s20, 0xfe08
	v_mad_i32_i24 v24, v0, s20, v23
	s_waitcnt lgkmcnt(0)
	ds_write_b64 v24, v[21:22] offset:8192
	ds_read_b64 v[21:22], v23 offset:136
	s_waitcnt lgkmcnt(0)
	ds_write_b64 v24, v[21:22] offset:8704
	ds_read_b64 v[21:22], v23 offset:144
	;; [unrolled: 3-line block ×15, first 2 shown]
	s_waitcnt lgkmcnt(0)
	ds_write_b64 v24, v[21:22] offset:15872
.LBB59_394:
	s_or_b64 exec, exec, s[18:19]
	s_waitcnt lgkmcnt(0)
	s_barrier
	s_and_saveexec_b64 s[18:19], vcc
	s_cbranch_execz .LBB59_396
; %bb.395:
	v_mov_b32_e32 v25, 0
	ds_read_b128 v[21:24], v25 offset:8320
	ds_read_b64 v[25:26], v25 offset:8840
	s_movk_i32 s20, 0x2000
	s_waitcnt lgkmcnt(0)
	v_mul_f32_e32 v27, v26, v22
	v_mul_f32_e32 v28, v25, v22
	v_fma_f32 v25, v25, v21, -v27
	v_fmac_f32_e32 v28, v26, v21
	v_mul_f32_e32 v21, v28, v24
	v_mul_f32_e32 v22, v25, v24
	v_fma_f32 v21, v25, v23, -v21
	v_fmac_f32_e32 v22, v28, v23
	v_add_u32_e64 v23, s20, 0
	ds_write2_b64 v23, v[21:22], v[21:22] offset0:17 offset1:80
.LBB59_396:
	s_or_b64 exec, exec, s[18:19]
	v_mov_b32_e32 v21, 0
	v_mov_b32_e32 v22, 0
	s_waitcnt lgkmcnt(0)
	s_barrier
	s_and_saveexec_b64 s[20:21], s[22:23]
	s_cbranch_execz .LBB59_400
; %bb.397:
	v_mul_u32_u24_e32 v23, 0x208, v5
	ds_read_b64 v[21:22], v3 offset:8336
	ds_read_b64 v[23:24], v23 offset:8320
	v_cmp_gt_u32_e64 s[18:19], 2, v1
	s_waitcnt lgkmcnt(0)
	v_mul_f32_e32 v25, v24, v22
	v_mul_f32_e32 v22, v23, v22
	v_fma_f32 v23, v23, v21, -v25
	v_fmac_f32_e32 v22, v24, v21
	v_add_f32_e32 v21, 0, v23
	v_add_f32_e32 v23, 0, v22
	s_and_saveexec_b64 s[24:25], s[18:19]
	s_cbranch_execz .LBB59_399
; %bb.398:
	v_lshlrev_b32_e32 v22, 3, v0
	v_mov_b32_e32 v26, 0
	ds_read_b64 v[24:25], v22 offset:8848
	ds_read_b64 v[26:27], v26 offset:8328
	s_waitcnt lgkmcnt(0)
	v_mul_f32_e32 v22, v27, v25
	v_mul_f32_e32 v25, v26, v25
	v_fma_f32 v22, v26, v24, -v22
	v_fmac_f32_e32 v25, v27, v24
	v_add_f32_e32 v21, v21, v22
	v_add_f32_e32 v23, v23, v25
.LBB59_399:
	s_or_b64 exec, exec, s[24:25]
	v_xor_b32_e32 v22, 0x80000000, v21
	v_xor_b32_e32 v21, 0x80000000, v23
.LBB59_400:
	s_or_b64 exec, exec, s[20:21]
	s_and_saveexec_b64 s[18:19], s[38:39]
	s_cbranch_execz .LBB59_402
; %bb.401:
	v_mov_b32_e32 v23, 0
	ds_read_b64 v[23:24], v23 offset:9360
	s_waitcnt lgkmcnt(0)
	v_mul_f32_e32 v26, v21, v24
	v_mul_f32_e32 v25, v22, v24
	v_fma_f32 v24, v22, v23, -v26
	v_fmac_f32_e32 v25, v21, v23
	v_mov_b32_e32 v22, v24
	v_mov_b32_e32 v21, v25
	ds_write_b64 v4, v[24:25]
.LBB59_402:
	s_or_b64 exec, exec, s[18:19]
	s_waitcnt lgkmcnt(0)
	s_barrier
	s_and_saveexec_b64 s[18:19], s[36:37]
	s_cbranch_execz .LBB59_404
; %bb.403:
	v_mov_b32_e32 v23, 0
	ds_read_b64 v[23:24], v23 offset:9368
	ds_read_b64 v[25:26], v4
	s_waitcnt lgkmcnt(0)
	v_mul_f32_e32 v27, v26, v24
	v_mul_f32_e32 v24, v25, v24
	v_fma_f32 v25, v25, v23, -v27
	v_fmac_f32_e32 v24, v26, v23
	v_add_f32_e32 v22, v22, v25
	v_add_f32_e32 v21, v21, v24
.LBB59_404:
	s_or_b64 exec, exec, s[18:19]
	s_barrier
	s_and_saveexec_b64 s[18:19], s[36:37]
	s_cbranch_execz .LBB59_406
; %bb.405:
	v_mov_b32_e32 v23, 0
	ds_read_b64 v[23:24], v23 offset:9880
	s_waitcnt lgkmcnt(0)
	v_mul_f32_e32 v26, v21, v24
	v_mul_f32_e32 v25, v22, v24
	v_fma_f32 v24, v22, v23, -v26
	v_fmac_f32_e32 v25, v21, v23
	v_mov_b32_e32 v22, v24
	v_mov_b32_e32 v21, v25
	ds_write_b64 v4, v[24:25]
.LBB59_406:
	s_or_b64 exec, exec, s[18:19]
	s_waitcnt lgkmcnt(0)
	s_barrier
	s_barrier
	s_and_saveexec_b64 s[18:19], s[22:23]
; %bb.407:
	v_xor_b32_e32 v23, 0x80000000, v21
	v_xor_b32_e32 v22, 0x80000000, v22
	ds_write_b64 v3, v[22:23] offset:8336
; %bb.408:
	s_or_b64 exec, exec, s[18:19]
	s_waitcnt lgkmcnt(0)
	s_barrier
	s_barrier
	s_and_saveexec_b64 s[18:19], s[42:43]
	s_cbranch_execz .LBB59_410
; %bb.409:
	v_lshlrev_b32_e32 v23, 3, v0
	s_movk_i32 s20, 0x1f8
	v_mad_u32_u24 v24, v0, s20, v23
	ds_read_b64 v[21:22], v24 offset:8336
	s_waitcnt lgkmcnt(0)
	ds_write_b64 v23, v[21:22] offset:9344
	ds_read_b64 v[21:22], v24 offset:8344
	s_waitcnt lgkmcnt(0)
	ds_write_b64 v23, v[21:22] offset:9856
.LBB59_410:
	s_or_b64 exec, exec, s[18:19]
	s_waitcnt lgkmcnt(0)
	s_barrier
	s_and_saveexec_b64 s[18:19], vcc
	s_cbranch_execz .LBB59_412
; %bb.411:
	v_mov_b32_e32 v25, 0
	ds_read_b128 v[21:24], v25 offset:9360
	ds_read_b64 v[25:26], v25 offset:9880
	s_movk_i32 s20, 0x2000
	s_waitcnt lgkmcnt(0)
	v_mul_f32_e32 v27, v26, v22
	v_mul_f32_e32 v28, v25, v22
	v_fma_f32 v25, v25, v21, -v27
	v_fmac_f32_e32 v28, v26, v21
	v_mul_f32_e32 v21, v28, v24
	v_mul_f32_e32 v22, v25, v24
	v_fma_f32 v21, v25, v23, -v21
	v_fmac_f32_e32 v22, v28, v23
	v_add_u32_e64 v23, s20, 0
	ds_write2_b64 v23, v[21:22], v[21:22] offset0:147 offset1:210
.LBB59_412:
	s_or_b64 exec, exec, s[18:19]
	v_mov_b32_e32 v21, 0
	v_mov_b32_e32 v22, 0
	s_waitcnt lgkmcnt(0)
	s_barrier
	s_and_saveexec_b64 s[20:21], s[10:11]
	s_cbranch_execz .LBB59_418
; %bb.413:
	v_mul_u32_u24_e32 v22, 0x208, v10
	ds_read_b64 v[23:24], v6 offset:8352
	ds_read_b64 v[25:26], v22 offset:8320
	v_cmp_gt_u32_e64 s[18:19], 12, v1
	s_waitcnt lgkmcnt(0)
	v_mul_f32_e32 v21, v26, v24
	v_mul_f32_e32 v24, v25, v24
	v_fma_f32 v21, v25, v23, -v21
	v_fmac_f32_e32 v24, v26, v23
	v_add_f32_e32 v21, 0, v21
	v_add_f32_e32 v23, 0, v24
	s_and_saveexec_b64 s[24:25], s[18:19]
	s_cbranch_execnz .LBB59_1130
; %bb.414:
	s_or_b64 exec, exec, s[24:25]
	v_cmp_gt_u32_e64 s[18:19], 8, v1
	s_and_saveexec_b64 s[24:25], s[18:19]
	s_cbranch_execnz .LBB59_1131
.LBB59_415:
	s_or_b64 exec, exec, s[24:25]
	v_cmp_gt_u32_e64 s[18:19], 4, v1
	s_and_saveexec_b64 s[24:25], s[18:19]
	s_cbranch_execz .LBB59_417
.LBB59_416:
	v_lshlrev_b32_e32 v22, 3, v0
	v_mov_b32_e32 v26, 0
	ds_read_b64 v[24:25], v22 offset:9888
	ds_read_b64 v[26:27], v26 offset:8344
	s_waitcnt lgkmcnt(0)
	v_mul_f32_e32 v22, v27, v25
	v_mul_f32_e32 v25, v26, v25
	v_fma_f32 v22, v26, v24, -v22
	v_fmac_f32_e32 v25, v27, v24
	v_add_f32_e32 v21, v21, v22
	v_add_f32_e32 v23, v23, v25
.LBB59_417:
	s_or_b64 exec, exec, s[24:25]
	v_xor_b32_e32 v22, 0x80000000, v21
	v_xor_b32_e32 v21, 0x80000000, v23
.LBB59_418:
	s_or_b64 exec, exec, s[20:21]
	s_and_saveexec_b64 s[18:19], s[52:53]
	s_cbranch_execz .LBB59_420
; %bb.419:
	v_mov_b32_e32 v23, 0
	ds_read_b64 v[23:24], v23 offset:10400
	s_waitcnt lgkmcnt(0)
	v_mul_f32_e32 v26, v21, v24
	v_mul_f32_e32 v25, v22, v24
	v_fma_f32 v24, v22, v23, -v26
	v_fmac_f32_e32 v25, v21, v23
	v_mov_b32_e32 v22, v24
	v_mov_b32_e32 v21, v25
	ds_write_b64 v8, v[24:25]
.LBB59_420:
	s_or_b64 exec, exec, s[18:19]
	s_waitcnt lgkmcnt(0)
	s_barrier
	s_and_saveexec_b64 s[18:19], s[54:55]
	s_cbranch_execz .LBB59_422
; %bb.421:
	ds_read_b64 v[23:24], v7 offset:10400
	ds_read_b64 v[25:26], v8
	s_waitcnt lgkmcnt(0)
	v_mul_f32_e32 v27, v26, v24
	v_mul_f32_e32 v24, v25, v24
	v_fma_f32 v25, v25, v23, -v27
	v_fmac_f32_e32 v24, v26, v23
	v_add_f32_e32 v22, v22, v25
	v_add_f32_e32 v21, v21, v24
.LBB59_422:
	s_or_b64 exec, exec, s[18:19]
	s_barrier
	s_and_saveexec_b64 s[18:19], s[56:57]
	s_cbranch_execz .LBB59_424
; %bb.423:
	v_mov_b32_e32 v23, 0
	ds_read_b64 v[23:24], v23 offset:10920
	s_waitcnt lgkmcnt(0)
	v_mul_f32_e32 v26, v21, v24
	v_mul_f32_e32 v25, v22, v24
	v_fma_f32 v24, v22, v23, -v26
	v_fmac_f32_e32 v25, v21, v23
	v_mov_b32_e32 v22, v24
	v_mov_b32_e32 v21, v25
	ds_write_b64 v8, v[24:25]
.LBB59_424:
	s_or_b64 exec, exec, s[18:19]
	s_waitcnt lgkmcnt(0)
	s_barrier
	s_and_saveexec_b64 s[18:19], s[58:59]
	s_cbranch_execz .LBB59_426
; %bb.425:
	ds_read_b64 v[23:24], v7 offset:10912
	ds_read_b64 v[25:26], v8
	s_waitcnt lgkmcnt(0)
	v_mul_f32_e32 v27, v26, v24
	v_mul_f32_e32 v24, v25, v24
	v_fma_f32 v25, v25, v23, -v27
	v_fmac_f32_e32 v24, v26, v23
	v_add_f32_e32 v22, v22, v25
	v_add_f32_e32 v21, v21, v24
.LBB59_426:
	s_or_b64 exec, exec, s[18:19]
	s_barrier
	s_and_saveexec_b64 s[18:19], s[60:61]
	s_cbranch_execz .LBB59_428
; %bb.427:
	v_mov_b32_e32 v23, 0
	ds_read_b64 v[23:24], v23 offset:11440
	s_waitcnt lgkmcnt(0)
	v_mul_f32_e32 v26, v21, v24
	v_mul_f32_e32 v25, v22, v24
	v_fma_f32 v24, v22, v23, -v26
	v_fmac_f32_e32 v25, v21, v23
	v_mov_b32_e32 v22, v24
	v_mov_b32_e32 v21, v25
	ds_write_b64 v8, v[24:25]
.LBB59_428:
	s_or_b64 exec, exec, s[18:19]
	s_waitcnt lgkmcnt(0)
	s_barrier
	s_and_saveexec_b64 s[18:19], s[44:45]
	s_cbranch_execz .LBB59_430
; %bb.429:
	v_mov_b32_e32 v23, 0
	ds_read_b64 v[23:24], v23 offset:11448
	ds_read_b64 v[25:26], v8
	s_waitcnt lgkmcnt(0)
	v_mul_f32_e32 v27, v26, v24
	v_mul_f32_e32 v24, v25, v24
	v_fma_f32 v25, v25, v23, -v27
	v_fmac_f32_e32 v24, v26, v23
	v_add_f32_e32 v22, v22, v25
	v_add_f32_e32 v21, v21, v24
.LBB59_430:
	s_or_b64 exec, exec, s[18:19]
	s_barrier
	s_and_saveexec_b64 s[18:19], s[44:45]
	s_cbranch_execz .LBB59_432
; %bb.431:
	v_mov_b32_e32 v23, 0
	ds_read_b64 v[23:24], v23 offset:11960
	s_waitcnt lgkmcnt(0)
	v_mul_f32_e32 v26, v21, v24
	v_mul_f32_e32 v25, v22, v24
	v_fma_f32 v24, v22, v23, -v26
	v_fmac_f32_e32 v25, v21, v23
	v_mov_b32_e32 v22, v24
	v_mov_b32_e32 v21, v25
	ds_write_b64 v8, v[24:25]
.LBB59_432:
	s_or_b64 exec, exec, s[18:19]
	s_waitcnt lgkmcnt(0)
	s_barrier
	s_barrier
	s_and_saveexec_b64 s[18:19], s[10:11]
; %bb.433:
	v_xor_b32_e32 v22, 0x80000000, v22
	v_xor_b32_e32 v23, 0x80000000, v21
	ds_write_b64 v6, v[22:23] offset:8352
; %bb.434:
	s_or_b64 exec, exec, s[18:19]
	s_waitcnt lgkmcnt(0)
	s_barrier
	s_barrier
	s_and_saveexec_b64 s[18:19], s[62:63]
	s_cbranch_execz .LBB59_436
; %bb.435:
	v_lshlrev_b32_e32 v23, 9, v0
	ds_read_b64 v[21:22], v23 offset:8352
	s_movk_i32 s20, 0xfe08
	v_mad_i32_i24 v24, v0, s20, v23
	s_waitcnt lgkmcnt(0)
	ds_write_b64 v24, v[21:22] offset:10368
	ds_read_b64 v[21:22], v23 offset:8360
	s_waitcnt lgkmcnt(0)
	ds_write_b64 v24, v[21:22] offset:10880
	ds_read_b64 v[21:22], v23 offset:8368
	;; [unrolled: 3-line block ×3, first 2 shown]
	s_waitcnt lgkmcnt(0)
	ds_write_b64 v24, v[21:22] offset:11904
.LBB59_436:
	s_or_b64 exec, exec, s[18:19]
	s_waitcnt lgkmcnt(0)
	s_barrier
	s_and_saveexec_b64 s[18:19], vcc
	s_cbranch_execz .LBB59_438
; %bb.437:
	v_mov_b32_e32 v25, 0
	ds_read_b128 v[21:24], v25 offset:10400
	ds_read_b64 v[25:26], v25 offset:10920
	s_movk_i32 s20, 0x2800
	s_waitcnt lgkmcnt(0)
	v_mul_f32_e32 v27, v26, v22
	v_mul_f32_e32 v28, v25, v22
	v_fma_f32 v25, v25, v21, -v27
	v_fmac_f32_e32 v28, v26, v21
	v_mul_f32_e32 v21, v28, v24
	v_mul_f32_e32 v22, v25, v24
	v_fma_f32 v21, v25, v23, -v21
	v_fmac_f32_e32 v22, v28, v23
	v_add_u32_e64 v23, s20, 0
	ds_write2_b64 v23, v[21:22], v[21:22] offset0:21 offset1:84
.LBB59_438:
	s_or_b64 exec, exec, s[18:19]
	v_mov_b32_e32 v21, 0
	v_mov_b32_e32 v22, 0
	s_waitcnt lgkmcnt(0)
	s_barrier
	s_and_saveexec_b64 s[20:21], s[22:23]
	s_cbranch_execz .LBB59_442
; %bb.439:
	v_mul_u32_u24_e32 v23, 0x208, v5
	ds_read_b64 v[21:22], v3 offset:10416
	ds_read_b64 v[23:24], v23 offset:10400
	v_cmp_gt_u32_e64 s[18:19], 2, v1
	s_waitcnt lgkmcnt(0)
	v_mul_f32_e32 v25, v24, v22
	v_mul_f32_e32 v22, v23, v22
	v_fma_f32 v23, v23, v21, -v25
	v_fmac_f32_e32 v22, v24, v21
	v_add_f32_e32 v21, 0, v23
	v_add_f32_e32 v23, 0, v22
	s_and_saveexec_b64 s[24:25], s[18:19]
	s_cbranch_execz .LBB59_441
; %bb.440:
	v_lshlrev_b32_e32 v22, 3, v0
	v_mov_b32_e32 v26, 0
	ds_read_b64 v[24:25], v22 offset:10928
	ds_read_b64 v[26:27], v26 offset:10408
	s_waitcnt lgkmcnt(0)
	v_mul_f32_e32 v22, v27, v25
	v_mul_f32_e32 v25, v26, v25
	v_fma_f32 v22, v26, v24, -v22
	v_fmac_f32_e32 v25, v27, v24
	v_add_f32_e32 v21, v21, v22
	v_add_f32_e32 v23, v23, v25
.LBB59_441:
	s_or_b64 exec, exec, s[24:25]
	v_xor_b32_e32 v22, 0x80000000, v21
	v_xor_b32_e32 v21, 0x80000000, v23
.LBB59_442:
	s_or_b64 exec, exec, s[20:21]
	s_and_saveexec_b64 s[18:19], s[38:39]
	s_cbranch_execz .LBB59_444
; %bb.443:
	v_mov_b32_e32 v23, 0
	ds_read_b64 v[23:24], v23 offset:11440
	s_waitcnt lgkmcnt(0)
	v_mul_f32_e32 v26, v21, v24
	v_mul_f32_e32 v25, v22, v24
	v_fma_f32 v24, v22, v23, -v26
	v_fmac_f32_e32 v25, v21, v23
	v_mov_b32_e32 v22, v24
	v_mov_b32_e32 v21, v25
	ds_write_b64 v4, v[24:25]
.LBB59_444:
	s_or_b64 exec, exec, s[18:19]
	s_waitcnt lgkmcnt(0)
	s_barrier
	s_and_saveexec_b64 s[18:19], s[36:37]
	s_cbranch_execz .LBB59_446
; %bb.445:
	v_mov_b32_e32 v23, 0
	ds_read_b64 v[23:24], v23 offset:11448
	ds_read_b64 v[25:26], v4
	s_waitcnt lgkmcnt(0)
	v_mul_f32_e32 v27, v26, v24
	v_mul_f32_e32 v24, v25, v24
	v_fma_f32 v25, v25, v23, -v27
	v_fmac_f32_e32 v24, v26, v23
	v_add_f32_e32 v22, v22, v25
	v_add_f32_e32 v21, v21, v24
.LBB59_446:
	s_or_b64 exec, exec, s[18:19]
	s_barrier
	s_and_saveexec_b64 s[18:19], s[36:37]
	s_cbranch_execz .LBB59_448
; %bb.447:
	v_mov_b32_e32 v23, 0
	ds_read_b64 v[23:24], v23 offset:11960
	s_waitcnt lgkmcnt(0)
	v_mul_f32_e32 v26, v21, v24
	v_mul_f32_e32 v25, v22, v24
	v_fma_f32 v24, v22, v23, -v26
	v_fmac_f32_e32 v25, v21, v23
	v_mov_b32_e32 v22, v24
	v_mov_b32_e32 v21, v25
	ds_write_b64 v4, v[24:25]
.LBB59_448:
	s_or_b64 exec, exec, s[18:19]
	s_waitcnt lgkmcnt(0)
	s_barrier
	s_barrier
	s_and_saveexec_b64 s[18:19], s[22:23]
; %bb.449:
	v_xor_b32_e32 v23, 0x80000000, v21
	v_xor_b32_e32 v22, 0x80000000, v22
	ds_write_b64 v3, v[22:23] offset:10416
; %bb.450:
	s_or_b64 exec, exec, s[18:19]
	s_waitcnt lgkmcnt(0)
	s_barrier
	s_barrier
	s_and_saveexec_b64 s[18:19], s[42:43]
	s_cbranch_execz .LBB59_452
; %bb.451:
	v_lshlrev_b32_e32 v23, 3, v0
	s_movk_i32 s20, 0x1f8
	v_mad_u32_u24 v24, v0, s20, v23
	ds_read_b64 v[21:22], v24 offset:10416
	s_waitcnt lgkmcnt(0)
	ds_write_b64 v23, v[21:22] offset:11424
	ds_read_b64 v[21:22], v24 offset:10424
	s_waitcnt lgkmcnt(0)
	ds_write_b64 v23, v[21:22] offset:11936
.LBB59_452:
	s_or_b64 exec, exec, s[18:19]
	s_waitcnt lgkmcnt(0)
	s_barrier
	s_and_saveexec_b64 s[18:19], vcc
	s_cbranch_execz .LBB59_454
; %bb.453:
	v_mov_b32_e32 v25, 0
	ds_read_b128 v[21:24], v25 offset:11440
	ds_read_b64 v[25:26], v25 offset:11960
	s_movk_i32 s20, 0x2800
	s_waitcnt lgkmcnt(0)
	v_mul_f32_e32 v27, v26, v22
	v_mul_f32_e32 v28, v25, v22
	v_fma_f32 v25, v25, v21, -v27
	v_fmac_f32_e32 v28, v26, v21
	v_mul_f32_e32 v21, v28, v24
	v_mul_f32_e32 v22, v25, v24
	v_fma_f32 v21, v25, v23, -v21
	v_fmac_f32_e32 v22, v28, v23
	v_add_u32_e64 v23, s20, 0
	ds_write2_b64 v23, v[21:22], v[21:22] offset0:151 offset1:214
.LBB59_454:
	s_or_b64 exec, exec, s[18:19]
	v_mov_b32_e32 v21, 0
	v_mov_b32_e32 v22, 0
	s_waitcnt lgkmcnt(0)
	s_barrier
	s_and_saveexec_b64 s[20:21], s[12:13]
	s_cbranch_execz .LBB59_464
; %bb.455:
	v_mul_u32_u24_e32 v22, 0x208, v15
	ds_read_b64 v[23:24], v11 offset:8384
	ds_read_b64 v[25:26], v22 offset:8320
	v_cmp_gt_u32_e64 s[18:19], 56, v1
	s_waitcnt lgkmcnt(0)
	v_mul_f32_e32 v21, v26, v24
	v_mul_f32_e32 v24, v25, v24
	v_fma_f32 v21, v25, v23, -v21
	v_fmac_f32_e32 v24, v26, v23
	v_add_f32_e32 v21, 0, v21
	v_add_f32_e32 v23, 0, v24
	s_and_saveexec_b64 s[24:25], s[18:19]
	s_cbranch_execnz .LBB59_1132
; %bb.456:
	s_or_b64 exec, exec, s[24:25]
	v_cmp_gt_u32_e64 s[18:19], 48, v1
	s_and_saveexec_b64 s[24:25], s[18:19]
	s_cbranch_execnz .LBB59_1133
.LBB59_457:
	s_or_b64 exec, exec, s[24:25]
	v_cmp_gt_u32_e64 s[18:19], 40, v1
	s_and_saveexec_b64 s[24:25], s[18:19]
	s_cbranch_execnz .LBB59_1134
.LBB59_458:
	s_or_b64 exec, exec, s[24:25]
	v_cmp_gt_u32_e64 s[18:19], 32, v1
	s_and_saveexec_b64 s[24:25], s[18:19]
	s_cbranch_execnz .LBB59_1135
.LBB59_459:
	s_or_b64 exec, exec, s[24:25]
	v_cmp_gt_u32_e64 s[18:19], 24, v1
	s_and_saveexec_b64 s[24:25], s[18:19]
	s_cbranch_execnz .LBB59_1136
.LBB59_460:
	s_or_b64 exec, exec, s[24:25]
	v_cmp_gt_u32_e64 s[18:19], 16, v1
	s_and_saveexec_b64 s[24:25], s[18:19]
	s_cbranch_execnz .LBB59_1137
.LBB59_461:
	s_or_b64 exec, exec, s[24:25]
	v_cmp_gt_u32_e64 s[18:19], 8, v1
	s_and_saveexec_b64 s[24:25], s[18:19]
	s_cbranch_execz .LBB59_463
.LBB59_462:
	v_lshlrev_b32_e32 v22, 3, v0
	v_mov_b32_e32 v26, 0
	ds_read_b64 v[24:25], v22 offset:11968
	ds_read_b64 v[26:27], v26 offset:8376
	s_waitcnt lgkmcnt(0)
	v_mul_f32_e32 v22, v27, v25
	v_mul_f32_e32 v25, v26, v25
	v_fma_f32 v22, v26, v24, -v22
	v_fmac_f32_e32 v25, v27, v24
	v_add_f32_e32 v21, v21, v22
	v_add_f32_e32 v23, v23, v25
.LBB59_463:
	s_or_b64 exec, exec, s[24:25]
	v_xor_b32_e32 v22, 0x80000000, v21
	v_xor_b32_e32 v21, 0x80000000, v23
.LBB59_464:
	s_or_b64 exec, exec, s[20:21]
	s_and_saveexec_b64 s[18:19], s[66:67]
	s_cbranch_execz .LBB59_466
; %bb.465:
	v_mov_b32_e32 v23, 0
	ds_read_b64 v[23:24], v23 offset:12480
	s_waitcnt lgkmcnt(0)
	v_mul_f32_e32 v26, v21, v24
	v_mul_f32_e32 v25, v22, v24
	v_fma_f32 v24, v22, v23, -v26
	v_fmac_f32_e32 v25, v21, v23
	v_mov_b32_e32 v22, v24
	v_mov_b32_e32 v21, v25
	ds_write_b64 v13, v[24:25]
.LBB59_466:
	s_or_b64 exec, exec, s[18:19]
	s_waitcnt lgkmcnt(0)
	s_barrier
	s_and_saveexec_b64 s[18:19], s[68:69]
	s_cbranch_execz .LBB59_468
; %bb.467:
	ds_read_b64 v[23:24], v12 offset:12480
	ds_read_b64 v[25:26], v13
	s_waitcnt lgkmcnt(0)
	v_mul_f32_e32 v27, v26, v24
	v_mul_f32_e32 v24, v25, v24
	v_fma_f32 v25, v25, v23, -v27
	v_fmac_f32_e32 v24, v26, v23
	v_add_f32_e32 v22, v22, v25
	v_add_f32_e32 v21, v21, v24
.LBB59_468:
	s_or_b64 exec, exec, s[18:19]
	s_barrier
	s_and_saveexec_b64 s[18:19], s[70:71]
	s_cbranch_execz .LBB59_470
; %bb.469:
	v_mov_b32_e32 v23, 0
	ds_read_b64 v[23:24], v23 offset:13000
	s_waitcnt lgkmcnt(0)
	v_mul_f32_e32 v26, v21, v24
	v_mul_f32_e32 v25, v22, v24
	v_fma_f32 v24, v22, v23, -v26
	v_fmac_f32_e32 v25, v21, v23
	v_mov_b32_e32 v22, v24
	v_mov_b32_e32 v21, v25
	ds_write_b64 v13, v[24:25]
.LBB59_470:
	s_or_b64 exec, exec, s[18:19]
	s_waitcnt lgkmcnt(0)
	s_barrier
	s_and_saveexec_b64 s[18:19], s[72:73]
	s_cbranch_execz .LBB59_472
; %bb.471:
	ds_read_b64 v[23:24], v12 offset:12992
	ds_read_b64 v[25:26], v13
	s_waitcnt lgkmcnt(0)
	v_mul_f32_e32 v27, v26, v24
	v_mul_f32_e32 v24, v25, v24
	v_fma_f32 v25, v25, v23, -v27
	v_fmac_f32_e32 v24, v26, v23
	v_add_f32_e32 v22, v22, v25
	v_add_f32_e32 v21, v21, v24
.LBB59_472:
	s_or_b64 exec, exec, s[18:19]
	s_barrier
	;; [unrolled: 32-line block ×6, first 2 shown]
	s_and_saveexec_b64 s[18:19], s[90:91]
	s_cbranch_execz .LBB59_490
; %bb.489:
	v_mov_b32_e32 v23, 0
	ds_read_b64 v[23:24], v23 offset:15600
	s_waitcnt lgkmcnt(0)
	v_mul_f32_e32 v26, v21, v24
	v_mul_f32_e32 v25, v22, v24
	v_fma_f32 v24, v22, v23, -v26
	v_fmac_f32_e32 v25, v21, v23
	v_mov_b32_e32 v22, v24
	v_mov_b32_e32 v21, v25
	ds_write_b64 v13, v[24:25]
.LBB59_490:
	s_or_b64 exec, exec, s[18:19]
	s_waitcnt lgkmcnt(0)
	s_barrier
	s_and_saveexec_b64 s[18:19], s[64:65]
	s_cbranch_execz .LBB59_492
; %bb.491:
	v_mov_b32_e32 v23, 0
	ds_read_b64 v[23:24], v23 offset:15608
	ds_read_b64 v[25:26], v13
	s_waitcnt lgkmcnt(0)
	v_mul_f32_e32 v27, v26, v24
	v_mul_f32_e32 v24, v25, v24
	v_fma_f32 v25, v25, v23, -v27
	v_fmac_f32_e32 v24, v26, v23
	v_add_f32_e32 v22, v22, v25
	v_add_f32_e32 v21, v21, v24
.LBB59_492:
	s_or_b64 exec, exec, s[18:19]
	s_barrier
	s_and_saveexec_b64 s[18:19], s[64:65]
	s_cbranch_execz .LBB59_494
; %bb.493:
	v_mov_b32_e32 v23, 0
	ds_read_b64 v[23:24], v23 offset:16120
	s_waitcnt lgkmcnt(0)
	v_mul_f32_e32 v26, v21, v24
	v_mul_f32_e32 v25, v22, v24
	v_fma_f32 v24, v22, v23, -v26
	v_fmac_f32_e32 v25, v21, v23
	v_mov_b32_e32 v22, v24
	v_mov_b32_e32 v21, v25
	ds_write_b64 v13, v[24:25]
.LBB59_494:
	s_or_b64 exec, exec, s[18:19]
	s_waitcnt lgkmcnt(0)
	s_barrier
	s_barrier
	s_and_saveexec_b64 s[18:19], s[12:13]
; %bb.495:
	v_xor_b32_e32 v23, 0x80000000, v21
	v_xor_b32_e32 v22, 0x80000000, v22
	ds_write_b64 v11, v[22:23] offset:8384
; %bb.496:
	s_or_b64 exec, exec, s[18:19]
	s_waitcnt lgkmcnt(0)
	s_barrier
	s_barrier
	s_and_saveexec_b64 s[18:19], s[92:93]
	s_cbranch_execz .LBB59_498
; %bb.497:
	v_lshlrev_b32_e32 v23, 9, v0
	ds_read_b64 v[21:22], v23 offset:8384
	s_movk_i32 s20, 0xfe08
	v_mad_i32_i24 v24, v0, s20, v23
	s_waitcnt lgkmcnt(0)
	ds_write_b64 v24, v[21:22] offset:12416
	ds_read_b64 v[21:22], v23 offset:8392
	s_waitcnt lgkmcnt(0)
	ds_write_b64 v24, v[21:22] offset:12928
	ds_read_b64 v[21:22], v23 offset:8400
	;; [unrolled: 3-line block ×7, first 2 shown]
	s_waitcnt lgkmcnt(0)
	ds_write_b64 v24, v[21:22] offset:16000
.LBB59_498:
	s_or_b64 exec, exec, s[18:19]
	s_waitcnt lgkmcnt(0)
	s_barrier
	s_and_saveexec_b64 s[18:19], vcc
	s_cbranch_execz .LBB59_500
; %bb.499:
	v_mov_b32_e32 v25, 0
	ds_read_b128 v[21:24], v25 offset:12480
	ds_read_b64 v[25:26], v25 offset:13000
	s_movk_i32 s20, 0x3000
	s_waitcnt lgkmcnt(0)
	v_mul_f32_e32 v27, v26, v22
	v_mul_f32_e32 v28, v25, v22
	v_fma_f32 v25, v25, v21, -v27
	v_fmac_f32_e32 v28, v26, v21
	v_mul_f32_e32 v21, v28, v24
	v_mul_f32_e32 v22, v25, v24
	v_fma_f32 v21, v25, v23, -v21
	v_fmac_f32_e32 v22, v28, v23
	v_add_u32_e64 v23, s20, 0
	ds_write2_b64 v23, v[21:22], v[21:22] offset0:25 offset1:88
.LBB59_500:
	s_or_b64 exec, exec, s[18:19]
	v_mov_b32_e32 v21, 0
	v_mov_b32_e32 v22, 0
	s_waitcnt lgkmcnt(0)
	s_barrier
	s_and_saveexec_b64 s[20:21], s[22:23]
	s_cbranch_execz .LBB59_504
; %bb.501:
	v_mul_u32_u24_e32 v23, 0x208, v5
	ds_read_b64 v[21:22], v3 offset:12496
	ds_read_b64 v[23:24], v23 offset:12480
	v_cmp_gt_u32_e64 s[18:19], 2, v1
	s_waitcnt lgkmcnt(0)
	v_mul_f32_e32 v25, v24, v22
	v_mul_f32_e32 v22, v23, v22
	v_fma_f32 v23, v23, v21, -v25
	v_fmac_f32_e32 v22, v24, v21
	v_add_f32_e32 v21, 0, v23
	v_add_f32_e32 v23, 0, v22
	s_and_saveexec_b64 s[24:25], s[18:19]
	s_cbranch_execz .LBB59_503
; %bb.502:
	v_lshlrev_b32_e32 v22, 3, v0
	v_mov_b32_e32 v26, 0
	ds_read_b64 v[24:25], v22 offset:13008
	ds_read_b64 v[26:27], v26 offset:12488
	s_waitcnt lgkmcnt(0)
	v_mul_f32_e32 v22, v27, v25
	v_mul_f32_e32 v25, v26, v25
	v_fma_f32 v22, v26, v24, -v22
	v_fmac_f32_e32 v25, v27, v24
	v_add_f32_e32 v21, v21, v22
	v_add_f32_e32 v23, v23, v25
.LBB59_503:
	s_or_b64 exec, exec, s[24:25]
	v_xor_b32_e32 v22, 0x80000000, v21
	v_xor_b32_e32 v21, 0x80000000, v23
.LBB59_504:
	s_or_b64 exec, exec, s[20:21]
	s_and_saveexec_b64 s[18:19], s[38:39]
	s_cbranch_execz .LBB59_506
; %bb.505:
	v_mov_b32_e32 v23, 0
	ds_read_b64 v[23:24], v23 offset:13520
	s_waitcnt lgkmcnt(0)
	v_mul_f32_e32 v26, v21, v24
	v_mul_f32_e32 v25, v22, v24
	v_fma_f32 v24, v22, v23, -v26
	v_fmac_f32_e32 v25, v21, v23
	v_mov_b32_e32 v22, v24
	v_mov_b32_e32 v21, v25
	ds_write_b64 v4, v[24:25]
.LBB59_506:
	s_or_b64 exec, exec, s[18:19]
	s_waitcnt lgkmcnt(0)
	s_barrier
	s_and_saveexec_b64 s[18:19], s[36:37]
	s_cbranch_execz .LBB59_508
; %bb.507:
	v_mov_b32_e32 v23, 0
	ds_read_b64 v[23:24], v23 offset:13528
	ds_read_b64 v[25:26], v4
	s_waitcnt lgkmcnt(0)
	v_mul_f32_e32 v27, v26, v24
	v_mul_f32_e32 v24, v25, v24
	v_fma_f32 v25, v25, v23, -v27
	v_fmac_f32_e32 v24, v26, v23
	v_add_f32_e32 v22, v22, v25
	v_add_f32_e32 v21, v21, v24
.LBB59_508:
	s_or_b64 exec, exec, s[18:19]
	s_barrier
	s_and_saveexec_b64 s[18:19], s[36:37]
	s_cbranch_execz .LBB59_510
; %bb.509:
	v_mov_b32_e32 v23, 0
	ds_read_b64 v[23:24], v23 offset:14040
	s_waitcnt lgkmcnt(0)
	v_mul_f32_e32 v26, v21, v24
	v_mul_f32_e32 v25, v22, v24
	v_fma_f32 v24, v22, v23, -v26
	v_fmac_f32_e32 v25, v21, v23
	v_mov_b32_e32 v22, v24
	v_mov_b32_e32 v21, v25
	ds_write_b64 v4, v[24:25]
.LBB59_510:
	s_or_b64 exec, exec, s[18:19]
	s_waitcnt lgkmcnt(0)
	s_barrier
	s_barrier
	s_and_saveexec_b64 s[18:19], s[22:23]
; %bb.511:
	v_xor_b32_e32 v23, 0x80000000, v21
	v_xor_b32_e32 v22, 0x80000000, v22
	ds_write_b64 v3, v[22:23] offset:12496
; %bb.512:
	s_or_b64 exec, exec, s[18:19]
	s_waitcnt lgkmcnt(0)
	s_barrier
	s_barrier
	s_and_saveexec_b64 s[18:19], s[42:43]
	s_cbranch_execz .LBB59_514
; %bb.513:
	v_lshlrev_b32_e32 v23, 3, v0
	s_movk_i32 s20, 0x1f8
	v_mad_u32_u24 v24, v0, s20, v23
	ds_read_b64 v[21:22], v24 offset:12496
	s_waitcnt lgkmcnt(0)
	ds_write_b64 v23, v[21:22] offset:13504
	ds_read_b64 v[21:22], v24 offset:12504
	s_waitcnt lgkmcnt(0)
	ds_write_b64 v23, v[21:22] offset:14016
.LBB59_514:
	s_or_b64 exec, exec, s[18:19]
	s_waitcnt lgkmcnt(0)
	s_barrier
	s_and_saveexec_b64 s[18:19], vcc
	s_cbranch_execz .LBB59_516
; %bb.515:
	v_mov_b32_e32 v25, 0
	ds_read_b128 v[21:24], v25 offset:13520
	ds_read_b64 v[25:26], v25 offset:14040
	s_movk_i32 s20, 0x3000
	s_waitcnt lgkmcnt(0)
	v_mul_f32_e32 v27, v26, v22
	v_mul_f32_e32 v28, v25, v22
	v_fma_f32 v25, v25, v21, -v27
	v_fmac_f32_e32 v28, v26, v21
	v_mul_f32_e32 v21, v28, v24
	v_mul_f32_e32 v22, v25, v24
	v_fma_f32 v21, v25, v23, -v21
	v_fmac_f32_e32 v22, v28, v23
	v_add_u32_e64 v23, s20, 0
	ds_write2_b64 v23, v[21:22], v[21:22] offset0:155 offset1:218
.LBB59_516:
	s_or_b64 exec, exec, s[18:19]
	v_mov_b32_e32 v21, 0
	v_mov_b32_e32 v22, 0
	s_waitcnt lgkmcnt(0)
	s_barrier
	s_and_saveexec_b64 s[20:21], s[10:11]
	s_cbranch_execz .LBB59_522
; %bb.517:
	v_mul_u32_u24_e32 v22, 0x208, v10
	ds_read_b64 v[23:24], v6 offset:12512
	ds_read_b64 v[25:26], v22 offset:12480
	v_cmp_gt_u32_e64 s[18:19], 12, v1
	s_waitcnt lgkmcnt(0)
	v_mul_f32_e32 v21, v26, v24
	v_mul_f32_e32 v24, v25, v24
	v_fma_f32 v21, v25, v23, -v21
	v_fmac_f32_e32 v24, v26, v23
	v_add_f32_e32 v21, 0, v21
	v_add_f32_e32 v23, 0, v24
	s_and_saveexec_b64 s[24:25], s[18:19]
	s_cbranch_execnz .LBB59_1138
; %bb.518:
	s_or_b64 exec, exec, s[24:25]
	v_cmp_gt_u32_e64 s[18:19], 8, v1
	s_and_saveexec_b64 s[24:25], s[18:19]
	s_cbranch_execnz .LBB59_1139
.LBB59_519:
	s_or_b64 exec, exec, s[24:25]
	v_cmp_gt_u32_e64 s[18:19], 4, v1
	s_and_saveexec_b64 s[24:25], s[18:19]
	s_cbranch_execz .LBB59_521
.LBB59_520:
	v_lshlrev_b32_e32 v22, 3, v0
	v_mov_b32_e32 v26, 0
	ds_read_b64 v[24:25], v22 offset:14048
	ds_read_b64 v[26:27], v26 offset:12504
	s_waitcnt lgkmcnt(0)
	v_mul_f32_e32 v22, v27, v25
	v_mul_f32_e32 v25, v26, v25
	v_fma_f32 v22, v26, v24, -v22
	v_fmac_f32_e32 v25, v27, v24
	v_add_f32_e32 v21, v21, v22
	v_add_f32_e32 v23, v23, v25
.LBB59_521:
	s_or_b64 exec, exec, s[24:25]
	v_xor_b32_e32 v22, 0x80000000, v21
	v_xor_b32_e32 v21, 0x80000000, v23
.LBB59_522:
	s_or_b64 exec, exec, s[20:21]
	s_and_saveexec_b64 s[18:19], s[52:53]
	s_cbranch_execz .LBB59_524
; %bb.523:
	v_mov_b32_e32 v23, 0
	ds_read_b64 v[23:24], v23 offset:14560
	s_waitcnt lgkmcnt(0)
	v_mul_f32_e32 v26, v21, v24
	v_mul_f32_e32 v25, v22, v24
	v_fma_f32 v24, v22, v23, -v26
	v_fmac_f32_e32 v25, v21, v23
	v_mov_b32_e32 v22, v24
	v_mov_b32_e32 v21, v25
	ds_write_b64 v8, v[24:25]
.LBB59_524:
	s_or_b64 exec, exec, s[18:19]
	s_waitcnt lgkmcnt(0)
	s_barrier
	s_and_saveexec_b64 s[18:19], s[54:55]
	s_cbranch_execz .LBB59_526
; %bb.525:
	ds_read_b64 v[23:24], v7 offset:14560
	ds_read_b64 v[25:26], v8
	s_waitcnt lgkmcnt(0)
	v_mul_f32_e32 v27, v26, v24
	v_mul_f32_e32 v24, v25, v24
	v_fma_f32 v25, v25, v23, -v27
	v_fmac_f32_e32 v24, v26, v23
	v_add_f32_e32 v22, v22, v25
	v_add_f32_e32 v21, v21, v24
.LBB59_526:
	s_or_b64 exec, exec, s[18:19]
	s_barrier
	s_and_saveexec_b64 s[18:19], s[56:57]
	s_cbranch_execz .LBB59_528
; %bb.527:
	v_mov_b32_e32 v23, 0
	ds_read_b64 v[23:24], v23 offset:15080
	s_waitcnt lgkmcnt(0)
	v_mul_f32_e32 v26, v21, v24
	v_mul_f32_e32 v25, v22, v24
	v_fma_f32 v24, v22, v23, -v26
	v_fmac_f32_e32 v25, v21, v23
	v_mov_b32_e32 v22, v24
	v_mov_b32_e32 v21, v25
	ds_write_b64 v8, v[24:25]
.LBB59_528:
	s_or_b64 exec, exec, s[18:19]
	s_waitcnt lgkmcnt(0)
	s_barrier
	s_and_saveexec_b64 s[18:19], s[58:59]
	s_cbranch_execz .LBB59_530
; %bb.529:
	ds_read_b64 v[23:24], v7 offset:15072
	ds_read_b64 v[25:26], v8
	s_waitcnt lgkmcnt(0)
	v_mul_f32_e32 v27, v26, v24
	v_mul_f32_e32 v24, v25, v24
	v_fma_f32 v25, v25, v23, -v27
	v_fmac_f32_e32 v24, v26, v23
	v_add_f32_e32 v22, v22, v25
	v_add_f32_e32 v21, v21, v24
.LBB59_530:
	s_or_b64 exec, exec, s[18:19]
	s_barrier
	s_and_saveexec_b64 s[18:19], s[60:61]
	s_cbranch_execz .LBB59_532
; %bb.531:
	v_mov_b32_e32 v23, 0
	ds_read_b64 v[23:24], v23 offset:15600
	s_waitcnt lgkmcnt(0)
	v_mul_f32_e32 v26, v21, v24
	v_mul_f32_e32 v25, v22, v24
	v_fma_f32 v24, v22, v23, -v26
	v_fmac_f32_e32 v25, v21, v23
	v_mov_b32_e32 v22, v24
	v_mov_b32_e32 v21, v25
	ds_write_b64 v8, v[24:25]
.LBB59_532:
	s_or_b64 exec, exec, s[18:19]
	s_waitcnt lgkmcnt(0)
	s_barrier
	s_and_saveexec_b64 s[18:19], s[44:45]
	s_cbranch_execz .LBB59_534
; %bb.533:
	v_mov_b32_e32 v23, 0
	ds_read_b64 v[23:24], v23 offset:15608
	ds_read_b64 v[25:26], v8
	s_waitcnt lgkmcnt(0)
	v_mul_f32_e32 v27, v26, v24
	v_mul_f32_e32 v24, v25, v24
	v_fma_f32 v25, v25, v23, -v27
	v_fmac_f32_e32 v24, v26, v23
	v_add_f32_e32 v22, v22, v25
	v_add_f32_e32 v21, v21, v24
.LBB59_534:
	s_or_b64 exec, exec, s[18:19]
	s_barrier
	s_and_saveexec_b64 s[18:19], s[44:45]
	s_cbranch_execz .LBB59_536
; %bb.535:
	v_mov_b32_e32 v23, 0
	ds_read_b64 v[23:24], v23 offset:16120
	s_waitcnt lgkmcnt(0)
	v_mul_f32_e32 v26, v21, v24
	v_mul_f32_e32 v25, v22, v24
	v_fma_f32 v24, v22, v23, -v26
	v_fmac_f32_e32 v25, v21, v23
	v_mov_b32_e32 v22, v24
	v_mov_b32_e32 v21, v25
	ds_write_b64 v8, v[24:25]
.LBB59_536:
	s_or_b64 exec, exec, s[18:19]
	s_waitcnt lgkmcnt(0)
	s_barrier
	s_barrier
	s_and_saveexec_b64 s[18:19], s[10:11]
; %bb.537:
	v_xor_b32_e32 v22, 0x80000000, v22
	v_xor_b32_e32 v23, 0x80000000, v21
	ds_write_b64 v6, v[22:23] offset:12512
; %bb.538:
	s_or_b64 exec, exec, s[18:19]
	s_waitcnt lgkmcnt(0)
	s_barrier
	s_barrier
	s_and_saveexec_b64 s[18:19], s[62:63]
	s_cbranch_execz .LBB59_540
; %bb.539:
	v_lshlrev_b32_e32 v23, 9, v0
	ds_read_b64 v[21:22], v23 offset:12512
	s_movk_i32 s20, 0xfe08
	v_mad_i32_i24 v24, v0, s20, v23
	s_waitcnt lgkmcnt(0)
	ds_write_b64 v24, v[21:22] offset:14528
	ds_read_b64 v[21:22], v23 offset:12520
	s_waitcnt lgkmcnt(0)
	ds_write_b64 v24, v[21:22] offset:15040
	ds_read_b64 v[21:22], v23 offset:12528
	s_waitcnt lgkmcnt(0)
	ds_write_b64 v24, v[21:22] offset:15552
	ds_read_b64 v[21:22], v23 offset:12536
	s_waitcnt lgkmcnt(0)
	ds_write_b64 v24, v[21:22] offset:16064
.LBB59_540:
	s_or_b64 exec, exec, s[18:19]
	s_waitcnt lgkmcnt(0)
	s_barrier
	s_and_saveexec_b64 s[18:19], vcc
	s_cbranch_execz .LBB59_542
; %bb.541:
	v_mov_b32_e32 v25, 0
	ds_read_b128 v[21:24], v25 offset:14560
	ds_read_b64 v[25:26], v25 offset:15080
	s_movk_i32 s20, 0x3800
	s_waitcnt lgkmcnt(0)
	v_mul_f32_e32 v27, v26, v22
	v_mul_f32_e32 v28, v25, v22
	v_fma_f32 v25, v25, v21, -v27
	v_fmac_f32_e32 v28, v26, v21
	v_mul_f32_e32 v21, v28, v24
	v_mul_f32_e32 v22, v25, v24
	v_fma_f32 v21, v25, v23, -v21
	v_fmac_f32_e32 v22, v28, v23
	v_add_u32_e64 v23, s20, 0
	ds_write2_b64 v23, v[21:22], v[21:22] offset0:29 offset1:92
.LBB59_542:
	s_or_b64 exec, exec, s[18:19]
	v_mov_b32_e32 v21, 0
	v_mov_b32_e32 v22, 0
	s_waitcnt lgkmcnt(0)
	s_barrier
	s_and_saveexec_b64 s[20:21], s[22:23]
	s_cbranch_execz .LBB59_546
; %bb.543:
	v_mul_u32_u24_e32 v23, 0x208, v5
	ds_read_b64 v[21:22], v3 offset:14576
	ds_read_b64 v[23:24], v23 offset:14560
	v_cmp_gt_u32_e64 s[18:19], 2, v1
	s_waitcnt lgkmcnt(0)
	v_mul_f32_e32 v25, v24, v22
	v_mul_f32_e32 v22, v23, v22
	v_fma_f32 v23, v23, v21, -v25
	v_fmac_f32_e32 v22, v24, v21
	v_add_f32_e32 v21, 0, v23
	v_add_f32_e32 v23, 0, v22
	s_and_saveexec_b64 s[24:25], s[18:19]
	s_cbranch_execz .LBB59_545
; %bb.544:
	v_lshlrev_b32_e32 v22, 3, v0
	v_mov_b32_e32 v26, 0
	ds_read_b64 v[24:25], v22 offset:15088
	ds_read_b64 v[26:27], v26 offset:14568
	s_waitcnt lgkmcnt(0)
	v_mul_f32_e32 v22, v27, v25
	v_mul_f32_e32 v25, v26, v25
	v_fma_f32 v22, v26, v24, -v22
	v_fmac_f32_e32 v25, v27, v24
	v_add_f32_e32 v21, v21, v22
	v_add_f32_e32 v23, v23, v25
.LBB59_545:
	s_or_b64 exec, exec, s[24:25]
	v_xor_b32_e32 v22, 0x80000000, v21
	v_xor_b32_e32 v21, 0x80000000, v23
.LBB59_546:
	s_or_b64 exec, exec, s[20:21]
	s_and_saveexec_b64 s[18:19], s[38:39]
	s_cbranch_execz .LBB59_548
; %bb.547:
	v_mov_b32_e32 v23, 0
	ds_read_b64 v[23:24], v23 offset:15600
	s_waitcnt lgkmcnt(0)
	v_mul_f32_e32 v26, v21, v24
	v_mul_f32_e32 v25, v22, v24
	v_fma_f32 v24, v22, v23, -v26
	v_fmac_f32_e32 v25, v21, v23
	v_mov_b32_e32 v22, v24
	v_mov_b32_e32 v21, v25
	ds_write_b64 v4, v[24:25]
.LBB59_548:
	s_or_b64 exec, exec, s[18:19]
	s_waitcnt lgkmcnt(0)
	s_barrier
	s_and_saveexec_b64 s[18:19], s[36:37]
	s_cbranch_execz .LBB59_550
; %bb.549:
	v_mov_b32_e32 v23, 0
	ds_read_b64 v[23:24], v23 offset:15608
	ds_read_b64 v[25:26], v4
	s_waitcnt lgkmcnt(0)
	v_mul_f32_e32 v27, v26, v24
	v_mul_f32_e32 v24, v25, v24
	v_fma_f32 v25, v25, v23, -v27
	v_fmac_f32_e32 v24, v26, v23
	v_add_f32_e32 v22, v22, v25
	v_add_f32_e32 v21, v21, v24
.LBB59_550:
	s_or_b64 exec, exec, s[18:19]
	s_barrier
	s_and_saveexec_b64 s[18:19], s[36:37]
	s_cbranch_execz .LBB59_552
; %bb.551:
	v_mov_b32_e32 v23, 0
	ds_read_b64 v[23:24], v23 offset:16120
	s_waitcnt lgkmcnt(0)
	v_mul_f32_e32 v26, v21, v24
	v_mul_f32_e32 v25, v22, v24
	v_fma_f32 v24, v22, v23, -v26
	v_fmac_f32_e32 v25, v21, v23
	v_mov_b32_e32 v22, v24
	v_mov_b32_e32 v21, v25
	ds_write_b64 v4, v[24:25]
.LBB59_552:
	s_or_b64 exec, exec, s[18:19]
	s_waitcnt lgkmcnt(0)
	s_barrier
	s_barrier
	s_and_saveexec_b64 s[18:19], s[22:23]
; %bb.553:
	v_xor_b32_e32 v23, 0x80000000, v21
	v_xor_b32_e32 v22, 0x80000000, v22
	ds_write_b64 v3, v[22:23] offset:14576
; %bb.554:
	s_or_b64 exec, exec, s[18:19]
	s_waitcnt lgkmcnt(0)
	s_barrier
	s_barrier
	s_and_saveexec_b64 s[18:19], s[42:43]
	s_cbranch_execz .LBB59_556
; %bb.555:
	v_lshlrev_b32_e32 v23, 3, v0
	s_movk_i32 s20, 0x1f8
	v_mad_u32_u24 v24, v0, s20, v23
	ds_read_b64 v[21:22], v24 offset:14576
	s_waitcnt lgkmcnt(0)
	ds_write_b64 v23, v[21:22] offset:15584
	ds_read_b64 v[21:22], v24 offset:14584
	s_waitcnt lgkmcnt(0)
	ds_write_b64 v23, v[21:22] offset:16096
.LBB59_556:
	s_or_b64 exec, exec, s[18:19]
	s_waitcnt lgkmcnt(0)
	s_barrier
	s_and_saveexec_b64 s[18:19], vcc
	s_cbranch_execz .LBB59_558
; %bb.557:
	v_mov_b32_e32 v25, 0
	ds_read_b128 v[21:24], v25 offset:15600
	ds_read_b64 v[25:26], v25 offset:16120
	s_movk_i32 s20, 0x3800
	s_waitcnt lgkmcnt(0)
	v_mul_f32_e32 v27, v26, v22
	v_mul_f32_e32 v28, v25, v22
	v_fma_f32 v25, v25, v21, -v27
	v_fmac_f32_e32 v28, v26, v21
	v_mul_f32_e32 v21, v28, v24
	v_mul_f32_e32 v22, v25, v24
	v_fma_f32 v21, v25, v23, -v21
	v_fmac_f32_e32 v22, v28, v23
	v_add_u32_e64 v23, s20, 0
	ds_write2_b64 v23, v[21:22], v[21:22] offset0:159 offset1:222
.LBB59_558:
	s_or_b64 exec, exec, s[18:19]
	s_movk_i32 s18, 0x3ff
	v_lshrrev_b32_e32 v23, 5, v1
	v_cmp_lt_u32_e64 s[20:21], s18, v1
	s_movk_i32 s18, 0x400
	v_and_b32_e32 v21, 31, v0
	v_cmp_gt_u32_e64 s[18:19], s18, v1
	v_lshlrev_b32_e32 v22, 9, v23
	v_mov_b32_e32 v24, 0
	v_mov_b32_e32 v26, 0
	s_waitcnt lgkmcnt(0)
	s_barrier
	s_and_saveexec_b64 s[34:35], s[18:19]
	s_cbranch_execz .LBB59_620
; %bb.559:
	v_lshlrev_b32_e32 v26, 3, v21
	v_add_u32_e32 v28, v26, v22
	v_mul_u32_u24_e32 v27, 0x208, v23
	ds_read_b64 v[24:25], v28 offset:256
	ds_read_b64 v[29:30], v27
	s_movk_i32 s24, 0x3e0
	v_cmp_gt_u32_e64 s[24:25], s24, v1
	s_waitcnt lgkmcnt(0)
	v_mul_f32_e32 v31, v30, v25
	v_mul_f32_e32 v25, v29, v25
	v_fma_f32 v29, v29, v24, -v31
	v_fmac_f32_e32 v25, v30, v24
	v_add_f32_e32 v24, 0, v29
	v_add_f32_e32 v25, 0, v25
	s_and_saveexec_b64 s[94:95], s[24:25]
	s_cbranch_execz .LBB59_561
; %bb.560:
	ds_read_b64 v[29:30], v28 offset:768
	ds_read_b64 v[31:32], v27 offset:8
	s_waitcnt lgkmcnt(0)
	v_mul_f32_e32 v33, v32, v30
	v_mul_f32_e32 v30, v31, v30
	v_fma_f32 v31, v31, v29, -v33
	v_fmac_f32_e32 v30, v32, v29
	v_add_f32_e32 v24, v24, v31
	v_add_f32_e32 v25, v25, v30
.LBB59_561:
	s_or_b64 exec, exec, s[94:95]
	s_movk_i32 s24, 0x3c0
	v_cmp_gt_u32_e64 s[24:25], s24, v1
	s_and_saveexec_b64 s[94:95], s[24:25]
	s_cbranch_execz .LBB59_563
; %bb.562:
	ds_read_b64 v[29:30], v28 offset:1280
	ds_read_b64 v[31:32], v27 offset:16
	s_waitcnt lgkmcnt(0)
	v_mul_f32_e32 v33, v32, v30
	v_mul_f32_e32 v30, v31, v30
	v_fma_f32 v31, v31, v29, -v33
	v_fmac_f32_e32 v30, v32, v29
	v_add_f32_e32 v24, v24, v31
	v_add_f32_e32 v25, v25, v30
.LBB59_563:
	s_or_b64 exec, exec, s[94:95]
	s_movk_i32 s24, 0x3a0
	v_cmp_gt_u32_e64 s[24:25], s24, v1
	s_and_saveexec_b64 s[94:95], s[24:25]
	s_cbranch_execz .LBB59_565
; %bb.564:
	ds_read_b64 v[29:30], v28 offset:1792
	ds_read_b64 v[31:32], v27 offset:24
	s_waitcnt lgkmcnt(0)
	v_mul_f32_e32 v33, v32, v30
	v_mul_f32_e32 v30, v31, v30
	v_fma_f32 v31, v31, v29, -v33
	v_fmac_f32_e32 v30, v32, v29
	v_add_f32_e32 v24, v24, v31
	v_add_f32_e32 v25, v25, v30
.LBB59_565:
	s_or_b64 exec, exec, s[94:95]
	s_movk_i32 s24, 0x380
	v_cmp_gt_u32_e64 s[24:25], s24, v1
	s_and_saveexec_b64 s[94:95], s[24:25]
	s_cbranch_execz .LBB59_567
; %bb.566:
	ds_read_b64 v[29:30], v28 offset:2304
	ds_read_b64 v[31:32], v27 offset:32
	s_waitcnt lgkmcnt(0)
	v_mul_f32_e32 v33, v32, v30
	v_mul_f32_e32 v30, v31, v30
	v_fma_f32 v31, v31, v29, -v33
	v_fmac_f32_e32 v30, v32, v29
	v_add_f32_e32 v24, v24, v31
	v_add_f32_e32 v25, v25, v30
.LBB59_567:
	s_or_b64 exec, exec, s[94:95]
	s_movk_i32 s24, 0x360
	v_cmp_gt_u32_e64 s[24:25], s24, v1
	s_and_saveexec_b64 s[94:95], s[24:25]
	s_cbranch_execz .LBB59_569
; %bb.568:
	ds_read_b64 v[29:30], v28 offset:2816
	ds_read_b64 v[31:32], v27 offset:40
	s_waitcnt lgkmcnt(0)
	v_mul_f32_e32 v33, v32, v30
	v_mul_f32_e32 v30, v31, v30
	v_fma_f32 v31, v31, v29, -v33
	v_fmac_f32_e32 v30, v32, v29
	v_add_f32_e32 v24, v24, v31
	v_add_f32_e32 v25, v25, v30
.LBB59_569:
	s_or_b64 exec, exec, s[94:95]
	s_movk_i32 s24, 0x340
	v_cmp_gt_u32_e64 s[24:25], s24, v1
	s_and_saveexec_b64 s[94:95], s[24:25]
	s_cbranch_execz .LBB59_571
; %bb.570:
	ds_read_b64 v[29:30], v28 offset:3328
	ds_read_b64 v[31:32], v27 offset:48
	s_waitcnt lgkmcnt(0)
	v_mul_f32_e32 v33, v32, v30
	v_mul_f32_e32 v30, v31, v30
	v_fma_f32 v31, v31, v29, -v33
	v_fmac_f32_e32 v30, v32, v29
	v_add_f32_e32 v24, v24, v31
	v_add_f32_e32 v25, v25, v30
.LBB59_571:
	s_or_b64 exec, exec, s[94:95]
	s_movk_i32 s24, 0x320
	v_cmp_gt_u32_e64 s[24:25], s24, v1
	s_and_saveexec_b64 s[94:95], s[24:25]
	s_cbranch_execz .LBB59_573
; %bb.572:
	ds_read_b64 v[29:30], v28 offset:3840
	ds_read_b64 v[31:32], v27 offset:56
	s_waitcnt lgkmcnt(0)
	v_mul_f32_e32 v33, v32, v30
	v_mul_f32_e32 v30, v31, v30
	v_fma_f32 v31, v31, v29, -v33
	v_fmac_f32_e32 v30, v32, v29
	v_add_f32_e32 v24, v24, v31
	v_add_f32_e32 v25, v25, v30
.LBB59_573:
	s_or_b64 exec, exec, s[94:95]
	s_movk_i32 s24, 0x300
	v_cmp_gt_u32_e64 s[24:25], s24, v1
	s_and_saveexec_b64 s[94:95], s[24:25]
	s_cbranch_execz .LBB59_575
; %bb.574:
	ds_read_b64 v[29:30], v28 offset:4352
	ds_read_b64 v[31:32], v27 offset:64
	s_waitcnt lgkmcnt(0)
	v_mul_f32_e32 v33, v32, v30
	v_mul_f32_e32 v30, v31, v30
	v_fma_f32 v31, v31, v29, -v33
	v_fmac_f32_e32 v30, v32, v29
	v_add_f32_e32 v24, v24, v31
	v_add_f32_e32 v25, v25, v30
.LBB59_575:
	s_or_b64 exec, exec, s[94:95]
	s_movk_i32 s24, 0x2e0
	v_cmp_gt_u32_e64 s[24:25], s24, v1
	s_and_saveexec_b64 s[94:95], s[24:25]
	s_cbranch_execz .LBB59_577
; %bb.576:
	ds_read_b64 v[29:30], v28 offset:4864
	ds_read_b64 v[31:32], v27 offset:72
	s_waitcnt lgkmcnt(0)
	v_mul_f32_e32 v33, v32, v30
	v_mul_f32_e32 v30, v31, v30
	v_fma_f32 v31, v31, v29, -v33
	v_fmac_f32_e32 v30, v32, v29
	v_add_f32_e32 v24, v24, v31
	v_add_f32_e32 v25, v25, v30
.LBB59_577:
	s_or_b64 exec, exec, s[94:95]
	s_movk_i32 s24, 0x2c0
	v_cmp_gt_u32_e64 s[24:25], s24, v1
	s_and_saveexec_b64 s[94:95], s[24:25]
	s_cbranch_execz .LBB59_579
; %bb.578:
	ds_read_b64 v[29:30], v28 offset:5376
	ds_read_b64 v[31:32], v27 offset:80
	s_waitcnt lgkmcnt(0)
	v_mul_f32_e32 v33, v32, v30
	v_mul_f32_e32 v30, v31, v30
	v_fma_f32 v31, v31, v29, -v33
	v_fmac_f32_e32 v30, v32, v29
	v_add_f32_e32 v24, v24, v31
	v_add_f32_e32 v25, v25, v30
.LBB59_579:
	s_or_b64 exec, exec, s[94:95]
	s_movk_i32 s24, 0x2a0
	v_cmp_gt_u32_e64 s[24:25], s24, v1
	s_and_saveexec_b64 s[94:95], s[24:25]
	s_cbranch_execz .LBB59_581
; %bb.580:
	ds_read_b64 v[29:30], v28 offset:5888
	ds_read_b64 v[31:32], v27 offset:88
	s_waitcnt lgkmcnt(0)
	v_mul_f32_e32 v33, v32, v30
	v_mul_f32_e32 v30, v31, v30
	v_fma_f32 v31, v31, v29, -v33
	v_fmac_f32_e32 v30, v32, v29
	v_add_f32_e32 v24, v24, v31
	v_add_f32_e32 v25, v25, v30
.LBB59_581:
	s_or_b64 exec, exec, s[94:95]
	s_movk_i32 s24, 0x280
	v_cmp_gt_u32_e64 s[24:25], s24, v1
	s_and_saveexec_b64 s[94:95], s[24:25]
	s_cbranch_execz .LBB59_583
; %bb.582:
	ds_read_b64 v[29:30], v28 offset:6400
	ds_read_b64 v[31:32], v27 offset:96
	s_waitcnt lgkmcnt(0)
	v_mul_f32_e32 v33, v32, v30
	v_mul_f32_e32 v30, v31, v30
	v_fma_f32 v31, v31, v29, -v33
	v_fmac_f32_e32 v30, v32, v29
	v_add_f32_e32 v24, v24, v31
	v_add_f32_e32 v25, v25, v30
.LBB59_583:
	s_or_b64 exec, exec, s[94:95]
	s_movk_i32 s24, 0x260
	v_cmp_gt_u32_e64 s[24:25], s24, v1
	s_and_saveexec_b64 s[94:95], s[24:25]
	s_cbranch_execz .LBB59_585
; %bb.584:
	ds_read_b64 v[29:30], v28 offset:6912
	ds_read_b64 v[31:32], v27 offset:104
	s_waitcnt lgkmcnt(0)
	v_mul_f32_e32 v33, v32, v30
	v_mul_f32_e32 v30, v31, v30
	v_fma_f32 v31, v31, v29, -v33
	v_fmac_f32_e32 v30, v32, v29
	v_add_f32_e32 v24, v24, v31
	v_add_f32_e32 v25, v25, v30
.LBB59_585:
	s_or_b64 exec, exec, s[94:95]
	s_movk_i32 s24, 0x240
	v_cmp_gt_u32_e64 s[24:25], s24, v1
	s_and_saveexec_b64 s[94:95], s[24:25]
	s_cbranch_execz .LBB59_587
; %bb.586:
	ds_read_b64 v[29:30], v28 offset:7424
	ds_read_b64 v[31:32], v27 offset:112
	s_waitcnt lgkmcnt(0)
	v_mul_f32_e32 v33, v32, v30
	v_mul_f32_e32 v30, v31, v30
	v_fma_f32 v31, v31, v29, -v33
	v_fmac_f32_e32 v30, v32, v29
	v_add_f32_e32 v24, v24, v31
	v_add_f32_e32 v25, v25, v30
.LBB59_587:
	s_or_b64 exec, exec, s[94:95]
	s_movk_i32 s24, 0x220
	v_cmp_gt_u32_e64 s[24:25], s24, v1
	s_and_saveexec_b64 s[94:95], s[24:25]
	s_cbranch_execz .LBB59_589
; %bb.588:
	ds_read_b64 v[29:30], v28 offset:7936
	ds_read_b64 v[31:32], v27 offset:120
	s_waitcnt lgkmcnt(0)
	v_mul_f32_e32 v33, v32, v30
	v_mul_f32_e32 v30, v31, v30
	v_fma_f32 v31, v31, v29, -v33
	v_fmac_f32_e32 v30, v32, v29
	v_add_f32_e32 v24, v24, v31
	v_add_f32_e32 v25, v25, v30
.LBB59_589:
	s_or_b64 exec, exec, s[94:95]
	s_movk_i32 s24, 0x200
	v_cmp_gt_u32_e64 s[24:25], s24, v1
	s_and_saveexec_b64 s[94:95], s[24:25]
	s_cbranch_execz .LBB59_591
; %bb.590:
	ds_read_b64 v[29:30], v28 offset:8448
	ds_read_b64 v[31:32], v27 offset:128
	s_waitcnt lgkmcnt(0)
	v_mul_f32_e32 v33, v32, v30
	v_mul_f32_e32 v30, v31, v30
	v_fma_f32 v31, v31, v29, -v33
	v_fmac_f32_e32 v30, v32, v29
	v_add_f32_e32 v24, v24, v31
	v_add_f32_e32 v25, v25, v30
.LBB59_591:
	s_or_b64 exec, exec, s[94:95]
	s_movk_i32 s24, 0x1e0
	v_cmp_gt_u32_e64 s[24:25], s24, v1
	s_and_saveexec_b64 s[94:95], s[24:25]
	s_cbranch_execz .LBB59_593
; %bb.592:
	ds_read_b64 v[29:30], v28 offset:8960
	ds_read_b64 v[31:32], v27 offset:136
	s_waitcnt lgkmcnt(0)
	v_mul_f32_e32 v33, v32, v30
	v_mul_f32_e32 v30, v31, v30
	v_fma_f32 v31, v31, v29, -v33
	v_fmac_f32_e32 v30, v32, v29
	v_add_f32_e32 v24, v24, v31
	v_add_f32_e32 v25, v25, v30
.LBB59_593:
	s_or_b64 exec, exec, s[94:95]
	s_movk_i32 s24, 0x1c0
	v_cmp_gt_u32_e64 s[24:25], s24, v1
	s_and_saveexec_b64 s[94:95], s[24:25]
	s_cbranch_execz .LBB59_595
; %bb.594:
	ds_read_b64 v[29:30], v28 offset:9472
	ds_read_b64 v[31:32], v27 offset:144
	s_waitcnt lgkmcnt(0)
	v_mul_f32_e32 v33, v32, v30
	v_mul_f32_e32 v30, v31, v30
	v_fma_f32 v31, v31, v29, -v33
	v_fmac_f32_e32 v30, v32, v29
	v_add_f32_e32 v24, v24, v31
	v_add_f32_e32 v25, v25, v30
.LBB59_595:
	s_or_b64 exec, exec, s[94:95]
	s_movk_i32 s24, 0x1a0
	v_cmp_gt_u32_e64 s[24:25], s24, v1
	s_and_saveexec_b64 s[94:95], s[24:25]
	s_cbranch_execz .LBB59_597
; %bb.596:
	ds_read_b64 v[29:30], v28 offset:9984
	ds_read_b64 v[31:32], v27 offset:152
	s_waitcnt lgkmcnt(0)
	v_mul_f32_e32 v33, v32, v30
	v_mul_f32_e32 v30, v31, v30
	v_fma_f32 v31, v31, v29, -v33
	v_fmac_f32_e32 v30, v32, v29
	v_add_f32_e32 v24, v24, v31
	v_add_f32_e32 v25, v25, v30
.LBB59_597:
	s_or_b64 exec, exec, s[94:95]
	s_movk_i32 s24, 0x180
	v_cmp_gt_u32_e64 s[24:25], s24, v1
	s_and_saveexec_b64 s[94:95], s[24:25]
	s_cbranch_execz .LBB59_599
; %bb.598:
	ds_read_b64 v[29:30], v28 offset:10496
	ds_read_b64 v[31:32], v27 offset:160
	s_waitcnt lgkmcnt(0)
	v_mul_f32_e32 v33, v32, v30
	v_mul_f32_e32 v30, v31, v30
	v_fma_f32 v31, v31, v29, -v33
	v_fmac_f32_e32 v30, v32, v29
	v_add_f32_e32 v24, v24, v31
	v_add_f32_e32 v25, v25, v30
.LBB59_599:
	s_or_b64 exec, exec, s[94:95]
	s_movk_i32 s24, 0x160
	v_cmp_gt_u32_e64 s[24:25], s24, v1
	s_and_saveexec_b64 s[94:95], s[24:25]
	s_cbranch_execz .LBB59_601
; %bb.600:
	ds_read_b64 v[29:30], v28 offset:11008
	ds_read_b64 v[31:32], v27 offset:168
	s_waitcnt lgkmcnt(0)
	v_mul_f32_e32 v33, v32, v30
	v_mul_f32_e32 v30, v31, v30
	v_fma_f32 v31, v31, v29, -v33
	v_fmac_f32_e32 v30, v32, v29
	v_add_f32_e32 v24, v24, v31
	v_add_f32_e32 v25, v25, v30
.LBB59_601:
	s_or_b64 exec, exec, s[94:95]
	s_movk_i32 s24, 0x140
	v_cmp_gt_u32_e64 s[24:25], s24, v1
	s_and_saveexec_b64 s[94:95], s[24:25]
	s_cbranch_execz .LBB59_603
; %bb.602:
	ds_read_b64 v[29:30], v28 offset:11520
	ds_read_b64 v[31:32], v27 offset:176
	s_waitcnt lgkmcnt(0)
	v_mul_f32_e32 v33, v32, v30
	v_mul_f32_e32 v30, v31, v30
	v_fma_f32 v31, v31, v29, -v33
	v_fmac_f32_e32 v30, v32, v29
	v_add_f32_e32 v24, v24, v31
	v_add_f32_e32 v25, v25, v30
.LBB59_603:
	s_or_b64 exec, exec, s[94:95]
	s_movk_i32 s24, 0x120
	v_cmp_gt_u32_e64 s[24:25], s24, v1
	s_and_saveexec_b64 s[94:95], s[24:25]
	s_cbranch_execz .LBB59_605
; %bb.604:
	ds_read_b64 v[29:30], v28 offset:12032
	ds_read_b64 v[31:32], v27 offset:184
	s_waitcnt lgkmcnt(0)
	v_mul_f32_e32 v33, v32, v30
	v_mul_f32_e32 v30, v31, v30
	v_fma_f32 v31, v31, v29, -v33
	v_fmac_f32_e32 v30, v32, v29
	v_add_f32_e32 v24, v24, v31
	v_add_f32_e32 v25, v25, v30
.LBB59_605:
	s_or_b64 exec, exec, s[94:95]
	s_movk_i32 s24, 0x100
	v_cmp_gt_u32_e64 s[24:25], s24, v1
	s_and_saveexec_b64 s[94:95], s[24:25]
	s_cbranch_execz .LBB59_607
; %bb.606:
	ds_read_b64 v[29:30], v28 offset:12544
	ds_read_b64 v[31:32], v27 offset:192
	s_waitcnt lgkmcnt(0)
	v_mul_f32_e32 v33, v32, v30
	v_mul_f32_e32 v30, v31, v30
	v_fma_f32 v31, v31, v29, -v33
	v_fmac_f32_e32 v30, v32, v29
	v_add_f32_e32 v24, v24, v31
	v_add_f32_e32 v25, v25, v30
.LBB59_607:
	s_or_b64 exec, exec, s[94:95]
	s_movk_i32 s24, 0xe0
	v_cmp_gt_u32_e64 s[24:25], s24, v1
	s_and_saveexec_b64 s[94:95], s[24:25]
	s_cbranch_execz .LBB59_609
; %bb.608:
	ds_read_b64 v[29:30], v28 offset:13056
	ds_read_b64 v[31:32], v27 offset:200
	s_waitcnt lgkmcnt(0)
	v_mul_f32_e32 v33, v32, v30
	v_mul_f32_e32 v30, v31, v30
	v_fma_f32 v31, v31, v29, -v33
	v_fmac_f32_e32 v30, v32, v29
	v_add_f32_e32 v24, v24, v31
	v_add_f32_e32 v25, v25, v30
.LBB59_609:
	s_or_b64 exec, exec, s[94:95]
	s_movk_i32 s24, 0xc0
	v_cmp_gt_u32_e64 s[24:25], s24, v1
	s_and_saveexec_b64 s[94:95], s[24:25]
	s_cbranch_execz .LBB59_611
; %bb.610:
	ds_read_b64 v[29:30], v28 offset:13568
	ds_read_b64 v[31:32], v27 offset:208
	s_waitcnt lgkmcnt(0)
	v_mul_f32_e32 v33, v32, v30
	v_mul_f32_e32 v30, v31, v30
	v_fma_f32 v31, v31, v29, -v33
	v_fmac_f32_e32 v30, v32, v29
	v_add_f32_e32 v24, v24, v31
	v_add_f32_e32 v25, v25, v30
.LBB59_611:
	s_or_b64 exec, exec, s[94:95]
	s_movk_i32 s24, 0xa0
	v_cmp_gt_u32_e64 s[24:25], s24, v1
	s_and_saveexec_b64 s[94:95], s[24:25]
	s_cbranch_execz .LBB59_613
; %bb.612:
	ds_read_b64 v[29:30], v28 offset:14080
	ds_read_b64 v[31:32], v27 offset:216
	s_waitcnt lgkmcnt(0)
	v_mul_f32_e32 v33, v32, v30
	v_mul_f32_e32 v30, v31, v30
	v_fma_f32 v31, v31, v29, -v33
	v_fmac_f32_e32 v30, v32, v29
	v_add_f32_e32 v24, v24, v31
	v_add_f32_e32 v25, v25, v30
.LBB59_613:
	s_or_b64 exec, exec, s[94:95]
	s_movk_i32 s24, 0x80
	v_cmp_gt_u32_e64 s[24:25], s24, v1
	s_and_saveexec_b64 s[94:95], s[24:25]
	s_cbranch_execz .LBB59_615
; %bb.614:
	ds_read_b64 v[29:30], v28 offset:14592
	ds_read_b64 v[31:32], v27 offset:224
	s_waitcnt lgkmcnt(0)
	v_mul_f32_e32 v33, v32, v30
	v_mul_f32_e32 v30, v31, v30
	v_fma_f32 v31, v31, v29, -v33
	v_fmac_f32_e32 v30, v32, v29
	v_add_f32_e32 v24, v24, v31
	v_add_f32_e32 v25, v25, v30
.LBB59_615:
	s_or_b64 exec, exec, s[94:95]
	s_movk_i32 s24, 0x60
	v_cmp_gt_u32_e64 s[24:25], s24, v1
	s_and_saveexec_b64 s[94:95], s[24:25]
	s_cbranch_execnz .LBB59_1140
; %bb.616:
	s_or_b64 exec, exec, s[94:95]
	v_cmp_gt_u32_e64 s[24:25], 64, v1
	s_and_saveexec_b64 s[94:95], s[24:25]
	s_cbranch_execnz .LBB59_1141
.LBB59_617:
	s_or_b64 exec, exec, s[94:95]
	v_cmp_gt_u32_e64 s[24:25], 32, v1
	s_and_saveexec_b64 s[94:95], s[24:25]
	s_cbranch_execz .LBB59_619
.LBB59_618:
	ds_read_b64 v[28:29], v26 offset:16128
	ds_read_b64 v[26:27], v27 offset:248
	s_waitcnt lgkmcnt(0)
	v_mul_f32_e32 v30, v27, v29
	v_mul_f32_e32 v29, v26, v29
	v_fma_f32 v26, v26, v28, -v30
	v_fmac_f32_e32 v29, v27, v28
	v_add_f32_e32 v24, v24, v26
	v_add_f32_e32 v25, v25, v29
.LBB59_619:
	s_or_b64 exec, exec, s[94:95]
	v_xor_b32_e32 v26, 0x80000000, v24
	v_xor_b32_e32 v24, 0x80000000, v25
.LBB59_620:
	s_or_b64 exec, exec, s[34:35]
	v_mov_b32_e32 v25, 0x8000
	v_lshl_or_b32 v23, v23, 3, v25
	v_mul_u32_u24_e32 v25, 0x208, v21
	v_lshlrev_b32_e32 v27, 9, v21
	v_sub_u32_e32 v27, v25, v27
	v_add_u32_e32 v27, 0x4100, v27
	s_mov_b32 s34, 0
	s_xor_b64 s[24:25], s[20:21], -1
	v_mov_b32_e32 v28, v21
	s_branch .LBB59_622
.LBB59_621:                             ;   in Loop: Header=BB59_622 Depth=1
	s_or_b64 exec, exec, s[20:21]
	s_add_i32 s34, s34, 2
	v_add_u32_e32 v27, 0x400, v27
	s_cmp_eq_u32 s34, 32
	v_add_u32_e32 v28, -2, v28
	s_barrier
	s_cbranch_scc1 .LBB59_630
.LBB59_622:                             ; =>This Inner Loop Header: Depth=1
	v_cmp_eq_u32_e64 s[20:21], 0, v28
	s_and_b64 s[94:95], s[24:25], s[20:21]
	s_and_saveexec_b64 s[20:21], s[94:95]
	s_cbranch_execz .LBB59_624
; %bb.623:                              ;   in Loop: Header=BB59_622 Depth=1
	ds_read_b64 v[29:30], v25 offset:16640
	s_waitcnt lgkmcnt(0)
	v_mul_f32_e32 v32, v24, v30
	v_mul_f32_e32 v31, v26, v30
	v_fma_f32 v30, v26, v29, -v32
	v_fmac_f32_e32 v31, v24, v29
	v_mov_b32_e32 v26, v30
	v_mov_b32_e32 v24, v31
	ds_write_b64 v23, v[30:31]
.LBB59_624:                             ;   in Loop: Header=BB59_622 Depth=1
	s_or_b64 exec, exec, s[20:21]
	v_cmp_lt_u32_e64 s[20:21], s34, v21
	s_and_b64 s[94:95], s[24:25], s[20:21]
	s_waitcnt lgkmcnt(0)
	s_barrier
	s_and_saveexec_b64 s[20:21], s[94:95]
	s_cbranch_execz .LBB59_626
; %bb.625:                              ;   in Loop: Header=BB59_622 Depth=1
	ds_read_b64 v[29:30], v27
	ds_read_b64 v[31:32], v23
	s_waitcnt lgkmcnt(0)
	v_mul_f32_e32 v33, v32, v30
	v_mul_f32_e32 v30, v31, v30
	v_fma_f32 v31, v31, v29, -v33
	v_fmac_f32_e32 v30, v32, v29
	v_add_f32_e32 v26, v26, v31
	v_add_f32_e32 v24, v24, v30
.LBB59_626:                             ;   in Loop: Header=BB59_622 Depth=1
	s_or_b64 exec, exec, s[20:21]
	s_or_b32 s35, s34, 1
	v_cmp_eq_u32_e64 s[20:21], s35, v21
	s_and_b64 s[94:95], s[24:25], s[20:21]
	s_barrier
	s_and_saveexec_b64 s[20:21], s[94:95]
	s_cbranch_execz .LBB59_628
; %bb.627:                              ;   in Loop: Header=BB59_622 Depth=1
	ds_read_b64 v[29:30], v25 offset:16640
	s_waitcnt lgkmcnt(0)
	v_mul_f32_e32 v32, v24, v30
	v_mul_f32_e32 v31, v26, v30
	v_fma_f32 v30, v26, v29, -v32
	v_fmac_f32_e32 v31, v24, v29
	v_mov_b32_e32 v26, v30
	v_mov_b32_e32 v24, v31
	ds_write_b64 v23, v[30:31]
.LBB59_628:                             ;   in Loop: Header=BB59_622 Depth=1
	s_or_b64 exec, exec, s[20:21]
	v_cmp_lt_u32_e64 s[20:21], s35, v21
	s_and_b64 s[94:95], s[24:25], s[20:21]
	s_waitcnt lgkmcnt(0)
	s_barrier
	s_and_saveexec_b64 s[20:21], s[94:95]
	s_cbranch_execz .LBB59_621
; %bb.629:                              ;   in Loop: Header=BB59_622 Depth=1
	ds_read_b64 v[29:30], v27 offset:512
	ds_read_b64 v[31:32], v23
	s_waitcnt lgkmcnt(0)
	v_mul_f32_e32 v33, v32, v30
	v_mul_f32_e32 v30, v31, v30
	v_fma_f32 v31, v31, v29, -v33
	v_fmac_f32_e32 v30, v32, v29
	v_add_f32_e32 v26, v26, v31
	v_add_f32_e32 v24, v24, v30
	s_branch .LBB59_621
.LBB59_630:
	s_and_saveexec_b64 s[20:21], s[18:19]
; %bb.631:
	v_lshl_add_u32 v23, v21, 3, v22
	v_xor_b32_e32 v22, 0x80000000, v24
	v_xor_b32_e32 v21, 0x80000000, v26
	ds_write_b64 v23, v[21:22] offset:256
; %bb.632:
	s_or_b64 exec, exec, s[20:21]
	v_cmp_gt_u32_e64 s[18:19], 32, v0
	s_and_b64 s[18:19], s[16:17], s[18:19]
	s_waitcnt lgkmcnt(0)
	s_barrier
	s_barrier
	s_and_saveexec_b64 s[16:17], s[18:19]
	s_cbranch_execz .LBB59_634
; %bb.633:
	v_lshlrev_b32_e32 v23, 9, v0
	ds_read_b64 v[21:22], v23 offset:256
	s_movk_i32 s18, 0xfe08
	v_mad_i32_i24 v24, v0, s18, v23
	s_waitcnt lgkmcnt(0)
	ds_write_b64 v24, v[21:22] offset:16384
	ds_read_b64 v[21:22], v23 offset:264
	s_waitcnt lgkmcnt(0)
	ds_write_b64 v24, v[21:22] offset:16896
	ds_read_b64 v[21:22], v23 offset:272
	;; [unrolled: 3-line block ×31, first 2 shown]
	s_waitcnt lgkmcnt(0)
	ds_write_b64 v24, v[21:22] offset:32256
.LBB59_634:
	s_or_b64 exec, exec, s[16:17]
	s_waitcnt lgkmcnt(0)
	s_barrier
	s_and_saveexec_b64 s[16:17], vcc
	s_cbranch_execz .LBB59_636
; %bb.635:
	v_mov_b32_e32 v25, 0
	ds_read_b128 v[21:24], v25 offset:16640
	ds_read_b64 v[25:26], v25 offset:17160
	s_movk_i32 s18, 0x4000
	s_waitcnt lgkmcnt(0)
	v_mul_f32_e32 v27, v26, v22
	v_mul_f32_e32 v28, v25, v22
	v_fma_f32 v25, v25, v21, -v27
	v_fmac_f32_e32 v28, v26, v21
	v_mul_f32_e32 v21, v28, v24
	v_mul_f32_e32 v22, v25, v24
	v_fma_f32 v21, v25, v23, -v21
	v_fmac_f32_e32 v22, v28, v23
	v_add_u32_e64 v23, s18, 0
	ds_write2_b64 v23, v[21:22], v[21:22] offset0:33 offset1:96
.LBB59_636:
	s_or_b64 exec, exec, s[16:17]
	v_mov_b32_e32 v21, 0
	v_mov_b32_e32 v22, 0
	s_waitcnt lgkmcnt(0)
	s_barrier
	s_and_saveexec_b64 s[18:19], s[22:23]
	s_cbranch_execz .LBB59_640
; %bb.637:
	v_mul_u32_u24_e32 v23, 0x208, v5
	ds_read_b64 v[21:22], v3 offset:16656
	ds_read_b64 v[23:24], v23 offset:16640
	v_cmp_gt_u32_e64 s[16:17], 2, v1
	s_waitcnt lgkmcnt(0)
	v_mul_f32_e32 v25, v24, v22
	v_mul_f32_e32 v22, v23, v22
	v_fma_f32 v23, v23, v21, -v25
	v_fmac_f32_e32 v22, v24, v21
	v_add_f32_e32 v21, 0, v23
	v_add_f32_e32 v23, 0, v22
	s_and_saveexec_b64 s[20:21], s[16:17]
	s_cbranch_execz .LBB59_639
; %bb.638:
	v_lshlrev_b32_e32 v22, 3, v0
	v_mov_b32_e32 v26, 0
	ds_read_b64 v[24:25], v22 offset:17168
	ds_read_b64 v[26:27], v26 offset:16648
	s_waitcnt lgkmcnt(0)
	v_mul_f32_e32 v22, v27, v25
	v_mul_f32_e32 v25, v26, v25
	v_fma_f32 v22, v26, v24, -v22
	v_fmac_f32_e32 v25, v27, v24
	v_add_f32_e32 v21, v21, v22
	v_add_f32_e32 v23, v23, v25
.LBB59_639:
	s_or_b64 exec, exec, s[20:21]
	v_xor_b32_e32 v22, 0x80000000, v21
	v_xor_b32_e32 v21, 0x80000000, v23
.LBB59_640:
	s_or_b64 exec, exec, s[18:19]
	s_and_saveexec_b64 s[16:17], s[38:39]
	s_cbranch_execz .LBB59_642
; %bb.641:
	v_mov_b32_e32 v23, 0
	ds_read_b64 v[23:24], v23 offset:17680
	s_waitcnt lgkmcnt(0)
	v_mul_f32_e32 v26, v21, v24
	v_mul_f32_e32 v25, v22, v24
	v_fma_f32 v24, v22, v23, -v26
	v_fmac_f32_e32 v25, v21, v23
	v_mov_b32_e32 v22, v24
	v_mov_b32_e32 v21, v25
	ds_write_b64 v4, v[24:25]
.LBB59_642:
	s_or_b64 exec, exec, s[16:17]
	s_waitcnt lgkmcnt(0)
	s_barrier
	s_and_saveexec_b64 s[16:17], s[36:37]
	s_cbranch_execz .LBB59_644
; %bb.643:
	v_mov_b32_e32 v23, 0
	ds_read_b64 v[23:24], v23 offset:17688
	ds_read_b64 v[25:26], v4
	s_waitcnt lgkmcnt(0)
	v_mul_f32_e32 v27, v26, v24
	v_mul_f32_e32 v24, v25, v24
	v_fma_f32 v25, v25, v23, -v27
	v_fmac_f32_e32 v24, v26, v23
	v_add_f32_e32 v22, v22, v25
	v_add_f32_e32 v21, v21, v24
.LBB59_644:
	s_or_b64 exec, exec, s[16:17]
	s_barrier
	s_and_saveexec_b64 s[16:17], s[36:37]
	s_cbranch_execz .LBB59_646
; %bb.645:
	v_mov_b32_e32 v23, 0
	ds_read_b64 v[23:24], v23 offset:18200
	s_waitcnt lgkmcnt(0)
	v_mul_f32_e32 v26, v21, v24
	v_mul_f32_e32 v25, v22, v24
	v_fma_f32 v24, v22, v23, -v26
	v_fmac_f32_e32 v25, v21, v23
	v_mov_b32_e32 v22, v24
	v_mov_b32_e32 v21, v25
	ds_write_b64 v4, v[24:25]
.LBB59_646:
	s_or_b64 exec, exec, s[16:17]
	s_waitcnt lgkmcnt(0)
	s_barrier
	s_barrier
	s_and_saveexec_b64 s[16:17], s[22:23]
; %bb.647:
	v_xor_b32_e32 v23, 0x80000000, v21
	v_xor_b32_e32 v22, 0x80000000, v22
	ds_write_b64 v3, v[22:23] offset:16656
; %bb.648:
	s_or_b64 exec, exec, s[16:17]
	s_waitcnt lgkmcnt(0)
	s_barrier
	s_barrier
	s_and_saveexec_b64 s[16:17], s[42:43]
	s_cbranch_execz .LBB59_650
; %bb.649:
	v_lshlrev_b32_e32 v23, 3, v0
	s_movk_i32 s18, 0x1f8
	v_mad_u32_u24 v24, v0, s18, v23
	ds_read_b64 v[21:22], v24 offset:16656
	s_waitcnt lgkmcnt(0)
	ds_write_b64 v23, v[21:22] offset:17664
	ds_read_b64 v[21:22], v24 offset:16664
	s_waitcnt lgkmcnt(0)
	ds_write_b64 v23, v[21:22] offset:18176
.LBB59_650:
	s_or_b64 exec, exec, s[16:17]
	s_waitcnt lgkmcnt(0)
	s_barrier
	s_and_saveexec_b64 s[16:17], vcc
	s_cbranch_execz .LBB59_652
; %bb.651:
	v_mov_b32_e32 v25, 0
	ds_read_b128 v[21:24], v25 offset:17680
	ds_read_b64 v[25:26], v25 offset:18200
	s_movk_i32 s18, 0x4000
	s_waitcnt lgkmcnt(0)
	v_mul_f32_e32 v27, v26, v22
	v_mul_f32_e32 v28, v25, v22
	v_fma_f32 v25, v25, v21, -v27
	v_fmac_f32_e32 v28, v26, v21
	v_mul_f32_e32 v21, v28, v24
	v_mul_f32_e32 v22, v25, v24
	v_fma_f32 v21, v25, v23, -v21
	v_fmac_f32_e32 v22, v28, v23
	v_add_u32_e64 v23, s18, 0
	ds_write2_b64 v23, v[21:22], v[21:22] offset0:163 offset1:226
.LBB59_652:
	s_or_b64 exec, exec, s[16:17]
	v_mov_b32_e32 v21, 0
	v_mov_b32_e32 v22, 0
	s_waitcnt lgkmcnt(0)
	s_barrier
	s_and_saveexec_b64 s[18:19], s[10:11]
	s_cbranch_execz .LBB59_658
; %bb.653:
	v_mul_u32_u24_e32 v22, 0x208, v10
	ds_read_b64 v[23:24], v6 offset:16672
	ds_read_b64 v[25:26], v22 offset:16640
	v_cmp_gt_u32_e64 s[16:17], 12, v1
	s_waitcnt lgkmcnt(0)
	v_mul_f32_e32 v21, v26, v24
	v_mul_f32_e32 v24, v25, v24
	v_fma_f32 v21, v25, v23, -v21
	v_fmac_f32_e32 v24, v26, v23
	v_add_f32_e32 v21, 0, v21
	v_add_f32_e32 v23, 0, v24
	s_and_saveexec_b64 s[20:21], s[16:17]
	s_cbranch_execnz .LBB59_1142
; %bb.654:
	s_or_b64 exec, exec, s[20:21]
	v_cmp_gt_u32_e64 s[16:17], 8, v1
	s_and_saveexec_b64 s[20:21], s[16:17]
	s_cbranch_execnz .LBB59_1143
.LBB59_655:
	s_or_b64 exec, exec, s[20:21]
	v_cmp_gt_u32_e64 s[16:17], 4, v1
	s_and_saveexec_b64 s[20:21], s[16:17]
	s_cbranch_execz .LBB59_657
.LBB59_656:
	v_lshlrev_b32_e32 v22, 3, v0
	v_mov_b32_e32 v26, 0
	ds_read_b64 v[24:25], v22 offset:18208
	ds_read_b64 v[26:27], v26 offset:16664
	s_waitcnt lgkmcnt(0)
	v_mul_f32_e32 v22, v27, v25
	v_mul_f32_e32 v25, v26, v25
	v_fma_f32 v22, v26, v24, -v22
	v_fmac_f32_e32 v25, v27, v24
	v_add_f32_e32 v21, v21, v22
	v_add_f32_e32 v23, v23, v25
.LBB59_657:
	s_or_b64 exec, exec, s[20:21]
	v_xor_b32_e32 v22, 0x80000000, v21
	v_xor_b32_e32 v21, 0x80000000, v23
.LBB59_658:
	s_or_b64 exec, exec, s[18:19]
	s_and_saveexec_b64 s[16:17], s[52:53]
	s_cbranch_execz .LBB59_660
; %bb.659:
	v_mov_b32_e32 v23, 0
	ds_read_b64 v[23:24], v23 offset:18720
	s_waitcnt lgkmcnt(0)
	v_mul_f32_e32 v26, v21, v24
	v_mul_f32_e32 v25, v22, v24
	v_fma_f32 v24, v22, v23, -v26
	v_fmac_f32_e32 v25, v21, v23
	v_mov_b32_e32 v22, v24
	v_mov_b32_e32 v21, v25
	ds_write_b64 v8, v[24:25]
.LBB59_660:
	s_or_b64 exec, exec, s[16:17]
	s_waitcnt lgkmcnt(0)
	s_barrier
	s_and_saveexec_b64 s[16:17], s[54:55]
	s_cbranch_execz .LBB59_662
; %bb.661:
	ds_read_b64 v[23:24], v7 offset:18720
	ds_read_b64 v[25:26], v8
	s_waitcnt lgkmcnt(0)
	v_mul_f32_e32 v27, v26, v24
	v_mul_f32_e32 v24, v25, v24
	v_fma_f32 v25, v25, v23, -v27
	v_fmac_f32_e32 v24, v26, v23
	v_add_f32_e32 v22, v22, v25
	v_add_f32_e32 v21, v21, v24
.LBB59_662:
	s_or_b64 exec, exec, s[16:17]
	s_barrier
	s_and_saveexec_b64 s[16:17], s[56:57]
	s_cbranch_execz .LBB59_664
; %bb.663:
	v_mov_b32_e32 v23, 0
	ds_read_b64 v[23:24], v23 offset:19240
	s_waitcnt lgkmcnt(0)
	v_mul_f32_e32 v26, v21, v24
	v_mul_f32_e32 v25, v22, v24
	v_fma_f32 v24, v22, v23, -v26
	v_fmac_f32_e32 v25, v21, v23
	v_mov_b32_e32 v22, v24
	v_mov_b32_e32 v21, v25
	ds_write_b64 v8, v[24:25]
.LBB59_664:
	s_or_b64 exec, exec, s[16:17]
	s_waitcnt lgkmcnt(0)
	s_barrier
	s_and_saveexec_b64 s[16:17], s[58:59]
	s_cbranch_execz .LBB59_666
; %bb.665:
	ds_read_b64 v[23:24], v7 offset:19232
	ds_read_b64 v[25:26], v8
	s_waitcnt lgkmcnt(0)
	v_mul_f32_e32 v27, v26, v24
	v_mul_f32_e32 v24, v25, v24
	v_fma_f32 v25, v25, v23, -v27
	v_fmac_f32_e32 v24, v26, v23
	v_add_f32_e32 v22, v22, v25
	v_add_f32_e32 v21, v21, v24
.LBB59_666:
	s_or_b64 exec, exec, s[16:17]
	s_barrier
	s_and_saveexec_b64 s[16:17], s[60:61]
	s_cbranch_execz .LBB59_668
; %bb.667:
	v_mov_b32_e32 v23, 0
	ds_read_b64 v[23:24], v23 offset:19760
	s_waitcnt lgkmcnt(0)
	v_mul_f32_e32 v26, v21, v24
	v_mul_f32_e32 v25, v22, v24
	v_fma_f32 v24, v22, v23, -v26
	v_fmac_f32_e32 v25, v21, v23
	v_mov_b32_e32 v22, v24
	v_mov_b32_e32 v21, v25
	ds_write_b64 v8, v[24:25]
.LBB59_668:
	s_or_b64 exec, exec, s[16:17]
	s_waitcnt lgkmcnt(0)
	s_barrier
	s_and_saveexec_b64 s[16:17], s[44:45]
	s_cbranch_execz .LBB59_670
; %bb.669:
	v_mov_b32_e32 v23, 0
	ds_read_b64 v[23:24], v23 offset:19768
	ds_read_b64 v[25:26], v8
	s_waitcnt lgkmcnt(0)
	v_mul_f32_e32 v27, v26, v24
	v_mul_f32_e32 v24, v25, v24
	v_fma_f32 v25, v25, v23, -v27
	v_fmac_f32_e32 v24, v26, v23
	v_add_f32_e32 v22, v22, v25
	v_add_f32_e32 v21, v21, v24
.LBB59_670:
	s_or_b64 exec, exec, s[16:17]
	s_barrier
	s_and_saveexec_b64 s[16:17], s[44:45]
	s_cbranch_execz .LBB59_672
; %bb.671:
	v_mov_b32_e32 v23, 0
	ds_read_b64 v[23:24], v23 offset:20280
	s_waitcnt lgkmcnt(0)
	v_mul_f32_e32 v26, v21, v24
	v_mul_f32_e32 v25, v22, v24
	v_fma_f32 v24, v22, v23, -v26
	v_fmac_f32_e32 v25, v21, v23
	v_mov_b32_e32 v22, v24
	v_mov_b32_e32 v21, v25
	ds_write_b64 v8, v[24:25]
.LBB59_672:
	s_or_b64 exec, exec, s[16:17]
	s_waitcnt lgkmcnt(0)
	s_barrier
	s_barrier
	s_and_saveexec_b64 s[16:17], s[10:11]
; %bb.673:
	v_xor_b32_e32 v22, 0x80000000, v22
	v_xor_b32_e32 v23, 0x80000000, v21
	ds_write_b64 v6, v[22:23] offset:16672
; %bb.674:
	s_or_b64 exec, exec, s[16:17]
	s_waitcnt lgkmcnt(0)
	s_barrier
	s_barrier
	s_and_saveexec_b64 s[16:17], s[62:63]
	s_cbranch_execz .LBB59_676
; %bb.675:
	v_lshlrev_b32_e32 v23, 9, v0
	ds_read_b64 v[21:22], v23 offset:16672
	s_movk_i32 s18, 0xfe08
	v_mad_i32_i24 v24, v0, s18, v23
	s_waitcnt lgkmcnt(0)
	ds_write_b64 v24, v[21:22] offset:18688
	ds_read_b64 v[21:22], v23 offset:16680
	s_waitcnt lgkmcnt(0)
	ds_write_b64 v24, v[21:22] offset:19200
	ds_read_b64 v[21:22], v23 offset:16688
	;; [unrolled: 3-line block ×3, first 2 shown]
	s_waitcnt lgkmcnt(0)
	ds_write_b64 v24, v[21:22] offset:20224
.LBB59_676:
	s_or_b64 exec, exec, s[16:17]
	s_waitcnt lgkmcnt(0)
	s_barrier
	s_and_saveexec_b64 s[16:17], vcc
	s_cbranch_execz .LBB59_678
; %bb.677:
	v_mov_b32_e32 v25, 0
	ds_read_b128 v[21:24], v25 offset:18720
	ds_read_b64 v[25:26], v25 offset:19240
	s_movk_i32 s18, 0x4800
	s_waitcnt lgkmcnt(0)
	v_mul_f32_e32 v27, v26, v22
	v_mul_f32_e32 v28, v25, v22
	v_fma_f32 v25, v25, v21, -v27
	v_fmac_f32_e32 v28, v26, v21
	v_mul_f32_e32 v21, v28, v24
	v_mul_f32_e32 v22, v25, v24
	v_fma_f32 v21, v25, v23, -v21
	v_fmac_f32_e32 v22, v28, v23
	v_add_u32_e64 v23, s18, 0
	ds_write2_b64 v23, v[21:22], v[21:22] offset0:37 offset1:100
.LBB59_678:
	s_or_b64 exec, exec, s[16:17]
	v_mov_b32_e32 v21, 0
	v_mov_b32_e32 v22, 0
	s_waitcnt lgkmcnt(0)
	s_barrier
	s_and_saveexec_b64 s[18:19], s[22:23]
	s_cbranch_execz .LBB59_682
; %bb.679:
	v_mul_u32_u24_e32 v23, 0x208, v5
	ds_read_b64 v[21:22], v3 offset:18736
	ds_read_b64 v[23:24], v23 offset:18720
	v_cmp_gt_u32_e64 s[16:17], 2, v1
	s_waitcnt lgkmcnt(0)
	v_mul_f32_e32 v25, v24, v22
	v_mul_f32_e32 v22, v23, v22
	v_fma_f32 v23, v23, v21, -v25
	v_fmac_f32_e32 v22, v24, v21
	v_add_f32_e32 v21, 0, v23
	v_add_f32_e32 v23, 0, v22
	s_and_saveexec_b64 s[20:21], s[16:17]
	s_cbranch_execz .LBB59_681
; %bb.680:
	v_lshlrev_b32_e32 v22, 3, v0
	v_mov_b32_e32 v26, 0
	ds_read_b64 v[24:25], v22 offset:19248
	ds_read_b64 v[26:27], v26 offset:18728
	s_waitcnt lgkmcnt(0)
	v_mul_f32_e32 v22, v27, v25
	v_mul_f32_e32 v25, v26, v25
	v_fma_f32 v22, v26, v24, -v22
	v_fmac_f32_e32 v25, v27, v24
	v_add_f32_e32 v21, v21, v22
	v_add_f32_e32 v23, v23, v25
.LBB59_681:
	s_or_b64 exec, exec, s[20:21]
	v_xor_b32_e32 v22, 0x80000000, v21
	v_xor_b32_e32 v21, 0x80000000, v23
.LBB59_682:
	s_or_b64 exec, exec, s[18:19]
	s_and_saveexec_b64 s[16:17], s[38:39]
	s_cbranch_execz .LBB59_684
; %bb.683:
	v_mov_b32_e32 v23, 0
	ds_read_b64 v[23:24], v23 offset:19760
	s_waitcnt lgkmcnt(0)
	v_mul_f32_e32 v26, v21, v24
	v_mul_f32_e32 v25, v22, v24
	v_fma_f32 v24, v22, v23, -v26
	v_fmac_f32_e32 v25, v21, v23
	v_mov_b32_e32 v22, v24
	v_mov_b32_e32 v21, v25
	ds_write_b64 v4, v[24:25]
.LBB59_684:
	s_or_b64 exec, exec, s[16:17]
	s_waitcnt lgkmcnt(0)
	s_barrier
	s_and_saveexec_b64 s[16:17], s[36:37]
	s_cbranch_execz .LBB59_686
; %bb.685:
	v_mov_b32_e32 v23, 0
	ds_read_b64 v[23:24], v23 offset:19768
	ds_read_b64 v[25:26], v4
	s_waitcnt lgkmcnt(0)
	v_mul_f32_e32 v27, v26, v24
	v_mul_f32_e32 v24, v25, v24
	v_fma_f32 v25, v25, v23, -v27
	v_fmac_f32_e32 v24, v26, v23
	v_add_f32_e32 v22, v22, v25
	v_add_f32_e32 v21, v21, v24
.LBB59_686:
	s_or_b64 exec, exec, s[16:17]
	s_barrier
	s_and_saveexec_b64 s[16:17], s[36:37]
	s_cbranch_execz .LBB59_688
; %bb.687:
	v_mov_b32_e32 v23, 0
	ds_read_b64 v[23:24], v23 offset:20280
	s_waitcnt lgkmcnt(0)
	v_mul_f32_e32 v26, v21, v24
	v_mul_f32_e32 v25, v22, v24
	v_fma_f32 v24, v22, v23, -v26
	v_fmac_f32_e32 v25, v21, v23
	v_mov_b32_e32 v22, v24
	v_mov_b32_e32 v21, v25
	ds_write_b64 v4, v[24:25]
.LBB59_688:
	s_or_b64 exec, exec, s[16:17]
	s_waitcnt lgkmcnt(0)
	s_barrier
	s_barrier
	s_and_saveexec_b64 s[16:17], s[22:23]
; %bb.689:
	v_xor_b32_e32 v23, 0x80000000, v21
	v_xor_b32_e32 v22, 0x80000000, v22
	ds_write_b64 v3, v[22:23] offset:18736
; %bb.690:
	s_or_b64 exec, exec, s[16:17]
	s_waitcnt lgkmcnt(0)
	s_barrier
	s_barrier
	s_and_saveexec_b64 s[16:17], s[42:43]
	s_cbranch_execz .LBB59_692
; %bb.691:
	v_lshlrev_b32_e32 v23, 3, v0
	s_movk_i32 s18, 0x1f8
	v_mad_u32_u24 v24, v0, s18, v23
	ds_read_b64 v[21:22], v24 offset:18736
	s_waitcnt lgkmcnt(0)
	ds_write_b64 v23, v[21:22] offset:19744
	ds_read_b64 v[21:22], v24 offset:18744
	s_waitcnt lgkmcnt(0)
	ds_write_b64 v23, v[21:22] offset:20256
.LBB59_692:
	s_or_b64 exec, exec, s[16:17]
	s_waitcnt lgkmcnt(0)
	s_barrier
	s_and_saveexec_b64 s[16:17], vcc
	s_cbranch_execz .LBB59_694
; %bb.693:
	v_mov_b32_e32 v25, 0
	ds_read_b128 v[21:24], v25 offset:19760
	ds_read_b64 v[25:26], v25 offset:20280
	s_movk_i32 s18, 0x4800
	s_waitcnt lgkmcnt(0)
	v_mul_f32_e32 v27, v26, v22
	v_mul_f32_e32 v28, v25, v22
	v_fma_f32 v25, v25, v21, -v27
	v_fmac_f32_e32 v28, v26, v21
	v_mul_f32_e32 v21, v28, v24
	v_mul_f32_e32 v22, v25, v24
	v_fma_f32 v21, v25, v23, -v21
	v_fmac_f32_e32 v22, v28, v23
	v_add_u32_e64 v23, s18, 0
	ds_write2_b64 v23, v[21:22], v[21:22] offset0:167 offset1:230
.LBB59_694:
	s_or_b64 exec, exec, s[16:17]
	v_mov_b32_e32 v21, 0
	v_mov_b32_e32 v22, 0
	s_waitcnt lgkmcnt(0)
	s_barrier
	s_and_saveexec_b64 s[18:19], s[12:13]
	s_cbranch_execz .LBB59_704
; %bb.695:
	v_mul_u32_u24_e32 v22, 0x208, v15
	ds_read_b64 v[23:24], v11 offset:16704
	ds_read_b64 v[25:26], v22 offset:16640
	v_cmp_gt_u32_e64 s[16:17], 56, v1
	s_waitcnt lgkmcnt(0)
	v_mul_f32_e32 v21, v26, v24
	v_mul_f32_e32 v24, v25, v24
	v_fma_f32 v21, v25, v23, -v21
	v_fmac_f32_e32 v24, v26, v23
	v_add_f32_e32 v21, 0, v21
	v_add_f32_e32 v23, 0, v24
	s_and_saveexec_b64 s[20:21], s[16:17]
	s_cbranch_execnz .LBB59_1144
; %bb.696:
	s_or_b64 exec, exec, s[20:21]
	v_cmp_gt_u32_e64 s[16:17], 48, v1
	s_and_saveexec_b64 s[20:21], s[16:17]
	s_cbranch_execnz .LBB59_1145
.LBB59_697:
	s_or_b64 exec, exec, s[20:21]
	v_cmp_gt_u32_e64 s[16:17], 40, v1
	s_and_saveexec_b64 s[20:21], s[16:17]
	s_cbranch_execnz .LBB59_1146
.LBB59_698:
	s_or_b64 exec, exec, s[20:21]
	v_cmp_gt_u32_e64 s[16:17], 32, v1
	s_and_saveexec_b64 s[20:21], s[16:17]
	s_cbranch_execnz .LBB59_1147
.LBB59_699:
	s_or_b64 exec, exec, s[20:21]
	v_cmp_gt_u32_e64 s[16:17], 24, v1
	s_and_saveexec_b64 s[20:21], s[16:17]
	s_cbranch_execnz .LBB59_1148
.LBB59_700:
	s_or_b64 exec, exec, s[20:21]
	v_cmp_gt_u32_e64 s[16:17], 16, v1
	s_and_saveexec_b64 s[20:21], s[16:17]
	s_cbranch_execnz .LBB59_1149
.LBB59_701:
	s_or_b64 exec, exec, s[20:21]
	v_cmp_gt_u32_e64 s[16:17], 8, v1
	s_and_saveexec_b64 s[20:21], s[16:17]
	s_cbranch_execz .LBB59_703
.LBB59_702:
	v_lshlrev_b32_e32 v22, 3, v0
	v_mov_b32_e32 v26, 0
	ds_read_b64 v[24:25], v22 offset:20288
	ds_read_b64 v[26:27], v26 offset:16696
	s_waitcnt lgkmcnt(0)
	v_mul_f32_e32 v22, v27, v25
	v_mul_f32_e32 v25, v26, v25
	v_fma_f32 v22, v26, v24, -v22
	v_fmac_f32_e32 v25, v27, v24
	v_add_f32_e32 v21, v21, v22
	v_add_f32_e32 v23, v23, v25
.LBB59_703:
	s_or_b64 exec, exec, s[20:21]
	v_xor_b32_e32 v22, 0x80000000, v21
	v_xor_b32_e32 v21, 0x80000000, v23
.LBB59_704:
	s_or_b64 exec, exec, s[18:19]
	s_and_saveexec_b64 s[16:17], s[66:67]
	s_cbranch_execz .LBB59_706
; %bb.705:
	v_mov_b32_e32 v23, 0
	ds_read_b64 v[23:24], v23 offset:20800
	s_waitcnt lgkmcnt(0)
	v_mul_f32_e32 v26, v21, v24
	v_mul_f32_e32 v25, v22, v24
	v_fma_f32 v24, v22, v23, -v26
	v_fmac_f32_e32 v25, v21, v23
	v_mov_b32_e32 v22, v24
	v_mov_b32_e32 v21, v25
	ds_write_b64 v13, v[24:25]
.LBB59_706:
	s_or_b64 exec, exec, s[16:17]
	s_waitcnt lgkmcnt(0)
	s_barrier
	s_and_saveexec_b64 s[16:17], s[68:69]
	s_cbranch_execz .LBB59_708
; %bb.707:
	ds_read_b64 v[23:24], v12 offset:20800
	ds_read_b64 v[25:26], v13
	s_waitcnt lgkmcnt(0)
	v_mul_f32_e32 v27, v26, v24
	v_mul_f32_e32 v24, v25, v24
	v_fma_f32 v25, v25, v23, -v27
	v_fmac_f32_e32 v24, v26, v23
	v_add_f32_e32 v22, v22, v25
	v_add_f32_e32 v21, v21, v24
.LBB59_708:
	s_or_b64 exec, exec, s[16:17]
	s_barrier
	s_and_saveexec_b64 s[16:17], s[70:71]
	s_cbranch_execz .LBB59_710
; %bb.709:
	v_mov_b32_e32 v23, 0
	ds_read_b64 v[23:24], v23 offset:21320
	s_waitcnt lgkmcnt(0)
	v_mul_f32_e32 v26, v21, v24
	v_mul_f32_e32 v25, v22, v24
	v_fma_f32 v24, v22, v23, -v26
	v_fmac_f32_e32 v25, v21, v23
	v_mov_b32_e32 v22, v24
	v_mov_b32_e32 v21, v25
	ds_write_b64 v13, v[24:25]
.LBB59_710:
	s_or_b64 exec, exec, s[16:17]
	s_waitcnt lgkmcnt(0)
	s_barrier
	s_and_saveexec_b64 s[16:17], s[72:73]
	s_cbranch_execz .LBB59_712
; %bb.711:
	ds_read_b64 v[23:24], v12 offset:21312
	ds_read_b64 v[25:26], v13
	s_waitcnt lgkmcnt(0)
	v_mul_f32_e32 v27, v26, v24
	v_mul_f32_e32 v24, v25, v24
	v_fma_f32 v25, v25, v23, -v27
	v_fmac_f32_e32 v24, v26, v23
	v_add_f32_e32 v22, v22, v25
	v_add_f32_e32 v21, v21, v24
.LBB59_712:
	s_or_b64 exec, exec, s[16:17]
	s_barrier
	;; [unrolled: 32-line block ×6, first 2 shown]
	s_and_saveexec_b64 s[16:17], s[90:91]
	s_cbranch_execz .LBB59_730
; %bb.729:
	v_mov_b32_e32 v23, 0
	ds_read_b64 v[23:24], v23 offset:23920
	s_waitcnt lgkmcnt(0)
	v_mul_f32_e32 v26, v21, v24
	v_mul_f32_e32 v25, v22, v24
	v_fma_f32 v24, v22, v23, -v26
	v_fmac_f32_e32 v25, v21, v23
	v_mov_b32_e32 v22, v24
	v_mov_b32_e32 v21, v25
	ds_write_b64 v13, v[24:25]
.LBB59_730:
	s_or_b64 exec, exec, s[16:17]
	s_waitcnt lgkmcnt(0)
	s_barrier
	s_and_saveexec_b64 s[16:17], s[64:65]
	s_cbranch_execz .LBB59_732
; %bb.731:
	v_mov_b32_e32 v23, 0
	ds_read_b64 v[23:24], v23 offset:23928
	ds_read_b64 v[25:26], v13
	s_waitcnt lgkmcnt(0)
	v_mul_f32_e32 v27, v26, v24
	v_mul_f32_e32 v24, v25, v24
	v_fma_f32 v25, v25, v23, -v27
	v_fmac_f32_e32 v24, v26, v23
	v_add_f32_e32 v22, v22, v25
	v_add_f32_e32 v21, v21, v24
.LBB59_732:
	s_or_b64 exec, exec, s[16:17]
	s_barrier
	s_and_saveexec_b64 s[16:17], s[64:65]
	s_cbranch_execz .LBB59_734
; %bb.733:
	v_mov_b32_e32 v23, 0
	ds_read_b64 v[23:24], v23 offset:24440
	s_waitcnt lgkmcnt(0)
	v_mul_f32_e32 v26, v21, v24
	v_mul_f32_e32 v25, v22, v24
	v_fma_f32 v24, v22, v23, -v26
	v_fmac_f32_e32 v25, v21, v23
	v_mov_b32_e32 v22, v24
	v_mov_b32_e32 v21, v25
	ds_write_b64 v13, v[24:25]
.LBB59_734:
	s_or_b64 exec, exec, s[16:17]
	s_waitcnt lgkmcnt(0)
	s_barrier
	s_barrier
	s_and_saveexec_b64 s[16:17], s[12:13]
; %bb.735:
	v_xor_b32_e32 v23, 0x80000000, v21
	v_xor_b32_e32 v22, 0x80000000, v22
	ds_write_b64 v11, v[22:23] offset:16704
; %bb.736:
	s_or_b64 exec, exec, s[16:17]
	s_waitcnt lgkmcnt(0)
	s_barrier
	s_barrier
	s_and_saveexec_b64 s[16:17], s[92:93]
	s_cbranch_execz .LBB59_738
; %bb.737:
	v_lshlrev_b32_e32 v23, 9, v0
	ds_read_b64 v[21:22], v23 offset:16704
	s_movk_i32 s18, 0xfe08
	v_mad_i32_i24 v24, v0, s18, v23
	s_waitcnt lgkmcnt(0)
	ds_write_b64 v24, v[21:22] offset:20736
	ds_read_b64 v[21:22], v23 offset:16712
	s_waitcnt lgkmcnt(0)
	ds_write_b64 v24, v[21:22] offset:21248
	ds_read_b64 v[21:22], v23 offset:16720
	;; [unrolled: 3-line block ×7, first 2 shown]
	s_waitcnt lgkmcnt(0)
	ds_write_b64 v24, v[21:22] offset:24320
.LBB59_738:
	s_or_b64 exec, exec, s[16:17]
	s_waitcnt lgkmcnt(0)
	s_barrier
	s_and_saveexec_b64 s[16:17], vcc
	s_cbranch_execz .LBB59_740
; %bb.739:
	v_mov_b32_e32 v25, 0
	ds_read_b128 v[21:24], v25 offset:20800
	ds_read_b64 v[25:26], v25 offset:21320
	s_movk_i32 s18, 0x5000
	s_waitcnt lgkmcnt(0)
	v_mul_f32_e32 v27, v26, v22
	v_mul_f32_e32 v28, v25, v22
	v_fma_f32 v25, v25, v21, -v27
	v_fmac_f32_e32 v28, v26, v21
	v_mul_f32_e32 v21, v28, v24
	v_mul_f32_e32 v22, v25, v24
	v_fma_f32 v21, v25, v23, -v21
	v_fmac_f32_e32 v22, v28, v23
	v_add_u32_e64 v23, s18, 0
	ds_write2_b64 v23, v[21:22], v[21:22] offset0:41 offset1:104
.LBB59_740:
	s_or_b64 exec, exec, s[16:17]
	v_mov_b32_e32 v21, 0
	v_mov_b32_e32 v22, 0
	s_waitcnt lgkmcnt(0)
	s_barrier
	s_and_saveexec_b64 s[18:19], s[22:23]
	s_cbranch_execz .LBB59_744
; %bb.741:
	v_mul_u32_u24_e32 v23, 0x208, v5
	ds_read_b64 v[21:22], v3 offset:20816
	ds_read_b64 v[23:24], v23 offset:20800
	v_cmp_gt_u32_e64 s[16:17], 2, v1
	s_waitcnt lgkmcnt(0)
	v_mul_f32_e32 v25, v24, v22
	v_mul_f32_e32 v22, v23, v22
	v_fma_f32 v23, v23, v21, -v25
	v_fmac_f32_e32 v22, v24, v21
	v_add_f32_e32 v21, 0, v23
	v_add_f32_e32 v23, 0, v22
	s_and_saveexec_b64 s[20:21], s[16:17]
	s_cbranch_execz .LBB59_743
; %bb.742:
	v_lshlrev_b32_e32 v22, 3, v0
	v_mov_b32_e32 v26, 0
	ds_read_b64 v[24:25], v22 offset:21328
	ds_read_b64 v[26:27], v26 offset:20808
	s_waitcnt lgkmcnt(0)
	v_mul_f32_e32 v22, v27, v25
	v_mul_f32_e32 v25, v26, v25
	v_fma_f32 v22, v26, v24, -v22
	v_fmac_f32_e32 v25, v27, v24
	v_add_f32_e32 v21, v21, v22
	v_add_f32_e32 v23, v23, v25
.LBB59_743:
	s_or_b64 exec, exec, s[20:21]
	v_xor_b32_e32 v22, 0x80000000, v21
	v_xor_b32_e32 v21, 0x80000000, v23
.LBB59_744:
	s_or_b64 exec, exec, s[18:19]
	s_and_saveexec_b64 s[16:17], s[38:39]
	s_cbranch_execz .LBB59_746
; %bb.745:
	v_mov_b32_e32 v23, 0
	ds_read_b64 v[23:24], v23 offset:21840
	s_waitcnt lgkmcnt(0)
	v_mul_f32_e32 v26, v21, v24
	v_mul_f32_e32 v25, v22, v24
	v_fma_f32 v24, v22, v23, -v26
	v_fmac_f32_e32 v25, v21, v23
	v_mov_b32_e32 v22, v24
	v_mov_b32_e32 v21, v25
	ds_write_b64 v4, v[24:25]
.LBB59_746:
	s_or_b64 exec, exec, s[16:17]
	s_waitcnt lgkmcnt(0)
	s_barrier
	s_and_saveexec_b64 s[16:17], s[36:37]
	s_cbranch_execz .LBB59_748
; %bb.747:
	v_mov_b32_e32 v23, 0
	ds_read_b64 v[23:24], v23 offset:21848
	ds_read_b64 v[25:26], v4
	s_waitcnt lgkmcnt(0)
	v_mul_f32_e32 v27, v26, v24
	v_mul_f32_e32 v24, v25, v24
	v_fma_f32 v25, v25, v23, -v27
	v_fmac_f32_e32 v24, v26, v23
	v_add_f32_e32 v22, v22, v25
	v_add_f32_e32 v21, v21, v24
.LBB59_748:
	s_or_b64 exec, exec, s[16:17]
	s_barrier
	s_and_saveexec_b64 s[16:17], s[36:37]
	s_cbranch_execz .LBB59_750
; %bb.749:
	v_mov_b32_e32 v23, 0
	ds_read_b64 v[23:24], v23 offset:22360
	s_waitcnt lgkmcnt(0)
	v_mul_f32_e32 v26, v21, v24
	v_mul_f32_e32 v25, v22, v24
	v_fma_f32 v24, v22, v23, -v26
	v_fmac_f32_e32 v25, v21, v23
	v_mov_b32_e32 v22, v24
	v_mov_b32_e32 v21, v25
	ds_write_b64 v4, v[24:25]
.LBB59_750:
	s_or_b64 exec, exec, s[16:17]
	s_waitcnt lgkmcnt(0)
	s_barrier
	s_barrier
	s_and_saveexec_b64 s[16:17], s[22:23]
; %bb.751:
	v_xor_b32_e32 v23, 0x80000000, v21
	v_xor_b32_e32 v22, 0x80000000, v22
	ds_write_b64 v3, v[22:23] offset:20816
; %bb.752:
	s_or_b64 exec, exec, s[16:17]
	s_waitcnt lgkmcnt(0)
	s_barrier
	s_barrier
	s_and_saveexec_b64 s[16:17], s[42:43]
	s_cbranch_execz .LBB59_754
; %bb.753:
	v_lshlrev_b32_e32 v23, 3, v0
	s_movk_i32 s18, 0x1f8
	v_mad_u32_u24 v24, v0, s18, v23
	ds_read_b64 v[21:22], v24 offset:20816
	s_waitcnt lgkmcnt(0)
	ds_write_b64 v23, v[21:22] offset:21824
	ds_read_b64 v[21:22], v24 offset:20824
	s_waitcnt lgkmcnt(0)
	ds_write_b64 v23, v[21:22] offset:22336
.LBB59_754:
	s_or_b64 exec, exec, s[16:17]
	s_waitcnt lgkmcnt(0)
	s_barrier
	s_and_saveexec_b64 s[16:17], vcc
	s_cbranch_execz .LBB59_756
; %bb.755:
	v_mov_b32_e32 v25, 0
	ds_read_b128 v[21:24], v25 offset:21840
	ds_read_b64 v[25:26], v25 offset:22360
	s_movk_i32 s18, 0x5000
	s_waitcnt lgkmcnt(0)
	v_mul_f32_e32 v27, v26, v22
	v_mul_f32_e32 v28, v25, v22
	v_fma_f32 v25, v25, v21, -v27
	v_fmac_f32_e32 v28, v26, v21
	v_mul_f32_e32 v21, v28, v24
	v_mul_f32_e32 v22, v25, v24
	v_fma_f32 v21, v25, v23, -v21
	v_fmac_f32_e32 v22, v28, v23
	v_add_u32_e64 v23, s18, 0
	ds_write2_b64 v23, v[21:22], v[21:22] offset0:171 offset1:234
.LBB59_756:
	s_or_b64 exec, exec, s[16:17]
	v_mov_b32_e32 v21, 0
	v_mov_b32_e32 v22, 0
	s_waitcnt lgkmcnt(0)
	s_barrier
	s_and_saveexec_b64 s[18:19], s[10:11]
	s_cbranch_execz .LBB59_762
; %bb.757:
	v_mul_u32_u24_e32 v22, 0x208, v10
	ds_read_b64 v[23:24], v6 offset:20832
	ds_read_b64 v[25:26], v22 offset:20800
	v_cmp_gt_u32_e64 s[16:17], 12, v1
	s_waitcnt lgkmcnt(0)
	v_mul_f32_e32 v21, v26, v24
	v_mul_f32_e32 v24, v25, v24
	v_fma_f32 v21, v25, v23, -v21
	v_fmac_f32_e32 v24, v26, v23
	v_add_f32_e32 v21, 0, v21
	v_add_f32_e32 v23, 0, v24
	s_and_saveexec_b64 s[20:21], s[16:17]
	s_cbranch_execnz .LBB59_1150
; %bb.758:
	s_or_b64 exec, exec, s[20:21]
	v_cmp_gt_u32_e64 s[16:17], 8, v1
	s_and_saveexec_b64 s[20:21], s[16:17]
	s_cbranch_execnz .LBB59_1151
.LBB59_759:
	s_or_b64 exec, exec, s[20:21]
	v_cmp_gt_u32_e64 s[16:17], 4, v1
	s_and_saveexec_b64 s[20:21], s[16:17]
	s_cbranch_execz .LBB59_761
.LBB59_760:
	v_lshlrev_b32_e32 v22, 3, v0
	v_mov_b32_e32 v26, 0
	ds_read_b64 v[24:25], v22 offset:22368
	ds_read_b64 v[26:27], v26 offset:20824
	s_waitcnt lgkmcnt(0)
	v_mul_f32_e32 v22, v27, v25
	v_mul_f32_e32 v25, v26, v25
	v_fma_f32 v22, v26, v24, -v22
	v_fmac_f32_e32 v25, v27, v24
	v_add_f32_e32 v21, v21, v22
	v_add_f32_e32 v23, v23, v25
.LBB59_761:
	s_or_b64 exec, exec, s[20:21]
	v_xor_b32_e32 v22, 0x80000000, v21
	v_xor_b32_e32 v21, 0x80000000, v23
.LBB59_762:
	s_or_b64 exec, exec, s[18:19]
	s_and_saveexec_b64 s[16:17], s[52:53]
	s_cbranch_execz .LBB59_764
; %bb.763:
	v_mov_b32_e32 v23, 0
	ds_read_b64 v[23:24], v23 offset:22880
	s_waitcnt lgkmcnt(0)
	v_mul_f32_e32 v26, v21, v24
	v_mul_f32_e32 v25, v22, v24
	v_fma_f32 v24, v22, v23, -v26
	v_fmac_f32_e32 v25, v21, v23
	v_mov_b32_e32 v22, v24
	v_mov_b32_e32 v21, v25
	ds_write_b64 v8, v[24:25]
.LBB59_764:
	s_or_b64 exec, exec, s[16:17]
	s_waitcnt lgkmcnt(0)
	s_barrier
	s_and_saveexec_b64 s[16:17], s[54:55]
	s_cbranch_execz .LBB59_766
; %bb.765:
	ds_read_b64 v[23:24], v7 offset:22880
	ds_read_b64 v[25:26], v8
	s_waitcnt lgkmcnt(0)
	v_mul_f32_e32 v27, v26, v24
	v_mul_f32_e32 v24, v25, v24
	v_fma_f32 v25, v25, v23, -v27
	v_fmac_f32_e32 v24, v26, v23
	v_add_f32_e32 v22, v22, v25
	v_add_f32_e32 v21, v21, v24
.LBB59_766:
	s_or_b64 exec, exec, s[16:17]
	s_barrier
	s_and_saveexec_b64 s[16:17], s[56:57]
	s_cbranch_execz .LBB59_768
; %bb.767:
	v_mov_b32_e32 v23, 0
	ds_read_b64 v[23:24], v23 offset:23400
	s_waitcnt lgkmcnt(0)
	v_mul_f32_e32 v26, v21, v24
	v_mul_f32_e32 v25, v22, v24
	v_fma_f32 v24, v22, v23, -v26
	v_fmac_f32_e32 v25, v21, v23
	v_mov_b32_e32 v22, v24
	v_mov_b32_e32 v21, v25
	ds_write_b64 v8, v[24:25]
.LBB59_768:
	s_or_b64 exec, exec, s[16:17]
	s_waitcnt lgkmcnt(0)
	s_barrier
	s_and_saveexec_b64 s[16:17], s[58:59]
	s_cbranch_execz .LBB59_770
; %bb.769:
	ds_read_b64 v[23:24], v7 offset:23392
	ds_read_b64 v[25:26], v8
	s_waitcnt lgkmcnt(0)
	v_mul_f32_e32 v27, v26, v24
	v_mul_f32_e32 v24, v25, v24
	v_fma_f32 v25, v25, v23, -v27
	v_fmac_f32_e32 v24, v26, v23
	v_add_f32_e32 v22, v22, v25
	v_add_f32_e32 v21, v21, v24
.LBB59_770:
	s_or_b64 exec, exec, s[16:17]
	s_barrier
	s_and_saveexec_b64 s[16:17], s[60:61]
	s_cbranch_execz .LBB59_772
; %bb.771:
	v_mov_b32_e32 v23, 0
	ds_read_b64 v[23:24], v23 offset:23920
	s_waitcnt lgkmcnt(0)
	v_mul_f32_e32 v26, v21, v24
	v_mul_f32_e32 v25, v22, v24
	v_fma_f32 v24, v22, v23, -v26
	v_fmac_f32_e32 v25, v21, v23
	v_mov_b32_e32 v22, v24
	v_mov_b32_e32 v21, v25
	ds_write_b64 v8, v[24:25]
.LBB59_772:
	s_or_b64 exec, exec, s[16:17]
	s_waitcnt lgkmcnt(0)
	s_barrier
	s_and_saveexec_b64 s[16:17], s[44:45]
	s_cbranch_execz .LBB59_774
; %bb.773:
	v_mov_b32_e32 v23, 0
	ds_read_b64 v[23:24], v23 offset:23928
	ds_read_b64 v[25:26], v8
	s_waitcnt lgkmcnt(0)
	v_mul_f32_e32 v27, v26, v24
	v_mul_f32_e32 v24, v25, v24
	v_fma_f32 v25, v25, v23, -v27
	v_fmac_f32_e32 v24, v26, v23
	v_add_f32_e32 v22, v22, v25
	v_add_f32_e32 v21, v21, v24
.LBB59_774:
	s_or_b64 exec, exec, s[16:17]
	s_barrier
	s_and_saveexec_b64 s[16:17], s[44:45]
	s_cbranch_execz .LBB59_776
; %bb.775:
	v_mov_b32_e32 v23, 0
	ds_read_b64 v[23:24], v23 offset:24440
	s_waitcnt lgkmcnt(0)
	v_mul_f32_e32 v26, v21, v24
	v_mul_f32_e32 v25, v22, v24
	v_fma_f32 v24, v22, v23, -v26
	v_fmac_f32_e32 v25, v21, v23
	v_mov_b32_e32 v22, v24
	v_mov_b32_e32 v21, v25
	ds_write_b64 v8, v[24:25]
.LBB59_776:
	s_or_b64 exec, exec, s[16:17]
	s_waitcnt lgkmcnt(0)
	s_barrier
	s_barrier
	s_and_saveexec_b64 s[16:17], s[10:11]
; %bb.777:
	v_xor_b32_e32 v22, 0x80000000, v22
	v_xor_b32_e32 v23, 0x80000000, v21
	ds_write_b64 v6, v[22:23] offset:20832
; %bb.778:
	s_or_b64 exec, exec, s[16:17]
	s_waitcnt lgkmcnt(0)
	s_barrier
	s_barrier
	s_and_saveexec_b64 s[16:17], s[62:63]
	s_cbranch_execz .LBB59_780
; %bb.779:
	v_lshlrev_b32_e32 v23, 9, v0
	ds_read_b64 v[21:22], v23 offset:20832
	s_movk_i32 s18, 0xfe08
	v_mad_i32_i24 v24, v0, s18, v23
	s_waitcnt lgkmcnt(0)
	ds_write_b64 v24, v[21:22] offset:22848
	ds_read_b64 v[21:22], v23 offset:20840
	s_waitcnt lgkmcnt(0)
	ds_write_b64 v24, v[21:22] offset:23360
	ds_read_b64 v[21:22], v23 offset:20848
	;; [unrolled: 3-line block ×3, first 2 shown]
	s_waitcnt lgkmcnt(0)
	ds_write_b64 v24, v[21:22] offset:24384
.LBB59_780:
	s_or_b64 exec, exec, s[16:17]
	s_waitcnt lgkmcnt(0)
	s_barrier
	s_and_saveexec_b64 s[16:17], vcc
	s_cbranch_execz .LBB59_782
; %bb.781:
	v_mov_b32_e32 v25, 0
	ds_read_b128 v[21:24], v25 offset:22880
	ds_read_b64 v[25:26], v25 offset:23400
	s_movk_i32 s18, 0x5800
	s_waitcnt lgkmcnt(0)
	v_mul_f32_e32 v27, v26, v22
	v_mul_f32_e32 v28, v25, v22
	v_fma_f32 v25, v25, v21, -v27
	v_fmac_f32_e32 v28, v26, v21
	v_mul_f32_e32 v21, v28, v24
	v_mul_f32_e32 v22, v25, v24
	v_fma_f32 v21, v25, v23, -v21
	v_fmac_f32_e32 v22, v28, v23
	v_add_u32_e64 v23, s18, 0
	ds_write2_b64 v23, v[21:22], v[21:22] offset0:45 offset1:108
.LBB59_782:
	s_or_b64 exec, exec, s[16:17]
	v_mov_b32_e32 v21, 0
	v_mov_b32_e32 v22, 0
	s_waitcnt lgkmcnt(0)
	s_barrier
	s_and_saveexec_b64 s[18:19], s[22:23]
	s_cbranch_execz .LBB59_786
; %bb.783:
	v_mul_u32_u24_e32 v23, 0x208, v5
	ds_read_b64 v[21:22], v3 offset:22896
	ds_read_b64 v[23:24], v23 offset:22880
	v_cmp_gt_u32_e64 s[16:17], 2, v1
	s_waitcnt lgkmcnt(0)
	v_mul_f32_e32 v25, v24, v22
	v_mul_f32_e32 v22, v23, v22
	v_fma_f32 v23, v23, v21, -v25
	v_fmac_f32_e32 v22, v24, v21
	v_add_f32_e32 v21, 0, v23
	v_add_f32_e32 v23, 0, v22
	s_and_saveexec_b64 s[20:21], s[16:17]
	s_cbranch_execz .LBB59_785
; %bb.784:
	v_lshlrev_b32_e32 v22, 3, v0
	v_mov_b32_e32 v26, 0
	ds_read_b64 v[24:25], v22 offset:23408
	ds_read_b64 v[26:27], v26 offset:22888
	s_waitcnt lgkmcnt(0)
	v_mul_f32_e32 v22, v27, v25
	v_mul_f32_e32 v25, v26, v25
	v_fma_f32 v22, v26, v24, -v22
	v_fmac_f32_e32 v25, v27, v24
	v_add_f32_e32 v21, v21, v22
	v_add_f32_e32 v23, v23, v25
.LBB59_785:
	s_or_b64 exec, exec, s[20:21]
	v_xor_b32_e32 v22, 0x80000000, v21
	v_xor_b32_e32 v21, 0x80000000, v23
.LBB59_786:
	s_or_b64 exec, exec, s[18:19]
	s_and_saveexec_b64 s[16:17], s[38:39]
	s_cbranch_execz .LBB59_788
; %bb.787:
	v_mov_b32_e32 v23, 0
	ds_read_b64 v[23:24], v23 offset:23920
	s_waitcnt lgkmcnt(0)
	v_mul_f32_e32 v26, v21, v24
	v_mul_f32_e32 v25, v22, v24
	v_fma_f32 v24, v22, v23, -v26
	v_fmac_f32_e32 v25, v21, v23
	v_mov_b32_e32 v22, v24
	v_mov_b32_e32 v21, v25
	ds_write_b64 v4, v[24:25]
.LBB59_788:
	s_or_b64 exec, exec, s[16:17]
	s_waitcnt lgkmcnt(0)
	s_barrier
	s_and_saveexec_b64 s[16:17], s[36:37]
	s_cbranch_execz .LBB59_790
; %bb.789:
	v_mov_b32_e32 v23, 0
	ds_read_b64 v[23:24], v23 offset:23928
	ds_read_b64 v[25:26], v4
	s_waitcnt lgkmcnt(0)
	v_mul_f32_e32 v27, v26, v24
	v_mul_f32_e32 v24, v25, v24
	v_fma_f32 v25, v25, v23, -v27
	v_fmac_f32_e32 v24, v26, v23
	v_add_f32_e32 v22, v22, v25
	v_add_f32_e32 v21, v21, v24
.LBB59_790:
	s_or_b64 exec, exec, s[16:17]
	s_barrier
	s_and_saveexec_b64 s[16:17], s[36:37]
	s_cbranch_execz .LBB59_792
; %bb.791:
	v_mov_b32_e32 v23, 0
	ds_read_b64 v[23:24], v23 offset:24440
	s_waitcnt lgkmcnt(0)
	v_mul_f32_e32 v26, v21, v24
	v_mul_f32_e32 v25, v22, v24
	v_fma_f32 v24, v22, v23, -v26
	v_fmac_f32_e32 v25, v21, v23
	v_mov_b32_e32 v22, v24
	v_mov_b32_e32 v21, v25
	ds_write_b64 v4, v[24:25]
.LBB59_792:
	s_or_b64 exec, exec, s[16:17]
	s_waitcnt lgkmcnt(0)
	s_barrier
	s_barrier
	s_and_saveexec_b64 s[16:17], s[22:23]
; %bb.793:
	v_xor_b32_e32 v23, 0x80000000, v21
	v_xor_b32_e32 v22, 0x80000000, v22
	ds_write_b64 v3, v[22:23] offset:22896
; %bb.794:
	s_or_b64 exec, exec, s[16:17]
	s_waitcnt lgkmcnt(0)
	s_barrier
	s_barrier
	s_and_saveexec_b64 s[16:17], s[42:43]
	s_cbranch_execz .LBB59_796
; %bb.795:
	v_lshlrev_b32_e32 v23, 3, v0
	s_movk_i32 s18, 0x1f8
	v_mad_u32_u24 v24, v0, s18, v23
	ds_read_b64 v[21:22], v24 offset:22896
	s_waitcnt lgkmcnt(0)
	ds_write_b64 v23, v[21:22] offset:23904
	ds_read_b64 v[21:22], v24 offset:22904
	s_waitcnt lgkmcnt(0)
	ds_write_b64 v23, v[21:22] offset:24416
.LBB59_796:
	s_or_b64 exec, exec, s[16:17]
	s_waitcnt lgkmcnt(0)
	s_barrier
	s_and_saveexec_b64 s[16:17], vcc
	s_cbranch_execz .LBB59_798
; %bb.797:
	v_mov_b32_e32 v25, 0
	ds_read_b128 v[21:24], v25 offset:23920
	ds_read_b64 v[25:26], v25 offset:24440
	s_movk_i32 s18, 0x5800
	s_waitcnt lgkmcnt(0)
	v_mul_f32_e32 v27, v26, v22
	v_mul_f32_e32 v28, v25, v22
	v_fma_f32 v25, v25, v21, -v27
	v_fmac_f32_e32 v28, v26, v21
	v_mul_f32_e32 v21, v28, v24
	v_mul_f32_e32 v22, v25, v24
	v_fma_f32 v21, v25, v23, -v21
	v_fmac_f32_e32 v22, v28, v23
	v_add_u32_e64 v23, s18, 0
	ds_write2_b64 v23, v[21:22], v[21:22] offset0:175 offset1:238
.LBB59_798:
	s_or_b64 exec, exec, s[16:17]
	v_mov_b32_e32 v21, 0
	v_mov_b32_e32 v22, 0
	s_waitcnt lgkmcnt(0)
	s_barrier
	s_and_saveexec_b64 s[18:19], s[14:15]
	s_cbranch_execz .LBB59_826
; %bb.799:
	v_mul_u32_u24_e32 v22, 0x208, v20
	ds_read_b64 v[23:24], v16 offset:16768
	ds_read_b64 v[25:26], v22 offset:16640
	s_movk_i32 s16, 0xf0
	v_cmp_gt_u32_e64 s[16:17], s16, v1
	s_waitcnt lgkmcnt(0)
	v_mul_f32_e32 v21, v26, v24
	v_mul_f32_e32 v24, v25, v24
	v_fma_f32 v21, v25, v23, -v21
	v_fmac_f32_e32 v24, v26, v23
	v_add_f32_e32 v21, 0, v21
	v_add_f32_e32 v23, 0, v24
	s_and_saveexec_b64 s[20:21], s[16:17]
	s_cbranch_execz .LBB59_801
; %bb.800:
	v_lshlrev_b32_e32 v24, 3, v20
	v_sub_u32_e32 v24, v22, v24
	v_lshl_add_u32 v24, v17, 3, v24
	ds_read_b64 v[24:25], v24 offset:17280
	ds_read_b64 v[26:27], v22 offset:16648
	s_waitcnt lgkmcnt(0)
	v_mul_f32_e32 v28, v27, v25
	v_mul_f32_e32 v25, v26, v25
	v_fma_f32 v26, v26, v24, -v28
	v_fmac_f32_e32 v25, v27, v24
	v_add_f32_e32 v21, v21, v26
	v_add_f32_e32 v23, v23, v25
.LBB59_801:
	s_or_b64 exec, exec, s[20:21]
	s_movk_i32 s16, 0xe0
	v_cmp_gt_u32_e64 s[16:17], s16, v1
	s_and_saveexec_b64 s[20:21], s[16:17]
	s_cbranch_execz .LBB59_803
; %bb.802:
	v_lshlrev_b32_e32 v24, 3, v20
	v_sub_u32_e32 v24, v22, v24
	v_lshl_add_u32 v24, v17, 3, v24
	ds_read_b64 v[24:25], v24 offset:17792
	ds_read_b64 v[26:27], v22 offset:16656
	s_waitcnt lgkmcnt(0)
	v_mul_f32_e32 v28, v27, v25
	v_mul_f32_e32 v25, v26, v25
	v_fma_f32 v26, v26, v24, -v28
	v_fmac_f32_e32 v25, v27, v24
	v_add_f32_e32 v21, v21, v26
	v_add_f32_e32 v23, v23, v25
.LBB59_803:
	s_or_b64 exec, exec, s[20:21]
	s_movk_i32 s16, 0xd0
	v_cmp_gt_u32_e64 s[16:17], s16, v1
	;; [unrolled: 19-line block ×6, first 2 shown]
	s_and_saveexec_b64 s[20:21], s[16:17]
	s_cbranch_execz .LBB59_813
; %bb.812:
	v_lshlrev_b32_e32 v20, 3, v17
	v_lshl_add_u32 v20, v19, 3, v20
	ds_read_b64 v[24:25], v20 offset:20352
	ds_read_b64 v[26:27], v22 offset:16696
	s_waitcnt lgkmcnt(0)
	v_mul_f32_e32 v20, v27, v25
	v_mul_f32_e32 v25, v26, v25
	v_fma_f32 v20, v26, v24, -v20
	v_fmac_f32_e32 v25, v27, v24
	v_add_f32_e32 v21, v21, v20
	v_add_f32_e32 v23, v23, v25
.LBB59_813:
	s_or_b64 exec, exec, s[20:21]
	s_movk_i32 s16, 0x80
	v_cmp_gt_u32_e64 s[16:17], s16, v1
	s_and_saveexec_b64 s[20:21], s[16:17]
	s_cbranch_execz .LBB59_815
; %bb.814:
	ds_read_b64 v[24:25], v16 offset:20864
	ds_read_b64 v[26:27], v22 offset:16704
	s_waitcnt lgkmcnt(0)
	v_mul_f32_e32 v20, v27, v25
	v_mul_f32_e32 v25, v26, v25
	v_fma_f32 v20, v26, v24, -v20
	v_fmac_f32_e32 v25, v27, v24
	v_add_f32_e32 v21, v21, v20
	v_add_f32_e32 v23, v23, v25
.LBB59_815:
	s_or_b64 exec, exec, s[20:21]
	s_movk_i32 s16, 0x70
	v_cmp_gt_u32_e64 s[16:17], s16, v1
	s_and_saveexec_b64 s[20:21], s[16:17]
	s_cbranch_execz .LBB59_817
; %bb.816:
	v_lshlrev_b32_e32 v20, 3, v17
	v_lshl_add_u32 v20, v19, 3, v20
	ds_read_b64 v[24:25], v20 offset:21376
	ds_read_b64 v[26:27], v22 offset:16712
	s_waitcnt lgkmcnt(0)
	v_mul_f32_e32 v20, v27, v25
	v_mul_f32_e32 v25, v26, v25
	v_fma_f32 v20, v26, v24, -v20
	v_fmac_f32_e32 v25, v27, v24
	v_add_f32_e32 v21, v21, v20
	v_add_f32_e32 v23, v23, v25
.LBB59_817:
	s_or_b64 exec, exec, s[20:21]
	s_movk_i32 s16, 0x60
	v_cmp_gt_u32_e64 s[16:17], s16, v1
	s_and_saveexec_b64 s[20:21], s[16:17]
	s_cbranch_execz .LBB59_819
; %bb.818:
	v_lshlrev_b32_e32 v20, 3, v17
	v_lshl_add_u32 v20, v19, 3, v20
	ds_read_b64 v[24:25], v20 offset:21888
	ds_read_b64 v[26:27], v22 offset:16720
	s_waitcnt lgkmcnt(0)
	v_mul_f32_e32 v20, v27, v25
	v_mul_f32_e32 v25, v26, v25
	v_fma_f32 v20, v26, v24, -v20
	v_fmac_f32_e32 v25, v27, v24
	v_add_f32_e32 v21, v21, v20
	v_add_f32_e32 v23, v23, v25
.LBB59_819:
	s_or_b64 exec, exec, s[20:21]
	s_movk_i32 s16, 0x50
	v_cmp_gt_u32_e64 s[16:17], s16, v1
	s_and_saveexec_b64 s[20:21], s[16:17]
	s_cbranch_execnz .LBB59_1152
; %bb.820:
	s_or_b64 exec, exec, s[20:21]
	v_cmp_gt_u32_e64 s[16:17], 64, v1
	s_and_saveexec_b64 s[20:21], s[16:17]
	s_cbranch_execnz .LBB59_1153
.LBB59_821:
	s_or_b64 exec, exec, s[20:21]
	v_cmp_gt_u32_e64 s[16:17], 48, v1
	s_and_saveexec_b64 s[20:21], s[16:17]
	s_cbranch_execnz .LBB59_1154
.LBB59_822:
	s_or_b64 exec, exec, s[20:21]
	v_cmp_gt_u32_e64 s[16:17], 32, v1
	s_and_saveexec_b64 s[20:21], s[16:17]
	s_cbranch_execnz .LBB59_1155
.LBB59_823:
	s_or_b64 exec, exec, s[20:21]
	v_cmp_gt_u32_e64 s[16:17], 16, v1
	s_and_saveexec_b64 s[20:21], s[16:17]
	s_cbranch_execz .LBB59_825
.LBB59_824:
	v_lshlrev_b32_e32 v19, 3, v0
	v_mov_b32_e32 v22, 0
	ds_read_b64 v[19:20], v19 offset:24448
	ds_read_b64 v[24:25], v22 offset:16760
	s_waitcnt lgkmcnt(0)
	v_mul_f32_e32 v22, v25, v20
	v_mul_f32_e32 v20, v24, v20
	v_fma_f32 v22, v24, v19, -v22
	v_fmac_f32_e32 v20, v25, v19
	v_add_f32_e32 v21, v21, v22
	v_add_f32_e32 v23, v23, v20
.LBB59_825:
	s_or_b64 exec, exec, s[20:21]
	v_xor_b32_e32 v22, 0x80000000, v21
	v_xor_b32_e32 v21, 0x80000000, v23
.LBB59_826:
	s_or_b64 exec, exec, s[18:19]
	s_mov_b64 s[16:17], exec
	v_readlane_b32 s18, v35, 5
	v_readlane_b32 s19, v35, 6
	s_and_b64 s[18:19], s[16:17], s[18:19]
	s_mov_b64 exec, s[18:19]
	s_cbranch_execz .LBB59_828
; %bb.827:
	v_mov_b32_e32 v19, 0
	ds_read_b64 v[19:20], v19 offset:24960
	s_waitcnt lgkmcnt(0)
	v_mul_f32_e32 v23, v22, v20
	v_mul_f32_e32 v24, v21, v20
	v_fmac_f32_e32 v23, v21, v19
	v_fma_f32 v22, v22, v19, -v24
	v_mov_b32_e32 v21, v23
	ds_write_b64 v18, v[22:23]
.LBB59_828:
	s_or_b64 exec, exec, s[16:17]
	s_waitcnt lgkmcnt(0)
	s_barrier
	s_mov_b64 s[16:17], exec
	v_readlane_b32 s18, v35, 7
	v_readlane_b32 s19, v35, 8
	s_and_b64 s[18:19], s[16:17], s[18:19]
	s_mov_b64 exec, s[18:19]
	s_cbranch_execz .LBB59_830
; %bb.829:
	v_lshlrev_b32_e32 v19, 3, v17
	ds_read_b64 v[19:20], v19 offset:24960
	ds_read_b64 v[23:24], v18
	s_waitcnt lgkmcnt(0)
	v_mul_f32_e32 v25, v24, v20
	v_mul_f32_e32 v20, v23, v20
	v_fma_f32 v23, v23, v19, -v25
	v_fmac_f32_e32 v20, v24, v19
	v_add_f32_e32 v22, v22, v23
	v_add_f32_e32 v21, v21, v20
.LBB59_830:
	s_or_b64 exec, exec, s[16:17]
	s_barrier
	s_mov_b64 s[16:17], exec
	v_readlane_b32 s18, v35, 9
	v_readlane_b32 s19, v35, 10
	s_and_b64 s[18:19], s[16:17], s[18:19]
	s_mov_b64 exec, s[18:19]
	s_cbranch_execz .LBB59_832
; %bb.831:
	v_mov_b32_e32 v19, 0
	ds_read_b64 v[19:20], v19 offset:25480
	s_waitcnt lgkmcnt(0)
	v_mul_f32_e32 v23, v22, v20
	v_mul_f32_e32 v24, v21, v20
	v_fmac_f32_e32 v23, v21, v19
	v_fma_f32 v22, v22, v19, -v24
	v_mov_b32_e32 v21, v23
	ds_write_b64 v18, v[22:23]
.LBB59_832:
	s_or_b64 exec, exec, s[16:17]
	s_waitcnt lgkmcnt(0)
	s_barrier
	s_mov_b64 s[16:17], exec
	v_readlane_b32 s18, v35, 11
	v_readlane_b32 s19, v35, 12
	s_and_b64 s[18:19], s[16:17], s[18:19]
	s_mov_b64 exec, s[18:19]
	s_cbranch_execz .LBB59_834
; %bb.833:
	v_lshlrev_b32_e32 v19, 3, v17
	ds_read_b64 v[19:20], v19 offset:25472
	ds_read_b64 v[23:24], v18
	s_waitcnt lgkmcnt(0)
	v_mul_f32_e32 v25, v24, v20
	v_mul_f32_e32 v20, v23, v20
	v_fma_f32 v23, v23, v19, -v25
	v_fmac_f32_e32 v20, v24, v19
	v_add_f32_e32 v22, v22, v23
	v_add_f32_e32 v21, v21, v20
.LBB59_834:
	s_or_b64 exec, exec, s[16:17]
	s_barrier
	;; [unrolled: 40-line block ×14, first 2 shown]
	s_mov_b64 s[16:17], exec
	v_readlane_b32 s18, v35, 61
	v_readlane_b32 s19, v35, 62
	s_and_b64 s[18:19], s[16:17], s[18:19]
	s_mov_b64 exec, s[18:19]
	s_cbranch_execz .LBB59_884
; %bb.883:
	v_mov_b32_e32 v17, 0
	ds_read_b64 v[19:20], v17 offset:32240
	s_waitcnt lgkmcnt(0)
	v_mul_f32_e32 v23, v22, v20
	v_mul_f32_e32 v17, v21, v20
	v_fmac_f32_e32 v23, v21, v19
	v_fma_f32 v22, v22, v19, -v17
	v_mov_b32_e32 v21, v23
	ds_write_b64 v18, v[22:23]
.LBB59_884:
	s_or_b64 exec, exec, s[16:17]
	s_waitcnt lgkmcnt(0)
	s_barrier
	s_and_saveexec_b64 s[16:17], s[6:7]
	s_cbranch_execz .LBB59_886
; %bb.885:
	v_mov_b32_e32 v17, 0
	ds_read_b64 v[19:20], v17 offset:32248
	ds_read_b64 v[23:24], v18
	s_waitcnt lgkmcnt(0)
	v_mul_f32_e32 v17, v24, v20
	v_mul_f32_e32 v20, v23, v20
	v_fma_f32 v17, v23, v19, -v17
	v_fmac_f32_e32 v20, v24, v19
	v_add_f32_e32 v22, v22, v17
	v_add_f32_e32 v21, v21, v20
.LBB59_886:
	s_or_b64 exec, exec, s[16:17]
	s_barrier
	s_and_saveexec_b64 s[16:17], s[6:7]
	s_cbranch_execz .LBB59_888
; %bb.887:
	v_mov_b32_e32 v17, 0
	ds_read_b64 v[19:20], v17 offset:32760
	s_waitcnt lgkmcnt(0)
	v_mul_f32_e32 v23, v22, v20
	v_mul_f32_e32 v17, v21, v20
	v_fmac_f32_e32 v23, v21, v19
	v_fma_f32 v22, v22, v19, -v17
	v_mov_b32_e32 v21, v23
	ds_write_b64 v18, v[22:23]
.LBB59_888:
	s_or_b64 exec, exec, s[16:17]
	s_waitcnt lgkmcnt(0)
	s_barrier
	s_barrier
	s_and_saveexec_b64 s[6:7], s[14:15]
; %bb.889:
	v_xor_b32_e32 v17, 0x80000000, v22
	v_xor_b32_e32 v18, 0x80000000, v21
	ds_write_b64 v16, v[17:18] offset:16768
; %bb.890:
	s_or_b64 exec, exec, s[6:7]
	s_waitcnt lgkmcnt(0)
	s_barrier
	s_barrier
	s_mov_b64 s[6:7], exec
	v_readlane_b32 s14, v35, 63
	v_readlane_b32 s15, v34, 0
	s_and_b64 s[14:15], s[6:7], s[14:15]
	s_mov_b64 exec, s[14:15]
	s_cbranch_execz .LBB59_892
; %bb.891:
	v_lshlrev_b32_e32 v18, 9, v0
	ds_read_b64 v[16:17], v18 offset:16768
	s_movk_i32 s14, 0xfe08
	v_mad_i32_i24 v19, v0, s14, v18
	s_waitcnt lgkmcnt(0)
	ds_write_b64 v19, v[16:17] offset:24832
	ds_read_b64 v[16:17], v18 offset:16776
	s_waitcnt lgkmcnt(0)
	ds_write_b64 v19, v[16:17] offset:25344
	ds_read_b64 v[16:17], v18 offset:16784
	;; [unrolled: 3-line block ×15, first 2 shown]
	s_waitcnt lgkmcnt(0)
	ds_write_b64 v19, v[16:17] offset:32512
.LBB59_892:
	s_or_b64 exec, exec, s[6:7]
	s_waitcnt lgkmcnt(0)
	s_barrier
	s_and_saveexec_b64 s[6:7], vcc
	s_cbranch_execz .LBB59_894
; %bb.893:
	v_mov_b32_e32 v20, 0
	ds_read_b128 v[16:19], v20 offset:24960
	ds_read_b64 v[20:21], v20 offset:25480
	s_movk_i32 s14, 0x6000
	s_waitcnt lgkmcnt(0)
	v_mul_f32_e32 v22, v21, v17
	v_mul_f32_e32 v23, v20, v17
	v_fma_f32 v20, v20, v16, -v22
	v_fmac_f32_e32 v23, v21, v16
	v_mul_f32_e32 v16, v23, v19
	v_mul_f32_e32 v17, v20, v19
	v_fma_f32 v16, v20, v18, -v16
	v_fmac_f32_e32 v17, v23, v18
	v_add_u32_e64 v18, s14, 0
	ds_write2_b64 v18, v[16:17], v[16:17] offset0:49 offset1:112
.LBB59_894:
	s_or_b64 exec, exec, s[6:7]
	v_mov_b32_e32 v16, 0
	v_mov_b32_e32 v17, 0
	s_waitcnt lgkmcnt(0)
	s_barrier
	s_and_saveexec_b64 s[6:7], s[22:23]
	s_cbranch_execz .LBB59_898
; %bb.895:
	v_mul_u32_u24_e32 v18, 0x208, v5
	ds_read_b64 v[16:17], v3 offset:24976
	ds_read_b64 v[18:19], v18 offset:24960
	v_cmp_gt_u32_e64 s[14:15], 2, v1
	s_waitcnt lgkmcnt(0)
	v_mul_f32_e32 v20, v19, v17
	v_mul_f32_e32 v17, v18, v17
	v_fma_f32 v18, v18, v16, -v20
	v_fmac_f32_e32 v17, v19, v16
	v_add_f32_e32 v16, 0, v18
	v_add_f32_e32 v18, 0, v17
	s_and_saveexec_b64 s[16:17], s[14:15]
	s_cbranch_execz .LBB59_897
; %bb.896:
	v_lshlrev_b32_e32 v17, 3, v0
	v_mov_b32_e32 v21, 0
	ds_read_b64 v[19:20], v17 offset:25488
	ds_read_b64 v[21:22], v21 offset:24968
	s_waitcnt lgkmcnt(0)
	v_mul_f32_e32 v17, v22, v20
	v_mul_f32_e32 v20, v21, v20
	v_fma_f32 v17, v21, v19, -v17
	v_fmac_f32_e32 v20, v22, v19
	v_add_f32_e32 v16, v16, v17
	v_add_f32_e32 v18, v18, v20
.LBB59_897:
	s_or_b64 exec, exec, s[16:17]
	v_xor_b32_e32 v17, 0x80000000, v16
	v_xor_b32_e32 v16, 0x80000000, v18
.LBB59_898:
	s_or_b64 exec, exec, s[6:7]
	s_and_saveexec_b64 s[6:7], s[38:39]
	s_cbranch_execz .LBB59_900
; %bb.899:
	v_mov_b32_e32 v18, 0
	ds_read_b64 v[18:19], v18 offset:26000
	s_waitcnt lgkmcnt(0)
	v_mul_f32_e32 v21, v16, v19
	v_mul_f32_e32 v20, v17, v19
	v_fma_f32 v19, v17, v18, -v21
	v_fmac_f32_e32 v20, v16, v18
	v_mov_b32_e32 v17, v19
	v_mov_b32_e32 v16, v20
	ds_write_b64 v4, v[19:20]
.LBB59_900:
	s_or_b64 exec, exec, s[6:7]
	s_waitcnt lgkmcnt(0)
	s_barrier
	s_and_saveexec_b64 s[6:7], s[36:37]
	s_cbranch_execz .LBB59_902
; %bb.901:
	v_mov_b32_e32 v18, 0
	ds_read_b64 v[18:19], v18 offset:26008
	ds_read_b64 v[20:21], v4
	s_waitcnt lgkmcnt(0)
	v_mul_f32_e32 v22, v21, v19
	v_mul_f32_e32 v19, v20, v19
	v_fma_f32 v20, v20, v18, -v22
	v_fmac_f32_e32 v19, v21, v18
	v_add_f32_e32 v17, v17, v20
	v_add_f32_e32 v16, v16, v19
.LBB59_902:
	s_or_b64 exec, exec, s[6:7]
	s_barrier
	s_and_saveexec_b64 s[6:7], s[36:37]
	s_cbranch_execz .LBB59_904
; %bb.903:
	v_mov_b32_e32 v18, 0
	ds_read_b64 v[18:19], v18 offset:26520
	s_waitcnt lgkmcnt(0)
	v_mul_f32_e32 v21, v16, v19
	v_mul_f32_e32 v20, v17, v19
	v_fma_f32 v19, v17, v18, -v21
	v_fmac_f32_e32 v20, v16, v18
	v_mov_b32_e32 v17, v19
	v_mov_b32_e32 v16, v20
	ds_write_b64 v4, v[19:20]
.LBB59_904:
	s_or_b64 exec, exec, s[6:7]
	s_waitcnt lgkmcnt(0)
	s_barrier
	s_barrier
	s_and_saveexec_b64 s[6:7], s[22:23]
; %bb.905:
	v_xor_b32_e32 v18, 0x80000000, v16
	v_xor_b32_e32 v17, 0x80000000, v17
	ds_write_b64 v3, v[17:18] offset:24976
; %bb.906:
	s_or_b64 exec, exec, s[6:7]
	s_waitcnt lgkmcnt(0)
	s_barrier
	s_barrier
	s_and_saveexec_b64 s[6:7], s[42:43]
	s_cbranch_execz .LBB59_908
; %bb.907:
	v_lshlrev_b32_e32 v18, 3, v0
	s_movk_i32 s14, 0x1f8
	v_mad_u32_u24 v19, v0, s14, v18
	ds_read_b64 v[16:17], v19 offset:24976
	s_waitcnt lgkmcnt(0)
	ds_write_b64 v18, v[16:17] offset:25984
	ds_read_b64 v[16:17], v19 offset:24984
	s_waitcnt lgkmcnt(0)
	ds_write_b64 v18, v[16:17] offset:26496
.LBB59_908:
	s_or_b64 exec, exec, s[6:7]
	s_waitcnt lgkmcnt(0)
	s_barrier
	s_and_saveexec_b64 s[6:7], vcc
	s_cbranch_execz .LBB59_910
; %bb.909:
	v_mov_b32_e32 v20, 0
	ds_read_b128 v[16:19], v20 offset:26000
	ds_read_b64 v[20:21], v20 offset:26520
	s_movk_i32 s14, 0x6000
	s_waitcnt lgkmcnt(0)
	v_mul_f32_e32 v22, v21, v17
	v_mul_f32_e32 v23, v20, v17
	v_fma_f32 v20, v20, v16, -v22
	v_fmac_f32_e32 v23, v21, v16
	v_mul_f32_e32 v16, v23, v19
	v_mul_f32_e32 v17, v20, v19
	v_fma_f32 v16, v20, v18, -v16
	v_fmac_f32_e32 v17, v23, v18
	v_add_u32_e64 v18, s14, 0
	ds_write2_b64 v18, v[16:17], v[16:17] offset0:179 offset1:242
.LBB59_910:
	s_or_b64 exec, exec, s[6:7]
	v_mov_b32_e32 v16, 0
	v_mov_b32_e32 v17, 0
	s_waitcnt lgkmcnt(0)
	s_barrier
	s_and_saveexec_b64 s[6:7], s[10:11]
	s_cbranch_execz .LBB59_916
; %bb.911:
	v_mul_u32_u24_e32 v17, 0x208, v10
	ds_read_b64 v[18:19], v6 offset:24992
	ds_read_b64 v[20:21], v17 offset:24960
	v_cmp_gt_u32_e64 s[14:15], 12, v1
	s_waitcnt lgkmcnt(0)
	v_mul_f32_e32 v16, v21, v19
	v_mul_f32_e32 v19, v20, v19
	v_fma_f32 v16, v20, v18, -v16
	v_fmac_f32_e32 v19, v21, v18
	v_add_f32_e32 v16, 0, v16
	v_add_f32_e32 v18, 0, v19
	s_and_saveexec_b64 s[16:17], s[14:15]
	s_cbranch_execnz .LBB59_1156
; %bb.912:
	s_or_b64 exec, exec, s[16:17]
	v_cmp_gt_u32_e64 s[14:15], 8, v1
	s_and_saveexec_b64 s[16:17], s[14:15]
	s_cbranch_execnz .LBB59_1157
.LBB59_913:
	s_or_b64 exec, exec, s[16:17]
	v_cmp_gt_u32_e64 s[14:15], 4, v1
	s_and_saveexec_b64 s[16:17], s[14:15]
	s_cbranch_execz .LBB59_915
.LBB59_914:
	v_lshlrev_b32_e32 v17, 3, v0
	v_mov_b32_e32 v21, 0
	ds_read_b64 v[19:20], v17 offset:26528
	ds_read_b64 v[21:22], v21 offset:24984
	s_waitcnt lgkmcnt(0)
	v_mul_f32_e32 v17, v22, v20
	v_mul_f32_e32 v20, v21, v20
	v_fma_f32 v17, v21, v19, -v17
	v_fmac_f32_e32 v20, v22, v19
	v_add_f32_e32 v16, v16, v17
	v_add_f32_e32 v18, v18, v20
.LBB59_915:
	s_or_b64 exec, exec, s[16:17]
	v_xor_b32_e32 v17, 0x80000000, v16
	v_xor_b32_e32 v16, 0x80000000, v18
.LBB59_916:
	s_or_b64 exec, exec, s[6:7]
	s_and_saveexec_b64 s[6:7], s[52:53]
	s_cbranch_execz .LBB59_918
; %bb.917:
	v_mov_b32_e32 v18, 0
	ds_read_b64 v[18:19], v18 offset:27040
	s_waitcnt lgkmcnt(0)
	v_mul_f32_e32 v21, v16, v19
	v_mul_f32_e32 v20, v17, v19
	v_fma_f32 v19, v17, v18, -v21
	v_fmac_f32_e32 v20, v16, v18
	v_mov_b32_e32 v17, v19
	v_mov_b32_e32 v16, v20
	ds_write_b64 v8, v[19:20]
.LBB59_918:
	s_or_b64 exec, exec, s[6:7]
	s_waitcnt lgkmcnt(0)
	s_barrier
	s_and_saveexec_b64 s[6:7], s[54:55]
	s_cbranch_execz .LBB59_920
; %bb.919:
	ds_read_b64 v[18:19], v7 offset:27040
	ds_read_b64 v[20:21], v8
	s_waitcnt lgkmcnt(0)
	v_mul_f32_e32 v22, v21, v19
	v_mul_f32_e32 v19, v20, v19
	v_fma_f32 v20, v20, v18, -v22
	v_fmac_f32_e32 v19, v21, v18
	v_add_f32_e32 v17, v17, v20
	v_add_f32_e32 v16, v16, v19
.LBB59_920:
	s_or_b64 exec, exec, s[6:7]
	s_barrier
	s_and_saveexec_b64 s[6:7], s[56:57]
	s_cbranch_execz .LBB59_922
; %bb.921:
	v_mov_b32_e32 v18, 0
	ds_read_b64 v[18:19], v18 offset:27560
	s_waitcnt lgkmcnt(0)
	v_mul_f32_e32 v21, v16, v19
	v_mul_f32_e32 v20, v17, v19
	v_fma_f32 v19, v17, v18, -v21
	v_fmac_f32_e32 v20, v16, v18
	v_mov_b32_e32 v17, v19
	v_mov_b32_e32 v16, v20
	ds_write_b64 v8, v[19:20]
.LBB59_922:
	s_or_b64 exec, exec, s[6:7]
	s_waitcnt lgkmcnt(0)
	s_barrier
	s_and_saveexec_b64 s[6:7], s[58:59]
	s_cbranch_execz .LBB59_924
; %bb.923:
	ds_read_b64 v[18:19], v7 offset:27552
	ds_read_b64 v[20:21], v8
	s_waitcnt lgkmcnt(0)
	v_mul_f32_e32 v22, v21, v19
	v_mul_f32_e32 v19, v20, v19
	v_fma_f32 v20, v20, v18, -v22
	v_fmac_f32_e32 v19, v21, v18
	v_add_f32_e32 v17, v17, v20
	v_add_f32_e32 v16, v16, v19
.LBB59_924:
	s_or_b64 exec, exec, s[6:7]
	s_barrier
	s_and_saveexec_b64 s[6:7], s[60:61]
	s_cbranch_execz .LBB59_926
; %bb.925:
	v_mov_b32_e32 v18, 0
	ds_read_b64 v[18:19], v18 offset:28080
	s_waitcnt lgkmcnt(0)
	v_mul_f32_e32 v21, v16, v19
	v_mul_f32_e32 v20, v17, v19
	v_fma_f32 v19, v17, v18, -v21
	v_fmac_f32_e32 v20, v16, v18
	v_mov_b32_e32 v17, v19
	v_mov_b32_e32 v16, v20
	ds_write_b64 v8, v[19:20]
.LBB59_926:
	s_or_b64 exec, exec, s[6:7]
	s_waitcnt lgkmcnt(0)
	s_barrier
	s_and_saveexec_b64 s[6:7], s[44:45]
	s_cbranch_execz .LBB59_928
; %bb.927:
	v_mov_b32_e32 v18, 0
	ds_read_b64 v[18:19], v18 offset:28088
	ds_read_b64 v[20:21], v8
	s_waitcnt lgkmcnt(0)
	v_mul_f32_e32 v22, v21, v19
	v_mul_f32_e32 v19, v20, v19
	v_fma_f32 v20, v20, v18, -v22
	v_fmac_f32_e32 v19, v21, v18
	v_add_f32_e32 v17, v17, v20
	v_add_f32_e32 v16, v16, v19
.LBB59_928:
	s_or_b64 exec, exec, s[6:7]
	s_barrier
	s_and_saveexec_b64 s[6:7], s[44:45]
	s_cbranch_execz .LBB59_930
; %bb.929:
	v_mov_b32_e32 v18, 0
	ds_read_b64 v[18:19], v18 offset:28600
	s_waitcnt lgkmcnt(0)
	v_mul_f32_e32 v21, v16, v19
	v_mul_f32_e32 v20, v17, v19
	v_fma_f32 v19, v17, v18, -v21
	v_fmac_f32_e32 v20, v16, v18
	v_mov_b32_e32 v17, v19
	v_mov_b32_e32 v16, v20
	ds_write_b64 v8, v[19:20]
.LBB59_930:
	s_or_b64 exec, exec, s[6:7]
	s_waitcnt lgkmcnt(0)
	s_barrier
	s_barrier
	s_and_saveexec_b64 s[6:7], s[10:11]
; %bb.931:
	v_xor_b32_e32 v17, 0x80000000, v17
	v_xor_b32_e32 v18, 0x80000000, v16
	ds_write_b64 v6, v[17:18] offset:24992
; %bb.932:
	s_or_b64 exec, exec, s[6:7]
	s_waitcnt lgkmcnt(0)
	s_barrier
	s_barrier
	s_and_saveexec_b64 s[6:7], s[62:63]
	s_cbranch_execz .LBB59_934
; %bb.933:
	v_lshlrev_b32_e32 v18, 9, v0
	ds_read_b64 v[16:17], v18 offset:24992
	s_movk_i32 s14, 0xfe08
	v_mad_i32_i24 v19, v0, s14, v18
	s_waitcnt lgkmcnt(0)
	ds_write_b64 v19, v[16:17] offset:27008
	ds_read_b64 v[16:17], v18 offset:25000
	s_waitcnt lgkmcnt(0)
	ds_write_b64 v19, v[16:17] offset:27520
	ds_read_b64 v[16:17], v18 offset:25008
	;; [unrolled: 3-line block ×3, first 2 shown]
	s_waitcnt lgkmcnt(0)
	ds_write_b64 v19, v[16:17] offset:28544
.LBB59_934:
	s_or_b64 exec, exec, s[6:7]
	s_waitcnt lgkmcnt(0)
	s_barrier
	s_and_saveexec_b64 s[6:7], vcc
	s_cbranch_execz .LBB59_936
; %bb.935:
	v_mov_b32_e32 v20, 0
	ds_read_b128 v[16:19], v20 offset:27040
	ds_read_b64 v[20:21], v20 offset:27560
	s_movk_i32 s14, 0x6800
	s_waitcnt lgkmcnt(0)
	v_mul_f32_e32 v22, v21, v17
	v_mul_f32_e32 v23, v20, v17
	v_fma_f32 v20, v20, v16, -v22
	v_fmac_f32_e32 v23, v21, v16
	v_mul_f32_e32 v16, v23, v19
	v_mul_f32_e32 v17, v20, v19
	v_fma_f32 v16, v20, v18, -v16
	v_fmac_f32_e32 v17, v23, v18
	v_add_u32_e64 v18, s14, 0
	ds_write2_b64 v18, v[16:17], v[16:17] offset0:53 offset1:116
.LBB59_936:
	s_or_b64 exec, exec, s[6:7]
	v_mov_b32_e32 v16, 0
	v_mov_b32_e32 v17, 0
	s_waitcnt lgkmcnt(0)
	s_barrier
	s_and_saveexec_b64 s[6:7], s[22:23]
	s_cbranch_execz .LBB59_940
; %bb.937:
	v_mul_u32_u24_e32 v18, 0x208, v5
	ds_read_b64 v[16:17], v3 offset:27056
	ds_read_b64 v[18:19], v18 offset:27040
	v_cmp_gt_u32_e64 s[14:15], 2, v1
	s_waitcnt lgkmcnt(0)
	v_mul_f32_e32 v20, v19, v17
	v_mul_f32_e32 v17, v18, v17
	v_fma_f32 v18, v18, v16, -v20
	v_fmac_f32_e32 v17, v19, v16
	v_add_f32_e32 v16, 0, v18
	v_add_f32_e32 v18, 0, v17
	s_and_saveexec_b64 s[16:17], s[14:15]
	s_cbranch_execz .LBB59_939
; %bb.938:
	v_lshlrev_b32_e32 v17, 3, v0
	v_mov_b32_e32 v21, 0
	ds_read_b64 v[19:20], v17 offset:27568
	ds_read_b64 v[21:22], v21 offset:27048
	s_waitcnt lgkmcnt(0)
	v_mul_f32_e32 v17, v22, v20
	v_mul_f32_e32 v20, v21, v20
	v_fma_f32 v17, v21, v19, -v17
	v_fmac_f32_e32 v20, v22, v19
	v_add_f32_e32 v16, v16, v17
	v_add_f32_e32 v18, v18, v20
.LBB59_939:
	s_or_b64 exec, exec, s[16:17]
	v_xor_b32_e32 v17, 0x80000000, v16
	v_xor_b32_e32 v16, 0x80000000, v18
.LBB59_940:
	s_or_b64 exec, exec, s[6:7]
	s_and_saveexec_b64 s[6:7], s[38:39]
	s_cbranch_execz .LBB59_942
; %bb.941:
	v_mov_b32_e32 v18, 0
	ds_read_b64 v[18:19], v18 offset:28080
	s_waitcnt lgkmcnt(0)
	v_mul_f32_e32 v21, v16, v19
	v_mul_f32_e32 v20, v17, v19
	v_fma_f32 v19, v17, v18, -v21
	v_fmac_f32_e32 v20, v16, v18
	v_mov_b32_e32 v17, v19
	v_mov_b32_e32 v16, v20
	ds_write_b64 v4, v[19:20]
.LBB59_942:
	s_or_b64 exec, exec, s[6:7]
	s_waitcnt lgkmcnt(0)
	s_barrier
	s_and_saveexec_b64 s[6:7], s[36:37]
	s_cbranch_execz .LBB59_944
; %bb.943:
	v_mov_b32_e32 v18, 0
	ds_read_b64 v[18:19], v18 offset:28088
	ds_read_b64 v[20:21], v4
	s_waitcnt lgkmcnt(0)
	v_mul_f32_e32 v22, v21, v19
	v_mul_f32_e32 v19, v20, v19
	v_fma_f32 v20, v20, v18, -v22
	v_fmac_f32_e32 v19, v21, v18
	v_add_f32_e32 v17, v17, v20
	v_add_f32_e32 v16, v16, v19
.LBB59_944:
	s_or_b64 exec, exec, s[6:7]
	s_barrier
	s_and_saveexec_b64 s[6:7], s[36:37]
	s_cbranch_execz .LBB59_946
; %bb.945:
	v_mov_b32_e32 v18, 0
	ds_read_b64 v[18:19], v18 offset:28600
	s_waitcnt lgkmcnt(0)
	v_mul_f32_e32 v21, v16, v19
	v_mul_f32_e32 v20, v17, v19
	v_fma_f32 v19, v17, v18, -v21
	v_fmac_f32_e32 v20, v16, v18
	v_mov_b32_e32 v17, v19
	v_mov_b32_e32 v16, v20
	ds_write_b64 v4, v[19:20]
.LBB59_946:
	s_or_b64 exec, exec, s[6:7]
	s_waitcnt lgkmcnt(0)
	s_barrier
	s_barrier
	s_and_saveexec_b64 s[6:7], s[22:23]
; %bb.947:
	v_xor_b32_e32 v18, 0x80000000, v16
	v_xor_b32_e32 v17, 0x80000000, v17
	ds_write_b64 v3, v[17:18] offset:27056
; %bb.948:
	s_or_b64 exec, exec, s[6:7]
	s_waitcnt lgkmcnt(0)
	s_barrier
	s_barrier
	s_and_saveexec_b64 s[6:7], s[42:43]
	s_cbranch_execz .LBB59_950
; %bb.949:
	v_lshlrev_b32_e32 v18, 3, v0
	s_movk_i32 s14, 0x1f8
	v_mad_u32_u24 v19, v0, s14, v18
	ds_read_b64 v[16:17], v19 offset:27056
	s_waitcnt lgkmcnt(0)
	ds_write_b64 v18, v[16:17] offset:28064
	ds_read_b64 v[16:17], v19 offset:27064
	s_waitcnt lgkmcnt(0)
	ds_write_b64 v18, v[16:17] offset:28576
.LBB59_950:
	s_or_b64 exec, exec, s[6:7]
	s_waitcnt lgkmcnt(0)
	s_barrier
	s_and_saveexec_b64 s[6:7], vcc
	s_cbranch_execz .LBB59_952
; %bb.951:
	v_mov_b32_e32 v20, 0
	ds_read_b128 v[16:19], v20 offset:28080
	ds_read_b64 v[20:21], v20 offset:28600
	s_movk_i32 s14, 0x6800
	s_waitcnt lgkmcnt(0)
	v_mul_f32_e32 v22, v21, v17
	v_mul_f32_e32 v23, v20, v17
	v_fma_f32 v20, v20, v16, -v22
	v_fmac_f32_e32 v23, v21, v16
	v_mul_f32_e32 v16, v23, v19
	v_mul_f32_e32 v17, v20, v19
	v_fma_f32 v16, v20, v18, -v16
	v_fmac_f32_e32 v17, v23, v18
	v_add_u32_e64 v18, s14, 0
	ds_write2_b64 v18, v[16:17], v[16:17] offset0:183 offset1:246
.LBB59_952:
	s_or_b64 exec, exec, s[6:7]
	v_mov_b32_e32 v16, 0
	v_mov_b32_e32 v17, 0
	s_waitcnt lgkmcnt(0)
	s_barrier
	s_and_saveexec_b64 s[6:7], s[12:13]
	s_cbranch_execz .LBB59_962
; %bb.953:
	v_mul_u32_u24_e32 v17, 0x208, v15
	ds_read_b64 v[18:19], v11 offset:25024
	ds_read_b64 v[20:21], v17 offset:24960
	v_cmp_gt_u32_e64 s[14:15], 56, v1
	s_waitcnt lgkmcnt(0)
	v_mul_f32_e32 v16, v21, v19
	v_mul_f32_e32 v19, v20, v19
	v_fma_f32 v16, v20, v18, -v16
	v_fmac_f32_e32 v19, v21, v18
	v_add_f32_e32 v16, 0, v16
	v_add_f32_e32 v18, 0, v19
	s_and_saveexec_b64 s[16:17], s[14:15]
	s_cbranch_execnz .LBB59_1158
; %bb.954:
	s_or_b64 exec, exec, s[16:17]
	v_cmp_gt_u32_e64 s[14:15], 48, v1
	s_and_saveexec_b64 s[16:17], s[14:15]
	s_cbranch_execnz .LBB59_1159
.LBB59_955:
	s_or_b64 exec, exec, s[16:17]
	v_cmp_gt_u32_e64 s[14:15], 40, v1
	s_and_saveexec_b64 s[16:17], s[14:15]
	s_cbranch_execnz .LBB59_1160
.LBB59_956:
	s_or_b64 exec, exec, s[16:17]
	v_cmp_gt_u32_e64 s[14:15], 32, v1
	s_and_saveexec_b64 s[16:17], s[14:15]
	s_cbranch_execnz .LBB59_1161
.LBB59_957:
	s_or_b64 exec, exec, s[16:17]
	v_cmp_gt_u32_e64 s[14:15], 24, v1
	s_and_saveexec_b64 s[16:17], s[14:15]
	s_cbranch_execnz .LBB59_1162
.LBB59_958:
	s_or_b64 exec, exec, s[16:17]
	v_cmp_gt_u32_e64 s[14:15], 16, v1
	s_and_saveexec_b64 s[16:17], s[14:15]
	s_cbranch_execnz .LBB59_1163
.LBB59_959:
	s_or_b64 exec, exec, s[16:17]
	v_cmp_gt_u32_e64 s[14:15], 8, v1
	s_and_saveexec_b64 s[16:17], s[14:15]
	s_cbranch_execz .LBB59_961
.LBB59_960:
	v_lshlrev_b32_e32 v14, 3, v0
	v_mov_b32_e32 v17, 0
	ds_read_b64 v[14:15], v14 offset:28608
	ds_read_b64 v[19:20], v17 offset:25016
	s_waitcnt lgkmcnt(0)
	v_mul_f32_e32 v17, v20, v15
	v_mul_f32_e32 v15, v19, v15
	v_fma_f32 v17, v19, v14, -v17
	v_fmac_f32_e32 v15, v20, v14
	v_add_f32_e32 v16, v16, v17
	v_add_f32_e32 v18, v18, v15
.LBB59_961:
	s_or_b64 exec, exec, s[16:17]
	v_xor_b32_e32 v17, 0x80000000, v16
	v_xor_b32_e32 v16, 0x80000000, v18
.LBB59_962:
	s_or_b64 exec, exec, s[6:7]
	s_and_saveexec_b64 s[6:7], s[66:67]
	s_cbranch_execz .LBB59_964
; %bb.963:
	v_mov_b32_e32 v14, 0
	ds_read_b64 v[14:15], v14 offset:29120
	s_waitcnt lgkmcnt(0)
	v_mul_f32_e32 v18, v17, v15
	v_mul_f32_e32 v19, v16, v15
	v_fmac_f32_e32 v18, v16, v14
	v_fma_f32 v17, v17, v14, -v19
	v_mov_b32_e32 v16, v18
	ds_write_b64 v13, v[17:18]
.LBB59_964:
	s_or_b64 exec, exec, s[6:7]
	s_waitcnt lgkmcnt(0)
	s_barrier
	s_and_saveexec_b64 s[6:7], s[68:69]
	v_readlane_b32 s66, v35, 3
	v_readlane_b32 s67, v35, 4
	s_cbranch_execz .LBB59_966
; %bb.965:
	ds_read_b64 v[14:15], v12 offset:29120
	ds_read_b64 v[18:19], v13
	s_waitcnt lgkmcnt(0)
	v_mul_f32_e32 v20, v19, v15
	v_mul_f32_e32 v15, v18, v15
	v_fma_f32 v18, v18, v14, -v20
	v_fmac_f32_e32 v15, v19, v14
	v_add_f32_e32 v17, v17, v18
	v_add_f32_e32 v16, v16, v15
.LBB59_966:
	s_or_b64 exec, exec, s[6:7]
	s_barrier
	s_and_saveexec_b64 s[6:7], s[70:71]
	s_cbranch_execz .LBB59_968
; %bb.967:
	v_mov_b32_e32 v14, 0
	ds_read_b64 v[14:15], v14 offset:29640
	s_waitcnt lgkmcnt(0)
	v_mul_f32_e32 v18, v17, v15
	v_mul_f32_e32 v19, v16, v15
	v_fmac_f32_e32 v18, v16, v14
	v_fma_f32 v17, v17, v14, -v19
	v_mov_b32_e32 v16, v18
	ds_write_b64 v13, v[17:18]
.LBB59_968:
	s_or_b64 exec, exec, s[6:7]
	s_waitcnt lgkmcnt(0)
	s_barrier
	s_and_saveexec_b64 s[6:7], s[72:73]
	s_cbranch_execz .LBB59_970
; %bb.969:
	ds_read_b64 v[14:15], v12 offset:29632
	ds_read_b64 v[18:19], v13
	s_waitcnt lgkmcnt(0)
	v_mul_f32_e32 v20, v19, v15
	v_mul_f32_e32 v15, v18, v15
	v_fma_f32 v18, v18, v14, -v20
	v_fmac_f32_e32 v15, v19, v14
	v_add_f32_e32 v17, v17, v18
	v_add_f32_e32 v16, v16, v15
.LBB59_970:
	s_or_b64 exec, exec, s[6:7]
	s_barrier
	s_and_saveexec_b64 s[6:7], s[74:75]
	s_cbranch_execz .LBB59_972
; %bb.971:
	v_mov_b32_e32 v14, 0
	ds_read_b64 v[14:15], v14 offset:30160
	s_waitcnt lgkmcnt(0)
	v_mul_f32_e32 v18, v17, v15
	v_mul_f32_e32 v19, v16, v15
	v_fmac_f32_e32 v18, v16, v14
	v_fma_f32 v17, v17, v14, -v19
	v_mov_b32_e32 v16, v18
	ds_write_b64 v13, v[17:18]
.LBB59_972:
	s_or_b64 exec, exec, s[6:7]
	s_waitcnt lgkmcnt(0)
	s_barrier
	s_and_saveexec_b64 s[6:7], s[76:77]
	;; [unrolled: 31-line block ×6, first 2 shown]
	s_cbranch_execz .LBB59_990
; %bb.989:
	v_mov_b32_e32 v12, 0
	ds_read_b64 v[14:15], v12 offset:32248
	ds_read_b64 v[18:19], v13
	s_waitcnt lgkmcnt(0)
	v_mul_f32_e32 v12, v19, v15
	v_mul_f32_e32 v15, v18, v15
	v_fma_f32 v12, v18, v14, -v12
	v_fmac_f32_e32 v15, v19, v14
	v_add_f32_e32 v17, v17, v12
	v_add_f32_e32 v16, v16, v15
.LBB59_990:
	s_or_b64 exec, exec, s[6:7]
	s_barrier
	s_and_saveexec_b64 s[6:7], s[64:65]
	s_cbranch_execz .LBB59_992
; %bb.991:
	v_mov_b32_e32 v12, 0
	ds_read_b64 v[14:15], v12 offset:32760
	s_waitcnt lgkmcnt(0)
	v_mul_f32_e32 v18, v17, v15
	v_mul_f32_e32 v12, v16, v15
	v_fmac_f32_e32 v18, v16, v14
	v_fma_f32 v17, v17, v14, -v12
	v_mov_b32_e32 v16, v18
	ds_write_b64 v13, v[17:18]
.LBB59_992:
	s_or_b64 exec, exec, s[6:7]
	s_waitcnt lgkmcnt(0)
	s_barrier
	s_barrier
	s_and_saveexec_b64 s[6:7], s[12:13]
; %bb.993:
	v_xor_b32_e32 v13, 0x80000000, v16
	v_xor_b32_e32 v12, 0x80000000, v17
	ds_write_b64 v11, v[12:13] offset:25024
; %bb.994:
	s_or_b64 exec, exec, s[6:7]
	s_waitcnt lgkmcnt(0)
	s_barrier
	s_barrier
	s_and_saveexec_b64 s[6:7], s[92:93]
	s_cbranch_execz .LBB59_996
; %bb.995:
	v_lshlrev_b32_e32 v13, 9, v0
	ds_read_b64 v[11:12], v13 offset:25024
	s_movk_i32 s12, 0xfe08
	v_mad_i32_i24 v14, v0, s12, v13
	s_waitcnt lgkmcnt(0)
	ds_write_b64 v14, v[11:12] offset:29056
	ds_read_b64 v[11:12], v13 offset:25032
	s_waitcnt lgkmcnt(0)
	ds_write_b64 v14, v[11:12] offset:29568
	ds_read_b64 v[11:12], v13 offset:25040
	;; [unrolled: 3-line block ×7, first 2 shown]
	s_waitcnt lgkmcnt(0)
	ds_write_b64 v14, v[11:12] offset:32640
.LBB59_996:
	s_or_b64 exec, exec, s[6:7]
	s_waitcnt lgkmcnt(0)
	s_barrier
	s_and_saveexec_b64 s[6:7], vcc
	s_cbranch_execz .LBB59_998
; %bb.997:
	v_mov_b32_e32 v15, 0
	ds_read_b128 v[11:14], v15 offset:29120
	ds_read_b64 v[15:16], v15 offset:29640
	s_movk_i32 s12, 0x7000
	s_waitcnt lgkmcnt(0)
	v_mul_f32_e32 v17, v16, v12
	v_mul_f32_e32 v18, v15, v12
	v_fma_f32 v15, v15, v11, -v17
	v_fmac_f32_e32 v18, v16, v11
	v_mul_f32_e32 v11, v18, v14
	v_mul_f32_e32 v12, v15, v14
	v_fma_f32 v11, v15, v13, -v11
	v_fmac_f32_e32 v12, v18, v13
	v_add_u32_e64 v13, s12, 0
	ds_write2_b64 v13, v[11:12], v[11:12] offset0:57 offset1:120
.LBB59_998:
	s_or_b64 exec, exec, s[6:7]
	v_mov_b32_e32 v11, 0
	v_mov_b32_e32 v12, 0
	s_waitcnt lgkmcnt(0)
	s_barrier
	s_and_saveexec_b64 s[6:7], s[22:23]
	s_cbranch_execz .LBB59_1002
; %bb.999:
	v_mul_u32_u24_e32 v13, 0x208, v5
	ds_read_b64 v[11:12], v3 offset:29136
	ds_read_b64 v[13:14], v13 offset:29120
	v_cmp_gt_u32_e64 s[12:13], 2, v1
	s_waitcnt lgkmcnt(0)
	v_mul_f32_e32 v15, v14, v12
	v_mul_f32_e32 v12, v13, v12
	v_fma_f32 v13, v13, v11, -v15
	v_fmac_f32_e32 v12, v14, v11
	v_add_f32_e32 v11, 0, v13
	v_add_f32_e32 v13, 0, v12
	s_and_saveexec_b64 s[14:15], s[12:13]
	s_cbranch_execz .LBB59_1001
; %bb.1000:
	v_lshlrev_b32_e32 v12, 3, v0
	v_mov_b32_e32 v16, 0
	ds_read_b64 v[14:15], v12 offset:29648
	ds_read_b64 v[16:17], v16 offset:29128
	s_waitcnt lgkmcnt(0)
	v_mul_f32_e32 v12, v17, v15
	v_mul_f32_e32 v15, v16, v15
	v_fma_f32 v12, v16, v14, -v12
	v_fmac_f32_e32 v15, v17, v14
	v_add_f32_e32 v11, v11, v12
	v_add_f32_e32 v13, v13, v15
.LBB59_1001:
	s_or_b64 exec, exec, s[14:15]
	v_xor_b32_e32 v12, 0x80000000, v11
	v_xor_b32_e32 v11, 0x80000000, v13
.LBB59_1002:
	s_or_b64 exec, exec, s[6:7]
	s_and_saveexec_b64 s[6:7], s[38:39]
	s_cbranch_execz .LBB59_1004
; %bb.1003:
	v_mov_b32_e32 v13, 0
	ds_read_b64 v[13:14], v13 offset:30160
	s_waitcnt lgkmcnt(0)
	v_mul_f32_e32 v16, v11, v14
	v_mul_f32_e32 v15, v12, v14
	v_fma_f32 v14, v12, v13, -v16
	v_fmac_f32_e32 v15, v11, v13
	v_mov_b32_e32 v12, v14
	v_mov_b32_e32 v11, v15
	ds_write_b64 v4, v[14:15]
.LBB59_1004:
	s_or_b64 exec, exec, s[6:7]
	s_waitcnt lgkmcnt(0)
	s_barrier
	s_and_saveexec_b64 s[6:7], s[36:37]
	s_cbranch_execz .LBB59_1006
; %bb.1005:
	v_mov_b32_e32 v13, 0
	ds_read_b64 v[13:14], v13 offset:30168
	ds_read_b64 v[15:16], v4
	s_waitcnt lgkmcnt(0)
	v_mul_f32_e32 v17, v16, v14
	v_mul_f32_e32 v14, v15, v14
	v_fma_f32 v15, v15, v13, -v17
	v_fmac_f32_e32 v14, v16, v13
	v_add_f32_e32 v12, v12, v15
	v_add_f32_e32 v11, v11, v14
.LBB59_1006:
	s_or_b64 exec, exec, s[6:7]
	s_barrier
	s_and_saveexec_b64 s[6:7], s[36:37]
	s_cbranch_execz .LBB59_1008
; %bb.1007:
	v_mov_b32_e32 v13, 0
	ds_read_b64 v[13:14], v13 offset:30680
	s_waitcnt lgkmcnt(0)
	v_mul_f32_e32 v16, v11, v14
	v_mul_f32_e32 v15, v12, v14
	v_fma_f32 v14, v12, v13, -v16
	v_fmac_f32_e32 v15, v11, v13
	v_mov_b32_e32 v12, v14
	v_mov_b32_e32 v11, v15
	ds_write_b64 v4, v[14:15]
.LBB59_1008:
	s_or_b64 exec, exec, s[6:7]
	s_waitcnt lgkmcnt(0)
	s_barrier
	s_barrier
	s_and_saveexec_b64 s[6:7], s[22:23]
; %bb.1009:
	v_xor_b32_e32 v13, 0x80000000, v11
	v_xor_b32_e32 v12, 0x80000000, v12
	ds_write_b64 v3, v[12:13] offset:29136
; %bb.1010:
	s_or_b64 exec, exec, s[6:7]
	s_waitcnt lgkmcnt(0)
	s_barrier
	s_barrier
	s_and_saveexec_b64 s[6:7], s[42:43]
	s_cbranch_execz .LBB59_1012
; %bb.1011:
	v_lshlrev_b32_e32 v13, 3, v0
	s_movk_i32 s12, 0x1f8
	v_mad_u32_u24 v14, v0, s12, v13
	ds_read_b64 v[11:12], v14 offset:29136
	s_waitcnt lgkmcnt(0)
	ds_write_b64 v13, v[11:12] offset:30144
	ds_read_b64 v[11:12], v14 offset:29144
	s_waitcnt lgkmcnt(0)
	ds_write_b64 v13, v[11:12] offset:30656
.LBB59_1012:
	s_or_b64 exec, exec, s[6:7]
	s_waitcnt lgkmcnt(0)
	s_barrier
	s_and_saveexec_b64 s[6:7], vcc
	s_cbranch_execz .LBB59_1014
; %bb.1013:
	v_mov_b32_e32 v15, 0
	ds_read_b128 v[11:14], v15 offset:30160
	ds_read_b64 v[15:16], v15 offset:30680
	s_movk_i32 s12, 0x7000
	s_waitcnt lgkmcnt(0)
	v_mul_f32_e32 v17, v16, v12
	v_mul_f32_e32 v18, v15, v12
	v_fma_f32 v15, v15, v11, -v17
	v_fmac_f32_e32 v18, v16, v11
	v_mul_f32_e32 v11, v18, v14
	v_mul_f32_e32 v12, v15, v14
	v_fma_f32 v11, v15, v13, -v11
	v_fmac_f32_e32 v12, v18, v13
	v_add_u32_e64 v13, s12, 0
	ds_write2_b64 v13, v[11:12], v[11:12] offset0:187 offset1:250
.LBB59_1014:
	s_or_b64 exec, exec, s[6:7]
	v_mov_b32_e32 v11, 0
	v_mov_b32_e32 v12, 0
	s_waitcnt lgkmcnt(0)
	s_barrier
	s_and_saveexec_b64 s[6:7], s[10:11]
	s_cbranch_execz .LBB59_1020
; %bb.1015:
	v_mul_u32_u24_e32 v12, 0x208, v10
	ds_read_b64 v[13:14], v6 offset:29152
	ds_read_b64 v[15:16], v12 offset:29120
	v_cmp_gt_u32_e64 s[12:13], 12, v1
	s_waitcnt lgkmcnt(0)
	v_mul_f32_e32 v11, v16, v14
	v_mul_f32_e32 v14, v15, v14
	v_fma_f32 v11, v15, v13, -v11
	v_fmac_f32_e32 v14, v16, v13
	v_add_f32_e32 v11, 0, v11
	v_add_f32_e32 v13, 0, v14
	s_and_saveexec_b64 s[14:15], s[12:13]
	s_cbranch_execnz .LBB59_1164
; %bb.1016:
	s_or_b64 exec, exec, s[14:15]
	v_cmp_gt_u32_e64 s[12:13], 8, v1
	s_and_saveexec_b64 s[14:15], s[12:13]
	s_cbranch_execnz .LBB59_1165
.LBB59_1017:
	s_or_b64 exec, exec, s[14:15]
	v_cmp_gt_u32_e64 s[12:13], 4, v1
	s_and_saveexec_b64 s[14:15], s[12:13]
	s_cbranch_execz .LBB59_1019
.LBB59_1018:
	v_lshlrev_b32_e32 v9, 3, v0
	v_mov_b32_e32 v12, 0
	ds_read_b64 v[9:10], v9 offset:30688
	ds_read_b64 v[14:15], v12 offset:29144
	s_waitcnt lgkmcnt(0)
	v_mul_f32_e32 v12, v15, v10
	v_mul_f32_e32 v10, v14, v10
	v_fma_f32 v12, v14, v9, -v12
	v_fmac_f32_e32 v10, v15, v9
	v_add_f32_e32 v11, v11, v12
	v_add_f32_e32 v13, v13, v10
.LBB59_1019:
	s_or_b64 exec, exec, s[14:15]
	v_xor_b32_e32 v12, 0x80000000, v11
	v_xor_b32_e32 v11, 0x80000000, v13
.LBB59_1020:
	s_or_b64 exec, exec, s[6:7]
	s_and_saveexec_b64 s[6:7], s[52:53]
	s_cbranch_execz .LBB59_1022
; %bb.1021:
	v_mov_b32_e32 v9, 0
	ds_read_b64 v[9:10], v9 offset:31200
	s_waitcnt lgkmcnt(0)
	v_mul_f32_e32 v13, v12, v10
	v_mul_f32_e32 v14, v11, v10
	v_fmac_f32_e32 v13, v11, v9
	v_fma_f32 v12, v12, v9, -v14
	v_mov_b32_e32 v11, v13
	ds_write_b64 v8, v[12:13]
.LBB59_1022:
	s_or_b64 exec, exec, s[6:7]
	s_waitcnt lgkmcnt(0)
	s_barrier
	s_and_saveexec_b64 s[6:7], s[54:55]
	v_readlane_b32 s52, v35, 2
	s_cbranch_execz .LBB59_1024
; %bb.1023:
	ds_read_b64 v[9:10], v7 offset:31200
	ds_read_b64 v[13:14], v8
	s_waitcnt lgkmcnt(0)
	v_mul_f32_e32 v15, v14, v10
	v_mul_f32_e32 v10, v13, v10
	v_fma_f32 v13, v13, v9, -v15
	v_fmac_f32_e32 v10, v14, v9
	v_add_f32_e32 v12, v12, v13
	v_add_f32_e32 v11, v11, v10
.LBB59_1024:
	s_or_b64 exec, exec, s[6:7]
	s_barrier
	s_and_saveexec_b64 s[6:7], s[56:57]
	s_cbranch_execz .LBB59_1026
; %bb.1025:
	v_mov_b32_e32 v9, 0
	ds_read_b64 v[9:10], v9 offset:31720
	s_waitcnt lgkmcnt(0)
	v_mul_f32_e32 v13, v12, v10
	v_mul_f32_e32 v14, v11, v10
	v_fmac_f32_e32 v13, v11, v9
	v_fma_f32 v12, v12, v9, -v14
	v_mov_b32_e32 v11, v13
	ds_write_b64 v8, v[12:13]
.LBB59_1026:
	s_or_b64 exec, exec, s[6:7]
	s_waitcnt lgkmcnt(0)
	s_barrier
	s_and_saveexec_b64 s[6:7], s[58:59]
	s_cbranch_execz .LBB59_1028
; %bb.1027:
	ds_read_b64 v[9:10], v7 offset:31712
	ds_read_b64 v[13:14], v8
	s_waitcnt lgkmcnt(0)
	v_mul_f32_e32 v7, v14, v10
	v_mul_f32_e32 v10, v13, v10
	v_fma_f32 v7, v13, v9, -v7
	v_fmac_f32_e32 v10, v14, v9
	v_add_f32_e32 v12, v12, v7
	v_add_f32_e32 v11, v11, v10
.LBB59_1028:
	s_or_b64 exec, exec, s[6:7]
	s_barrier
	s_and_saveexec_b64 s[6:7], s[60:61]
	s_cbranch_execz .LBB59_1030
; %bb.1029:
	v_mov_b32_e32 v7, 0
	ds_read_b64 v[9:10], v7 offset:32240
	s_waitcnt lgkmcnt(0)
	v_mul_f32_e32 v13, v12, v10
	v_mul_f32_e32 v7, v11, v10
	v_fmac_f32_e32 v13, v11, v9
	v_fma_f32 v12, v12, v9, -v7
	v_mov_b32_e32 v11, v13
	ds_write_b64 v8, v[12:13]
.LBB59_1030:
	s_or_b64 exec, exec, s[6:7]
	s_waitcnt lgkmcnt(0)
	s_barrier
	s_and_saveexec_b64 s[6:7], s[44:45]
	s_cbranch_execz .LBB59_1032
; %bb.1031:
	v_mov_b32_e32 v7, 0
	ds_read_b64 v[9:10], v7 offset:32248
	ds_read_b64 v[13:14], v8
	s_waitcnt lgkmcnt(0)
	v_mul_f32_e32 v7, v14, v10
	v_mul_f32_e32 v10, v13, v10
	v_fma_f32 v7, v13, v9, -v7
	v_fmac_f32_e32 v10, v14, v9
	v_add_f32_e32 v12, v12, v7
	v_add_f32_e32 v11, v11, v10
.LBB59_1032:
	s_or_b64 exec, exec, s[6:7]
	s_barrier
	s_and_saveexec_b64 s[6:7], s[44:45]
	s_cbranch_execz .LBB59_1034
; %bb.1033:
	v_mov_b32_e32 v7, 0
	ds_read_b64 v[9:10], v7 offset:32760
	s_waitcnt lgkmcnt(0)
	v_mul_f32_e32 v13, v12, v10
	v_mul_f32_e32 v7, v11, v10
	v_fmac_f32_e32 v13, v11, v9
	v_fma_f32 v12, v12, v9, -v7
	v_mov_b32_e32 v11, v13
	ds_write_b64 v8, v[12:13]
.LBB59_1034:
	s_or_b64 exec, exec, s[6:7]
	s_waitcnt lgkmcnt(0)
	s_barrier
	s_barrier
	s_and_saveexec_b64 s[6:7], s[10:11]
; %bb.1035:
	v_xor_b32_e32 v7, 0x80000000, v12
	v_xor_b32_e32 v8, 0x80000000, v11
	ds_write_b64 v6, v[7:8] offset:29152
; %bb.1036:
	s_or_b64 exec, exec, s[6:7]
	s_waitcnt lgkmcnt(0)
	s_barrier
	s_barrier
	s_and_saveexec_b64 s[6:7], s[62:63]
	s_cbranch_execz .LBB59_1038
; %bb.1037:
	v_lshlrev_b32_e32 v8, 9, v0
	ds_read_b64 v[6:7], v8 offset:29152
	s_movk_i32 s10, 0xfe08
	v_mad_i32_i24 v9, v0, s10, v8
	s_waitcnt lgkmcnt(0)
	ds_write_b64 v9, v[6:7] offset:31168
	ds_read_b64 v[6:7], v8 offset:29160
	s_waitcnt lgkmcnt(0)
	ds_write_b64 v9, v[6:7] offset:31680
	ds_read_b64 v[6:7], v8 offset:29168
	;; [unrolled: 3-line block ×3, first 2 shown]
	s_waitcnt lgkmcnt(0)
	ds_write_b64 v9, v[6:7] offset:32704
.LBB59_1038:
	s_or_b64 exec, exec, s[6:7]
	s_waitcnt lgkmcnt(0)
	s_barrier
	s_and_saveexec_b64 s[6:7], vcc
	s_cbranch_execz .LBB59_1040
; %bb.1039:
	v_mov_b32_e32 v10, 0
	ds_read_b128 v[6:9], v10 offset:31200
	ds_read_b64 v[10:11], v10 offset:31720
	s_movk_i32 s10, 0x7800
	s_waitcnt lgkmcnt(0)
	v_mul_f32_e32 v12, v11, v7
	v_mul_f32_e32 v13, v10, v7
	v_fma_f32 v10, v10, v6, -v12
	v_fmac_f32_e32 v13, v11, v6
	v_mul_f32_e32 v6, v13, v9
	v_mul_f32_e32 v7, v10, v9
	v_fma_f32 v6, v10, v8, -v6
	v_fmac_f32_e32 v7, v13, v8
	v_add_u32_e64 v8, s10, 0
	ds_write2_b64 v8, v[6:7], v[6:7] offset0:61 offset1:124
.LBB59_1040:
	s_or_b64 exec, exec, s[6:7]
	v_mov_b32_e32 v6, 0
	v_mov_b32_e32 v7, 0
	s_waitcnt lgkmcnt(0)
	s_barrier
	s_and_saveexec_b64 s[6:7], s[22:23]
	s_cbranch_execz .LBB59_1044
; %bb.1041:
	v_mul_u32_u24_e32 v7, 0x208, v5
	ds_read_b64 v[5:6], v3 offset:31216
	ds_read_b64 v[7:8], v7 offset:31200
	v_cmp_gt_u32_e64 s[10:11], 2, v1
	s_waitcnt lgkmcnt(0)
	v_mul_f32_e32 v9, v8, v6
	v_mul_f32_e32 v6, v7, v6
	v_fma_f32 v7, v7, v5, -v9
	v_fmac_f32_e32 v6, v8, v5
	v_add_f32_e32 v5, 0, v7
	v_add_f32_e32 v6, 0, v6
	s_and_saveexec_b64 s[12:13], s[10:11]
	s_cbranch_execz .LBB59_1043
; %bb.1042:
	v_lshlrev_b32_e32 v7, 3, v0
	v_mov_b32_e32 v9, 0
	ds_read_b64 v[7:8], v7 offset:31728
	ds_read_b64 v[9:10], v9 offset:31208
	s_waitcnt lgkmcnt(0)
	v_mul_f32_e32 v11, v10, v8
	v_mul_f32_e32 v8, v9, v8
	v_fma_f32 v9, v9, v7, -v11
	v_fmac_f32_e32 v8, v10, v7
	v_add_f32_e32 v5, v5, v9
	v_add_f32_e32 v6, v6, v8
.LBB59_1043:
	s_or_b64 exec, exec, s[12:13]
	v_xor_b32_e32 v7, 0x80000000, v5
	v_xor_b32_e32 v6, 0x80000000, v6
.LBB59_1044:
	s_or_b64 exec, exec, s[6:7]
	s_and_saveexec_b64 s[6:7], s[38:39]
	s_cbranch_execz .LBB59_1046
; %bb.1045:
	v_mov_b32_e32 v5, 0
	ds_read_b64 v[8:9], v5 offset:32240
	s_waitcnt lgkmcnt(0)
	v_mul_f32_e32 v5, v6, v9
	v_mul_f32_e32 v10, v7, v9
	v_fma_f32 v9, v7, v8, -v5
	v_fmac_f32_e32 v10, v6, v8
	v_mov_b32_e32 v7, v9
	v_mov_b32_e32 v6, v10
	ds_write_b64 v4, v[9:10]
.LBB59_1046:
	s_or_b64 exec, exec, s[6:7]
	s_waitcnt lgkmcnt(0)
	s_barrier
	s_and_saveexec_b64 s[6:7], s[36:37]
	s_load_dword s24, s[4:5], 0x6c
	v_readlane_b32 s38, v35, 0
	v_readlane_b32 s39, v35, 1
	s_cbranch_execz .LBB59_1048
; %bb.1047:
	v_mov_b32_e32 v5, 0
	ds_read_b64 v[8:9], v5 offset:32248
	ds_read_b64 v[10:11], v4
	s_waitcnt lgkmcnt(0)
	v_mul_f32_e32 v5, v11, v9
	v_mul_f32_e32 v9, v10, v9
	v_fma_f32 v5, v10, v8, -v5
	v_fmac_f32_e32 v9, v11, v8
	v_add_f32_e32 v7, v7, v5
	v_add_f32_e32 v6, v6, v9
.LBB59_1048:
	s_or_b64 exec, exec, s[6:7]
	s_waitcnt lgkmcnt(0)
	s_barrier
	s_and_saveexec_b64 s[6:7], s[36:37]
	s_cbranch_execz .LBB59_1050
; %bb.1049:
	v_mov_b32_e32 v5, 0
	ds_read_b64 v[8:9], v5 offset:32760
	s_waitcnt lgkmcnt(0)
	v_mul_f32_e32 v5, v6, v9
	v_mul_f32_e32 v10, v7, v9
	v_fma_f32 v9, v7, v8, -v5
	v_fmac_f32_e32 v10, v6, v8
	v_mov_b32_e32 v7, v9
	v_mov_b32_e32 v6, v10
	ds_write_b64 v4, v[9:10]
.LBB59_1050:
	s_or_b64 exec, exec, s[6:7]
	s_waitcnt lgkmcnt(0)
	s_barrier
	s_barrier
	s_and_saveexec_b64 s[6:7], s[22:23]
; %bb.1051:
	v_xor_b32_e32 v5, 0x80000000, v6
	v_xor_b32_e32 v4, 0x80000000, v7
	ds_write_b64 v3, v[4:5] offset:31216
; %bb.1052:
	s_or_b64 exec, exec, s[6:7]
	s_waitcnt lgkmcnt(0)
	s_barrier
	s_barrier
	s_and_saveexec_b64 s[6:7], s[42:43]
	s_cbranch_execz .LBB59_1054
; %bb.1053:
	v_lshlrev_b32_e32 v5, 3, v0
	s_movk_i32 s10, 0x1f8
	v_mad_u32_u24 v6, v0, s10, v5
	ds_read_b64 v[3:4], v6 offset:31216
	s_waitcnt lgkmcnt(0)
	ds_write_b64 v5, v[3:4] offset:32224
	ds_read_b64 v[3:4], v6 offset:31224
	s_waitcnt lgkmcnt(0)
	ds_write_b64 v5, v[3:4] offset:32736
.LBB59_1054:
	s_or_b64 exec, exec, s[6:7]
	s_waitcnt lgkmcnt(0)
	s_barrier
	s_and_saveexec_b64 s[6:7], vcc
	s_cbranch_execz .LBB59_1056
; %bb.1055:
	v_mov_b32_e32 v7, 0
	ds_read_b128 v[3:6], v7 offset:32240
	ds_read_b64 v[7:8], v7 offset:32760
	s_movk_i32 s10, 0x7800
	s_waitcnt lgkmcnt(0)
	v_mul_f32_e32 v9, v8, v4
	v_mul_f32_e32 v10, v7, v4
	v_fma_f32 v7, v7, v3, -v9
	v_fmac_f32_e32 v10, v8, v3
	v_mul_f32_e32 v3, v10, v6
	v_mul_f32_e32 v4, v7, v6
	v_fma_f32 v3, v7, v5, -v3
	v_fmac_f32_e32 v4, v10, v5
	v_add_u32_e64 v5, s10, 0
	ds_write2_b64 v5, v[3:4], v[3:4] offset0:191 offset1:254
.LBB59_1056:
	s_or_b64 exec, exec, s[6:7]
.LBB59_1057:
	s_load_dwordx4 s[16:19], s[4:5], 0x48
	v_cmp_le_i32_e32 vcc, s96, v0
	v_mov_b32_e32 v3, 0
	v_add_u32_e32 v5, s33, v0
	v_mov_b32_e32 v4, 0
	s_waitcnt lgkmcnt(0)
	s_mul_i32 s5, s17, s26
	s_mul_hi_u32 s6, s16, s26
	s_mul_i32 s4, s16, s26
	s_add_i32 s5, s6, s5
	s_lshl_b64 s[4:5], s[4:5], 3
	s_add_u32 s6, s46, s4
	s_addc_u32 s7, s47, s5
	s_lshl_b64 s[4:5], s[48:49], 3
	s_add_u32 s34, s6, s4
	s_addc_u32 s35, s7, s5
	s_and_b64 s[20:21], vcc, s[30:31]
	v_cmp_eq_u32_e64 s[4:5], 0, v2
	s_xor_b64 s[6:7], s[20:21], -1
	s_and_b64 s[10:11], s[4:5], s[6:7]
	s_barrier
	s_and_saveexec_b64 s[6:7], s[10:11]
	s_cbranch_execz .LBB59_1059
; %bb.1058:
	v_ashrrev_i32_e32 v6, 31, v5
	v_mul_lo_u32 v7, s51, v5
	v_mad_u64_u32 v[3:4], s[10:11], s50, v5, 0
	v_mul_lo_u32 v6, s50, v6
	v_add3_u32 v4, v4, v6, v7
	v_lshlrev_b64 v[3:4], 3, v[3:4]
	v_mov_b32_e32 v6, s35
	v_add_co_u32_e32 v3, vcc, s34, v3
	v_addc_co_u32_e32 v4, vcc, v6, v4, vcc
	global_load_dwordx2 v[6:7], v[3:4], off
	s_waitcnt vmcnt(0)
	v_mul_f32_e32 v3, s38, v6
	v_mul_f32_e32 v4, s38, v7
	v_fma_f32 v3, s39, v7, -v3
	v_fma_f32 v4, v6, -s39, -v4
.LBB59_1059:
	s_or_b64 exec, exec, s[6:7]
	s_and_b32 s6, 0xffff, s24
	v_mad_u32_u24 v8, v2, s6, v0
	s_cmp_lt_i32 s8, 1
	v_cmp_eq_u32_e64 s[16:17], 0, v8
	s_cbranch_scc1 .LBB59_1078
; %bb.1060:
	v_ashrrev_i32_e32 v6, 31, v5
	v_mul_lo_u32 v9, s40, v6
	v_mul_lo_u32 v10, s41, v5
	v_mad_u64_u32 v[6:7], s[10:11], s40, v5, 0
	v_cmp_gt_i32_e64 s[12:13], s28, v5
	s_lshl_b64 s[10:11], s[26:27], 2
	v_add3_u32 v7, v7, v9, v10
	v_lshlrev_b64 v[5:6], 3, v[6:7]
	s_mov_b64 s[6:7], src_private_base
	s_add_u32 s22, s18, s10
	v_mov_b32_e32 v10, 0xa000
	v_mov_b32_e32 v7, s98
	v_add_co_u32_e32 v11, vcc, s97, v5
	s_mov_b32 s6, 0
	s_addc_u32 s23, s19, s11
	v_cmp_gt_u32_e64 s[10:11], 64, v8
	v_lshl_add_u32 v9, v8, 3, v10
	v_lshl_or_b32 v10, v2, 3, v10
	s_add_i32 s99, s99, 1
	v_addc_co_u32_e32 v12, vcc, v7, v6, vcc
	v_mov_b32_e32 v15, -1
	v_mov_b32_e32 v5, 0
	v_mov_b32_e32 v13, 0
	;; [unrolled: 1-line block ×5, first 2 shown]
	s_branch .LBB59_1062
.LBB59_1061:                            ;   in Loop: Header=BB59_1062 Depth=1
	s_or_b64 exec, exec, s[24:25]
	s_add_i32 s6, s6, 1
	s_cmp_eq_u32 s6, s8
	s_cbranch_scc1 .LBB59_1078
.LBB59_1062:                            ; =>This Loop Header: Depth=1
                                        ;     Child Loop BB59_1064 Depth 2
	v_cmp_gt_i32_e32 vcc, s6, v15
	s_and_b64 s[24:25], s[16:17], vcc
	s_and_saveexec_b64 s[14:15], s[24:25]
	s_cbranch_execz .LBB59_1065
; %bb.1063:                             ;   in Loop: Header=BB59_1062 Depth=1
	global_load_dword v15, v5, s[22:23]
	s_waitcnt vmcnt(0)
	v_cmp_le_i32_e32 vcc, s6, v15
	s_cbranch_vccnz .LBB59_1065
.LBB59_1064:                            ;   Parent Loop BB59_1062 Depth=1
                                        ; =>  This Inner Loop Header: Depth=2
	buffer_wbinvl1_vol
	global_load_dword v15, v5, s[22:23]
	s_waitcnt vmcnt(0)
	v_cmp_gt_i32_e32 vcc, s6, v15
	s_cbranch_vccnz .LBB59_1064
.LBB59_1065:                            ;   in Loop: Header=BB59_1062 Depth=1
	s_or_b64 exec, exec, s[14:15]
	s_sub_i32 s36, s9, s6
	s_lshl_b32 s37, s36, 6
	buffer_wbinvl1_vol
	s_barrier
	s_and_saveexec_b64 s[14:15], s[10:11]
	s_cbranch_execz .LBB59_1070
; %bb.1066:                             ;   in Loop: Header=BB59_1062 Depth=1
	s_ashr_i32 s24, s37, 31
	v_mov_b32_e32 v7, s24
	v_or_b32_e32 v6, s37, v8
	v_cmp_le_i64_e32 vcc, s[28:29], v[6:7]
	s_and_saveexec_b64 s[24:25], vcc
	s_xor_b64 s[24:25], exec, s[24:25]
; %bb.1067:                             ;   in Loop: Header=BB59_1062 Depth=1
	v_mov_b32_e32 v6, v5
	ds_write_b64 v9, v[5:6]
                                        ; implicit-def: $vgpr6_vgpr7
; %bb.1068:                             ;   in Loop: Header=BB59_1062 Depth=1
	s_andn2_saveexec_b64 s[24:25], s[24:25]
	s_cbranch_execz .LBB59_1070
; %bb.1069:                             ;   in Loop: Header=BB59_1062 Depth=1
	v_mul_lo_u32 v18, v7, s50
	v_mul_lo_u32 v19, v6, s51
	v_mad_u64_u32 v[6:7], s[24:25], v6, s50, 0
	v_add3_u32 v7, v7, v19, v18
	v_lshlrev_b64 v[6:7], 3, v[6:7]
	v_mov_b32_e32 v18, s35
	v_add_co_u32_e32 v6, vcc, s34, v6
	v_addc_co_u32_e32 v7, vcc, v18, v7, vcc
	global_load_dwordx2 v[6:7], v[6:7], off
	s_waitcnt vmcnt(0)
	ds_write_b64 v9, v[6:7]
.LBB59_1070:                            ;   in Loop: Header=BB59_1062 Depth=1
	s_or_b64 exec, exec, s[14:15]
	v_add_u32_e32 v6, s37, v2
	v_ashrrev_i32_e32 v7, 31, v6
	v_lshlrev_b64 v[18:19], 3, v[6:7]
	s_cmp_eq_u32 s36, s99
	v_add_co_u32_e32 v18, vcc, v11, v18
	v_addc_co_u32_e32 v7, vcc, v12, v19, vcc
	v_cmp_gt_i32_e32 vcc, s28, v6
	s_cselect_b64 s[14:15], -1, 0
	s_and_b64 s[36:37], vcc, s[12:13]
	s_waitcnt lgkmcnt(0)
	s_barrier
	s_and_saveexec_b64 s[24:25], s[36:37]
	s_cbranch_execz .LBB59_1072
; %bb.1071:                             ;   in Loop: Header=BB59_1062 Depth=1
	v_mov_b32_e32 v19, s7
	v_cndmask_b32_e64 v20, v7, v19, s[14:15]
	v_cndmask_b32_e64 v19, v18, v13, s[14:15]
	flat_load_dwordx2 v[19:20], v[19:20]
	ds_read_b64 v[21:22], v10
	s_waitcnt vmcnt(0) lgkmcnt(0)
	v_mul_f32_e32 v23, v22, v20
	v_mul_f32_e32 v20, v21, v20
	v_fma_f32 v21, v21, v19, -v23
	v_fmac_f32_e32 v20, v22, v19
	v_add_f32_e32 v3, v3, v21
	v_add_f32_e32 v4, v4, v20
.LBB59_1072:                            ;   in Loop: Header=BB59_1062 Depth=1
	s_or_b64 exec, exec, s[24:25]
	v_add_u32_e32 v19, 16, v6
	v_cmp_gt_i32_e32 vcc, s28, v19
	s_and_b64 s[36:37], vcc, s[12:13]
	s_and_saveexec_b64 s[24:25], s[36:37]
	s_cbranch_execz .LBB59_1074
; %bb.1073:                             ;   in Loop: Header=BB59_1062 Depth=1
	v_add_co_u32_e32 v19, vcc, 0x80, v18
	v_addc_co_u32_e32 v20, vcc, 0, v7, vcc
	v_mov_b32_e32 v21, s7
	v_cndmask_b32_e64 v20, v20, v21, s[14:15]
	v_cndmask_b32_e64 v19, v19, v14, s[14:15]
	flat_load_dwordx2 v[19:20], v[19:20]
	ds_read_b64 v[21:22], v10 offset:128
	s_waitcnt vmcnt(0) lgkmcnt(0)
	v_mul_f32_e32 v23, v22, v20
	v_mul_f32_e32 v20, v21, v20
	v_fma_f32 v21, v21, v19, -v23
	v_fmac_f32_e32 v20, v22, v19
	v_add_f32_e32 v3, v3, v21
	v_add_f32_e32 v4, v4, v20
.LBB59_1074:                            ;   in Loop: Header=BB59_1062 Depth=1
	s_or_b64 exec, exec, s[24:25]
	v_add_u32_e32 v19, 32, v6
	v_cmp_gt_i32_e32 vcc, s28, v19
	s_and_b64 s[36:37], vcc, s[12:13]
	s_and_saveexec_b64 s[24:25], s[36:37]
	s_cbranch_execz .LBB59_1076
; %bb.1075:                             ;   in Loop: Header=BB59_1062 Depth=1
	v_add_co_u32_e32 v19, vcc, 0x100, v18
	v_addc_co_u32_e32 v20, vcc, 0, v7, vcc
	v_mov_b32_e32 v21, s7
	v_cndmask_b32_e64 v20, v20, v21, s[14:15]
	v_cndmask_b32_e64 v19, v19, v16, s[14:15]
	flat_load_dwordx2 v[19:20], v[19:20]
	ds_read_b64 v[21:22], v10 offset:256
	s_waitcnt vmcnt(0) lgkmcnt(0)
	v_mul_f32_e32 v23, v22, v20
	v_mul_f32_e32 v20, v21, v20
	v_fma_f32 v21, v21, v19, -v23
	v_fmac_f32_e32 v20, v22, v19
	v_add_f32_e32 v3, v3, v21
	v_add_f32_e32 v4, v4, v20
.LBB59_1076:                            ;   in Loop: Header=BB59_1062 Depth=1
	s_or_b64 exec, exec, s[24:25]
	v_add_u32_e32 v6, 48, v6
	v_cmp_gt_i32_e32 vcc, s28, v6
	s_and_b64 s[36:37], vcc, s[12:13]
	s_and_saveexec_b64 s[24:25], s[36:37]
	s_cbranch_execz .LBB59_1061
; %bb.1077:                             ;   in Loop: Header=BB59_1062 Depth=1
	v_add_co_u32_e32 v6, vcc, 0x180, v18
	v_addc_co_u32_e32 v7, vcc, 0, v7, vcc
	v_mov_b32_e32 v18, s7
	v_cndmask_b32_e64 v7, v7, v18, s[14:15]
	v_cndmask_b32_e64 v6, v6, v17, s[14:15]
	flat_load_dwordx2 v[6:7], v[6:7]
	ds_read_b64 v[18:19], v10 offset:384
	s_waitcnt vmcnt(0) lgkmcnt(0)
	v_mul_f32_e32 v20, v19, v7
	v_mul_f32_e32 v7, v18, v7
	v_fma_f32 v18, v18, v6, -v20
	v_fmac_f32_e32 v7, v19, v6
	v_add_f32_e32 v3, v3, v18
	v_add_f32_e32 v4, v4, v7
	s_branch .LBB59_1061
.LBB59_1078:
	s_xor_b64 s[6:7], s[30:31], -1
	v_lshlrev_b32_e32 v1, 3, v1
	ds_write_b64 v1, v[3:4] offset:32768
	s_waitcnt lgkmcnt(0)
	s_barrier
	s_and_saveexec_b64 s[8:9], s[4:5]
	s_cbranch_execz .LBB59_1080
; %bb.1079:
	v_lshlrev_b32_e32 v7, 3, v0
	ds_read2st64_b64 v[9:12], v7 offset0:65 offset1:66
	ds_read2st64_b64 v[13:16], v7 offset0:67 offset1:68
	ds_read_b64 v[17:18], v7 offset:40448
	s_waitcnt lgkmcnt(2)
	v_add_f32_e32 v3, v3, v9
	v_add_f32_e32 v4, v4, v10
	;; [unrolled: 1-line block ×4, first 2 shown]
	ds_read2st64_b64 v[3:6], v7 offset0:69 offset1:70
	s_waitcnt lgkmcnt(2)
	v_add_f32_e32 v9, v9, v13
	v_add_f32_e32 v10, v10, v14
	;; [unrolled: 1-line block ×4, first 2 shown]
	s_waitcnt lgkmcnt(0)
	v_add_f32_e32 v3, v9, v3
	ds_read2st64_b64 v[9:12], v7 offset0:71 offset1:72
	v_add_f32_e32 v4, v13, v4
	v_add_f32_e32 v13, v3, v5
	;; [unrolled: 1-line block ×3, first 2 shown]
	ds_read2st64_b64 v[3:6], v7 offset0:73 offset1:74
	s_waitcnt lgkmcnt(1)
	v_add_f32_e32 v9, v13, v9
	v_add_f32_e32 v10, v14, v10
	;; [unrolled: 1-line block ×4, first 2 shown]
	s_waitcnt lgkmcnt(0)
	v_add_f32_e32 v3, v9, v3
	ds_read2st64_b64 v[9:12], v7 offset0:75 offset1:76
	v_add_f32_e32 v4, v13, v4
	v_add_f32_e32 v13, v3, v5
	;; [unrolled: 1-line block ×3, first 2 shown]
	ds_read2st64_b64 v[3:6], v7 offset0:77 offset1:78
	s_waitcnt lgkmcnt(1)
	v_add_f32_e32 v7, v13, v9
	v_add_f32_e32 v9, v14, v10
	;; [unrolled: 1-line block ×4, first 2 shown]
	s_waitcnt lgkmcnt(0)
	v_add_f32_e32 v3, v7, v3
	v_add_f32_e32 v4, v9, v4
	;; [unrolled: 1-line block ×6, first 2 shown]
	v_cndmask_b32_e64 v3, -v3, 0, s[20:21]
	v_cndmask_b32_e64 v4, -v4, 0, s[20:21]
.LBB59_1080:
	s_or_b64 exec, exec, s[8:9]
	s_and_b64 vcc, exec, s[66:67]
	s_cbranch_vccnz .LBB59_1093
; %bb.1081:
	v_mov_b32_e32 v5, 0xa000
	v_lshl_or_b32 v7, v2, 3, v5
	s_and_saveexec_b64 s[8:9], s[4:5]
; %bb.1082:
	v_lshl_add_u32 v5, v0, 3, v7
	ds_write_b64 v5, v[3:4]
; %bb.1083:
	s_or_b64 exec, exec, s[8:9]
	v_cmp_le_u32_e32 vcc, v0, v2
	v_mov_b32_e32 v5, 0
	v_mov_b32_e32 v6, 0
	s_waitcnt lgkmcnt(0)
	s_barrier
	s_and_saveexec_b64 s[8:9], vcc
	s_cbranch_execz .LBB59_1085
; %bb.1084:
	ds_read_b64 v[5:6], v1
	ds_read_b64 v[9:10], v7
	s_waitcnt lgkmcnt(0)
	v_mul_f32_e32 v11, v10, v6
	v_mul_f32_e32 v6, v9, v6
	v_fma_f32 v9, v9, v5, -v11
	v_fmac_f32_e32 v6, v10, v5
	v_add_f32_e32 v5, 0, v9
	v_add_f32_e32 v6, 0, v6
.LBB59_1085:
	s_or_b64 exec, exec, s[8:9]
	v_add_u32_e32 v9, 16, v2
	v_cmp_le_u32_e32 vcc, v0, v9
	s_and_saveexec_b64 s[8:9], vcc
	s_cbranch_execz .LBB59_1087
; %bb.1086:
	ds_read_b64 v[9:10], v1 offset:8192
	ds_read_b64 v[11:12], v7 offset:128
	s_waitcnt lgkmcnt(0)
	v_mul_f32_e32 v13, v12, v10
	v_mul_f32_e32 v10, v11, v10
	v_fma_f32 v11, v11, v9, -v13
	v_fmac_f32_e32 v10, v12, v9
	v_add_f32_e32 v5, v5, v11
	v_add_f32_e32 v6, v6, v10
.LBB59_1087:
	s_or_b64 exec, exec, s[8:9]
	v_add_u32_e32 v9, 32, v2
	v_cmp_le_u32_e32 vcc, v0, v9
	s_and_saveexec_b64 s[8:9], vcc
	s_cbranch_execz .LBB59_1089
; %bb.1088:
	ds_read_b64 v[9:10], v1 offset:16384
	ds_read_b64 v[11:12], v7 offset:256
	s_waitcnt lgkmcnt(0)
	v_mul_f32_e32 v13, v12, v10
	v_mul_f32_e32 v10, v11, v10
	v_fma_f32 v11, v11, v9, -v13
	v_fmac_f32_e32 v10, v12, v9
	v_add_f32_e32 v5, v5, v11
	v_add_f32_e32 v6, v6, v10
.LBB59_1089:
	s_or_b64 exec, exec, s[8:9]
	v_add_u32_e32 v2, 48, v2
	v_add_u32_e32 v9, 0x8000, v1
	v_cmp_le_u32_e32 vcc, v0, v2
	s_and_saveexec_b64 s[8:9], vcc
	s_cbranch_execz .LBB59_1091
; %bb.1090:
	ds_read_b64 v[1:2], v1 offset:24576
	ds_read_b64 v[10:11], v7 offset:384
	s_waitcnt lgkmcnt(0)
	v_mul_f32_e32 v7, v11, v2
	v_mul_f32_e32 v2, v10, v2
	v_fma_f32 v7, v10, v1, -v7
	v_fmac_f32_e32 v2, v11, v1
	v_add_f32_e32 v5, v5, v7
	v_add_f32_e32 v6, v6, v2
.LBB59_1091:
	s_or_b64 exec, exec, s[8:9]
	s_mov_b64 s[10:11], 0
	s_mov_b64 s[8:9], 0
	ds_write_b64 v9, v[5:6]
	s_waitcnt lgkmcnt(0)
	s_barrier
                                        ; implicit-def: $vgpr1
                                        ; implicit-def: $vgpr2
	s_and_saveexec_b64 s[12:13], s[4:5]
	s_cbranch_execz .LBB59_1112
; %bb.1092:
	v_lshlrev_b32_e32 v1, 3, v0
	ds_read2st64_b64 v[9:12], v1 offset0:65 offset1:66
	ds_read2st64_b64 v[13:16], v1 offset0:67 offset1:68
	ds_read_b64 v[17:18], v1 offset:40448
	s_mov_b64 s[8:9], exec
	s_waitcnt lgkmcnt(2)
	v_add_f32_e32 v2, v5, v9
	v_add_f32_e32 v5, v6, v10
	v_add_f32_e32 v2, v2, v11
	v_add_f32_e32 v5, v5, v12
	ds_read2st64_b64 v[9:12], v1 offset0:69 offset1:70
	s_waitcnt lgkmcnt(2)
	v_add_f32_e32 v2, v2, v13
	v_add_f32_e32 v5, v5, v14
	v_add_f32_e32 v2, v2, v15
	v_add_f32_e32 v5, v5, v16
	ds_read2st64_b64 v[13:16], v1 offset0:71 offset1:72
	s_waitcnt lgkmcnt(1)
	v_add_f32_e32 v2, v2, v9
	v_add_f32_e32 v5, v5, v10
	v_add_f32_e32 v2, v2, v11
	v_add_f32_e32 v5, v5, v12
	ds_read2st64_b64 v[9:12], v1 offset0:73 offset1:74
	s_waitcnt lgkmcnt(1)
	v_add_f32_e32 v2, v2, v13
	v_add_f32_e32 v5, v5, v14
	v_add_f32_e32 v2, v2, v15
	v_add_f32_e32 v5, v5, v16
	ds_read2st64_b64 v[13:16], v1 offset0:75 offset1:76
	s_waitcnt lgkmcnt(1)
	v_add_f32_e32 v2, v2, v9
	v_add_f32_e32 v5, v5, v10
	v_add_f32_e32 v2, v2, v11
	v_add_f32_e32 v5, v5, v12
	ds_read2st64_b64 v[9:12], v1 offset0:77 offset1:78
	s_waitcnt lgkmcnt(1)
	v_add_f32_e32 v1, v2, v13
	v_add_f32_e32 v2, v5, v14
	;; [unrolled: 1-line block ×4, first 2 shown]
	s_waitcnt lgkmcnt(0)
	v_add_f32_e32 v1, v1, v9
	v_add_f32_e32 v2, v2, v10
	;; [unrolled: 1-line block ×6, first 2 shown]
	s_or_b64 exec, exec, s[12:13]
	s_and_b64 vcc, exec, s[10:11]
	s_cbranch_vccnz .LBB59_1094
	s_branch .LBB59_1113
.LBB59_1093:
	s_mov_b64 s[8:9], 0
                                        ; implicit-def: $vgpr1
                                        ; implicit-def: $vgpr2
	s_cbranch_execz .LBB59_1113
.LBB59_1094:
	s_movk_i32 s10, 0x208
	v_lshlrev_b32_e32 v2, 9, v0
	v_mov_b32_e32 v5, 0x7c00
	v_mul_u32_u24_e32 v1, 0x208, v0
	v_sub_u32_e32 v2, 0, v2
	v_mad_u32_u24 v5, v0, s10, v5
	s_mov_b32 s12, 63
	s_movk_i32 s13, 0x8200
	v_mov_b32_e32 v6, 0
	s_branch .LBB59_1096
.LBB59_1095:                            ;   in Loop: Header=BB59_1096 Depth=1
	s_or_b64 exec, exec, s[10:11]
	s_add_i32 s12, s12, -2
	s_cmp_lg_u32 s14, 0
	v_add_u32_e32 v2, 0xfffffc00, v2
	s_barrier
	s_cbranch_scc0 .LBB59_1104
.LBB59_1096:                            ; =>This Inner Loop Header: Depth=1
	v_cmp_eq_u32_e32 vcc, s13, v2
	s_and_b64 s[14:15], s[4:5], vcc
	s_and_saveexec_b64 s[10:11], s[14:15]
	s_cbranch_execz .LBB59_1098
; %bb.1097:                             ;   in Loop: Header=BB59_1096 Depth=1
	ds_read_b64 v[9:10], v1
	s_waitcnt lgkmcnt(0)
	v_mul_f32_e32 v7, v4, v10
	v_mul_f32_e32 v11, v3, v10
	v_fma_f32 v10, v3, v9, -v7
	v_fmac_f32_e32 v11, v4, v9
	v_mov_b32_e32 v3, v10
	v_mov_b32_e32 v4, v11
	ds_write_b64 v6, v[10:11] offset:41472
.LBB59_1098:                            ;   in Loop: Header=BB59_1096 Depth=1
	s_or_b64 exec, exec, s[10:11]
	v_cmp_gt_u32_e32 vcc, s12, v0
	s_and_b64 s[14:15], s[4:5], vcc
	v_add_u32_e32 v7, v5, v2
	s_waitcnt lgkmcnt(0)
	s_barrier
	s_and_saveexec_b64 s[10:11], s[14:15]
	s_cbranch_execz .LBB59_1100
; %bb.1099:                             ;   in Loop: Header=BB59_1096 Depth=1
	ds_read_b64 v[9:10], v7 offset:512
	ds_read_b64 v[11:12], v6 offset:41472
	s_waitcnt lgkmcnt(0)
	v_mul_f32_e32 v13, v12, v10
	v_mul_f32_e32 v10, v11, v10
	v_fma_f32 v11, v11, v9, -v13
	v_fmac_f32_e32 v10, v12, v9
	v_add_f32_e32 v3, v3, v11
	v_add_f32_e32 v4, v4, v10
.LBB59_1100:                            ;   in Loop: Header=BB59_1096 Depth=1
	s_or_b64 exec, exec, s[10:11]
	s_add_i32 s14, s12, -1
	v_cmp_eq_u32_e32 vcc, s14, v0
	s_and_b64 s[16:17], s[4:5], vcc
	s_barrier
	s_and_saveexec_b64 s[10:11], s[16:17]
	s_cbranch_execz .LBB59_1102
; %bb.1101:                             ;   in Loop: Header=BB59_1096 Depth=1
	ds_read_b64 v[9:10], v1
	s_waitcnt lgkmcnt(0)
	v_mul_f32_e32 v12, v4, v10
	v_mul_f32_e32 v11, v3, v10
	v_fma_f32 v10, v3, v9, -v12
	v_fmac_f32_e32 v11, v4, v9
	v_mov_b32_e32 v3, v10
	v_mov_b32_e32 v4, v11
	ds_write_b64 v6, v[10:11] offset:41472
.LBB59_1102:                            ;   in Loop: Header=BB59_1096 Depth=1
	s_or_b64 exec, exec, s[10:11]
	v_cmp_gt_u32_e32 vcc, s14, v0
	s_and_b64 s[16:17], s[4:5], vcc
	s_waitcnt lgkmcnt(0)
	s_barrier
	s_and_saveexec_b64 s[10:11], s[16:17]
	s_cbranch_execz .LBB59_1095
; %bb.1103:                             ;   in Loop: Header=BB59_1096 Depth=1
	ds_read_b64 v[9:10], v7
	ds_read_b64 v[11:12], v6 offset:41472
	s_waitcnt lgkmcnt(0)
	v_mul_f32_e32 v7, v12, v10
	v_mul_f32_e32 v10, v11, v10
	v_fma_f32 v7, v11, v9, -v7
	v_fmac_f32_e32 v10, v12, v9
	v_add_f32_e32 v3, v3, v7
	v_add_f32_e32 v4, v4, v10
	s_branch .LBB59_1095
.LBB59_1104:
	s_mov_b64 s[10:11], -1
	s_and_b64 vcc, exec, s[6:7]
	s_cbranch_vccnz .LBB59_1114
; %bb.1105:
	s_andn2_b64 vcc, exec, s[10:11]
	s_cbranch_vccz .LBB59_1115
.LBB59_1106:
	s_and_saveexec_b64 s[4:5], s[8:9]
	s_cbranch_execz .LBB59_1108
.LBB59_1107:
	v_mov_b32_e32 v0, s52
	v_add_co_u32_e32 v1, vcc, s33, v8
	v_addc_co_u32_e32 v0, vcc, 0, v0, vcc
	v_mul_lo_u32 v2, v0, s50
	v_mul_lo_u32 v5, v1, s51
	v_mad_u64_u32 v[0:1], s[6:7], v1, s50, 0
	v_add3_u32 v1, v1, v5, v2
	v_lshlrev_b64 v[0:1], 3, v[0:1]
	v_mov_b32_e32 v2, s35
	v_add_co_u32_e32 v0, vcc, s34, v0
	v_addc_co_u32_e32 v1, vcc, v2, v1, vcc
	global_store_dwordx2 v[0:1], v[3:4], off
.LBB59_1108:
	s_or_b64 exec, exec, s[4:5]
	v_cmp_eq_u32_e32 vcc, 0, v8
	s_waitcnt vmcnt(0)
	buffer_wbinvl1_vol
	s_barrier
	s_and_saveexec_b64 s[4:5], vcc
	s_cbranch_execz .LBB59_1110
; %bb.1109:
	s_lshl_b64 s[6:7], s[26:27], 2
	s_add_u32 s6, s18, s6
	s_addc_u32 s7, s19, s7
	v_mov_b32_e32 v0, 0
	global_load_dword v1, v0, s[6:7]
	s_waitcnt vmcnt(0)
	v_add_u32_e32 v1, 1, v1
	global_store_dword v0, v1, s[6:7]
.LBB59_1110:
	s_or_b64 exec, exec, s[4:5]
	s_waitcnt vmcnt(0)
	buffer_wbinvl1_vol
	s_endpgm
.LBB59_1111:
                                        ; implicit-def: $sgpr33
	s_cbranch_execnz .LBB59_18
	s_branch .LBB59_19
.LBB59_1112:
	s_or_b64 exec, exec, s[12:13]
	s_and_b64 vcc, exec, s[10:11]
	s_cbranch_vccnz .LBB59_1094
.LBB59_1113:
	v_mov_b32_e32 v4, v1
	v_mov_b32_e32 v3, v2
	s_and_saveexec_b64 s[4:5], s[8:9]
	s_cbranch_execnz .LBB59_1107
	s_branch .LBB59_1108
.LBB59_1114:
	s_andn2_b64 s[6:7], s[8:9], exec
	s_and_b64 s[8:9], s[4:5], exec
	s_or_b64 s[8:9], s[6:7], s[8:9]
	s_cbranch_execnz .LBB59_1106
.LBB59_1115:
	v_cmp_gt_i32_e32 vcc, s96, v0
	s_and_b64 s[4:5], s[4:5], vcc
	s_andn2_b64 s[6:7], s[8:9], exec
	s_and_b64 s[4:5], s[4:5], exec
	s_or_b64 s[8:9], s[6:7], s[4:5]
	s_and_saveexec_b64 s[4:5], s[8:9]
	s_cbranch_execnz .LBB59_1107
	s_branch .LBB59_1108
.LBB59_1116:
	v_lshlrev_b32_e32 v13, 3, v10
	v_sub_u32_e32 v13, v12, v13
	v_lshl_add_u32 v13, v9, 3, v13
	ds_read_b64 v[13:14], v13 offset:544
	ds_read_b64 v[15:16], v12 offset:8
	s_waitcnt lgkmcnt(0)
	v_mul_f32_e32 v17, v16, v14
	v_mul_f32_e32 v14, v15, v14
	v_fma_f32 v15, v15, v13, -v17
	v_fmac_f32_e32 v14, v16, v13
	v_add_f32_e32 v8, v8, v15
	v_add_f32_e32 v11, v11, v14
	s_or_b64 exec, exec, s[18:19]
	v_cmp_gt_u32_e64 s[14:15], 8, v1
	s_and_saveexec_b64 s[18:19], s[14:15]
	s_cbranch_execz .LBB59_157
.LBB59_1117:
	ds_read_b64 v[13:14], v6 offset:1056
	ds_read_b64 v[15:16], v12 offset:16
	s_waitcnt lgkmcnt(0)
	v_mul_f32_e32 v12, v16, v14
	v_mul_f32_e32 v14, v15, v14
	v_fma_f32 v12, v15, v13, -v12
	v_fmac_f32_e32 v14, v16, v13
	v_add_f32_e32 v8, v8, v12
	v_add_f32_e32 v11, v11, v14
	s_or_b64 exec, exec, s[18:19]
	v_cmp_gt_u32_e64 s[14:15], 4, v1
	s_and_saveexec_b64 s[18:19], s[14:15]
	s_cbranch_execnz .LBB59_158
	s_branch .LBB59_159
.LBB59_1118:
	v_lshlrev_b32_e32 v18, 3, v15
	v_sub_u32_e32 v18, v17, v18
	v_lshl_add_u32 v18, v14, 3, v18
	ds_read_b64 v[18:19], v18 offset:576
	ds_read_b64 v[20:21], v17 offset:8
	s_waitcnt lgkmcnt(0)
	v_mul_f32_e32 v22, v21, v19
	v_mul_f32_e32 v19, v20, v19
	v_fma_f32 v20, v20, v18, -v22
	v_fmac_f32_e32 v19, v21, v18
	v_add_f32_e32 v13, v13, v20
	v_add_f32_e32 v16, v16, v19
	s_or_b64 exec, exec, s[20:21]
	v_cmp_gt_u32_e64 s[18:19], 48, v1
	s_and_saveexec_b64 s[20:21], s[18:19]
	s_cbranch_execz .LBB59_199
.LBB59_1119:
	v_lshlrev_b32_e32 v18, 3, v15
	v_sub_u32_e32 v18, v17, v18
	v_lshl_add_u32 v18, v14, 3, v18
	ds_read_b64 v[18:19], v18 offset:1088
	ds_read_b64 v[20:21], v17 offset:16
	s_waitcnt lgkmcnt(0)
	v_mul_f32_e32 v22, v21, v19
	v_mul_f32_e32 v19, v20, v19
	v_fma_f32 v20, v20, v18, -v22
	v_fmac_f32_e32 v19, v21, v18
	v_add_f32_e32 v13, v13, v20
	v_add_f32_e32 v16, v16, v19
	s_or_b64 exec, exec, s[20:21]
	v_cmp_gt_u32_e64 s[18:19], 40, v1
	s_and_saveexec_b64 s[20:21], s[18:19]
	s_cbranch_execz .LBB59_200
.LBB59_1120:
	v_lshlrev_b32_e32 v18, 3, v15
	v_sub_u32_e32 v18, v17, v18
	v_lshl_add_u32 v18, v14, 3, v18
	ds_read_b64 v[18:19], v18 offset:1600
	ds_read_b64 v[20:21], v17 offset:24
	s_waitcnt lgkmcnt(0)
	v_mul_f32_e32 v22, v21, v19
	v_mul_f32_e32 v19, v20, v19
	v_fma_f32 v20, v20, v18, -v22
	v_fmac_f32_e32 v19, v21, v18
	v_add_f32_e32 v13, v13, v20
	v_add_f32_e32 v16, v16, v19
	s_or_b64 exec, exec, s[20:21]
	v_cmp_gt_u32_e64 s[18:19], 32, v1
	s_and_saveexec_b64 s[20:21], s[18:19]
	s_cbranch_execz .LBB59_201
.LBB59_1121:
	ds_read_b64 v[18:19], v11 offset:2112
	ds_read_b64 v[20:21], v17 offset:32
	s_waitcnt lgkmcnt(0)
	v_mul_f32_e32 v22, v21, v19
	v_mul_f32_e32 v19, v20, v19
	v_fma_f32 v20, v20, v18, -v22
	v_fmac_f32_e32 v19, v21, v18
	v_add_f32_e32 v13, v13, v20
	v_add_f32_e32 v16, v16, v19
	s_or_b64 exec, exec, s[20:21]
	v_cmp_gt_u32_e64 s[18:19], 24, v1
	s_and_saveexec_b64 s[20:21], s[18:19]
	s_cbranch_execz .LBB59_202
.LBB59_1122:
	v_lshlrev_b32_e32 v18, 3, v15
	v_sub_u32_e32 v18, v17, v18
	v_lshl_add_u32 v18, v14, 3, v18
	ds_read_b64 v[18:19], v18 offset:2624
	ds_read_b64 v[20:21], v17 offset:40
	s_waitcnt lgkmcnt(0)
	v_mul_f32_e32 v22, v21, v19
	v_mul_f32_e32 v19, v20, v19
	v_fma_f32 v20, v20, v18, -v22
	v_fmac_f32_e32 v19, v21, v18
	v_add_f32_e32 v13, v13, v20
	v_add_f32_e32 v16, v16, v19
	s_or_b64 exec, exec, s[20:21]
	v_cmp_gt_u32_e64 s[18:19], 16, v1
	s_and_saveexec_b64 s[20:21], s[18:19]
	s_cbranch_execz .LBB59_203
.LBB59_1123:
	ds_read_b64 v[18:19], v11 offset:3136
	ds_read_b64 v[20:21], v17 offset:48
	s_waitcnt lgkmcnt(0)
	v_mul_f32_e32 v17, v21, v19
	v_mul_f32_e32 v19, v20, v19
	v_fma_f32 v17, v20, v18, -v17
	v_fmac_f32_e32 v19, v21, v18
	v_add_f32_e32 v13, v13, v17
	v_add_f32_e32 v16, v16, v19
	s_or_b64 exec, exec, s[20:21]
	v_cmp_gt_u32_e64 s[18:19], 8, v1
	s_and_saveexec_b64 s[20:21], s[18:19]
	s_cbranch_execnz .LBB59_204
	s_branch .LBB59_205
.LBB59_1124:
	v_lshlrev_b32_e32 v19, 3, v10
	v_sub_u32_e32 v19, v17, v19
	v_lshl_add_u32 v19, v9, 3, v19
	ds_read_b64 v[19:20], v19 offset:4704
	ds_read_b64 v[21:22], v17 offset:4168
	s_waitcnt lgkmcnt(0)
	v_mul_f32_e32 v23, v22, v20
	v_mul_f32_e32 v20, v21, v20
	v_fma_f32 v21, v21, v19, -v23
	v_fmac_f32_e32 v20, v22, v19
	v_add_f32_e32 v16, v16, v21
	v_add_f32_e32 v18, v18, v20
	s_or_b64 exec, exec, s[18:19]
	v_cmp_gt_u32_e64 s[14:15], 8, v1
	s_and_saveexec_b64 s[18:19], s[14:15]
	s_cbranch_execz .LBB59_261
.LBB59_1125:
	ds_read_b64 v[19:20], v6 offset:5216
	ds_read_b64 v[21:22], v17 offset:4176
	s_waitcnt lgkmcnt(0)
	v_mul_f32_e32 v17, v22, v20
	v_mul_f32_e32 v20, v21, v20
	v_fma_f32 v17, v21, v19, -v17
	v_fmac_f32_e32 v20, v22, v19
	v_add_f32_e32 v16, v16, v17
	v_add_f32_e32 v18, v18, v20
	s_or_b64 exec, exec, s[18:19]
	v_cmp_gt_u32_e64 s[14:15], 4, v1
	s_and_saveexec_b64 s[18:19], s[14:15]
	s_cbranch_execnz .LBB59_262
	s_branch .LBB59_263
.LBB59_1126:
	v_lshlrev_b32_e32 v23, 3, v17
	v_lshl_add_u32 v23, v19, 3, v23
	ds_read_b64 v[23:24], v23 offset:5760
	ds_read_b64 v[25:26], v22 offset:88
	s_waitcnt lgkmcnt(0)
	v_mul_f32_e32 v27, v26, v24
	v_mul_f32_e32 v24, v25, v24
	v_fma_f32 v25, v25, v23, -v27
	v_fmac_f32_e32 v24, v26, v23
	v_add_f32_e32 v18, v18, v25
	v_add_f32_e32 v21, v21, v24
	s_or_b64 exec, exec, s[24:25]
	v_cmp_gt_u32_e64 s[20:21], 64, v1
	s_and_saveexec_b64 s[24:25], s[20:21]
	s_cbranch_execz .LBB59_323
.LBB59_1127:
	ds_read_b64 v[23:24], v16 offset:6272
	ds_read_b64 v[25:26], v22 offset:96
	s_waitcnt lgkmcnt(0)
	v_mul_f32_e32 v27, v26, v24
	v_mul_f32_e32 v24, v25, v24
	v_fma_f32 v25, v25, v23, -v27
	v_fmac_f32_e32 v24, v26, v23
	v_add_f32_e32 v18, v18, v25
	v_add_f32_e32 v21, v21, v24
	s_or_b64 exec, exec, s[24:25]
	v_cmp_gt_u32_e64 s[20:21], 48, v1
	s_and_saveexec_b64 s[24:25], s[20:21]
	s_cbranch_execz .LBB59_324
.LBB59_1128:
	v_lshlrev_b32_e32 v23, 3, v17
	v_lshl_add_u32 v23, v19, 3, v23
	ds_read_b64 v[23:24], v23 offset:6784
	ds_read_b64 v[25:26], v22 offset:104
	s_waitcnt lgkmcnt(0)
	v_mul_f32_e32 v27, v26, v24
	v_mul_f32_e32 v24, v25, v24
	v_fma_f32 v25, v25, v23, -v27
	v_fmac_f32_e32 v24, v26, v23
	v_add_f32_e32 v18, v18, v25
	v_add_f32_e32 v21, v21, v24
	s_or_b64 exec, exec, s[24:25]
	v_cmp_gt_u32_e64 s[20:21], 32, v1
	s_and_saveexec_b64 s[24:25], s[20:21]
	s_cbranch_execz .LBB59_325
.LBB59_1129:
	ds_read_b64 v[23:24], v16 offset:7296
	ds_read_b64 v[25:26], v22 offset:112
	s_waitcnt lgkmcnt(0)
	v_mul_f32_e32 v22, v26, v24
	v_mul_f32_e32 v24, v25, v24
	v_fma_f32 v22, v25, v23, -v22
	v_fmac_f32_e32 v24, v26, v23
	v_add_f32_e32 v18, v18, v22
	v_add_f32_e32 v21, v21, v24
	s_or_b64 exec, exec, s[24:25]
	v_cmp_gt_u32_e64 s[20:21], 16, v1
	s_and_saveexec_b64 s[24:25], s[20:21]
	s_cbranch_execnz .LBB59_326
	s_branch .LBB59_327
.LBB59_1130:
	v_lshlrev_b32_e32 v24, 3, v10
	v_sub_u32_e32 v24, v22, v24
	v_lshl_add_u32 v24, v9, 3, v24
	ds_read_b64 v[24:25], v24 offset:8864
	ds_read_b64 v[26:27], v22 offset:8328
	s_waitcnt lgkmcnt(0)
	v_mul_f32_e32 v28, v27, v25
	v_mul_f32_e32 v25, v26, v25
	v_fma_f32 v26, v26, v24, -v28
	v_fmac_f32_e32 v25, v27, v24
	v_add_f32_e32 v21, v21, v26
	v_add_f32_e32 v23, v23, v25
	s_or_b64 exec, exec, s[24:25]
	v_cmp_gt_u32_e64 s[18:19], 8, v1
	s_and_saveexec_b64 s[24:25], s[18:19]
	s_cbranch_execz .LBB59_415
.LBB59_1131:
	ds_read_b64 v[24:25], v6 offset:9376
	ds_read_b64 v[26:27], v22 offset:8336
	s_waitcnt lgkmcnt(0)
	v_mul_f32_e32 v22, v27, v25
	v_mul_f32_e32 v25, v26, v25
	v_fma_f32 v22, v26, v24, -v22
	v_fmac_f32_e32 v25, v27, v24
	v_add_f32_e32 v21, v21, v22
	v_add_f32_e32 v23, v23, v25
	s_or_b64 exec, exec, s[24:25]
	v_cmp_gt_u32_e64 s[18:19], 4, v1
	s_and_saveexec_b64 s[24:25], s[18:19]
	s_cbranch_execnz .LBB59_416
	s_branch .LBB59_417
.LBB59_1132:
	v_lshlrev_b32_e32 v24, 3, v15
	v_sub_u32_e32 v24, v22, v24
	v_lshl_add_u32 v24, v14, 3, v24
	ds_read_b64 v[24:25], v24 offset:8896
	ds_read_b64 v[26:27], v22 offset:8328
	s_waitcnt lgkmcnt(0)
	v_mul_f32_e32 v28, v27, v25
	v_mul_f32_e32 v25, v26, v25
	v_fma_f32 v26, v26, v24, -v28
	v_fmac_f32_e32 v25, v27, v24
	v_add_f32_e32 v21, v21, v26
	v_add_f32_e32 v23, v23, v25
	s_or_b64 exec, exec, s[24:25]
	v_cmp_gt_u32_e64 s[18:19], 48, v1
	s_and_saveexec_b64 s[24:25], s[18:19]
	s_cbranch_execz .LBB59_457
.LBB59_1133:
	v_lshlrev_b32_e32 v24, 3, v15
	v_sub_u32_e32 v24, v22, v24
	v_lshl_add_u32 v24, v14, 3, v24
	ds_read_b64 v[24:25], v24 offset:9408
	ds_read_b64 v[26:27], v22 offset:8336
	s_waitcnt lgkmcnt(0)
	v_mul_f32_e32 v28, v27, v25
	v_mul_f32_e32 v25, v26, v25
	v_fma_f32 v26, v26, v24, -v28
	v_fmac_f32_e32 v25, v27, v24
	v_add_f32_e32 v21, v21, v26
	v_add_f32_e32 v23, v23, v25
	s_or_b64 exec, exec, s[24:25]
	v_cmp_gt_u32_e64 s[18:19], 40, v1
	s_and_saveexec_b64 s[24:25], s[18:19]
	s_cbranch_execz .LBB59_458
.LBB59_1134:
	v_lshlrev_b32_e32 v24, 3, v15
	v_sub_u32_e32 v24, v22, v24
	v_lshl_add_u32 v24, v14, 3, v24
	ds_read_b64 v[24:25], v24 offset:9920
	ds_read_b64 v[26:27], v22 offset:8344
	s_waitcnt lgkmcnt(0)
	v_mul_f32_e32 v28, v27, v25
	v_mul_f32_e32 v25, v26, v25
	v_fma_f32 v26, v26, v24, -v28
	v_fmac_f32_e32 v25, v27, v24
	v_add_f32_e32 v21, v21, v26
	v_add_f32_e32 v23, v23, v25
	s_or_b64 exec, exec, s[24:25]
	v_cmp_gt_u32_e64 s[18:19], 32, v1
	s_and_saveexec_b64 s[24:25], s[18:19]
	s_cbranch_execz .LBB59_459
.LBB59_1135:
	ds_read_b64 v[24:25], v11 offset:10432
	ds_read_b64 v[26:27], v22 offset:8352
	s_waitcnt lgkmcnt(0)
	v_mul_f32_e32 v28, v27, v25
	v_mul_f32_e32 v25, v26, v25
	v_fma_f32 v26, v26, v24, -v28
	v_fmac_f32_e32 v25, v27, v24
	v_add_f32_e32 v21, v21, v26
	v_add_f32_e32 v23, v23, v25
	s_or_b64 exec, exec, s[24:25]
	v_cmp_gt_u32_e64 s[18:19], 24, v1
	s_and_saveexec_b64 s[24:25], s[18:19]
	s_cbranch_execz .LBB59_460
.LBB59_1136:
	v_lshlrev_b32_e32 v24, 3, v15
	v_sub_u32_e32 v24, v22, v24
	v_lshl_add_u32 v24, v14, 3, v24
	ds_read_b64 v[24:25], v24 offset:10944
	ds_read_b64 v[26:27], v22 offset:8360
	s_waitcnt lgkmcnt(0)
	v_mul_f32_e32 v28, v27, v25
	v_mul_f32_e32 v25, v26, v25
	v_fma_f32 v26, v26, v24, -v28
	v_fmac_f32_e32 v25, v27, v24
	v_add_f32_e32 v21, v21, v26
	v_add_f32_e32 v23, v23, v25
	s_or_b64 exec, exec, s[24:25]
	v_cmp_gt_u32_e64 s[18:19], 16, v1
	s_and_saveexec_b64 s[24:25], s[18:19]
	s_cbranch_execz .LBB59_461
.LBB59_1137:
	ds_read_b64 v[24:25], v11 offset:11456
	ds_read_b64 v[26:27], v22 offset:8368
	s_waitcnt lgkmcnt(0)
	v_mul_f32_e32 v22, v27, v25
	v_mul_f32_e32 v25, v26, v25
	v_fma_f32 v22, v26, v24, -v22
	v_fmac_f32_e32 v25, v27, v24
	v_add_f32_e32 v21, v21, v22
	v_add_f32_e32 v23, v23, v25
	s_or_b64 exec, exec, s[24:25]
	v_cmp_gt_u32_e64 s[18:19], 8, v1
	s_and_saveexec_b64 s[24:25], s[18:19]
	s_cbranch_execnz .LBB59_462
	s_branch .LBB59_463
.LBB59_1138:
	v_lshlrev_b32_e32 v24, 3, v10
	v_sub_u32_e32 v24, v22, v24
	v_lshl_add_u32 v24, v9, 3, v24
	ds_read_b64 v[24:25], v24 offset:13024
	ds_read_b64 v[26:27], v22 offset:12488
	s_waitcnt lgkmcnt(0)
	v_mul_f32_e32 v28, v27, v25
	v_mul_f32_e32 v25, v26, v25
	v_fma_f32 v26, v26, v24, -v28
	v_fmac_f32_e32 v25, v27, v24
	v_add_f32_e32 v21, v21, v26
	v_add_f32_e32 v23, v23, v25
	s_or_b64 exec, exec, s[24:25]
	v_cmp_gt_u32_e64 s[18:19], 8, v1
	s_and_saveexec_b64 s[24:25], s[18:19]
	s_cbranch_execz .LBB59_519
.LBB59_1139:
	ds_read_b64 v[24:25], v6 offset:13536
	ds_read_b64 v[26:27], v22 offset:12496
	s_waitcnt lgkmcnt(0)
	v_mul_f32_e32 v22, v27, v25
	v_mul_f32_e32 v25, v26, v25
	v_fma_f32 v22, v26, v24, -v22
	v_fmac_f32_e32 v25, v27, v24
	v_add_f32_e32 v21, v21, v22
	v_add_f32_e32 v23, v23, v25
	s_or_b64 exec, exec, s[24:25]
	v_cmp_gt_u32_e64 s[18:19], 4, v1
	s_and_saveexec_b64 s[24:25], s[18:19]
	s_cbranch_execnz .LBB59_520
	s_branch .LBB59_521
.LBB59_1140:
	ds_read_b64 v[29:30], v28 offset:15104
	ds_read_b64 v[31:32], v27 offset:232
	s_waitcnt lgkmcnt(0)
	v_mul_f32_e32 v33, v32, v30
	v_mul_f32_e32 v30, v31, v30
	v_fma_f32 v31, v31, v29, -v33
	v_fmac_f32_e32 v30, v32, v29
	v_add_f32_e32 v24, v24, v31
	v_add_f32_e32 v25, v25, v30
	s_or_b64 exec, exec, s[94:95]
	v_cmp_gt_u32_e64 s[24:25], 64, v1
	s_and_saveexec_b64 s[94:95], s[24:25]
	s_cbranch_execz .LBB59_617
.LBB59_1141:
	ds_read_b64 v[28:29], v28 offset:15616
	ds_read_b64 v[30:31], v27 offset:240
	s_waitcnt lgkmcnt(0)
	v_mul_f32_e32 v32, v31, v29
	v_mul_f32_e32 v29, v30, v29
	v_fma_f32 v30, v30, v28, -v32
	v_fmac_f32_e32 v29, v31, v28
	v_add_f32_e32 v24, v24, v30
	v_add_f32_e32 v25, v25, v29
	s_or_b64 exec, exec, s[94:95]
	v_cmp_gt_u32_e64 s[24:25], 32, v1
	s_and_saveexec_b64 s[94:95], s[24:25]
	s_cbranch_execnz .LBB59_618
	s_branch .LBB59_619
.LBB59_1142:
	v_lshlrev_b32_e32 v24, 3, v10
	v_sub_u32_e32 v24, v22, v24
	v_lshl_add_u32 v24, v9, 3, v24
	ds_read_b64 v[24:25], v24 offset:17184
	ds_read_b64 v[26:27], v22 offset:16648
	s_waitcnt lgkmcnt(0)
	v_mul_f32_e32 v28, v27, v25
	v_mul_f32_e32 v25, v26, v25
	v_fma_f32 v26, v26, v24, -v28
	v_fmac_f32_e32 v25, v27, v24
	v_add_f32_e32 v21, v21, v26
	v_add_f32_e32 v23, v23, v25
	s_or_b64 exec, exec, s[20:21]
	v_cmp_gt_u32_e64 s[16:17], 8, v1
	s_and_saveexec_b64 s[20:21], s[16:17]
	s_cbranch_execz .LBB59_655
.LBB59_1143:
	ds_read_b64 v[24:25], v6 offset:17696
	ds_read_b64 v[26:27], v22 offset:16656
	s_waitcnt lgkmcnt(0)
	v_mul_f32_e32 v22, v27, v25
	v_mul_f32_e32 v25, v26, v25
	v_fma_f32 v22, v26, v24, -v22
	v_fmac_f32_e32 v25, v27, v24
	v_add_f32_e32 v21, v21, v22
	v_add_f32_e32 v23, v23, v25
	s_or_b64 exec, exec, s[20:21]
	v_cmp_gt_u32_e64 s[16:17], 4, v1
	s_and_saveexec_b64 s[20:21], s[16:17]
	s_cbranch_execnz .LBB59_656
	s_branch .LBB59_657
.LBB59_1144:
	v_lshlrev_b32_e32 v24, 3, v15
	v_sub_u32_e32 v24, v22, v24
	v_lshl_add_u32 v24, v14, 3, v24
	ds_read_b64 v[24:25], v24 offset:17216
	ds_read_b64 v[26:27], v22 offset:16648
	s_waitcnt lgkmcnt(0)
	v_mul_f32_e32 v28, v27, v25
	v_mul_f32_e32 v25, v26, v25
	v_fma_f32 v26, v26, v24, -v28
	v_fmac_f32_e32 v25, v27, v24
	v_add_f32_e32 v21, v21, v26
	v_add_f32_e32 v23, v23, v25
	s_or_b64 exec, exec, s[20:21]
	v_cmp_gt_u32_e64 s[16:17], 48, v1
	s_and_saveexec_b64 s[20:21], s[16:17]
	s_cbranch_execz .LBB59_697
.LBB59_1145:
	v_lshlrev_b32_e32 v24, 3, v15
	v_sub_u32_e32 v24, v22, v24
	v_lshl_add_u32 v24, v14, 3, v24
	ds_read_b64 v[24:25], v24 offset:17728
	ds_read_b64 v[26:27], v22 offset:16656
	s_waitcnt lgkmcnt(0)
	v_mul_f32_e32 v28, v27, v25
	v_mul_f32_e32 v25, v26, v25
	v_fma_f32 v26, v26, v24, -v28
	v_fmac_f32_e32 v25, v27, v24
	v_add_f32_e32 v21, v21, v26
	v_add_f32_e32 v23, v23, v25
	s_or_b64 exec, exec, s[20:21]
	v_cmp_gt_u32_e64 s[16:17], 40, v1
	s_and_saveexec_b64 s[20:21], s[16:17]
	s_cbranch_execz .LBB59_698
.LBB59_1146:
	v_lshlrev_b32_e32 v24, 3, v15
	v_sub_u32_e32 v24, v22, v24
	v_lshl_add_u32 v24, v14, 3, v24
	ds_read_b64 v[24:25], v24 offset:18240
	ds_read_b64 v[26:27], v22 offset:16664
	s_waitcnt lgkmcnt(0)
	v_mul_f32_e32 v28, v27, v25
	v_mul_f32_e32 v25, v26, v25
	v_fma_f32 v26, v26, v24, -v28
	v_fmac_f32_e32 v25, v27, v24
	v_add_f32_e32 v21, v21, v26
	v_add_f32_e32 v23, v23, v25
	s_or_b64 exec, exec, s[20:21]
	v_cmp_gt_u32_e64 s[16:17], 32, v1
	s_and_saveexec_b64 s[20:21], s[16:17]
	s_cbranch_execz .LBB59_699
.LBB59_1147:
	ds_read_b64 v[24:25], v11 offset:18752
	ds_read_b64 v[26:27], v22 offset:16672
	s_waitcnt lgkmcnt(0)
	v_mul_f32_e32 v28, v27, v25
	v_mul_f32_e32 v25, v26, v25
	v_fma_f32 v26, v26, v24, -v28
	v_fmac_f32_e32 v25, v27, v24
	v_add_f32_e32 v21, v21, v26
	v_add_f32_e32 v23, v23, v25
	s_or_b64 exec, exec, s[20:21]
	v_cmp_gt_u32_e64 s[16:17], 24, v1
	s_and_saveexec_b64 s[20:21], s[16:17]
	s_cbranch_execz .LBB59_700
.LBB59_1148:
	v_lshlrev_b32_e32 v24, 3, v15
	v_sub_u32_e32 v24, v22, v24
	v_lshl_add_u32 v24, v14, 3, v24
	ds_read_b64 v[24:25], v24 offset:19264
	ds_read_b64 v[26:27], v22 offset:16680
	s_waitcnt lgkmcnt(0)
	v_mul_f32_e32 v28, v27, v25
	v_mul_f32_e32 v25, v26, v25
	v_fma_f32 v26, v26, v24, -v28
	v_fmac_f32_e32 v25, v27, v24
	v_add_f32_e32 v21, v21, v26
	v_add_f32_e32 v23, v23, v25
	s_or_b64 exec, exec, s[20:21]
	v_cmp_gt_u32_e64 s[16:17], 16, v1
	s_and_saveexec_b64 s[20:21], s[16:17]
	s_cbranch_execz .LBB59_701
.LBB59_1149:
	ds_read_b64 v[24:25], v11 offset:19776
	ds_read_b64 v[26:27], v22 offset:16688
	s_waitcnt lgkmcnt(0)
	v_mul_f32_e32 v22, v27, v25
	v_mul_f32_e32 v25, v26, v25
	v_fma_f32 v22, v26, v24, -v22
	v_fmac_f32_e32 v25, v27, v24
	v_add_f32_e32 v21, v21, v22
	v_add_f32_e32 v23, v23, v25
	s_or_b64 exec, exec, s[20:21]
	v_cmp_gt_u32_e64 s[16:17], 8, v1
	s_and_saveexec_b64 s[20:21], s[16:17]
	s_cbranch_execnz .LBB59_702
	s_branch .LBB59_703
.LBB59_1150:
	v_lshlrev_b32_e32 v24, 3, v10
	v_sub_u32_e32 v24, v22, v24
	v_lshl_add_u32 v24, v9, 3, v24
	ds_read_b64 v[24:25], v24 offset:21344
	ds_read_b64 v[26:27], v22 offset:20808
	s_waitcnt lgkmcnt(0)
	v_mul_f32_e32 v28, v27, v25
	v_mul_f32_e32 v25, v26, v25
	v_fma_f32 v26, v26, v24, -v28
	v_fmac_f32_e32 v25, v27, v24
	v_add_f32_e32 v21, v21, v26
	v_add_f32_e32 v23, v23, v25
	s_or_b64 exec, exec, s[20:21]
	v_cmp_gt_u32_e64 s[16:17], 8, v1
	s_and_saveexec_b64 s[20:21], s[16:17]
	s_cbranch_execz .LBB59_759
.LBB59_1151:
	ds_read_b64 v[24:25], v6 offset:21856
	ds_read_b64 v[26:27], v22 offset:20816
	s_waitcnt lgkmcnt(0)
	v_mul_f32_e32 v22, v27, v25
	v_mul_f32_e32 v25, v26, v25
	v_fma_f32 v22, v26, v24, -v22
	v_fmac_f32_e32 v25, v27, v24
	v_add_f32_e32 v21, v21, v22
	v_add_f32_e32 v23, v23, v25
	s_or_b64 exec, exec, s[20:21]
	v_cmp_gt_u32_e64 s[16:17], 4, v1
	s_and_saveexec_b64 s[20:21], s[16:17]
	s_cbranch_execnz .LBB59_760
	s_branch .LBB59_761
.LBB59_1152:
	v_lshlrev_b32_e32 v20, 3, v17
	v_lshl_add_u32 v20, v19, 3, v20
	ds_read_b64 v[24:25], v20 offset:22400
	ds_read_b64 v[26:27], v22 offset:16728
	s_waitcnt lgkmcnt(0)
	v_mul_f32_e32 v20, v27, v25
	v_mul_f32_e32 v25, v26, v25
	v_fma_f32 v20, v26, v24, -v20
	v_fmac_f32_e32 v25, v27, v24
	v_add_f32_e32 v21, v21, v20
	v_add_f32_e32 v23, v23, v25
	s_or_b64 exec, exec, s[20:21]
	v_cmp_gt_u32_e64 s[16:17], 64, v1
	s_and_saveexec_b64 s[20:21], s[16:17]
	s_cbranch_execz .LBB59_821
.LBB59_1153:
	ds_read_b64 v[24:25], v16 offset:22912
	ds_read_b64 v[26:27], v22 offset:16736
	s_waitcnt lgkmcnt(0)
	v_mul_f32_e32 v20, v27, v25
	v_mul_f32_e32 v25, v26, v25
	v_fma_f32 v20, v26, v24, -v20
	v_fmac_f32_e32 v25, v27, v24
	v_add_f32_e32 v21, v21, v20
	v_add_f32_e32 v23, v23, v25
	s_or_b64 exec, exec, s[20:21]
	v_cmp_gt_u32_e64 s[16:17], 48, v1
	s_and_saveexec_b64 s[20:21], s[16:17]
	s_cbranch_execz .LBB59_822
.LBB59_1154:
	v_lshlrev_b32_e32 v20, 3, v17
	v_lshl_add_u32 v19, v19, 3, v20
	ds_read_b64 v[19:20], v19 offset:23424
	ds_read_b64 v[24:25], v22 offset:16744
	s_waitcnt lgkmcnt(0)
	v_mul_f32_e32 v26, v25, v20
	v_mul_f32_e32 v20, v24, v20
	v_fma_f32 v24, v24, v19, -v26
	v_fmac_f32_e32 v20, v25, v19
	v_add_f32_e32 v21, v21, v24
	v_add_f32_e32 v23, v23, v20
	s_or_b64 exec, exec, s[20:21]
	v_cmp_gt_u32_e64 s[16:17], 32, v1
	s_and_saveexec_b64 s[20:21], s[16:17]
	s_cbranch_execz .LBB59_823
.LBB59_1155:
	ds_read_b64 v[19:20], v16 offset:23936
	ds_read_b64 v[24:25], v22 offset:16752
	s_waitcnt lgkmcnt(0)
	v_mul_f32_e32 v22, v25, v20
	v_mul_f32_e32 v20, v24, v20
	v_fma_f32 v22, v24, v19, -v22
	v_fmac_f32_e32 v20, v25, v19
	v_add_f32_e32 v21, v21, v22
	v_add_f32_e32 v23, v23, v20
	s_or_b64 exec, exec, s[20:21]
	v_cmp_gt_u32_e64 s[16:17], 16, v1
	s_and_saveexec_b64 s[20:21], s[16:17]
	s_cbranch_execnz .LBB59_824
	s_branch .LBB59_825
.LBB59_1156:
	v_lshlrev_b32_e32 v19, 3, v10
	v_sub_u32_e32 v19, v17, v19
	v_lshl_add_u32 v19, v9, 3, v19
	ds_read_b64 v[19:20], v19 offset:25504
	ds_read_b64 v[21:22], v17 offset:24968
	s_waitcnt lgkmcnt(0)
	v_mul_f32_e32 v23, v22, v20
	v_mul_f32_e32 v20, v21, v20
	v_fma_f32 v21, v21, v19, -v23
	v_fmac_f32_e32 v20, v22, v19
	v_add_f32_e32 v16, v16, v21
	v_add_f32_e32 v18, v18, v20
	s_or_b64 exec, exec, s[16:17]
	v_cmp_gt_u32_e64 s[14:15], 8, v1
	s_and_saveexec_b64 s[16:17], s[14:15]
	s_cbranch_execz .LBB59_913
.LBB59_1157:
	ds_read_b64 v[19:20], v6 offset:26016
	ds_read_b64 v[21:22], v17 offset:24976
	s_waitcnt lgkmcnt(0)
	v_mul_f32_e32 v17, v22, v20
	v_mul_f32_e32 v20, v21, v20
	v_fma_f32 v17, v21, v19, -v17
	v_fmac_f32_e32 v20, v22, v19
	v_add_f32_e32 v16, v16, v17
	v_add_f32_e32 v18, v18, v20
	s_or_b64 exec, exec, s[16:17]
	v_cmp_gt_u32_e64 s[14:15], 4, v1
	s_and_saveexec_b64 s[16:17], s[14:15]
	s_cbranch_execnz .LBB59_914
	s_branch .LBB59_915
.LBB59_1158:
	v_lshlrev_b32_e32 v19, 3, v15
	v_sub_u32_e32 v19, v17, v19
	v_lshl_add_u32 v19, v14, 3, v19
	ds_read_b64 v[19:20], v19 offset:25536
	ds_read_b64 v[21:22], v17 offset:24968
	s_waitcnt lgkmcnt(0)
	v_mul_f32_e32 v23, v22, v20
	v_mul_f32_e32 v20, v21, v20
	v_fma_f32 v21, v21, v19, -v23
	v_fmac_f32_e32 v20, v22, v19
	v_add_f32_e32 v16, v16, v21
	v_add_f32_e32 v18, v18, v20
	s_or_b64 exec, exec, s[16:17]
	v_cmp_gt_u32_e64 s[14:15], 48, v1
	s_and_saveexec_b64 s[16:17], s[14:15]
	s_cbranch_execz .LBB59_955
.LBB59_1159:
	v_lshlrev_b32_e32 v19, 3, v15
	v_sub_u32_e32 v19, v17, v19
	v_lshl_add_u32 v19, v14, 3, v19
	ds_read_b64 v[19:20], v19 offset:26048
	ds_read_b64 v[21:22], v17 offset:24976
	s_waitcnt lgkmcnt(0)
	v_mul_f32_e32 v23, v22, v20
	v_mul_f32_e32 v20, v21, v20
	v_fma_f32 v21, v21, v19, -v23
	v_fmac_f32_e32 v20, v22, v19
	v_add_f32_e32 v16, v16, v21
	v_add_f32_e32 v18, v18, v20
	s_or_b64 exec, exec, s[16:17]
	v_cmp_gt_u32_e64 s[14:15], 40, v1
	s_and_saveexec_b64 s[16:17], s[14:15]
	s_cbranch_execz .LBB59_956
.LBB59_1160:
	v_lshlrev_b32_e32 v19, 3, v15
	v_sub_u32_e32 v19, v17, v19
	v_lshl_add_u32 v19, v14, 3, v19
	ds_read_b64 v[19:20], v19 offset:26560
	ds_read_b64 v[21:22], v17 offset:24984
	s_waitcnt lgkmcnt(0)
	v_mul_f32_e32 v23, v22, v20
	v_mul_f32_e32 v20, v21, v20
	v_fma_f32 v21, v21, v19, -v23
	v_fmac_f32_e32 v20, v22, v19
	v_add_f32_e32 v16, v16, v21
	v_add_f32_e32 v18, v18, v20
	s_or_b64 exec, exec, s[16:17]
	v_cmp_gt_u32_e64 s[14:15], 32, v1
	s_and_saveexec_b64 s[16:17], s[14:15]
	s_cbranch_execz .LBB59_957
.LBB59_1161:
	ds_read_b64 v[19:20], v11 offset:27072
	ds_read_b64 v[21:22], v17 offset:24992
	s_waitcnt lgkmcnt(0)
	v_mul_f32_e32 v23, v22, v20
	v_mul_f32_e32 v20, v21, v20
	v_fma_f32 v21, v21, v19, -v23
	v_fmac_f32_e32 v20, v22, v19
	v_add_f32_e32 v16, v16, v21
	v_add_f32_e32 v18, v18, v20
	s_or_b64 exec, exec, s[16:17]
	v_cmp_gt_u32_e64 s[14:15], 24, v1
	s_and_saveexec_b64 s[16:17], s[14:15]
	s_cbranch_execz .LBB59_958
.LBB59_1162:
	v_lshlrev_b32_e32 v15, 3, v15
	v_sub_u32_e32 v15, v17, v15
	v_lshl_add_u32 v14, v14, 3, v15
	ds_read_b64 v[14:15], v14 offset:27584
	ds_read_b64 v[19:20], v17 offset:25000
	s_waitcnt lgkmcnt(0)
	v_mul_f32_e32 v21, v20, v15
	v_mul_f32_e32 v15, v19, v15
	v_fma_f32 v19, v19, v14, -v21
	v_fmac_f32_e32 v15, v20, v14
	v_add_f32_e32 v16, v16, v19
	v_add_f32_e32 v18, v18, v15
	s_or_b64 exec, exec, s[16:17]
	v_cmp_gt_u32_e64 s[14:15], 16, v1
	s_and_saveexec_b64 s[16:17], s[14:15]
	s_cbranch_execz .LBB59_959
.LBB59_1163:
	ds_read_b64 v[14:15], v11 offset:28096
	ds_read_b64 v[19:20], v17 offset:25008
	s_waitcnt lgkmcnt(0)
	v_mul_f32_e32 v17, v20, v15
	v_mul_f32_e32 v15, v19, v15
	v_fma_f32 v17, v19, v14, -v17
	v_fmac_f32_e32 v15, v20, v14
	v_add_f32_e32 v16, v16, v17
	v_add_f32_e32 v18, v18, v15
	s_or_b64 exec, exec, s[16:17]
	v_cmp_gt_u32_e64 s[14:15], 8, v1
	s_and_saveexec_b64 s[16:17], s[14:15]
	s_cbranch_execnz .LBB59_960
	s_branch .LBB59_961
.LBB59_1164:
	v_lshlrev_b32_e32 v10, 3, v10
	v_sub_u32_e32 v10, v12, v10
	v_lshl_add_u32 v9, v9, 3, v10
	ds_read_b64 v[9:10], v9 offset:29664
	ds_read_b64 v[14:15], v12 offset:29128
	s_waitcnt lgkmcnt(0)
	v_mul_f32_e32 v16, v15, v10
	v_mul_f32_e32 v10, v14, v10
	v_fma_f32 v14, v14, v9, -v16
	v_fmac_f32_e32 v10, v15, v9
	v_add_f32_e32 v11, v11, v14
	v_add_f32_e32 v13, v13, v10
	s_or_b64 exec, exec, s[14:15]
	v_cmp_gt_u32_e64 s[12:13], 8, v1
	s_and_saveexec_b64 s[14:15], s[12:13]
	s_cbranch_execz .LBB59_1017
.LBB59_1165:
	ds_read_b64 v[9:10], v6 offset:30176
	ds_read_b64 v[14:15], v12 offset:29136
	s_waitcnt lgkmcnt(0)
	v_mul_f32_e32 v12, v15, v10
	v_mul_f32_e32 v10, v14, v10
	v_fma_f32 v12, v14, v9, -v12
	v_fmac_f32_e32 v10, v15, v9
	v_add_f32_e32 v11, v11, v12
	v_add_f32_e32 v13, v13, v10
	s_or_b64 exec, exec, s[14:15]
	v_cmp_gt_u32_e64 s[12:13], 4, v1
	s_and_saveexec_b64 s[14:15], s[12:13]
	s_cbranch_execnz .LBB59_1018
	s_branch .LBB59_1019
	.section	.rodata,"a",@progbits
	.p2align	6, 0x0
	.amdhsa_kernel _ZL19rocblas_trsv_deviceILi64ELi16ELb1ELb1ELb0ELb0E19rocblas_complex_numIfEPKS1_S3_PS1_EviT7_lllT6_T8_lllPii
		.amdhsa_group_segment_fixed_size 41480
		.amdhsa_private_segment_fixed_size 48
		.amdhsa_kernarg_size 352
		.amdhsa_user_sgpr_count 8
		.amdhsa_user_sgpr_private_segment_buffer 1
		.amdhsa_user_sgpr_dispatch_ptr 0
		.amdhsa_user_sgpr_queue_ptr 0
		.amdhsa_user_sgpr_kernarg_segment_ptr 1
		.amdhsa_user_sgpr_dispatch_id 0
		.amdhsa_user_sgpr_flat_scratch_init 1
		.amdhsa_user_sgpr_private_segment_size 0
		.amdhsa_uses_dynamic_stack 0
		.amdhsa_system_sgpr_private_segment_wavefront_offset 1
		.amdhsa_system_sgpr_workgroup_id_x 1
		.amdhsa_system_sgpr_workgroup_id_y 0
		.amdhsa_system_sgpr_workgroup_id_z 1
		.amdhsa_system_sgpr_workgroup_info 0
		.amdhsa_system_vgpr_workitem_id 1
		.amdhsa_next_free_vgpr 49
		.amdhsa_next_free_sgpr 100
		.amdhsa_reserve_vcc 1
		.amdhsa_reserve_flat_scratch 1
		.amdhsa_float_round_mode_32 0
		.amdhsa_float_round_mode_16_64 0
		.amdhsa_float_denorm_mode_32 3
		.amdhsa_float_denorm_mode_16_64 3
		.amdhsa_dx10_clamp 1
		.amdhsa_ieee_mode 1
		.amdhsa_fp16_overflow 0
		.amdhsa_exception_fp_ieee_invalid_op 0
		.amdhsa_exception_fp_denorm_src 0
		.amdhsa_exception_fp_ieee_div_zero 0
		.amdhsa_exception_fp_ieee_overflow 0
		.amdhsa_exception_fp_ieee_underflow 0
		.amdhsa_exception_fp_ieee_inexact 0
		.amdhsa_exception_int_div_zero 0
	.end_amdhsa_kernel
	.section	.text._ZL19rocblas_trsv_deviceILi64ELi16ELb1ELb1ELb0ELb0E19rocblas_complex_numIfEPKS1_S3_PS1_EviT7_lllT6_T8_lllPii,"axG",@progbits,_ZL19rocblas_trsv_deviceILi64ELi16ELb1ELb1ELb0ELb0E19rocblas_complex_numIfEPKS1_S3_PS1_EviT7_lllT6_T8_lllPii,comdat
.Lfunc_end59:
	.size	_ZL19rocblas_trsv_deviceILi64ELi16ELb1ELb1ELb0ELb0E19rocblas_complex_numIfEPKS1_S3_PS1_EviT7_lllT6_T8_lllPii, .Lfunc_end59-_ZL19rocblas_trsv_deviceILi64ELi16ELb1ELb1ELb0ELb0E19rocblas_complex_numIfEPKS1_S3_PS1_EviT7_lllT6_T8_lllPii
                                        ; -- End function
	.set _ZL19rocblas_trsv_deviceILi64ELi16ELb1ELb1ELb0ELb0E19rocblas_complex_numIfEPKS1_S3_PS1_EviT7_lllT6_T8_lllPii.num_vgpr, 36
	.set _ZL19rocblas_trsv_deviceILi64ELi16ELb1ELb1ELb0ELb0E19rocblas_complex_numIfEPKS1_S3_PS1_EviT7_lllT6_T8_lllPii.num_agpr, 0
	.set _ZL19rocblas_trsv_deviceILi64ELi16ELb1ELb1ELb0ELb0E19rocblas_complex_numIfEPKS1_S3_PS1_EviT7_lllT6_T8_lllPii.numbered_sgpr, 100
	.set _ZL19rocblas_trsv_deviceILi64ELi16ELb1ELb1ELb0ELb0E19rocblas_complex_numIfEPKS1_S3_PS1_EviT7_lllT6_T8_lllPii.num_named_barrier, 0
	.set _ZL19rocblas_trsv_deviceILi64ELi16ELb1ELb1ELb0ELb0E19rocblas_complex_numIfEPKS1_S3_PS1_EviT7_lllT6_T8_lllPii.private_seg_size, 48
	.set _ZL19rocblas_trsv_deviceILi64ELi16ELb1ELb1ELb0ELb0E19rocblas_complex_numIfEPKS1_S3_PS1_EviT7_lllT6_T8_lllPii.uses_vcc, 1
	.set _ZL19rocblas_trsv_deviceILi64ELi16ELb1ELb1ELb0ELb0E19rocblas_complex_numIfEPKS1_S3_PS1_EviT7_lllT6_T8_lllPii.uses_flat_scratch, 1
	.set _ZL19rocblas_trsv_deviceILi64ELi16ELb1ELb1ELb0ELb0E19rocblas_complex_numIfEPKS1_S3_PS1_EviT7_lllT6_T8_lllPii.has_dyn_sized_stack, 0
	.set _ZL19rocblas_trsv_deviceILi64ELi16ELb1ELb1ELb0ELb0E19rocblas_complex_numIfEPKS1_S3_PS1_EviT7_lllT6_T8_lllPii.has_recursion, 0
	.set _ZL19rocblas_trsv_deviceILi64ELi16ELb1ELb1ELb0ELb0E19rocblas_complex_numIfEPKS1_S3_PS1_EviT7_lllT6_T8_lllPii.has_indirect_call, 0
	.section	.AMDGPU.csdata,"",@progbits
; Kernel info:
; codeLenInByte = 49632
; TotalNumSgprs: 106
; NumVgprs: 36
; ScratchSize: 48
; MemoryBound: 1
; FloatMode: 240
; IeeeMode: 1
; LDSByteSize: 41480 bytes/workgroup (compile time only)
; SGPRBlocks: 13
; VGPRBlocks: 12
; NumSGPRsForWavesPerEU: 106
; NumVGPRsForWavesPerEU: 49
; Occupancy: 4
; WaveLimiterHint : 0
; COMPUTE_PGM_RSRC2:SCRATCH_EN: 1
; COMPUTE_PGM_RSRC2:USER_SGPR: 8
; COMPUTE_PGM_RSRC2:TRAP_HANDLER: 0
; COMPUTE_PGM_RSRC2:TGID_X_EN: 1
; COMPUTE_PGM_RSRC2:TGID_Y_EN: 0
; COMPUTE_PGM_RSRC2:TGID_Z_EN: 1
; COMPUTE_PGM_RSRC2:TIDIG_COMP_CNT: 1
	.section	.text._ZL19rocblas_trsv_deviceILi64ELi16ELb1ELb1ELb1ELb0E19rocblas_complex_numIfEPKS1_S3_PS1_EviT7_lllT6_T8_lllPii,"axG",@progbits,_ZL19rocblas_trsv_deviceILi64ELi16ELb1ELb1ELb1ELb0E19rocblas_complex_numIfEPKS1_S3_PS1_EviT7_lllT6_T8_lllPii,comdat
	.globl	_ZL19rocblas_trsv_deviceILi64ELi16ELb1ELb1ELb1ELb0E19rocblas_complex_numIfEPKS1_S3_PS1_EviT7_lllT6_T8_lllPii ; -- Begin function _ZL19rocblas_trsv_deviceILi64ELi16ELb1ELb1ELb1ELb0E19rocblas_complex_numIfEPKS1_S3_PS1_EviT7_lllT6_T8_lllPii
	.p2align	8
	.type	_ZL19rocblas_trsv_deviceILi64ELi16ELb1ELb1ELb1ELb0E19rocblas_complex_numIfEPKS1_S3_PS1_EviT7_lllT6_T8_lllPii,@function
_ZL19rocblas_trsv_deviceILi64ELi16ELb1ELb1ELb1ELb0E19rocblas_complex_numIfEPKS1_S3_PS1_EviT7_lllT6_T8_lllPii: ; @_ZL19rocblas_trsv_deviceILi64ELi16ELb1ELb1ELb1ELb0E19rocblas_complex_numIfEPKS1_S3_PS1_EviT7_lllT6_T8_lllPii
; %bb.0:
	s_load_dwordx16 s[36:51], s[4:5], 0x8
	s_load_dword s24, s[4:5], 0x0
	s_mov_b32 s22, s7
	v_mov_b32_e32 v2, v1
	s_mov_b32 s23, 0
	s_waitcnt lgkmcnt(0)
	s_mul_i32 s0, s43, s7
	s_mul_hi_u32 s1, s42, s7
	s_add_i32 s1, s1, s0
	s_mul_i32 s0, s42, s7
	s_load_dword s7, s[4:5], 0x60
	s_lshl_b64 s[0:1], s[0:1], 3
	s_add_u32 s2, s36, s0
	s_addc_u32 s3, s37, s1
	s_lshl_b64 s[0:1], s[38:39], 3
	s_load_dwordx2 s[34:35], s[44:45], 0x0
	s_load_dword s28, s[4:5], 0x6c
	s_add_u32 s93, s2, s0
	s_addc_u32 s94, s3, s1
	s_waitcnt lgkmcnt(0)
	s_add_i32 s7, s7, -1
	s_sub_i32 s95, s7, s6
	s_cmp_lg_u32 s6, 0
	s_cbranch_scc0 .LBB60_1119
; %bb.1:
	s_lshl_b32 s33, s95, 6
	v_add_u32_e32 v1, s33, v0
	v_ashrrev_i32_e32 v3, 31, v1
	v_mul_lo_u32 v5, s40, v3
	v_mul_lo_u32 v6, s41, v1
	v_mad_u64_u32 v[3:4], s[0:1], s40, v1, 0
	v_add3_u32 v7, v2, s33, 64
	v_ashrrev_i32_e32 v8, 31, v7
	v_add3_u32 v4, v4, v5, v6
	v_lshlrev_b64 v[3:4], 3, v[3:4]
	v_cmp_gt_i32_e32 vcc, s24, v1
	v_mov_b32_e32 v1, s94
	v_add_co_u32_e64 v5, s[0:1], s93, v3
	v_addc_co_u32_e64 v1, s[0:1], v1, v4, s[0:1]
	v_lshlrev_b64 v[3:4], 3, v[7:8]
	v_mov_b32_e32 v6, 0
	v_add_co_u32_e64 v11, s[0:1], v5, v3
	v_addc_co_u32_e64 v12, s[0:1], v1, v4, s[0:1]
	v_cmp_gt_i32_e64 s[0:1], s24, v7
	s_and_b64 s[2:3], s[0:1], vcc
	v_mov_b32_e32 v3, 0
	v_mov_b32_e32 v5, 0
	s_barrier
	s_and_saveexec_b64 s[0:1], s[2:3]
	s_cbranch_execz .LBB60_3
; %bb.2:
	global_load_dwordx2 v[5:6], v[11:12], off
.LBB60_3:
	s_or_b64 exec, exec, s[0:1]
	v_add_u32_e32 v1, 16, v7
	v_cmp_gt_i32_e64 s[0:1], s24, v1
	s_and_b64 s[2:3], s[0:1], vcc
	v_mov_b32_e32 v4, 0
	s_waitcnt vmcnt(0)
	s_barrier
	s_and_saveexec_b64 s[0:1], s[2:3]
	s_cbranch_execz .LBB60_5
; %bb.4:
	global_load_dwordx2 v[3:4], v[11:12], off offset:128
.LBB60_5:
	s_or_b64 exec, exec, s[0:1]
	v_add_u32_e32 v1, 32, v7
	v_cmp_gt_i32_e64 s[0:1], s24, v1
	s_and_b64 s[2:3], s[0:1], vcc
	v_mov_b32_e32 v8, 0
	v_mov_b32_e32 v9, 0
	;; [unrolled: 1-line block ×3, first 2 shown]
	s_waitcnt vmcnt(0)
	s_barrier
	s_and_saveexec_b64 s[0:1], s[2:3]
	s_cbranch_execz .LBB60_7
; %bb.6:
	global_load_dwordx2 v[9:10], v[11:12], off offset:256
.LBB60_7:
	s_or_b64 exec, exec, s[0:1]
	v_add_u32_e32 v1, 48, v7
	v_cmp_gt_i32_e64 s[0:1], s24, v1
	s_and_b64 s[2:3], s[0:1], vcc
	v_mov_b32_e32 v7, 0
	s_waitcnt vmcnt(0)
	s_barrier
	s_and_saveexec_b64 s[0:1], s[2:3]
	s_cbranch_execz .LBB60_9
; %bb.8:
	global_load_dwordx2 v[7:8], v[11:12], off offset:384
.LBB60_9:
	s_or_b64 exec, exec, s[0:1]
	s_branch .LBB60_11
.LBB60_10:
	s_lshl_b32 s33, s95, 6
                                        ; implicit-def: $vgpr5
                                        ; implicit-def: $vgpr3
                                        ; implicit-def: $vgpr9
                                        ; implicit-def: $vgpr7
.LBB60_11:
	s_ashr_i32 s25, s24, 31
	s_lshr_b32 s0, s25, 26
	s_add_i32 s0, s24, s0
	s_andn2_b32 s0, s0, 63
	s_sub_i32 s92, s24, s0
	s_add_i32 s0, s24, -1
	s_ashr_i32 s1, s0, 31
	s_lshr_b32 s1, s1, 26
	s_add_i32 s0, s0, s1
	s_ashr_i32 s0, s0, 6
	s_cmp_eq_u32 s0, s95
	s_cselect_b64 s[0:1], -1, 0
	s_cmp_lg_u32 s92, 0
	s_cselect_b64 s[2:3], -1, 0
	s_and_b64 s[26:27], s[2:3], s[0:1]
	s_cmp_lt_i32 s6, 5
	s_cselect_b64 s[2:3], -1, 0
	s_or_b64 s[0:1], s[2:3], s[26:27]
	s_ashr_i32 s42, s33, 31
	s_add_u32 s10, s40, 1
	v_mov_b32_e32 v1, 0
	v_mov_b32_e32 v11, s33
	v_mad_u64_u32 v[11:12], s[8:9], s10, v11, v[0:1]
	s_addc_u32 s11, s41, 0
	s_mul_i32 s8, s10, s42
	s_mul_i32 s11, s11, s33
	v_lshlrev_b32_e32 v17, 6, v0
	s_add_i32 s8, s8, s11
	s_mov_b64 s[12:13], -1
	v_add_u32_e32 v12, s8, v12
	s_and_b64 vcc, exec, s[26:27]
	v_add_u32_e32 v18, v2, v17
	v_cmp_le_u32_e64 s[8:9], v0, v2
	v_lshl_add_u32 v1, v2, 6, v0
	s_cbranch_vccnz .LBB60_69
; %bb.12:
	v_mad_u64_u32 v[13:14], s[10:11], s40, v2, v[11:12]
	v_cndmask_b32_e64 v19, v1, v18, s[2:3]
	v_mad_u64_u32 v[14:15], s[10:11], s41, v2, v[14:15]
	s_and_saveexec_b64 s[2:3], s[8:9]
	s_xor_b64 s[2:3], exec, s[2:3]
	s_cbranch_execz .LBB60_24
; %bb.13:
	v_cmp_ne_u32_e32 vcc, v0, v2
	s_and_saveexec_b64 s[8:9], vcc
	s_xor_b64 s[8:9], exec, s[8:9]
	s_cbranch_execz .LBB60_17
; %bb.14:
	v_or_b32_e32 v13, v2, v0
	v_cmp_gt_u32_e32 vcc, 64, v13
	s_and_saveexec_b64 s[10:11], vcc
; %bb.15:
	v_mov_b32_e32 v13, 0
	v_lshlrev_b32_e32 v15, 3, v19
	v_mov_b32_e32 v14, v13
	ds_write_b64 v15, v[13:14]
; %bb.16:
	s_or_b64 exec, exec, s[10:11]
                                        ; implicit-def: $vgpr19
                                        ; implicit-def: $vgpr13_vgpr14
.LBB60_17:
	s_andn2_saveexec_b64 s[8:9], s[8:9]
	s_cbranch_execz .LBB60_23
; %bb.18:
	v_lshlrev_b64 v[13:14], 3, v[13:14]
	v_mov_b32_e32 v15, s94
	v_add_co_u32_e32 v13, vcc, s93, v13
	v_addc_co_u32_e32 v14, vcc, v15, v14, vcc
	global_load_dwordx2 v[13:14], v[13:14], off
                                        ; implicit-def: $vgpr15
	s_waitcnt vmcnt(0)
	v_cmp_ngt_f32_e64 s[10:11], |v13|, |v14|
	s_and_saveexec_b64 s[12:13], s[10:11]
	s_xor_b64 s[10:11], exec, s[12:13]
	s_cbranch_execz .LBB60_20
; %bb.19:
	v_div_scale_f32 v15, s[12:13], -v14, -v14, v13
	v_div_scale_f32 v16, vcc, v13, -v14, v13
	v_rcp_f32_e32 v20, v15
	v_fma_f32 v21, -v15, v20, 1.0
	v_fmac_f32_e32 v20, v21, v20
	v_mul_f32_e32 v21, v16, v20
	v_fma_f32 v22, -v15, v21, v16
	v_fmac_f32_e32 v21, v22, v20
	v_fma_f32 v15, -v15, v21, v16
	v_div_fmas_f32 v15, v15, v20, v21
	v_div_fixup_f32 v15, v15, -v14, v13
	v_fma_f32 v13, v13, v15, -v14
	v_div_scale_f32 v14, s[12:13], v13, v13, 1.0
	v_div_scale_f32 v16, vcc, 1.0, v13, 1.0
	v_rcp_f32_e32 v20, v14
	v_fma_f32 v21, -v14, v20, 1.0
	v_fmac_f32_e32 v20, v21, v20
	v_mul_f32_e32 v21, v16, v20
	v_fma_f32 v22, -v14, v21, v16
	v_fmac_f32_e32 v21, v22, v20
	v_fma_f32 v14, -v14, v21, v16
	v_div_fmas_f32 v14, v14, v20, v21
	v_div_fixup_f32 v13, v14, v13, 1.0
	v_mul_f32_e32 v15, v15, v13
	v_xor_b32_e32 v16, 0x80000000, v13
                                        ; implicit-def: $vgpr13_vgpr14
.LBB60_20:
	s_andn2_saveexec_b64 s[10:11], s[10:11]
	s_cbranch_execz .LBB60_22
; %bb.21:
	v_div_scale_f32 v15, s[12:13], v13, v13, -v14
	v_div_scale_f32 v16, vcc, -v14, v13, -v14
	v_rcp_f32_e32 v20, v15
	v_fma_f32 v21, -v15, v20, 1.0
	v_fmac_f32_e32 v20, v21, v20
	v_mul_f32_e32 v21, v16, v20
	v_fma_f32 v22, -v15, v21, v16
	v_fmac_f32_e32 v21, v22, v20
	v_fma_f32 v15, -v15, v21, v16
	v_div_fmas_f32 v15, v15, v20, v21
	v_div_fixup_f32 v16, v15, v13, -v14
	v_fma_f32 v13, -v14, v16, v13
	v_div_scale_f32 v14, s[12:13], v13, v13, 1.0
	v_div_scale_f32 v15, vcc, 1.0, v13, 1.0
	v_rcp_f32_e32 v20, v14
	v_fma_f32 v21, -v14, v20, 1.0
	v_fmac_f32_e32 v20, v21, v20
	v_mul_f32_e32 v21, v15, v20
	v_fma_f32 v22, -v14, v21, v15
	v_fmac_f32_e32 v21, v22, v20
	v_fma_f32 v14, -v14, v21, v15
	v_div_fmas_f32 v14, v14, v20, v21
	v_div_fixup_f32 v15, v14, v13, 1.0
	v_mul_f32_e64 v16, v16, -v15
.LBB60_22:
	s_or_b64 exec, exec, s[10:11]
	v_lshlrev_b32_e32 v13, 3, v19
	ds_write_b64 v13, v[15:16]
.LBB60_23:
	s_or_b64 exec, exec, s[8:9]
                                        ; implicit-def: $vgpr13_vgpr14
                                        ; implicit-def: $vgpr19
.LBB60_24:
	s_andn2_saveexec_b64 s[2:3], s[2:3]
	s_cbranch_execz .LBB60_26
; %bb.25:
	v_lshlrev_b64 v[13:14], 3, v[13:14]
	v_mov_b32_e32 v15, s94
	v_add_co_u32_e32 v13, vcc, s93, v13
	v_addc_co_u32_e32 v14, vcc, v15, v14, vcc
	global_load_dwordx2 v[13:14], v[13:14], off
	v_lshlrev_b32_e32 v15, 3, v19
	s_waitcnt vmcnt(0)
	v_xor_b32_e32 v13, 0x80000000, v13
	ds_write_b64 v15, v[13:14]
.LBB60_26:
	s_or_b64 exec, exec, s[2:3]
	v_add_u32_e32 v15, 16, v2
	v_mad_u64_u32 v[13:14], s[2:3], s40, v15, v[11:12]
	v_lshl_add_u32 v16, v15, 6, v0
	v_cmp_le_u32_e32 vcc, v0, v15
	v_mad_u64_u32 v[20:21], s[2:3], s41, v15, v[14:15]
	v_add_u32_e32 v14, v15, v17
	v_cndmask_b32_e64 v19, v16, v14, s[0:1]
	v_mov_b32_e32 v14, v20
	s_and_saveexec_b64 s[2:3], vcc
	s_xor_b64 s[2:3], exec, s[2:3]
	s_cbranch_execz .LBB60_38
; %bb.27:
	v_cmp_ne_u32_e32 vcc, v0, v15
	s_and_saveexec_b64 s[8:9], vcc
	s_xor_b64 s[8:9], exec, s[8:9]
	s_cbranch_execz .LBB60_31
; %bb.28:
	v_or_b32_e32 v13, v15, v0
	v_cmp_gt_u32_e32 vcc, 64, v13
	s_and_saveexec_b64 s[10:11], vcc
; %bb.29:
	v_mov_b32_e32 v13, 0
	v_lshlrev_b32_e32 v15, 3, v19
	v_mov_b32_e32 v14, v13
	ds_write_b64 v15, v[13:14]
; %bb.30:
	s_or_b64 exec, exec, s[10:11]
                                        ; implicit-def: $vgpr19
                                        ; implicit-def: $vgpr13_vgpr14
.LBB60_31:
	s_andn2_saveexec_b64 s[8:9], s[8:9]
	s_cbranch_execz .LBB60_37
; %bb.32:
	v_lshlrev_b64 v[13:14], 3, v[13:14]
	v_mov_b32_e32 v15, s94
	v_add_co_u32_e32 v13, vcc, s93, v13
	v_addc_co_u32_e32 v14, vcc, v15, v14, vcc
	global_load_dwordx2 v[13:14], v[13:14], off
                                        ; implicit-def: $vgpr15
	s_waitcnt vmcnt(0)
	v_cmp_ngt_f32_e64 s[10:11], |v13|, |v14|
	s_and_saveexec_b64 s[12:13], s[10:11]
	s_xor_b64 s[10:11], exec, s[12:13]
	s_cbranch_execz .LBB60_34
; %bb.33:
	v_div_scale_f32 v15, s[12:13], -v14, -v14, v13
	v_div_scale_f32 v16, vcc, v13, -v14, v13
	v_rcp_f32_e32 v20, v15
	v_fma_f32 v21, -v15, v20, 1.0
	v_fmac_f32_e32 v20, v21, v20
	v_mul_f32_e32 v21, v16, v20
	v_fma_f32 v22, -v15, v21, v16
	v_fmac_f32_e32 v21, v22, v20
	v_fma_f32 v15, -v15, v21, v16
	v_div_fmas_f32 v15, v15, v20, v21
	v_div_fixup_f32 v15, v15, -v14, v13
	v_fma_f32 v13, v13, v15, -v14
	v_div_scale_f32 v14, s[12:13], v13, v13, 1.0
	v_div_scale_f32 v16, vcc, 1.0, v13, 1.0
	v_rcp_f32_e32 v20, v14
	v_fma_f32 v21, -v14, v20, 1.0
	v_fmac_f32_e32 v20, v21, v20
	v_mul_f32_e32 v21, v16, v20
	v_fma_f32 v22, -v14, v21, v16
	v_fmac_f32_e32 v21, v22, v20
	v_fma_f32 v14, -v14, v21, v16
	v_div_fmas_f32 v14, v14, v20, v21
	v_div_fixup_f32 v13, v14, v13, 1.0
	v_mul_f32_e32 v15, v15, v13
	v_xor_b32_e32 v16, 0x80000000, v13
                                        ; implicit-def: $vgpr13_vgpr14
.LBB60_34:
	s_andn2_saveexec_b64 s[10:11], s[10:11]
	s_cbranch_execz .LBB60_36
; %bb.35:
	v_div_scale_f32 v15, s[12:13], v13, v13, -v14
	v_div_scale_f32 v16, vcc, -v14, v13, -v14
	v_rcp_f32_e32 v20, v15
	v_fma_f32 v21, -v15, v20, 1.0
	v_fmac_f32_e32 v20, v21, v20
	v_mul_f32_e32 v21, v16, v20
	v_fma_f32 v22, -v15, v21, v16
	v_fmac_f32_e32 v21, v22, v20
	v_fma_f32 v15, -v15, v21, v16
	v_div_fmas_f32 v15, v15, v20, v21
	v_div_fixup_f32 v16, v15, v13, -v14
	v_fma_f32 v13, -v14, v16, v13
	v_div_scale_f32 v14, s[12:13], v13, v13, 1.0
	v_div_scale_f32 v15, vcc, 1.0, v13, 1.0
	v_rcp_f32_e32 v20, v14
	v_fma_f32 v21, -v14, v20, 1.0
	v_fmac_f32_e32 v20, v21, v20
	v_mul_f32_e32 v21, v15, v20
	v_fma_f32 v22, -v14, v21, v15
	v_fmac_f32_e32 v21, v22, v20
	v_fma_f32 v14, -v14, v21, v15
	v_div_fmas_f32 v14, v14, v20, v21
	v_div_fixup_f32 v15, v14, v13, 1.0
	v_mul_f32_e64 v16, v16, -v15
.LBB60_36:
	s_or_b64 exec, exec, s[10:11]
	v_lshlrev_b32_e32 v13, 3, v19
	ds_write_b64 v13, v[15:16]
.LBB60_37:
	s_or_b64 exec, exec, s[8:9]
                                        ; implicit-def: $vgpr13_vgpr14
                                        ; implicit-def: $vgpr19
.LBB60_38:
	s_andn2_saveexec_b64 s[2:3], s[2:3]
	s_cbranch_execz .LBB60_40
; %bb.39:
	v_lshlrev_b64 v[13:14], 3, v[13:14]
	v_mov_b32_e32 v15, s94
	v_add_co_u32_e32 v13, vcc, s93, v13
	v_addc_co_u32_e32 v14, vcc, v15, v14, vcc
	global_load_dwordx2 v[13:14], v[13:14], off
	v_lshlrev_b32_e32 v15, 3, v19
	s_waitcnt vmcnt(0)
	v_xor_b32_e32 v13, 0x80000000, v13
	ds_write_b64 v15, v[13:14]
.LBB60_40:
	s_or_b64 exec, exec, s[2:3]
	v_add_u32_e32 v15, 32, v2
	v_mad_u64_u32 v[13:14], s[2:3], s40, v15, v[11:12]
	v_lshl_add_u32 v16, v15, 6, v0
	v_cmp_le_u32_e32 vcc, v0, v15
	v_mad_u64_u32 v[20:21], s[2:3], s41, v15, v[14:15]
	v_add_u32_e32 v14, v15, v17
	v_cndmask_b32_e64 v19, v16, v14, s[0:1]
	v_mov_b32_e32 v14, v20
	s_and_saveexec_b64 s[2:3], vcc
	s_xor_b64 s[2:3], exec, s[2:3]
	s_cbranch_execz .LBB60_52
; %bb.41:
	v_cmp_ne_u32_e32 vcc, v0, v15
	s_and_saveexec_b64 s[8:9], vcc
	s_xor_b64 s[8:9], exec, s[8:9]
	s_cbranch_execz .LBB60_45
; %bb.42:
	v_or_b32_e32 v13, v15, v0
	v_cmp_gt_u32_e32 vcc, 64, v13
	s_and_saveexec_b64 s[10:11], vcc
; %bb.43:
	v_mov_b32_e32 v13, 0
	v_lshlrev_b32_e32 v15, 3, v19
	v_mov_b32_e32 v14, v13
	ds_write_b64 v15, v[13:14]
; %bb.44:
	s_or_b64 exec, exec, s[10:11]
                                        ; implicit-def: $vgpr19
                                        ; implicit-def: $vgpr13_vgpr14
.LBB60_45:
	s_andn2_saveexec_b64 s[8:9], s[8:9]
	s_cbranch_execz .LBB60_51
; %bb.46:
	v_lshlrev_b64 v[13:14], 3, v[13:14]
	v_mov_b32_e32 v15, s94
	v_add_co_u32_e32 v13, vcc, s93, v13
	v_addc_co_u32_e32 v14, vcc, v15, v14, vcc
	global_load_dwordx2 v[13:14], v[13:14], off
                                        ; implicit-def: $vgpr15
	s_waitcnt vmcnt(0)
	v_cmp_ngt_f32_e64 s[10:11], |v13|, |v14|
	s_and_saveexec_b64 s[12:13], s[10:11]
	s_xor_b64 s[10:11], exec, s[12:13]
	s_cbranch_execz .LBB60_48
; %bb.47:
	v_div_scale_f32 v15, s[12:13], -v14, -v14, v13
	v_div_scale_f32 v16, vcc, v13, -v14, v13
	v_rcp_f32_e32 v20, v15
	v_fma_f32 v21, -v15, v20, 1.0
	v_fmac_f32_e32 v20, v21, v20
	v_mul_f32_e32 v21, v16, v20
	v_fma_f32 v22, -v15, v21, v16
	v_fmac_f32_e32 v21, v22, v20
	v_fma_f32 v15, -v15, v21, v16
	v_div_fmas_f32 v15, v15, v20, v21
	v_div_fixup_f32 v15, v15, -v14, v13
	v_fma_f32 v13, v13, v15, -v14
	v_div_scale_f32 v14, s[12:13], v13, v13, 1.0
	v_div_scale_f32 v16, vcc, 1.0, v13, 1.0
	v_rcp_f32_e32 v20, v14
	v_fma_f32 v21, -v14, v20, 1.0
	v_fmac_f32_e32 v20, v21, v20
	v_mul_f32_e32 v21, v16, v20
	v_fma_f32 v22, -v14, v21, v16
	v_fmac_f32_e32 v21, v22, v20
	v_fma_f32 v14, -v14, v21, v16
	v_div_fmas_f32 v14, v14, v20, v21
	v_div_fixup_f32 v13, v14, v13, 1.0
	v_mul_f32_e32 v15, v15, v13
	v_xor_b32_e32 v16, 0x80000000, v13
                                        ; implicit-def: $vgpr13_vgpr14
.LBB60_48:
	s_andn2_saveexec_b64 s[10:11], s[10:11]
	s_cbranch_execz .LBB60_50
; %bb.49:
	v_div_scale_f32 v15, s[12:13], v13, v13, -v14
	v_div_scale_f32 v16, vcc, -v14, v13, -v14
	v_rcp_f32_e32 v20, v15
	v_fma_f32 v21, -v15, v20, 1.0
	v_fmac_f32_e32 v20, v21, v20
	v_mul_f32_e32 v21, v16, v20
	v_fma_f32 v22, -v15, v21, v16
	v_fmac_f32_e32 v21, v22, v20
	v_fma_f32 v15, -v15, v21, v16
	v_div_fmas_f32 v15, v15, v20, v21
	v_div_fixup_f32 v16, v15, v13, -v14
	v_fma_f32 v13, -v14, v16, v13
	v_div_scale_f32 v14, s[12:13], v13, v13, 1.0
	v_div_scale_f32 v15, vcc, 1.0, v13, 1.0
	v_rcp_f32_e32 v20, v14
	v_fma_f32 v21, -v14, v20, 1.0
	v_fmac_f32_e32 v20, v21, v20
	v_mul_f32_e32 v21, v15, v20
	v_fma_f32 v22, -v14, v21, v15
	v_fmac_f32_e32 v21, v22, v20
	v_fma_f32 v14, -v14, v21, v15
	v_div_fmas_f32 v14, v14, v20, v21
	v_div_fixup_f32 v15, v14, v13, 1.0
	v_mul_f32_e64 v16, v16, -v15
.LBB60_50:
	s_or_b64 exec, exec, s[10:11]
	v_lshlrev_b32_e32 v13, 3, v19
	ds_write_b64 v13, v[15:16]
.LBB60_51:
	s_or_b64 exec, exec, s[8:9]
                                        ; implicit-def: $vgpr13_vgpr14
                                        ; implicit-def: $vgpr19
.LBB60_52:
	s_andn2_saveexec_b64 s[2:3], s[2:3]
	s_cbranch_execz .LBB60_54
; %bb.53:
	v_lshlrev_b64 v[13:14], 3, v[13:14]
	v_mov_b32_e32 v15, s94
	v_add_co_u32_e32 v13, vcc, s93, v13
	v_addc_co_u32_e32 v14, vcc, v15, v14, vcc
	global_load_dwordx2 v[13:14], v[13:14], off
	v_lshlrev_b32_e32 v15, 3, v19
	s_waitcnt vmcnt(0)
	v_xor_b32_e32 v13, 0x80000000, v13
	ds_write_b64 v15, v[13:14]
.LBB60_54:
	s_or_b64 exec, exec, s[2:3]
	v_add_u32_e32 v15, 48, v2
	v_mad_u64_u32 v[13:14], s[2:3], s40, v15, v[11:12]
	v_lshl_add_u32 v16, v15, 6, v0
	v_cmp_le_u32_e32 vcc, v0, v15
	v_mad_u64_u32 v[20:21], s[2:3], s41, v15, v[14:15]
	v_add_u32_e32 v14, v15, v17
	v_cndmask_b32_e64 v19, v16, v14, s[0:1]
	v_mov_b32_e32 v14, v20
	s_and_saveexec_b64 s[2:3], vcc
	s_xor_b64 s[2:3], exec, s[2:3]
	s_cbranch_execz .LBB60_66
; %bb.55:
	v_cmp_ne_u32_e32 vcc, v0, v15
	s_and_saveexec_b64 s[8:9], vcc
	s_xor_b64 s[8:9], exec, s[8:9]
	s_cbranch_execz .LBB60_59
; %bb.56:
	v_or_b32_e32 v13, v15, v0
	v_cmp_gt_u32_e32 vcc, 64, v13
	s_and_saveexec_b64 s[10:11], vcc
; %bb.57:
	v_mov_b32_e32 v13, 0
	v_lshlrev_b32_e32 v15, 3, v19
	v_mov_b32_e32 v14, v13
	ds_write_b64 v15, v[13:14]
; %bb.58:
	s_or_b64 exec, exec, s[10:11]
                                        ; implicit-def: $vgpr19
                                        ; implicit-def: $vgpr13_vgpr14
.LBB60_59:
	s_andn2_saveexec_b64 s[8:9], s[8:9]
	s_cbranch_execz .LBB60_65
; %bb.60:
	v_lshlrev_b64 v[13:14], 3, v[13:14]
	v_mov_b32_e32 v15, s94
	v_add_co_u32_e32 v13, vcc, s93, v13
	v_addc_co_u32_e32 v14, vcc, v15, v14, vcc
	global_load_dwordx2 v[13:14], v[13:14], off
                                        ; implicit-def: $vgpr15
	s_waitcnt vmcnt(0)
	v_cmp_ngt_f32_e64 s[10:11], |v13|, |v14|
	s_and_saveexec_b64 s[12:13], s[10:11]
	s_xor_b64 s[10:11], exec, s[12:13]
	s_cbranch_execz .LBB60_62
; %bb.61:
	v_div_scale_f32 v15, s[12:13], -v14, -v14, v13
	v_div_scale_f32 v16, vcc, v13, -v14, v13
	v_rcp_f32_e32 v20, v15
	v_fma_f32 v21, -v15, v20, 1.0
	v_fmac_f32_e32 v20, v21, v20
	v_mul_f32_e32 v21, v16, v20
	v_fma_f32 v22, -v15, v21, v16
	v_fmac_f32_e32 v21, v22, v20
	v_fma_f32 v15, -v15, v21, v16
	v_div_fmas_f32 v15, v15, v20, v21
	v_div_fixup_f32 v15, v15, -v14, v13
	v_fma_f32 v13, v13, v15, -v14
	v_div_scale_f32 v14, s[12:13], v13, v13, 1.0
	v_div_scale_f32 v16, vcc, 1.0, v13, 1.0
	v_rcp_f32_e32 v20, v14
	v_fma_f32 v21, -v14, v20, 1.0
	v_fmac_f32_e32 v20, v21, v20
	v_mul_f32_e32 v21, v16, v20
	v_fma_f32 v22, -v14, v21, v16
	v_fmac_f32_e32 v21, v22, v20
	v_fma_f32 v14, -v14, v21, v16
	v_div_fmas_f32 v14, v14, v20, v21
	v_div_fixup_f32 v13, v14, v13, 1.0
	v_mul_f32_e32 v15, v15, v13
	v_xor_b32_e32 v16, 0x80000000, v13
                                        ; implicit-def: $vgpr13_vgpr14
.LBB60_62:
	s_andn2_saveexec_b64 s[10:11], s[10:11]
	s_cbranch_execz .LBB60_64
; %bb.63:
	v_div_scale_f32 v15, s[12:13], v13, v13, -v14
	v_div_scale_f32 v16, vcc, -v14, v13, -v14
	v_rcp_f32_e32 v20, v15
	v_fma_f32 v21, -v15, v20, 1.0
	v_fmac_f32_e32 v20, v21, v20
	v_mul_f32_e32 v21, v16, v20
	v_fma_f32 v22, -v15, v21, v16
	v_fmac_f32_e32 v21, v22, v20
	v_fma_f32 v15, -v15, v21, v16
	v_div_fmas_f32 v15, v15, v20, v21
	v_div_fixup_f32 v16, v15, v13, -v14
	v_fma_f32 v13, -v14, v16, v13
	v_div_scale_f32 v14, s[12:13], v13, v13, 1.0
	v_div_scale_f32 v15, vcc, 1.0, v13, 1.0
	v_rcp_f32_e32 v20, v14
	v_fma_f32 v21, -v14, v20, 1.0
	v_fmac_f32_e32 v20, v21, v20
	v_mul_f32_e32 v21, v15, v20
	v_fma_f32 v22, -v14, v21, v15
	v_fmac_f32_e32 v21, v22, v20
	v_fma_f32 v14, -v14, v21, v15
	v_div_fmas_f32 v14, v14, v20, v21
	v_div_fixup_f32 v15, v14, v13, 1.0
	v_mul_f32_e64 v16, v16, -v15
.LBB60_64:
	s_or_b64 exec, exec, s[10:11]
	v_lshlrev_b32_e32 v13, 3, v19
	ds_write_b64 v13, v[15:16]
.LBB60_65:
	s_or_b64 exec, exec, s[8:9]
                                        ; implicit-def: $vgpr13_vgpr14
                                        ; implicit-def: $vgpr19
.LBB60_66:
	s_andn2_saveexec_b64 s[2:3], s[2:3]
	s_cbranch_execz .LBB60_68
; %bb.67:
	v_lshlrev_b64 v[13:14], 3, v[13:14]
	v_mov_b32_e32 v15, s94
	v_add_co_u32_e32 v13, vcc, s93, v13
	v_addc_co_u32_e32 v14, vcc, v15, v14, vcc
	global_load_dwordx2 v[13:14], v[13:14], off
	v_lshlrev_b32_e32 v15, 3, v19
	s_waitcnt vmcnt(0)
	v_xor_b32_e32 v13, 0x80000000, v13
	ds_write_b64 v15, v[13:14]
.LBB60_68:
	s_or_b64 exec, exec, s[2:3]
	s_mov_b64 s[12:13], 0
.LBB60_69:
	s_xor_b64 s[10:11], s[0:1], -1
	s_and_b64 vcc, exec, s[12:13]
	s_cbranch_vccz .LBB60_127
; %bb.70:
	v_mad_u64_u32 v[13:14], s[2:3], s40, v2, v[11:12]
	v_cmp_le_u32_e32 vcc, v0, v2
	v_cmp_gt_i32_e64 s[2:3], s92, v0
	v_mad_u64_u32 v[14:15], s[8:9], s41, v2, v[14:15]
	v_max_i32_e32 v15, v2, v0
	v_cmp_le_i32_e64 s[8:9], s92, v15
	s_or_b64 s[8:9], s[8:9], vcc
	s_and_saveexec_b64 s[12:13], s[8:9]
	s_xor_b64 s[8:9], exec, s[12:13]
	s_cbranch_execz .LBB60_82
; %bb.71:
	v_cmp_ne_u32_e32 vcc, v0, v2
	s_xor_b64 s[12:13], s[2:3], -1
	s_or_b64 s[12:13], s[12:13], vcc
	s_and_saveexec_b64 s[14:15], s[12:13]
	s_xor_b64 s[12:13], exec, s[14:15]
	s_cbranch_execz .LBB60_75
; %bb.72:
	v_or_b32_e32 v13, v2, v0
	v_cmp_gt_u32_e32 vcc, 64, v13
	s_and_saveexec_b64 s[14:15], vcc
; %bb.73:
	v_mov_b32_e32 v13, 0
	v_lshlrev_b32_e32 v15, 3, v18
	v_mov_b32_e32 v14, v13
	ds_write_b64 v15, v[13:14]
; %bb.74:
	s_or_b64 exec, exec, s[14:15]
                                        ; implicit-def: $vgpr18
                                        ; implicit-def: $vgpr13_vgpr14
.LBB60_75:
	s_andn2_saveexec_b64 s[12:13], s[12:13]
	s_cbranch_execz .LBB60_81
; %bb.76:
	v_lshlrev_b64 v[13:14], 3, v[13:14]
	v_mov_b32_e32 v15, s94
	v_add_co_u32_e32 v13, vcc, s93, v13
	v_addc_co_u32_e32 v14, vcc, v15, v14, vcc
	global_load_dwordx2 v[13:14], v[13:14], off
                                        ; implicit-def: $vgpr15
	s_waitcnt vmcnt(0)
	v_cmp_ngt_f32_e64 s[14:15], |v13|, |v14|
	s_and_saveexec_b64 s[16:17], s[14:15]
	s_xor_b64 s[14:15], exec, s[16:17]
	s_cbranch_execz .LBB60_78
; %bb.77:
	v_div_scale_f32 v15, s[16:17], -v14, -v14, v13
	v_div_scale_f32 v16, vcc, v13, -v14, v13
	v_rcp_f32_e32 v19, v15
	v_fma_f32 v20, -v15, v19, 1.0
	v_fmac_f32_e32 v19, v20, v19
	v_mul_f32_e32 v20, v16, v19
	v_fma_f32 v21, -v15, v20, v16
	v_fmac_f32_e32 v20, v21, v19
	v_fma_f32 v15, -v15, v20, v16
	v_div_fmas_f32 v15, v15, v19, v20
	v_div_fixup_f32 v15, v15, -v14, v13
	v_fma_f32 v13, v13, v15, -v14
	v_div_scale_f32 v14, s[16:17], v13, v13, 1.0
	v_div_scale_f32 v16, vcc, 1.0, v13, 1.0
	v_rcp_f32_e32 v19, v14
	v_fma_f32 v20, -v14, v19, 1.0
	v_fmac_f32_e32 v19, v20, v19
	v_mul_f32_e32 v20, v16, v19
	v_fma_f32 v21, -v14, v20, v16
	v_fmac_f32_e32 v20, v21, v19
	v_fma_f32 v14, -v14, v20, v16
	v_div_fmas_f32 v14, v14, v19, v20
	v_div_fixup_f32 v13, v14, v13, 1.0
	v_mul_f32_e32 v15, v15, v13
	v_xor_b32_e32 v16, 0x80000000, v13
                                        ; implicit-def: $vgpr13_vgpr14
.LBB60_78:
	s_andn2_saveexec_b64 s[14:15], s[14:15]
	s_cbranch_execz .LBB60_80
; %bb.79:
	v_div_scale_f32 v15, s[16:17], v13, v13, -v14
	v_div_scale_f32 v16, vcc, -v14, v13, -v14
	v_rcp_f32_e32 v19, v15
	v_fma_f32 v20, -v15, v19, 1.0
	v_fmac_f32_e32 v19, v20, v19
	v_mul_f32_e32 v20, v16, v19
	v_fma_f32 v21, -v15, v20, v16
	v_fmac_f32_e32 v20, v21, v19
	v_fma_f32 v15, -v15, v20, v16
	v_div_fmas_f32 v15, v15, v19, v20
	v_div_fixup_f32 v16, v15, v13, -v14
	v_fma_f32 v13, -v14, v16, v13
	v_div_scale_f32 v14, s[16:17], v13, v13, 1.0
	v_div_scale_f32 v15, vcc, 1.0, v13, 1.0
	v_rcp_f32_e32 v19, v14
	v_fma_f32 v20, -v14, v19, 1.0
	v_fmac_f32_e32 v19, v20, v19
	v_mul_f32_e32 v20, v15, v19
	v_fma_f32 v21, -v14, v20, v15
	v_fmac_f32_e32 v20, v21, v19
	v_fma_f32 v14, -v14, v20, v15
	v_div_fmas_f32 v14, v14, v19, v20
	v_div_fixup_f32 v15, v14, v13, 1.0
	v_mul_f32_e64 v16, v16, -v15
.LBB60_80:
	s_or_b64 exec, exec, s[14:15]
	v_lshlrev_b32_e32 v13, 3, v18
	ds_write_b64 v13, v[15:16]
.LBB60_81:
	s_or_b64 exec, exec, s[12:13]
                                        ; implicit-def: $vgpr13_vgpr14
                                        ; implicit-def: $vgpr18
.LBB60_82:
	s_andn2_saveexec_b64 s[8:9], s[8:9]
	s_cbranch_execz .LBB60_84
; %bb.83:
	v_lshlrev_b64 v[13:14], 3, v[13:14]
	v_mov_b32_e32 v15, s94
	v_add_co_u32_e32 v13, vcc, s93, v13
	v_addc_co_u32_e32 v14, vcc, v15, v14, vcc
	global_load_dwordx2 v[13:14], v[13:14], off
	v_lshlrev_b32_e32 v15, 3, v18
	s_waitcnt vmcnt(0)
	v_xor_b32_e32 v13, 0x80000000, v13
	ds_write_b64 v15, v[13:14]
.LBB60_84:
	s_or_b64 exec, exec, s[8:9]
	v_add_u32_e32 v15, 16, v2
	v_mad_u64_u32 v[13:14], s[8:9], s40, v15, v[11:12]
	v_cmp_gt_u32_e32 vcc, v0, v15
	v_add_u32_e32 v16, v15, v17
	v_mad_u64_u32 v[19:20], s[8:9], s41, v15, v[14:15]
	v_cmp_gt_i32_e64 s[8:9], s92, v15
	s_and_b64 s[8:9], vcc, s[8:9]
	v_lshl_add_u32 v14, v15, 6, v0
	s_and_b64 s[8:9], s[2:3], s[8:9]
	v_cndmask_b32_e64 v18, v14, v16, s[0:1]
	v_mov_b32_e32 v14, v19
	s_xor_b64 s[8:9], s[8:9], -1
	s_and_saveexec_b64 s[12:13], s[8:9]
	s_xor_b64 s[8:9], exec, s[12:13]
	s_cbranch_execz .LBB60_96
; %bb.85:
	v_cmp_ne_u32_e32 vcc, v0, v15
	s_xor_b64 s[12:13], s[2:3], -1
	s_or_b64 s[12:13], s[12:13], vcc
	s_and_saveexec_b64 s[14:15], s[12:13]
	s_xor_b64 s[12:13], exec, s[14:15]
	s_cbranch_execz .LBB60_89
; %bb.86:
	v_or_b32_e32 v13, v15, v0
	v_cmp_gt_u32_e32 vcc, 64, v13
	s_and_saveexec_b64 s[14:15], vcc
; %bb.87:
	v_mov_b32_e32 v13, 0
	v_lshlrev_b32_e32 v15, 3, v18
	v_mov_b32_e32 v14, v13
	ds_write_b64 v15, v[13:14]
; %bb.88:
	s_or_b64 exec, exec, s[14:15]
                                        ; implicit-def: $vgpr18
                                        ; implicit-def: $vgpr13_vgpr14
.LBB60_89:
	s_andn2_saveexec_b64 s[12:13], s[12:13]
	s_cbranch_execz .LBB60_95
; %bb.90:
	v_lshlrev_b64 v[13:14], 3, v[13:14]
	v_mov_b32_e32 v15, s94
	v_add_co_u32_e32 v13, vcc, s93, v13
	v_addc_co_u32_e32 v14, vcc, v15, v14, vcc
	global_load_dwordx2 v[13:14], v[13:14], off
                                        ; implicit-def: $vgpr15
	s_waitcnt vmcnt(0)
	v_cmp_ngt_f32_e64 s[14:15], |v13|, |v14|
	s_and_saveexec_b64 s[16:17], s[14:15]
	s_xor_b64 s[14:15], exec, s[16:17]
	s_cbranch_execz .LBB60_92
; %bb.91:
	v_div_scale_f32 v15, s[16:17], -v14, -v14, v13
	v_div_scale_f32 v16, vcc, v13, -v14, v13
	v_rcp_f32_e32 v19, v15
	v_fma_f32 v20, -v15, v19, 1.0
	v_fmac_f32_e32 v19, v20, v19
	v_mul_f32_e32 v20, v16, v19
	v_fma_f32 v21, -v15, v20, v16
	v_fmac_f32_e32 v20, v21, v19
	v_fma_f32 v15, -v15, v20, v16
	v_div_fmas_f32 v15, v15, v19, v20
	v_div_fixup_f32 v15, v15, -v14, v13
	v_fma_f32 v13, v13, v15, -v14
	v_div_scale_f32 v14, s[16:17], v13, v13, 1.0
	v_div_scale_f32 v16, vcc, 1.0, v13, 1.0
	v_rcp_f32_e32 v19, v14
	v_fma_f32 v20, -v14, v19, 1.0
	v_fmac_f32_e32 v19, v20, v19
	v_mul_f32_e32 v20, v16, v19
	v_fma_f32 v21, -v14, v20, v16
	v_fmac_f32_e32 v20, v21, v19
	v_fma_f32 v14, -v14, v20, v16
	v_div_fmas_f32 v14, v14, v19, v20
	v_div_fixup_f32 v13, v14, v13, 1.0
	v_mul_f32_e32 v15, v15, v13
	v_xor_b32_e32 v16, 0x80000000, v13
                                        ; implicit-def: $vgpr13_vgpr14
.LBB60_92:
	s_andn2_saveexec_b64 s[14:15], s[14:15]
	s_cbranch_execz .LBB60_94
; %bb.93:
	v_div_scale_f32 v15, s[16:17], v13, v13, -v14
	v_div_scale_f32 v16, vcc, -v14, v13, -v14
	v_rcp_f32_e32 v19, v15
	v_fma_f32 v20, -v15, v19, 1.0
	v_fmac_f32_e32 v19, v20, v19
	v_mul_f32_e32 v20, v16, v19
	v_fma_f32 v21, -v15, v20, v16
	v_fmac_f32_e32 v20, v21, v19
	v_fma_f32 v15, -v15, v20, v16
	v_div_fmas_f32 v15, v15, v19, v20
	v_div_fixup_f32 v16, v15, v13, -v14
	v_fma_f32 v13, -v14, v16, v13
	v_div_scale_f32 v14, s[16:17], v13, v13, 1.0
	v_div_scale_f32 v15, vcc, 1.0, v13, 1.0
	v_rcp_f32_e32 v19, v14
	v_fma_f32 v20, -v14, v19, 1.0
	v_fmac_f32_e32 v19, v20, v19
	v_mul_f32_e32 v20, v15, v19
	v_fma_f32 v21, -v14, v20, v15
	v_fmac_f32_e32 v20, v21, v19
	v_fma_f32 v14, -v14, v20, v15
	v_div_fmas_f32 v14, v14, v19, v20
	v_div_fixup_f32 v15, v14, v13, 1.0
	v_mul_f32_e64 v16, v16, -v15
.LBB60_94:
	s_or_b64 exec, exec, s[14:15]
	v_lshlrev_b32_e32 v13, 3, v18
	ds_write_b64 v13, v[15:16]
.LBB60_95:
	s_or_b64 exec, exec, s[12:13]
                                        ; implicit-def: $vgpr13_vgpr14
                                        ; implicit-def: $vgpr18
.LBB60_96:
	s_andn2_saveexec_b64 s[8:9], s[8:9]
	s_cbranch_execz .LBB60_98
; %bb.97:
	v_lshlrev_b64 v[13:14], 3, v[13:14]
	v_mov_b32_e32 v15, s94
	v_add_co_u32_e32 v13, vcc, s93, v13
	v_addc_co_u32_e32 v14, vcc, v15, v14, vcc
	global_load_dwordx2 v[13:14], v[13:14], off
	v_lshlrev_b32_e32 v15, 3, v18
	s_waitcnt vmcnt(0)
	v_xor_b32_e32 v13, 0x80000000, v13
	ds_write_b64 v15, v[13:14]
.LBB60_98:
	s_or_b64 exec, exec, s[8:9]
	v_add_u32_e32 v15, 32, v2
	v_mad_u64_u32 v[13:14], s[8:9], s40, v15, v[11:12]
	v_cmp_gt_u32_e32 vcc, v0, v15
	v_add_u32_e32 v16, v15, v17
	v_mad_u64_u32 v[19:20], s[8:9], s41, v15, v[14:15]
	v_cmp_gt_i32_e64 s[8:9], s92, v15
	s_and_b64 s[8:9], vcc, s[8:9]
	v_lshl_add_u32 v14, v15, 6, v0
	s_and_b64 s[8:9], s[2:3], s[8:9]
	v_cndmask_b32_e64 v18, v14, v16, s[0:1]
	v_mov_b32_e32 v14, v19
	s_xor_b64 s[8:9], s[8:9], -1
	s_and_saveexec_b64 s[12:13], s[8:9]
	s_xor_b64 s[8:9], exec, s[12:13]
	s_cbranch_execz .LBB60_110
; %bb.99:
	v_cmp_ne_u32_e32 vcc, v0, v15
	s_xor_b64 s[12:13], s[2:3], -1
	s_or_b64 s[12:13], s[12:13], vcc
	s_and_saveexec_b64 s[14:15], s[12:13]
	s_xor_b64 s[12:13], exec, s[14:15]
	s_cbranch_execz .LBB60_103
; %bb.100:
	v_or_b32_e32 v13, v15, v0
	v_cmp_gt_u32_e32 vcc, 64, v13
	s_and_saveexec_b64 s[14:15], vcc
; %bb.101:
	v_mov_b32_e32 v13, 0
	v_lshlrev_b32_e32 v15, 3, v18
	v_mov_b32_e32 v14, v13
	ds_write_b64 v15, v[13:14]
; %bb.102:
	s_or_b64 exec, exec, s[14:15]
                                        ; implicit-def: $vgpr18
                                        ; implicit-def: $vgpr13_vgpr14
.LBB60_103:
	s_andn2_saveexec_b64 s[12:13], s[12:13]
	s_cbranch_execz .LBB60_109
; %bb.104:
	v_lshlrev_b64 v[13:14], 3, v[13:14]
	v_mov_b32_e32 v15, s94
	v_add_co_u32_e32 v13, vcc, s93, v13
	v_addc_co_u32_e32 v14, vcc, v15, v14, vcc
	global_load_dwordx2 v[13:14], v[13:14], off
                                        ; implicit-def: $vgpr15
	s_waitcnt vmcnt(0)
	v_cmp_ngt_f32_e64 s[14:15], |v13|, |v14|
	s_and_saveexec_b64 s[16:17], s[14:15]
	s_xor_b64 s[14:15], exec, s[16:17]
	s_cbranch_execz .LBB60_106
; %bb.105:
	v_div_scale_f32 v15, s[16:17], -v14, -v14, v13
	v_div_scale_f32 v16, vcc, v13, -v14, v13
	v_rcp_f32_e32 v19, v15
	v_fma_f32 v20, -v15, v19, 1.0
	v_fmac_f32_e32 v19, v20, v19
	v_mul_f32_e32 v20, v16, v19
	v_fma_f32 v21, -v15, v20, v16
	v_fmac_f32_e32 v20, v21, v19
	v_fma_f32 v15, -v15, v20, v16
	v_div_fmas_f32 v15, v15, v19, v20
	v_div_fixup_f32 v15, v15, -v14, v13
	v_fma_f32 v13, v13, v15, -v14
	v_div_scale_f32 v14, s[16:17], v13, v13, 1.0
	v_div_scale_f32 v16, vcc, 1.0, v13, 1.0
	v_rcp_f32_e32 v19, v14
	v_fma_f32 v20, -v14, v19, 1.0
	v_fmac_f32_e32 v19, v20, v19
	v_mul_f32_e32 v20, v16, v19
	v_fma_f32 v21, -v14, v20, v16
	v_fmac_f32_e32 v20, v21, v19
	v_fma_f32 v14, -v14, v20, v16
	v_div_fmas_f32 v14, v14, v19, v20
	v_div_fixup_f32 v13, v14, v13, 1.0
	v_mul_f32_e32 v15, v15, v13
	v_xor_b32_e32 v16, 0x80000000, v13
                                        ; implicit-def: $vgpr13_vgpr14
.LBB60_106:
	s_andn2_saveexec_b64 s[14:15], s[14:15]
	s_cbranch_execz .LBB60_108
; %bb.107:
	v_div_scale_f32 v15, s[16:17], v13, v13, -v14
	v_div_scale_f32 v16, vcc, -v14, v13, -v14
	v_rcp_f32_e32 v19, v15
	v_fma_f32 v20, -v15, v19, 1.0
	v_fmac_f32_e32 v19, v20, v19
	v_mul_f32_e32 v20, v16, v19
	v_fma_f32 v21, -v15, v20, v16
	v_fmac_f32_e32 v20, v21, v19
	v_fma_f32 v15, -v15, v20, v16
	v_div_fmas_f32 v15, v15, v19, v20
	v_div_fixup_f32 v16, v15, v13, -v14
	v_fma_f32 v13, -v14, v16, v13
	v_div_scale_f32 v14, s[16:17], v13, v13, 1.0
	v_div_scale_f32 v15, vcc, 1.0, v13, 1.0
	v_rcp_f32_e32 v19, v14
	v_fma_f32 v20, -v14, v19, 1.0
	v_fmac_f32_e32 v19, v20, v19
	v_mul_f32_e32 v20, v15, v19
	v_fma_f32 v21, -v14, v20, v15
	v_fmac_f32_e32 v20, v21, v19
	v_fma_f32 v14, -v14, v20, v15
	v_div_fmas_f32 v14, v14, v19, v20
	v_div_fixup_f32 v15, v14, v13, 1.0
	v_mul_f32_e64 v16, v16, -v15
.LBB60_108:
	s_or_b64 exec, exec, s[14:15]
	v_lshlrev_b32_e32 v13, 3, v18
	ds_write_b64 v13, v[15:16]
.LBB60_109:
	s_or_b64 exec, exec, s[12:13]
                                        ; implicit-def: $vgpr13_vgpr14
                                        ; implicit-def: $vgpr18
.LBB60_110:
	s_andn2_saveexec_b64 s[8:9], s[8:9]
	s_cbranch_execz .LBB60_112
; %bb.111:
	v_lshlrev_b64 v[13:14], 3, v[13:14]
	v_mov_b32_e32 v15, s94
	v_add_co_u32_e32 v13, vcc, s93, v13
	v_addc_co_u32_e32 v14, vcc, v15, v14, vcc
	global_load_dwordx2 v[13:14], v[13:14], off
	v_lshlrev_b32_e32 v15, 3, v18
	s_waitcnt vmcnt(0)
	v_xor_b32_e32 v13, 0x80000000, v13
	ds_write_b64 v15, v[13:14]
.LBB60_112:
	s_or_b64 exec, exec, s[8:9]
	v_add_u32_e32 v13, 48, v2
	v_mad_u64_u32 v[11:12], s[8:9], s40, v13, v[11:12]
	v_add_u32_e32 v16, v13, v17
	v_cmp_gt_u32_e32 vcc, v0, v13
	v_mad_u64_u32 v[14:15], s[8:9], s41, v13, v[12:13]
	v_lshl_add_u32 v12, v13, 6, v0
	v_cndmask_b32_e64 v15, v12, v16, s[0:1]
	v_cmp_gt_i32_e64 s[0:1], s92, v13
	s_and_b64 s[0:1], vcc, s[0:1]
	s_and_b64 s[0:1], s[2:3], s[0:1]
	v_mov_b32_e32 v12, v14
	s_xor_b64 s[0:1], s[0:1], -1
	s_and_saveexec_b64 s[8:9], s[0:1]
	s_xor_b64 s[0:1], exec, s[8:9]
	s_cbranch_execz .LBB60_124
; %bb.113:
	v_cmp_ne_u32_e32 vcc, v0, v13
	s_xor_b64 s[2:3], s[2:3], -1
	s_or_b64 s[2:3], s[2:3], vcc
	s_and_saveexec_b64 s[8:9], s[2:3]
	s_xor_b64 s[2:3], exec, s[8:9]
	s_cbranch_execz .LBB60_117
; %bb.114:
	v_or_b32_e32 v11, v13, v0
	v_cmp_gt_u32_e32 vcc, 64, v11
	s_and_saveexec_b64 s[8:9], vcc
; %bb.115:
	v_mov_b32_e32 v11, 0
	v_lshlrev_b32_e32 v13, 3, v15
	v_mov_b32_e32 v12, v11
	ds_write_b64 v13, v[11:12]
; %bb.116:
	s_or_b64 exec, exec, s[8:9]
                                        ; implicit-def: $vgpr15
                                        ; implicit-def: $vgpr11_vgpr12
.LBB60_117:
	s_andn2_saveexec_b64 s[2:3], s[2:3]
	s_cbranch_execz .LBB60_123
; %bb.118:
	v_lshlrev_b64 v[11:12], 3, v[11:12]
	v_mov_b32_e32 v13, s94
	v_add_co_u32_e32 v11, vcc, s93, v11
	v_addc_co_u32_e32 v12, vcc, v13, v12, vcc
	global_load_dwordx2 v[11:12], v[11:12], off
                                        ; implicit-def: $vgpr13
	s_waitcnt vmcnt(0)
	v_cmp_ngt_f32_e64 s[8:9], |v11|, |v12|
	s_and_saveexec_b64 s[12:13], s[8:9]
	s_xor_b64 s[8:9], exec, s[12:13]
	s_cbranch_execz .LBB60_120
; %bb.119:
	v_div_scale_f32 v13, s[12:13], -v12, -v12, v11
	v_div_scale_f32 v14, vcc, v11, -v12, v11
	v_rcp_f32_e32 v16, v13
	v_fma_f32 v17, -v13, v16, 1.0
	v_fmac_f32_e32 v16, v17, v16
	v_mul_f32_e32 v17, v14, v16
	v_fma_f32 v18, -v13, v17, v14
	v_fmac_f32_e32 v17, v18, v16
	v_fma_f32 v13, -v13, v17, v14
	v_div_fmas_f32 v13, v13, v16, v17
	v_div_fixup_f32 v13, v13, -v12, v11
	v_fma_f32 v11, v11, v13, -v12
	v_div_scale_f32 v12, s[12:13], v11, v11, 1.0
	v_div_scale_f32 v14, vcc, 1.0, v11, 1.0
	v_rcp_f32_e32 v16, v12
	v_fma_f32 v17, -v12, v16, 1.0
	v_fmac_f32_e32 v16, v17, v16
	v_mul_f32_e32 v17, v14, v16
	v_fma_f32 v18, -v12, v17, v14
	v_fmac_f32_e32 v17, v18, v16
	v_fma_f32 v12, -v12, v17, v14
	v_div_fmas_f32 v12, v12, v16, v17
	v_div_fixup_f32 v11, v12, v11, 1.0
	v_mul_f32_e32 v13, v13, v11
	v_xor_b32_e32 v14, 0x80000000, v11
                                        ; implicit-def: $vgpr11_vgpr12
.LBB60_120:
	s_andn2_saveexec_b64 s[8:9], s[8:9]
	s_cbranch_execz .LBB60_122
; %bb.121:
	v_div_scale_f32 v13, s[12:13], v11, v11, -v12
	v_div_scale_f32 v14, vcc, -v12, v11, -v12
	v_rcp_f32_e32 v16, v13
	v_fma_f32 v17, -v13, v16, 1.0
	v_fmac_f32_e32 v16, v17, v16
	v_mul_f32_e32 v17, v14, v16
	v_fma_f32 v18, -v13, v17, v14
	v_fmac_f32_e32 v17, v18, v16
	v_fma_f32 v13, -v13, v17, v14
	v_div_fmas_f32 v13, v13, v16, v17
	v_div_fixup_f32 v14, v13, v11, -v12
	v_fma_f32 v11, -v12, v14, v11
	v_div_scale_f32 v12, s[12:13], v11, v11, 1.0
	v_div_scale_f32 v13, vcc, 1.0, v11, 1.0
	v_rcp_f32_e32 v16, v12
	v_fma_f32 v17, -v12, v16, 1.0
	v_fmac_f32_e32 v16, v17, v16
	v_mul_f32_e32 v17, v13, v16
	v_fma_f32 v18, -v12, v17, v13
	v_fmac_f32_e32 v17, v18, v16
	v_fma_f32 v12, -v12, v17, v13
	v_div_fmas_f32 v12, v12, v16, v17
	v_div_fixup_f32 v13, v12, v11, 1.0
	v_mul_f32_e64 v14, v14, -v13
.LBB60_122:
	s_or_b64 exec, exec, s[8:9]
	v_lshlrev_b32_e32 v11, 3, v15
	ds_write_b64 v11, v[13:14]
.LBB60_123:
	s_or_b64 exec, exec, s[2:3]
                                        ; implicit-def: $vgpr11_vgpr12
                                        ; implicit-def: $vgpr15
.LBB60_124:
	s_andn2_saveexec_b64 s[0:1], s[0:1]
	s_cbranch_execz .LBB60_126
; %bb.125:
	v_lshlrev_b64 v[11:12], 3, v[11:12]
	v_mov_b32_e32 v13, s94
	v_add_co_u32_e32 v11, vcc, s93, v11
	v_addc_co_u32_e32 v12, vcc, v13, v12, vcc
	global_load_dwordx2 v[11:12], v[11:12], off
	v_lshlrev_b32_e32 v13, 3, v15
	s_waitcnt vmcnt(0)
	v_xor_b32_e32 v11, 0x80000000, v11
	ds_write_b64 v13, v[11:12]
.LBB60_126:
	s_or_b64 exec, exec, s[0:1]
.LBB60_127:
	v_cndmask_b32_e64 v11, 0, 1, s[10:11]
	v_cmp_ne_u32_e64 s[62:63], 1, v11
	s_andn2_b64 vcc, exec, s[10:11]
	s_waitcnt vmcnt(0) lgkmcnt(0)
	s_barrier
	s_cbranch_vccnz .LBB60_1049
; %bb.128:
	v_or_b32_e32 v11, v0, v2
	v_cmp_eq_u32_e32 vcc, 0, v11
	s_and_saveexec_b64 s[0:1], vcc
	s_cbranch_execz .LBB60_130
; %bb.129:
	v_mov_b32_e32 v17, 0
	ds_read_b128 v[11:14], v17
	ds_read_b64 v[15:16], v17 offset:520
	s_waitcnt lgkmcnt(0)
	v_mul_f32_e32 v18, v16, v12
	v_mul_f32_e32 v19, v15, v12
	v_fma_f32 v15, v15, v11, -v18
	v_fmac_f32_e32 v19, v16, v11
	v_mul_f32_e32 v11, v19, v14
	v_mul_f32_e32 v12, v15, v14
	v_fma_f32 v11, v15, v13, -v11
	v_fmac_f32_e32 v12, v19, v13
	ds_write2_b64 v17, v[11:12], v[11:12] offset0:1 offset1:64
.LBB60_130:
	s_or_b64 exec, exec, s[0:1]
	v_and_b32_e32 v16, 1, v0
	v_lshrrev_b32_e32 v13, 1, v1
	v_lshlrev_b32_e32 v11, 3, v16
	v_cmp_lt_u32_e64 s[8:9], 3, v1
	v_cmp_gt_u32_e64 s[2:3], 4, v1
	v_lshl_or_b32 v11, v13, 9, v11
	v_mov_b32_e32 v14, 0
	v_mov_b32_e32 v15, 0
	s_waitcnt lgkmcnt(0)
	s_barrier
	s_and_saveexec_b64 s[0:1], s[2:3]
	s_cbranch_execz .LBB60_134
; %bb.131:
	v_mul_u32_u24_e32 v12, 0x208, v13
	ds_read_b64 v[14:15], v11 offset:16
	ds_read_b64 v[17:18], v12
	v_cmp_gt_u32_e64 s[10:11], 2, v1
	s_waitcnt lgkmcnt(0)
	v_mul_f32_e32 v12, v18, v15
	v_mul_f32_e32 v15, v17, v15
	v_fma_f32 v12, v17, v14, -v12
	v_fmac_f32_e32 v15, v18, v14
	v_add_f32_e32 v12, 0, v12
	v_add_f32_e32 v14, 0, v15
	s_and_saveexec_b64 s[12:13], s[10:11]
	s_cbranch_execz .LBB60_133
; %bb.132:
	v_lshlrev_b32_e32 v15, 3, v0
	v_mov_b32_e32 v19, 0
	ds_read_b64 v[17:18], v15 offset:528
	ds_read_b64 v[19:20], v19 offset:8
	s_waitcnt lgkmcnt(0)
	v_mul_f32_e32 v15, v20, v18
	v_mul_f32_e32 v18, v19, v18
	v_fma_f32 v15, v19, v17, -v15
	v_fmac_f32_e32 v18, v20, v17
	v_add_f32_e32 v12, v12, v15
	v_add_f32_e32 v14, v14, v18
.LBB60_133:
	s_or_b64 exec, exec, s[12:13]
	v_xor_b32_e32 v15, 0x80000000, v12
	v_xor_b32_e32 v14, 0x80000000, v14
.LBB60_134:
                                        ; implicit-def: $vgpr43 : SGPR spill to VGPR lane
	v_writelane_b32 v43, s34, 0
	v_writelane_b32 v43, s35, 1
	s_or_b64 exec, exec, s[0:1]
	v_mov_b32_e32 v12, 0x8000
	v_cmp_eq_u32_e64 s[10:11], 0, v16
	s_xor_b64 s[0:1], s[8:9], -1
	v_lshl_add_u32 v12, v13, 3, v12
	s_and_b64 s[34:35], s[10:11], s[0:1]
	s_and_saveexec_b64 s[8:9], s[34:35]
	s_cbranch_execz .LBB60_136
; %bb.135:
	v_mov_b32_e32 v17, 0
	ds_read_b64 v[17:18], v17 offset:1040
	s_waitcnt lgkmcnt(0)
	v_mul_f32_e32 v20, v14, v18
	v_mul_f32_e32 v19, v15, v18
	v_fma_f32 v18, v15, v17, -v20
	v_fmac_f32_e32 v19, v14, v17
	v_mov_b32_e32 v15, v18
	v_mov_b32_e32 v14, v19
	ds_write_b64 v12, v[18:19]
.LBB60_136:
	s_or_b64 exec, exec, s[8:9]
	v_cmp_ne_u32_e64 s[8:9], 0, v16
	s_and_b64 s[30:31], s[8:9], s[0:1]
	s_waitcnt lgkmcnt(0)
	s_barrier
	s_and_saveexec_b64 s[0:1], s[30:31]
	s_cbranch_execz .LBB60_138
; %bb.137:
	v_mov_b32_e32 v16, 0
	ds_read_b64 v[16:17], v16 offset:1048
	ds_read_b64 v[18:19], v12
	s_waitcnt lgkmcnt(0)
	v_mul_f32_e32 v20, v19, v17
	v_mul_f32_e32 v17, v18, v17
	v_fma_f32 v18, v18, v16, -v20
	v_fmac_f32_e32 v17, v19, v16
	v_add_f32_e32 v15, v15, v18
	v_add_f32_e32 v14, v14, v17
.LBB60_138:
	s_or_b64 exec, exec, s[0:1]
	s_barrier
	s_and_saveexec_b64 s[0:1], s[30:31]
	s_cbranch_execz .LBB60_140
; %bb.139:
	v_mov_b32_e32 v16, 0
	ds_read_b64 v[16:17], v16 offset:1560
	s_waitcnt lgkmcnt(0)
	v_mul_f32_e32 v19, v14, v17
	v_mul_f32_e32 v18, v15, v17
	v_fma_f32 v17, v15, v16, -v19
	v_fmac_f32_e32 v18, v14, v16
	v_mov_b32_e32 v15, v17
	v_mov_b32_e32 v14, v18
	ds_write_b64 v12, v[17:18]
.LBB60_140:
	s_or_b64 exec, exec, s[0:1]
	s_waitcnt lgkmcnt(0)
	s_barrier
	s_barrier
	s_and_saveexec_b64 s[0:1], s[2:3]
; %bb.141:
	v_xor_b32_e32 v16, 0x80000000, v14
	v_xor_b32_e32 v15, 0x80000000, v15
	ds_write_b64 v11, v[15:16] offset:16
; %bb.142:
	s_or_b64 exec, exec, s[0:1]
	v_cmp_eq_u32_e64 s[12:13], 0, v2
	v_cmp_gt_u32_e64 s[8:9], 2, v0
	s_and_b64 s[36:37], s[12:13], s[8:9]
	s_waitcnt lgkmcnt(0)
	s_barrier
	s_barrier
	s_and_saveexec_b64 s[0:1], s[36:37]
	s_cbranch_execz .LBB60_144
; %bb.143:
	v_lshlrev_b32_e32 v16, 3, v0
	s_movk_i32 s8, 0x1f8
	v_mad_u32_u24 v17, v0, s8, v16
	ds_read_b64 v[14:15], v17 offset:16
	s_waitcnt lgkmcnt(0)
	ds_write_b64 v16, v[14:15] offset:1024
	ds_read_b64 v[14:15], v17 offset:24
	s_waitcnt lgkmcnt(0)
	ds_write_b64 v16, v[14:15] offset:1536
.LBB60_144:
	s_or_b64 exec, exec, s[0:1]
	s_waitcnt lgkmcnt(0)
	s_barrier
	s_and_saveexec_b64 s[0:1], vcc
	s_cbranch_execz .LBB60_146
; %bb.145:
	v_mov_b32_e32 v20, 0
	ds_read_b128 v[14:17], v20 offset:1040
	ds_read_b64 v[18:19], v20 offset:1560
	s_waitcnt lgkmcnt(0)
	v_mul_f32_e32 v21, v19, v15
	v_mul_f32_e32 v22, v18, v15
	v_fma_f32 v18, v18, v14, -v21
	v_fmac_f32_e32 v22, v19, v14
	v_mul_f32_e32 v14, v22, v17
	v_mul_f32_e32 v15, v18, v17
	v_fma_f32 v14, v18, v16, -v14
	v_fmac_f32_e32 v15, v22, v16
	ds_write2_b64 v20, v[14:15], v[14:15] offset0:131 offset1:194
.LBB60_146:
	s_or_b64 exec, exec, s[0:1]
	v_and_b32_e32 v17, 3, v0
	v_lshrrev_b32_e32 v18, 2, v1
	v_lshlrev_b32_e32 v15, 3, v17
	v_cmp_lt_u32_e64 s[8:9], 15, v1
	v_cmp_gt_u32_e64 s[18:19], 16, v1
	v_lshl_or_b32 v14, v18, 9, v15
	v_mov_b32_e32 v19, 0
	v_mov_b32_e32 v20, 0
	s_waitcnt lgkmcnt(0)
	s_barrier
	s_and_saveexec_b64 s[0:1], s[18:19]
	s_cbranch_execz .LBB60_152
; %bb.147:
	v_mul_u32_u24_e32 v20, 0x208, v18
	ds_read_b64 v[21:22], v14 offset:32
	ds_read_b64 v[23:24], v20
	v_cmp_gt_u32_e64 s[10:11], 12, v1
	s_waitcnt lgkmcnt(0)
	v_mul_f32_e32 v16, v24, v22
	v_mul_f32_e32 v19, v23, v22
	v_fma_f32 v16, v23, v21, -v16
	v_fmac_f32_e32 v19, v24, v21
	v_add_f32_e32 v16, 0, v16
	v_add_f32_e32 v19, 0, v19
	s_and_saveexec_b64 s[14:15], s[10:11]
	s_cbranch_execnz .LBB60_1124
; %bb.148:
	s_or_b64 exec, exec, s[14:15]
	v_cmp_gt_u32_e64 s[10:11], 8, v1
	s_and_saveexec_b64 s[14:15], s[10:11]
	s_cbranch_execnz .LBB60_1125
.LBB60_149:
	s_or_b64 exec, exec, s[14:15]
	v_cmp_gt_u32_e64 s[10:11], 4, v1
	s_and_saveexec_b64 s[14:15], s[10:11]
	s_cbranch_execz .LBB60_151
.LBB60_150:
	v_lshlrev_b32_e32 v20, 3, v0
	v_mov_b32_e32 v22, 0
	ds_read_b64 v[20:21], v20 offset:1568
	ds_read_b64 v[22:23], v22 offset:24
	s_waitcnt lgkmcnt(0)
	v_mul_f32_e32 v24, v23, v21
	v_mul_f32_e32 v21, v22, v21
	v_fma_f32 v22, v22, v20, -v24
	v_fmac_f32_e32 v21, v23, v20
	v_add_f32_e32 v16, v16, v22
	v_add_f32_e32 v19, v19, v21
.LBB60_151:
	s_or_b64 exec, exec, s[14:15]
	v_xor_b32_e32 v20, 0x80000000, v16
	v_xor_b32_e32 v19, 0x80000000, v19
.LBB60_152:
	v_writelane_b32 v43, s42, 2
	s_or_b64 exec, exec, s[0:1]
	v_mov_b32_e32 v16, 0x8000
	v_cmp_eq_u32_e64 s[10:11], 0, v17
	s_xor_b64 s[0:1], s[8:9], -1
	v_lshl_add_u32 v16, v18, 3, v16
	s_and_b64 s[42:43], s[10:11], s[0:1]
	s_and_saveexec_b64 s[8:9], s[42:43]
	s_cbranch_execz .LBB60_154
; %bb.153:
	v_mov_b32_e32 v21, 0
	ds_read_b64 v[21:22], v21 offset:2080
	s_waitcnt lgkmcnt(0)
	v_mul_f32_e32 v24, v19, v22
	v_mul_f32_e32 v23, v20, v22
	v_fma_f32 v22, v20, v21, -v24
	v_fmac_f32_e32 v23, v19, v21
	v_mov_b32_e32 v20, v22
	v_mov_b32_e32 v19, v23
	ds_write_b64 v16, v[22:23]
.LBB60_154:
	s_or_b64 exec, exec, s[8:9]
	v_cmp_ne_u32_e64 s[8:9], 0, v17
	s_and_b64 s[44:45], s[8:9], s[0:1]
	s_waitcnt lgkmcnt(0)
	s_barrier
	s_and_saveexec_b64 s[8:9], s[44:45]
	s_cbranch_execz .LBB60_156
; %bb.155:
	ds_read_b64 v[21:22], v15 offset:2080
	ds_read_b64 v[23:24], v16
	s_waitcnt lgkmcnt(0)
	v_mul_f32_e32 v25, v24, v22
	v_mul_f32_e32 v22, v23, v22
	v_fma_f32 v23, v23, v21, -v25
	v_fmac_f32_e32 v22, v24, v21
	v_add_f32_e32 v20, v20, v23
	v_add_f32_e32 v19, v19, v22
.LBB60_156:
	s_or_b64 exec, exec, s[8:9]
	v_cmp_eq_u32_e64 s[8:9], 1, v17
	s_and_b64 s[52:53], s[8:9], s[0:1]
	s_barrier
	s_and_saveexec_b64 s[8:9], s[52:53]
	s_cbranch_execz .LBB60_158
; %bb.157:
	v_mov_b32_e32 v21, 0
	ds_read_b64 v[21:22], v21 offset:2600
	s_waitcnt lgkmcnt(0)
	v_mul_f32_e32 v24, v19, v22
	v_mul_f32_e32 v23, v20, v22
	v_fma_f32 v22, v20, v21, -v24
	v_fmac_f32_e32 v23, v19, v21
	v_mov_b32_e32 v20, v22
	v_mov_b32_e32 v19, v23
	ds_write_b64 v16, v[22:23]
.LBB60_158:
	s_or_b64 exec, exec, s[8:9]
	v_cmp_lt_u32_e64 s[8:9], 1, v17
	s_and_b64 s[54:55], s[8:9], s[0:1]
	s_waitcnt lgkmcnt(0)
	s_barrier
	s_and_saveexec_b64 s[8:9], s[54:55]
	s_cbranch_execz .LBB60_160
; %bb.159:
	ds_read_b64 v[21:22], v15 offset:2592
	ds_read_b64 v[23:24], v16
	s_waitcnt lgkmcnt(0)
	v_mul_f32_e32 v25, v24, v22
	v_mul_f32_e32 v22, v23, v22
	v_fma_f32 v23, v23, v21, -v25
	v_fmac_f32_e32 v22, v24, v21
	v_add_f32_e32 v20, v20, v23
	v_add_f32_e32 v19, v19, v22
.LBB60_160:
	s_or_b64 exec, exec, s[8:9]
	v_cmp_eq_u32_e64 s[8:9], 2, v17
	s_and_b64 s[56:57], s[8:9], s[0:1]
	s_barrier
	s_and_saveexec_b64 s[8:9], s[56:57]
	s_cbranch_execz .LBB60_162
; %bb.161:
	v_mov_b32_e32 v21, 0
	ds_read_b64 v[21:22], v21 offset:3120
	s_waitcnt lgkmcnt(0)
	v_mul_f32_e32 v24, v19, v22
	v_mul_f32_e32 v23, v20, v22
	v_fma_f32 v22, v20, v21, -v24
	v_fmac_f32_e32 v23, v19, v21
	v_mov_b32_e32 v20, v22
	v_mov_b32_e32 v19, v23
	ds_write_b64 v16, v[22:23]
.LBB60_162:
	s_or_b64 exec, exec, s[8:9]
	v_cmp_eq_u32_e64 s[8:9], 3, v17
	s_and_b64 s[38:39], s[8:9], s[0:1]
	s_waitcnt lgkmcnt(0)
	s_barrier
	s_and_saveexec_b64 s[0:1], s[38:39]
	s_cbranch_execz .LBB60_164
; %bb.163:
	v_mov_b32_e32 v21, 0
	ds_read_b64 v[21:22], v21 offset:3128
	ds_read_b64 v[23:24], v16
	s_waitcnt lgkmcnt(0)
	v_mul_f32_e32 v25, v24, v22
	v_mul_f32_e32 v22, v23, v22
	v_fma_f32 v23, v23, v21, -v25
	v_fmac_f32_e32 v22, v24, v21
	v_add_f32_e32 v20, v20, v23
	v_add_f32_e32 v19, v19, v22
.LBB60_164:
	s_or_b64 exec, exec, s[0:1]
	s_barrier
	s_and_saveexec_b64 s[0:1], s[38:39]
	s_cbranch_execz .LBB60_166
; %bb.165:
	v_mov_b32_e32 v21, 0
	ds_read_b64 v[21:22], v21 offset:3640
	s_waitcnt lgkmcnt(0)
	v_mul_f32_e32 v24, v19, v22
	v_mul_f32_e32 v23, v20, v22
	v_fma_f32 v22, v20, v21, -v24
	v_fmac_f32_e32 v23, v19, v21
	v_mov_b32_e32 v20, v22
	v_mov_b32_e32 v19, v23
	ds_write_b64 v16, v[22:23]
.LBB60_166:
	s_or_b64 exec, exec, s[0:1]
	s_waitcnt lgkmcnt(0)
	s_barrier
	s_barrier
	s_and_saveexec_b64 s[0:1], s[18:19]
; %bb.167:
	v_xor_b32_e32 v20, 0x80000000, v20
	v_xor_b32_e32 v21, 0x80000000, v19
	ds_write_b64 v14, v[20:21] offset:32
; %bb.168:
	s_or_b64 exec, exec, s[0:1]
	v_cmp_gt_u32_e64 s[8:9], 4, v0
	s_and_b64 s[58:59], s[12:13], s[8:9]
	s_waitcnt lgkmcnt(0)
	s_barrier
	s_barrier
	s_and_saveexec_b64 s[0:1], s[58:59]
	s_cbranch_execz .LBB60_170
; %bb.169:
	v_lshlrev_b32_e32 v21, 9, v0
	ds_read_b64 v[19:20], v21 offset:32
	s_movk_i32 s8, 0xfe08
	v_mad_i32_i24 v22, v0, s8, v21
	s_waitcnt lgkmcnt(0)
	ds_write_b64 v22, v[19:20] offset:2048
	ds_read_b64 v[19:20], v21 offset:40
	s_waitcnt lgkmcnt(0)
	ds_write_b64 v22, v[19:20] offset:2560
	ds_read_b64 v[19:20], v21 offset:48
	;; [unrolled: 3-line block ×3, first 2 shown]
	s_waitcnt lgkmcnt(0)
	ds_write_b64 v22, v[19:20] offset:3584
.LBB60_170:
	s_or_b64 exec, exec, s[0:1]
	s_waitcnt lgkmcnt(0)
	s_barrier
	s_and_saveexec_b64 s[0:1], vcc
	s_cbranch_execz .LBB60_172
; %bb.171:
	v_mov_b32_e32 v23, 0
	ds_read_b128 v[19:22], v23 offset:2080
	ds_read_b64 v[23:24], v23 offset:2600
	s_movk_i32 s8, 0x800
	s_waitcnt lgkmcnt(0)
	v_mul_f32_e32 v25, v24, v20
	v_mul_f32_e32 v26, v23, v20
	v_fma_f32 v23, v23, v19, -v25
	v_fmac_f32_e32 v26, v24, v19
	v_mul_f32_e32 v19, v26, v22
	v_mul_f32_e32 v20, v23, v22
	v_fma_f32 v19, v23, v21, -v19
	v_fmac_f32_e32 v20, v26, v21
	v_add_u32_e64 v21, s8, 0
	ds_write2_b64 v21, v[19:20], v[19:20] offset0:5 offset1:68
.LBB60_172:
	s_or_b64 exec, exec, s[0:1]
	v_mov_b32_e32 v19, 0
	v_mov_b32_e32 v20, 0
	s_waitcnt lgkmcnt(0)
	s_barrier
	s_and_saveexec_b64 s[0:1], s[2:3]
	s_cbranch_execz .LBB60_176
; %bb.173:
	v_mul_u32_u24_e32 v21, 0x208, v13
	ds_read_b64 v[19:20], v11 offset:2096
	ds_read_b64 v[21:22], v21 offset:2080
	v_cmp_gt_u32_e64 s[8:9], 2, v1
	s_waitcnt lgkmcnt(0)
	v_mul_f32_e32 v23, v22, v20
	v_mul_f32_e32 v20, v21, v20
	v_fma_f32 v21, v21, v19, -v23
	v_fmac_f32_e32 v20, v22, v19
	v_add_f32_e32 v19, 0, v21
	v_add_f32_e32 v21, 0, v20
	s_and_saveexec_b64 s[10:11], s[8:9]
	s_cbranch_execz .LBB60_175
; %bb.174:
	v_lshlrev_b32_e32 v20, 3, v0
	v_mov_b32_e32 v24, 0
	ds_read_b64 v[22:23], v20 offset:2608
	ds_read_b64 v[24:25], v24 offset:2088
	s_waitcnt lgkmcnt(0)
	v_mul_f32_e32 v20, v25, v23
	v_mul_f32_e32 v23, v24, v23
	v_fma_f32 v20, v24, v22, -v20
	v_fmac_f32_e32 v23, v25, v22
	v_add_f32_e32 v19, v19, v20
	v_add_f32_e32 v21, v21, v23
.LBB60_175:
	s_or_b64 exec, exec, s[10:11]
	v_xor_b32_e32 v20, 0x80000000, v19
	v_xor_b32_e32 v19, 0x80000000, v21
.LBB60_176:
	s_or_b64 exec, exec, s[0:1]
	s_and_saveexec_b64 s[0:1], s[34:35]
	s_cbranch_execz .LBB60_178
; %bb.177:
	v_mov_b32_e32 v21, 0
	ds_read_b64 v[21:22], v21 offset:3120
	s_waitcnt lgkmcnt(0)
	v_mul_f32_e32 v24, v19, v22
	v_mul_f32_e32 v23, v20, v22
	v_fma_f32 v22, v20, v21, -v24
	v_fmac_f32_e32 v23, v19, v21
	v_mov_b32_e32 v20, v22
	v_mov_b32_e32 v19, v23
	ds_write_b64 v12, v[22:23]
.LBB60_178:
	s_or_b64 exec, exec, s[0:1]
	s_waitcnt lgkmcnt(0)
	s_barrier
	s_and_saveexec_b64 s[0:1], s[30:31]
	s_cbranch_execz .LBB60_180
; %bb.179:
	v_mov_b32_e32 v21, 0
	ds_read_b64 v[21:22], v21 offset:3128
	ds_read_b64 v[23:24], v12
	s_waitcnt lgkmcnt(0)
	v_mul_f32_e32 v25, v24, v22
	v_mul_f32_e32 v22, v23, v22
	v_fma_f32 v23, v23, v21, -v25
	v_fmac_f32_e32 v22, v24, v21
	v_add_f32_e32 v20, v20, v23
	v_add_f32_e32 v19, v19, v22
.LBB60_180:
	s_or_b64 exec, exec, s[0:1]
	s_barrier
	s_and_saveexec_b64 s[0:1], s[30:31]
	s_cbranch_execz .LBB60_182
; %bb.181:
	v_mov_b32_e32 v21, 0
	ds_read_b64 v[21:22], v21 offset:3640
	s_waitcnt lgkmcnt(0)
	v_mul_f32_e32 v24, v19, v22
	v_mul_f32_e32 v23, v20, v22
	v_fma_f32 v22, v20, v21, -v24
	v_fmac_f32_e32 v23, v19, v21
	v_mov_b32_e32 v20, v22
	v_mov_b32_e32 v19, v23
	ds_write_b64 v12, v[22:23]
.LBB60_182:
	s_or_b64 exec, exec, s[0:1]
	s_waitcnt lgkmcnt(0)
	s_barrier
	s_barrier
	s_and_saveexec_b64 s[0:1], s[2:3]
; %bb.183:
	v_xor_b32_e32 v21, 0x80000000, v19
	v_xor_b32_e32 v20, 0x80000000, v20
	ds_write_b64 v11, v[20:21] offset:2096
; %bb.184:
	s_or_b64 exec, exec, s[0:1]
	s_waitcnt lgkmcnt(0)
	s_barrier
	s_barrier
	s_and_saveexec_b64 s[0:1], s[36:37]
	s_cbranch_execz .LBB60_186
; %bb.185:
	v_lshlrev_b32_e32 v21, 3, v0
	s_movk_i32 s8, 0x1f8
	v_mad_u32_u24 v22, v0, s8, v21
	ds_read_b64 v[19:20], v22 offset:2096
	s_waitcnt lgkmcnt(0)
	ds_write_b64 v21, v[19:20] offset:3104
	ds_read_b64 v[19:20], v22 offset:2104
	s_waitcnt lgkmcnt(0)
	ds_write_b64 v21, v[19:20] offset:3616
.LBB60_186:
	s_or_b64 exec, exec, s[0:1]
	s_waitcnt lgkmcnt(0)
	s_barrier
	s_and_saveexec_b64 s[0:1], vcc
	s_cbranch_execz .LBB60_188
; %bb.187:
	v_mov_b32_e32 v23, 0
	ds_read_b128 v[19:22], v23 offset:3120
	ds_read_b64 v[23:24], v23 offset:3640
	s_movk_i32 s8, 0x800
	s_waitcnt lgkmcnt(0)
	v_mul_f32_e32 v25, v24, v20
	v_mul_f32_e32 v26, v23, v20
	v_fma_f32 v23, v23, v19, -v25
	v_fmac_f32_e32 v26, v24, v19
	v_mul_f32_e32 v19, v26, v22
	v_mul_f32_e32 v20, v23, v22
	v_fma_f32 v19, v23, v21, -v19
	v_fmac_f32_e32 v20, v26, v21
	v_add_u32_e64 v21, s8, 0
	ds_write2_b64 v21, v[19:20], v[19:20] offset0:135 offset1:198
.LBB60_188:
	s_or_b64 exec, exec, s[0:1]
	v_and_b32_e32 v22, 7, v0
	v_lshrrev_b32_e32 v23, 3, v1
	v_lshlrev_b32_e32 v20, 3, v22
	v_cmp_lt_u32_e64 s[10:11], 63, v1
	v_cmp_gt_u32_e64 s[8:9], 64, v1
	v_lshl_or_b32 v19, v23, 9, v20
	v_mov_b32_e32 v24, 0
	v_mov_b32_e32 v25, 0
	s_waitcnt lgkmcnt(0)
	s_barrier
	s_and_saveexec_b64 s[0:1], s[8:9]
	s_cbranch_execz .LBB60_198
; %bb.189:
	v_mul_u32_u24_e32 v25, 0x208, v23
	ds_read_b64 v[26:27], v19 offset:64
	ds_read_b64 v[28:29], v25
	v_cmp_gt_u32_e64 s[14:15], 56, v1
	s_waitcnt lgkmcnt(0)
	v_mul_f32_e32 v21, v29, v27
	v_mul_f32_e32 v24, v28, v27
	v_fma_f32 v21, v28, v26, -v21
	v_fmac_f32_e32 v24, v29, v26
	v_add_f32_e32 v21, 0, v21
	v_add_f32_e32 v24, 0, v24
	s_and_saveexec_b64 s[16:17], s[14:15]
	s_cbranch_execnz .LBB60_1126
; %bb.190:
	s_or_b64 exec, exec, s[16:17]
	v_cmp_gt_u32_e64 s[14:15], 48, v1
	s_and_saveexec_b64 s[16:17], s[14:15]
	s_cbranch_execnz .LBB60_1127
.LBB60_191:
	s_or_b64 exec, exec, s[16:17]
	v_cmp_gt_u32_e64 s[14:15], 40, v1
	s_and_saveexec_b64 s[16:17], s[14:15]
	s_cbranch_execnz .LBB60_1128
.LBB60_192:
	s_or_b64 exec, exec, s[16:17]
	v_cmp_gt_u32_e64 s[14:15], 32, v1
	s_and_saveexec_b64 s[16:17], s[14:15]
	s_cbranch_execnz .LBB60_1129
.LBB60_193:
	s_or_b64 exec, exec, s[16:17]
	v_cmp_gt_u32_e64 s[14:15], 24, v1
	s_and_saveexec_b64 s[16:17], s[14:15]
	s_cbranch_execnz .LBB60_1130
.LBB60_194:
	s_or_b64 exec, exec, s[16:17]
	v_cmp_gt_u32_e64 s[14:15], 16, v1
	s_and_saveexec_b64 s[16:17], s[14:15]
	s_cbranch_execnz .LBB60_1131
.LBB60_195:
	s_or_b64 exec, exec, s[16:17]
	v_cmp_gt_u32_e64 s[14:15], 8, v1
	s_and_saveexec_b64 s[16:17], s[14:15]
	s_cbranch_execz .LBB60_197
.LBB60_196:
	v_lshlrev_b32_e32 v25, 3, v0
	v_mov_b32_e32 v27, 0
	ds_read_b64 v[25:26], v25 offset:3648
	ds_read_b64 v[27:28], v27 offset:56
	s_waitcnt lgkmcnt(0)
	v_mul_f32_e32 v29, v28, v26
	v_mul_f32_e32 v26, v27, v26
	v_fma_f32 v27, v27, v25, -v29
	v_fmac_f32_e32 v26, v28, v25
	v_add_f32_e32 v21, v21, v27
	v_add_f32_e32 v24, v24, v26
.LBB60_197:
	s_or_b64 exec, exec, s[16:17]
	v_xor_b32_e32 v25, 0x80000000, v21
	v_xor_b32_e32 v24, 0x80000000, v24
.LBB60_198:
	v_writelane_b32 v43, s62, 3
	v_writelane_b32 v43, s63, 4
	s_or_b64 exec, exec, s[0:1]
	v_mov_b32_e32 v21, 0x8000
	v_cmp_eq_u32_e64 s[14:15], 0, v22
	s_xor_b64 s[0:1], s[10:11], -1
	v_lshl_add_u32 v21, v23, 3, v21
	s_and_b64 s[62:63], s[14:15], s[0:1]
	s_and_saveexec_b64 s[10:11], s[62:63]
	s_cbranch_execz .LBB60_200
; %bb.199:
	v_mov_b32_e32 v26, 0
	ds_read_b64 v[26:27], v26 offset:4160
	s_waitcnt lgkmcnt(0)
	v_mul_f32_e32 v29, v24, v27
	v_mul_f32_e32 v28, v25, v27
	v_fma_f32 v27, v25, v26, -v29
	v_fmac_f32_e32 v28, v24, v26
	v_mov_b32_e32 v25, v27
	v_mov_b32_e32 v24, v28
	ds_write_b64 v21, v[27:28]
.LBB60_200:
	s_or_b64 exec, exec, s[10:11]
	v_cmp_ne_u32_e64 s[10:11], 0, v22
	s_and_b64 s[64:65], s[10:11], s[0:1]
	s_waitcnt lgkmcnt(0)
	s_barrier
	s_and_saveexec_b64 s[10:11], s[64:65]
	s_cbranch_execz .LBB60_202
; %bb.201:
	ds_read_b64 v[26:27], v20 offset:4160
	ds_read_b64 v[28:29], v21
	s_waitcnt lgkmcnt(0)
	v_mul_f32_e32 v30, v29, v27
	v_mul_f32_e32 v27, v28, v27
	v_fma_f32 v28, v28, v26, -v30
	v_fmac_f32_e32 v27, v29, v26
	v_add_f32_e32 v25, v25, v28
	v_add_f32_e32 v24, v24, v27
.LBB60_202:
	s_or_b64 exec, exec, s[10:11]
	v_cmp_eq_u32_e64 s[10:11], 1, v22
	s_and_b64 s[66:67], s[10:11], s[0:1]
	s_barrier
	s_and_saveexec_b64 s[10:11], s[66:67]
	s_cbranch_execz .LBB60_204
; %bb.203:
	v_mov_b32_e32 v26, 0
	ds_read_b64 v[26:27], v26 offset:4680
	s_waitcnt lgkmcnt(0)
	v_mul_f32_e32 v29, v24, v27
	v_mul_f32_e32 v28, v25, v27
	v_fma_f32 v27, v25, v26, -v29
	v_fmac_f32_e32 v28, v24, v26
	v_mov_b32_e32 v25, v27
	v_mov_b32_e32 v24, v28
	ds_write_b64 v21, v[27:28]
.LBB60_204:
	s_or_b64 exec, exec, s[10:11]
	v_cmp_lt_u32_e64 s[10:11], 1, v22
	s_and_b64 s[68:69], s[10:11], s[0:1]
	s_waitcnt lgkmcnt(0)
	s_barrier
	s_and_saveexec_b64 s[10:11], s[68:69]
	s_cbranch_execz .LBB60_206
; %bb.205:
	ds_read_b64 v[26:27], v20 offset:4672
	ds_read_b64 v[28:29], v21
	s_waitcnt lgkmcnt(0)
	v_mul_f32_e32 v30, v29, v27
	v_mul_f32_e32 v27, v28, v27
	v_fma_f32 v28, v28, v26, -v30
	v_fmac_f32_e32 v27, v29, v26
	v_add_f32_e32 v25, v25, v28
	v_add_f32_e32 v24, v24, v27
.LBB60_206:
	s_or_b64 exec, exec, s[10:11]
	v_cmp_eq_u32_e64 s[10:11], 2, v22
	s_and_b64 s[70:71], s[10:11], s[0:1]
	s_barrier
	s_and_saveexec_b64 s[10:11], s[70:71]
	s_cbranch_execz .LBB60_208
; %bb.207:
	v_mov_b32_e32 v26, 0
	ds_read_b64 v[26:27], v26 offset:5200
	s_waitcnt lgkmcnt(0)
	v_mul_f32_e32 v29, v24, v27
	v_mul_f32_e32 v28, v25, v27
	v_fma_f32 v27, v25, v26, -v29
	v_fmac_f32_e32 v28, v24, v26
	v_mov_b32_e32 v25, v27
	v_mov_b32_e32 v24, v28
	ds_write_b64 v21, v[27:28]
.LBB60_208:
	s_or_b64 exec, exec, s[10:11]
	v_cmp_lt_u32_e64 s[10:11], 2, v22
	;; [unrolled: 36-line block ×5, first 2 shown]
	s_and_b64 s[84:85], s[10:11], s[0:1]
	s_waitcnt lgkmcnt(0)
	s_barrier
	s_and_saveexec_b64 s[10:11], s[84:85]
	s_cbranch_execz .LBB60_222
; %bb.221:
	ds_read_b64 v[26:27], v20 offset:6720
	ds_read_b64 v[28:29], v21
	s_waitcnt lgkmcnt(0)
	v_mul_f32_e32 v30, v29, v27
	v_mul_f32_e32 v27, v28, v27
	v_fma_f32 v28, v28, v26, -v30
	v_fmac_f32_e32 v27, v29, v26
	v_add_f32_e32 v25, v25, v28
	v_add_f32_e32 v24, v24, v27
.LBB60_222:
	s_or_b64 exec, exec, s[10:11]
	v_cmp_eq_u32_e64 s[10:11], 6, v22
	s_and_b64 s[86:87], s[10:11], s[0:1]
	s_barrier
	s_and_saveexec_b64 s[10:11], s[86:87]
	s_cbranch_execz .LBB60_224
; %bb.223:
	v_mov_b32_e32 v26, 0
	ds_read_b64 v[26:27], v26 offset:7280
	s_waitcnt lgkmcnt(0)
	v_mul_f32_e32 v29, v24, v27
	v_mul_f32_e32 v28, v25, v27
	v_fma_f32 v27, v25, v26, -v29
	v_fmac_f32_e32 v28, v24, v26
	v_mov_b32_e32 v25, v27
	v_mov_b32_e32 v24, v28
	ds_write_b64 v21, v[27:28]
.LBB60_224:
	s_or_b64 exec, exec, s[10:11]
	v_cmp_eq_u32_e64 s[10:11], 7, v22
	s_and_b64 s[60:61], s[10:11], s[0:1]
	s_waitcnt lgkmcnt(0)
	s_barrier
	s_and_saveexec_b64 s[0:1], s[60:61]
	s_cbranch_execz .LBB60_226
; %bb.225:
	v_mov_b32_e32 v26, 0
	ds_read_b64 v[26:27], v26 offset:7288
	ds_read_b64 v[28:29], v21
	s_waitcnt lgkmcnt(0)
	v_mul_f32_e32 v30, v29, v27
	v_mul_f32_e32 v27, v28, v27
	v_fma_f32 v28, v28, v26, -v30
	v_fmac_f32_e32 v27, v29, v26
	v_add_f32_e32 v25, v25, v28
	v_add_f32_e32 v24, v24, v27
.LBB60_226:
	s_or_b64 exec, exec, s[0:1]
	s_barrier
	s_and_saveexec_b64 s[0:1], s[60:61]
	s_cbranch_execz .LBB60_228
; %bb.227:
	v_mov_b32_e32 v26, 0
	ds_read_b64 v[26:27], v26 offset:7800
	s_waitcnt lgkmcnt(0)
	v_mul_f32_e32 v29, v24, v27
	v_mul_f32_e32 v28, v25, v27
	v_fma_f32 v27, v25, v26, -v29
	v_fmac_f32_e32 v28, v24, v26
	v_mov_b32_e32 v25, v27
	v_mov_b32_e32 v24, v28
	ds_write_b64 v21, v[27:28]
.LBB60_228:
	s_or_b64 exec, exec, s[0:1]
	s_waitcnt lgkmcnt(0)
	s_barrier
	s_barrier
	s_and_saveexec_b64 s[0:1], s[8:9]
; %bb.229:
	v_xor_b32_e32 v26, 0x80000000, v24
	v_xor_b32_e32 v25, 0x80000000, v25
	ds_write_b64 v19, v[25:26] offset:64
; %bb.230:
	s_or_b64 exec, exec, s[0:1]
	v_cmp_gt_u32_e64 s[10:11], 8, v0
	s_and_b64 s[88:89], s[12:13], s[10:11]
	s_waitcnt lgkmcnt(0)
	s_barrier
	s_barrier
	s_and_saveexec_b64 s[0:1], s[88:89]
	s_cbranch_execz .LBB60_232
; %bb.231:
	v_lshlrev_b32_e32 v26, 9, v0
	ds_read_b64 v[24:25], v26 offset:64
	s_movk_i32 s10, 0xfe08
	v_mad_i32_i24 v27, v0, s10, v26
	s_waitcnt lgkmcnt(0)
	ds_write_b64 v27, v[24:25] offset:4096
	ds_read_b64 v[24:25], v26 offset:72
	s_waitcnt lgkmcnt(0)
	ds_write_b64 v27, v[24:25] offset:4608
	ds_read_b64 v[24:25], v26 offset:80
	;; [unrolled: 3-line block ×7, first 2 shown]
	s_waitcnt lgkmcnt(0)
	ds_write_b64 v27, v[24:25] offset:7680
.LBB60_232:
	s_or_b64 exec, exec, s[0:1]
	s_waitcnt lgkmcnt(0)
	s_barrier
	s_and_saveexec_b64 s[0:1], vcc
	s_cbranch_execz .LBB60_234
; %bb.233:
	v_mov_b32_e32 v28, 0
	ds_read_b128 v[24:27], v28 offset:4160
	ds_read_b64 v[28:29], v28 offset:4680
	s_movk_i32 s10, 0x1000
	s_waitcnt lgkmcnt(0)
	v_mul_f32_e32 v30, v29, v25
	v_mul_f32_e32 v31, v28, v25
	v_fma_f32 v28, v28, v24, -v30
	v_fmac_f32_e32 v31, v29, v24
	v_mul_f32_e32 v24, v31, v27
	v_mul_f32_e32 v25, v28, v27
	v_fma_f32 v24, v28, v26, -v24
	v_fmac_f32_e32 v25, v31, v26
	v_add_u32_e64 v26, s10, 0
	ds_write2_b64 v26, v[24:25], v[24:25] offset0:9 offset1:72
.LBB60_234:
	s_or_b64 exec, exec, s[0:1]
	v_mov_b32_e32 v24, 0
	v_mov_b32_e32 v25, 0
	s_waitcnt lgkmcnt(0)
	s_barrier
	s_and_saveexec_b64 s[0:1], s[2:3]
	s_cbranch_execz .LBB60_238
; %bb.235:
	v_mul_u32_u24_e32 v26, 0x208, v13
	ds_read_b64 v[24:25], v11 offset:4176
	ds_read_b64 v[26:27], v26 offset:4160
	v_cmp_gt_u32_e64 s[10:11], 2, v1
	s_waitcnt lgkmcnt(0)
	v_mul_f32_e32 v28, v27, v25
	v_mul_f32_e32 v25, v26, v25
	v_fma_f32 v26, v26, v24, -v28
	v_fmac_f32_e32 v25, v27, v24
	v_add_f32_e32 v24, 0, v26
	v_add_f32_e32 v26, 0, v25
	s_and_saveexec_b64 s[14:15], s[10:11]
	s_cbranch_execz .LBB60_237
; %bb.236:
	v_lshlrev_b32_e32 v25, 3, v0
	v_mov_b32_e32 v29, 0
	ds_read_b64 v[27:28], v25 offset:4688
	ds_read_b64 v[29:30], v29 offset:4168
	s_waitcnt lgkmcnt(0)
	v_mul_f32_e32 v25, v30, v28
	v_mul_f32_e32 v28, v29, v28
	v_fma_f32 v25, v29, v27, -v25
	v_fmac_f32_e32 v28, v30, v27
	v_add_f32_e32 v24, v24, v25
	v_add_f32_e32 v26, v26, v28
.LBB60_237:
	s_or_b64 exec, exec, s[14:15]
	v_xor_b32_e32 v25, 0x80000000, v24
	v_xor_b32_e32 v24, 0x80000000, v26
.LBB60_238:
	s_or_b64 exec, exec, s[0:1]
	s_and_saveexec_b64 s[0:1], s[34:35]
	s_cbranch_execz .LBB60_240
; %bb.239:
	v_mov_b32_e32 v26, 0
	ds_read_b64 v[26:27], v26 offset:5200
	s_waitcnt lgkmcnt(0)
	v_mul_f32_e32 v29, v24, v27
	v_mul_f32_e32 v28, v25, v27
	v_fma_f32 v27, v25, v26, -v29
	v_fmac_f32_e32 v28, v24, v26
	v_mov_b32_e32 v25, v27
	v_mov_b32_e32 v24, v28
	ds_write_b64 v12, v[27:28]
.LBB60_240:
	s_or_b64 exec, exec, s[0:1]
	s_waitcnt lgkmcnt(0)
	s_barrier
	s_and_saveexec_b64 s[0:1], s[30:31]
	s_cbranch_execz .LBB60_242
; %bb.241:
	v_mov_b32_e32 v26, 0
	ds_read_b64 v[26:27], v26 offset:5208
	ds_read_b64 v[28:29], v12
	s_waitcnt lgkmcnt(0)
	v_mul_f32_e32 v30, v29, v27
	v_mul_f32_e32 v27, v28, v27
	v_fma_f32 v28, v28, v26, -v30
	v_fmac_f32_e32 v27, v29, v26
	v_add_f32_e32 v25, v25, v28
	v_add_f32_e32 v24, v24, v27
.LBB60_242:
	s_or_b64 exec, exec, s[0:1]
	s_barrier
	s_and_saveexec_b64 s[0:1], s[30:31]
	s_cbranch_execz .LBB60_244
; %bb.243:
	v_mov_b32_e32 v26, 0
	ds_read_b64 v[26:27], v26 offset:5720
	s_waitcnt lgkmcnt(0)
	v_mul_f32_e32 v29, v24, v27
	v_mul_f32_e32 v28, v25, v27
	v_fma_f32 v27, v25, v26, -v29
	v_fmac_f32_e32 v28, v24, v26
	v_mov_b32_e32 v25, v27
	v_mov_b32_e32 v24, v28
	ds_write_b64 v12, v[27:28]
.LBB60_244:
	s_or_b64 exec, exec, s[0:1]
	s_waitcnt lgkmcnt(0)
	s_barrier
	s_barrier
	s_and_saveexec_b64 s[0:1], s[2:3]
; %bb.245:
	v_xor_b32_e32 v26, 0x80000000, v24
	v_xor_b32_e32 v25, 0x80000000, v25
	ds_write_b64 v11, v[25:26] offset:4176
; %bb.246:
	s_or_b64 exec, exec, s[0:1]
	s_waitcnt lgkmcnt(0)
	s_barrier
	s_barrier
	s_and_saveexec_b64 s[0:1], s[36:37]
	s_cbranch_execz .LBB60_248
; %bb.247:
	v_lshlrev_b32_e32 v26, 3, v0
	s_movk_i32 s10, 0x1f8
	v_mad_u32_u24 v27, v0, s10, v26
	ds_read_b64 v[24:25], v27 offset:4176
	s_waitcnt lgkmcnt(0)
	ds_write_b64 v26, v[24:25] offset:5184
	ds_read_b64 v[24:25], v27 offset:4184
	s_waitcnt lgkmcnt(0)
	ds_write_b64 v26, v[24:25] offset:5696
.LBB60_248:
	s_or_b64 exec, exec, s[0:1]
	s_waitcnt lgkmcnt(0)
	s_barrier
	s_and_saveexec_b64 s[0:1], vcc
	s_cbranch_execz .LBB60_250
; %bb.249:
	v_mov_b32_e32 v28, 0
	ds_read_b128 v[24:27], v28 offset:5200
	ds_read_b64 v[28:29], v28 offset:5720
	s_movk_i32 s10, 0x1000
	s_waitcnt lgkmcnt(0)
	v_mul_f32_e32 v30, v29, v25
	v_mul_f32_e32 v31, v28, v25
	v_fma_f32 v28, v28, v24, -v30
	v_fmac_f32_e32 v31, v29, v24
	v_mul_f32_e32 v24, v31, v27
	v_mul_f32_e32 v25, v28, v27
	v_fma_f32 v24, v28, v26, -v24
	v_fmac_f32_e32 v25, v31, v26
	v_add_u32_e64 v26, s10, 0
	ds_write2_b64 v26, v[24:25], v[24:25] offset0:139 offset1:202
.LBB60_250:
	s_or_b64 exec, exec, s[0:1]
	v_mov_b32_e32 v24, 0
	v_mov_b32_e32 v25, 0
	s_waitcnt lgkmcnt(0)
	s_barrier
	s_and_saveexec_b64 s[0:1], s[18:19]
	s_cbranch_execz .LBB60_256
; %bb.251:
	v_mul_u32_u24_e32 v25, 0x208, v18
	ds_read_b64 v[26:27], v14 offset:4192
	ds_read_b64 v[28:29], v25 offset:4160
	v_cmp_gt_u32_e64 s[10:11], 12, v1
	s_waitcnt lgkmcnt(0)
	v_mul_f32_e32 v24, v29, v27
	v_mul_f32_e32 v27, v28, v27
	v_fma_f32 v24, v28, v26, -v24
	v_fmac_f32_e32 v27, v29, v26
	v_add_f32_e32 v24, 0, v24
	v_add_f32_e32 v26, 0, v27
	s_and_saveexec_b64 s[14:15], s[10:11]
	s_cbranch_execnz .LBB60_1132
; %bb.252:
	s_or_b64 exec, exec, s[14:15]
	v_cmp_gt_u32_e64 s[10:11], 8, v1
	s_and_saveexec_b64 s[14:15], s[10:11]
	s_cbranch_execnz .LBB60_1133
.LBB60_253:
	s_or_b64 exec, exec, s[14:15]
	v_cmp_gt_u32_e64 s[10:11], 4, v1
	s_and_saveexec_b64 s[14:15], s[10:11]
	s_cbranch_execz .LBB60_255
.LBB60_254:
	v_lshlrev_b32_e32 v25, 3, v0
	v_mov_b32_e32 v29, 0
	ds_read_b64 v[27:28], v25 offset:5728
	ds_read_b64 v[29:30], v29 offset:4184
	s_waitcnt lgkmcnt(0)
	v_mul_f32_e32 v25, v30, v28
	v_mul_f32_e32 v28, v29, v28
	v_fma_f32 v25, v29, v27, -v25
	v_fmac_f32_e32 v28, v30, v27
	v_add_f32_e32 v24, v24, v25
	v_add_f32_e32 v26, v26, v28
.LBB60_255:
	s_or_b64 exec, exec, s[14:15]
	v_xor_b32_e32 v25, 0x80000000, v24
	v_xor_b32_e32 v24, 0x80000000, v26
.LBB60_256:
	s_or_b64 exec, exec, s[0:1]
	s_and_saveexec_b64 s[0:1], s[42:43]
	s_cbranch_execz .LBB60_258
; %bb.257:
	v_mov_b32_e32 v26, 0
	ds_read_b64 v[26:27], v26 offset:6240
	s_waitcnt lgkmcnt(0)
	v_mul_f32_e32 v29, v24, v27
	v_mul_f32_e32 v28, v25, v27
	v_fma_f32 v27, v25, v26, -v29
	v_fmac_f32_e32 v28, v24, v26
	v_mov_b32_e32 v25, v27
	v_mov_b32_e32 v24, v28
	ds_write_b64 v16, v[27:28]
.LBB60_258:
	s_or_b64 exec, exec, s[0:1]
	s_waitcnt lgkmcnt(0)
	s_barrier
	s_and_saveexec_b64 s[0:1], s[44:45]
	s_cbranch_execz .LBB60_260
; %bb.259:
	ds_read_b64 v[26:27], v15 offset:6240
	ds_read_b64 v[28:29], v16
	s_waitcnt lgkmcnt(0)
	v_mul_f32_e32 v30, v29, v27
	v_mul_f32_e32 v27, v28, v27
	v_fma_f32 v28, v28, v26, -v30
	v_fmac_f32_e32 v27, v29, v26
	v_add_f32_e32 v25, v25, v28
	v_add_f32_e32 v24, v24, v27
.LBB60_260:
	s_or_b64 exec, exec, s[0:1]
	s_barrier
	s_and_saveexec_b64 s[0:1], s[52:53]
	s_cbranch_execz .LBB60_262
; %bb.261:
	v_mov_b32_e32 v26, 0
	ds_read_b64 v[26:27], v26 offset:6760
	s_waitcnt lgkmcnt(0)
	v_mul_f32_e32 v29, v24, v27
	v_mul_f32_e32 v28, v25, v27
	v_fma_f32 v27, v25, v26, -v29
	v_fmac_f32_e32 v28, v24, v26
	v_mov_b32_e32 v25, v27
	v_mov_b32_e32 v24, v28
	ds_write_b64 v16, v[27:28]
.LBB60_262:
	s_or_b64 exec, exec, s[0:1]
	s_waitcnt lgkmcnt(0)
	s_barrier
	s_and_saveexec_b64 s[0:1], s[54:55]
	s_cbranch_execz .LBB60_264
; %bb.263:
	ds_read_b64 v[26:27], v15 offset:6752
	ds_read_b64 v[28:29], v16
	s_waitcnt lgkmcnt(0)
	v_mul_f32_e32 v30, v29, v27
	v_mul_f32_e32 v27, v28, v27
	v_fma_f32 v28, v28, v26, -v30
	v_fmac_f32_e32 v27, v29, v26
	v_add_f32_e32 v25, v25, v28
	v_add_f32_e32 v24, v24, v27
.LBB60_264:
	s_or_b64 exec, exec, s[0:1]
	s_barrier
	s_and_saveexec_b64 s[0:1], s[56:57]
	s_cbranch_execz .LBB60_266
; %bb.265:
	v_mov_b32_e32 v26, 0
	ds_read_b64 v[26:27], v26 offset:7280
	s_waitcnt lgkmcnt(0)
	v_mul_f32_e32 v29, v24, v27
	v_mul_f32_e32 v28, v25, v27
	v_fma_f32 v27, v25, v26, -v29
	v_fmac_f32_e32 v28, v24, v26
	v_mov_b32_e32 v25, v27
	v_mov_b32_e32 v24, v28
	ds_write_b64 v16, v[27:28]
.LBB60_266:
	s_or_b64 exec, exec, s[0:1]
	s_waitcnt lgkmcnt(0)
	s_barrier
	s_and_saveexec_b64 s[0:1], s[38:39]
	s_cbranch_execz .LBB60_268
; %bb.267:
	v_mov_b32_e32 v26, 0
	ds_read_b64 v[26:27], v26 offset:7288
	ds_read_b64 v[28:29], v16
	s_waitcnt lgkmcnt(0)
	v_mul_f32_e32 v30, v29, v27
	v_mul_f32_e32 v27, v28, v27
	v_fma_f32 v28, v28, v26, -v30
	v_fmac_f32_e32 v27, v29, v26
	v_add_f32_e32 v25, v25, v28
	v_add_f32_e32 v24, v24, v27
.LBB60_268:
	s_or_b64 exec, exec, s[0:1]
	s_barrier
	s_and_saveexec_b64 s[0:1], s[38:39]
	s_cbranch_execz .LBB60_270
; %bb.269:
	v_mov_b32_e32 v26, 0
	ds_read_b64 v[26:27], v26 offset:7800
	s_waitcnt lgkmcnt(0)
	v_mul_f32_e32 v29, v24, v27
	v_mul_f32_e32 v28, v25, v27
	v_fma_f32 v27, v25, v26, -v29
	v_fmac_f32_e32 v28, v24, v26
	v_mov_b32_e32 v25, v27
	v_mov_b32_e32 v24, v28
	ds_write_b64 v16, v[27:28]
.LBB60_270:
	s_or_b64 exec, exec, s[0:1]
	s_waitcnt lgkmcnt(0)
	s_barrier
	s_barrier
	s_and_saveexec_b64 s[0:1], s[18:19]
; %bb.271:
	v_xor_b32_e32 v25, 0x80000000, v25
	v_xor_b32_e32 v26, 0x80000000, v24
	ds_write_b64 v14, v[25:26] offset:4192
; %bb.272:
	s_or_b64 exec, exec, s[0:1]
	s_waitcnt lgkmcnt(0)
	s_barrier
	s_barrier
	s_and_saveexec_b64 s[0:1], s[58:59]
	s_cbranch_execz .LBB60_274
; %bb.273:
	v_lshlrev_b32_e32 v26, 9, v0
	ds_read_b64 v[24:25], v26 offset:4192
	s_movk_i32 s10, 0xfe08
	v_mad_i32_i24 v27, v0, s10, v26
	s_waitcnt lgkmcnt(0)
	ds_write_b64 v27, v[24:25] offset:6208
	ds_read_b64 v[24:25], v26 offset:4200
	s_waitcnt lgkmcnt(0)
	ds_write_b64 v27, v[24:25] offset:6720
	ds_read_b64 v[24:25], v26 offset:4208
	;; [unrolled: 3-line block ×3, first 2 shown]
	s_waitcnt lgkmcnt(0)
	ds_write_b64 v27, v[24:25] offset:7744
.LBB60_274:
	s_or_b64 exec, exec, s[0:1]
	s_waitcnt lgkmcnt(0)
	s_barrier
	s_and_saveexec_b64 s[0:1], vcc
	s_cbranch_execz .LBB60_276
; %bb.275:
	v_mov_b32_e32 v28, 0
	ds_read_b128 v[24:27], v28 offset:6240
	ds_read_b64 v[28:29], v28 offset:6760
	s_movk_i32 s10, 0x1800
	s_waitcnt lgkmcnt(0)
	v_mul_f32_e32 v30, v29, v25
	v_mul_f32_e32 v31, v28, v25
	v_fma_f32 v28, v28, v24, -v30
	v_fmac_f32_e32 v31, v29, v24
	v_mul_f32_e32 v24, v31, v27
	v_mul_f32_e32 v25, v28, v27
	v_fma_f32 v24, v28, v26, -v24
	v_fmac_f32_e32 v25, v31, v26
	v_add_u32_e64 v26, s10, 0
	ds_write2_b64 v26, v[24:25], v[24:25] offset0:13 offset1:76
.LBB60_276:
	s_or_b64 exec, exec, s[0:1]
	v_mov_b32_e32 v24, 0
	v_mov_b32_e32 v25, 0
	s_waitcnt lgkmcnt(0)
	s_barrier
	s_and_saveexec_b64 s[0:1], s[2:3]
	s_cbranch_execz .LBB60_280
; %bb.277:
	v_mul_u32_u24_e32 v26, 0x208, v13
	ds_read_b64 v[24:25], v11 offset:6256
	ds_read_b64 v[26:27], v26 offset:6240
	v_cmp_gt_u32_e64 s[10:11], 2, v1
	s_waitcnt lgkmcnt(0)
	v_mul_f32_e32 v28, v27, v25
	v_mul_f32_e32 v25, v26, v25
	v_fma_f32 v26, v26, v24, -v28
	v_fmac_f32_e32 v25, v27, v24
	v_add_f32_e32 v24, 0, v26
	v_add_f32_e32 v26, 0, v25
	s_and_saveexec_b64 s[14:15], s[10:11]
	s_cbranch_execz .LBB60_279
; %bb.278:
	v_lshlrev_b32_e32 v25, 3, v0
	v_mov_b32_e32 v29, 0
	ds_read_b64 v[27:28], v25 offset:6768
	ds_read_b64 v[29:30], v29 offset:6248
	s_waitcnt lgkmcnt(0)
	v_mul_f32_e32 v25, v30, v28
	v_mul_f32_e32 v28, v29, v28
	v_fma_f32 v25, v29, v27, -v25
	v_fmac_f32_e32 v28, v30, v27
	v_add_f32_e32 v24, v24, v25
	v_add_f32_e32 v26, v26, v28
.LBB60_279:
	s_or_b64 exec, exec, s[14:15]
	v_xor_b32_e32 v25, 0x80000000, v24
	v_xor_b32_e32 v24, 0x80000000, v26
.LBB60_280:
	s_or_b64 exec, exec, s[0:1]
	s_and_saveexec_b64 s[0:1], s[34:35]
	s_cbranch_execz .LBB60_282
; %bb.281:
	v_mov_b32_e32 v26, 0
	ds_read_b64 v[26:27], v26 offset:7280
	s_waitcnt lgkmcnt(0)
	v_mul_f32_e32 v29, v24, v27
	v_mul_f32_e32 v28, v25, v27
	v_fma_f32 v27, v25, v26, -v29
	v_fmac_f32_e32 v28, v24, v26
	v_mov_b32_e32 v25, v27
	v_mov_b32_e32 v24, v28
	ds_write_b64 v12, v[27:28]
.LBB60_282:
	s_or_b64 exec, exec, s[0:1]
	s_waitcnt lgkmcnt(0)
	s_barrier
	s_and_saveexec_b64 s[0:1], s[30:31]
	s_cbranch_execz .LBB60_284
; %bb.283:
	v_mov_b32_e32 v26, 0
	ds_read_b64 v[26:27], v26 offset:7288
	ds_read_b64 v[28:29], v12
	s_waitcnt lgkmcnt(0)
	v_mul_f32_e32 v30, v29, v27
	v_mul_f32_e32 v27, v28, v27
	v_fma_f32 v28, v28, v26, -v30
	v_fmac_f32_e32 v27, v29, v26
	v_add_f32_e32 v25, v25, v28
	v_add_f32_e32 v24, v24, v27
.LBB60_284:
	s_or_b64 exec, exec, s[0:1]
	s_barrier
	s_and_saveexec_b64 s[0:1], s[30:31]
	s_cbranch_execz .LBB60_286
; %bb.285:
	v_mov_b32_e32 v26, 0
	ds_read_b64 v[26:27], v26 offset:7800
	s_waitcnt lgkmcnt(0)
	v_mul_f32_e32 v29, v24, v27
	v_mul_f32_e32 v28, v25, v27
	v_fma_f32 v27, v25, v26, -v29
	v_fmac_f32_e32 v28, v24, v26
	v_mov_b32_e32 v25, v27
	v_mov_b32_e32 v24, v28
	ds_write_b64 v12, v[27:28]
.LBB60_286:
	s_or_b64 exec, exec, s[0:1]
	s_waitcnt lgkmcnt(0)
	s_barrier
	s_barrier
	s_and_saveexec_b64 s[0:1], s[2:3]
; %bb.287:
	v_xor_b32_e32 v26, 0x80000000, v24
	v_xor_b32_e32 v25, 0x80000000, v25
	ds_write_b64 v11, v[25:26] offset:6256
; %bb.288:
	s_or_b64 exec, exec, s[0:1]
	s_waitcnt lgkmcnt(0)
	s_barrier
	s_barrier
	s_and_saveexec_b64 s[0:1], s[36:37]
	s_cbranch_execz .LBB60_290
; %bb.289:
	v_lshlrev_b32_e32 v26, 3, v0
	s_movk_i32 s10, 0x1f8
	v_mad_u32_u24 v27, v0, s10, v26
	ds_read_b64 v[24:25], v27 offset:6256
	s_waitcnt lgkmcnt(0)
	ds_write_b64 v26, v[24:25] offset:7264
	ds_read_b64 v[24:25], v27 offset:6264
	s_waitcnt lgkmcnt(0)
	ds_write_b64 v26, v[24:25] offset:7776
.LBB60_290:
	s_or_b64 exec, exec, s[0:1]
	s_waitcnt lgkmcnt(0)
	s_barrier
	s_and_saveexec_b64 s[0:1], vcc
	s_cbranch_execz .LBB60_292
; %bb.291:
	v_mov_b32_e32 v28, 0
	ds_read_b128 v[24:27], v28 offset:7280
	ds_read_b64 v[28:29], v28 offset:7800
	s_movk_i32 s10, 0x1800
	s_waitcnt lgkmcnt(0)
	v_mul_f32_e32 v30, v29, v25
	v_mul_f32_e32 v31, v28, v25
	v_fma_f32 v28, v28, v24, -v30
	v_fmac_f32_e32 v31, v29, v24
	v_mul_f32_e32 v24, v31, v27
	v_mul_f32_e32 v25, v28, v27
	v_fma_f32 v24, v28, v26, -v24
	v_fmac_f32_e32 v25, v31, v26
	v_add_u32_e64 v26, s10, 0
	ds_write2_b64 v26, v[24:25], v[24:25] offset0:143 offset1:206
.LBB60_292:
	s_or_b64 exec, exec, s[0:1]
	v_lshrrev_b32_e32 v28, 4, v1
	v_and_b32_e32 v25, 15, v0
	s_movk_i32 s0, 0xff
	v_lshlrev_b32_e32 v27, 6, v28
	v_cmp_lt_u32_e64 s[14:15], s0, v1
	s_movk_i32 s0, 0x100
	v_or_b32_e32 v24, v27, v25
	v_cmp_gt_u32_e64 s[10:11], s0, v1
	v_lshlrev_b32_e32 v24, 3, v24
	v_mov_b32_e32 v29, 0
	v_mov_b32_e32 v30, 0
	s_waitcnt lgkmcnt(0)
	s_barrier
	s_and_saveexec_b64 s[0:1], s[10:11]
	s_cbranch_execz .LBB60_320
; %bb.293:
	v_mul_u32_u24_e32 v30, 0x208, v28
	ds_read_b64 v[31:32], v24 offset:128
	ds_read_b64 v[33:34], v30
	s_movk_i32 s16, 0xf0
	v_cmp_gt_u32_e64 s[16:17], s16, v1
	s_waitcnt lgkmcnt(0)
	v_mul_f32_e32 v26, v34, v32
	v_mul_f32_e32 v29, v33, v32
	v_fma_f32 v26, v33, v31, -v26
	v_fmac_f32_e32 v29, v34, v31
	v_add_f32_e32 v26, 0, v26
	v_add_f32_e32 v29, 0, v29
	s_and_saveexec_b64 s[20:21], s[16:17]
	s_cbranch_execz .LBB60_295
; %bb.294:
	v_lshlrev_b32_e32 v31, 3, v28
	v_sub_u32_e32 v31, v30, v31
	v_lshl_add_u32 v31, v25, 3, v31
	ds_read_b64 v[31:32], v31 offset:640
	ds_read_b64 v[33:34], v30 offset:8
	s_waitcnt lgkmcnt(0)
	v_mul_f32_e32 v35, v34, v32
	v_mul_f32_e32 v32, v33, v32
	v_fma_f32 v33, v33, v31, -v35
	v_fmac_f32_e32 v32, v34, v31
	v_add_f32_e32 v26, v26, v33
	v_add_f32_e32 v29, v29, v32
.LBB60_295:
	s_or_b64 exec, exec, s[20:21]
	s_movk_i32 s16, 0xe0
	v_cmp_gt_u32_e64 s[16:17], s16, v1
	s_and_saveexec_b64 s[20:21], s[16:17]
	s_cbranch_execz .LBB60_297
; %bb.296:
	v_lshlrev_b32_e32 v31, 3, v28
	v_sub_u32_e32 v31, v30, v31
	v_lshl_add_u32 v31, v25, 3, v31
	ds_read_b64 v[31:32], v31 offset:1152
	ds_read_b64 v[33:34], v30 offset:16
	s_waitcnt lgkmcnt(0)
	v_mul_f32_e32 v35, v34, v32
	v_mul_f32_e32 v32, v33, v32
	v_fma_f32 v33, v33, v31, -v35
	v_fmac_f32_e32 v32, v34, v31
	v_add_f32_e32 v26, v26, v33
	v_add_f32_e32 v29, v29, v32
.LBB60_297:
	s_or_b64 exec, exec, s[20:21]
	s_movk_i32 s16, 0xd0
	v_cmp_gt_u32_e64 s[16:17], s16, v1
	;; [unrolled: 19-line block ×7, first 2 shown]
	s_and_saveexec_b64 s[20:21], s[16:17]
	s_cbranch_execz .LBB60_309
; %bb.308:
	ds_read_b64 v[31:32], v24 offset:4224
	ds_read_b64 v[33:34], v30 offset:64
	s_waitcnt lgkmcnt(0)
	v_mul_f32_e32 v35, v34, v32
	v_mul_f32_e32 v32, v33, v32
	v_fma_f32 v33, v33, v31, -v35
	v_fmac_f32_e32 v32, v34, v31
	v_add_f32_e32 v26, v26, v33
	v_add_f32_e32 v29, v29, v32
.LBB60_309:
	s_or_b64 exec, exec, s[20:21]
	s_movk_i32 s16, 0x70
	v_cmp_gt_u32_e64 s[16:17], s16, v1
	s_and_saveexec_b64 s[20:21], s[16:17]
	s_cbranch_execz .LBB60_311
; %bb.310:
	v_lshlrev_b32_e32 v31, 3, v25
	v_lshl_add_u32 v31, v27, 3, v31
	ds_read_b64 v[31:32], v31 offset:4736
	ds_read_b64 v[33:34], v30 offset:72
	s_waitcnt lgkmcnt(0)
	v_mul_f32_e32 v35, v34, v32
	v_mul_f32_e32 v32, v33, v32
	v_fma_f32 v33, v33, v31, -v35
	v_fmac_f32_e32 v32, v34, v31
	v_add_f32_e32 v26, v26, v33
	v_add_f32_e32 v29, v29, v32
.LBB60_311:
	s_or_b64 exec, exec, s[20:21]
	s_movk_i32 s16, 0x60
	v_cmp_gt_u32_e64 s[16:17], s16, v1
	s_and_saveexec_b64 s[20:21], s[16:17]
	s_cbranch_execz .LBB60_313
; %bb.312:
	v_lshlrev_b32_e32 v31, 3, v25
	v_lshl_add_u32 v31, v27, 3, v31
	ds_read_b64 v[31:32], v31 offset:5248
	ds_read_b64 v[33:34], v30 offset:80
	s_waitcnt lgkmcnt(0)
	v_mul_f32_e32 v35, v34, v32
	v_mul_f32_e32 v32, v33, v32
	v_fma_f32 v33, v33, v31, -v35
	v_fmac_f32_e32 v32, v34, v31
	v_add_f32_e32 v26, v26, v33
	v_add_f32_e32 v29, v29, v32
.LBB60_313:
	s_or_b64 exec, exec, s[20:21]
	s_movk_i32 s16, 0x50
	v_cmp_gt_u32_e64 s[16:17], s16, v1
	s_and_saveexec_b64 s[20:21], s[16:17]
	s_cbranch_execnz .LBB60_1134
; %bb.314:
	s_or_b64 exec, exec, s[20:21]
	v_cmp_gt_u32_e64 s[16:17], 64, v1
	s_and_saveexec_b64 s[20:21], s[16:17]
	s_cbranch_execnz .LBB60_1135
.LBB60_315:
	s_or_b64 exec, exec, s[20:21]
	v_cmp_gt_u32_e64 s[16:17], 48, v1
	s_and_saveexec_b64 s[20:21], s[16:17]
	s_cbranch_execnz .LBB60_1136
.LBB60_316:
	s_or_b64 exec, exec, s[20:21]
	v_cmp_gt_u32_e64 s[16:17], 32, v1
	s_and_saveexec_b64 s[20:21], s[16:17]
	s_cbranch_execnz .LBB60_1137
.LBB60_317:
	s_or_b64 exec, exec, s[20:21]
	v_cmp_gt_u32_e64 s[16:17], 16, v1
	s_and_saveexec_b64 s[20:21], s[16:17]
	s_cbranch_execz .LBB60_319
.LBB60_318:
	v_lshlrev_b32_e32 v30, 3, v0
	v_mov_b32_e32 v32, 0
	ds_read_b64 v[30:31], v30 offset:7808
	ds_read_b64 v[32:33], v32 offset:120
	s_waitcnt lgkmcnt(0)
	v_mul_f32_e32 v34, v33, v31
	v_mul_f32_e32 v31, v32, v31
	v_fma_f32 v32, v32, v30, -v34
	v_fmac_f32_e32 v31, v33, v30
	v_add_f32_e32 v26, v26, v32
	v_add_f32_e32 v29, v29, v31
.LBB60_319:
	s_or_b64 exec, exec, s[20:21]
	v_xor_b32_e32 v30, 0x80000000, v26
	v_xor_b32_e32 v29, 0x80000000, v29
.LBB60_320:
	s_or_b64 exec, exec, s[0:1]
	v_mov_b32_e32 v26, 0x8000
	v_lshl_add_u32 v26, v28, 3, v26
	v_cmp_eq_u32_e64 s[16:17], 0, v25
	s_xor_b64 s[0:1], s[14:15], -1
	s_and_b64 s[16:17], s[16:17], s[0:1]
	s_mov_b64 s[14:15], exec
	v_writelane_b32 v43, s16, 5
	v_writelane_b32 v43, s17, 6
	s_and_b64 s[16:17], s[14:15], s[16:17]
	s_mov_b64 exec, s[16:17]
	s_cbranch_execz .LBB60_322
; %bb.321:
	v_mov_b32_e32 v31, 0
	ds_read_b64 v[31:32], v31 offset:8320
	s_waitcnt lgkmcnt(0)
	v_mul_f32_e32 v34, v29, v32
	v_mul_f32_e32 v33, v30, v32
	v_fma_f32 v32, v30, v31, -v34
	v_fmac_f32_e32 v33, v29, v31
	v_mov_b32_e32 v30, v32
	v_mov_b32_e32 v29, v33
	ds_write_b64 v26, v[32:33]
.LBB60_322:
	s_or_b64 exec, exec, s[14:15]
	v_cmp_ne_u32_e64 s[14:15], 0, v25
	s_waitcnt lgkmcnt(0)
	s_barrier
	s_and_b64 s[16:17], s[14:15], s[0:1]
	s_mov_b64 s[14:15], exec
	v_writelane_b32 v43, s16, 7
	v_writelane_b32 v43, s17, 8
	s_and_b64 s[16:17], s[14:15], s[16:17]
	s_mov_b64 exec, s[16:17]
	s_cbranch_execz .LBB60_324
; %bb.323:
	v_lshlrev_b32_e32 v31, 3, v25
	ds_read_b64 v[31:32], v31 offset:8320
	ds_read_b64 v[33:34], v26
	s_waitcnt lgkmcnt(0)
	v_mul_f32_e32 v35, v34, v32
	v_mul_f32_e32 v32, v33, v32
	v_fma_f32 v33, v33, v31, -v35
	v_fmac_f32_e32 v32, v34, v31
	v_add_f32_e32 v30, v30, v33
	v_add_f32_e32 v29, v29, v32
.LBB60_324:
	s_or_b64 exec, exec, s[14:15]
	v_cmp_eq_u32_e64 s[14:15], 1, v25
	s_barrier
	s_and_b64 s[16:17], s[14:15], s[0:1]
	s_mov_b64 s[14:15], exec
	v_writelane_b32 v43, s16, 9
	v_writelane_b32 v43, s17, 10
	s_and_b64 s[16:17], s[14:15], s[16:17]
	s_mov_b64 exec, s[16:17]
	s_cbranch_execz .LBB60_326
; %bb.325:
	v_mov_b32_e32 v31, 0
	ds_read_b64 v[31:32], v31 offset:8840
	s_waitcnt lgkmcnt(0)
	v_mul_f32_e32 v34, v29, v32
	v_mul_f32_e32 v33, v30, v32
	v_fma_f32 v32, v30, v31, -v34
	v_fmac_f32_e32 v33, v29, v31
	v_mov_b32_e32 v30, v32
	v_mov_b32_e32 v29, v33
	ds_write_b64 v26, v[32:33]
.LBB60_326:
	s_or_b64 exec, exec, s[14:15]
	v_cmp_lt_u32_e64 s[14:15], 1, v25
	s_waitcnt lgkmcnt(0)
	s_barrier
	s_and_b64 s[16:17], s[14:15], s[0:1]
	s_mov_b64 s[14:15], exec
	v_writelane_b32 v43, s16, 11
	v_writelane_b32 v43, s17, 12
	s_and_b64 s[16:17], s[14:15], s[16:17]
	s_mov_b64 exec, s[16:17]
	s_cbranch_execz .LBB60_328
; %bb.327:
	v_lshlrev_b32_e32 v31, 3, v25
	ds_read_b64 v[31:32], v31 offset:8832
	ds_read_b64 v[33:34], v26
	s_waitcnt lgkmcnt(0)
	v_mul_f32_e32 v35, v34, v32
	v_mul_f32_e32 v32, v33, v32
	v_fma_f32 v33, v33, v31, -v35
	v_fmac_f32_e32 v32, v34, v31
	v_add_f32_e32 v30, v30, v33
	v_add_f32_e32 v29, v29, v32
.LBB60_328:
	s_or_b64 exec, exec, s[14:15]
	v_cmp_eq_u32_e64 s[14:15], 2, v25
	s_barrier
	s_and_b64 s[16:17], s[14:15], s[0:1]
	s_mov_b64 s[14:15], exec
	v_writelane_b32 v43, s16, 13
	v_writelane_b32 v43, s17, 14
	s_and_b64 s[16:17], s[14:15], s[16:17]
	s_mov_b64 exec, s[16:17]
	s_cbranch_execz .LBB60_330
; %bb.329:
	v_mov_b32_e32 v31, 0
	ds_read_b64 v[31:32], v31 offset:9360
	s_waitcnt lgkmcnt(0)
	v_mul_f32_e32 v34, v29, v32
	v_mul_f32_e32 v33, v30, v32
	v_fma_f32 v32, v30, v31, -v34
	v_fmac_f32_e32 v33, v29, v31
	v_mov_b32_e32 v30, v32
	v_mov_b32_e32 v29, v33
	ds_write_b64 v26, v[32:33]
.LBB60_330:
	s_or_b64 exec, exec, s[14:15]
	v_cmp_lt_u32_e64 s[14:15], 2, v25
	;; [unrolled: 45-line block ×13, first 2 shown]
	s_waitcnt lgkmcnt(0)
	s_barrier
	s_and_b64 s[16:17], s[14:15], s[0:1]
	s_mov_b64 s[14:15], exec
	v_writelane_b32 v43, s16, 59
	v_writelane_b32 v43, s17, 60
	s_and_b64 s[16:17], s[14:15], s[16:17]
	s_mov_b64 exec, s[16:17]
	s_cbranch_execz .LBB60_376
; %bb.375:
	v_lshlrev_b32_e32 v31, 3, v25
	ds_read_b64 v[31:32], v31 offset:14976
	ds_read_b64 v[33:34], v26
	s_waitcnt lgkmcnt(0)
	v_mul_f32_e32 v35, v34, v32
	v_mul_f32_e32 v32, v33, v32
	v_fma_f32 v33, v33, v31, -v35
	v_fmac_f32_e32 v32, v34, v31
	v_add_f32_e32 v30, v30, v33
	v_add_f32_e32 v29, v29, v32
.LBB60_376:
	s_or_b64 exec, exec, s[14:15]
	v_cmp_eq_u32_e64 s[14:15], 14, v25
	s_barrier
	s_and_b64 s[16:17], s[14:15], s[0:1]
	s_mov_b64 s[14:15], exec
	v_writelane_b32 v43, s16, 61
	v_writelane_b32 v43, s17, 62
	s_and_b64 s[16:17], s[14:15], s[16:17]
	s_mov_b64 exec, s[16:17]
	s_cbranch_execz .LBB60_378
; %bb.377:
	v_mov_b32_e32 v31, 0
	ds_read_b64 v[31:32], v31 offset:15600
	s_waitcnt lgkmcnt(0)
	v_mul_f32_e32 v34, v29, v32
	v_mul_f32_e32 v33, v30, v32
	v_fma_f32 v32, v30, v31, -v34
	v_fmac_f32_e32 v33, v29, v31
	v_mov_b32_e32 v30, v32
	v_mov_b32_e32 v29, v33
	ds_write_b64 v26, v[32:33]
.LBB60_378:
	s_or_b64 exec, exec, s[14:15]
	v_cmp_eq_u32_e64 s[14:15], 15, v25
	s_and_b64 s[0:1], s[14:15], s[0:1]
	s_waitcnt lgkmcnt(0)
	s_barrier
	s_and_saveexec_b64 s[14:15], s[0:1]
	s_cbranch_execz .LBB60_380
; %bb.379:
	v_mov_b32_e32 v31, 0
	ds_read_b64 v[31:32], v31 offset:15608
	ds_read_b64 v[33:34], v26
	s_waitcnt lgkmcnt(0)
	v_mul_f32_e32 v35, v34, v32
	v_mul_f32_e32 v32, v33, v32
	v_fma_f32 v33, v33, v31, -v35
	v_fmac_f32_e32 v32, v34, v31
	v_add_f32_e32 v30, v30, v33
	v_add_f32_e32 v29, v29, v32
.LBB60_380:
	s_or_b64 exec, exec, s[14:15]
	s_barrier
	s_and_saveexec_b64 s[14:15], s[0:1]
	s_cbranch_execz .LBB60_382
; %bb.381:
	v_mov_b32_e32 v31, 0
	ds_read_b64 v[31:32], v31 offset:16120
	s_waitcnt lgkmcnt(0)
	v_mul_f32_e32 v34, v29, v32
	v_mul_f32_e32 v33, v30, v32
	v_fma_f32 v32, v30, v31, -v34
	v_fmac_f32_e32 v33, v29, v31
	v_mov_b32_e32 v30, v32
	v_mov_b32_e32 v29, v33
	ds_write_b64 v26, v[32:33]
.LBB60_382:
	s_or_b64 exec, exec, s[14:15]
	s_waitcnt lgkmcnt(0)
	s_barrier
	s_barrier
	s_and_saveexec_b64 s[14:15], s[10:11]
; %bb.383:
	v_xor_b32_e32 v30, 0x80000000, v30
	v_xor_b32_e32 v31, 0x80000000, v29
	ds_write_b64 v24, v[30:31] offset:128
; %bb.384:
	s_or_b64 exec, exec, s[14:15]
	v_cmp_gt_u32_e64 s[14:15], 16, v0
	s_waitcnt lgkmcnt(0)
	s_barrier
	s_barrier
	s_and_b64 s[16:17], s[12:13], s[14:15]
	s_mov_b64 s[14:15], exec
                                        ; implicit-def: $vgpr42 : SGPR spill to VGPR lane
	v_writelane_b32 v43, s16, 63
	v_writelane_b32 v42, s17, 0
	s_and_b64 s[16:17], s[14:15], s[16:17]
	s_mov_b64 exec, s[16:17]
	s_cbranch_execz .LBB60_386
; %bb.385:
	v_lshlrev_b32_e32 v31, 9, v0
	ds_read_b64 v[29:30], v31 offset:128
	s_movk_i32 s16, 0xfe08
	v_mad_i32_i24 v32, v0, s16, v31
	s_waitcnt lgkmcnt(0)
	ds_write_b64 v32, v[29:30] offset:8192
	ds_read_b64 v[29:30], v31 offset:136
	s_waitcnt lgkmcnt(0)
	ds_write_b64 v32, v[29:30] offset:8704
	ds_read_b64 v[29:30], v31 offset:144
	;; [unrolled: 3-line block ×15, first 2 shown]
	s_waitcnt lgkmcnt(0)
	ds_write_b64 v32, v[29:30] offset:15872
.LBB60_386:
	s_or_b64 exec, exec, s[14:15]
	s_waitcnt lgkmcnt(0)
	s_barrier
	s_and_saveexec_b64 s[14:15], vcc
	s_cbranch_execz .LBB60_388
; %bb.387:
	v_mov_b32_e32 v33, 0
	ds_read_b128 v[29:32], v33 offset:8320
	ds_read_b64 v[33:34], v33 offset:8840
	s_movk_i32 s16, 0x2000
	s_waitcnt lgkmcnt(0)
	v_mul_f32_e32 v35, v34, v30
	v_mul_f32_e32 v36, v33, v30
	v_fma_f32 v33, v33, v29, -v35
	v_fmac_f32_e32 v36, v34, v29
	v_mul_f32_e32 v29, v36, v32
	v_mul_f32_e32 v30, v33, v32
	v_fma_f32 v29, v33, v31, -v29
	v_fmac_f32_e32 v30, v36, v31
	v_add_u32_e64 v31, s16, 0
	ds_write2_b64 v31, v[29:30], v[29:30] offset0:17 offset1:80
.LBB60_388:
	s_or_b64 exec, exec, s[14:15]
	v_mov_b32_e32 v29, 0
	v_mov_b32_e32 v30, 0
	s_waitcnt lgkmcnt(0)
	s_barrier
	s_and_saveexec_b64 s[16:17], s[2:3]
	s_cbranch_execz .LBB60_392
; %bb.389:
	v_mul_u32_u24_e32 v31, 0x208, v13
	ds_read_b64 v[29:30], v11 offset:8336
	ds_read_b64 v[31:32], v31 offset:8320
	v_cmp_gt_u32_e64 s[14:15], 2, v1
	s_waitcnt lgkmcnt(0)
	v_mul_f32_e32 v33, v32, v30
	v_mul_f32_e32 v30, v31, v30
	v_fma_f32 v31, v31, v29, -v33
	v_fmac_f32_e32 v30, v32, v29
	v_add_f32_e32 v29, 0, v31
	v_add_f32_e32 v31, 0, v30
	s_and_saveexec_b64 s[20:21], s[14:15]
	s_cbranch_execz .LBB60_391
; %bb.390:
	v_lshlrev_b32_e32 v30, 3, v0
	v_mov_b32_e32 v34, 0
	ds_read_b64 v[32:33], v30 offset:8848
	ds_read_b64 v[34:35], v34 offset:8328
	s_waitcnt lgkmcnt(0)
	v_mul_f32_e32 v30, v35, v33
	v_mul_f32_e32 v33, v34, v33
	v_fma_f32 v30, v34, v32, -v30
	v_fmac_f32_e32 v33, v35, v32
	v_add_f32_e32 v29, v29, v30
	v_add_f32_e32 v31, v31, v33
.LBB60_391:
	s_or_b64 exec, exec, s[20:21]
	v_xor_b32_e32 v30, 0x80000000, v29
	v_xor_b32_e32 v29, 0x80000000, v31
.LBB60_392:
	s_or_b64 exec, exec, s[16:17]
	s_and_saveexec_b64 s[14:15], s[34:35]
	s_cbranch_execz .LBB60_394
; %bb.393:
	v_mov_b32_e32 v31, 0
	ds_read_b64 v[31:32], v31 offset:9360
	s_waitcnt lgkmcnt(0)
	v_mul_f32_e32 v34, v29, v32
	v_mul_f32_e32 v33, v30, v32
	v_fma_f32 v32, v30, v31, -v34
	v_fmac_f32_e32 v33, v29, v31
	v_mov_b32_e32 v30, v32
	v_mov_b32_e32 v29, v33
	ds_write_b64 v12, v[32:33]
.LBB60_394:
	s_or_b64 exec, exec, s[14:15]
	s_waitcnt lgkmcnt(0)
	s_barrier
	s_and_saveexec_b64 s[14:15], s[30:31]
	s_cbranch_execz .LBB60_396
; %bb.395:
	v_mov_b32_e32 v31, 0
	ds_read_b64 v[31:32], v31 offset:9368
	ds_read_b64 v[33:34], v12
	s_waitcnt lgkmcnt(0)
	v_mul_f32_e32 v35, v34, v32
	v_mul_f32_e32 v32, v33, v32
	v_fma_f32 v33, v33, v31, -v35
	v_fmac_f32_e32 v32, v34, v31
	v_add_f32_e32 v30, v30, v33
	v_add_f32_e32 v29, v29, v32
.LBB60_396:
	s_or_b64 exec, exec, s[14:15]
	s_barrier
	s_and_saveexec_b64 s[14:15], s[30:31]
	s_cbranch_execz .LBB60_398
; %bb.397:
	v_mov_b32_e32 v31, 0
	ds_read_b64 v[31:32], v31 offset:9880
	s_waitcnt lgkmcnt(0)
	v_mul_f32_e32 v34, v29, v32
	v_mul_f32_e32 v33, v30, v32
	v_fma_f32 v32, v30, v31, -v34
	v_fmac_f32_e32 v33, v29, v31
	v_mov_b32_e32 v30, v32
	v_mov_b32_e32 v29, v33
	ds_write_b64 v12, v[32:33]
.LBB60_398:
	s_or_b64 exec, exec, s[14:15]
	s_waitcnt lgkmcnt(0)
	s_barrier
	s_barrier
	s_and_saveexec_b64 s[14:15], s[2:3]
; %bb.399:
	v_xor_b32_e32 v31, 0x80000000, v29
	v_xor_b32_e32 v30, 0x80000000, v30
	ds_write_b64 v11, v[30:31] offset:8336
; %bb.400:
	s_or_b64 exec, exec, s[14:15]
	s_waitcnt lgkmcnt(0)
	s_barrier
	s_barrier
	s_and_saveexec_b64 s[14:15], s[36:37]
	s_cbranch_execz .LBB60_402
; %bb.401:
	v_lshlrev_b32_e32 v31, 3, v0
	s_movk_i32 s16, 0x1f8
	v_mad_u32_u24 v32, v0, s16, v31
	ds_read_b64 v[29:30], v32 offset:8336
	s_waitcnt lgkmcnt(0)
	ds_write_b64 v31, v[29:30] offset:9344
	ds_read_b64 v[29:30], v32 offset:8344
	s_waitcnt lgkmcnt(0)
	ds_write_b64 v31, v[29:30] offset:9856
.LBB60_402:
	s_or_b64 exec, exec, s[14:15]
	s_waitcnt lgkmcnt(0)
	s_barrier
	s_and_saveexec_b64 s[14:15], vcc
	s_cbranch_execz .LBB60_404
; %bb.403:
	v_mov_b32_e32 v33, 0
	ds_read_b128 v[29:32], v33 offset:9360
	ds_read_b64 v[33:34], v33 offset:9880
	s_movk_i32 s16, 0x2000
	s_waitcnt lgkmcnt(0)
	v_mul_f32_e32 v35, v34, v30
	v_mul_f32_e32 v36, v33, v30
	v_fma_f32 v33, v33, v29, -v35
	v_fmac_f32_e32 v36, v34, v29
	v_mul_f32_e32 v29, v36, v32
	v_mul_f32_e32 v30, v33, v32
	v_fma_f32 v29, v33, v31, -v29
	v_fmac_f32_e32 v30, v36, v31
	v_add_u32_e64 v31, s16, 0
	ds_write2_b64 v31, v[29:30], v[29:30] offset0:147 offset1:210
.LBB60_404:
	s_or_b64 exec, exec, s[14:15]
	v_mov_b32_e32 v29, 0
	v_mov_b32_e32 v30, 0
	s_waitcnt lgkmcnt(0)
	s_barrier
	s_and_saveexec_b64 s[16:17], s[18:19]
	s_cbranch_execz .LBB60_410
; %bb.405:
	v_mul_u32_u24_e32 v30, 0x208, v18
	ds_read_b64 v[31:32], v14 offset:8352
	ds_read_b64 v[33:34], v30 offset:8320
	v_cmp_gt_u32_e64 s[14:15], 12, v1
	s_waitcnt lgkmcnt(0)
	v_mul_f32_e32 v29, v34, v32
	v_mul_f32_e32 v32, v33, v32
	v_fma_f32 v29, v33, v31, -v29
	v_fmac_f32_e32 v32, v34, v31
	v_add_f32_e32 v29, 0, v29
	v_add_f32_e32 v31, 0, v32
	s_and_saveexec_b64 s[20:21], s[14:15]
	s_cbranch_execnz .LBB60_1138
; %bb.406:
	s_or_b64 exec, exec, s[20:21]
	v_cmp_gt_u32_e64 s[14:15], 8, v1
	s_and_saveexec_b64 s[20:21], s[14:15]
	s_cbranch_execnz .LBB60_1139
.LBB60_407:
	s_or_b64 exec, exec, s[20:21]
	v_cmp_gt_u32_e64 s[14:15], 4, v1
	s_and_saveexec_b64 s[20:21], s[14:15]
	s_cbranch_execz .LBB60_409
.LBB60_408:
	v_lshlrev_b32_e32 v30, 3, v0
	v_mov_b32_e32 v34, 0
	ds_read_b64 v[32:33], v30 offset:9888
	ds_read_b64 v[34:35], v34 offset:8344
	s_waitcnt lgkmcnt(0)
	v_mul_f32_e32 v30, v35, v33
	v_mul_f32_e32 v33, v34, v33
	v_fma_f32 v30, v34, v32, -v30
	v_fmac_f32_e32 v33, v35, v32
	v_add_f32_e32 v29, v29, v30
	v_add_f32_e32 v31, v31, v33
.LBB60_409:
	s_or_b64 exec, exec, s[20:21]
	v_xor_b32_e32 v30, 0x80000000, v29
	v_xor_b32_e32 v29, 0x80000000, v31
.LBB60_410:
	s_or_b64 exec, exec, s[16:17]
	s_and_saveexec_b64 s[14:15], s[42:43]
	s_cbranch_execz .LBB60_412
; %bb.411:
	v_mov_b32_e32 v31, 0
	ds_read_b64 v[31:32], v31 offset:10400
	s_waitcnt lgkmcnt(0)
	v_mul_f32_e32 v34, v29, v32
	v_mul_f32_e32 v33, v30, v32
	v_fma_f32 v32, v30, v31, -v34
	v_fmac_f32_e32 v33, v29, v31
	v_mov_b32_e32 v30, v32
	v_mov_b32_e32 v29, v33
	ds_write_b64 v16, v[32:33]
.LBB60_412:
	s_or_b64 exec, exec, s[14:15]
	s_waitcnt lgkmcnt(0)
	s_barrier
	s_and_saveexec_b64 s[14:15], s[44:45]
	s_cbranch_execz .LBB60_414
; %bb.413:
	ds_read_b64 v[31:32], v15 offset:10400
	ds_read_b64 v[33:34], v16
	s_waitcnt lgkmcnt(0)
	v_mul_f32_e32 v35, v34, v32
	v_mul_f32_e32 v32, v33, v32
	v_fma_f32 v33, v33, v31, -v35
	v_fmac_f32_e32 v32, v34, v31
	v_add_f32_e32 v30, v30, v33
	v_add_f32_e32 v29, v29, v32
.LBB60_414:
	s_or_b64 exec, exec, s[14:15]
	s_barrier
	s_and_saveexec_b64 s[14:15], s[52:53]
	s_cbranch_execz .LBB60_416
; %bb.415:
	v_mov_b32_e32 v31, 0
	ds_read_b64 v[31:32], v31 offset:10920
	s_waitcnt lgkmcnt(0)
	v_mul_f32_e32 v34, v29, v32
	v_mul_f32_e32 v33, v30, v32
	v_fma_f32 v32, v30, v31, -v34
	v_fmac_f32_e32 v33, v29, v31
	v_mov_b32_e32 v30, v32
	v_mov_b32_e32 v29, v33
	ds_write_b64 v16, v[32:33]
.LBB60_416:
	s_or_b64 exec, exec, s[14:15]
	s_waitcnt lgkmcnt(0)
	s_barrier
	s_and_saveexec_b64 s[14:15], s[54:55]
	s_cbranch_execz .LBB60_418
; %bb.417:
	ds_read_b64 v[31:32], v15 offset:10912
	ds_read_b64 v[33:34], v16
	s_waitcnt lgkmcnt(0)
	v_mul_f32_e32 v35, v34, v32
	v_mul_f32_e32 v32, v33, v32
	v_fma_f32 v33, v33, v31, -v35
	v_fmac_f32_e32 v32, v34, v31
	v_add_f32_e32 v30, v30, v33
	v_add_f32_e32 v29, v29, v32
.LBB60_418:
	s_or_b64 exec, exec, s[14:15]
	s_barrier
	s_and_saveexec_b64 s[14:15], s[56:57]
	s_cbranch_execz .LBB60_420
; %bb.419:
	v_mov_b32_e32 v31, 0
	ds_read_b64 v[31:32], v31 offset:11440
	s_waitcnt lgkmcnt(0)
	v_mul_f32_e32 v34, v29, v32
	v_mul_f32_e32 v33, v30, v32
	v_fma_f32 v32, v30, v31, -v34
	v_fmac_f32_e32 v33, v29, v31
	v_mov_b32_e32 v30, v32
	v_mov_b32_e32 v29, v33
	ds_write_b64 v16, v[32:33]
.LBB60_420:
	s_or_b64 exec, exec, s[14:15]
	s_waitcnt lgkmcnt(0)
	s_barrier
	s_and_saveexec_b64 s[14:15], s[38:39]
	s_cbranch_execz .LBB60_422
; %bb.421:
	v_mov_b32_e32 v31, 0
	ds_read_b64 v[31:32], v31 offset:11448
	ds_read_b64 v[33:34], v16
	s_waitcnt lgkmcnt(0)
	v_mul_f32_e32 v35, v34, v32
	v_mul_f32_e32 v32, v33, v32
	v_fma_f32 v33, v33, v31, -v35
	v_fmac_f32_e32 v32, v34, v31
	v_add_f32_e32 v30, v30, v33
	v_add_f32_e32 v29, v29, v32
.LBB60_422:
	s_or_b64 exec, exec, s[14:15]
	s_barrier
	s_and_saveexec_b64 s[14:15], s[38:39]
	s_cbranch_execz .LBB60_424
; %bb.423:
	v_mov_b32_e32 v31, 0
	ds_read_b64 v[31:32], v31 offset:11960
	s_waitcnt lgkmcnt(0)
	v_mul_f32_e32 v34, v29, v32
	v_mul_f32_e32 v33, v30, v32
	v_fma_f32 v32, v30, v31, -v34
	v_fmac_f32_e32 v33, v29, v31
	v_mov_b32_e32 v30, v32
	v_mov_b32_e32 v29, v33
	ds_write_b64 v16, v[32:33]
.LBB60_424:
	s_or_b64 exec, exec, s[14:15]
	s_waitcnt lgkmcnt(0)
	s_barrier
	s_barrier
	s_and_saveexec_b64 s[14:15], s[18:19]
; %bb.425:
	v_xor_b32_e32 v30, 0x80000000, v30
	v_xor_b32_e32 v31, 0x80000000, v29
	ds_write_b64 v14, v[30:31] offset:8352
; %bb.426:
	s_or_b64 exec, exec, s[14:15]
	s_waitcnt lgkmcnt(0)
	s_barrier
	s_barrier
	s_and_saveexec_b64 s[14:15], s[58:59]
	s_cbranch_execz .LBB60_428
; %bb.427:
	v_lshlrev_b32_e32 v31, 9, v0
	ds_read_b64 v[29:30], v31 offset:8352
	s_movk_i32 s16, 0xfe08
	v_mad_i32_i24 v32, v0, s16, v31
	s_waitcnt lgkmcnt(0)
	ds_write_b64 v32, v[29:30] offset:10368
	ds_read_b64 v[29:30], v31 offset:8360
	s_waitcnt lgkmcnt(0)
	ds_write_b64 v32, v[29:30] offset:10880
	ds_read_b64 v[29:30], v31 offset:8368
	;; [unrolled: 3-line block ×3, first 2 shown]
	s_waitcnt lgkmcnt(0)
	ds_write_b64 v32, v[29:30] offset:11904
.LBB60_428:
	s_or_b64 exec, exec, s[14:15]
	s_waitcnt lgkmcnt(0)
	s_barrier
	s_and_saveexec_b64 s[14:15], vcc
	s_cbranch_execz .LBB60_430
; %bb.429:
	v_mov_b32_e32 v33, 0
	ds_read_b128 v[29:32], v33 offset:10400
	ds_read_b64 v[33:34], v33 offset:10920
	s_movk_i32 s16, 0x2800
	s_waitcnt lgkmcnt(0)
	v_mul_f32_e32 v35, v34, v30
	v_mul_f32_e32 v36, v33, v30
	v_fma_f32 v33, v33, v29, -v35
	v_fmac_f32_e32 v36, v34, v29
	v_mul_f32_e32 v29, v36, v32
	v_mul_f32_e32 v30, v33, v32
	v_fma_f32 v29, v33, v31, -v29
	v_fmac_f32_e32 v30, v36, v31
	v_add_u32_e64 v31, s16, 0
	ds_write2_b64 v31, v[29:30], v[29:30] offset0:21 offset1:84
.LBB60_430:
	s_or_b64 exec, exec, s[14:15]
	v_mov_b32_e32 v29, 0
	v_mov_b32_e32 v30, 0
	s_waitcnt lgkmcnt(0)
	s_barrier
	s_and_saveexec_b64 s[16:17], s[2:3]
	s_cbranch_execz .LBB60_434
; %bb.431:
	v_mul_u32_u24_e32 v31, 0x208, v13
	ds_read_b64 v[29:30], v11 offset:10416
	ds_read_b64 v[31:32], v31 offset:10400
	v_cmp_gt_u32_e64 s[14:15], 2, v1
	s_waitcnt lgkmcnt(0)
	v_mul_f32_e32 v33, v32, v30
	v_mul_f32_e32 v30, v31, v30
	v_fma_f32 v31, v31, v29, -v33
	v_fmac_f32_e32 v30, v32, v29
	v_add_f32_e32 v29, 0, v31
	v_add_f32_e32 v31, 0, v30
	s_and_saveexec_b64 s[20:21], s[14:15]
	s_cbranch_execz .LBB60_433
; %bb.432:
	v_lshlrev_b32_e32 v30, 3, v0
	v_mov_b32_e32 v34, 0
	ds_read_b64 v[32:33], v30 offset:10928
	ds_read_b64 v[34:35], v34 offset:10408
	s_waitcnt lgkmcnt(0)
	v_mul_f32_e32 v30, v35, v33
	v_mul_f32_e32 v33, v34, v33
	v_fma_f32 v30, v34, v32, -v30
	v_fmac_f32_e32 v33, v35, v32
	v_add_f32_e32 v29, v29, v30
	v_add_f32_e32 v31, v31, v33
.LBB60_433:
	s_or_b64 exec, exec, s[20:21]
	v_xor_b32_e32 v30, 0x80000000, v29
	v_xor_b32_e32 v29, 0x80000000, v31
.LBB60_434:
	s_or_b64 exec, exec, s[16:17]
	s_and_saveexec_b64 s[14:15], s[34:35]
	s_cbranch_execz .LBB60_436
; %bb.435:
	v_mov_b32_e32 v31, 0
	ds_read_b64 v[31:32], v31 offset:11440
	s_waitcnt lgkmcnt(0)
	v_mul_f32_e32 v34, v29, v32
	v_mul_f32_e32 v33, v30, v32
	v_fma_f32 v32, v30, v31, -v34
	v_fmac_f32_e32 v33, v29, v31
	v_mov_b32_e32 v30, v32
	v_mov_b32_e32 v29, v33
	ds_write_b64 v12, v[32:33]
.LBB60_436:
	s_or_b64 exec, exec, s[14:15]
	s_waitcnt lgkmcnt(0)
	s_barrier
	s_and_saveexec_b64 s[14:15], s[30:31]
	s_cbranch_execz .LBB60_438
; %bb.437:
	v_mov_b32_e32 v31, 0
	ds_read_b64 v[31:32], v31 offset:11448
	ds_read_b64 v[33:34], v12
	s_waitcnt lgkmcnt(0)
	v_mul_f32_e32 v35, v34, v32
	v_mul_f32_e32 v32, v33, v32
	v_fma_f32 v33, v33, v31, -v35
	v_fmac_f32_e32 v32, v34, v31
	v_add_f32_e32 v30, v30, v33
	v_add_f32_e32 v29, v29, v32
.LBB60_438:
	s_or_b64 exec, exec, s[14:15]
	s_barrier
	s_and_saveexec_b64 s[14:15], s[30:31]
	s_cbranch_execz .LBB60_440
; %bb.439:
	v_mov_b32_e32 v31, 0
	ds_read_b64 v[31:32], v31 offset:11960
	s_waitcnt lgkmcnt(0)
	v_mul_f32_e32 v34, v29, v32
	v_mul_f32_e32 v33, v30, v32
	v_fma_f32 v32, v30, v31, -v34
	v_fmac_f32_e32 v33, v29, v31
	v_mov_b32_e32 v30, v32
	v_mov_b32_e32 v29, v33
	ds_write_b64 v12, v[32:33]
.LBB60_440:
	s_or_b64 exec, exec, s[14:15]
	s_waitcnt lgkmcnt(0)
	s_barrier
	s_barrier
	s_and_saveexec_b64 s[14:15], s[2:3]
; %bb.441:
	v_xor_b32_e32 v31, 0x80000000, v29
	v_xor_b32_e32 v30, 0x80000000, v30
	ds_write_b64 v11, v[30:31] offset:10416
; %bb.442:
	s_or_b64 exec, exec, s[14:15]
	s_waitcnt lgkmcnt(0)
	s_barrier
	s_barrier
	s_and_saveexec_b64 s[14:15], s[36:37]
	s_cbranch_execz .LBB60_444
; %bb.443:
	v_lshlrev_b32_e32 v31, 3, v0
	s_movk_i32 s16, 0x1f8
	v_mad_u32_u24 v32, v0, s16, v31
	ds_read_b64 v[29:30], v32 offset:10416
	s_waitcnt lgkmcnt(0)
	ds_write_b64 v31, v[29:30] offset:11424
	ds_read_b64 v[29:30], v32 offset:10424
	s_waitcnt lgkmcnt(0)
	ds_write_b64 v31, v[29:30] offset:11936
.LBB60_444:
	s_or_b64 exec, exec, s[14:15]
	s_waitcnt lgkmcnt(0)
	s_barrier
	s_and_saveexec_b64 s[14:15], vcc
	s_cbranch_execz .LBB60_446
; %bb.445:
	v_mov_b32_e32 v33, 0
	ds_read_b128 v[29:32], v33 offset:11440
	ds_read_b64 v[33:34], v33 offset:11960
	s_movk_i32 s16, 0x2800
	s_waitcnt lgkmcnt(0)
	v_mul_f32_e32 v35, v34, v30
	v_mul_f32_e32 v36, v33, v30
	v_fma_f32 v33, v33, v29, -v35
	v_fmac_f32_e32 v36, v34, v29
	v_mul_f32_e32 v29, v36, v32
	v_mul_f32_e32 v30, v33, v32
	v_fma_f32 v29, v33, v31, -v29
	v_fmac_f32_e32 v30, v36, v31
	v_add_u32_e64 v31, s16, 0
	ds_write2_b64 v31, v[29:30], v[29:30] offset0:151 offset1:214
.LBB60_446:
	s_or_b64 exec, exec, s[14:15]
	v_mov_b32_e32 v29, 0
	v_mov_b32_e32 v30, 0
	s_waitcnt lgkmcnt(0)
	s_barrier
	s_and_saveexec_b64 s[16:17], s[8:9]
	s_cbranch_execz .LBB60_456
; %bb.447:
	v_mul_u32_u24_e32 v30, 0x208, v23
	ds_read_b64 v[31:32], v19 offset:8384
	ds_read_b64 v[33:34], v30 offset:8320
	v_cmp_gt_u32_e64 s[14:15], 56, v1
	s_waitcnt lgkmcnt(0)
	v_mul_f32_e32 v29, v34, v32
	v_mul_f32_e32 v32, v33, v32
	v_fma_f32 v29, v33, v31, -v29
	v_fmac_f32_e32 v32, v34, v31
	v_add_f32_e32 v29, 0, v29
	v_add_f32_e32 v31, 0, v32
	s_and_saveexec_b64 s[20:21], s[14:15]
	s_cbranch_execnz .LBB60_1140
; %bb.448:
	s_or_b64 exec, exec, s[20:21]
	v_cmp_gt_u32_e64 s[14:15], 48, v1
	s_and_saveexec_b64 s[20:21], s[14:15]
	s_cbranch_execnz .LBB60_1141
.LBB60_449:
	s_or_b64 exec, exec, s[20:21]
	v_cmp_gt_u32_e64 s[14:15], 40, v1
	s_and_saveexec_b64 s[20:21], s[14:15]
	s_cbranch_execnz .LBB60_1142
.LBB60_450:
	s_or_b64 exec, exec, s[20:21]
	v_cmp_gt_u32_e64 s[14:15], 32, v1
	s_and_saveexec_b64 s[20:21], s[14:15]
	s_cbranch_execnz .LBB60_1143
.LBB60_451:
	s_or_b64 exec, exec, s[20:21]
	v_cmp_gt_u32_e64 s[14:15], 24, v1
	s_and_saveexec_b64 s[20:21], s[14:15]
	s_cbranch_execnz .LBB60_1144
.LBB60_452:
	s_or_b64 exec, exec, s[20:21]
	v_cmp_gt_u32_e64 s[14:15], 16, v1
	s_and_saveexec_b64 s[20:21], s[14:15]
	s_cbranch_execnz .LBB60_1145
.LBB60_453:
	s_or_b64 exec, exec, s[20:21]
	v_cmp_gt_u32_e64 s[14:15], 8, v1
	s_and_saveexec_b64 s[20:21], s[14:15]
	s_cbranch_execz .LBB60_455
.LBB60_454:
	v_lshlrev_b32_e32 v30, 3, v0
	v_mov_b32_e32 v34, 0
	ds_read_b64 v[32:33], v30 offset:11968
	ds_read_b64 v[34:35], v34 offset:8376
	s_waitcnt lgkmcnt(0)
	v_mul_f32_e32 v30, v35, v33
	v_mul_f32_e32 v33, v34, v33
	v_fma_f32 v30, v34, v32, -v30
	v_fmac_f32_e32 v33, v35, v32
	v_add_f32_e32 v29, v29, v30
	v_add_f32_e32 v31, v31, v33
.LBB60_455:
	s_or_b64 exec, exec, s[20:21]
	v_xor_b32_e32 v30, 0x80000000, v29
	v_xor_b32_e32 v29, 0x80000000, v31
.LBB60_456:
	s_or_b64 exec, exec, s[16:17]
	s_and_saveexec_b64 s[14:15], s[62:63]
	s_cbranch_execz .LBB60_458
; %bb.457:
	v_mov_b32_e32 v31, 0
	ds_read_b64 v[31:32], v31 offset:12480
	s_waitcnt lgkmcnt(0)
	v_mul_f32_e32 v34, v29, v32
	v_mul_f32_e32 v33, v30, v32
	v_fma_f32 v32, v30, v31, -v34
	v_fmac_f32_e32 v33, v29, v31
	v_mov_b32_e32 v30, v32
	v_mov_b32_e32 v29, v33
	ds_write_b64 v21, v[32:33]
.LBB60_458:
	s_or_b64 exec, exec, s[14:15]
	s_waitcnt lgkmcnt(0)
	s_barrier
	s_and_saveexec_b64 s[14:15], s[64:65]
	s_cbranch_execz .LBB60_460
; %bb.459:
	ds_read_b64 v[31:32], v20 offset:12480
	ds_read_b64 v[33:34], v21
	s_waitcnt lgkmcnt(0)
	v_mul_f32_e32 v35, v34, v32
	v_mul_f32_e32 v32, v33, v32
	v_fma_f32 v33, v33, v31, -v35
	v_fmac_f32_e32 v32, v34, v31
	v_add_f32_e32 v30, v30, v33
	v_add_f32_e32 v29, v29, v32
.LBB60_460:
	s_or_b64 exec, exec, s[14:15]
	s_barrier
	s_and_saveexec_b64 s[14:15], s[66:67]
	s_cbranch_execz .LBB60_462
; %bb.461:
	v_mov_b32_e32 v31, 0
	ds_read_b64 v[31:32], v31 offset:13000
	s_waitcnt lgkmcnt(0)
	v_mul_f32_e32 v34, v29, v32
	v_mul_f32_e32 v33, v30, v32
	v_fma_f32 v32, v30, v31, -v34
	v_fmac_f32_e32 v33, v29, v31
	v_mov_b32_e32 v30, v32
	v_mov_b32_e32 v29, v33
	ds_write_b64 v21, v[32:33]
.LBB60_462:
	s_or_b64 exec, exec, s[14:15]
	s_waitcnt lgkmcnt(0)
	s_barrier
	s_and_saveexec_b64 s[14:15], s[68:69]
	s_cbranch_execz .LBB60_464
; %bb.463:
	ds_read_b64 v[31:32], v20 offset:12992
	ds_read_b64 v[33:34], v21
	s_waitcnt lgkmcnt(0)
	v_mul_f32_e32 v35, v34, v32
	v_mul_f32_e32 v32, v33, v32
	v_fma_f32 v33, v33, v31, -v35
	v_fmac_f32_e32 v32, v34, v31
	v_add_f32_e32 v30, v30, v33
	v_add_f32_e32 v29, v29, v32
.LBB60_464:
	s_or_b64 exec, exec, s[14:15]
	s_barrier
	;; [unrolled: 32-line block ×6, first 2 shown]
	s_and_saveexec_b64 s[14:15], s[86:87]
	s_cbranch_execz .LBB60_482
; %bb.481:
	v_mov_b32_e32 v31, 0
	ds_read_b64 v[31:32], v31 offset:15600
	s_waitcnt lgkmcnt(0)
	v_mul_f32_e32 v34, v29, v32
	v_mul_f32_e32 v33, v30, v32
	v_fma_f32 v32, v30, v31, -v34
	v_fmac_f32_e32 v33, v29, v31
	v_mov_b32_e32 v30, v32
	v_mov_b32_e32 v29, v33
	ds_write_b64 v21, v[32:33]
.LBB60_482:
	s_or_b64 exec, exec, s[14:15]
	s_waitcnt lgkmcnt(0)
	s_barrier
	s_and_saveexec_b64 s[14:15], s[60:61]
	s_cbranch_execz .LBB60_484
; %bb.483:
	v_mov_b32_e32 v31, 0
	ds_read_b64 v[31:32], v31 offset:15608
	ds_read_b64 v[33:34], v21
	s_waitcnt lgkmcnt(0)
	v_mul_f32_e32 v35, v34, v32
	v_mul_f32_e32 v32, v33, v32
	v_fma_f32 v33, v33, v31, -v35
	v_fmac_f32_e32 v32, v34, v31
	v_add_f32_e32 v30, v30, v33
	v_add_f32_e32 v29, v29, v32
.LBB60_484:
	s_or_b64 exec, exec, s[14:15]
	s_barrier
	s_and_saveexec_b64 s[14:15], s[60:61]
	s_cbranch_execz .LBB60_486
; %bb.485:
	v_mov_b32_e32 v31, 0
	ds_read_b64 v[31:32], v31 offset:16120
	s_waitcnt lgkmcnt(0)
	v_mul_f32_e32 v34, v29, v32
	v_mul_f32_e32 v33, v30, v32
	v_fma_f32 v32, v30, v31, -v34
	v_fmac_f32_e32 v33, v29, v31
	v_mov_b32_e32 v30, v32
	v_mov_b32_e32 v29, v33
	ds_write_b64 v21, v[32:33]
.LBB60_486:
	s_or_b64 exec, exec, s[14:15]
	s_waitcnt lgkmcnt(0)
	s_barrier
	s_barrier
	s_and_saveexec_b64 s[14:15], s[8:9]
; %bb.487:
	v_xor_b32_e32 v31, 0x80000000, v29
	v_xor_b32_e32 v30, 0x80000000, v30
	ds_write_b64 v19, v[30:31] offset:8384
; %bb.488:
	s_or_b64 exec, exec, s[14:15]
	s_waitcnt lgkmcnt(0)
	s_barrier
	s_barrier
	s_and_saveexec_b64 s[14:15], s[88:89]
	s_cbranch_execz .LBB60_490
; %bb.489:
	v_lshlrev_b32_e32 v31, 9, v0
	ds_read_b64 v[29:30], v31 offset:8384
	s_movk_i32 s16, 0xfe08
	v_mad_i32_i24 v32, v0, s16, v31
	s_waitcnt lgkmcnt(0)
	ds_write_b64 v32, v[29:30] offset:12416
	ds_read_b64 v[29:30], v31 offset:8392
	s_waitcnt lgkmcnt(0)
	ds_write_b64 v32, v[29:30] offset:12928
	ds_read_b64 v[29:30], v31 offset:8400
	;; [unrolled: 3-line block ×7, first 2 shown]
	s_waitcnt lgkmcnt(0)
	ds_write_b64 v32, v[29:30] offset:16000
.LBB60_490:
	s_or_b64 exec, exec, s[14:15]
	s_waitcnt lgkmcnt(0)
	s_barrier
	s_and_saveexec_b64 s[14:15], vcc
	s_cbranch_execz .LBB60_492
; %bb.491:
	v_mov_b32_e32 v33, 0
	ds_read_b128 v[29:32], v33 offset:12480
	ds_read_b64 v[33:34], v33 offset:13000
	s_movk_i32 s16, 0x3000
	s_waitcnt lgkmcnt(0)
	v_mul_f32_e32 v35, v34, v30
	v_mul_f32_e32 v36, v33, v30
	v_fma_f32 v33, v33, v29, -v35
	v_fmac_f32_e32 v36, v34, v29
	v_mul_f32_e32 v29, v36, v32
	v_mul_f32_e32 v30, v33, v32
	v_fma_f32 v29, v33, v31, -v29
	v_fmac_f32_e32 v30, v36, v31
	v_add_u32_e64 v31, s16, 0
	ds_write2_b64 v31, v[29:30], v[29:30] offset0:25 offset1:88
.LBB60_492:
	s_or_b64 exec, exec, s[14:15]
	v_mov_b32_e32 v29, 0
	v_mov_b32_e32 v30, 0
	s_waitcnt lgkmcnt(0)
	s_barrier
	s_and_saveexec_b64 s[16:17], s[2:3]
	s_cbranch_execz .LBB60_496
; %bb.493:
	v_mul_u32_u24_e32 v31, 0x208, v13
	ds_read_b64 v[29:30], v11 offset:12496
	ds_read_b64 v[31:32], v31 offset:12480
	v_cmp_gt_u32_e64 s[14:15], 2, v1
	s_waitcnt lgkmcnt(0)
	v_mul_f32_e32 v33, v32, v30
	v_mul_f32_e32 v30, v31, v30
	v_fma_f32 v31, v31, v29, -v33
	v_fmac_f32_e32 v30, v32, v29
	v_add_f32_e32 v29, 0, v31
	v_add_f32_e32 v31, 0, v30
	s_and_saveexec_b64 s[20:21], s[14:15]
	s_cbranch_execz .LBB60_495
; %bb.494:
	v_lshlrev_b32_e32 v30, 3, v0
	v_mov_b32_e32 v34, 0
	ds_read_b64 v[32:33], v30 offset:13008
	ds_read_b64 v[34:35], v34 offset:12488
	s_waitcnt lgkmcnt(0)
	v_mul_f32_e32 v30, v35, v33
	v_mul_f32_e32 v33, v34, v33
	v_fma_f32 v30, v34, v32, -v30
	v_fmac_f32_e32 v33, v35, v32
	v_add_f32_e32 v29, v29, v30
	v_add_f32_e32 v31, v31, v33
.LBB60_495:
	s_or_b64 exec, exec, s[20:21]
	v_xor_b32_e32 v30, 0x80000000, v29
	v_xor_b32_e32 v29, 0x80000000, v31
.LBB60_496:
	s_or_b64 exec, exec, s[16:17]
	s_and_saveexec_b64 s[14:15], s[34:35]
	s_cbranch_execz .LBB60_498
; %bb.497:
	v_mov_b32_e32 v31, 0
	ds_read_b64 v[31:32], v31 offset:13520
	s_waitcnt lgkmcnt(0)
	v_mul_f32_e32 v34, v29, v32
	v_mul_f32_e32 v33, v30, v32
	v_fma_f32 v32, v30, v31, -v34
	v_fmac_f32_e32 v33, v29, v31
	v_mov_b32_e32 v30, v32
	v_mov_b32_e32 v29, v33
	ds_write_b64 v12, v[32:33]
.LBB60_498:
	s_or_b64 exec, exec, s[14:15]
	s_waitcnt lgkmcnt(0)
	s_barrier
	s_and_saveexec_b64 s[14:15], s[30:31]
	s_cbranch_execz .LBB60_500
; %bb.499:
	v_mov_b32_e32 v31, 0
	ds_read_b64 v[31:32], v31 offset:13528
	ds_read_b64 v[33:34], v12
	s_waitcnt lgkmcnt(0)
	v_mul_f32_e32 v35, v34, v32
	v_mul_f32_e32 v32, v33, v32
	v_fma_f32 v33, v33, v31, -v35
	v_fmac_f32_e32 v32, v34, v31
	v_add_f32_e32 v30, v30, v33
	v_add_f32_e32 v29, v29, v32
.LBB60_500:
	s_or_b64 exec, exec, s[14:15]
	s_barrier
	s_and_saveexec_b64 s[14:15], s[30:31]
	s_cbranch_execz .LBB60_502
; %bb.501:
	v_mov_b32_e32 v31, 0
	ds_read_b64 v[31:32], v31 offset:14040
	s_waitcnt lgkmcnt(0)
	v_mul_f32_e32 v34, v29, v32
	v_mul_f32_e32 v33, v30, v32
	v_fma_f32 v32, v30, v31, -v34
	v_fmac_f32_e32 v33, v29, v31
	v_mov_b32_e32 v30, v32
	v_mov_b32_e32 v29, v33
	ds_write_b64 v12, v[32:33]
.LBB60_502:
	s_or_b64 exec, exec, s[14:15]
	s_waitcnt lgkmcnt(0)
	s_barrier
	s_barrier
	s_and_saveexec_b64 s[14:15], s[2:3]
; %bb.503:
	v_xor_b32_e32 v31, 0x80000000, v29
	v_xor_b32_e32 v30, 0x80000000, v30
	ds_write_b64 v11, v[30:31] offset:12496
; %bb.504:
	s_or_b64 exec, exec, s[14:15]
	s_waitcnt lgkmcnt(0)
	s_barrier
	s_barrier
	s_and_saveexec_b64 s[14:15], s[36:37]
	s_cbranch_execz .LBB60_506
; %bb.505:
	v_lshlrev_b32_e32 v31, 3, v0
	s_movk_i32 s16, 0x1f8
	v_mad_u32_u24 v32, v0, s16, v31
	ds_read_b64 v[29:30], v32 offset:12496
	s_waitcnt lgkmcnt(0)
	ds_write_b64 v31, v[29:30] offset:13504
	ds_read_b64 v[29:30], v32 offset:12504
	s_waitcnt lgkmcnt(0)
	ds_write_b64 v31, v[29:30] offset:14016
.LBB60_506:
	s_or_b64 exec, exec, s[14:15]
	s_waitcnt lgkmcnt(0)
	s_barrier
	s_and_saveexec_b64 s[14:15], vcc
	s_cbranch_execz .LBB60_508
; %bb.507:
	v_mov_b32_e32 v33, 0
	ds_read_b128 v[29:32], v33 offset:13520
	ds_read_b64 v[33:34], v33 offset:14040
	s_movk_i32 s16, 0x3000
	s_waitcnt lgkmcnt(0)
	v_mul_f32_e32 v35, v34, v30
	v_mul_f32_e32 v36, v33, v30
	v_fma_f32 v33, v33, v29, -v35
	v_fmac_f32_e32 v36, v34, v29
	v_mul_f32_e32 v29, v36, v32
	v_mul_f32_e32 v30, v33, v32
	v_fma_f32 v29, v33, v31, -v29
	v_fmac_f32_e32 v30, v36, v31
	v_add_u32_e64 v31, s16, 0
	ds_write2_b64 v31, v[29:30], v[29:30] offset0:155 offset1:218
.LBB60_508:
	s_or_b64 exec, exec, s[14:15]
	v_mov_b32_e32 v29, 0
	v_mov_b32_e32 v30, 0
	s_waitcnt lgkmcnt(0)
	s_barrier
	s_and_saveexec_b64 s[16:17], s[18:19]
	s_cbranch_execz .LBB60_514
; %bb.509:
	v_mul_u32_u24_e32 v30, 0x208, v18
	ds_read_b64 v[31:32], v14 offset:12512
	ds_read_b64 v[33:34], v30 offset:12480
	v_cmp_gt_u32_e64 s[14:15], 12, v1
	s_waitcnt lgkmcnt(0)
	v_mul_f32_e32 v29, v34, v32
	v_mul_f32_e32 v32, v33, v32
	v_fma_f32 v29, v33, v31, -v29
	v_fmac_f32_e32 v32, v34, v31
	v_add_f32_e32 v29, 0, v29
	v_add_f32_e32 v31, 0, v32
	s_and_saveexec_b64 s[20:21], s[14:15]
	s_cbranch_execnz .LBB60_1146
; %bb.510:
	s_or_b64 exec, exec, s[20:21]
	v_cmp_gt_u32_e64 s[14:15], 8, v1
	s_and_saveexec_b64 s[20:21], s[14:15]
	s_cbranch_execnz .LBB60_1147
.LBB60_511:
	s_or_b64 exec, exec, s[20:21]
	v_cmp_gt_u32_e64 s[14:15], 4, v1
	s_and_saveexec_b64 s[20:21], s[14:15]
	s_cbranch_execz .LBB60_513
.LBB60_512:
	v_lshlrev_b32_e32 v30, 3, v0
	v_mov_b32_e32 v34, 0
	ds_read_b64 v[32:33], v30 offset:14048
	ds_read_b64 v[34:35], v34 offset:12504
	s_waitcnt lgkmcnt(0)
	v_mul_f32_e32 v30, v35, v33
	v_mul_f32_e32 v33, v34, v33
	v_fma_f32 v30, v34, v32, -v30
	v_fmac_f32_e32 v33, v35, v32
	v_add_f32_e32 v29, v29, v30
	v_add_f32_e32 v31, v31, v33
.LBB60_513:
	s_or_b64 exec, exec, s[20:21]
	v_xor_b32_e32 v30, 0x80000000, v29
	v_xor_b32_e32 v29, 0x80000000, v31
.LBB60_514:
	s_or_b64 exec, exec, s[16:17]
	s_and_saveexec_b64 s[14:15], s[42:43]
	s_cbranch_execz .LBB60_516
; %bb.515:
	v_mov_b32_e32 v31, 0
	ds_read_b64 v[31:32], v31 offset:14560
	s_waitcnt lgkmcnt(0)
	v_mul_f32_e32 v34, v29, v32
	v_mul_f32_e32 v33, v30, v32
	v_fma_f32 v32, v30, v31, -v34
	v_fmac_f32_e32 v33, v29, v31
	v_mov_b32_e32 v30, v32
	v_mov_b32_e32 v29, v33
	ds_write_b64 v16, v[32:33]
.LBB60_516:
	s_or_b64 exec, exec, s[14:15]
	s_waitcnt lgkmcnt(0)
	s_barrier
	s_and_saveexec_b64 s[14:15], s[44:45]
	s_cbranch_execz .LBB60_518
; %bb.517:
	ds_read_b64 v[31:32], v15 offset:14560
	ds_read_b64 v[33:34], v16
	s_waitcnt lgkmcnt(0)
	v_mul_f32_e32 v35, v34, v32
	v_mul_f32_e32 v32, v33, v32
	v_fma_f32 v33, v33, v31, -v35
	v_fmac_f32_e32 v32, v34, v31
	v_add_f32_e32 v30, v30, v33
	v_add_f32_e32 v29, v29, v32
.LBB60_518:
	s_or_b64 exec, exec, s[14:15]
	s_barrier
	s_and_saveexec_b64 s[14:15], s[52:53]
	s_cbranch_execz .LBB60_520
; %bb.519:
	v_mov_b32_e32 v31, 0
	ds_read_b64 v[31:32], v31 offset:15080
	s_waitcnt lgkmcnt(0)
	v_mul_f32_e32 v34, v29, v32
	v_mul_f32_e32 v33, v30, v32
	v_fma_f32 v32, v30, v31, -v34
	v_fmac_f32_e32 v33, v29, v31
	v_mov_b32_e32 v30, v32
	v_mov_b32_e32 v29, v33
	ds_write_b64 v16, v[32:33]
.LBB60_520:
	s_or_b64 exec, exec, s[14:15]
	s_waitcnt lgkmcnt(0)
	s_barrier
	s_and_saveexec_b64 s[14:15], s[54:55]
	s_cbranch_execz .LBB60_522
; %bb.521:
	ds_read_b64 v[31:32], v15 offset:15072
	ds_read_b64 v[33:34], v16
	s_waitcnt lgkmcnt(0)
	v_mul_f32_e32 v35, v34, v32
	v_mul_f32_e32 v32, v33, v32
	v_fma_f32 v33, v33, v31, -v35
	v_fmac_f32_e32 v32, v34, v31
	v_add_f32_e32 v30, v30, v33
	v_add_f32_e32 v29, v29, v32
.LBB60_522:
	s_or_b64 exec, exec, s[14:15]
	s_barrier
	s_and_saveexec_b64 s[14:15], s[56:57]
	s_cbranch_execz .LBB60_524
; %bb.523:
	v_mov_b32_e32 v31, 0
	ds_read_b64 v[31:32], v31 offset:15600
	s_waitcnt lgkmcnt(0)
	v_mul_f32_e32 v34, v29, v32
	v_mul_f32_e32 v33, v30, v32
	v_fma_f32 v32, v30, v31, -v34
	v_fmac_f32_e32 v33, v29, v31
	v_mov_b32_e32 v30, v32
	v_mov_b32_e32 v29, v33
	ds_write_b64 v16, v[32:33]
.LBB60_524:
	s_or_b64 exec, exec, s[14:15]
	s_waitcnt lgkmcnt(0)
	s_barrier
	s_and_saveexec_b64 s[14:15], s[38:39]
	s_cbranch_execz .LBB60_526
; %bb.525:
	v_mov_b32_e32 v31, 0
	ds_read_b64 v[31:32], v31 offset:15608
	ds_read_b64 v[33:34], v16
	s_waitcnt lgkmcnt(0)
	v_mul_f32_e32 v35, v34, v32
	v_mul_f32_e32 v32, v33, v32
	v_fma_f32 v33, v33, v31, -v35
	v_fmac_f32_e32 v32, v34, v31
	v_add_f32_e32 v30, v30, v33
	v_add_f32_e32 v29, v29, v32
.LBB60_526:
	s_or_b64 exec, exec, s[14:15]
	s_barrier
	s_and_saveexec_b64 s[14:15], s[38:39]
	s_cbranch_execz .LBB60_528
; %bb.527:
	v_mov_b32_e32 v31, 0
	ds_read_b64 v[31:32], v31 offset:16120
	s_waitcnt lgkmcnt(0)
	v_mul_f32_e32 v34, v29, v32
	v_mul_f32_e32 v33, v30, v32
	v_fma_f32 v32, v30, v31, -v34
	v_fmac_f32_e32 v33, v29, v31
	v_mov_b32_e32 v30, v32
	v_mov_b32_e32 v29, v33
	ds_write_b64 v16, v[32:33]
.LBB60_528:
	s_or_b64 exec, exec, s[14:15]
	s_waitcnt lgkmcnt(0)
	s_barrier
	s_barrier
	s_and_saveexec_b64 s[14:15], s[18:19]
; %bb.529:
	v_xor_b32_e32 v30, 0x80000000, v30
	v_xor_b32_e32 v31, 0x80000000, v29
	ds_write_b64 v14, v[30:31] offset:12512
; %bb.530:
	s_or_b64 exec, exec, s[14:15]
	s_waitcnt lgkmcnt(0)
	s_barrier
	s_barrier
	s_and_saveexec_b64 s[14:15], s[58:59]
	s_cbranch_execz .LBB60_532
; %bb.531:
	v_lshlrev_b32_e32 v31, 9, v0
	ds_read_b64 v[29:30], v31 offset:12512
	s_movk_i32 s16, 0xfe08
	v_mad_i32_i24 v32, v0, s16, v31
	s_waitcnt lgkmcnt(0)
	ds_write_b64 v32, v[29:30] offset:14528
	ds_read_b64 v[29:30], v31 offset:12520
	s_waitcnt lgkmcnt(0)
	ds_write_b64 v32, v[29:30] offset:15040
	ds_read_b64 v[29:30], v31 offset:12528
	s_waitcnt lgkmcnt(0)
	ds_write_b64 v32, v[29:30] offset:15552
	ds_read_b64 v[29:30], v31 offset:12536
	s_waitcnt lgkmcnt(0)
	ds_write_b64 v32, v[29:30] offset:16064
.LBB60_532:
	s_or_b64 exec, exec, s[14:15]
	s_waitcnt lgkmcnt(0)
	s_barrier
	s_and_saveexec_b64 s[14:15], vcc
	s_cbranch_execz .LBB60_534
; %bb.533:
	v_mov_b32_e32 v33, 0
	ds_read_b128 v[29:32], v33 offset:14560
	ds_read_b64 v[33:34], v33 offset:15080
	s_movk_i32 s16, 0x3800
	s_waitcnt lgkmcnt(0)
	v_mul_f32_e32 v35, v34, v30
	v_mul_f32_e32 v36, v33, v30
	v_fma_f32 v33, v33, v29, -v35
	v_fmac_f32_e32 v36, v34, v29
	v_mul_f32_e32 v29, v36, v32
	v_mul_f32_e32 v30, v33, v32
	v_fma_f32 v29, v33, v31, -v29
	v_fmac_f32_e32 v30, v36, v31
	v_add_u32_e64 v31, s16, 0
	ds_write2_b64 v31, v[29:30], v[29:30] offset0:29 offset1:92
.LBB60_534:
	s_or_b64 exec, exec, s[14:15]
	v_mov_b32_e32 v29, 0
	v_mov_b32_e32 v30, 0
	s_waitcnt lgkmcnt(0)
	s_barrier
	s_and_saveexec_b64 s[16:17], s[2:3]
	s_cbranch_execz .LBB60_538
; %bb.535:
	v_mul_u32_u24_e32 v31, 0x208, v13
	ds_read_b64 v[29:30], v11 offset:14576
	ds_read_b64 v[31:32], v31 offset:14560
	v_cmp_gt_u32_e64 s[14:15], 2, v1
	s_waitcnt lgkmcnt(0)
	v_mul_f32_e32 v33, v32, v30
	v_mul_f32_e32 v30, v31, v30
	v_fma_f32 v31, v31, v29, -v33
	v_fmac_f32_e32 v30, v32, v29
	v_add_f32_e32 v29, 0, v31
	v_add_f32_e32 v31, 0, v30
	s_and_saveexec_b64 s[20:21], s[14:15]
	s_cbranch_execz .LBB60_537
; %bb.536:
	v_lshlrev_b32_e32 v30, 3, v0
	v_mov_b32_e32 v34, 0
	ds_read_b64 v[32:33], v30 offset:15088
	ds_read_b64 v[34:35], v34 offset:14568
	s_waitcnt lgkmcnt(0)
	v_mul_f32_e32 v30, v35, v33
	v_mul_f32_e32 v33, v34, v33
	v_fma_f32 v30, v34, v32, -v30
	v_fmac_f32_e32 v33, v35, v32
	v_add_f32_e32 v29, v29, v30
	v_add_f32_e32 v31, v31, v33
.LBB60_537:
	s_or_b64 exec, exec, s[20:21]
	v_xor_b32_e32 v30, 0x80000000, v29
	v_xor_b32_e32 v29, 0x80000000, v31
.LBB60_538:
	s_or_b64 exec, exec, s[16:17]
	s_and_saveexec_b64 s[14:15], s[34:35]
	s_cbranch_execz .LBB60_540
; %bb.539:
	v_mov_b32_e32 v31, 0
	ds_read_b64 v[31:32], v31 offset:15600
	s_waitcnt lgkmcnt(0)
	v_mul_f32_e32 v34, v29, v32
	v_mul_f32_e32 v33, v30, v32
	v_fma_f32 v32, v30, v31, -v34
	v_fmac_f32_e32 v33, v29, v31
	v_mov_b32_e32 v30, v32
	v_mov_b32_e32 v29, v33
	ds_write_b64 v12, v[32:33]
.LBB60_540:
	s_or_b64 exec, exec, s[14:15]
	s_waitcnt lgkmcnt(0)
	s_barrier
	s_and_saveexec_b64 s[14:15], s[30:31]
	s_cbranch_execz .LBB60_542
; %bb.541:
	v_mov_b32_e32 v31, 0
	ds_read_b64 v[31:32], v31 offset:15608
	ds_read_b64 v[33:34], v12
	s_waitcnt lgkmcnt(0)
	v_mul_f32_e32 v35, v34, v32
	v_mul_f32_e32 v32, v33, v32
	v_fma_f32 v33, v33, v31, -v35
	v_fmac_f32_e32 v32, v34, v31
	v_add_f32_e32 v30, v30, v33
	v_add_f32_e32 v29, v29, v32
.LBB60_542:
	s_or_b64 exec, exec, s[14:15]
	s_barrier
	s_and_saveexec_b64 s[14:15], s[30:31]
	s_cbranch_execz .LBB60_544
; %bb.543:
	v_mov_b32_e32 v31, 0
	ds_read_b64 v[31:32], v31 offset:16120
	s_waitcnt lgkmcnt(0)
	v_mul_f32_e32 v34, v29, v32
	v_mul_f32_e32 v33, v30, v32
	v_fma_f32 v32, v30, v31, -v34
	v_fmac_f32_e32 v33, v29, v31
	v_mov_b32_e32 v30, v32
	v_mov_b32_e32 v29, v33
	ds_write_b64 v12, v[32:33]
.LBB60_544:
	s_or_b64 exec, exec, s[14:15]
	s_waitcnt lgkmcnt(0)
	s_barrier
	s_barrier
	s_and_saveexec_b64 s[14:15], s[2:3]
; %bb.545:
	v_xor_b32_e32 v31, 0x80000000, v29
	v_xor_b32_e32 v30, 0x80000000, v30
	ds_write_b64 v11, v[30:31] offset:14576
; %bb.546:
	s_or_b64 exec, exec, s[14:15]
	s_waitcnt lgkmcnt(0)
	s_barrier
	s_barrier
	s_and_saveexec_b64 s[14:15], s[36:37]
	s_cbranch_execz .LBB60_548
; %bb.547:
	v_lshlrev_b32_e32 v31, 3, v0
	s_movk_i32 s16, 0x1f8
	v_mad_u32_u24 v32, v0, s16, v31
	ds_read_b64 v[29:30], v32 offset:14576
	s_waitcnt lgkmcnt(0)
	ds_write_b64 v31, v[29:30] offset:15584
	ds_read_b64 v[29:30], v32 offset:14584
	s_waitcnt lgkmcnt(0)
	ds_write_b64 v31, v[29:30] offset:16096
.LBB60_548:
	s_or_b64 exec, exec, s[14:15]
	s_waitcnt lgkmcnt(0)
	s_barrier
	s_and_saveexec_b64 s[14:15], vcc
	s_cbranch_execz .LBB60_550
; %bb.549:
	v_mov_b32_e32 v33, 0
	ds_read_b128 v[29:32], v33 offset:15600
	ds_read_b64 v[33:34], v33 offset:16120
	s_movk_i32 s16, 0x3800
	s_waitcnt lgkmcnt(0)
	v_mul_f32_e32 v35, v34, v30
	v_mul_f32_e32 v36, v33, v30
	v_fma_f32 v33, v33, v29, -v35
	v_fmac_f32_e32 v36, v34, v29
	v_mul_f32_e32 v29, v36, v32
	v_mul_f32_e32 v30, v33, v32
	v_fma_f32 v29, v33, v31, -v29
	v_fmac_f32_e32 v30, v36, v31
	v_add_u32_e64 v31, s16, 0
	ds_write2_b64 v31, v[29:30], v[29:30] offset0:159 offset1:222
.LBB60_550:
	s_or_b64 exec, exec, s[14:15]
	s_movk_i32 s14, 0x3ff
	v_lshrrev_b32_e32 v31, 5, v1
	v_cmp_lt_u32_e64 s[16:17], s14, v1
	s_movk_i32 s14, 0x400
	v_and_b32_e32 v29, 31, v0
	v_cmp_gt_u32_e64 s[14:15], s14, v1
	v_lshlrev_b32_e32 v30, 9, v31
	v_mov_b32_e32 v32, 0
	v_mov_b32_e32 v34, 0
	s_waitcnt lgkmcnt(0)
	s_barrier
	s_and_saveexec_b64 s[28:29], s[14:15]
	s_cbranch_execz .LBB60_612
; %bb.551:
	v_lshlrev_b32_e32 v34, 3, v29
	v_add_u32_e32 v36, v34, v30
	v_mul_u32_u24_e32 v35, 0x208, v31
	ds_read_b64 v[32:33], v36 offset:256
	ds_read_b64 v[37:38], v35
	s_movk_i32 s20, 0x3e0
	v_cmp_gt_u32_e64 s[20:21], s20, v1
	s_waitcnt lgkmcnt(0)
	v_mul_f32_e32 v39, v38, v33
	v_mul_f32_e32 v33, v37, v33
	v_fma_f32 v37, v37, v32, -v39
	v_fmac_f32_e32 v33, v38, v32
	v_add_f32_e32 v32, 0, v37
	v_add_f32_e32 v33, 0, v33
	s_and_saveexec_b64 s[90:91], s[20:21]
	s_cbranch_execz .LBB60_553
; %bb.552:
	ds_read_b64 v[37:38], v36 offset:768
	ds_read_b64 v[39:40], v35 offset:8
	s_waitcnt lgkmcnt(0)
	v_mul_f32_e32 v41, v40, v38
	v_mul_f32_e32 v38, v39, v38
	v_fma_f32 v39, v39, v37, -v41
	v_fmac_f32_e32 v38, v40, v37
	v_add_f32_e32 v32, v32, v39
	v_add_f32_e32 v33, v33, v38
.LBB60_553:
	s_or_b64 exec, exec, s[90:91]
	s_movk_i32 s20, 0x3c0
	v_cmp_gt_u32_e64 s[20:21], s20, v1
	s_and_saveexec_b64 s[90:91], s[20:21]
	s_cbranch_execz .LBB60_555
; %bb.554:
	ds_read_b64 v[37:38], v36 offset:1280
	ds_read_b64 v[39:40], v35 offset:16
	s_waitcnt lgkmcnt(0)
	v_mul_f32_e32 v41, v40, v38
	v_mul_f32_e32 v38, v39, v38
	v_fma_f32 v39, v39, v37, -v41
	v_fmac_f32_e32 v38, v40, v37
	v_add_f32_e32 v32, v32, v39
	v_add_f32_e32 v33, v33, v38
.LBB60_555:
	s_or_b64 exec, exec, s[90:91]
	s_movk_i32 s20, 0x3a0
	v_cmp_gt_u32_e64 s[20:21], s20, v1
	;; [unrolled: 16-line block ×28, first 2 shown]
	s_and_saveexec_b64 s[90:91], s[20:21]
	s_cbranch_execnz .LBB60_1148
; %bb.608:
	s_or_b64 exec, exec, s[90:91]
	v_cmp_gt_u32_e64 s[20:21], 64, v1
	s_and_saveexec_b64 s[90:91], s[20:21]
	s_cbranch_execnz .LBB60_1149
.LBB60_609:
	s_or_b64 exec, exec, s[90:91]
	v_cmp_gt_u32_e64 s[20:21], 32, v1
	s_and_saveexec_b64 s[90:91], s[20:21]
	s_cbranch_execz .LBB60_611
.LBB60_610:
	ds_read_b64 v[36:37], v34 offset:16128
	ds_read_b64 v[34:35], v35 offset:248
	s_waitcnt lgkmcnt(0)
	v_mul_f32_e32 v38, v35, v37
	v_mul_f32_e32 v37, v34, v37
	v_fma_f32 v34, v34, v36, -v38
	v_fmac_f32_e32 v37, v35, v36
	v_add_f32_e32 v32, v32, v34
	v_add_f32_e32 v33, v33, v37
.LBB60_611:
	s_or_b64 exec, exec, s[90:91]
	v_xor_b32_e32 v34, 0x80000000, v32
	v_xor_b32_e32 v32, 0x80000000, v33
.LBB60_612:
	s_or_b64 exec, exec, s[28:29]
	v_mov_b32_e32 v33, 0x8000
	v_lshl_or_b32 v31, v31, 3, v33
	v_mul_u32_u24_e32 v33, 0x208, v29
	v_lshlrev_b32_e32 v35, 9, v29
	v_sub_u32_e32 v35, v33, v35
	v_add_u32_e32 v35, 0x4100, v35
	s_mov_b32 s28, 0
	s_xor_b64 s[20:21], s[16:17], -1
	v_mov_b32_e32 v36, v29
	s_branch .LBB60_614
.LBB60_613:                             ;   in Loop: Header=BB60_614 Depth=1
	s_or_b64 exec, exec, s[16:17]
	s_add_i32 s28, s28, 2
	v_add_u32_e32 v35, 0x400, v35
	s_cmp_eq_u32 s28, 32
	v_add_u32_e32 v36, -2, v36
	s_barrier
	s_cbranch_scc1 .LBB60_622
.LBB60_614:                             ; =>This Inner Loop Header: Depth=1
	v_cmp_eq_u32_e64 s[16:17], 0, v36
	s_and_b64 s[90:91], s[20:21], s[16:17]
	s_and_saveexec_b64 s[16:17], s[90:91]
	s_cbranch_execz .LBB60_616
; %bb.615:                              ;   in Loop: Header=BB60_614 Depth=1
	ds_read_b64 v[37:38], v33 offset:16640
	s_waitcnt lgkmcnt(0)
	v_mul_f32_e32 v40, v32, v38
	v_mul_f32_e32 v39, v34, v38
	v_fma_f32 v38, v34, v37, -v40
	v_fmac_f32_e32 v39, v32, v37
	v_mov_b32_e32 v34, v38
	v_mov_b32_e32 v32, v39
	ds_write_b64 v31, v[38:39]
.LBB60_616:                             ;   in Loop: Header=BB60_614 Depth=1
	s_or_b64 exec, exec, s[16:17]
	v_cmp_lt_u32_e64 s[16:17], s28, v29
	s_and_b64 s[90:91], s[20:21], s[16:17]
	s_waitcnt lgkmcnt(0)
	s_barrier
	s_and_saveexec_b64 s[16:17], s[90:91]
	s_cbranch_execz .LBB60_618
; %bb.617:                              ;   in Loop: Header=BB60_614 Depth=1
	ds_read_b64 v[37:38], v35
	ds_read_b64 v[39:40], v31
	s_waitcnt lgkmcnt(0)
	v_mul_f32_e32 v41, v40, v38
	v_mul_f32_e32 v38, v39, v38
	v_fma_f32 v39, v39, v37, -v41
	v_fmac_f32_e32 v38, v40, v37
	v_add_f32_e32 v34, v34, v39
	v_add_f32_e32 v32, v32, v38
.LBB60_618:                             ;   in Loop: Header=BB60_614 Depth=1
	s_or_b64 exec, exec, s[16:17]
	s_or_b32 s29, s28, 1
	v_cmp_eq_u32_e64 s[16:17], s29, v29
	s_and_b64 s[90:91], s[20:21], s[16:17]
	s_barrier
	s_and_saveexec_b64 s[16:17], s[90:91]
	s_cbranch_execz .LBB60_620
; %bb.619:                              ;   in Loop: Header=BB60_614 Depth=1
	ds_read_b64 v[37:38], v33 offset:16640
	s_waitcnt lgkmcnt(0)
	v_mul_f32_e32 v40, v32, v38
	v_mul_f32_e32 v39, v34, v38
	v_fma_f32 v38, v34, v37, -v40
	v_fmac_f32_e32 v39, v32, v37
	v_mov_b32_e32 v34, v38
	v_mov_b32_e32 v32, v39
	ds_write_b64 v31, v[38:39]
.LBB60_620:                             ;   in Loop: Header=BB60_614 Depth=1
	s_or_b64 exec, exec, s[16:17]
	v_cmp_lt_u32_e64 s[16:17], s29, v29
	s_and_b64 s[90:91], s[20:21], s[16:17]
	s_waitcnt lgkmcnt(0)
	s_barrier
	s_and_saveexec_b64 s[16:17], s[90:91]
	s_cbranch_execz .LBB60_613
; %bb.621:                              ;   in Loop: Header=BB60_614 Depth=1
	ds_read_b64 v[37:38], v35 offset:512
	ds_read_b64 v[39:40], v31
	s_waitcnt lgkmcnt(0)
	v_mul_f32_e32 v41, v40, v38
	v_mul_f32_e32 v38, v39, v38
	v_fma_f32 v39, v39, v37, -v41
	v_fmac_f32_e32 v38, v40, v37
	v_add_f32_e32 v34, v34, v39
	v_add_f32_e32 v32, v32, v38
	s_branch .LBB60_613
.LBB60_622:
	s_and_saveexec_b64 s[16:17], s[14:15]
; %bb.623:
	v_lshl_add_u32 v31, v29, 3, v30
	v_xor_b32_e32 v30, 0x80000000, v32
	v_xor_b32_e32 v29, 0x80000000, v34
	ds_write_b64 v31, v[29:30] offset:256
; %bb.624:
	s_or_b64 exec, exec, s[16:17]
	v_cmp_gt_u32_e64 s[14:15], 32, v0
	s_and_b64 s[14:15], s[12:13], s[14:15]
	s_waitcnt lgkmcnt(0)
	s_barrier
	s_barrier
	s_and_saveexec_b64 s[12:13], s[14:15]
	s_cbranch_execz .LBB60_626
; %bb.625:
	v_lshlrev_b32_e32 v31, 9, v0
	ds_read_b64 v[29:30], v31 offset:256
	s_movk_i32 s14, 0xfe08
	v_mad_i32_i24 v32, v0, s14, v31
	s_waitcnt lgkmcnt(0)
	ds_write_b64 v32, v[29:30] offset:16384
	ds_read_b64 v[29:30], v31 offset:264
	s_waitcnt lgkmcnt(0)
	ds_write_b64 v32, v[29:30] offset:16896
	ds_read_b64 v[29:30], v31 offset:272
	;; [unrolled: 3-line block ×31, first 2 shown]
	s_waitcnt lgkmcnt(0)
	ds_write_b64 v32, v[29:30] offset:32256
.LBB60_626:
	s_or_b64 exec, exec, s[12:13]
	s_waitcnt lgkmcnt(0)
	s_barrier
	s_and_saveexec_b64 s[12:13], vcc
	s_cbranch_execz .LBB60_628
; %bb.627:
	v_mov_b32_e32 v33, 0
	ds_read_b128 v[29:32], v33 offset:16640
	ds_read_b64 v[33:34], v33 offset:17160
	s_movk_i32 s14, 0x4000
	s_waitcnt lgkmcnt(0)
	v_mul_f32_e32 v35, v34, v30
	v_mul_f32_e32 v36, v33, v30
	v_fma_f32 v33, v33, v29, -v35
	v_fmac_f32_e32 v36, v34, v29
	v_mul_f32_e32 v29, v36, v32
	v_mul_f32_e32 v30, v33, v32
	v_fma_f32 v29, v33, v31, -v29
	v_fmac_f32_e32 v30, v36, v31
	v_add_u32_e64 v31, s14, 0
	ds_write2_b64 v31, v[29:30], v[29:30] offset0:33 offset1:96
.LBB60_628:
	s_or_b64 exec, exec, s[12:13]
	v_mov_b32_e32 v29, 0
	v_mov_b32_e32 v30, 0
	s_waitcnt lgkmcnt(0)
	s_barrier
	s_and_saveexec_b64 s[14:15], s[2:3]
	s_cbranch_execz .LBB60_632
; %bb.629:
	v_mul_u32_u24_e32 v31, 0x208, v13
	ds_read_b64 v[29:30], v11 offset:16656
	ds_read_b64 v[31:32], v31 offset:16640
	v_cmp_gt_u32_e64 s[12:13], 2, v1
	s_waitcnt lgkmcnt(0)
	v_mul_f32_e32 v33, v32, v30
	v_mul_f32_e32 v30, v31, v30
	v_fma_f32 v31, v31, v29, -v33
	v_fmac_f32_e32 v30, v32, v29
	v_add_f32_e32 v29, 0, v31
	v_add_f32_e32 v31, 0, v30
	s_and_saveexec_b64 s[16:17], s[12:13]
	s_cbranch_execz .LBB60_631
; %bb.630:
	v_lshlrev_b32_e32 v30, 3, v0
	v_mov_b32_e32 v34, 0
	ds_read_b64 v[32:33], v30 offset:17168
	ds_read_b64 v[34:35], v34 offset:16648
	s_waitcnt lgkmcnt(0)
	v_mul_f32_e32 v30, v35, v33
	v_mul_f32_e32 v33, v34, v33
	v_fma_f32 v30, v34, v32, -v30
	v_fmac_f32_e32 v33, v35, v32
	v_add_f32_e32 v29, v29, v30
	v_add_f32_e32 v31, v31, v33
.LBB60_631:
	s_or_b64 exec, exec, s[16:17]
	v_xor_b32_e32 v30, 0x80000000, v29
	v_xor_b32_e32 v29, 0x80000000, v31
.LBB60_632:
	s_or_b64 exec, exec, s[14:15]
	s_and_saveexec_b64 s[12:13], s[34:35]
	s_cbranch_execz .LBB60_634
; %bb.633:
	v_mov_b32_e32 v31, 0
	ds_read_b64 v[31:32], v31 offset:17680
	s_waitcnt lgkmcnt(0)
	v_mul_f32_e32 v34, v29, v32
	v_mul_f32_e32 v33, v30, v32
	v_fma_f32 v32, v30, v31, -v34
	v_fmac_f32_e32 v33, v29, v31
	v_mov_b32_e32 v30, v32
	v_mov_b32_e32 v29, v33
	ds_write_b64 v12, v[32:33]
.LBB60_634:
	s_or_b64 exec, exec, s[12:13]
	s_waitcnt lgkmcnt(0)
	s_barrier
	s_and_saveexec_b64 s[12:13], s[30:31]
	s_cbranch_execz .LBB60_636
; %bb.635:
	v_mov_b32_e32 v31, 0
	ds_read_b64 v[31:32], v31 offset:17688
	ds_read_b64 v[33:34], v12
	s_waitcnt lgkmcnt(0)
	v_mul_f32_e32 v35, v34, v32
	v_mul_f32_e32 v32, v33, v32
	v_fma_f32 v33, v33, v31, -v35
	v_fmac_f32_e32 v32, v34, v31
	v_add_f32_e32 v30, v30, v33
	v_add_f32_e32 v29, v29, v32
.LBB60_636:
	s_or_b64 exec, exec, s[12:13]
	s_barrier
	s_and_saveexec_b64 s[12:13], s[30:31]
	s_cbranch_execz .LBB60_638
; %bb.637:
	v_mov_b32_e32 v31, 0
	ds_read_b64 v[31:32], v31 offset:18200
	s_waitcnt lgkmcnt(0)
	v_mul_f32_e32 v34, v29, v32
	v_mul_f32_e32 v33, v30, v32
	v_fma_f32 v32, v30, v31, -v34
	v_fmac_f32_e32 v33, v29, v31
	v_mov_b32_e32 v30, v32
	v_mov_b32_e32 v29, v33
	ds_write_b64 v12, v[32:33]
.LBB60_638:
	s_or_b64 exec, exec, s[12:13]
	s_waitcnt lgkmcnt(0)
	s_barrier
	s_barrier
	s_and_saveexec_b64 s[12:13], s[2:3]
; %bb.639:
	v_xor_b32_e32 v31, 0x80000000, v29
	v_xor_b32_e32 v30, 0x80000000, v30
	ds_write_b64 v11, v[30:31] offset:16656
; %bb.640:
	s_or_b64 exec, exec, s[12:13]
	s_waitcnt lgkmcnt(0)
	s_barrier
	s_barrier
	s_and_saveexec_b64 s[12:13], s[36:37]
	s_cbranch_execz .LBB60_642
; %bb.641:
	v_lshlrev_b32_e32 v31, 3, v0
	s_movk_i32 s14, 0x1f8
	v_mad_u32_u24 v32, v0, s14, v31
	ds_read_b64 v[29:30], v32 offset:16656
	s_waitcnt lgkmcnt(0)
	ds_write_b64 v31, v[29:30] offset:17664
	ds_read_b64 v[29:30], v32 offset:16664
	s_waitcnt lgkmcnt(0)
	ds_write_b64 v31, v[29:30] offset:18176
.LBB60_642:
	s_or_b64 exec, exec, s[12:13]
	s_waitcnt lgkmcnt(0)
	s_barrier
	s_and_saveexec_b64 s[12:13], vcc
	s_cbranch_execz .LBB60_644
; %bb.643:
	v_mov_b32_e32 v33, 0
	ds_read_b128 v[29:32], v33 offset:17680
	ds_read_b64 v[33:34], v33 offset:18200
	s_movk_i32 s14, 0x4000
	s_waitcnt lgkmcnt(0)
	v_mul_f32_e32 v35, v34, v30
	v_mul_f32_e32 v36, v33, v30
	v_fma_f32 v33, v33, v29, -v35
	v_fmac_f32_e32 v36, v34, v29
	v_mul_f32_e32 v29, v36, v32
	v_mul_f32_e32 v30, v33, v32
	v_fma_f32 v29, v33, v31, -v29
	v_fmac_f32_e32 v30, v36, v31
	v_add_u32_e64 v31, s14, 0
	ds_write2_b64 v31, v[29:30], v[29:30] offset0:163 offset1:226
.LBB60_644:
	s_or_b64 exec, exec, s[12:13]
	v_mov_b32_e32 v29, 0
	v_mov_b32_e32 v30, 0
	s_waitcnt lgkmcnt(0)
	s_barrier
	s_and_saveexec_b64 s[14:15], s[18:19]
	s_cbranch_execz .LBB60_650
; %bb.645:
	v_mul_u32_u24_e32 v30, 0x208, v18
	ds_read_b64 v[31:32], v14 offset:16672
	ds_read_b64 v[33:34], v30 offset:16640
	v_cmp_gt_u32_e64 s[12:13], 12, v1
	s_waitcnt lgkmcnt(0)
	v_mul_f32_e32 v29, v34, v32
	v_mul_f32_e32 v32, v33, v32
	v_fma_f32 v29, v33, v31, -v29
	v_fmac_f32_e32 v32, v34, v31
	v_add_f32_e32 v29, 0, v29
	v_add_f32_e32 v31, 0, v32
	s_and_saveexec_b64 s[16:17], s[12:13]
	s_cbranch_execnz .LBB60_1150
; %bb.646:
	s_or_b64 exec, exec, s[16:17]
	v_cmp_gt_u32_e64 s[12:13], 8, v1
	s_and_saveexec_b64 s[16:17], s[12:13]
	s_cbranch_execnz .LBB60_1151
.LBB60_647:
	s_or_b64 exec, exec, s[16:17]
	v_cmp_gt_u32_e64 s[12:13], 4, v1
	s_and_saveexec_b64 s[16:17], s[12:13]
	s_cbranch_execz .LBB60_649
.LBB60_648:
	v_lshlrev_b32_e32 v30, 3, v0
	v_mov_b32_e32 v34, 0
	ds_read_b64 v[32:33], v30 offset:18208
	ds_read_b64 v[34:35], v34 offset:16664
	s_waitcnt lgkmcnt(0)
	v_mul_f32_e32 v30, v35, v33
	v_mul_f32_e32 v33, v34, v33
	v_fma_f32 v30, v34, v32, -v30
	v_fmac_f32_e32 v33, v35, v32
	v_add_f32_e32 v29, v29, v30
	v_add_f32_e32 v31, v31, v33
.LBB60_649:
	s_or_b64 exec, exec, s[16:17]
	v_xor_b32_e32 v30, 0x80000000, v29
	v_xor_b32_e32 v29, 0x80000000, v31
.LBB60_650:
	s_or_b64 exec, exec, s[14:15]
	s_and_saveexec_b64 s[12:13], s[42:43]
	s_cbranch_execz .LBB60_652
; %bb.651:
	v_mov_b32_e32 v31, 0
	ds_read_b64 v[31:32], v31 offset:18720
	s_waitcnt lgkmcnt(0)
	v_mul_f32_e32 v34, v29, v32
	v_mul_f32_e32 v33, v30, v32
	v_fma_f32 v32, v30, v31, -v34
	v_fmac_f32_e32 v33, v29, v31
	v_mov_b32_e32 v30, v32
	v_mov_b32_e32 v29, v33
	ds_write_b64 v16, v[32:33]
.LBB60_652:
	s_or_b64 exec, exec, s[12:13]
	s_waitcnt lgkmcnt(0)
	s_barrier
	s_and_saveexec_b64 s[12:13], s[44:45]
	s_cbranch_execz .LBB60_654
; %bb.653:
	ds_read_b64 v[31:32], v15 offset:18720
	ds_read_b64 v[33:34], v16
	s_waitcnt lgkmcnt(0)
	v_mul_f32_e32 v35, v34, v32
	v_mul_f32_e32 v32, v33, v32
	v_fma_f32 v33, v33, v31, -v35
	v_fmac_f32_e32 v32, v34, v31
	v_add_f32_e32 v30, v30, v33
	v_add_f32_e32 v29, v29, v32
.LBB60_654:
	s_or_b64 exec, exec, s[12:13]
	s_barrier
	s_and_saveexec_b64 s[12:13], s[52:53]
	s_cbranch_execz .LBB60_656
; %bb.655:
	v_mov_b32_e32 v31, 0
	ds_read_b64 v[31:32], v31 offset:19240
	s_waitcnt lgkmcnt(0)
	v_mul_f32_e32 v34, v29, v32
	v_mul_f32_e32 v33, v30, v32
	v_fma_f32 v32, v30, v31, -v34
	v_fmac_f32_e32 v33, v29, v31
	v_mov_b32_e32 v30, v32
	v_mov_b32_e32 v29, v33
	ds_write_b64 v16, v[32:33]
.LBB60_656:
	s_or_b64 exec, exec, s[12:13]
	s_waitcnt lgkmcnt(0)
	s_barrier
	s_and_saveexec_b64 s[12:13], s[54:55]
	s_cbranch_execz .LBB60_658
; %bb.657:
	ds_read_b64 v[31:32], v15 offset:19232
	ds_read_b64 v[33:34], v16
	s_waitcnt lgkmcnt(0)
	v_mul_f32_e32 v35, v34, v32
	v_mul_f32_e32 v32, v33, v32
	v_fma_f32 v33, v33, v31, -v35
	v_fmac_f32_e32 v32, v34, v31
	v_add_f32_e32 v30, v30, v33
	v_add_f32_e32 v29, v29, v32
.LBB60_658:
	s_or_b64 exec, exec, s[12:13]
	s_barrier
	s_and_saveexec_b64 s[12:13], s[56:57]
	s_cbranch_execz .LBB60_660
; %bb.659:
	v_mov_b32_e32 v31, 0
	ds_read_b64 v[31:32], v31 offset:19760
	s_waitcnt lgkmcnt(0)
	v_mul_f32_e32 v34, v29, v32
	v_mul_f32_e32 v33, v30, v32
	v_fma_f32 v32, v30, v31, -v34
	v_fmac_f32_e32 v33, v29, v31
	v_mov_b32_e32 v30, v32
	v_mov_b32_e32 v29, v33
	ds_write_b64 v16, v[32:33]
.LBB60_660:
	s_or_b64 exec, exec, s[12:13]
	s_waitcnt lgkmcnt(0)
	s_barrier
	s_and_saveexec_b64 s[12:13], s[38:39]
	s_cbranch_execz .LBB60_662
; %bb.661:
	v_mov_b32_e32 v31, 0
	ds_read_b64 v[31:32], v31 offset:19768
	ds_read_b64 v[33:34], v16
	s_waitcnt lgkmcnt(0)
	v_mul_f32_e32 v35, v34, v32
	v_mul_f32_e32 v32, v33, v32
	v_fma_f32 v33, v33, v31, -v35
	v_fmac_f32_e32 v32, v34, v31
	v_add_f32_e32 v30, v30, v33
	v_add_f32_e32 v29, v29, v32
.LBB60_662:
	s_or_b64 exec, exec, s[12:13]
	s_barrier
	s_and_saveexec_b64 s[12:13], s[38:39]
	s_cbranch_execz .LBB60_664
; %bb.663:
	v_mov_b32_e32 v31, 0
	ds_read_b64 v[31:32], v31 offset:20280
	s_waitcnt lgkmcnt(0)
	v_mul_f32_e32 v34, v29, v32
	v_mul_f32_e32 v33, v30, v32
	v_fma_f32 v32, v30, v31, -v34
	v_fmac_f32_e32 v33, v29, v31
	v_mov_b32_e32 v30, v32
	v_mov_b32_e32 v29, v33
	ds_write_b64 v16, v[32:33]
.LBB60_664:
	s_or_b64 exec, exec, s[12:13]
	s_waitcnt lgkmcnt(0)
	s_barrier
	s_barrier
	s_and_saveexec_b64 s[12:13], s[18:19]
; %bb.665:
	v_xor_b32_e32 v30, 0x80000000, v30
	v_xor_b32_e32 v31, 0x80000000, v29
	ds_write_b64 v14, v[30:31] offset:16672
; %bb.666:
	s_or_b64 exec, exec, s[12:13]
	s_waitcnt lgkmcnt(0)
	s_barrier
	s_barrier
	s_and_saveexec_b64 s[12:13], s[58:59]
	s_cbranch_execz .LBB60_668
; %bb.667:
	v_lshlrev_b32_e32 v31, 9, v0
	ds_read_b64 v[29:30], v31 offset:16672
	s_movk_i32 s14, 0xfe08
	v_mad_i32_i24 v32, v0, s14, v31
	s_waitcnt lgkmcnt(0)
	ds_write_b64 v32, v[29:30] offset:18688
	ds_read_b64 v[29:30], v31 offset:16680
	s_waitcnt lgkmcnt(0)
	ds_write_b64 v32, v[29:30] offset:19200
	ds_read_b64 v[29:30], v31 offset:16688
	;; [unrolled: 3-line block ×3, first 2 shown]
	s_waitcnt lgkmcnt(0)
	ds_write_b64 v32, v[29:30] offset:20224
.LBB60_668:
	s_or_b64 exec, exec, s[12:13]
	s_waitcnt lgkmcnt(0)
	s_barrier
	s_and_saveexec_b64 s[12:13], vcc
	s_cbranch_execz .LBB60_670
; %bb.669:
	v_mov_b32_e32 v33, 0
	ds_read_b128 v[29:32], v33 offset:18720
	ds_read_b64 v[33:34], v33 offset:19240
	s_movk_i32 s14, 0x4800
	s_waitcnt lgkmcnt(0)
	v_mul_f32_e32 v35, v34, v30
	v_mul_f32_e32 v36, v33, v30
	v_fma_f32 v33, v33, v29, -v35
	v_fmac_f32_e32 v36, v34, v29
	v_mul_f32_e32 v29, v36, v32
	v_mul_f32_e32 v30, v33, v32
	v_fma_f32 v29, v33, v31, -v29
	v_fmac_f32_e32 v30, v36, v31
	v_add_u32_e64 v31, s14, 0
	ds_write2_b64 v31, v[29:30], v[29:30] offset0:37 offset1:100
.LBB60_670:
	s_or_b64 exec, exec, s[12:13]
	v_mov_b32_e32 v29, 0
	v_mov_b32_e32 v30, 0
	s_waitcnt lgkmcnt(0)
	s_barrier
	s_and_saveexec_b64 s[14:15], s[2:3]
	s_cbranch_execz .LBB60_674
; %bb.671:
	v_mul_u32_u24_e32 v31, 0x208, v13
	ds_read_b64 v[29:30], v11 offset:18736
	ds_read_b64 v[31:32], v31 offset:18720
	v_cmp_gt_u32_e64 s[12:13], 2, v1
	s_waitcnt lgkmcnt(0)
	v_mul_f32_e32 v33, v32, v30
	v_mul_f32_e32 v30, v31, v30
	v_fma_f32 v31, v31, v29, -v33
	v_fmac_f32_e32 v30, v32, v29
	v_add_f32_e32 v29, 0, v31
	v_add_f32_e32 v31, 0, v30
	s_and_saveexec_b64 s[16:17], s[12:13]
	s_cbranch_execz .LBB60_673
; %bb.672:
	v_lshlrev_b32_e32 v30, 3, v0
	v_mov_b32_e32 v34, 0
	ds_read_b64 v[32:33], v30 offset:19248
	ds_read_b64 v[34:35], v34 offset:18728
	s_waitcnt lgkmcnt(0)
	v_mul_f32_e32 v30, v35, v33
	v_mul_f32_e32 v33, v34, v33
	v_fma_f32 v30, v34, v32, -v30
	v_fmac_f32_e32 v33, v35, v32
	v_add_f32_e32 v29, v29, v30
	v_add_f32_e32 v31, v31, v33
.LBB60_673:
	s_or_b64 exec, exec, s[16:17]
	v_xor_b32_e32 v30, 0x80000000, v29
	v_xor_b32_e32 v29, 0x80000000, v31
.LBB60_674:
	s_or_b64 exec, exec, s[14:15]
	s_and_saveexec_b64 s[12:13], s[34:35]
	s_cbranch_execz .LBB60_676
; %bb.675:
	v_mov_b32_e32 v31, 0
	ds_read_b64 v[31:32], v31 offset:19760
	s_waitcnt lgkmcnt(0)
	v_mul_f32_e32 v34, v29, v32
	v_mul_f32_e32 v33, v30, v32
	v_fma_f32 v32, v30, v31, -v34
	v_fmac_f32_e32 v33, v29, v31
	v_mov_b32_e32 v30, v32
	v_mov_b32_e32 v29, v33
	ds_write_b64 v12, v[32:33]
.LBB60_676:
	s_or_b64 exec, exec, s[12:13]
	s_waitcnt lgkmcnt(0)
	s_barrier
	s_and_saveexec_b64 s[12:13], s[30:31]
	s_cbranch_execz .LBB60_678
; %bb.677:
	v_mov_b32_e32 v31, 0
	ds_read_b64 v[31:32], v31 offset:19768
	ds_read_b64 v[33:34], v12
	s_waitcnt lgkmcnt(0)
	v_mul_f32_e32 v35, v34, v32
	v_mul_f32_e32 v32, v33, v32
	v_fma_f32 v33, v33, v31, -v35
	v_fmac_f32_e32 v32, v34, v31
	v_add_f32_e32 v30, v30, v33
	v_add_f32_e32 v29, v29, v32
.LBB60_678:
	s_or_b64 exec, exec, s[12:13]
	s_barrier
	s_and_saveexec_b64 s[12:13], s[30:31]
	s_cbranch_execz .LBB60_680
; %bb.679:
	v_mov_b32_e32 v31, 0
	ds_read_b64 v[31:32], v31 offset:20280
	s_waitcnt lgkmcnt(0)
	v_mul_f32_e32 v34, v29, v32
	v_mul_f32_e32 v33, v30, v32
	v_fma_f32 v32, v30, v31, -v34
	v_fmac_f32_e32 v33, v29, v31
	v_mov_b32_e32 v30, v32
	v_mov_b32_e32 v29, v33
	ds_write_b64 v12, v[32:33]
.LBB60_680:
	s_or_b64 exec, exec, s[12:13]
	s_waitcnt lgkmcnt(0)
	s_barrier
	s_barrier
	s_and_saveexec_b64 s[12:13], s[2:3]
; %bb.681:
	v_xor_b32_e32 v31, 0x80000000, v29
	v_xor_b32_e32 v30, 0x80000000, v30
	ds_write_b64 v11, v[30:31] offset:18736
; %bb.682:
	s_or_b64 exec, exec, s[12:13]
	s_waitcnt lgkmcnt(0)
	s_barrier
	s_barrier
	s_and_saveexec_b64 s[12:13], s[36:37]
	s_cbranch_execz .LBB60_684
; %bb.683:
	v_lshlrev_b32_e32 v31, 3, v0
	s_movk_i32 s14, 0x1f8
	v_mad_u32_u24 v32, v0, s14, v31
	ds_read_b64 v[29:30], v32 offset:18736
	s_waitcnt lgkmcnt(0)
	ds_write_b64 v31, v[29:30] offset:19744
	ds_read_b64 v[29:30], v32 offset:18744
	s_waitcnt lgkmcnt(0)
	ds_write_b64 v31, v[29:30] offset:20256
.LBB60_684:
	s_or_b64 exec, exec, s[12:13]
	s_waitcnt lgkmcnt(0)
	s_barrier
	s_and_saveexec_b64 s[12:13], vcc
	s_cbranch_execz .LBB60_686
; %bb.685:
	v_mov_b32_e32 v33, 0
	ds_read_b128 v[29:32], v33 offset:19760
	ds_read_b64 v[33:34], v33 offset:20280
	s_movk_i32 s14, 0x4800
	s_waitcnt lgkmcnt(0)
	v_mul_f32_e32 v35, v34, v30
	v_mul_f32_e32 v36, v33, v30
	v_fma_f32 v33, v33, v29, -v35
	v_fmac_f32_e32 v36, v34, v29
	v_mul_f32_e32 v29, v36, v32
	v_mul_f32_e32 v30, v33, v32
	v_fma_f32 v29, v33, v31, -v29
	v_fmac_f32_e32 v30, v36, v31
	v_add_u32_e64 v31, s14, 0
	ds_write2_b64 v31, v[29:30], v[29:30] offset0:167 offset1:230
.LBB60_686:
	s_or_b64 exec, exec, s[12:13]
	v_mov_b32_e32 v29, 0
	v_mov_b32_e32 v30, 0
	s_waitcnt lgkmcnt(0)
	s_barrier
	s_and_saveexec_b64 s[14:15], s[8:9]
	s_cbranch_execz .LBB60_696
; %bb.687:
	v_mul_u32_u24_e32 v30, 0x208, v23
	ds_read_b64 v[31:32], v19 offset:16704
	ds_read_b64 v[33:34], v30 offset:16640
	v_cmp_gt_u32_e64 s[12:13], 56, v1
	s_waitcnt lgkmcnt(0)
	v_mul_f32_e32 v29, v34, v32
	v_mul_f32_e32 v32, v33, v32
	v_fma_f32 v29, v33, v31, -v29
	v_fmac_f32_e32 v32, v34, v31
	v_add_f32_e32 v29, 0, v29
	v_add_f32_e32 v31, 0, v32
	s_and_saveexec_b64 s[16:17], s[12:13]
	s_cbranch_execnz .LBB60_1152
; %bb.688:
	s_or_b64 exec, exec, s[16:17]
	v_cmp_gt_u32_e64 s[12:13], 48, v1
	s_and_saveexec_b64 s[16:17], s[12:13]
	s_cbranch_execnz .LBB60_1153
.LBB60_689:
	s_or_b64 exec, exec, s[16:17]
	v_cmp_gt_u32_e64 s[12:13], 40, v1
	s_and_saveexec_b64 s[16:17], s[12:13]
	s_cbranch_execnz .LBB60_1154
.LBB60_690:
	s_or_b64 exec, exec, s[16:17]
	v_cmp_gt_u32_e64 s[12:13], 32, v1
	s_and_saveexec_b64 s[16:17], s[12:13]
	s_cbranch_execnz .LBB60_1155
.LBB60_691:
	s_or_b64 exec, exec, s[16:17]
	v_cmp_gt_u32_e64 s[12:13], 24, v1
	s_and_saveexec_b64 s[16:17], s[12:13]
	s_cbranch_execnz .LBB60_1156
.LBB60_692:
	s_or_b64 exec, exec, s[16:17]
	v_cmp_gt_u32_e64 s[12:13], 16, v1
	s_and_saveexec_b64 s[16:17], s[12:13]
	s_cbranch_execnz .LBB60_1157
.LBB60_693:
	s_or_b64 exec, exec, s[16:17]
	v_cmp_gt_u32_e64 s[12:13], 8, v1
	s_and_saveexec_b64 s[16:17], s[12:13]
	s_cbranch_execz .LBB60_695
.LBB60_694:
	v_lshlrev_b32_e32 v30, 3, v0
	v_mov_b32_e32 v34, 0
	ds_read_b64 v[32:33], v30 offset:20288
	ds_read_b64 v[34:35], v34 offset:16696
	s_waitcnt lgkmcnt(0)
	v_mul_f32_e32 v30, v35, v33
	v_mul_f32_e32 v33, v34, v33
	v_fma_f32 v30, v34, v32, -v30
	v_fmac_f32_e32 v33, v35, v32
	v_add_f32_e32 v29, v29, v30
	v_add_f32_e32 v31, v31, v33
.LBB60_695:
	s_or_b64 exec, exec, s[16:17]
	v_xor_b32_e32 v30, 0x80000000, v29
	v_xor_b32_e32 v29, 0x80000000, v31
.LBB60_696:
	s_or_b64 exec, exec, s[14:15]
	s_and_saveexec_b64 s[12:13], s[62:63]
	s_cbranch_execz .LBB60_698
; %bb.697:
	v_mov_b32_e32 v31, 0
	ds_read_b64 v[31:32], v31 offset:20800
	s_waitcnt lgkmcnt(0)
	v_mul_f32_e32 v34, v29, v32
	v_mul_f32_e32 v33, v30, v32
	v_fma_f32 v32, v30, v31, -v34
	v_fmac_f32_e32 v33, v29, v31
	v_mov_b32_e32 v30, v32
	v_mov_b32_e32 v29, v33
	ds_write_b64 v21, v[32:33]
.LBB60_698:
	s_or_b64 exec, exec, s[12:13]
	s_waitcnt lgkmcnt(0)
	s_barrier
	s_and_saveexec_b64 s[12:13], s[64:65]
	s_cbranch_execz .LBB60_700
; %bb.699:
	ds_read_b64 v[31:32], v20 offset:20800
	ds_read_b64 v[33:34], v21
	s_waitcnt lgkmcnt(0)
	v_mul_f32_e32 v35, v34, v32
	v_mul_f32_e32 v32, v33, v32
	v_fma_f32 v33, v33, v31, -v35
	v_fmac_f32_e32 v32, v34, v31
	v_add_f32_e32 v30, v30, v33
	v_add_f32_e32 v29, v29, v32
.LBB60_700:
	s_or_b64 exec, exec, s[12:13]
	s_barrier
	s_and_saveexec_b64 s[12:13], s[66:67]
	s_cbranch_execz .LBB60_702
; %bb.701:
	v_mov_b32_e32 v31, 0
	ds_read_b64 v[31:32], v31 offset:21320
	s_waitcnt lgkmcnt(0)
	v_mul_f32_e32 v34, v29, v32
	v_mul_f32_e32 v33, v30, v32
	v_fma_f32 v32, v30, v31, -v34
	v_fmac_f32_e32 v33, v29, v31
	v_mov_b32_e32 v30, v32
	v_mov_b32_e32 v29, v33
	ds_write_b64 v21, v[32:33]
.LBB60_702:
	s_or_b64 exec, exec, s[12:13]
	s_waitcnt lgkmcnt(0)
	s_barrier
	s_and_saveexec_b64 s[12:13], s[68:69]
	s_cbranch_execz .LBB60_704
; %bb.703:
	ds_read_b64 v[31:32], v20 offset:21312
	ds_read_b64 v[33:34], v21
	s_waitcnt lgkmcnt(0)
	v_mul_f32_e32 v35, v34, v32
	v_mul_f32_e32 v32, v33, v32
	v_fma_f32 v33, v33, v31, -v35
	v_fmac_f32_e32 v32, v34, v31
	v_add_f32_e32 v30, v30, v33
	v_add_f32_e32 v29, v29, v32
.LBB60_704:
	s_or_b64 exec, exec, s[12:13]
	s_barrier
	;; [unrolled: 32-line block ×6, first 2 shown]
	s_and_saveexec_b64 s[12:13], s[86:87]
	s_cbranch_execz .LBB60_722
; %bb.721:
	v_mov_b32_e32 v31, 0
	ds_read_b64 v[31:32], v31 offset:23920
	s_waitcnt lgkmcnt(0)
	v_mul_f32_e32 v34, v29, v32
	v_mul_f32_e32 v33, v30, v32
	v_fma_f32 v32, v30, v31, -v34
	v_fmac_f32_e32 v33, v29, v31
	v_mov_b32_e32 v30, v32
	v_mov_b32_e32 v29, v33
	ds_write_b64 v21, v[32:33]
.LBB60_722:
	s_or_b64 exec, exec, s[12:13]
	s_waitcnt lgkmcnt(0)
	s_barrier
	s_and_saveexec_b64 s[12:13], s[60:61]
	s_cbranch_execz .LBB60_724
; %bb.723:
	v_mov_b32_e32 v31, 0
	ds_read_b64 v[31:32], v31 offset:23928
	ds_read_b64 v[33:34], v21
	s_waitcnt lgkmcnt(0)
	v_mul_f32_e32 v35, v34, v32
	v_mul_f32_e32 v32, v33, v32
	v_fma_f32 v33, v33, v31, -v35
	v_fmac_f32_e32 v32, v34, v31
	v_add_f32_e32 v30, v30, v33
	v_add_f32_e32 v29, v29, v32
.LBB60_724:
	s_or_b64 exec, exec, s[12:13]
	s_barrier
	s_and_saveexec_b64 s[12:13], s[60:61]
	s_cbranch_execz .LBB60_726
; %bb.725:
	v_mov_b32_e32 v31, 0
	ds_read_b64 v[31:32], v31 offset:24440
	s_waitcnt lgkmcnt(0)
	v_mul_f32_e32 v34, v29, v32
	v_mul_f32_e32 v33, v30, v32
	v_fma_f32 v32, v30, v31, -v34
	v_fmac_f32_e32 v33, v29, v31
	v_mov_b32_e32 v30, v32
	v_mov_b32_e32 v29, v33
	ds_write_b64 v21, v[32:33]
.LBB60_726:
	s_or_b64 exec, exec, s[12:13]
	s_waitcnt lgkmcnt(0)
	s_barrier
	s_barrier
	s_and_saveexec_b64 s[12:13], s[8:9]
; %bb.727:
	v_xor_b32_e32 v31, 0x80000000, v29
	v_xor_b32_e32 v30, 0x80000000, v30
	ds_write_b64 v19, v[30:31] offset:16704
; %bb.728:
	s_or_b64 exec, exec, s[12:13]
	s_waitcnt lgkmcnt(0)
	s_barrier
	s_barrier
	s_and_saveexec_b64 s[12:13], s[88:89]
	s_cbranch_execz .LBB60_730
; %bb.729:
	v_lshlrev_b32_e32 v31, 9, v0
	ds_read_b64 v[29:30], v31 offset:16704
	s_movk_i32 s14, 0xfe08
	v_mad_i32_i24 v32, v0, s14, v31
	s_waitcnt lgkmcnt(0)
	ds_write_b64 v32, v[29:30] offset:20736
	ds_read_b64 v[29:30], v31 offset:16712
	s_waitcnt lgkmcnt(0)
	ds_write_b64 v32, v[29:30] offset:21248
	ds_read_b64 v[29:30], v31 offset:16720
	;; [unrolled: 3-line block ×7, first 2 shown]
	s_waitcnt lgkmcnt(0)
	ds_write_b64 v32, v[29:30] offset:24320
.LBB60_730:
	s_or_b64 exec, exec, s[12:13]
	s_waitcnt lgkmcnt(0)
	s_barrier
	s_and_saveexec_b64 s[12:13], vcc
	s_cbranch_execz .LBB60_732
; %bb.731:
	v_mov_b32_e32 v33, 0
	ds_read_b128 v[29:32], v33 offset:20800
	ds_read_b64 v[33:34], v33 offset:21320
	s_movk_i32 s14, 0x5000
	s_waitcnt lgkmcnt(0)
	v_mul_f32_e32 v35, v34, v30
	v_mul_f32_e32 v36, v33, v30
	v_fma_f32 v33, v33, v29, -v35
	v_fmac_f32_e32 v36, v34, v29
	v_mul_f32_e32 v29, v36, v32
	v_mul_f32_e32 v30, v33, v32
	v_fma_f32 v29, v33, v31, -v29
	v_fmac_f32_e32 v30, v36, v31
	v_add_u32_e64 v31, s14, 0
	ds_write2_b64 v31, v[29:30], v[29:30] offset0:41 offset1:104
.LBB60_732:
	s_or_b64 exec, exec, s[12:13]
	v_mov_b32_e32 v29, 0
	v_mov_b32_e32 v30, 0
	s_waitcnt lgkmcnt(0)
	s_barrier
	s_and_saveexec_b64 s[14:15], s[2:3]
	s_cbranch_execz .LBB60_736
; %bb.733:
	v_mul_u32_u24_e32 v31, 0x208, v13
	ds_read_b64 v[29:30], v11 offset:20816
	ds_read_b64 v[31:32], v31 offset:20800
	v_cmp_gt_u32_e64 s[12:13], 2, v1
	s_waitcnt lgkmcnt(0)
	v_mul_f32_e32 v33, v32, v30
	v_mul_f32_e32 v30, v31, v30
	v_fma_f32 v31, v31, v29, -v33
	v_fmac_f32_e32 v30, v32, v29
	v_add_f32_e32 v29, 0, v31
	v_add_f32_e32 v31, 0, v30
	s_and_saveexec_b64 s[16:17], s[12:13]
	s_cbranch_execz .LBB60_735
; %bb.734:
	v_lshlrev_b32_e32 v30, 3, v0
	v_mov_b32_e32 v34, 0
	ds_read_b64 v[32:33], v30 offset:21328
	ds_read_b64 v[34:35], v34 offset:20808
	s_waitcnt lgkmcnt(0)
	v_mul_f32_e32 v30, v35, v33
	v_mul_f32_e32 v33, v34, v33
	v_fma_f32 v30, v34, v32, -v30
	v_fmac_f32_e32 v33, v35, v32
	v_add_f32_e32 v29, v29, v30
	v_add_f32_e32 v31, v31, v33
.LBB60_735:
	s_or_b64 exec, exec, s[16:17]
	v_xor_b32_e32 v30, 0x80000000, v29
	v_xor_b32_e32 v29, 0x80000000, v31
.LBB60_736:
	s_or_b64 exec, exec, s[14:15]
	s_and_saveexec_b64 s[12:13], s[34:35]
	s_cbranch_execz .LBB60_738
; %bb.737:
	v_mov_b32_e32 v31, 0
	ds_read_b64 v[31:32], v31 offset:21840
	s_waitcnt lgkmcnt(0)
	v_mul_f32_e32 v34, v29, v32
	v_mul_f32_e32 v33, v30, v32
	v_fma_f32 v32, v30, v31, -v34
	v_fmac_f32_e32 v33, v29, v31
	v_mov_b32_e32 v30, v32
	v_mov_b32_e32 v29, v33
	ds_write_b64 v12, v[32:33]
.LBB60_738:
	s_or_b64 exec, exec, s[12:13]
	s_waitcnt lgkmcnt(0)
	s_barrier
	s_and_saveexec_b64 s[12:13], s[30:31]
	s_cbranch_execz .LBB60_740
; %bb.739:
	v_mov_b32_e32 v31, 0
	ds_read_b64 v[31:32], v31 offset:21848
	ds_read_b64 v[33:34], v12
	s_waitcnt lgkmcnt(0)
	v_mul_f32_e32 v35, v34, v32
	v_mul_f32_e32 v32, v33, v32
	v_fma_f32 v33, v33, v31, -v35
	v_fmac_f32_e32 v32, v34, v31
	v_add_f32_e32 v30, v30, v33
	v_add_f32_e32 v29, v29, v32
.LBB60_740:
	s_or_b64 exec, exec, s[12:13]
	s_barrier
	s_and_saveexec_b64 s[12:13], s[30:31]
	s_cbranch_execz .LBB60_742
; %bb.741:
	v_mov_b32_e32 v31, 0
	ds_read_b64 v[31:32], v31 offset:22360
	s_waitcnt lgkmcnt(0)
	v_mul_f32_e32 v34, v29, v32
	v_mul_f32_e32 v33, v30, v32
	v_fma_f32 v32, v30, v31, -v34
	v_fmac_f32_e32 v33, v29, v31
	v_mov_b32_e32 v30, v32
	v_mov_b32_e32 v29, v33
	ds_write_b64 v12, v[32:33]
.LBB60_742:
	s_or_b64 exec, exec, s[12:13]
	s_waitcnt lgkmcnt(0)
	s_barrier
	s_barrier
	s_and_saveexec_b64 s[12:13], s[2:3]
; %bb.743:
	v_xor_b32_e32 v31, 0x80000000, v29
	v_xor_b32_e32 v30, 0x80000000, v30
	ds_write_b64 v11, v[30:31] offset:20816
; %bb.744:
	s_or_b64 exec, exec, s[12:13]
	s_waitcnt lgkmcnt(0)
	s_barrier
	s_barrier
	s_and_saveexec_b64 s[12:13], s[36:37]
	s_cbranch_execz .LBB60_746
; %bb.745:
	v_lshlrev_b32_e32 v31, 3, v0
	s_movk_i32 s14, 0x1f8
	v_mad_u32_u24 v32, v0, s14, v31
	ds_read_b64 v[29:30], v32 offset:20816
	s_waitcnt lgkmcnt(0)
	ds_write_b64 v31, v[29:30] offset:21824
	ds_read_b64 v[29:30], v32 offset:20824
	s_waitcnt lgkmcnt(0)
	ds_write_b64 v31, v[29:30] offset:22336
.LBB60_746:
	s_or_b64 exec, exec, s[12:13]
	s_waitcnt lgkmcnt(0)
	s_barrier
	s_and_saveexec_b64 s[12:13], vcc
	s_cbranch_execz .LBB60_748
; %bb.747:
	v_mov_b32_e32 v33, 0
	ds_read_b128 v[29:32], v33 offset:21840
	ds_read_b64 v[33:34], v33 offset:22360
	s_movk_i32 s14, 0x5000
	s_waitcnt lgkmcnt(0)
	v_mul_f32_e32 v35, v34, v30
	v_mul_f32_e32 v36, v33, v30
	v_fma_f32 v33, v33, v29, -v35
	v_fmac_f32_e32 v36, v34, v29
	v_mul_f32_e32 v29, v36, v32
	v_mul_f32_e32 v30, v33, v32
	v_fma_f32 v29, v33, v31, -v29
	v_fmac_f32_e32 v30, v36, v31
	v_add_u32_e64 v31, s14, 0
	ds_write2_b64 v31, v[29:30], v[29:30] offset0:171 offset1:234
.LBB60_748:
	s_or_b64 exec, exec, s[12:13]
	v_mov_b32_e32 v29, 0
	v_mov_b32_e32 v30, 0
	s_waitcnt lgkmcnt(0)
	s_barrier
	s_and_saveexec_b64 s[14:15], s[18:19]
	s_cbranch_execz .LBB60_754
; %bb.749:
	v_mul_u32_u24_e32 v30, 0x208, v18
	ds_read_b64 v[31:32], v14 offset:20832
	ds_read_b64 v[33:34], v30 offset:20800
	v_cmp_gt_u32_e64 s[12:13], 12, v1
	s_waitcnt lgkmcnt(0)
	v_mul_f32_e32 v29, v34, v32
	v_mul_f32_e32 v32, v33, v32
	v_fma_f32 v29, v33, v31, -v29
	v_fmac_f32_e32 v32, v34, v31
	v_add_f32_e32 v29, 0, v29
	v_add_f32_e32 v31, 0, v32
	s_and_saveexec_b64 s[16:17], s[12:13]
	s_cbranch_execnz .LBB60_1158
; %bb.750:
	s_or_b64 exec, exec, s[16:17]
	v_cmp_gt_u32_e64 s[12:13], 8, v1
	s_and_saveexec_b64 s[16:17], s[12:13]
	s_cbranch_execnz .LBB60_1159
.LBB60_751:
	s_or_b64 exec, exec, s[16:17]
	v_cmp_gt_u32_e64 s[12:13], 4, v1
	s_and_saveexec_b64 s[16:17], s[12:13]
	s_cbranch_execz .LBB60_753
.LBB60_752:
	v_lshlrev_b32_e32 v30, 3, v0
	v_mov_b32_e32 v34, 0
	ds_read_b64 v[32:33], v30 offset:22368
	ds_read_b64 v[34:35], v34 offset:20824
	s_waitcnt lgkmcnt(0)
	v_mul_f32_e32 v30, v35, v33
	v_mul_f32_e32 v33, v34, v33
	v_fma_f32 v30, v34, v32, -v30
	v_fmac_f32_e32 v33, v35, v32
	v_add_f32_e32 v29, v29, v30
	v_add_f32_e32 v31, v31, v33
.LBB60_753:
	s_or_b64 exec, exec, s[16:17]
	v_xor_b32_e32 v30, 0x80000000, v29
	v_xor_b32_e32 v29, 0x80000000, v31
.LBB60_754:
	s_or_b64 exec, exec, s[14:15]
	s_and_saveexec_b64 s[12:13], s[42:43]
	s_cbranch_execz .LBB60_756
; %bb.755:
	v_mov_b32_e32 v31, 0
	ds_read_b64 v[31:32], v31 offset:22880
	s_waitcnt lgkmcnt(0)
	v_mul_f32_e32 v34, v29, v32
	v_mul_f32_e32 v33, v30, v32
	v_fma_f32 v32, v30, v31, -v34
	v_fmac_f32_e32 v33, v29, v31
	v_mov_b32_e32 v30, v32
	v_mov_b32_e32 v29, v33
	ds_write_b64 v16, v[32:33]
.LBB60_756:
	s_or_b64 exec, exec, s[12:13]
	s_waitcnt lgkmcnt(0)
	s_barrier
	s_and_saveexec_b64 s[12:13], s[44:45]
	s_cbranch_execz .LBB60_758
; %bb.757:
	ds_read_b64 v[31:32], v15 offset:22880
	ds_read_b64 v[33:34], v16
	s_waitcnt lgkmcnt(0)
	v_mul_f32_e32 v35, v34, v32
	v_mul_f32_e32 v32, v33, v32
	v_fma_f32 v33, v33, v31, -v35
	v_fmac_f32_e32 v32, v34, v31
	v_add_f32_e32 v30, v30, v33
	v_add_f32_e32 v29, v29, v32
.LBB60_758:
	s_or_b64 exec, exec, s[12:13]
	s_barrier
	s_and_saveexec_b64 s[12:13], s[52:53]
	s_cbranch_execz .LBB60_760
; %bb.759:
	v_mov_b32_e32 v31, 0
	ds_read_b64 v[31:32], v31 offset:23400
	s_waitcnt lgkmcnt(0)
	v_mul_f32_e32 v34, v29, v32
	v_mul_f32_e32 v33, v30, v32
	v_fma_f32 v32, v30, v31, -v34
	v_fmac_f32_e32 v33, v29, v31
	v_mov_b32_e32 v30, v32
	v_mov_b32_e32 v29, v33
	ds_write_b64 v16, v[32:33]
.LBB60_760:
	s_or_b64 exec, exec, s[12:13]
	s_waitcnt lgkmcnt(0)
	s_barrier
	s_and_saveexec_b64 s[12:13], s[54:55]
	s_cbranch_execz .LBB60_762
; %bb.761:
	ds_read_b64 v[31:32], v15 offset:23392
	ds_read_b64 v[33:34], v16
	s_waitcnt lgkmcnt(0)
	v_mul_f32_e32 v35, v34, v32
	v_mul_f32_e32 v32, v33, v32
	v_fma_f32 v33, v33, v31, -v35
	v_fmac_f32_e32 v32, v34, v31
	v_add_f32_e32 v30, v30, v33
	v_add_f32_e32 v29, v29, v32
.LBB60_762:
	s_or_b64 exec, exec, s[12:13]
	s_barrier
	s_and_saveexec_b64 s[12:13], s[56:57]
	s_cbranch_execz .LBB60_764
; %bb.763:
	v_mov_b32_e32 v31, 0
	ds_read_b64 v[31:32], v31 offset:23920
	s_waitcnt lgkmcnt(0)
	v_mul_f32_e32 v34, v29, v32
	v_mul_f32_e32 v33, v30, v32
	v_fma_f32 v32, v30, v31, -v34
	v_fmac_f32_e32 v33, v29, v31
	v_mov_b32_e32 v30, v32
	v_mov_b32_e32 v29, v33
	ds_write_b64 v16, v[32:33]
.LBB60_764:
	s_or_b64 exec, exec, s[12:13]
	s_waitcnt lgkmcnt(0)
	s_barrier
	s_and_saveexec_b64 s[12:13], s[38:39]
	s_cbranch_execz .LBB60_766
; %bb.765:
	v_mov_b32_e32 v31, 0
	ds_read_b64 v[31:32], v31 offset:23928
	ds_read_b64 v[33:34], v16
	s_waitcnt lgkmcnt(0)
	v_mul_f32_e32 v35, v34, v32
	v_mul_f32_e32 v32, v33, v32
	v_fma_f32 v33, v33, v31, -v35
	v_fmac_f32_e32 v32, v34, v31
	v_add_f32_e32 v30, v30, v33
	v_add_f32_e32 v29, v29, v32
.LBB60_766:
	s_or_b64 exec, exec, s[12:13]
	s_barrier
	s_and_saveexec_b64 s[12:13], s[38:39]
	s_cbranch_execz .LBB60_768
; %bb.767:
	v_mov_b32_e32 v31, 0
	ds_read_b64 v[31:32], v31 offset:24440
	s_waitcnt lgkmcnt(0)
	v_mul_f32_e32 v34, v29, v32
	v_mul_f32_e32 v33, v30, v32
	v_fma_f32 v32, v30, v31, -v34
	v_fmac_f32_e32 v33, v29, v31
	v_mov_b32_e32 v30, v32
	v_mov_b32_e32 v29, v33
	ds_write_b64 v16, v[32:33]
.LBB60_768:
	s_or_b64 exec, exec, s[12:13]
	s_waitcnt lgkmcnt(0)
	s_barrier
	s_barrier
	s_and_saveexec_b64 s[12:13], s[18:19]
; %bb.769:
	v_xor_b32_e32 v30, 0x80000000, v30
	v_xor_b32_e32 v31, 0x80000000, v29
	ds_write_b64 v14, v[30:31] offset:20832
; %bb.770:
	s_or_b64 exec, exec, s[12:13]
	s_waitcnt lgkmcnt(0)
	s_barrier
	s_barrier
	s_and_saveexec_b64 s[12:13], s[58:59]
	s_cbranch_execz .LBB60_772
; %bb.771:
	v_lshlrev_b32_e32 v31, 9, v0
	ds_read_b64 v[29:30], v31 offset:20832
	s_movk_i32 s14, 0xfe08
	v_mad_i32_i24 v32, v0, s14, v31
	s_waitcnt lgkmcnt(0)
	ds_write_b64 v32, v[29:30] offset:22848
	ds_read_b64 v[29:30], v31 offset:20840
	s_waitcnt lgkmcnt(0)
	ds_write_b64 v32, v[29:30] offset:23360
	ds_read_b64 v[29:30], v31 offset:20848
	;; [unrolled: 3-line block ×3, first 2 shown]
	s_waitcnt lgkmcnt(0)
	ds_write_b64 v32, v[29:30] offset:24384
.LBB60_772:
	s_or_b64 exec, exec, s[12:13]
	s_waitcnt lgkmcnt(0)
	s_barrier
	s_and_saveexec_b64 s[12:13], vcc
	s_cbranch_execz .LBB60_774
; %bb.773:
	v_mov_b32_e32 v33, 0
	ds_read_b128 v[29:32], v33 offset:22880
	ds_read_b64 v[33:34], v33 offset:23400
	s_movk_i32 s14, 0x5800
	s_waitcnt lgkmcnt(0)
	v_mul_f32_e32 v35, v34, v30
	v_mul_f32_e32 v36, v33, v30
	v_fma_f32 v33, v33, v29, -v35
	v_fmac_f32_e32 v36, v34, v29
	v_mul_f32_e32 v29, v36, v32
	v_mul_f32_e32 v30, v33, v32
	v_fma_f32 v29, v33, v31, -v29
	v_fmac_f32_e32 v30, v36, v31
	v_add_u32_e64 v31, s14, 0
	ds_write2_b64 v31, v[29:30], v[29:30] offset0:45 offset1:108
.LBB60_774:
	s_or_b64 exec, exec, s[12:13]
	v_mov_b32_e32 v29, 0
	v_mov_b32_e32 v30, 0
	s_waitcnt lgkmcnt(0)
	s_barrier
	s_and_saveexec_b64 s[14:15], s[2:3]
	s_cbranch_execz .LBB60_778
; %bb.775:
	v_mul_u32_u24_e32 v31, 0x208, v13
	ds_read_b64 v[29:30], v11 offset:22896
	ds_read_b64 v[31:32], v31 offset:22880
	v_cmp_gt_u32_e64 s[12:13], 2, v1
	s_waitcnt lgkmcnt(0)
	v_mul_f32_e32 v33, v32, v30
	v_mul_f32_e32 v30, v31, v30
	v_fma_f32 v31, v31, v29, -v33
	v_fmac_f32_e32 v30, v32, v29
	v_add_f32_e32 v29, 0, v31
	v_add_f32_e32 v31, 0, v30
	s_and_saveexec_b64 s[16:17], s[12:13]
	s_cbranch_execz .LBB60_777
; %bb.776:
	v_lshlrev_b32_e32 v30, 3, v0
	v_mov_b32_e32 v34, 0
	ds_read_b64 v[32:33], v30 offset:23408
	ds_read_b64 v[34:35], v34 offset:22888
	s_waitcnt lgkmcnt(0)
	v_mul_f32_e32 v30, v35, v33
	v_mul_f32_e32 v33, v34, v33
	v_fma_f32 v30, v34, v32, -v30
	v_fmac_f32_e32 v33, v35, v32
	v_add_f32_e32 v29, v29, v30
	v_add_f32_e32 v31, v31, v33
.LBB60_777:
	s_or_b64 exec, exec, s[16:17]
	v_xor_b32_e32 v30, 0x80000000, v29
	v_xor_b32_e32 v29, 0x80000000, v31
.LBB60_778:
	s_or_b64 exec, exec, s[14:15]
	s_and_saveexec_b64 s[12:13], s[34:35]
	s_cbranch_execz .LBB60_780
; %bb.779:
	v_mov_b32_e32 v31, 0
	ds_read_b64 v[31:32], v31 offset:23920
	s_waitcnt lgkmcnt(0)
	v_mul_f32_e32 v34, v29, v32
	v_mul_f32_e32 v33, v30, v32
	v_fma_f32 v32, v30, v31, -v34
	v_fmac_f32_e32 v33, v29, v31
	v_mov_b32_e32 v30, v32
	v_mov_b32_e32 v29, v33
	ds_write_b64 v12, v[32:33]
.LBB60_780:
	s_or_b64 exec, exec, s[12:13]
	s_waitcnt lgkmcnt(0)
	s_barrier
	s_and_saveexec_b64 s[12:13], s[30:31]
	s_cbranch_execz .LBB60_782
; %bb.781:
	v_mov_b32_e32 v31, 0
	ds_read_b64 v[31:32], v31 offset:23928
	ds_read_b64 v[33:34], v12
	s_waitcnt lgkmcnt(0)
	v_mul_f32_e32 v35, v34, v32
	v_mul_f32_e32 v32, v33, v32
	v_fma_f32 v33, v33, v31, -v35
	v_fmac_f32_e32 v32, v34, v31
	v_add_f32_e32 v30, v30, v33
	v_add_f32_e32 v29, v29, v32
.LBB60_782:
	s_or_b64 exec, exec, s[12:13]
	s_barrier
	s_and_saveexec_b64 s[12:13], s[30:31]
	s_cbranch_execz .LBB60_784
; %bb.783:
	v_mov_b32_e32 v31, 0
	ds_read_b64 v[31:32], v31 offset:24440
	s_waitcnt lgkmcnt(0)
	v_mul_f32_e32 v34, v29, v32
	v_mul_f32_e32 v33, v30, v32
	v_fma_f32 v32, v30, v31, -v34
	v_fmac_f32_e32 v33, v29, v31
	v_mov_b32_e32 v30, v32
	v_mov_b32_e32 v29, v33
	ds_write_b64 v12, v[32:33]
.LBB60_784:
	s_or_b64 exec, exec, s[12:13]
	s_waitcnt lgkmcnt(0)
	s_barrier
	s_barrier
	s_and_saveexec_b64 s[12:13], s[2:3]
; %bb.785:
	v_xor_b32_e32 v31, 0x80000000, v29
	v_xor_b32_e32 v30, 0x80000000, v30
	ds_write_b64 v11, v[30:31] offset:22896
; %bb.786:
	s_or_b64 exec, exec, s[12:13]
	s_waitcnt lgkmcnt(0)
	s_barrier
	s_barrier
	s_and_saveexec_b64 s[12:13], s[36:37]
	s_cbranch_execz .LBB60_788
; %bb.787:
	v_lshlrev_b32_e32 v31, 3, v0
	s_movk_i32 s14, 0x1f8
	v_mad_u32_u24 v32, v0, s14, v31
	ds_read_b64 v[29:30], v32 offset:22896
	s_waitcnt lgkmcnt(0)
	ds_write_b64 v31, v[29:30] offset:23904
	ds_read_b64 v[29:30], v32 offset:22904
	s_waitcnt lgkmcnt(0)
	ds_write_b64 v31, v[29:30] offset:24416
.LBB60_788:
	s_or_b64 exec, exec, s[12:13]
	s_waitcnt lgkmcnt(0)
	s_barrier
	s_and_saveexec_b64 s[12:13], vcc
	s_cbranch_execz .LBB60_790
; %bb.789:
	v_mov_b32_e32 v33, 0
	ds_read_b128 v[29:32], v33 offset:23920
	ds_read_b64 v[33:34], v33 offset:24440
	s_movk_i32 s14, 0x5800
	s_waitcnt lgkmcnt(0)
	v_mul_f32_e32 v35, v34, v30
	v_mul_f32_e32 v36, v33, v30
	v_fma_f32 v33, v33, v29, -v35
	v_fmac_f32_e32 v36, v34, v29
	v_mul_f32_e32 v29, v36, v32
	v_mul_f32_e32 v30, v33, v32
	v_fma_f32 v29, v33, v31, -v29
	v_fmac_f32_e32 v30, v36, v31
	v_add_u32_e64 v31, s14, 0
	ds_write2_b64 v31, v[29:30], v[29:30] offset0:175 offset1:238
.LBB60_790:
	s_or_b64 exec, exec, s[12:13]
	v_mov_b32_e32 v29, 0
	v_mov_b32_e32 v30, 0
	s_waitcnt lgkmcnt(0)
	s_barrier
	s_and_saveexec_b64 s[14:15], s[10:11]
	s_cbranch_execz .LBB60_818
; %bb.791:
	v_mul_u32_u24_e32 v30, 0x208, v28
	ds_read_b64 v[31:32], v24 offset:16768
	ds_read_b64 v[33:34], v30 offset:16640
	s_movk_i32 s12, 0xf0
	v_cmp_gt_u32_e64 s[12:13], s12, v1
	s_waitcnt lgkmcnt(0)
	v_mul_f32_e32 v29, v34, v32
	v_mul_f32_e32 v32, v33, v32
	v_fma_f32 v29, v33, v31, -v29
	v_fmac_f32_e32 v32, v34, v31
	v_add_f32_e32 v29, 0, v29
	v_add_f32_e32 v31, 0, v32
	s_and_saveexec_b64 s[16:17], s[12:13]
	s_cbranch_execz .LBB60_793
; %bb.792:
	v_lshlrev_b32_e32 v32, 3, v28
	v_sub_u32_e32 v32, v30, v32
	v_lshl_add_u32 v32, v25, 3, v32
	ds_read_b64 v[32:33], v32 offset:17280
	ds_read_b64 v[34:35], v30 offset:16648
	s_waitcnt lgkmcnt(0)
	v_mul_f32_e32 v36, v35, v33
	v_mul_f32_e32 v33, v34, v33
	v_fma_f32 v34, v34, v32, -v36
	v_fmac_f32_e32 v33, v35, v32
	v_add_f32_e32 v29, v29, v34
	v_add_f32_e32 v31, v31, v33
.LBB60_793:
	s_or_b64 exec, exec, s[16:17]
	s_movk_i32 s12, 0xe0
	v_cmp_gt_u32_e64 s[12:13], s12, v1
	s_and_saveexec_b64 s[16:17], s[12:13]
	s_cbranch_execz .LBB60_795
; %bb.794:
	v_lshlrev_b32_e32 v32, 3, v28
	v_sub_u32_e32 v32, v30, v32
	v_lshl_add_u32 v32, v25, 3, v32
	ds_read_b64 v[32:33], v32 offset:17792
	ds_read_b64 v[34:35], v30 offset:16656
	s_waitcnt lgkmcnt(0)
	v_mul_f32_e32 v36, v35, v33
	v_mul_f32_e32 v33, v34, v33
	v_fma_f32 v34, v34, v32, -v36
	v_fmac_f32_e32 v33, v35, v32
	v_add_f32_e32 v29, v29, v34
	v_add_f32_e32 v31, v31, v33
.LBB60_795:
	s_or_b64 exec, exec, s[16:17]
	s_movk_i32 s12, 0xd0
	v_cmp_gt_u32_e64 s[12:13], s12, v1
	;; [unrolled: 19-line block ×6, first 2 shown]
	s_and_saveexec_b64 s[16:17], s[12:13]
	s_cbranch_execz .LBB60_805
; %bb.804:
	v_lshlrev_b32_e32 v28, 3, v25
	v_lshl_add_u32 v28, v27, 3, v28
	ds_read_b64 v[32:33], v28 offset:20352
	ds_read_b64 v[34:35], v30 offset:16696
	s_waitcnt lgkmcnt(0)
	v_mul_f32_e32 v28, v35, v33
	v_mul_f32_e32 v33, v34, v33
	v_fma_f32 v28, v34, v32, -v28
	v_fmac_f32_e32 v33, v35, v32
	v_add_f32_e32 v29, v29, v28
	v_add_f32_e32 v31, v31, v33
.LBB60_805:
	s_or_b64 exec, exec, s[16:17]
	s_movk_i32 s12, 0x80
	v_cmp_gt_u32_e64 s[12:13], s12, v1
	s_and_saveexec_b64 s[16:17], s[12:13]
	s_cbranch_execz .LBB60_807
; %bb.806:
	ds_read_b64 v[32:33], v24 offset:20864
	ds_read_b64 v[34:35], v30 offset:16704
	s_waitcnt lgkmcnt(0)
	v_mul_f32_e32 v28, v35, v33
	v_mul_f32_e32 v33, v34, v33
	v_fma_f32 v28, v34, v32, -v28
	v_fmac_f32_e32 v33, v35, v32
	v_add_f32_e32 v29, v29, v28
	v_add_f32_e32 v31, v31, v33
.LBB60_807:
	s_or_b64 exec, exec, s[16:17]
	s_movk_i32 s12, 0x70
	v_cmp_gt_u32_e64 s[12:13], s12, v1
	s_and_saveexec_b64 s[16:17], s[12:13]
	s_cbranch_execz .LBB60_809
; %bb.808:
	v_lshlrev_b32_e32 v28, 3, v25
	v_lshl_add_u32 v28, v27, 3, v28
	ds_read_b64 v[32:33], v28 offset:21376
	ds_read_b64 v[34:35], v30 offset:16712
	s_waitcnt lgkmcnt(0)
	v_mul_f32_e32 v28, v35, v33
	v_mul_f32_e32 v33, v34, v33
	v_fma_f32 v28, v34, v32, -v28
	v_fmac_f32_e32 v33, v35, v32
	v_add_f32_e32 v29, v29, v28
	v_add_f32_e32 v31, v31, v33
.LBB60_809:
	s_or_b64 exec, exec, s[16:17]
	s_movk_i32 s12, 0x60
	v_cmp_gt_u32_e64 s[12:13], s12, v1
	s_and_saveexec_b64 s[16:17], s[12:13]
	s_cbranch_execz .LBB60_811
; %bb.810:
	v_lshlrev_b32_e32 v28, 3, v25
	v_lshl_add_u32 v28, v27, 3, v28
	ds_read_b64 v[32:33], v28 offset:21888
	ds_read_b64 v[34:35], v30 offset:16720
	s_waitcnt lgkmcnt(0)
	v_mul_f32_e32 v28, v35, v33
	v_mul_f32_e32 v33, v34, v33
	v_fma_f32 v28, v34, v32, -v28
	v_fmac_f32_e32 v33, v35, v32
	v_add_f32_e32 v29, v29, v28
	v_add_f32_e32 v31, v31, v33
.LBB60_811:
	s_or_b64 exec, exec, s[16:17]
	s_movk_i32 s12, 0x50
	v_cmp_gt_u32_e64 s[12:13], s12, v1
	s_and_saveexec_b64 s[16:17], s[12:13]
	s_cbranch_execnz .LBB60_1160
; %bb.812:
	s_or_b64 exec, exec, s[16:17]
	v_cmp_gt_u32_e64 s[12:13], 64, v1
	s_and_saveexec_b64 s[16:17], s[12:13]
	s_cbranch_execnz .LBB60_1161
.LBB60_813:
	s_or_b64 exec, exec, s[16:17]
	v_cmp_gt_u32_e64 s[12:13], 48, v1
	s_and_saveexec_b64 s[16:17], s[12:13]
	s_cbranch_execnz .LBB60_1162
.LBB60_814:
	s_or_b64 exec, exec, s[16:17]
	v_cmp_gt_u32_e64 s[12:13], 32, v1
	s_and_saveexec_b64 s[16:17], s[12:13]
	s_cbranch_execnz .LBB60_1163
.LBB60_815:
	s_or_b64 exec, exec, s[16:17]
	v_cmp_gt_u32_e64 s[12:13], 16, v1
	s_and_saveexec_b64 s[16:17], s[12:13]
	s_cbranch_execz .LBB60_817
.LBB60_816:
	v_lshlrev_b32_e32 v27, 3, v0
	v_mov_b32_e32 v30, 0
	ds_read_b64 v[27:28], v27 offset:24448
	ds_read_b64 v[32:33], v30 offset:16760
	s_waitcnt lgkmcnt(0)
	v_mul_f32_e32 v30, v33, v28
	v_mul_f32_e32 v28, v32, v28
	v_fma_f32 v30, v32, v27, -v30
	v_fmac_f32_e32 v28, v33, v27
	v_add_f32_e32 v29, v29, v30
	v_add_f32_e32 v31, v31, v28
.LBB60_817:
	s_or_b64 exec, exec, s[16:17]
	v_xor_b32_e32 v30, 0x80000000, v29
	v_xor_b32_e32 v29, 0x80000000, v31
.LBB60_818:
	s_or_b64 exec, exec, s[14:15]
	s_mov_b64 s[12:13], exec
	v_readlane_b32 s14, v43, 5
	v_readlane_b32 s15, v43, 6
	s_and_b64 s[14:15], s[12:13], s[14:15]
	s_mov_b64 exec, s[14:15]
	s_cbranch_execz .LBB60_820
; %bb.819:
	v_mov_b32_e32 v27, 0
	ds_read_b64 v[27:28], v27 offset:24960
	s_waitcnt lgkmcnt(0)
	v_mul_f32_e32 v31, v30, v28
	v_mul_f32_e32 v32, v29, v28
	v_fmac_f32_e32 v31, v29, v27
	v_fma_f32 v30, v30, v27, -v32
	v_mov_b32_e32 v29, v31
	ds_write_b64 v26, v[30:31]
.LBB60_820:
	s_or_b64 exec, exec, s[12:13]
	s_waitcnt lgkmcnt(0)
	s_barrier
	s_mov_b64 s[12:13], exec
	v_readlane_b32 s14, v43, 7
	v_readlane_b32 s15, v43, 8
	s_and_b64 s[14:15], s[12:13], s[14:15]
	s_mov_b64 exec, s[14:15]
	s_cbranch_execz .LBB60_822
; %bb.821:
	v_lshlrev_b32_e32 v27, 3, v25
	ds_read_b64 v[27:28], v27 offset:24960
	ds_read_b64 v[31:32], v26
	s_waitcnt lgkmcnt(0)
	v_mul_f32_e32 v33, v32, v28
	v_mul_f32_e32 v28, v31, v28
	v_fma_f32 v31, v31, v27, -v33
	v_fmac_f32_e32 v28, v32, v27
	v_add_f32_e32 v30, v30, v31
	v_add_f32_e32 v29, v29, v28
.LBB60_822:
	s_or_b64 exec, exec, s[12:13]
	s_barrier
	s_mov_b64 s[12:13], exec
	v_readlane_b32 s14, v43, 9
	v_readlane_b32 s15, v43, 10
	s_and_b64 s[14:15], s[12:13], s[14:15]
	s_mov_b64 exec, s[14:15]
	s_cbranch_execz .LBB60_824
; %bb.823:
	v_mov_b32_e32 v27, 0
	ds_read_b64 v[27:28], v27 offset:25480
	s_waitcnt lgkmcnt(0)
	v_mul_f32_e32 v31, v30, v28
	v_mul_f32_e32 v32, v29, v28
	v_fmac_f32_e32 v31, v29, v27
	v_fma_f32 v30, v30, v27, -v32
	v_mov_b32_e32 v29, v31
	ds_write_b64 v26, v[30:31]
.LBB60_824:
	s_or_b64 exec, exec, s[12:13]
	s_waitcnt lgkmcnt(0)
	s_barrier
	s_mov_b64 s[12:13], exec
	v_readlane_b32 s14, v43, 11
	v_readlane_b32 s15, v43, 12
	s_and_b64 s[14:15], s[12:13], s[14:15]
	s_mov_b64 exec, s[14:15]
	s_cbranch_execz .LBB60_826
; %bb.825:
	v_lshlrev_b32_e32 v27, 3, v25
	ds_read_b64 v[27:28], v27 offset:25472
	ds_read_b64 v[31:32], v26
	s_waitcnt lgkmcnt(0)
	v_mul_f32_e32 v33, v32, v28
	v_mul_f32_e32 v28, v31, v28
	v_fma_f32 v31, v31, v27, -v33
	v_fmac_f32_e32 v28, v32, v27
	v_add_f32_e32 v30, v30, v31
	v_add_f32_e32 v29, v29, v28
.LBB60_826:
	s_or_b64 exec, exec, s[12:13]
	s_barrier
	;; [unrolled: 40-line block ×14, first 2 shown]
	s_mov_b64 s[12:13], exec
	v_readlane_b32 s14, v43, 61
	v_readlane_b32 s15, v43, 62
	s_and_b64 s[14:15], s[12:13], s[14:15]
	s_mov_b64 exec, s[14:15]
	s_cbranch_execz .LBB60_876
; %bb.875:
	v_mov_b32_e32 v25, 0
	ds_read_b64 v[27:28], v25 offset:32240
	s_waitcnt lgkmcnt(0)
	v_mul_f32_e32 v31, v30, v28
	v_mul_f32_e32 v25, v29, v28
	v_fmac_f32_e32 v31, v29, v27
	v_fma_f32 v30, v30, v27, -v25
	v_mov_b32_e32 v29, v31
	ds_write_b64 v26, v[30:31]
.LBB60_876:
	s_or_b64 exec, exec, s[12:13]
	s_waitcnt lgkmcnt(0)
	s_barrier
	s_and_saveexec_b64 s[12:13], s[0:1]
	s_cbranch_execz .LBB60_878
; %bb.877:
	v_mov_b32_e32 v25, 0
	ds_read_b64 v[27:28], v25 offset:32248
	ds_read_b64 v[31:32], v26
	s_waitcnt lgkmcnt(0)
	v_mul_f32_e32 v25, v32, v28
	v_mul_f32_e32 v28, v31, v28
	v_fma_f32 v25, v31, v27, -v25
	v_fmac_f32_e32 v28, v32, v27
	v_add_f32_e32 v30, v30, v25
	v_add_f32_e32 v29, v29, v28
.LBB60_878:
	s_or_b64 exec, exec, s[12:13]
	s_barrier
	s_and_saveexec_b64 s[12:13], s[0:1]
	s_cbranch_execz .LBB60_880
; %bb.879:
	v_mov_b32_e32 v25, 0
	ds_read_b64 v[27:28], v25 offset:32760
	s_waitcnt lgkmcnt(0)
	v_mul_f32_e32 v31, v30, v28
	v_mul_f32_e32 v25, v29, v28
	v_fmac_f32_e32 v31, v29, v27
	v_fma_f32 v30, v30, v27, -v25
	v_mov_b32_e32 v29, v31
	ds_write_b64 v26, v[30:31]
.LBB60_880:
	s_or_b64 exec, exec, s[12:13]
	s_waitcnt lgkmcnt(0)
	s_barrier
	s_barrier
	s_and_saveexec_b64 s[0:1], s[10:11]
; %bb.881:
	v_xor_b32_e32 v25, 0x80000000, v30
	v_xor_b32_e32 v26, 0x80000000, v29
	ds_write_b64 v24, v[25:26] offset:16768
; %bb.882:
	s_or_b64 exec, exec, s[0:1]
	s_waitcnt lgkmcnt(0)
	s_barrier
	s_barrier
	s_mov_b64 s[0:1], exec
	v_readlane_b32 s10, v43, 63
	v_readlane_b32 s11, v42, 0
	s_and_b64 s[10:11], s[0:1], s[10:11]
	s_mov_b64 exec, s[10:11]
	s_cbranch_execz .LBB60_884
; %bb.883:
	v_lshlrev_b32_e32 v26, 9, v0
	ds_read_b64 v[24:25], v26 offset:16768
	s_movk_i32 s10, 0xfe08
	v_mad_i32_i24 v27, v0, s10, v26
	s_waitcnt lgkmcnt(0)
	ds_write_b64 v27, v[24:25] offset:24832
	ds_read_b64 v[24:25], v26 offset:16776
	s_waitcnt lgkmcnt(0)
	ds_write_b64 v27, v[24:25] offset:25344
	ds_read_b64 v[24:25], v26 offset:16784
	;; [unrolled: 3-line block ×15, first 2 shown]
	s_waitcnt lgkmcnt(0)
	ds_write_b64 v27, v[24:25] offset:32512
.LBB60_884:
	s_or_b64 exec, exec, s[0:1]
	s_waitcnt lgkmcnt(0)
	s_barrier
	s_and_saveexec_b64 s[0:1], vcc
	s_cbranch_execz .LBB60_886
; %bb.885:
	v_mov_b32_e32 v28, 0
	ds_read_b128 v[24:27], v28 offset:24960
	ds_read_b64 v[28:29], v28 offset:25480
	s_movk_i32 s10, 0x6000
	s_waitcnt lgkmcnt(0)
	v_mul_f32_e32 v30, v29, v25
	v_mul_f32_e32 v31, v28, v25
	v_fma_f32 v28, v28, v24, -v30
	v_fmac_f32_e32 v31, v29, v24
	v_mul_f32_e32 v24, v31, v27
	v_mul_f32_e32 v25, v28, v27
	v_fma_f32 v24, v28, v26, -v24
	v_fmac_f32_e32 v25, v31, v26
	v_add_u32_e64 v26, s10, 0
	ds_write2_b64 v26, v[24:25], v[24:25] offset0:49 offset1:112
.LBB60_886:
	s_or_b64 exec, exec, s[0:1]
	v_mov_b32_e32 v24, 0
	v_mov_b32_e32 v25, 0
	s_waitcnt lgkmcnt(0)
	s_barrier
	s_and_saveexec_b64 s[0:1], s[2:3]
	s_cbranch_execz .LBB60_890
; %bb.887:
	v_mul_u32_u24_e32 v26, 0x208, v13
	ds_read_b64 v[24:25], v11 offset:24976
	ds_read_b64 v[26:27], v26 offset:24960
	v_cmp_gt_u32_e64 s[10:11], 2, v1
	s_waitcnt lgkmcnt(0)
	v_mul_f32_e32 v28, v27, v25
	v_mul_f32_e32 v25, v26, v25
	v_fma_f32 v26, v26, v24, -v28
	v_fmac_f32_e32 v25, v27, v24
	v_add_f32_e32 v24, 0, v26
	v_add_f32_e32 v26, 0, v25
	s_and_saveexec_b64 s[12:13], s[10:11]
	s_cbranch_execz .LBB60_889
; %bb.888:
	v_lshlrev_b32_e32 v25, 3, v0
	v_mov_b32_e32 v29, 0
	ds_read_b64 v[27:28], v25 offset:25488
	ds_read_b64 v[29:30], v29 offset:24968
	s_waitcnt lgkmcnt(0)
	v_mul_f32_e32 v25, v30, v28
	v_mul_f32_e32 v28, v29, v28
	v_fma_f32 v25, v29, v27, -v25
	v_fmac_f32_e32 v28, v30, v27
	v_add_f32_e32 v24, v24, v25
	v_add_f32_e32 v26, v26, v28
.LBB60_889:
	s_or_b64 exec, exec, s[12:13]
	v_xor_b32_e32 v25, 0x80000000, v24
	v_xor_b32_e32 v24, 0x80000000, v26
.LBB60_890:
	s_or_b64 exec, exec, s[0:1]
	s_and_saveexec_b64 s[0:1], s[34:35]
	s_cbranch_execz .LBB60_892
; %bb.891:
	v_mov_b32_e32 v26, 0
	ds_read_b64 v[26:27], v26 offset:26000
	s_waitcnt lgkmcnt(0)
	v_mul_f32_e32 v29, v24, v27
	v_mul_f32_e32 v28, v25, v27
	v_fma_f32 v27, v25, v26, -v29
	v_fmac_f32_e32 v28, v24, v26
	v_mov_b32_e32 v25, v27
	v_mov_b32_e32 v24, v28
	ds_write_b64 v12, v[27:28]
.LBB60_892:
	s_or_b64 exec, exec, s[0:1]
	s_waitcnt lgkmcnt(0)
	s_barrier
	s_and_saveexec_b64 s[0:1], s[30:31]
	s_cbranch_execz .LBB60_894
; %bb.893:
	v_mov_b32_e32 v26, 0
	ds_read_b64 v[26:27], v26 offset:26008
	ds_read_b64 v[28:29], v12
	s_waitcnt lgkmcnt(0)
	v_mul_f32_e32 v30, v29, v27
	v_mul_f32_e32 v27, v28, v27
	v_fma_f32 v28, v28, v26, -v30
	v_fmac_f32_e32 v27, v29, v26
	v_add_f32_e32 v25, v25, v28
	v_add_f32_e32 v24, v24, v27
.LBB60_894:
	s_or_b64 exec, exec, s[0:1]
	s_barrier
	s_and_saveexec_b64 s[0:1], s[30:31]
	s_cbranch_execz .LBB60_896
; %bb.895:
	v_mov_b32_e32 v26, 0
	ds_read_b64 v[26:27], v26 offset:26520
	s_waitcnt lgkmcnt(0)
	v_mul_f32_e32 v29, v24, v27
	v_mul_f32_e32 v28, v25, v27
	v_fma_f32 v27, v25, v26, -v29
	v_fmac_f32_e32 v28, v24, v26
	v_mov_b32_e32 v25, v27
	v_mov_b32_e32 v24, v28
	ds_write_b64 v12, v[27:28]
.LBB60_896:
	s_or_b64 exec, exec, s[0:1]
	s_waitcnt lgkmcnt(0)
	s_barrier
	s_barrier
	s_and_saveexec_b64 s[0:1], s[2:3]
; %bb.897:
	v_xor_b32_e32 v26, 0x80000000, v24
	v_xor_b32_e32 v25, 0x80000000, v25
	ds_write_b64 v11, v[25:26] offset:24976
; %bb.898:
	s_or_b64 exec, exec, s[0:1]
	s_waitcnt lgkmcnt(0)
	s_barrier
	s_barrier
	s_and_saveexec_b64 s[0:1], s[36:37]
	s_cbranch_execz .LBB60_900
; %bb.899:
	v_lshlrev_b32_e32 v26, 3, v0
	s_movk_i32 s10, 0x1f8
	v_mad_u32_u24 v27, v0, s10, v26
	ds_read_b64 v[24:25], v27 offset:24976
	s_waitcnt lgkmcnt(0)
	ds_write_b64 v26, v[24:25] offset:25984
	ds_read_b64 v[24:25], v27 offset:24984
	s_waitcnt lgkmcnt(0)
	ds_write_b64 v26, v[24:25] offset:26496
.LBB60_900:
	s_or_b64 exec, exec, s[0:1]
	s_waitcnt lgkmcnt(0)
	s_barrier
	s_and_saveexec_b64 s[0:1], vcc
	s_cbranch_execz .LBB60_902
; %bb.901:
	v_mov_b32_e32 v28, 0
	ds_read_b128 v[24:27], v28 offset:26000
	ds_read_b64 v[28:29], v28 offset:26520
	s_movk_i32 s10, 0x6000
	s_waitcnt lgkmcnt(0)
	v_mul_f32_e32 v30, v29, v25
	v_mul_f32_e32 v31, v28, v25
	v_fma_f32 v28, v28, v24, -v30
	v_fmac_f32_e32 v31, v29, v24
	v_mul_f32_e32 v24, v31, v27
	v_mul_f32_e32 v25, v28, v27
	v_fma_f32 v24, v28, v26, -v24
	v_fmac_f32_e32 v25, v31, v26
	v_add_u32_e64 v26, s10, 0
	ds_write2_b64 v26, v[24:25], v[24:25] offset0:179 offset1:242
.LBB60_902:
	s_or_b64 exec, exec, s[0:1]
	v_mov_b32_e32 v24, 0
	v_mov_b32_e32 v25, 0
	s_waitcnt lgkmcnt(0)
	s_barrier
	s_and_saveexec_b64 s[0:1], s[18:19]
	s_cbranch_execz .LBB60_908
; %bb.903:
	v_mul_u32_u24_e32 v25, 0x208, v18
	ds_read_b64 v[26:27], v14 offset:24992
	ds_read_b64 v[28:29], v25 offset:24960
	v_cmp_gt_u32_e64 s[10:11], 12, v1
	s_waitcnt lgkmcnt(0)
	v_mul_f32_e32 v24, v29, v27
	v_mul_f32_e32 v27, v28, v27
	v_fma_f32 v24, v28, v26, -v24
	v_fmac_f32_e32 v27, v29, v26
	v_add_f32_e32 v24, 0, v24
	v_add_f32_e32 v26, 0, v27
	s_and_saveexec_b64 s[12:13], s[10:11]
	s_cbranch_execnz .LBB60_1164
; %bb.904:
	s_or_b64 exec, exec, s[12:13]
	v_cmp_gt_u32_e64 s[10:11], 8, v1
	s_and_saveexec_b64 s[12:13], s[10:11]
	s_cbranch_execnz .LBB60_1165
.LBB60_905:
	s_or_b64 exec, exec, s[12:13]
	v_cmp_gt_u32_e64 s[10:11], 4, v1
	s_and_saveexec_b64 s[12:13], s[10:11]
	s_cbranch_execz .LBB60_907
.LBB60_906:
	v_lshlrev_b32_e32 v25, 3, v0
	v_mov_b32_e32 v29, 0
	ds_read_b64 v[27:28], v25 offset:26528
	ds_read_b64 v[29:30], v29 offset:24984
	s_waitcnt lgkmcnt(0)
	v_mul_f32_e32 v25, v30, v28
	v_mul_f32_e32 v28, v29, v28
	v_fma_f32 v25, v29, v27, -v25
	v_fmac_f32_e32 v28, v30, v27
	v_add_f32_e32 v24, v24, v25
	v_add_f32_e32 v26, v26, v28
.LBB60_907:
	s_or_b64 exec, exec, s[12:13]
	v_xor_b32_e32 v25, 0x80000000, v24
	v_xor_b32_e32 v24, 0x80000000, v26
.LBB60_908:
	s_or_b64 exec, exec, s[0:1]
	s_and_saveexec_b64 s[0:1], s[42:43]
	s_cbranch_execz .LBB60_910
; %bb.909:
	v_mov_b32_e32 v26, 0
	ds_read_b64 v[26:27], v26 offset:27040
	s_waitcnt lgkmcnt(0)
	v_mul_f32_e32 v29, v24, v27
	v_mul_f32_e32 v28, v25, v27
	v_fma_f32 v27, v25, v26, -v29
	v_fmac_f32_e32 v28, v24, v26
	v_mov_b32_e32 v25, v27
	v_mov_b32_e32 v24, v28
	ds_write_b64 v16, v[27:28]
.LBB60_910:
	s_or_b64 exec, exec, s[0:1]
	s_waitcnt lgkmcnt(0)
	s_barrier
	s_and_saveexec_b64 s[0:1], s[44:45]
	s_cbranch_execz .LBB60_912
; %bb.911:
	ds_read_b64 v[26:27], v15 offset:27040
	ds_read_b64 v[28:29], v16
	s_waitcnt lgkmcnt(0)
	v_mul_f32_e32 v30, v29, v27
	v_mul_f32_e32 v27, v28, v27
	v_fma_f32 v28, v28, v26, -v30
	v_fmac_f32_e32 v27, v29, v26
	v_add_f32_e32 v25, v25, v28
	v_add_f32_e32 v24, v24, v27
.LBB60_912:
	s_or_b64 exec, exec, s[0:1]
	s_barrier
	s_and_saveexec_b64 s[0:1], s[52:53]
	s_cbranch_execz .LBB60_914
; %bb.913:
	v_mov_b32_e32 v26, 0
	ds_read_b64 v[26:27], v26 offset:27560
	s_waitcnt lgkmcnt(0)
	v_mul_f32_e32 v29, v24, v27
	v_mul_f32_e32 v28, v25, v27
	v_fma_f32 v27, v25, v26, -v29
	v_fmac_f32_e32 v28, v24, v26
	v_mov_b32_e32 v25, v27
	v_mov_b32_e32 v24, v28
	ds_write_b64 v16, v[27:28]
.LBB60_914:
	s_or_b64 exec, exec, s[0:1]
	s_waitcnt lgkmcnt(0)
	s_barrier
	s_and_saveexec_b64 s[0:1], s[54:55]
	s_cbranch_execz .LBB60_916
; %bb.915:
	ds_read_b64 v[26:27], v15 offset:27552
	ds_read_b64 v[28:29], v16
	s_waitcnt lgkmcnt(0)
	v_mul_f32_e32 v30, v29, v27
	v_mul_f32_e32 v27, v28, v27
	v_fma_f32 v28, v28, v26, -v30
	v_fmac_f32_e32 v27, v29, v26
	v_add_f32_e32 v25, v25, v28
	v_add_f32_e32 v24, v24, v27
.LBB60_916:
	s_or_b64 exec, exec, s[0:1]
	s_barrier
	s_and_saveexec_b64 s[0:1], s[56:57]
	s_cbranch_execz .LBB60_918
; %bb.917:
	v_mov_b32_e32 v26, 0
	ds_read_b64 v[26:27], v26 offset:28080
	s_waitcnt lgkmcnt(0)
	v_mul_f32_e32 v29, v24, v27
	v_mul_f32_e32 v28, v25, v27
	v_fma_f32 v27, v25, v26, -v29
	v_fmac_f32_e32 v28, v24, v26
	v_mov_b32_e32 v25, v27
	v_mov_b32_e32 v24, v28
	ds_write_b64 v16, v[27:28]
.LBB60_918:
	s_or_b64 exec, exec, s[0:1]
	s_waitcnt lgkmcnt(0)
	s_barrier
	s_and_saveexec_b64 s[0:1], s[38:39]
	s_cbranch_execz .LBB60_920
; %bb.919:
	v_mov_b32_e32 v26, 0
	ds_read_b64 v[26:27], v26 offset:28088
	ds_read_b64 v[28:29], v16
	s_waitcnt lgkmcnt(0)
	v_mul_f32_e32 v30, v29, v27
	v_mul_f32_e32 v27, v28, v27
	v_fma_f32 v28, v28, v26, -v30
	v_fmac_f32_e32 v27, v29, v26
	v_add_f32_e32 v25, v25, v28
	v_add_f32_e32 v24, v24, v27
.LBB60_920:
	s_or_b64 exec, exec, s[0:1]
	s_barrier
	s_and_saveexec_b64 s[0:1], s[38:39]
	s_cbranch_execz .LBB60_922
; %bb.921:
	v_mov_b32_e32 v26, 0
	ds_read_b64 v[26:27], v26 offset:28600
	s_waitcnt lgkmcnt(0)
	v_mul_f32_e32 v29, v24, v27
	v_mul_f32_e32 v28, v25, v27
	v_fma_f32 v27, v25, v26, -v29
	v_fmac_f32_e32 v28, v24, v26
	v_mov_b32_e32 v25, v27
	v_mov_b32_e32 v24, v28
	ds_write_b64 v16, v[27:28]
.LBB60_922:
	s_or_b64 exec, exec, s[0:1]
	s_waitcnt lgkmcnt(0)
	s_barrier
	s_barrier
	s_and_saveexec_b64 s[0:1], s[18:19]
; %bb.923:
	v_xor_b32_e32 v25, 0x80000000, v25
	v_xor_b32_e32 v26, 0x80000000, v24
	ds_write_b64 v14, v[25:26] offset:24992
; %bb.924:
	s_or_b64 exec, exec, s[0:1]
	s_waitcnt lgkmcnt(0)
	s_barrier
	s_barrier
	s_and_saveexec_b64 s[0:1], s[58:59]
	s_cbranch_execz .LBB60_926
; %bb.925:
	v_lshlrev_b32_e32 v26, 9, v0
	ds_read_b64 v[24:25], v26 offset:24992
	s_movk_i32 s10, 0xfe08
	v_mad_i32_i24 v27, v0, s10, v26
	s_waitcnt lgkmcnt(0)
	ds_write_b64 v27, v[24:25] offset:27008
	ds_read_b64 v[24:25], v26 offset:25000
	s_waitcnt lgkmcnt(0)
	ds_write_b64 v27, v[24:25] offset:27520
	ds_read_b64 v[24:25], v26 offset:25008
	s_waitcnt lgkmcnt(0)
	ds_write_b64 v27, v[24:25] offset:28032
	ds_read_b64 v[24:25], v26 offset:25016
	s_waitcnt lgkmcnt(0)
	ds_write_b64 v27, v[24:25] offset:28544
.LBB60_926:
	s_or_b64 exec, exec, s[0:1]
	s_waitcnt lgkmcnt(0)
	s_barrier
	s_and_saveexec_b64 s[0:1], vcc
	s_cbranch_execz .LBB60_928
; %bb.927:
	v_mov_b32_e32 v28, 0
	ds_read_b128 v[24:27], v28 offset:27040
	ds_read_b64 v[28:29], v28 offset:27560
	s_movk_i32 s10, 0x6800
	s_waitcnt lgkmcnt(0)
	v_mul_f32_e32 v30, v29, v25
	v_mul_f32_e32 v31, v28, v25
	v_fma_f32 v28, v28, v24, -v30
	v_fmac_f32_e32 v31, v29, v24
	v_mul_f32_e32 v24, v31, v27
	v_mul_f32_e32 v25, v28, v27
	v_fma_f32 v24, v28, v26, -v24
	v_fmac_f32_e32 v25, v31, v26
	v_add_u32_e64 v26, s10, 0
	ds_write2_b64 v26, v[24:25], v[24:25] offset0:53 offset1:116
.LBB60_928:
	s_or_b64 exec, exec, s[0:1]
	v_mov_b32_e32 v24, 0
	v_mov_b32_e32 v25, 0
	s_waitcnt lgkmcnt(0)
	s_barrier
	s_and_saveexec_b64 s[0:1], s[2:3]
	s_cbranch_execz .LBB60_932
; %bb.929:
	v_mul_u32_u24_e32 v26, 0x208, v13
	ds_read_b64 v[24:25], v11 offset:27056
	ds_read_b64 v[26:27], v26 offset:27040
	v_cmp_gt_u32_e64 s[10:11], 2, v1
	s_waitcnt lgkmcnt(0)
	v_mul_f32_e32 v28, v27, v25
	v_mul_f32_e32 v25, v26, v25
	v_fma_f32 v26, v26, v24, -v28
	v_fmac_f32_e32 v25, v27, v24
	v_add_f32_e32 v24, 0, v26
	v_add_f32_e32 v26, 0, v25
	s_and_saveexec_b64 s[12:13], s[10:11]
	s_cbranch_execz .LBB60_931
; %bb.930:
	v_lshlrev_b32_e32 v25, 3, v0
	v_mov_b32_e32 v29, 0
	ds_read_b64 v[27:28], v25 offset:27568
	ds_read_b64 v[29:30], v29 offset:27048
	s_waitcnt lgkmcnt(0)
	v_mul_f32_e32 v25, v30, v28
	v_mul_f32_e32 v28, v29, v28
	v_fma_f32 v25, v29, v27, -v25
	v_fmac_f32_e32 v28, v30, v27
	v_add_f32_e32 v24, v24, v25
	v_add_f32_e32 v26, v26, v28
.LBB60_931:
	s_or_b64 exec, exec, s[12:13]
	v_xor_b32_e32 v25, 0x80000000, v24
	v_xor_b32_e32 v24, 0x80000000, v26
.LBB60_932:
	s_or_b64 exec, exec, s[0:1]
	s_and_saveexec_b64 s[0:1], s[34:35]
	s_cbranch_execz .LBB60_934
; %bb.933:
	v_mov_b32_e32 v26, 0
	ds_read_b64 v[26:27], v26 offset:28080
	s_waitcnt lgkmcnt(0)
	v_mul_f32_e32 v29, v24, v27
	v_mul_f32_e32 v28, v25, v27
	v_fma_f32 v27, v25, v26, -v29
	v_fmac_f32_e32 v28, v24, v26
	v_mov_b32_e32 v25, v27
	v_mov_b32_e32 v24, v28
	ds_write_b64 v12, v[27:28]
.LBB60_934:
	s_or_b64 exec, exec, s[0:1]
	s_waitcnt lgkmcnt(0)
	s_barrier
	s_and_saveexec_b64 s[0:1], s[30:31]
	s_cbranch_execz .LBB60_936
; %bb.935:
	v_mov_b32_e32 v26, 0
	ds_read_b64 v[26:27], v26 offset:28088
	ds_read_b64 v[28:29], v12
	s_waitcnt lgkmcnt(0)
	v_mul_f32_e32 v30, v29, v27
	v_mul_f32_e32 v27, v28, v27
	v_fma_f32 v28, v28, v26, -v30
	v_fmac_f32_e32 v27, v29, v26
	v_add_f32_e32 v25, v25, v28
	v_add_f32_e32 v24, v24, v27
.LBB60_936:
	s_or_b64 exec, exec, s[0:1]
	s_barrier
	s_and_saveexec_b64 s[0:1], s[30:31]
	s_cbranch_execz .LBB60_938
; %bb.937:
	v_mov_b32_e32 v26, 0
	ds_read_b64 v[26:27], v26 offset:28600
	s_waitcnt lgkmcnt(0)
	v_mul_f32_e32 v29, v24, v27
	v_mul_f32_e32 v28, v25, v27
	v_fma_f32 v27, v25, v26, -v29
	v_fmac_f32_e32 v28, v24, v26
	v_mov_b32_e32 v25, v27
	v_mov_b32_e32 v24, v28
	ds_write_b64 v12, v[27:28]
.LBB60_938:
	s_or_b64 exec, exec, s[0:1]
	s_waitcnt lgkmcnt(0)
	s_barrier
	s_barrier
	s_and_saveexec_b64 s[0:1], s[2:3]
; %bb.939:
	v_xor_b32_e32 v26, 0x80000000, v24
	v_xor_b32_e32 v25, 0x80000000, v25
	ds_write_b64 v11, v[25:26] offset:27056
; %bb.940:
	s_or_b64 exec, exec, s[0:1]
	s_waitcnt lgkmcnt(0)
	s_barrier
	s_barrier
	s_and_saveexec_b64 s[0:1], s[36:37]
	s_cbranch_execz .LBB60_942
; %bb.941:
	v_lshlrev_b32_e32 v26, 3, v0
	s_movk_i32 s10, 0x1f8
	v_mad_u32_u24 v27, v0, s10, v26
	ds_read_b64 v[24:25], v27 offset:27056
	s_waitcnt lgkmcnt(0)
	ds_write_b64 v26, v[24:25] offset:28064
	ds_read_b64 v[24:25], v27 offset:27064
	s_waitcnt lgkmcnt(0)
	ds_write_b64 v26, v[24:25] offset:28576
.LBB60_942:
	s_or_b64 exec, exec, s[0:1]
	s_waitcnt lgkmcnt(0)
	s_barrier
	s_and_saveexec_b64 s[0:1], vcc
	s_cbranch_execz .LBB60_944
; %bb.943:
	v_mov_b32_e32 v28, 0
	ds_read_b128 v[24:27], v28 offset:28080
	ds_read_b64 v[28:29], v28 offset:28600
	s_movk_i32 s10, 0x6800
	s_waitcnt lgkmcnt(0)
	v_mul_f32_e32 v30, v29, v25
	v_mul_f32_e32 v31, v28, v25
	v_fma_f32 v28, v28, v24, -v30
	v_fmac_f32_e32 v31, v29, v24
	v_mul_f32_e32 v24, v31, v27
	v_mul_f32_e32 v25, v28, v27
	v_fma_f32 v24, v28, v26, -v24
	v_fmac_f32_e32 v25, v31, v26
	v_add_u32_e64 v26, s10, 0
	ds_write2_b64 v26, v[24:25], v[24:25] offset0:183 offset1:246
.LBB60_944:
	s_or_b64 exec, exec, s[0:1]
	v_mov_b32_e32 v24, 0
	v_mov_b32_e32 v25, 0
	s_waitcnt lgkmcnt(0)
	s_barrier
	s_and_saveexec_b64 s[0:1], s[8:9]
	s_cbranch_execz .LBB60_954
; %bb.945:
	v_mul_u32_u24_e32 v25, 0x208, v23
	ds_read_b64 v[26:27], v19 offset:25024
	ds_read_b64 v[28:29], v25 offset:24960
	v_cmp_gt_u32_e64 s[10:11], 56, v1
	s_waitcnt lgkmcnt(0)
	v_mul_f32_e32 v24, v29, v27
	v_mul_f32_e32 v27, v28, v27
	v_fma_f32 v24, v28, v26, -v24
	v_fmac_f32_e32 v27, v29, v26
	v_add_f32_e32 v24, 0, v24
	v_add_f32_e32 v26, 0, v27
	s_and_saveexec_b64 s[12:13], s[10:11]
	s_cbranch_execnz .LBB60_1166
; %bb.946:
	s_or_b64 exec, exec, s[12:13]
	v_cmp_gt_u32_e64 s[10:11], 48, v1
	s_and_saveexec_b64 s[12:13], s[10:11]
	s_cbranch_execnz .LBB60_1167
.LBB60_947:
	s_or_b64 exec, exec, s[12:13]
	v_cmp_gt_u32_e64 s[10:11], 40, v1
	s_and_saveexec_b64 s[12:13], s[10:11]
	s_cbranch_execnz .LBB60_1168
.LBB60_948:
	s_or_b64 exec, exec, s[12:13]
	v_cmp_gt_u32_e64 s[10:11], 32, v1
	s_and_saveexec_b64 s[12:13], s[10:11]
	s_cbranch_execnz .LBB60_1169
.LBB60_949:
	s_or_b64 exec, exec, s[12:13]
	v_cmp_gt_u32_e64 s[10:11], 24, v1
	s_and_saveexec_b64 s[12:13], s[10:11]
	s_cbranch_execnz .LBB60_1170
.LBB60_950:
	s_or_b64 exec, exec, s[12:13]
	v_cmp_gt_u32_e64 s[10:11], 16, v1
	s_and_saveexec_b64 s[12:13], s[10:11]
	s_cbranch_execnz .LBB60_1171
.LBB60_951:
	s_or_b64 exec, exec, s[12:13]
	v_cmp_gt_u32_e64 s[10:11], 8, v1
	s_and_saveexec_b64 s[12:13], s[10:11]
	s_cbranch_execz .LBB60_953
.LBB60_952:
	v_lshlrev_b32_e32 v22, 3, v0
	v_mov_b32_e32 v25, 0
	ds_read_b64 v[22:23], v22 offset:28608
	ds_read_b64 v[27:28], v25 offset:25016
	s_waitcnt lgkmcnt(0)
	v_mul_f32_e32 v25, v28, v23
	v_mul_f32_e32 v23, v27, v23
	v_fma_f32 v25, v27, v22, -v25
	v_fmac_f32_e32 v23, v28, v22
	v_add_f32_e32 v24, v24, v25
	v_add_f32_e32 v26, v26, v23
.LBB60_953:
	s_or_b64 exec, exec, s[12:13]
	v_xor_b32_e32 v25, 0x80000000, v24
	v_xor_b32_e32 v24, 0x80000000, v26
.LBB60_954:
	s_or_b64 exec, exec, s[0:1]
	s_and_saveexec_b64 s[0:1], s[62:63]
	s_cbranch_execz .LBB60_956
; %bb.955:
	v_mov_b32_e32 v22, 0
	ds_read_b64 v[22:23], v22 offset:29120
	s_waitcnt lgkmcnt(0)
	v_mul_f32_e32 v26, v25, v23
	v_mul_f32_e32 v27, v24, v23
	v_fmac_f32_e32 v26, v24, v22
	v_fma_f32 v25, v25, v22, -v27
	v_mov_b32_e32 v24, v26
	ds_write_b64 v21, v[25:26]
.LBB60_956:
	s_or_b64 exec, exec, s[0:1]
	s_waitcnt lgkmcnt(0)
	s_barrier
	s_and_saveexec_b64 s[0:1], s[64:65]
	v_readlane_b32 s62, v43, 3
	v_readlane_b32 s63, v43, 4
	s_cbranch_execz .LBB60_958
; %bb.957:
	ds_read_b64 v[22:23], v20 offset:29120
	ds_read_b64 v[26:27], v21
	s_waitcnt lgkmcnt(0)
	v_mul_f32_e32 v28, v27, v23
	v_mul_f32_e32 v23, v26, v23
	v_fma_f32 v26, v26, v22, -v28
	v_fmac_f32_e32 v23, v27, v22
	v_add_f32_e32 v25, v25, v26
	v_add_f32_e32 v24, v24, v23
.LBB60_958:
	s_or_b64 exec, exec, s[0:1]
	s_barrier
	s_and_saveexec_b64 s[0:1], s[66:67]
	s_cbranch_execz .LBB60_960
; %bb.959:
	v_mov_b32_e32 v22, 0
	ds_read_b64 v[22:23], v22 offset:29640
	s_waitcnt lgkmcnt(0)
	v_mul_f32_e32 v26, v25, v23
	v_mul_f32_e32 v27, v24, v23
	v_fmac_f32_e32 v26, v24, v22
	v_fma_f32 v25, v25, v22, -v27
	v_mov_b32_e32 v24, v26
	ds_write_b64 v21, v[25:26]
.LBB60_960:
	s_or_b64 exec, exec, s[0:1]
	s_waitcnt lgkmcnt(0)
	s_barrier
	s_and_saveexec_b64 s[0:1], s[68:69]
	s_cbranch_execz .LBB60_962
; %bb.961:
	ds_read_b64 v[22:23], v20 offset:29632
	ds_read_b64 v[26:27], v21
	s_waitcnt lgkmcnt(0)
	v_mul_f32_e32 v28, v27, v23
	v_mul_f32_e32 v23, v26, v23
	v_fma_f32 v26, v26, v22, -v28
	v_fmac_f32_e32 v23, v27, v22
	v_add_f32_e32 v25, v25, v26
	v_add_f32_e32 v24, v24, v23
.LBB60_962:
	s_or_b64 exec, exec, s[0:1]
	s_barrier
	s_and_saveexec_b64 s[0:1], s[70:71]
	s_cbranch_execz .LBB60_964
; %bb.963:
	v_mov_b32_e32 v22, 0
	ds_read_b64 v[22:23], v22 offset:30160
	s_waitcnt lgkmcnt(0)
	v_mul_f32_e32 v26, v25, v23
	v_mul_f32_e32 v27, v24, v23
	v_fmac_f32_e32 v26, v24, v22
	v_fma_f32 v25, v25, v22, -v27
	v_mov_b32_e32 v24, v26
	ds_write_b64 v21, v[25:26]
.LBB60_964:
	s_or_b64 exec, exec, s[0:1]
	s_waitcnt lgkmcnt(0)
	s_barrier
	s_and_saveexec_b64 s[0:1], s[72:73]
	;; [unrolled: 31-line block ×6, first 2 shown]
	s_cbranch_execz .LBB60_982
; %bb.981:
	v_mov_b32_e32 v20, 0
	ds_read_b64 v[22:23], v20 offset:32248
	ds_read_b64 v[26:27], v21
	s_waitcnt lgkmcnt(0)
	v_mul_f32_e32 v20, v27, v23
	v_mul_f32_e32 v23, v26, v23
	v_fma_f32 v20, v26, v22, -v20
	v_fmac_f32_e32 v23, v27, v22
	v_add_f32_e32 v25, v25, v20
	v_add_f32_e32 v24, v24, v23
.LBB60_982:
	s_or_b64 exec, exec, s[0:1]
	s_barrier
	s_and_saveexec_b64 s[0:1], s[60:61]
	s_cbranch_execz .LBB60_984
; %bb.983:
	v_mov_b32_e32 v20, 0
	ds_read_b64 v[22:23], v20 offset:32760
	s_waitcnt lgkmcnt(0)
	v_mul_f32_e32 v26, v25, v23
	v_mul_f32_e32 v20, v24, v23
	v_fmac_f32_e32 v26, v24, v22
	v_fma_f32 v25, v25, v22, -v20
	v_mov_b32_e32 v24, v26
	ds_write_b64 v21, v[25:26]
.LBB60_984:
	s_or_b64 exec, exec, s[0:1]
	s_waitcnt lgkmcnt(0)
	s_barrier
	s_barrier
	s_and_saveexec_b64 s[0:1], s[8:9]
; %bb.985:
	v_xor_b32_e32 v21, 0x80000000, v24
	v_xor_b32_e32 v20, 0x80000000, v25
	ds_write_b64 v19, v[20:21] offset:25024
; %bb.986:
	s_or_b64 exec, exec, s[0:1]
	s_waitcnt lgkmcnt(0)
	s_barrier
	s_barrier
	s_and_saveexec_b64 s[0:1], s[88:89]
	s_cbranch_execz .LBB60_988
; %bb.987:
	v_lshlrev_b32_e32 v21, 9, v0
	ds_read_b64 v[19:20], v21 offset:25024
	s_movk_i32 s8, 0xfe08
	v_mad_i32_i24 v22, v0, s8, v21
	s_waitcnt lgkmcnt(0)
	ds_write_b64 v22, v[19:20] offset:29056
	ds_read_b64 v[19:20], v21 offset:25032
	s_waitcnt lgkmcnt(0)
	ds_write_b64 v22, v[19:20] offset:29568
	ds_read_b64 v[19:20], v21 offset:25040
	s_waitcnt lgkmcnt(0)
	ds_write_b64 v22, v[19:20] offset:30080
	ds_read_b64 v[19:20], v21 offset:25048
	s_waitcnt lgkmcnt(0)
	ds_write_b64 v22, v[19:20] offset:30592
	ds_read_b64 v[19:20], v21 offset:25056
	s_waitcnt lgkmcnt(0)
	ds_write_b64 v22, v[19:20] offset:31104
	ds_read_b64 v[19:20], v21 offset:25064
	s_waitcnt lgkmcnt(0)
	ds_write_b64 v22, v[19:20] offset:31616
	ds_read_b64 v[19:20], v21 offset:25072
	s_waitcnt lgkmcnt(0)
	ds_write_b64 v22, v[19:20] offset:32128
	ds_read_b64 v[19:20], v21 offset:25080
	s_waitcnt lgkmcnt(0)
	ds_write_b64 v22, v[19:20] offset:32640
.LBB60_988:
	s_or_b64 exec, exec, s[0:1]
	s_waitcnt lgkmcnt(0)
	s_barrier
	s_and_saveexec_b64 s[0:1], vcc
	s_cbranch_execz .LBB60_990
; %bb.989:
	v_mov_b32_e32 v23, 0
	ds_read_b128 v[19:22], v23 offset:29120
	ds_read_b64 v[23:24], v23 offset:29640
	s_movk_i32 s8, 0x7000
	s_waitcnt lgkmcnt(0)
	v_mul_f32_e32 v25, v24, v20
	v_mul_f32_e32 v26, v23, v20
	v_fma_f32 v23, v23, v19, -v25
	v_fmac_f32_e32 v26, v24, v19
	v_mul_f32_e32 v19, v26, v22
	v_mul_f32_e32 v20, v23, v22
	v_fma_f32 v19, v23, v21, -v19
	v_fmac_f32_e32 v20, v26, v21
	v_add_u32_e64 v21, s8, 0
	ds_write2_b64 v21, v[19:20], v[19:20] offset0:57 offset1:120
.LBB60_990:
	s_or_b64 exec, exec, s[0:1]
	v_mov_b32_e32 v19, 0
	v_mov_b32_e32 v20, 0
	s_waitcnt lgkmcnt(0)
	s_barrier
	s_and_saveexec_b64 s[0:1], s[2:3]
	s_cbranch_execz .LBB60_994
; %bb.991:
	v_mul_u32_u24_e32 v21, 0x208, v13
	ds_read_b64 v[19:20], v11 offset:29136
	ds_read_b64 v[21:22], v21 offset:29120
	v_cmp_gt_u32_e64 s[8:9], 2, v1
	s_waitcnt lgkmcnt(0)
	v_mul_f32_e32 v23, v22, v20
	v_mul_f32_e32 v20, v21, v20
	v_fma_f32 v21, v21, v19, -v23
	v_fmac_f32_e32 v20, v22, v19
	v_add_f32_e32 v19, 0, v21
	v_add_f32_e32 v21, 0, v20
	s_and_saveexec_b64 s[10:11], s[8:9]
	s_cbranch_execz .LBB60_993
; %bb.992:
	v_lshlrev_b32_e32 v20, 3, v0
	v_mov_b32_e32 v24, 0
	ds_read_b64 v[22:23], v20 offset:29648
	ds_read_b64 v[24:25], v24 offset:29128
	s_waitcnt lgkmcnt(0)
	v_mul_f32_e32 v20, v25, v23
	v_mul_f32_e32 v23, v24, v23
	v_fma_f32 v20, v24, v22, -v20
	v_fmac_f32_e32 v23, v25, v22
	v_add_f32_e32 v19, v19, v20
	v_add_f32_e32 v21, v21, v23
.LBB60_993:
	s_or_b64 exec, exec, s[10:11]
	v_xor_b32_e32 v20, 0x80000000, v19
	v_xor_b32_e32 v19, 0x80000000, v21
.LBB60_994:
	s_or_b64 exec, exec, s[0:1]
	s_and_saveexec_b64 s[0:1], s[34:35]
	s_cbranch_execz .LBB60_996
; %bb.995:
	v_mov_b32_e32 v21, 0
	ds_read_b64 v[21:22], v21 offset:30160
	s_waitcnt lgkmcnt(0)
	v_mul_f32_e32 v24, v19, v22
	v_mul_f32_e32 v23, v20, v22
	v_fma_f32 v22, v20, v21, -v24
	v_fmac_f32_e32 v23, v19, v21
	v_mov_b32_e32 v20, v22
	v_mov_b32_e32 v19, v23
	ds_write_b64 v12, v[22:23]
.LBB60_996:
	s_or_b64 exec, exec, s[0:1]
	s_waitcnt lgkmcnt(0)
	s_barrier
	s_and_saveexec_b64 s[0:1], s[30:31]
	s_cbranch_execz .LBB60_998
; %bb.997:
	v_mov_b32_e32 v21, 0
	ds_read_b64 v[21:22], v21 offset:30168
	ds_read_b64 v[23:24], v12
	s_waitcnt lgkmcnt(0)
	v_mul_f32_e32 v25, v24, v22
	v_mul_f32_e32 v22, v23, v22
	v_fma_f32 v23, v23, v21, -v25
	v_fmac_f32_e32 v22, v24, v21
	v_add_f32_e32 v20, v20, v23
	v_add_f32_e32 v19, v19, v22
.LBB60_998:
	s_or_b64 exec, exec, s[0:1]
	s_barrier
	s_and_saveexec_b64 s[0:1], s[30:31]
	s_cbranch_execz .LBB60_1000
; %bb.999:
	v_mov_b32_e32 v21, 0
	ds_read_b64 v[21:22], v21 offset:30680
	s_waitcnt lgkmcnt(0)
	v_mul_f32_e32 v24, v19, v22
	v_mul_f32_e32 v23, v20, v22
	v_fma_f32 v22, v20, v21, -v24
	v_fmac_f32_e32 v23, v19, v21
	v_mov_b32_e32 v20, v22
	v_mov_b32_e32 v19, v23
	ds_write_b64 v12, v[22:23]
.LBB60_1000:
	s_or_b64 exec, exec, s[0:1]
	s_waitcnt lgkmcnt(0)
	s_barrier
	s_barrier
	s_and_saveexec_b64 s[0:1], s[2:3]
; %bb.1001:
	v_xor_b32_e32 v21, 0x80000000, v19
	v_xor_b32_e32 v20, 0x80000000, v20
	ds_write_b64 v11, v[20:21] offset:29136
; %bb.1002:
	s_or_b64 exec, exec, s[0:1]
	s_waitcnt lgkmcnt(0)
	s_barrier
	s_barrier
	s_and_saveexec_b64 s[0:1], s[36:37]
	s_cbranch_execz .LBB60_1004
; %bb.1003:
	v_lshlrev_b32_e32 v21, 3, v0
	s_movk_i32 s8, 0x1f8
	v_mad_u32_u24 v22, v0, s8, v21
	ds_read_b64 v[19:20], v22 offset:29136
	s_waitcnt lgkmcnt(0)
	ds_write_b64 v21, v[19:20] offset:30144
	ds_read_b64 v[19:20], v22 offset:29144
	s_waitcnt lgkmcnt(0)
	ds_write_b64 v21, v[19:20] offset:30656
.LBB60_1004:
	s_or_b64 exec, exec, s[0:1]
	s_waitcnt lgkmcnt(0)
	s_barrier
	s_and_saveexec_b64 s[0:1], vcc
	s_cbranch_execz .LBB60_1006
; %bb.1005:
	v_mov_b32_e32 v23, 0
	ds_read_b128 v[19:22], v23 offset:30160
	ds_read_b64 v[23:24], v23 offset:30680
	s_movk_i32 s8, 0x7000
	s_waitcnt lgkmcnt(0)
	v_mul_f32_e32 v25, v24, v20
	v_mul_f32_e32 v26, v23, v20
	v_fma_f32 v23, v23, v19, -v25
	v_fmac_f32_e32 v26, v24, v19
	v_mul_f32_e32 v19, v26, v22
	v_mul_f32_e32 v20, v23, v22
	v_fma_f32 v19, v23, v21, -v19
	v_fmac_f32_e32 v20, v26, v21
	v_add_u32_e64 v21, s8, 0
	ds_write2_b64 v21, v[19:20], v[19:20] offset0:187 offset1:250
.LBB60_1006:
	s_or_b64 exec, exec, s[0:1]
	v_mov_b32_e32 v19, 0
	v_mov_b32_e32 v20, 0
	s_waitcnt lgkmcnt(0)
	s_barrier
	s_and_saveexec_b64 s[0:1], s[18:19]
	s_cbranch_execz .LBB60_1012
; %bb.1007:
	v_mul_u32_u24_e32 v20, 0x208, v18
	ds_read_b64 v[21:22], v14 offset:29152
	ds_read_b64 v[23:24], v20 offset:29120
	v_cmp_gt_u32_e64 s[8:9], 12, v1
	s_waitcnt lgkmcnt(0)
	v_mul_f32_e32 v19, v24, v22
	v_mul_f32_e32 v22, v23, v22
	v_fma_f32 v19, v23, v21, -v19
	v_fmac_f32_e32 v22, v24, v21
	v_add_f32_e32 v19, 0, v19
	v_add_f32_e32 v21, 0, v22
	s_and_saveexec_b64 s[10:11], s[8:9]
	s_cbranch_execnz .LBB60_1172
; %bb.1008:
	s_or_b64 exec, exec, s[10:11]
	v_cmp_gt_u32_e64 s[8:9], 8, v1
	s_and_saveexec_b64 s[10:11], s[8:9]
	s_cbranch_execnz .LBB60_1173
.LBB60_1009:
	s_or_b64 exec, exec, s[10:11]
	v_cmp_gt_u32_e64 s[8:9], 4, v1
	s_and_saveexec_b64 s[10:11], s[8:9]
	s_cbranch_execz .LBB60_1011
.LBB60_1010:
	v_lshlrev_b32_e32 v17, 3, v0
	v_mov_b32_e32 v20, 0
	ds_read_b64 v[17:18], v17 offset:30688
	ds_read_b64 v[22:23], v20 offset:29144
	s_waitcnt lgkmcnt(0)
	v_mul_f32_e32 v20, v23, v18
	v_mul_f32_e32 v18, v22, v18
	v_fma_f32 v20, v22, v17, -v20
	v_fmac_f32_e32 v18, v23, v17
	v_add_f32_e32 v19, v19, v20
	v_add_f32_e32 v21, v21, v18
.LBB60_1011:
	s_or_b64 exec, exec, s[10:11]
	v_xor_b32_e32 v20, 0x80000000, v19
	v_xor_b32_e32 v19, 0x80000000, v21
.LBB60_1012:
	s_or_b64 exec, exec, s[0:1]
	s_and_saveexec_b64 s[0:1], s[42:43]
	s_cbranch_execz .LBB60_1014
; %bb.1013:
	v_mov_b32_e32 v17, 0
	ds_read_b64 v[17:18], v17 offset:31200
	s_waitcnt lgkmcnt(0)
	v_mul_f32_e32 v21, v20, v18
	v_mul_f32_e32 v22, v19, v18
	v_fmac_f32_e32 v21, v19, v17
	v_fma_f32 v20, v20, v17, -v22
	v_mov_b32_e32 v19, v21
	ds_write_b64 v16, v[20:21]
.LBB60_1014:
	s_or_b64 exec, exec, s[0:1]
	s_waitcnt lgkmcnt(0)
	s_barrier
	s_and_saveexec_b64 s[0:1], s[44:45]
	v_readlane_b32 s42, v43, 2
	s_cbranch_execz .LBB60_1016
; %bb.1015:
	ds_read_b64 v[17:18], v15 offset:31200
	ds_read_b64 v[21:22], v16
	s_waitcnt lgkmcnt(0)
	v_mul_f32_e32 v23, v22, v18
	v_mul_f32_e32 v18, v21, v18
	v_fma_f32 v21, v21, v17, -v23
	v_fmac_f32_e32 v18, v22, v17
	v_add_f32_e32 v20, v20, v21
	v_add_f32_e32 v19, v19, v18
.LBB60_1016:
	s_or_b64 exec, exec, s[0:1]
	s_barrier
	s_and_saveexec_b64 s[0:1], s[52:53]
	s_cbranch_execz .LBB60_1018
; %bb.1017:
	v_mov_b32_e32 v17, 0
	ds_read_b64 v[17:18], v17 offset:31720
	s_waitcnt lgkmcnt(0)
	v_mul_f32_e32 v21, v20, v18
	v_mul_f32_e32 v22, v19, v18
	v_fmac_f32_e32 v21, v19, v17
	v_fma_f32 v20, v20, v17, -v22
	v_mov_b32_e32 v19, v21
	ds_write_b64 v16, v[20:21]
.LBB60_1018:
	s_or_b64 exec, exec, s[0:1]
	s_waitcnt lgkmcnt(0)
	s_barrier
	s_and_saveexec_b64 s[0:1], s[54:55]
	s_cbranch_execz .LBB60_1020
; %bb.1019:
	ds_read_b64 v[17:18], v15 offset:31712
	ds_read_b64 v[21:22], v16
	s_waitcnt lgkmcnt(0)
	v_mul_f32_e32 v15, v22, v18
	v_mul_f32_e32 v18, v21, v18
	v_fma_f32 v15, v21, v17, -v15
	v_fmac_f32_e32 v18, v22, v17
	v_add_f32_e32 v20, v20, v15
	v_add_f32_e32 v19, v19, v18
.LBB60_1020:
	s_or_b64 exec, exec, s[0:1]
	s_barrier
	s_and_saveexec_b64 s[0:1], s[56:57]
	s_cbranch_execz .LBB60_1022
; %bb.1021:
	v_mov_b32_e32 v15, 0
	ds_read_b64 v[17:18], v15 offset:32240
	s_waitcnt lgkmcnt(0)
	v_mul_f32_e32 v21, v20, v18
	v_mul_f32_e32 v15, v19, v18
	v_fmac_f32_e32 v21, v19, v17
	v_fma_f32 v20, v20, v17, -v15
	v_mov_b32_e32 v19, v21
	ds_write_b64 v16, v[20:21]
.LBB60_1022:
	s_or_b64 exec, exec, s[0:1]
	s_waitcnt lgkmcnt(0)
	s_barrier
	s_and_saveexec_b64 s[0:1], s[38:39]
	s_cbranch_execz .LBB60_1024
; %bb.1023:
	v_mov_b32_e32 v15, 0
	ds_read_b64 v[17:18], v15 offset:32248
	ds_read_b64 v[21:22], v16
	s_waitcnt lgkmcnt(0)
	v_mul_f32_e32 v15, v22, v18
	v_mul_f32_e32 v18, v21, v18
	v_fma_f32 v15, v21, v17, -v15
	v_fmac_f32_e32 v18, v22, v17
	v_add_f32_e32 v20, v20, v15
	v_add_f32_e32 v19, v19, v18
.LBB60_1024:
	s_or_b64 exec, exec, s[0:1]
	s_barrier
	s_and_saveexec_b64 s[0:1], s[38:39]
	s_cbranch_execz .LBB60_1026
; %bb.1025:
	v_mov_b32_e32 v15, 0
	ds_read_b64 v[17:18], v15 offset:32760
	s_waitcnt lgkmcnt(0)
	v_mul_f32_e32 v21, v20, v18
	v_mul_f32_e32 v15, v19, v18
	v_fmac_f32_e32 v21, v19, v17
	v_fma_f32 v20, v20, v17, -v15
	v_mov_b32_e32 v19, v21
	ds_write_b64 v16, v[20:21]
.LBB60_1026:
	s_or_b64 exec, exec, s[0:1]
	s_waitcnt lgkmcnt(0)
	s_barrier
	s_barrier
	s_and_saveexec_b64 s[0:1], s[18:19]
; %bb.1027:
	v_xor_b32_e32 v15, 0x80000000, v20
	v_xor_b32_e32 v16, 0x80000000, v19
	ds_write_b64 v14, v[15:16] offset:29152
; %bb.1028:
	s_or_b64 exec, exec, s[0:1]
	s_waitcnt lgkmcnt(0)
	s_barrier
	s_barrier
	s_and_saveexec_b64 s[0:1], s[58:59]
	s_cbranch_execz .LBB60_1030
; %bb.1029:
	v_lshlrev_b32_e32 v16, 9, v0
	ds_read_b64 v[14:15], v16 offset:29152
	s_movk_i32 s8, 0xfe08
	v_mad_i32_i24 v17, v0, s8, v16
	s_waitcnt lgkmcnt(0)
	ds_write_b64 v17, v[14:15] offset:31168
	ds_read_b64 v[14:15], v16 offset:29160
	s_waitcnt lgkmcnt(0)
	ds_write_b64 v17, v[14:15] offset:31680
	ds_read_b64 v[14:15], v16 offset:29168
	;; [unrolled: 3-line block ×3, first 2 shown]
	s_waitcnt lgkmcnt(0)
	ds_write_b64 v17, v[14:15] offset:32704
.LBB60_1030:
	s_or_b64 exec, exec, s[0:1]
	s_waitcnt lgkmcnt(0)
	s_barrier
	s_and_saveexec_b64 s[0:1], vcc
	s_cbranch_execz .LBB60_1032
; %bb.1031:
	v_mov_b32_e32 v18, 0
	ds_read_b128 v[14:17], v18 offset:31200
	ds_read_b64 v[18:19], v18 offset:31720
	s_movk_i32 s8, 0x7800
	s_waitcnt lgkmcnt(0)
	v_mul_f32_e32 v20, v19, v15
	v_mul_f32_e32 v21, v18, v15
	v_fma_f32 v18, v18, v14, -v20
	v_fmac_f32_e32 v21, v19, v14
	v_mul_f32_e32 v14, v21, v17
	v_mul_f32_e32 v15, v18, v17
	v_fma_f32 v14, v18, v16, -v14
	v_fmac_f32_e32 v15, v21, v16
	v_add_u32_e64 v16, s8, 0
	ds_write2_b64 v16, v[14:15], v[14:15] offset0:61 offset1:124
.LBB60_1032:
	s_or_b64 exec, exec, s[0:1]
	v_mov_b32_e32 v14, 0
	v_mov_b32_e32 v15, 0
	s_waitcnt lgkmcnt(0)
	s_barrier
	s_and_saveexec_b64 s[0:1], s[2:3]
	s_cbranch_execz .LBB60_1036
; %bb.1033:
	v_mul_u32_u24_e32 v15, 0x208, v13
	ds_read_b64 v[13:14], v11 offset:31216
	ds_read_b64 v[15:16], v15 offset:31200
	v_cmp_gt_u32_e64 s[8:9], 2, v1
	s_waitcnt lgkmcnt(0)
	v_mul_f32_e32 v17, v16, v14
	v_mul_f32_e32 v14, v15, v14
	v_fma_f32 v15, v15, v13, -v17
	v_fmac_f32_e32 v14, v16, v13
	v_add_f32_e32 v13, 0, v15
	v_add_f32_e32 v14, 0, v14
	s_and_saveexec_b64 s[10:11], s[8:9]
	s_cbranch_execz .LBB60_1035
; %bb.1034:
	v_lshlrev_b32_e32 v15, 3, v0
	v_mov_b32_e32 v17, 0
	ds_read_b64 v[15:16], v15 offset:31728
	ds_read_b64 v[17:18], v17 offset:31208
	s_waitcnt lgkmcnt(0)
	v_mul_f32_e32 v19, v18, v16
	v_mul_f32_e32 v16, v17, v16
	v_fma_f32 v17, v17, v15, -v19
	v_fmac_f32_e32 v16, v18, v15
	v_add_f32_e32 v13, v13, v17
	v_add_f32_e32 v14, v14, v16
.LBB60_1035:
	s_or_b64 exec, exec, s[10:11]
	v_xor_b32_e32 v15, 0x80000000, v13
	v_xor_b32_e32 v14, 0x80000000, v14
.LBB60_1036:
	s_or_b64 exec, exec, s[0:1]
	s_and_saveexec_b64 s[0:1], s[34:35]
	s_cbranch_execz .LBB60_1038
; %bb.1037:
	v_mov_b32_e32 v13, 0
	ds_read_b64 v[16:17], v13 offset:32240
	s_waitcnt lgkmcnt(0)
	v_mul_f32_e32 v13, v14, v17
	v_mul_f32_e32 v18, v15, v17
	v_fma_f32 v17, v15, v16, -v13
	v_fmac_f32_e32 v18, v14, v16
	v_mov_b32_e32 v15, v17
	v_mov_b32_e32 v14, v18
	ds_write_b64 v12, v[17:18]
.LBB60_1038:
	s_or_b64 exec, exec, s[0:1]
	s_waitcnt lgkmcnt(0)
	s_barrier
	s_and_saveexec_b64 s[0:1], s[30:31]
	s_load_dword s28, s[4:5], 0x6c
	v_readlane_b32 s34, v43, 0
	v_readlane_b32 s35, v43, 1
	s_cbranch_execz .LBB60_1040
; %bb.1039:
	v_mov_b32_e32 v13, 0
	ds_read_b64 v[16:17], v13 offset:32248
	ds_read_b64 v[18:19], v12
	s_waitcnt lgkmcnt(0)
	v_mul_f32_e32 v13, v19, v17
	v_mul_f32_e32 v17, v18, v17
	v_fma_f32 v13, v18, v16, -v13
	v_fmac_f32_e32 v17, v19, v16
	v_add_f32_e32 v15, v15, v13
	v_add_f32_e32 v14, v14, v17
.LBB60_1040:
	s_or_b64 exec, exec, s[0:1]
	s_waitcnt lgkmcnt(0)
	s_barrier
	s_and_saveexec_b64 s[0:1], s[30:31]
	s_cbranch_execz .LBB60_1042
; %bb.1041:
	v_mov_b32_e32 v13, 0
	ds_read_b64 v[16:17], v13 offset:32760
	s_waitcnt lgkmcnt(0)
	v_mul_f32_e32 v13, v14, v17
	v_mul_f32_e32 v18, v15, v17
	v_fma_f32 v17, v15, v16, -v13
	v_fmac_f32_e32 v18, v14, v16
	v_mov_b32_e32 v15, v17
	v_mov_b32_e32 v14, v18
	ds_write_b64 v12, v[17:18]
.LBB60_1042:
	s_or_b64 exec, exec, s[0:1]
	s_waitcnt lgkmcnt(0)
	s_barrier
	s_barrier
	s_and_saveexec_b64 s[0:1], s[2:3]
; %bb.1043:
	v_xor_b32_e32 v13, 0x80000000, v14
	v_xor_b32_e32 v12, 0x80000000, v15
	ds_write_b64 v11, v[12:13] offset:31216
; %bb.1044:
	s_or_b64 exec, exec, s[0:1]
	s_waitcnt lgkmcnt(0)
	s_barrier
	s_barrier
	s_and_saveexec_b64 s[0:1], s[36:37]
	s_cbranch_execz .LBB60_1046
; %bb.1045:
	v_lshlrev_b32_e32 v13, 3, v0
	s_movk_i32 s2, 0x1f8
	v_mad_u32_u24 v14, v0, s2, v13
	ds_read_b64 v[11:12], v14 offset:31216
	s_waitcnt lgkmcnt(0)
	ds_write_b64 v13, v[11:12] offset:32224
	ds_read_b64 v[11:12], v14 offset:31224
	s_waitcnt lgkmcnt(0)
	ds_write_b64 v13, v[11:12] offset:32736
.LBB60_1046:
	s_or_b64 exec, exec, s[0:1]
	s_waitcnt lgkmcnt(0)
	s_barrier
	s_and_saveexec_b64 s[0:1], vcc
	s_cbranch_execz .LBB60_1048
; %bb.1047:
	v_mov_b32_e32 v15, 0
	ds_read_b128 v[11:14], v15 offset:32240
	ds_read_b64 v[15:16], v15 offset:32760
	s_movk_i32 s2, 0x7800
	s_waitcnt lgkmcnt(0)
	v_mul_f32_e32 v17, v16, v12
	v_mul_f32_e32 v18, v15, v12
	v_fma_f32 v15, v15, v11, -v17
	v_fmac_f32_e32 v18, v16, v11
	v_mul_f32_e32 v11, v18, v14
	v_mul_f32_e32 v12, v15, v14
	v_fma_f32 v11, v15, v13, -v11
	v_fmac_f32_e32 v12, v18, v13
	v_add_u32_e64 v13, s2, 0
	ds_write2_b64 v13, v[11:12], v[11:12] offset0:191 offset1:254
.LBB60_1048:
	s_or_b64 exec, exec, s[0:1]
.LBB60_1049:
	s_load_dwordx4 s[12:15], s[4:5], 0x48
	v_cmp_le_i32_e32 vcc, s92, v0
	v_mov_b32_e32 v11, 0
	v_add_u32_e32 v13, s33, v0
	v_mov_b32_e32 v12, 0
	s_waitcnt lgkmcnt(0)
	s_mul_i32 s1, s13, s22
	s_mul_hi_u32 s2, s12, s22
	s_mul_i32 s0, s12, s22
	s_add_i32 s1, s2, s1
	s_lshl_b64 s[0:1], s[0:1], 3
	s_add_u32 s2, s46, s0
	s_addc_u32 s3, s47, s1
	s_lshl_b64 s[0:1], s[48:49], 3
	s_add_u32 s20, s2, s0
	s_addc_u32 s21, s3, s1
	s_and_b64 s[16:17], vcc, s[26:27]
	v_cmp_eq_u32_e64 s[2:3], 0, v2
	s_xor_b64 s[0:1], s[16:17], -1
	s_and_b64 s[4:5], s[2:3], s[0:1]
	s_barrier
	s_and_saveexec_b64 s[0:1], s[4:5]
	s_cbranch_execz .LBB60_1051
; %bb.1050:
	v_ashrrev_i32_e32 v14, 31, v13
	v_mul_lo_u32 v15, s51, v13
	v_mad_u64_u32 v[11:12], s[4:5], s50, v13, 0
	v_mul_lo_u32 v14, s50, v14
	v_add3_u32 v12, v12, v14, v15
	v_lshlrev_b64 v[11:12], 3, v[11:12]
	v_mov_b32_e32 v14, s21
	v_add_co_u32_e32 v11, vcc, s20, v11
	v_addc_co_u32_e32 v12, vcc, v14, v12, vcc
	global_load_dwordx2 v[14:15], v[11:12], off
	s_waitcnt vmcnt(0)
	v_mul_f32_e32 v11, s34, v14
	v_mul_f32_e32 v12, s34, v15
	v_fma_f32 v11, s35, v15, -v11
	v_fma_f32 v12, v14, -s35, -v12
.LBB60_1051:
	s_or_b64 exec, exec, s[0:1]
	s_and_b32 s0, 0xffff, s28
	v_mad_u32_u24 v18, v2, s0, v0
	s_cmp_lt_i32 s6, 1
	v_cmp_eq_u32_e64 s[4:5], 0, v18
	s_cbranch_scc1 .LBB60_1086
; %bb.1052:
	v_ashrrev_i32_e32 v16, 31, v13
	v_mul_lo_u32 v17, s41, v13
	v_mad_u64_u32 v[14:15], s[0:1], s40, v13, 0
	v_mul_lo_u32 v16, s40, v16
	v_cmp_gt_i32_e64 s[8:9], s24, v13
	s_lshl_b64 s[0:1], s[22:23], 2
	s_add_u32 s0, s14, s0
	v_add3_u32 v15, v15, v16, v17
	v_lshlrev_b64 v[13:14], 3, v[14:15]
	v_mov_b32_e32 v16, 0xa000
	v_mov_b32_e32 v15, s94
	v_add_co_u32_e32 v21, vcc, s93, v13
	s_mov_b32 s28, 0
	s_addc_u32 s1, s15, s1
	v_cmp_gt_u32_e64 s[12:13], 64, v18
	v_lshl_add_u32 v19, v18, 3, v16
	v_lshl_or_b32 v20, v2, 3, v16
	s_add_i32 s95, s95, 1
	v_addc_co_u32_e32 v22, vcc, v15, v14, vcc
	v_mov_b32_e32 v23, -1
	v_mov_b32_e32 v13, 0
	s_branch .LBB60_1055
.LBB60_1053:                            ;   in Loop: Header=BB60_1055 Depth=1
	ds_read_b64 v[14:15], v20 offset:384
	s_waitcnt vmcnt(0) lgkmcnt(0)
	v_mul_f32_e32 v24, v17, v15
	v_mul_f32_e32 v17, v17, v14
	v_fmac_f32_e32 v24, v16, v14
	v_fma_f32 v14, v16, v15, -v17
	v_add_f32_e32 v11, v11, v24
	v_add_f32_e32 v12, v12, v14
.LBB60_1054:                            ;   in Loop: Header=BB60_1055 Depth=1
	s_or_b64 exec, exec, s[18:19]
	s_add_i32 s28, s28, 1
	s_cmp_eq_u32 s28, s6
	s_cbranch_scc1 .LBB60_1086
.LBB60_1055:                            ; =>This Loop Header: Depth=1
                                        ;     Child Loop BB60_1057 Depth 2
	v_cmp_gt_i32_e32 vcc, s28, v23
	s_and_b64 s[18:19], s[4:5], vcc
	s_and_saveexec_b64 s[10:11], s[18:19]
	s_cbranch_execz .LBB60_1058
; %bb.1056:                             ;   in Loop: Header=BB60_1055 Depth=1
	global_load_dword v23, v13, s[0:1]
	s_waitcnt vmcnt(0)
	v_cmp_le_i32_e32 vcc, s28, v23
	s_cbranch_vccnz .LBB60_1058
.LBB60_1057:                            ;   Parent Loop BB60_1055 Depth=1
                                        ; =>  This Inner Loop Header: Depth=2
	buffer_wbinvl1_vol
	global_load_dword v23, v13, s[0:1]
	s_waitcnt vmcnt(0)
	v_cmp_gt_i32_e32 vcc, s28, v23
	s_cbranch_vccnz .LBB60_1057
.LBB60_1058:                            ;   in Loop: Header=BB60_1055 Depth=1
	s_or_b64 exec, exec, s[10:11]
	s_sub_i32 s29, s7, s28
	s_lshl_b32 s30, s29, 6
	buffer_wbinvl1_vol
	s_barrier
	s_and_saveexec_b64 s[10:11], s[12:13]
	s_cbranch_execz .LBB60_1063
; %bb.1059:                             ;   in Loop: Header=BB60_1055 Depth=1
	s_ashr_i32 s18, s30, 31
	v_mov_b32_e32 v15, s18
	v_or_b32_e32 v14, s30, v18
	v_cmp_le_i64_e32 vcc, s[24:25], v[14:15]
	s_and_saveexec_b64 s[18:19], vcc
	s_xor_b64 s[18:19], exec, s[18:19]
; %bb.1060:                             ;   in Loop: Header=BB60_1055 Depth=1
	v_mov_b32_e32 v14, v13
	ds_write_b64 v19, v[13:14]
                                        ; implicit-def: $vgpr14_vgpr15
; %bb.1061:                             ;   in Loop: Header=BB60_1055 Depth=1
	s_andn2_saveexec_b64 s[18:19], s[18:19]
	s_cbranch_execz .LBB60_1063
; %bb.1062:                             ;   in Loop: Header=BB60_1055 Depth=1
	v_mul_lo_u32 v16, v15, s50
	v_mul_lo_u32 v17, v14, s51
	v_mad_u64_u32 v[14:15], s[18:19], v14, s50, 0
	v_add3_u32 v15, v15, v17, v16
	v_lshlrev_b64 v[14:15], 3, v[14:15]
	v_mov_b32_e32 v16, s21
	v_add_co_u32_e32 v14, vcc, s20, v14
	v_addc_co_u32_e32 v15, vcc, v16, v15, vcc
	global_load_dwordx2 v[14:15], v[14:15], off
	s_waitcnt vmcnt(0)
	ds_write_b64 v19, v[14:15]
.LBB60_1063:                            ;   in Loop: Header=BB60_1055 Depth=1
	s_or_b64 exec, exec, s[10:11]
	v_add_u32_e32 v16, s30, v2
	v_ashrrev_i32_e32 v17, 31, v16
	v_lshlrev_b64 v[14:15], 3, v[16:17]
	s_cmp_lg_u32 s29, s95
	v_add_co_u32_e32 v14, vcc, v21, v14
	s_cselect_b64 s[10:11], -1, 0
	v_addc_co_u32_e32 v15, vcc, v22, v15, vcc
	v_cmp_gt_i32_e32 vcc, s24, v16
	v_cndmask_b32_e64 v17, 0, 1, s[10:11]
	s_and_b64 s[30:31], vcc, s[8:9]
	v_cmp_ne_u32_e64 s[10:11], 1, v17
	s_waitcnt lgkmcnt(0)
	s_barrier
	s_and_saveexec_b64 s[18:19], s[30:31]
	s_cbranch_execz .LBB60_1069
; %bb.1064:                             ;   in Loop: Header=BB60_1055 Depth=1
	s_and_b64 vcc, exec, s[10:11]
	v_mov_b32_e32 v17, v5
	s_cbranch_vccnz .LBB60_1066
; %bb.1065:                             ;   in Loop: Header=BB60_1055 Depth=1
	global_load_dword v17, v[14:15], off
.LBB60_1066:                            ;   in Loop: Header=BB60_1055 Depth=1
	s_and_b64 vcc, exec, s[10:11]
	v_mov_b32_e32 v24, v6
	s_cbranch_vccnz .LBB60_1068
; %bb.1067:                             ;   in Loop: Header=BB60_1055 Depth=1
	global_load_dword v24, v[14:15], off offset:4
.LBB60_1068:                            ;   in Loop: Header=BB60_1055 Depth=1
	ds_read_b64 v[25:26], v20
	s_waitcnt vmcnt(0) lgkmcnt(0)
	v_mul_f32_e32 v27, v24, v26
	v_mul_f32_e32 v24, v24, v25
	v_fmac_f32_e32 v27, v17, v25
	v_fma_f32 v17, v17, v26, -v24
	v_add_f32_e32 v11, v11, v27
	v_add_f32_e32 v12, v12, v17
.LBB60_1069:                            ;   in Loop: Header=BB60_1055 Depth=1
	s_or_b64 exec, exec, s[18:19]
	v_add_u32_e32 v17, 16, v16
	v_cmp_gt_i32_e32 vcc, s24, v17
	s_and_b64 s[30:31], vcc, s[8:9]
	s_and_saveexec_b64 s[18:19], s[30:31]
	s_cbranch_execz .LBB60_1075
; %bb.1070:                             ;   in Loop: Header=BB60_1055 Depth=1
	s_and_b64 vcc, exec, s[10:11]
	v_mov_b32_e32 v17, v3
	s_cbranch_vccnz .LBB60_1072
; %bb.1071:                             ;   in Loop: Header=BB60_1055 Depth=1
	global_load_dword v17, v[14:15], off offset:128
.LBB60_1072:                            ;   in Loop: Header=BB60_1055 Depth=1
	s_and_b64 vcc, exec, s[10:11]
	v_mov_b32_e32 v24, v4
	s_cbranch_vccnz .LBB60_1074
; %bb.1073:                             ;   in Loop: Header=BB60_1055 Depth=1
	global_load_dword v24, v[14:15], off offset:132
.LBB60_1074:                            ;   in Loop: Header=BB60_1055 Depth=1
	ds_read_b64 v[25:26], v20 offset:128
	s_waitcnt vmcnt(0) lgkmcnt(0)
	v_mul_f32_e32 v27, v24, v26
	v_mul_f32_e32 v24, v24, v25
	v_fmac_f32_e32 v27, v17, v25
	v_fma_f32 v17, v17, v26, -v24
	v_add_f32_e32 v11, v11, v27
	v_add_f32_e32 v12, v12, v17
.LBB60_1075:                            ;   in Loop: Header=BB60_1055 Depth=1
	s_or_b64 exec, exec, s[18:19]
	v_add_u32_e32 v17, 32, v16
	v_cmp_gt_i32_e32 vcc, s24, v17
	s_and_b64 s[30:31], vcc, s[8:9]
	s_and_saveexec_b64 s[18:19], s[30:31]
	s_cbranch_execz .LBB60_1081
; %bb.1076:                             ;   in Loop: Header=BB60_1055 Depth=1
	s_and_b64 vcc, exec, s[10:11]
	v_mov_b32_e32 v17, v9
	s_cbranch_vccnz .LBB60_1078
; %bb.1077:                             ;   in Loop: Header=BB60_1055 Depth=1
	global_load_dword v17, v[14:15], off offset:256
.LBB60_1078:                            ;   in Loop: Header=BB60_1055 Depth=1
	s_and_b64 vcc, exec, s[10:11]
	v_mov_b32_e32 v24, v10
	s_cbranch_vccnz .LBB60_1080
; %bb.1079:                             ;   in Loop: Header=BB60_1055 Depth=1
	global_load_dword v24, v[14:15], off offset:260
.LBB60_1080:                            ;   in Loop: Header=BB60_1055 Depth=1
	ds_read_b64 v[25:26], v20 offset:256
	s_waitcnt vmcnt(0) lgkmcnt(0)
	v_mul_f32_e32 v27, v24, v26
	v_mul_f32_e32 v24, v24, v25
	v_fmac_f32_e32 v27, v17, v25
	v_fma_f32 v17, v17, v26, -v24
	v_add_f32_e32 v11, v11, v27
	v_add_f32_e32 v12, v12, v17
.LBB60_1081:                            ;   in Loop: Header=BB60_1055 Depth=1
	s_or_b64 exec, exec, s[18:19]
	v_add_u32_e32 v16, 48, v16
	v_cmp_gt_i32_e32 vcc, s24, v16
	s_and_b64 s[30:31], vcc, s[8:9]
	s_and_saveexec_b64 s[18:19], s[30:31]
	s_cbranch_execz .LBB60_1054
; %bb.1082:                             ;   in Loop: Header=BB60_1055 Depth=1
	s_and_b64 vcc, exec, s[10:11]
	v_mov_b32_e32 v16, v7
	s_cbranch_vccnz .LBB60_1084
; %bb.1083:                             ;   in Loop: Header=BB60_1055 Depth=1
	global_load_dword v16, v[14:15], off offset:384
.LBB60_1084:                            ;   in Loop: Header=BB60_1055 Depth=1
	s_and_b64 vcc, exec, s[10:11]
	v_mov_b32_e32 v17, v8
	s_cbranch_vccnz .LBB60_1053
; %bb.1085:                             ;   in Loop: Header=BB60_1055 Depth=1
	global_load_dword v17, v[14:15], off offset:388
	s_branch .LBB60_1053
.LBB60_1086:
	s_xor_b64 s[0:1], s[26:27], -1
	v_lshlrev_b32_e32 v1, 3, v1
	ds_write_b64 v1, v[11:12] offset:32768
	s_waitcnt lgkmcnt(0)
	s_barrier
	s_and_saveexec_b64 s[4:5], s[2:3]
	s_cbranch_execz .LBB60_1088
; %bb.1087:
	v_lshlrev_b32_e32 v15, 3, v0
	ds_read2st64_b64 v[3:6], v15 offset0:65 offset1:66
	ds_read2st64_b64 v[7:10], v15 offset0:67 offset1:68
	ds_read_b64 v[13:14], v15 offset:40448
	s_waitcnt lgkmcnt(2)
	v_add_f32_e32 v3, v11, v3
	v_add_f32_e32 v4, v12, v4
	v_add_f32_e32 v11, v3, v5
	v_add_f32_e32 v12, v4, v6
	ds_read2st64_b64 v[3:6], v15 offset0:69 offset1:70
	s_waitcnt lgkmcnt(2)
	v_add_f32_e32 v7, v11, v7
	v_add_f32_e32 v8, v12, v8
	;; [unrolled: 1-line block ×4, first 2 shown]
	s_waitcnt lgkmcnt(0)
	v_add_f32_e32 v3, v7, v3
	ds_read2st64_b64 v[7:10], v15 offset0:71 offset1:72
	v_add_f32_e32 v4, v11, v4
	v_add_f32_e32 v11, v3, v5
	;; [unrolled: 1-line block ×3, first 2 shown]
	ds_read2st64_b64 v[3:6], v15 offset0:73 offset1:74
	s_waitcnt lgkmcnt(1)
	v_add_f32_e32 v7, v11, v7
	v_add_f32_e32 v8, v12, v8
	;; [unrolled: 1-line block ×4, first 2 shown]
	s_waitcnt lgkmcnt(0)
	v_add_f32_e32 v3, v7, v3
	ds_read2st64_b64 v[7:10], v15 offset0:75 offset1:76
	v_add_f32_e32 v4, v11, v4
	v_add_f32_e32 v11, v3, v5
	;; [unrolled: 1-line block ×3, first 2 shown]
	ds_read2st64_b64 v[3:6], v15 offset0:77 offset1:78
	s_waitcnt lgkmcnt(1)
	v_add_f32_e32 v7, v11, v7
	v_add_f32_e32 v8, v12, v8
	;; [unrolled: 1-line block ×4, first 2 shown]
	s_waitcnt lgkmcnt(0)
	v_add_f32_e32 v3, v7, v3
	v_add_f32_e32 v4, v8, v4
	;; [unrolled: 1-line block ×6, first 2 shown]
	v_cndmask_b32_e64 v11, -v3, 0, s[16:17]
	v_cndmask_b32_e64 v12, -v4, 0, s[16:17]
.LBB60_1088:
	s_or_b64 exec, exec, s[4:5]
	s_and_b64 vcc, exec, s[62:63]
	s_cbranch_vccnz .LBB60_1101
; %bb.1089:
	v_mov_b32_e32 v3, 0xa000
	v_lshl_or_b32 v5, v2, 3, v3
	s_and_saveexec_b64 s[4:5], s[2:3]
; %bb.1090:
	v_lshl_add_u32 v3, v0, 3, v5
	ds_write_b64 v3, v[11:12]
; %bb.1091:
	s_or_b64 exec, exec, s[4:5]
	v_cmp_le_u32_e32 vcc, v0, v2
	v_mov_b32_e32 v3, 0
	v_mov_b32_e32 v4, 0
	s_waitcnt lgkmcnt(0)
	s_barrier
	s_and_saveexec_b64 s[4:5], vcc
	s_cbranch_execz .LBB60_1093
; %bb.1092:
	ds_read_b64 v[3:4], v1
	ds_read_b64 v[6:7], v5
	s_waitcnt lgkmcnt(0)
	v_mul_f32_e32 v8, v7, v4
	v_mul_f32_e32 v4, v6, v4
	v_fma_f32 v6, v6, v3, -v8
	v_fmac_f32_e32 v4, v7, v3
	v_add_f32_e32 v3, 0, v6
	v_add_f32_e32 v4, 0, v4
.LBB60_1093:
	s_or_b64 exec, exec, s[4:5]
	v_add_u32_e32 v6, 16, v2
	v_cmp_le_u32_e32 vcc, v0, v6
	s_and_saveexec_b64 s[4:5], vcc
	s_cbranch_execz .LBB60_1095
; %bb.1094:
	ds_read_b64 v[6:7], v1 offset:8192
	ds_read_b64 v[8:9], v5 offset:128
	s_waitcnt lgkmcnt(0)
	v_mul_f32_e32 v10, v9, v7
	v_mul_f32_e32 v7, v8, v7
	v_fma_f32 v8, v8, v6, -v10
	v_fmac_f32_e32 v7, v9, v6
	v_add_f32_e32 v3, v3, v8
	v_add_f32_e32 v4, v4, v7
.LBB60_1095:
	s_or_b64 exec, exec, s[4:5]
	v_add_u32_e32 v6, 32, v2
	v_cmp_le_u32_e32 vcc, v0, v6
	s_and_saveexec_b64 s[4:5], vcc
	s_cbranch_execz .LBB60_1097
; %bb.1096:
	ds_read_b64 v[6:7], v1 offset:16384
	ds_read_b64 v[8:9], v5 offset:256
	s_waitcnt lgkmcnt(0)
	v_mul_f32_e32 v10, v9, v7
	v_mul_f32_e32 v7, v8, v7
	v_fma_f32 v8, v8, v6, -v10
	v_fmac_f32_e32 v7, v9, v6
	v_add_f32_e32 v3, v3, v8
	v_add_f32_e32 v4, v4, v7
.LBB60_1097:
	s_or_b64 exec, exec, s[4:5]
	v_add_u32_e32 v2, 48, v2
	v_add_u32_e32 v6, 0x8000, v1
	v_cmp_le_u32_e32 vcc, v0, v2
	s_and_saveexec_b64 s[4:5], vcc
	s_cbranch_execz .LBB60_1099
; %bb.1098:
	ds_read_b64 v[1:2], v1 offset:24576
	ds_read_b64 v[7:8], v5 offset:384
	s_waitcnt lgkmcnt(0)
	v_mul_f32_e32 v5, v8, v2
	v_mul_f32_e32 v2, v7, v2
	v_fma_f32 v5, v7, v1, -v5
	v_fmac_f32_e32 v2, v8, v1
	v_add_f32_e32 v3, v3, v5
	v_add_f32_e32 v4, v4, v2
.LBB60_1099:
	s_or_b64 exec, exec, s[4:5]
	s_mov_b64 s[6:7], 0
	s_mov_b64 s[4:5], 0
	ds_write_b64 v6, v[3:4]
	s_waitcnt lgkmcnt(0)
	s_barrier
                                        ; implicit-def: $vgpr1
                                        ; implicit-def: $vgpr2
	s_and_saveexec_b64 s[8:9], s[2:3]
	s_cbranch_execz .LBB60_1120
; %bb.1100:
	v_lshlrev_b32_e32 v17, 3, v0
	ds_read2st64_b64 v[5:8], v17 offset0:65 offset1:66
	ds_read2st64_b64 v[13:16], v17 offset0:67 offset1:68
	ds_read_b64 v[9:10], v17 offset:40448
	s_mov_b64 s[4:5], exec
	s_waitcnt lgkmcnt(2)
	v_add_f32_e32 v1, v3, v5
	v_add_f32_e32 v2, v4, v6
	;; [unrolled: 1-line block ×4, first 2 shown]
	ds_read2st64_b64 v[1:4], v17 offset0:69 offset1:70
	s_waitcnt lgkmcnt(2)
	v_add_f32_e32 v5, v5, v13
	v_add_f32_e32 v6, v6, v14
	;; [unrolled: 1-line block ×4, first 2 shown]
	s_waitcnt lgkmcnt(0)
	v_add_f32_e32 v1, v5, v1
	ds_read2st64_b64 v[5:8], v17 offset0:71 offset1:72
	v_add_f32_e32 v2, v13, v2
	v_add_f32_e32 v13, v1, v3
	;; [unrolled: 1-line block ×3, first 2 shown]
	ds_read2st64_b64 v[1:4], v17 offset0:73 offset1:74
	s_waitcnt lgkmcnt(1)
	v_add_f32_e32 v5, v13, v5
	v_add_f32_e32 v6, v14, v6
	;; [unrolled: 1-line block ×4, first 2 shown]
	s_waitcnt lgkmcnt(0)
	v_add_f32_e32 v1, v5, v1
	ds_read2st64_b64 v[5:8], v17 offset0:75 offset1:76
	v_add_f32_e32 v2, v13, v2
	v_add_f32_e32 v13, v1, v3
	;; [unrolled: 1-line block ×3, first 2 shown]
	ds_read2st64_b64 v[1:4], v17 offset0:77 offset1:78
	s_waitcnt lgkmcnt(1)
	v_add_f32_e32 v5, v13, v5
	v_add_f32_e32 v6, v14, v6
	;; [unrolled: 1-line block ×4, first 2 shown]
	s_waitcnt lgkmcnt(0)
	v_add_f32_e32 v1, v5, v1
	v_add_f32_e32 v2, v6, v2
	v_add_f32_e32 v1, v1, v3
	v_add_f32_e32 v3, v2, v4
	v_add_f32_e32 v2, v1, v9
	v_add_f32_e32 v1, v3, v10
	s_or_b64 exec, exec, s[8:9]
	s_and_b64 vcc, exec, s[6:7]
	s_cbranch_vccnz .LBB60_1102
	s_branch .LBB60_1121
.LBB60_1101:
	s_mov_b64 s[4:5], 0
                                        ; implicit-def: $vgpr1
                                        ; implicit-def: $vgpr2
	s_cbranch_execz .LBB60_1121
.LBB60_1102:
	s_movk_i32 s6, 0x208
	v_lshlrev_b32_e32 v2, 9, v0
	v_mov_b32_e32 v3, 0x7c00
	v_mul_u32_u24_e32 v1, 0x208, v0
	v_sub_u32_e32 v2, 0, v2
	v_mad_u32_u24 v3, v0, s6, v3
	s_mov_b32 s8, 63
	s_movk_i32 s9, 0x8200
	v_mov_b32_e32 v4, 0
	s_branch .LBB60_1104
.LBB60_1103:                            ;   in Loop: Header=BB60_1104 Depth=1
	s_or_b64 exec, exec, s[6:7]
	s_add_i32 s8, s8, -2
	s_cmp_lg_u32 s10, 0
	v_add_u32_e32 v2, 0xfffffc00, v2
	s_barrier
	s_cbranch_scc0 .LBB60_1112
.LBB60_1104:                            ; =>This Inner Loop Header: Depth=1
	v_cmp_eq_u32_e32 vcc, s9, v2
	s_and_b64 s[10:11], s[2:3], vcc
	s_and_saveexec_b64 s[6:7], s[10:11]
	s_cbranch_execz .LBB60_1106
; %bb.1105:                             ;   in Loop: Header=BB60_1104 Depth=1
	ds_read_b64 v[5:6], v1
	s_waitcnt lgkmcnt(0)
	v_mul_f32_e32 v8, v12, v6
	v_mul_f32_e32 v7, v11, v6
	v_fma_f32 v6, v11, v5, -v8
	v_fmac_f32_e32 v7, v12, v5
	v_mov_b32_e32 v11, v6
	v_mov_b32_e32 v12, v7
	ds_write_b64 v4, v[6:7] offset:41472
.LBB60_1106:                            ;   in Loop: Header=BB60_1104 Depth=1
	s_or_b64 exec, exec, s[6:7]
	v_cmp_gt_u32_e32 vcc, s8, v0
	s_and_b64 s[10:11], s[2:3], vcc
	v_add_u32_e32 v5, v3, v2
	s_waitcnt lgkmcnt(0)
	s_barrier
	s_and_saveexec_b64 s[6:7], s[10:11]
	s_cbranch_execz .LBB60_1108
; %bb.1107:                             ;   in Loop: Header=BB60_1104 Depth=1
	ds_read_b64 v[6:7], v5 offset:512
	ds_read_b64 v[8:9], v4 offset:41472
	s_waitcnt lgkmcnt(0)
	v_mul_f32_e32 v10, v9, v7
	v_mul_f32_e32 v7, v8, v7
	v_fma_f32 v8, v8, v6, -v10
	v_fmac_f32_e32 v7, v9, v6
	v_add_f32_e32 v11, v11, v8
	v_add_f32_e32 v12, v12, v7
.LBB60_1108:                            ;   in Loop: Header=BB60_1104 Depth=1
	s_or_b64 exec, exec, s[6:7]
	s_add_i32 s10, s8, -1
	v_cmp_eq_u32_e32 vcc, s10, v0
	s_and_b64 s[12:13], s[2:3], vcc
	s_barrier
	s_and_saveexec_b64 s[6:7], s[12:13]
	s_cbranch_execz .LBB60_1110
; %bb.1109:                             ;   in Loop: Header=BB60_1104 Depth=1
	ds_read_b64 v[6:7], v1
	s_waitcnt lgkmcnt(0)
	v_mul_f32_e32 v9, v12, v7
	v_mul_f32_e32 v8, v11, v7
	v_fma_f32 v7, v11, v6, -v9
	v_fmac_f32_e32 v8, v12, v6
	v_mov_b32_e32 v11, v7
	v_mov_b32_e32 v12, v8
	ds_write_b64 v4, v[7:8] offset:41472
.LBB60_1110:                            ;   in Loop: Header=BB60_1104 Depth=1
	s_or_b64 exec, exec, s[6:7]
	v_cmp_gt_u32_e32 vcc, s10, v0
	s_and_b64 s[12:13], s[2:3], vcc
	s_waitcnt lgkmcnt(0)
	s_barrier
	s_and_saveexec_b64 s[6:7], s[12:13]
	s_cbranch_execz .LBB60_1103
; %bb.1111:                             ;   in Loop: Header=BB60_1104 Depth=1
	ds_read_b64 v[5:6], v5
	ds_read_b64 v[7:8], v4 offset:41472
	s_waitcnt lgkmcnt(0)
	v_mul_f32_e32 v9, v8, v6
	v_mul_f32_e32 v6, v7, v6
	v_fma_f32 v7, v7, v5, -v9
	v_fmac_f32_e32 v6, v8, v5
	v_add_f32_e32 v11, v11, v7
	v_add_f32_e32 v12, v12, v6
	s_branch .LBB60_1103
.LBB60_1112:
	s_mov_b64 s[6:7], -1
	s_and_b64 vcc, exec, s[0:1]
	s_cbranch_vccnz .LBB60_1122
; %bb.1113:
	s_andn2_b64 vcc, exec, s[6:7]
	s_cbranch_vccz .LBB60_1123
.LBB60_1114:
	s_and_saveexec_b64 s[0:1], s[4:5]
	s_cbranch_execz .LBB60_1116
.LBB60_1115:
	v_mov_b32_e32 v0, s42
	v_add_co_u32_e32 v1, vcc, s33, v18
	v_addc_co_u32_e32 v0, vcc, 0, v0, vcc
	v_mul_lo_u32 v2, v0, s50
	v_mul_lo_u32 v3, v1, s51
	v_mad_u64_u32 v[0:1], s[2:3], v1, s50, 0
	v_add3_u32 v1, v1, v3, v2
	v_lshlrev_b64 v[0:1], 3, v[0:1]
	v_mov_b32_e32 v2, s21
	v_add_co_u32_e32 v0, vcc, s20, v0
	v_addc_co_u32_e32 v1, vcc, v2, v1, vcc
	global_store_dwordx2 v[0:1], v[11:12], off
.LBB60_1116:
	s_or_b64 exec, exec, s[0:1]
	v_cmp_eq_u32_e32 vcc, 0, v18
	s_waitcnt vmcnt(0)
	buffer_wbinvl1_vol
	s_barrier
	s_and_saveexec_b64 s[0:1], vcc
	s_cbranch_execz .LBB60_1118
; %bb.1117:
	s_lshl_b64 s[2:3], s[22:23], 2
	s_add_u32 s2, s14, s2
	s_addc_u32 s3, s15, s3
	v_mov_b32_e32 v0, 0
	global_load_dword v1, v0, s[2:3]
	s_waitcnt vmcnt(0)
	v_add_u32_e32 v1, 1, v1
	global_store_dword v0, v1, s[2:3]
.LBB60_1118:
	s_or_b64 exec, exec, s[0:1]
	s_waitcnt vmcnt(0)
	buffer_wbinvl1_vol
	s_endpgm
.LBB60_1119:
                                        ; implicit-def: $vgpr8
                                        ; implicit-def: $vgpr10
                                        ; implicit-def: $vgpr4
                                        ; implicit-def: $vgpr6
                                        ; implicit-def: $sgpr33
	s_cbranch_execnz .LBB60_10
	s_branch .LBB60_11
.LBB60_1120:
	s_or_b64 exec, exec, s[8:9]
	s_and_b64 vcc, exec, s[6:7]
	s_cbranch_vccnz .LBB60_1102
.LBB60_1121:
	v_mov_b32_e32 v12, v1
	v_mov_b32_e32 v11, v2
	s_and_saveexec_b64 s[0:1], s[4:5]
	s_cbranch_execnz .LBB60_1115
	s_branch .LBB60_1116
.LBB60_1122:
	s_andn2_b64 s[0:1], s[4:5], exec
	s_and_b64 s[4:5], s[2:3], exec
	s_or_b64 s[4:5], s[0:1], s[4:5]
	s_cbranch_execnz .LBB60_1114
.LBB60_1123:
	v_cmp_gt_i32_e32 vcc, s92, v0
	s_and_b64 s[0:1], s[2:3], vcc
	s_andn2_b64 s[2:3], s[4:5], exec
	s_and_b64 s[0:1], s[0:1], exec
	s_or_b64 s[4:5], s[2:3], s[0:1]
	s_and_saveexec_b64 s[0:1], s[4:5]
	s_cbranch_execnz .LBB60_1115
	s_branch .LBB60_1116
.LBB60_1124:
	v_lshlrev_b32_e32 v21, 3, v18
	v_sub_u32_e32 v21, v20, v21
	v_lshl_add_u32 v21, v17, 3, v21
	ds_read_b64 v[21:22], v21 offset:544
	ds_read_b64 v[23:24], v20 offset:8
	s_waitcnt lgkmcnt(0)
	v_mul_f32_e32 v25, v24, v22
	v_mul_f32_e32 v22, v23, v22
	v_fma_f32 v23, v23, v21, -v25
	v_fmac_f32_e32 v22, v24, v21
	v_add_f32_e32 v16, v16, v23
	v_add_f32_e32 v19, v19, v22
	s_or_b64 exec, exec, s[14:15]
	v_cmp_gt_u32_e64 s[10:11], 8, v1
	s_and_saveexec_b64 s[14:15], s[10:11]
	s_cbranch_execz .LBB60_149
.LBB60_1125:
	ds_read_b64 v[21:22], v14 offset:1056
	ds_read_b64 v[23:24], v20 offset:16
	s_waitcnt lgkmcnt(0)
	v_mul_f32_e32 v20, v24, v22
	v_mul_f32_e32 v22, v23, v22
	v_fma_f32 v20, v23, v21, -v20
	v_fmac_f32_e32 v22, v24, v21
	v_add_f32_e32 v16, v16, v20
	v_add_f32_e32 v19, v19, v22
	s_or_b64 exec, exec, s[14:15]
	v_cmp_gt_u32_e64 s[10:11], 4, v1
	s_and_saveexec_b64 s[14:15], s[10:11]
	s_cbranch_execnz .LBB60_150
	s_branch .LBB60_151
.LBB60_1126:
	v_lshlrev_b32_e32 v26, 3, v23
	v_sub_u32_e32 v26, v25, v26
	v_lshl_add_u32 v26, v22, 3, v26
	ds_read_b64 v[26:27], v26 offset:576
	ds_read_b64 v[28:29], v25 offset:8
	s_waitcnt lgkmcnt(0)
	v_mul_f32_e32 v30, v29, v27
	v_mul_f32_e32 v27, v28, v27
	v_fma_f32 v28, v28, v26, -v30
	v_fmac_f32_e32 v27, v29, v26
	v_add_f32_e32 v21, v21, v28
	v_add_f32_e32 v24, v24, v27
	s_or_b64 exec, exec, s[16:17]
	v_cmp_gt_u32_e64 s[14:15], 48, v1
	s_and_saveexec_b64 s[16:17], s[14:15]
	s_cbranch_execz .LBB60_191
.LBB60_1127:
	v_lshlrev_b32_e32 v26, 3, v23
	v_sub_u32_e32 v26, v25, v26
	v_lshl_add_u32 v26, v22, 3, v26
	ds_read_b64 v[26:27], v26 offset:1088
	ds_read_b64 v[28:29], v25 offset:16
	s_waitcnt lgkmcnt(0)
	v_mul_f32_e32 v30, v29, v27
	v_mul_f32_e32 v27, v28, v27
	v_fma_f32 v28, v28, v26, -v30
	v_fmac_f32_e32 v27, v29, v26
	v_add_f32_e32 v21, v21, v28
	v_add_f32_e32 v24, v24, v27
	s_or_b64 exec, exec, s[16:17]
	v_cmp_gt_u32_e64 s[14:15], 40, v1
	s_and_saveexec_b64 s[16:17], s[14:15]
	s_cbranch_execz .LBB60_192
.LBB60_1128:
	v_lshlrev_b32_e32 v26, 3, v23
	v_sub_u32_e32 v26, v25, v26
	v_lshl_add_u32 v26, v22, 3, v26
	ds_read_b64 v[26:27], v26 offset:1600
	ds_read_b64 v[28:29], v25 offset:24
	s_waitcnt lgkmcnt(0)
	v_mul_f32_e32 v30, v29, v27
	v_mul_f32_e32 v27, v28, v27
	v_fma_f32 v28, v28, v26, -v30
	v_fmac_f32_e32 v27, v29, v26
	v_add_f32_e32 v21, v21, v28
	v_add_f32_e32 v24, v24, v27
	s_or_b64 exec, exec, s[16:17]
	v_cmp_gt_u32_e64 s[14:15], 32, v1
	s_and_saveexec_b64 s[16:17], s[14:15]
	s_cbranch_execz .LBB60_193
.LBB60_1129:
	ds_read_b64 v[26:27], v19 offset:2112
	ds_read_b64 v[28:29], v25 offset:32
	s_waitcnt lgkmcnt(0)
	v_mul_f32_e32 v30, v29, v27
	v_mul_f32_e32 v27, v28, v27
	v_fma_f32 v28, v28, v26, -v30
	v_fmac_f32_e32 v27, v29, v26
	v_add_f32_e32 v21, v21, v28
	v_add_f32_e32 v24, v24, v27
	s_or_b64 exec, exec, s[16:17]
	v_cmp_gt_u32_e64 s[14:15], 24, v1
	s_and_saveexec_b64 s[16:17], s[14:15]
	s_cbranch_execz .LBB60_194
.LBB60_1130:
	v_lshlrev_b32_e32 v26, 3, v23
	v_sub_u32_e32 v26, v25, v26
	v_lshl_add_u32 v26, v22, 3, v26
	ds_read_b64 v[26:27], v26 offset:2624
	ds_read_b64 v[28:29], v25 offset:40
	s_waitcnt lgkmcnt(0)
	v_mul_f32_e32 v30, v29, v27
	v_mul_f32_e32 v27, v28, v27
	v_fma_f32 v28, v28, v26, -v30
	v_fmac_f32_e32 v27, v29, v26
	v_add_f32_e32 v21, v21, v28
	v_add_f32_e32 v24, v24, v27
	s_or_b64 exec, exec, s[16:17]
	v_cmp_gt_u32_e64 s[14:15], 16, v1
	s_and_saveexec_b64 s[16:17], s[14:15]
	s_cbranch_execz .LBB60_195
.LBB60_1131:
	ds_read_b64 v[26:27], v19 offset:3136
	ds_read_b64 v[28:29], v25 offset:48
	s_waitcnt lgkmcnt(0)
	v_mul_f32_e32 v25, v29, v27
	v_mul_f32_e32 v27, v28, v27
	v_fma_f32 v25, v28, v26, -v25
	v_fmac_f32_e32 v27, v29, v26
	v_add_f32_e32 v21, v21, v25
	v_add_f32_e32 v24, v24, v27
	s_or_b64 exec, exec, s[16:17]
	v_cmp_gt_u32_e64 s[14:15], 8, v1
	s_and_saveexec_b64 s[16:17], s[14:15]
	s_cbranch_execnz .LBB60_196
	s_branch .LBB60_197
.LBB60_1132:
	v_lshlrev_b32_e32 v27, 3, v18
	v_sub_u32_e32 v27, v25, v27
	v_lshl_add_u32 v27, v17, 3, v27
	ds_read_b64 v[27:28], v27 offset:4704
	ds_read_b64 v[29:30], v25 offset:4168
	s_waitcnt lgkmcnt(0)
	v_mul_f32_e32 v31, v30, v28
	v_mul_f32_e32 v28, v29, v28
	v_fma_f32 v29, v29, v27, -v31
	v_fmac_f32_e32 v28, v30, v27
	v_add_f32_e32 v24, v24, v29
	v_add_f32_e32 v26, v26, v28
	s_or_b64 exec, exec, s[14:15]
	v_cmp_gt_u32_e64 s[10:11], 8, v1
	s_and_saveexec_b64 s[14:15], s[10:11]
	s_cbranch_execz .LBB60_253
.LBB60_1133:
	ds_read_b64 v[27:28], v14 offset:5216
	ds_read_b64 v[29:30], v25 offset:4176
	s_waitcnt lgkmcnt(0)
	v_mul_f32_e32 v25, v30, v28
	v_mul_f32_e32 v28, v29, v28
	v_fma_f32 v25, v29, v27, -v25
	v_fmac_f32_e32 v28, v30, v27
	v_add_f32_e32 v24, v24, v25
	v_add_f32_e32 v26, v26, v28
	s_or_b64 exec, exec, s[14:15]
	v_cmp_gt_u32_e64 s[10:11], 4, v1
	s_and_saveexec_b64 s[14:15], s[10:11]
	s_cbranch_execnz .LBB60_254
	s_branch .LBB60_255
.LBB60_1134:
	v_lshlrev_b32_e32 v31, 3, v25
	v_lshl_add_u32 v31, v27, 3, v31
	ds_read_b64 v[31:32], v31 offset:5760
	ds_read_b64 v[33:34], v30 offset:88
	s_waitcnt lgkmcnt(0)
	v_mul_f32_e32 v35, v34, v32
	v_mul_f32_e32 v32, v33, v32
	v_fma_f32 v33, v33, v31, -v35
	v_fmac_f32_e32 v32, v34, v31
	v_add_f32_e32 v26, v26, v33
	v_add_f32_e32 v29, v29, v32
	s_or_b64 exec, exec, s[20:21]
	v_cmp_gt_u32_e64 s[16:17], 64, v1
	s_and_saveexec_b64 s[20:21], s[16:17]
	s_cbranch_execz .LBB60_315
.LBB60_1135:
	ds_read_b64 v[31:32], v24 offset:6272
	ds_read_b64 v[33:34], v30 offset:96
	s_waitcnt lgkmcnt(0)
	v_mul_f32_e32 v35, v34, v32
	v_mul_f32_e32 v32, v33, v32
	v_fma_f32 v33, v33, v31, -v35
	v_fmac_f32_e32 v32, v34, v31
	v_add_f32_e32 v26, v26, v33
	v_add_f32_e32 v29, v29, v32
	s_or_b64 exec, exec, s[20:21]
	v_cmp_gt_u32_e64 s[16:17], 48, v1
	s_and_saveexec_b64 s[20:21], s[16:17]
	s_cbranch_execz .LBB60_316
.LBB60_1136:
	v_lshlrev_b32_e32 v31, 3, v25
	v_lshl_add_u32 v31, v27, 3, v31
	ds_read_b64 v[31:32], v31 offset:6784
	ds_read_b64 v[33:34], v30 offset:104
	s_waitcnt lgkmcnt(0)
	v_mul_f32_e32 v35, v34, v32
	v_mul_f32_e32 v32, v33, v32
	v_fma_f32 v33, v33, v31, -v35
	v_fmac_f32_e32 v32, v34, v31
	v_add_f32_e32 v26, v26, v33
	v_add_f32_e32 v29, v29, v32
	s_or_b64 exec, exec, s[20:21]
	v_cmp_gt_u32_e64 s[16:17], 32, v1
	s_and_saveexec_b64 s[20:21], s[16:17]
	s_cbranch_execz .LBB60_317
.LBB60_1137:
	ds_read_b64 v[31:32], v24 offset:7296
	ds_read_b64 v[33:34], v30 offset:112
	s_waitcnt lgkmcnt(0)
	v_mul_f32_e32 v30, v34, v32
	v_mul_f32_e32 v32, v33, v32
	v_fma_f32 v30, v33, v31, -v30
	v_fmac_f32_e32 v32, v34, v31
	v_add_f32_e32 v26, v26, v30
	v_add_f32_e32 v29, v29, v32
	s_or_b64 exec, exec, s[20:21]
	v_cmp_gt_u32_e64 s[16:17], 16, v1
	s_and_saveexec_b64 s[20:21], s[16:17]
	s_cbranch_execnz .LBB60_318
	s_branch .LBB60_319
.LBB60_1138:
	v_lshlrev_b32_e32 v32, 3, v18
	v_sub_u32_e32 v32, v30, v32
	v_lshl_add_u32 v32, v17, 3, v32
	ds_read_b64 v[32:33], v32 offset:8864
	ds_read_b64 v[34:35], v30 offset:8328
	s_waitcnt lgkmcnt(0)
	v_mul_f32_e32 v36, v35, v33
	v_mul_f32_e32 v33, v34, v33
	v_fma_f32 v34, v34, v32, -v36
	v_fmac_f32_e32 v33, v35, v32
	v_add_f32_e32 v29, v29, v34
	v_add_f32_e32 v31, v31, v33
	s_or_b64 exec, exec, s[20:21]
	v_cmp_gt_u32_e64 s[14:15], 8, v1
	s_and_saveexec_b64 s[20:21], s[14:15]
	s_cbranch_execz .LBB60_407
.LBB60_1139:
	ds_read_b64 v[32:33], v14 offset:9376
	ds_read_b64 v[34:35], v30 offset:8336
	s_waitcnt lgkmcnt(0)
	v_mul_f32_e32 v30, v35, v33
	v_mul_f32_e32 v33, v34, v33
	v_fma_f32 v30, v34, v32, -v30
	v_fmac_f32_e32 v33, v35, v32
	v_add_f32_e32 v29, v29, v30
	v_add_f32_e32 v31, v31, v33
	s_or_b64 exec, exec, s[20:21]
	v_cmp_gt_u32_e64 s[14:15], 4, v1
	s_and_saveexec_b64 s[20:21], s[14:15]
	s_cbranch_execnz .LBB60_408
	s_branch .LBB60_409
.LBB60_1140:
	v_lshlrev_b32_e32 v32, 3, v23
	v_sub_u32_e32 v32, v30, v32
	v_lshl_add_u32 v32, v22, 3, v32
	ds_read_b64 v[32:33], v32 offset:8896
	ds_read_b64 v[34:35], v30 offset:8328
	s_waitcnt lgkmcnt(0)
	v_mul_f32_e32 v36, v35, v33
	v_mul_f32_e32 v33, v34, v33
	v_fma_f32 v34, v34, v32, -v36
	v_fmac_f32_e32 v33, v35, v32
	v_add_f32_e32 v29, v29, v34
	v_add_f32_e32 v31, v31, v33
	s_or_b64 exec, exec, s[20:21]
	v_cmp_gt_u32_e64 s[14:15], 48, v1
	s_and_saveexec_b64 s[20:21], s[14:15]
	s_cbranch_execz .LBB60_449
.LBB60_1141:
	v_lshlrev_b32_e32 v32, 3, v23
	v_sub_u32_e32 v32, v30, v32
	v_lshl_add_u32 v32, v22, 3, v32
	ds_read_b64 v[32:33], v32 offset:9408
	ds_read_b64 v[34:35], v30 offset:8336
	s_waitcnt lgkmcnt(0)
	v_mul_f32_e32 v36, v35, v33
	v_mul_f32_e32 v33, v34, v33
	v_fma_f32 v34, v34, v32, -v36
	v_fmac_f32_e32 v33, v35, v32
	v_add_f32_e32 v29, v29, v34
	v_add_f32_e32 v31, v31, v33
	s_or_b64 exec, exec, s[20:21]
	v_cmp_gt_u32_e64 s[14:15], 40, v1
	s_and_saveexec_b64 s[20:21], s[14:15]
	s_cbranch_execz .LBB60_450
.LBB60_1142:
	v_lshlrev_b32_e32 v32, 3, v23
	v_sub_u32_e32 v32, v30, v32
	v_lshl_add_u32 v32, v22, 3, v32
	ds_read_b64 v[32:33], v32 offset:9920
	ds_read_b64 v[34:35], v30 offset:8344
	s_waitcnt lgkmcnt(0)
	v_mul_f32_e32 v36, v35, v33
	v_mul_f32_e32 v33, v34, v33
	v_fma_f32 v34, v34, v32, -v36
	v_fmac_f32_e32 v33, v35, v32
	v_add_f32_e32 v29, v29, v34
	v_add_f32_e32 v31, v31, v33
	s_or_b64 exec, exec, s[20:21]
	v_cmp_gt_u32_e64 s[14:15], 32, v1
	s_and_saveexec_b64 s[20:21], s[14:15]
	s_cbranch_execz .LBB60_451
.LBB60_1143:
	ds_read_b64 v[32:33], v19 offset:10432
	ds_read_b64 v[34:35], v30 offset:8352
	s_waitcnt lgkmcnt(0)
	v_mul_f32_e32 v36, v35, v33
	v_mul_f32_e32 v33, v34, v33
	v_fma_f32 v34, v34, v32, -v36
	v_fmac_f32_e32 v33, v35, v32
	v_add_f32_e32 v29, v29, v34
	v_add_f32_e32 v31, v31, v33
	s_or_b64 exec, exec, s[20:21]
	v_cmp_gt_u32_e64 s[14:15], 24, v1
	s_and_saveexec_b64 s[20:21], s[14:15]
	s_cbranch_execz .LBB60_452
.LBB60_1144:
	v_lshlrev_b32_e32 v32, 3, v23
	v_sub_u32_e32 v32, v30, v32
	v_lshl_add_u32 v32, v22, 3, v32
	ds_read_b64 v[32:33], v32 offset:10944
	ds_read_b64 v[34:35], v30 offset:8360
	s_waitcnt lgkmcnt(0)
	v_mul_f32_e32 v36, v35, v33
	v_mul_f32_e32 v33, v34, v33
	v_fma_f32 v34, v34, v32, -v36
	v_fmac_f32_e32 v33, v35, v32
	v_add_f32_e32 v29, v29, v34
	v_add_f32_e32 v31, v31, v33
	s_or_b64 exec, exec, s[20:21]
	v_cmp_gt_u32_e64 s[14:15], 16, v1
	s_and_saveexec_b64 s[20:21], s[14:15]
	s_cbranch_execz .LBB60_453
.LBB60_1145:
	ds_read_b64 v[32:33], v19 offset:11456
	ds_read_b64 v[34:35], v30 offset:8368
	s_waitcnt lgkmcnt(0)
	v_mul_f32_e32 v30, v35, v33
	v_mul_f32_e32 v33, v34, v33
	v_fma_f32 v30, v34, v32, -v30
	v_fmac_f32_e32 v33, v35, v32
	v_add_f32_e32 v29, v29, v30
	v_add_f32_e32 v31, v31, v33
	s_or_b64 exec, exec, s[20:21]
	v_cmp_gt_u32_e64 s[14:15], 8, v1
	s_and_saveexec_b64 s[20:21], s[14:15]
	s_cbranch_execnz .LBB60_454
	s_branch .LBB60_455
.LBB60_1146:
	v_lshlrev_b32_e32 v32, 3, v18
	v_sub_u32_e32 v32, v30, v32
	v_lshl_add_u32 v32, v17, 3, v32
	ds_read_b64 v[32:33], v32 offset:13024
	ds_read_b64 v[34:35], v30 offset:12488
	s_waitcnt lgkmcnt(0)
	v_mul_f32_e32 v36, v35, v33
	v_mul_f32_e32 v33, v34, v33
	v_fma_f32 v34, v34, v32, -v36
	v_fmac_f32_e32 v33, v35, v32
	v_add_f32_e32 v29, v29, v34
	v_add_f32_e32 v31, v31, v33
	s_or_b64 exec, exec, s[20:21]
	v_cmp_gt_u32_e64 s[14:15], 8, v1
	s_and_saveexec_b64 s[20:21], s[14:15]
	s_cbranch_execz .LBB60_511
.LBB60_1147:
	ds_read_b64 v[32:33], v14 offset:13536
	ds_read_b64 v[34:35], v30 offset:12496
	s_waitcnt lgkmcnt(0)
	v_mul_f32_e32 v30, v35, v33
	v_mul_f32_e32 v33, v34, v33
	v_fma_f32 v30, v34, v32, -v30
	v_fmac_f32_e32 v33, v35, v32
	v_add_f32_e32 v29, v29, v30
	v_add_f32_e32 v31, v31, v33
	s_or_b64 exec, exec, s[20:21]
	v_cmp_gt_u32_e64 s[14:15], 4, v1
	s_and_saveexec_b64 s[20:21], s[14:15]
	s_cbranch_execnz .LBB60_512
	s_branch .LBB60_513
.LBB60_1148:
	ds_read_b64 v[37:38], v36 offset:15104
	ds_read_b64 v[39:40], v35 offset:232
	s_waitcnt lgkmcnt(0)
	v_mul_f32_e32 v41, v40, v38
	v_mul_f32_e32 v38, v39, v38
	v_fma_f32 v39, v39, v37, -v41
	v_fmac_f32_e32 v38, v40, v37
	v_add_f32_e32 v32, v32, v39
	v_add_f32_e32 v33, v33, v38
	s_or_b64 exec, exec, s[90:91]
	v_cmp_gt_u32_e64 s[20:21], 64, v1
	s_and_saveexec_b64 s[90:91], s[20:21]
	s_cbranch_execz .LBB60_609
.LBB60_1149:
	ds_read_b64 v[36:37], v36 offset:15616
	ds_read_b64 v[38:39], v35 offset:240
	s_waitcnt lgkmcnt(0)
	v_mul_f32_e32 v40, v39, v37
	v_mul_f32_e32 v37, v38, v37
	v_fma_f32 v38, v38, v36, -v40
	v_fmac_f32_e32 v37, v39, v36
	v_add_f32_e32 v32, v32, v38
	v_add_f32_e32 v33, v33, v37
	s_or_b64 exec, exec, s[90:91]
	v_cmp_gt_u32_e64 s[20:21], 32, v1
	s_and_saveexec_b64 s[90:91], s[20:21]
	s_cbranch_execnz .LBB60_610
	s_branch .LBB60_611
.LBB60_1150:
	v_lshlrev_b32_e32 v32, 3, v18
	v_sub_u32_e32 v32, v30, v32
	v_lshl_add_u32 v32, v17, 3, v32
	ds_read_b64 v[32:33], v32 offset:17184
	ds_read_b64 v[34:35], v30 offset:16648
	s_waitcnt lgkmcnt(0)
	v_mul_f32_e32 v36, v35, v33
	v_mul_f32_e32 v33, v34, v33
	v_fma_f32 v34, v34, v32, -v36
	v_fmac_f32_e32 v33, v35, v32
	v_add_f32_e32 v29, v29, v34
	v_add_f32_e32 v31, v31, v33
	s_or_b64 exec, exec, s[16:17]
	v_cmp_gt_u32_e64 s[12:13], 8, v1
	s_and_saveexec_b64 s[16:17], s[12:13]
	s_cbranch_execz .LBB60_647
.LBB60_1151:
	ds_read_b64 v[32:33], v14 offset:17696
	ds_read_b64 v[34:35], v30 offset:16656
	s_waitcnt lgkmcnt(0)
	v_mul_f32_e32 v30, v35, v33
	v_mul_f32_e32 v33, v34, v33
	v_fma_f32 v30, v34, v32, -v30
	v_fmac_f32_e32 v33, v35, v32
	v_add_f32_e32 v29, v29, v30
	v_add_f32_e32 v31, v31, v33
	s_or_b64 exec, exec, s[16:17]
	v_cmp_gt_u32_e64 s[12:13], 4, v1
	s_and_saveexec_b64 s[16:17], s[12:13]
	s_cbranch_execnz .LBB60_648
	s_branch .LBB60_649
.LBB60_1152:
	v_lshlrev_b32_e32 v32, 3, v23
	v_sub_u32_e32 v32, v30, v32
	v_lshl_add_u32 v32, v22, 3, v32
	ds_read_b64 v[32:33], v32 offset:17216
	ds_read_b64 v[34:35], v30 offset:16648
	s_waitcnt lgkmcnt(0)
	v_mul_f32_e32 v36, v35, v33
	v_mul_f32_e32 v33, v34, v33
	v_fma_f32 v34, v34, v32, -v36
	v_fmac_f32_e32 v33, v35, v32
	v_add_f32_e32 v29, v29, v34
	v_add_f32_e32 v31, v31, v33
	s_or_b64 exec, exec, s[16:17]
	v_cmp_gt_u32_e64 s[12:13], 48, v1
	s_and_saveexec_b64 s[16:17], s[12:13]
	s_cbranch_execz .LBB60_689
.LBB60_1153:
	v_lshlrev_b32_e32 v32, 3, v23
	v_sub_u32_e32 v32, v30, v32
	v_lshl_add_u32 v32, v22, 3, v32
	ds_read_b64 v[32:33], v32 offset:17728
	ds_read_b64 v[34:35], v30 offset:16656
	s_waitcnt lgkmcnt(0)
	v_mul_f32_e32 v36, v35, v33
	v_mul_f32_e32 v33, v34, v33
	v_fma_f32 v34, v34, v32, -v36
	v_fmac_f32_e32 v33, v35, v32
	v_add_f32_e32 v29, v29, v34
	v_add_f32_e32 v31, v31, v33
	s_or_b64 exec, exec, s[16:17]
	v_cmp_gt_u32_e64 s[12:13], 40, v1
	s_and_saveexec_b64 s[16:17], s[12:13]
	s_cbranch_execz .LBB60_690
.LBB60_1154:
	v_lshlrev_b32_e32 v32, 3, v23
	v_sub_u32_e32 v32, v30, v32
	v_lshl_add_u32 v32, v22, 3, v32
	ds_read_b64 v[32:33], v32 offset:18240
	ds_read_b64 v[34:35], v30 offset:16664
	s_waitcnt lgkmcnt(0)
	v_mul_f32_e32 v36, v35, v33
	v_mul_f32_e32 v33, v34, v33
	v_fma_f32 v34, v34, v32, -v36
	v_fmac_f32_e32 v33, v35, v32
	v_add_f32_e32 v29, v29, v34
	v_add_f32_e32 v31, v31, v33
	s_or_b64 exec, exec, s[16:17]
	v_cmp_gt_u32_e64 s[12:13], 32, v1
	s_and_saveexec_b64 s[16:17], s[12:13]
	s_cbranch_execz .LBB60_691
.LBB60_1155:
	ds_read_b64 v[32:33], v19 offset:18752
	ds_read_b64 v[34:35], v30 offset:16672
	s_waitcnt lgkmcnt(0)
	v_mul_f32_e32 v36, v35, v33
	v_mul_f32_e32 v33, v34, v33
	v_fma_f32 v34, v34, v32, -v36
	v_fmac_f32_e32 v33, v35, v32
	v_add_f32_e32 v29, v29, v34
	v_add_f32_e32 v31, v31, v33
	s_or_b64 exec, exec, s[16:17]
	v_cmp_gt_u32_e64 s[12:13], 24, v1
	s_and_saveexec_b64 s[16:17], s[12:13]
	s_cbranch_execz .LBB60_692
.LBB60_1156:
	v_lshlrev_b32_e32 v32, 3, v23
	v_sub_u32_e32 v32, v30, v32
	v_lshl_add_u32 v32, v22, 3, v32
	ds_read_b64 v[32:33], v32 offset:19264
	ds_read_b64 v[34:35], v30 offset:16680
	s_waitcnt lgkmcnt(0)
	v_mul_f32_e32 v36, v35, v33
	v_mul_f32_e32 v33, v34, v33
	v_fma_f32 v34, v34, v32, -v36
	v_fmac_f32_e32 v33, v35, v32
	v_add_f32_e32 v29, v29, v34
	v_add_f32_e32 v31, v31, v33
	s_or_b64 exec, exec, s[16:17]
	v_cmp_gt_u32_e64 s[12:13], 16, v1
	s_and_saveexec_b64 s[16:17], s[12:13]
	s_cbranch_execz .LBB60_693
.LBB60_1157:
	ds_read_b64 v[32:33], v19 offset:19776
	ds_read_b64 v[34:35], v30 offset:16688
	s_waitcnt lgkmcnt(0)
	v_mul_f32_e32 v30, v35, v33
	v_mul_f32_e32 v33, v34, v33
	v_fma_f32 v30, v34, v32, -v30
	v_fmac_f32_e32 v33, v35, v32
	v_add_f32_e32 v29, v29, v30
	v_add_f32_e32 v31, v31, v33
	s_or_b64 exec, exec, s[16:17]
	v_cmp_gt_u32_e64 s[12:13], 8, v1
	s_and_saveexec_b64 s[16:17], s[12:13]
	s_cbranch_execnz .LBB60_694
	s_branch .LBB60_695
.LBB60_1158:
	v_lshlrev_b32_e32 v32, 3, v18
	v_sub_u32_e32 v32, v30, v32
	v_lshl_add_u32 v32, v17, 3, v32
	ds_read_b64 v[32:33], v32 offset:21344
	ds_read_b64 v[34:35], v30 offset:20808
	s_waitcnt lgkmcnt(0)
	v_mul_f32_e32 v36, v35, v33
	v_mul_f32_e32 v33, v34, v33
	v_fma_f32 v34, v34, v32, -v36
	v_fmac_f32_e32 v33, v35, v32
	v_add_f32_e32 v29, v29, v34
	v_add_f32_e32 v31, v31, v33
	s_or_b64 exec, exec, s[16:17]
	v_cmp_gt_u32_e64 s[12:13], 8, v1
	s_and_saveexec_b64 s[16:17], s[12:13]
	s_cbranch_execz .LBB60_751
.LBB60_1159:
	ds_read_b64 v[32:33], v14 offset:21856
	ds_read_b64 v[34:35], v30 offset:20816
	s_waitcnt lgkmcnt(0)
	v_mul_f32_e32 v30, v35, v33
	v_mul_f32_e32 v33, v34, v33
	v_fma_f32 v30, v34, v32, -v30
	v_fmac_f32_e32 v33, v35, v32
	v_add_f32_e32 v29, v29, v30
	v_add_f32_e32 v31, v31, v33
	s_or_b64 exec, exec, s[16:17]
	v_cmp_gt_u32_e64 s[12:13], 4, v1
	s_and_saveexec_b64 s[16:17], s[12:13]
	s_cbranch_execnz .LBB60_752
	s_branch .LBB60_753
.LBB60_1160:
	v_lshlrev_b32_e32 v28, 3, v25
	v_lshl_add_u32 v28, v27, 3, v28
	ds_read_b64 v[32:33], v28 offset:22400
	ds_read_b64 v[34:35], v30 offset:16728
	s_waitcnt lgkmcnt(0)
	v_mul_f32_e32 v28, v35, v33
	v_mul_f32_e32 v33, v34, v33
	v_fma_f32 v28, v34, v32, -v28
	v_fmac_f32_e32 v33, v35, v32
	v_add_f32_e32 v29, v29, v28
	v_add_f32_e32 v31, v31, v33
	s_or_b64 exec, exec, s[16:17]
	v_cmp_gt_u32_e64 s[12:13], 64, v1
	s_and_saveexec_b64 s[16:17], s[12:13]
	s_cbranch_execz .LBB60_813
.LBB60_1161:
	ds_read_b64 v[32:33], v24 offset:22912
	ds_read_b64 v[34:35], v30 offset:16736
	s_waitcnt lgkmcnt(0)
	v_mul_f32_e32 v28, v35, v33
	v_mul_f32_e32 v33, v34, v33
	v_fma_f32 v28, v34, v32, -v28
	v_fmac_f32_e32 v33, v35, v32
	v_add_f32_e32 v29, v29, v28
	v_add_f32_e32 v31, v31, v33
	s_or_b64 exec, exec, s[16:17]
	v_cmp_gt_u32_e64 s[12:13], 48, v1
	s_and_saveexec_b64 s[16:17], s[12:13]
	s_cbranch_execz .LBB60_814
.LBB60_1162:
	v_lshlrev_b32_e32 v28, 3, v25
	v_lshl_add_u32 v27, v27, 3, v28
	ds_read_b64 v[27:28], v27 offset:23424
	ds_read_b64 v[32:33], v30 offset:16744
	s_waitcnt lgkmcnt(0)
	v_mul_f32_e32 v34, v33, v28
	v_mul_f32_e32 v28, v32, v28
	v_fma_f32 v32, v32, v27, -v34
	v_fmac_f32_e32 v28, v33, v27
	v_add_f32_e32 v29, v29, v32
	v_add_f32_e32 v31, v31, v28
	s_or_b64 exec, exec, s[16:17]
	v_cmp_gt_u32_e64 s[12:13], 32, v1
	s_and_saveexec_b64 s[16:17], s[12:13]
	s_cbranch_execz .LBB60_815
.LBB60_1163:
	ds_read_b64 v[27:28], v24 offset:23936
	ds_read_b64 v[32:33], v30 offset:16752
	s_waitcnt lgkmcnt(0)
	v_mul_f32_e32 v30, v33, v28
	v_mul_f32_e32 v28, v32, v28
	v_fma_f32 v30, v32, v27, -v30
	v_fmac_f32_e32 v28, v33, v27
	v_add_f32_e32 v29, v29, v30
	v_add_f32_e32 v31, v31, v28
	s_or_b64 exec, exec, s[16:17]
	v_cmp_gt_u32_e64 s[12:13], 16, v1
	s_and_saveexec_b64 s[16:17], s[12:13]
	s_cbranch_execnz .LBB60_816
	s_branch .LBB60_817
.LBB60_1164:
	v_lshlrev_b32_e32 v27, 3, v18
	v_sub_u32_e32 v27, v25, v27
	v_lshl_add_u32 v27, v17, 3, v27
	ds_read_b64 v[27:28], v27 offset:25504
	ds_read_b64 v[29:30], v25 offset:24968
	s_waitcnt lgkmcnt(0)
	v_mul_f32_e32 v31, v30, v28
	v_mul_f32_e32 v28, v29, v28
	v_fma_f32 v29, v29, v27, -v31
	v_fmac_f32_e32 v28, v30, v27
	v_add_f32_e32 v24, v24, v29
	v_add_f32_e32 v26, v26, v28
	s_or_b64 exec, exec, s[12:13]
	v_cmp_gt_u32_e64 s[10:11], 8, v1
	s_and_saveexec_b64 s[12:13], s[10:11]
	s_cbranch_execz .LBB60_905
.LBB60_1165:
	ds_read_b64 v[27:28], v14 offset:26016
	ds_read_b64 v[29:30], v25 offset:24976
	s_waitcnt lgkmcnt(0)
	v_mul_f32_e32 v25, v30, v28
	v_mul_f32_e32 v28, v29, v28
	v_fma_f32 v25, v29, v27, -v25
	v_fmac_f32_e32 v28, v30, v27
	v_add_f32_e32 v24, v24, v25
	v_add_f32_e32 v26, v26, v28
	s_or_b64 exec, exec, s[12:13]
	v_cmp_gt_u32_e64 s[10:11], 4, v1
	s_and_saveexec_b64 s[12:13], s[10:11]
	s_cbranch_execnz .LBB60_906
	s_branch .LBB60_907
.LBB60_1166:
	v_lshlrev_b32_e32 v27, 3, v23
	v_sub_u32_e32 v27, v25, v27
	v_lshl_add_u32 v27, v22, 3, v27
	ds_read_b64 v[27:28], v27 offset:25536
	ds_read_b64 v[29:30], v25 offset:24968
	s_waitcnt lgkmcnt(0)
	v_mul_f32_e32 v31, v30, v28
	v_mul_f32_e32 v28, v29, v28
	v_fma_f32 v29, v29, v27, -v31
	v_fmac_f32_e32 v28, v30, v27
	v_add_f32_e32 v24, v24, v29
	v_add_f32_e32 v26, v26, v28
	s_or_b64 exec, exec, s[12:13]
	v_cmp_gt_u32_e64 s[10:11], 48, v1
	s_and_saveexec_b64 s[12:13], s[10:11]
	s_cbranch_execz .LBB60_947
.LBB60_1167:
	v_lshlrev_b32_e32 v27, 3, v23
	v_sub_u32_e32 v27, v25, v27
	v_lshl_add_u32 v27, v22, 3, v27
	ds_read_b64 v[27:28], v27 offset:26048
	ds_read_b64 v[29:30], v25 offset:24976
	s_waitcnt lgkmcnt(0)
	v_mul_f32_e32 v31, v30, v28
	v_mul_f32_e32 v28, v29, v28
	v_fma_f32 v29, v29, v27, -v31
	v_fmac_f32_e32 v28, v30, v27
	v_add_f32_e32 v24, v24, v29
	v_add_f32_e32 v26, v26, v28
	s_or_b64 exec, exec, s[12:13]
	v_cmp_gt_u32_e64 s[10:11], 40, v1
	s_and_saveexec_b64 s[12:13], s[10:11]
	s_cbranch_execz .LBB60_948
.LBB60_1168:
	v_lshlrev_b32_e32 v27, 3, v23
	v_sub_u32_e32 v27, v25, v27
	v_lshl_add_u32 v27, v22, 3, v27
	ds_read_b64 v[27:28], v27 offset:26560
	ds_read_b64 v[29:30], v25 offset:24984
	s_waitcnt lgkmcnt(0)
	v_mul_f32_e32 v31, v30, v28
	v_mul_f32_e32 v28, v29, v28
	v_fma_f32 v29, v29, v27, -v31
	v_fmac_f32_e32 v28, v30, v27
	v_add_f32_e32 v24, v24, v29
	v_add_f32_e32 v26, v26, v28
	s_or_b64 exec, exec, s[12:13]
	v_cmp_gt_u32_e64 s[10:11], 32, v1
	s_and_saveexec_b64 s[12:13], s[10:11]
	s_cbranch_execz .LBB60_949
.LBB60_1169:
	ds_read_b64 v[27:28], v19 offset:27072
	ds_read_b64 v[29:30], v25 offset:24992
	s_waitcnt lgkmcnt(0)
	v_mul_f32_e32 v31, v30, v28
	v_mul_f32_e32 v28, v29, v28
	v_fma_f32 v29, v29, v27, -v31
	v_fmac_f32_e32 v28, v30, v27
	v_add_f32_e32 v24, v24, v29
	v_add_f32_e32 v26, v26, v28
	s_or_b64 exec, exec, s[12:13]
	v_cmp_gt_u32_e64 s[10:11], 24, v1
	s_and_saveexec_b64 s[12:13], s[10:11]
	s_cbranch_execz .LBB60_950
.LBB60_1170:
	v_lshlrev_b32_e32 v23, 3, v23
	v_sub_u32_e32 v23, v25, v23
	v_lshl_add_u32 v22, v22, 3, v23
	ds_read_b64 v[22:23], v22 offset:27584
	ds_read_b64 v[27:28], v25 offset:25000
	s_waitcnt lgkmcnt(0)
	v_mul_f32_e32 v29, v28, v23
	v_mul_f32_e32 v23, v27, v23
	v_fma_f32 v27, v27, v22, -v29
	v_fmac_f32_e32 v23, v28, v22
	v_add_f32_e32 v24, v24, v27
	v_add_f32_e32 v26, v26, v23
	s_or_b64 exec, exec, s[12:13]
	v_cmp_gt_u32_e64 s[10:11], 16, v1
	s_and_saveexec_b64 s[12:13], s[10:11]
	s_cbranch_execz .LBB60_951
.LBB60_1171:
	ds_read_b64 v[22:23], v19 offset:28096
	ds_read_b64 v[27:28], v25 offset:25008
	s_waitcnt lgkmcnt(0)
	v_mul_f32_e32 v25, v28, v23
	v_mul_f32_e32 v23, v27, v23
	v_fma_f32 v25, v27, v22, -v25
	v_fmac_f32_e32 v23, v28, v22
	v_add_f32_e32 v24, v24, v25
	v_add_f32_e32 v26, v26, v23
	s_or_b64 exec, exec, s[12:13]
	v_cmp_gt_u32_e64 s[10:11], 8, v1
	s_and_saveexec_b64 s[12:13], s[10:11]
	s_cbranch_execnz .LBB60_952
	s_branch .LBB60_953
.LBB60_1172:
	v_lshlrev_b32_e32 v18, 3, v18
	v_sub_u32_e32 v18, v20, v18
	v_lshl_add_u32 v17, v17, 3, v18
	ds_read_b64 v[17:18], v17 offset:29664
	ds_read_b64 v[22:23], v20 offset:29128
	s_waitcnt lgkmcnt(0)
	v_mul_f32_e32 v24, v23, v18
	v_mul_f32_e32 v18, v22, v18
	v_fma_f32 v22, v22, v17, -v24
	v_fmac_f32_e32 v18, v23, v17
	v_add_f32_e32 v19, v19, v22
	v_add_f32_e32 v21, v21, v18
	s_or_b64 exec, exec, s[10:11]
	v_cmp_gt_u32_e64 s[8:9], 8, v1
	s_and_saveexec_b64 s[10:11], s[8:9]
	s_cbranch_execz .LBB60_1009
.LBB60_1173:
	ds_read_b64 v[17:18], v14 offset:30176
	ds_read_b64 v[22:23], v20 offset:29136
	s_waitcnt lgkmcnt(0)
	v_mul_f32_e32 v20, v23, v18
	v_mul_f32_e32 v18, v22, v18
	v_fma_f32 v20, v22, v17, -v20
	v_fmac_f32_e32 v18, v23, v17
	v_add_f32_e32 v19, v19, v20
	v_add_f32_e32 v21, v21, v18
	s_or_b64 exec, exec, s[10:11]
	v_cmp_gt_u32_e64 s[8:9], 4, v1
	s_and_saveexec_b64 s[10:11], s[8:9]
	s_cbranch_execnz .LBB60_1010
	s_branch .LBB60_1011
	.section	.rodata,"a",@progbits
	.p2align	6, 0x0
	.amdhsa_kernel _ZL19rocblas_trsv_deviceILi64ELi16ELb1ELb1ELb1ELb0E19rocblas_complex_numIfEPKS1_S3_PS1_EviT7_lllT6_T8_lllPii
		.amdhsa_group_segment_fixed_size 41480
		.amdhsa_private_segment_fixed_size 0
		.amdhsa_kernarg_size 352
		.amdhsa_user_sgpr_count 6
		.amdhsa_user_sgpr_private_segment_buffer 1
		.amdhsa_user_sgpr_dispatch_ptr 0
		.amdhsa_user_sgpr_queue_ptr 0
		.amdhsa_user_sgpr_kernarg_segment_ptr 1
		.amdhsa_user_sgpr_dispatch_id 0
		.amdhsa_user_sgpr_flat_scratch_init 0
		.amdhsa_user_sgpr_private_segment_size 0
		.amdhsa_uses_dynamic_stack 0
		.amdhsa_system_sgpr_private_segment_wavefront_offset 0
		.amdhsa_system_sgpr_workgroup_id_x 1
		.amdhsa_system_sgpr_workgroup_id_y 0
		.amdhsa_system_sgpr_workgroup_id_z 1
		.amdhsa_system_sgpr_workgroup_info 0
		.amdhsa_system_vgpr_workitem_id 1
		.amdhsa_next_free_vgpr 49
		.amdhsa_next_free_sgpr 98
		.amdhsa_reserve_vcc 1
		.amdhsa_reserve_flat_scratch 0
		.amdhsa_float_round_mode_32 0
		.amdhsa_float_round_mode_16_64 0
		.amdhsa_float_denorm_mode_32 3
		.amdhsa_float_denorm_mode_16_64 3
		.amdhsa_dx10_clamp 1
		.amdhsa_ieee_mode 1
		.amdhsa_fp16_overflow 0
		.amdhsa_exception_fp_ieee_invalid_op 0
		.amdhsa_exception_fp_denorm_src 0
		.amdhsa_exception_fp_ieee_div_zero 0
		.amdhsa_exception_fp_ieee_overflow 0
		.amdhsa_exception_fp_ieee_underflow 0
		.amdhsa_exception_fp_ieee_inexact 0
		.amdhsa_exception_int_div_zero 0
	.end_amdhsa_kernel
	.section	.text._ZL19rocblas_trsv_deviceILi64ELi16ELb1ELb1ELb1ELb0E19rocblas_complex_numIfEPKS1_S3_PS1_EviT7_lllT6_T8_lllPii,"axG",@progbits,_ZL19rocblas_trsv_deviceILi64ELi16ELb1ELb1ELb1ELb0E19rocblas_complex_numIfEPKS1_S3_PS1_EviT7_lllT6_T8_lllPii,comdat
.Lfunc_end60:
	.size	_ZL19rocblas_trsv_deviceILi64ELi16ELb1ELb1ELb1ELb0E19rocblas_complex_numIfEPKS1_S3_PS1_EviT7_lllT6_T8_lllPii, .Lfunc_end60-_ZL19rocblas_trsv_deviceILi64ELi16ELb1ELb1ELb1ELb0E19rocblas_complex_numIfEPKS1_S3_PS1_EviT7_lllT6_T8_lllPii
                                        ; -- End function
	.set _ZL19rocblas_trsv_deviceILi64ELi16ELb1ELb1ELb1ELb0E19rocblas_complex_numIfEPKS1_S3_PS1_EviT7_lllT6_T8_lllPii.num_vgpr, 44
	.set _ZL19rocblas_trsv_deviceILi64ELi16ELb1ELb1ELb1ELb0E19rocblas_complex_numIfEPKS1_S3_PS1_EviT7_lllT6_T8_lllPii.num_agpr, 0
	.set _ZL19rocblas_trsv_deviceILi64ELi16ELb1ELb1ELb1ELb0E19rocblas_complex_numIfEPKS1_S3_PS1_EviT7_lllT6_T8_lllPii.numbered_sgpr, 96
	.set _ZL19rocblas_trsv_deviceILi64ELi16ELb1ELb1ELb1ELb0E19rocblas_complex_numIfEPKS1_S3_PS1_EviT7_lllT6_T8_lllPii.num_named_barrier, 0
	.set _ZL19rocblas_trsv_deviceILi64ELi16ELb1ELb1ELb1ELb0E19rocblas_complex_numIfEPKS1_S3_PS1_EviT7_lllT6_T8_lllPii.private_seg_size, 0
	.set _ZL19rocblas_trsv_deviceILi64ELi16ELb1ELb1ELb1ELb0E19rocblas_complex_numIfEPKS1_S3_PS1_EviT7_lllT6_T8_lllPii.uses_vcc, 1
	.set _ZL19rocblas_trsv_deviceILi64ELi16ELb1ELb1ELb1ELb0E19rocblas_complex_numIfEPKS1_S3_PS1_EviT7_lllT6_T8_lllPii.uses_flat_scratch, 0
	.set _ZL19rocblas_trsv_deviceILi64ELi16ELb1ELb1ELb1ELb0E19rocblas_complex_numIfEPKS1_S3_PS1_EviT7_lllT6_T8_lllPii.has_dyn_sized_stack, 0
	.set _ZL19rocblas_trsv_deviceILi64ELi16ELb1ELb1ELb1ELb0E19rocblas_complex_numIfEPKS1_S3_PS1_EviT7_lllT6_T8_lllPii.has_recursion, 0
	.set _ZL19rocblas_trsv_deviceILi64ELi16ELb1ELb1ELb1ELb0E19rocblas_complex_numIfEPKS1_S3_PS1_EviT7_lllT6_T8_lllPii.has_indirect_call, 0
	.section	.AMDGPU.csdata,"",@progbits
; Kernel info:
; codeLenInByte = 49452
; TotalNumSgprs: 100
; NumVgprs: 44
; ScratchSize: 0
; MemoryBound: 0
; FloatMode: 240
; IeeeMode: 1
; LDSByteSize: 41480 bytes/workgroup (compile time only)
; SGPRBlocks: 12
; VGPRBlocks: 12
; NumSGPRsForWavesPerEU: 102
; NumVGPRsForWavesPerEU: 49
; Occupancy: 4
; WaveLimiterHint : 0
; COMPUTE_PGM_RSRC2:SCRATCH_EN: 0
; COMPUTE_PGM_RSRC2:USER_SGPR: 6
; COMPUTE_PGM_RSRC2:TRAP_HANDLER: 0
; COMPUTE_PGM_RSRC2:TGID_X_EN: 1
; COMPUTE_PGM_RSRC2:TGID_Y_EN: 0
; COMPUTE_PGM_RSRC2:TGID_Z_EN: 1
; COMPUTE_PGM_RSRC2:TIDIG_COMP_CNT: 1
	.section	.text._ZL19rocblas_trsv_deviceILi64ELi16ELb0ELb0ELb0ELb1E19rocblas_complex_numIfES1_PKS1_PS1_EviT7_lllT6_T8_lllPii,"axG",@progbits,_ZL19rocblas_trsv_deviceILi64ELi16ELb0ELb0ELb0ELb1E19rocblas_complex_numIfES1_PKS1_PS1_EviT7_lllT6_T8_lllPii,comdat
	.globl	_ZL19rocblas_trsv_deviceILi64ELi16ELb0ELb0ELb0ELb1E19rocblas_complex_numIfES1_PKS1_PS1_EviT7_lllT6_T8_lllPii ; -- Begin function _ZL19rocblas_trsv_deviceILi64ELi16ELb0ELb0ELb0ELb1E19rocblas_complex_numIfES1_PKS1_PS1_EviT7_lllT6_T8_lllPii
	.p2align	8
	.type	_ZL19rocblas_trsv_deviceILi64ELi16ELb0ELb0ELb0ELb1E19rocblas_complex_numIfES1_PKS1_PS1_EviT7_lllT6_T8_lllPii,@function
_ZL19rocblas_trsv_deviceILi64ELi16ELb0ELb0ELb0ELb1E19rocblas_complex_numIfES1_PKS1_PS1_EviT7_lllT6_T8_lllPii: ; @_ZL19rocblas_trsv_deviceILi64ELi16ELb0ELb0ELb0ELb1E19rocblas_complex_numIfES1_PKS1_PS1_EviT7_lllT6_T8_lllPii
; %bb.0:
	s_load_dwordx8 s[20:27], s[4:5], 0x8
	s_load_dword s30, s[4:5], 0x0
	s_add_u32 flat_scratch_lo, s6, s10
	s_addc_u32 flat_scratch_hi, s7, 0
	s_add_u32 s0, s0, s10
	s_waitcnt lgkmcnt(0)
	s_mul_i32 s6, s27, s9
	s_mul_hi_u32 s7, s26, s9
	s_addc_u32 s1, s1, 0
	s_add_i32 s7, s7, s6
	s_mul_i32 s6, s26, s9
	s_load_dword s11, s[4:5], 0x60
	s_load_dword s81, s[4:5], 0x6c
	s_lshl_b64 s[6:7], s[6:7], 3
	s_mov_b32 s28, s9
	s_add_u32 s9, s20, s6
	s_addc_u32 s10, s21, s7
	s_lshl_b64 s[6:7], s[22:23], 3
	s_add_u32 s99, s9, s6
	s_addc_u32 s80, s10, s7
	s_waitcnt lgkmcnt(0)
	s_add_i32 s9, s11, -1
	s_sub_i32 s33, s9, s8
	s_cmp_eq_u32 s8, 0
	s_mov_b32 s29, 0
	s_cbranch_scc1 .LBB61_18
; %bb.1:
	s_lshl_b32 s10, s33, 6
	v_add3_u32 v4, v1, s10, 64
	v_ashrrev_i32_e32 v2, 31, v4
	v_mul_lo_u32 v7, s24, v2
	v_mul_lo_u32 v8, s25, v4
	v_mad_u64_u32 v[2:3], s[6:7], s24, v4, 0
	v_add_u32_e32 v5, s10, v0
	v_ashrrev_i32_e32 v6, 31, v5
	v_add3_u32 v3, v3, v7, v8
	v_lshlrev_b64 v[2:3], 3, v[2:3]
	v_mov_b32_e32 v7, s80
	v_add_co_u32_e64 v8, s[6:7], s99, v2
	v_addc_co_u32_e64 v7, s[6:7], v7, v3, s[6:7]
	v_lshlrev_b64 v[2:3], 3, v[5:6]
	v_cmp_gt_i32_e32 vcc, s30, v5
	v_add_co_u32_e64 v2, s[6:7], v8, v2
	v_addc_co_u32_e64 v3, s[6:7], v7, v3, s[6:7]
	v_max_i32_e32 v5, v5, v4
	v_cmp_le_i32_e64 s[6:7], s30, v5
	s_barrier
	s_and_saveexec_b64 s[10:11], s[6:7]
	s_xor_b64 s[6:7], exec, s[10:11]
	s_cbranch_execz .LBB61_3
; %bb.2:
	v_mov_b32_e32 v5, 0
	buffer_store_dword v5, off, s[0:3], 0
	buffer_store_dword v5, off, s[0:3], 0 offset:4
.LBB61_3:
	s_andn2_saveexec_b64 s[6:7], s[6:7]
	s_cbranch_execz .LBB61_5
; %bb.4:
	global_load_dwordx2 v[5:6], v[2:3], off
	s_waitcnt vmcnt(0)
	buffer_store_dword v6, off, s[0:3], 0 offset:4
	buffer_store_dword v5, off, s[0:3], 0
.LBB61_5:
	s_or_b64 exec, exec, s[6:7]
	v_add_u32_e32 v5, 16, v4
	v_cmp_le_i32_e64 s[6:7], s30, v5
	s_xor_b64 s[10:11], vcc, -1
	s_or_b64 s[6:7], s[10:11], s[6:7]
	s_waitcnt vmcnt(0)
	s_barrier
	s_and_saveexec_b64 s[12:13], s[6:7]
	s_xor_b64 s[6:7], exec, s[12:13]
	s_cbranch_execz .LBB61_7
; %bb.6:
	v_mov_b32_e32 v5, 0
	buffer_store_dword v5, off, s[0:3], 0 offset:8
	buffer_store_dword v5, off, s[0:3], 0 offset:12
.LBB61_7:
	s_andn2_saveexec_b64 s[6:7], s[6:7]
	s_cbranch_execz .LBB61_9
; %bb.8:
	s_lshl_b64 s[12:13], s[24:25], 7
	v_mov_b32_e32 v6, s13
	v_add_co_u32_e32 v5, vcc, s12, v2
	v_addc_co_u32_e32 v6, vcc, v3, v6, vcc
	global_load_dwordx2 v[5:6], v[5:6], off
	s_waitcnt vmcnt(0)
	buffer_store_dword v6, off, s[0:3], 0 offset:12
	buffer_store_dword v5, off, s[0:3], 0 offset:8
.LBB61_9:
	s_or_b64 exec, exec, s[6:7]
	v_add_u32_e32 v5, 32, v4
	v_cmp_le_i32_e32 vcc, s30, v5
	s_or_b64 s[6:7], s[10:11], vcc
	s_waitcnt vmcnt(0)
	s_barrier
	s_and_saveexec_b64 s[12:13], s[6:7]
	s_xor_b64 s[6:7], exec, s[12:13]
	s_cbranch_execz .LBB61_11
; %bb.10:
	v_mov_b32_e32 v5, 0
	buffer_store_dword v5, off, s[0:3], 0 offset:16
	buffer_store_dword v5, off, s[0:3], 0 offset:20
.LBB61_11:
	s_andn2_saveexec_b64 s[6:7], s[6:7]
	s_cbranch_execz .LBB61_13
; %bb.12:
	s_lshl_b64 s[12:13], s[24:25], 8
	v_mov_b32_e32 v6, s13
	v_add_co_u32_e32 v5, vcc, s12, v2
	v_addc_co_u32_e32 v6, vcc, v3, v6, vcc
	global_load_dwordx2 v[5:6], v[5:6], off
	s_waitcnt vmcnt(0)
	buffer_store_dword v6, off, s[0:3], 0 offset:20
	buffer_store_dword v5, off, s[0:3], 0 offset:16
.LBB61_13:
	s_or_b64 exec, exec, s[6:7]
	v_add_u32_e32 v4, 48, v4
	v_cmp_le_i32_e32 vcc, s30, v4
	s_or_b64 s[6:7], s[10:11], vcc
	s_waitcnt vmcnt(0)
	s_barrier
	s_and_saveexec_b64 s[10:11], s[6:7]
	s_xor_b64 s[6:7], exec, s[10:11]
	s_cbranch_execz .LBB61_15
; %bb.14:
	v_mov_b32_e32 v2, 0
	buffer_store_dword v2, off, s[0:3], 0 offset:24
	buffer_store_dword v2, off, s[0:3], 0 offset:28
                                        ; implicit-def: $vgpr2_vgpr3
.LBB61_15:
	s_andn2_saveexec_b64 s[6:7], s[6:7]
	s_cbranch_execz .LBB61_17
; %bb.16:
	v_mov_b32_e32 v4, 0x180
	v_mad_u64_u32 v[2:3], s[10:11], s24, v4, v[2:3]
	s_mul_i32 s10, s25, 0x180
	v_add_u32_e32 v3, s10, v3
	global_load_dwordx2 v[2:3], v[2:3], off
	s_waitcnt vmcnt(0)
	buffer_store_dword v3, off, s[0:3], 0 offset:28
	buffer_store_dword v2, off, s[0:3], 0 offset:24
.LBB61_17:
	s_or_b64 exec, exec, s[6:7]
.LBB61_18:
	s_ashr_i32 s31, s30, 31
	s_lshr_b32 s6, s31, 26
	s_add_i32 s6, s30, s6
	s_andn2_b32 s6, s6, 63
	s_sub_i32 s98, s30, s6
	s_add_i32 s6, s30, -1
	s_ashr_i32 s7, s6, 31
	s_lshr_b32 s7, s7, 26
	s_add_i32 s6, s6, s7
	s_ashr_i32 s6, s6, 6
	s_cmp_eq_u32 s6, s33
	s_cselect_b64 s[6:7], -1, 0
	s_cmp_lg_u32 s98, 0
	s_cselect_b64 s[10:11], -1, 0
	s_and_b64 s[22:23], s[10:11], s[6:7]
	s_mov_b64 s[10:11], -1
	s_and_b64 vcc, exec, s[22:23]
	v_cmp_le_u32_e64 s[6:7], v1, v0
	v_lshl_add_u32 v7, v1, 6, v0
	s_cbranch_vccnz .LBB61_44
; %bb.19:
	s_add_u32 s10, s24, 1
	s_addc_u32 s11, s25, 0
	s_lshl_b32 s12, s33, 6
	s_ashr_i32 s13, s12, 31
	s_mul_hi_u32 s14, s10, s12
	s_mul_i32 s13, s10, s13
	s_add_i32 s13, s14, s13
	s_mul_i32 s11, s11, s12
	s_add_i32 s11, s13, s11
	s_mul_i32 s10, s10, s12
	s_lshl_b64 s[10:11], s[10:11], 3
	s_add_u32 s10, s99, s10
	s_addc_u32 s11, s80, s11
	v_lshlrev_b32_e32 v2, 3, v0
	v_mov_b32_e32 v3, s11
	v_add_co_u32_e32 v2, vcc, s10, v2
	v_addc_co_u32_e32 v3, vcc, 0, v3, vcc
	s_and_saveexec_b64 s[10:11], s[6:7]
	s_xor_b64 s[6:7], exec, s[10:11]
	s_cbranch_execz .LBB61_23
; %bb.20:
	v_or_b32_e32 v4, v1, v0
	v_cmp_gt_u32_e32 vcc, 64, v4
	s_and_saveexec_b64 s[10:11], vcc
; %bb.21:
	v_mov_b32_e32 v4, 0
	v_lshlrev_b32_e32 v6, 3, v7
	v_mov_b32_e32 v5, v4
	ds_write_b64 v6, v[4:5]
; %bb.22:
	s_or_b64 exec, exec, s[10:11]
.LBB61_23:
	s_andn2_saveexec_b64 s[6:7], s[6:7]
	s_cbranch_execz .LBB61_25
; %bb.24:
	v_mad_u64_u32 v[4:5], s[10:11], s24, v1, 0
	v_mad_u64_u32 v[5:6], s[10:11], s25, v1, v[5:6]
	v_lshlrev_b32_e32 v6, 3, v7
	v_lshlrev_b64 v[4:5], 3, v[4:5]
	v_add_co_u32_e32 v4, vcc, v2, v4
	v_addc_co_u32_e32 v5, vcc, v3, v5, vcc
	global_load_dwordx2 v[4:5], v[4:5], off
	s_waitcnt vmcnt(0)
	v_xor_b32_e32 v4, 0x80000000, v4
	v_xor_b32_e32 v5, 0x80000000, v5
	ds_write_b64 v6, v[4:5]
.LBB61_25:
	s_or_b64 exec, exec, s[6:7]
	v_add_u32_e32 v5, 16, v1
	v_lshl_add_u32 v4, v5, 6, v0
	v_cmp_le_u32_e32 vcc, v5, v0
	s_and_saveexec_b64 s[6:7], vcc
	s_xor_b64 s[6:7], exec, s[6:7]
	s_cbranch_execz .LBB61_29
; %bb.26:
	v_or_b32_e32 v5, v5, v0
	v_cmp_gt_u32_e32 vcc, 64, v5
	s_and_saveexec_b64 s[10:11], vcc
; %bb.27:
	v_lshlrev_b32_e32 v6, 3, v4
	v_mov_b32_e32 v4, 0
	v_mov_b32_e32 v5, v4
	ds_write_b64 v6, v[4:5]
; %bb.28:
	s_or_b64 exec, exec, s[10:11]
                                        ; implicit-def: $vgpr5
                                        ; implicit-def: $vgpr4
.LBB61_29:
	s_andn2_saveexec_b64 s[6:7], s[6:7]
	s_cbranch_execz .LBB61_31
; %bb.30:
	v_mad_u64_u32 v[8:9], s[10:11], s24, v5, 0
	v_lshlrev_b32_e32 v4, 3, v4
	v_mov_b32_e32 v6, v9
	v_mad_u64_u32 v[5:6], s[10:11], s25, v5, v[6:7]
	v_mov_b32_e32 v9, v5
	v_lshlrev_b64 v[5:6], 3, v[8:9]
	v_add_co_u32_e32 v5, vcc, v2, v5
	v_addc_co_u32_e32 v6, vcc, v3, v6, vcc
	global_load_dwordx2 v[5:6], v[5:6], off
	s_waitcnt vmcnt(0)
	v_xor_b32_e32 v5, 0x80000000, v5
	v_xor_b32_e32 v6, 0x80000000, v6
	ds_write_b64 v4, v[5:6]
.LBB61_31:
	s_or_b64 exec, exec, s[6:7]
	v_add_u32_e32 v5, 32, v1
	v_lshl_add_u32 v4, v5, 6, v0
	v_cmp_le_u32_e32 vcc, v5, v0
	s_and_saveexec_b64 s[6:7], vcc
	s_xor_b64 s[6:7], exec, s[6:7]
	s_cbranch_execz .LBB61_35
; %bb.32:
	v_or_b32_e32 v5, v5, v0
	v_cmp_gt_u32_e32 vcc, 64, v5
	s_and_saveexec_b64 s[10:11], vcc
; %bb.33:
	v_lshlrev_b32_e32 v6, 3, v4
	v_mov_b32_e32 v4, 0
	v_mov_b32_e32 v5, v4
	ds_write_b64 v6, v[4:5]
; %bb.34:
	s_or_b64 exec, exec, s[10:11]
                                        ; implicit-def: $vgpr5
                                        ; implicit-def: $vgpr4
.LBB61_35:
	s_andn2_saveexec_b64 s[6:7], s[6:7]
	s_cbranch_execz .LBB61_37
; %bb.36:
	v_mad_u64_u32 v[8:9], s[10:11], s24, v5, 0
	v_lshlrev_b32_e32 v4, 3, v4
	v_mov_b32_e32 v6, v9
	v_mad_u64_u32 v[5:6], s[10:11], s25, v5, v[6:7]
	v_mov_b32_e32 v9, v5
	v_lshlrev_b64 v[5:6], 3, v[8:9]
	v_add_co_u32_e32 v5, vcc, v2, v5
	v_addc_co_u32_e32 v6, vcc, v3, v6, vcc
	global_load_dwordx2 v[5:6], v[5:6], off
	s_waitcnt vmcnt(0)
	v_xor_b32_e32 v5, 0x80000000, v5
	v_xor_b32_e32 v6, 0x80000000, v6
	ds_write_b64 v4, v[5:6]
.LBB61_37:
	s_or_b64 exec, exec, s[6:7]
	v_add_u32_e32 v5, 48, v1
	v_lshl_add_u32 v4, v5, 6, v0
	v_cmp_le_u32_e32 vcc, v5, v0
	s_and_saveexec_b64 s[6:7], vcc
	s_xor_b64 s[6:7], exec, s[6:7]
	s_cbranch_execz .LBB61_41
; %bb.38:
	v_or_b32_e32 v2, v5, v0
	v_cmp_gt_u32_e32 vcc, 64, v2
	s_and_saveexec_b64 s[10:11], vcc
; %bb.39:
	v_mov_b32_e32 v2, 0
	v_lshlrev_b32_e32 v4, 3, v4
	v_mov_b32_e32 v3, v2
	ds_write_b64 v4, v[2:3]
; %bb.40:
	s_or_b64 exec, exec, s[10:11]
                                        ; implicit-def: $vgpr5
                                        ; implicit-def: $vgpr2
                                        ; implicit-def: $vgpr3
                                        ; implicit-def: $vgpr4
.LBB61_41:
	s_andn2_saveexec_b64 s[6:7], s[6:7]
	s_cbranch_execz .LBB61_43
; %bb.42:
	v_mad_u64_u32 v[8:9], s[10:11], s24, v5, 0
	v_lshlrev_b32_e32 v4, 3, v4
	v_mov_b32_e32 v6, v9
	v_mad_u64_u32 v[5:6], s[10:11], s25, v5, v[6:7]
	v_mov_b32_e32 v9, v5
	v_lshlrev_b64 v[5:6], 3, v[8:9]
	v_add_co_u32_e32 v2, vcc, v2, v5
	v_addc_co_u32_e32 v3, vcc, v3, v6, vcc
	global_load_dwordx2 v[2:3], v[2:3], off
	s_waitcnt vmcnt(0)
	v_xor_b32_e32 v2, 0x80000000, v2
	v_xor_b32_e32 v3, 0x80000000, v3
	ds_write_b64 v4, v[2:3]
.LBB61_43:
	s_or_b64 exec, exec, s[6:7]
	s_mov_b64 s[10:11], 0
.LBB61_44:
	s_and_b64 vcc, exec, s[10:11]
	s_cbranch_vccz .LBB61_70
; %bb.45:
	s_add_u32 s6, s24, 1
	s_addc_u32 s7, s25, 0
	s_lshl_b32 s10, s33, 6
	s_ashr_i32 s11, s10, 31
	s_mul_hi_u32 s12, s6, s10
	s_mul_i32 s11, s6, s11
	s_add_i32 s11, s12, s11
	s_mul_i32 s7, s7, s10
	s_add_i32 s7, s11, s7
	s_mul_i32 s6, s6, s10
	s_lshl_b64 s[6:7], s[6:7], 3
	s_add_u32 s6, s99, s6
	s_addc_u32 s7, s80, s7
	v_lshlrev_b32_e32 v2, 3, v0
	v_mov_b32_e32 v3, s7
	v_add_co_u32_e64 v2, s[6:7], s6, v2
	v_addc_co_u32_e64 v3, s[6:7], 0, v3, s[6:7]
	v_max_i32_e32 v4, v1, v0
	v_cmp_le_u32_e64 s[6:7], v1, v0
	v_cmp_le_i32_e64 s[10:11], s98, v4
	v_cmp_gt_i32_e32 vcc, s98, v0
	s_or_b64 s[6:7], s[10:11], s[6:7]
	s_and_saveexec_b64 s[10:11], s[6:7]
	s_xor_b64 s[10:11], exec, s[10:11]
	s_cbranch_execz .LBB61_49
; %bb.46:
	v_or_b32_e32 v4, v1, v0
	v_cmp_gt_u32_e64 s[6:7], 64, v4
	s_and_saveexec_b64 s[12:13], s[6:7]
; %bb.47:
	v_mov_b32_e32 v4, 0
	v_lshlrev_b32_e32 v6, 3, v7
	v_mov_b32_e32 v5, v4
	ds_write_b64 v6, v[4:5]
; %bb.48:
	s_or_b64 exec, exec, s[12:13]
.LBB61_49:
	s_andn2_saveexec_b64 s[10:11], s[10:11]
	s_cbranch_execz .LBB61_51
; %bb.50:
	v_mad_u64_u32 v[4:5], s[6:7], s24, v1, 0
	v_mad_u64_u32 v[5:6], s[6:7], s25, v1, v[5:6]
	v_lshlrev_b32_e32 v6, 3, v7
	v_lshlrev_b64 v[4:5], 3, v[4:5]
	v_add_co_u32_e64 v4, s[6:7], v2, v4
	v_addc_co_u32_e64 v5, s[6:7], v3, v5, s[6:7]
	global_load_dwordx2 v[4:5], v[4:5], off
	s_waitcnt vmcnt(0)
	v_xor_b32_e32 v4, 0x80000000, v4
	v_xor_b32_e32 v5, 0x80000000, v5
	ds_write_b64 v6, v[4:5]
.LBB61_51:
	s_or_b64 exec, exec, s[10:11]
	v_add_u32_e32 v5, 16, v1
	v_cmp_gt_u32_e64 s[6:7], v5, v0
	v_cmp_gt_i32_e64 s[10:11], s98, v5
	s_and_b64 s[6:7], s[6:7], s[10:11]
	s_and_b64 s[6:7], s[6:7], vcc
	v_lshl_add_u32 v4, v5, 6, v0
	s_xor_b64 s[6:7], s[6:7], -1
	s_and_saveexec_b64 s[10:11], s[6:7]
	s_xor_b64 s[10:11], exec, s[10:11]
	s_cbranch_execz .LBB61_55
; %bb.52:
	v_or_b32_e32 v5, v5, v0
	v_cmp_gt_u32_e64 s[6:7], 64, v5
	s_and_saveexec_b64 s[12:13], s[6:7]
; %bb.53:
	v_lshlrev_b32_e32 v6, 3, v4
	v_mov_b32_e32 v4, 0
	v_mov_b32_e32 v5, v4
	ds_write_b64 v6, v[4:5]
; %bb.54:
	s_or_b64 exec, exec, s[12:13]
                                        ; implicit-def: $vgpr5
                                        ; implicit-def: $vgpr4
.LBB61_55:
	s_andn2_saveexec_b64 s[10:11], s[10:11]
	s_cbranch_execz .LBB61_57
; %bb.56:
	v_mad_u64_u32 v[8:9], s[6:7], s24, v5, 0
	v_lshlrev_b32_e32 v4, 3, v4
	v_mov_b32_e32 v6, v9
	v_mad_u64_u32 v[5:6], s[6:7], s25, v5, v[6:7]
	v_mov_b32_e32 v9, v5
	v_lshlrev_b64 v[5:6], 3, v[8:9]
	v_add_co_u32_e64 v5, s[6:7], v2, v5
	v_addc_co_u32_e64 v6, s[6:7], v3, v6, s[6:7]
	global_load_dwordx2 v[5:6], v[5:6], off
	s_waitcnt vmcnt(0)
	v_xor_b32_e32 v5, 0x80000000, v5
	v_xor_b32_e32 v6, 0x80000000, v6
	ds_write_b64 v4, v[5:6]
.LBB61_57:
	s_or_b64 exec, exec, s[10:11]
	v_add_u32_e32 v5, 32, v1
	v_cmp_gt_u32_e64 s[6:7], v5, v0
	v_cmp_gt_i32_e64 s[10:11], s98, v5
	s_and_b64 s[6:7], s[6:7], s[10:11]
	s_and_b64 s[6:7], s[6:7], vcc
	v_lshl_add_u32 v4, v5, 6, v0
	s_xor_b64 s[6:7], s[6:7], -1
	s_and_saveexec_b64 s[10:11], s[6:7]
	s_xor_b64 s[10:11], exec, s[10:11]
	s_cbranch_execz .LBB61_61
; %bb.58:
	v_or_b32_e32 v5, v5, v0
	v_cmp_gt_u32_e64 s[6:7], 64, v5
	s_and_saveexec_b64 s[12:13], s[6:7]
; %bb.59:
	v_lshlrev_b32_e32 v6, 3, v4
	v_mov_b32_e32 v4, 0
	v_mov_b32_e32 v5, v4
	ds_write_b64 v6, v[4:5]
; %bb.60:
	s_or_b64 exec, exec, s[12:13]
                                        ; implicit-def: $vgpr5
                                        ; implicit-def: $vgpr4
.LBB61_61:
	s_andn2_saveexec_b64 s[10:11], s[10:11]
	s_cbranch_execz .LBB61_63
; %bb.62:
	v_mad_u64_u32 v[8:9], s[6:7], s24, v5, 0
	v_lshlrev_b32_e32 v4, 3, v4
	v_mov_b32_e32 v6, v9
	v_mad_u64_u32 v[5:6], s[6:7], s25, v5, v[6:7]
	v_mov_b32_e32 v9, v5
	v_lshlrev_b64 v[5:6], 3, v[8:9]
	v_add_co_u32_e64 v5, s[6:7], v2, v5
	v_addc_co_u32_e64 v6, s[6:7], v3, v6, s[6:7]
	global_load_dwordx2 v[5:6], v[5:6], off
	s_waitcnt vmcnt(0)
	v_xor_b32_e32 v5, 0x80000000, v5
	v_xor_b32_e32 v6, 0x80000000, v6
	ds_write_b64 v4, v[5:6]
.LBB61_63:
	s_or_b64 exec, exec, s[10:11]
	v_add_u32_e32 v5, 48, v1
	v_cmp_gt_u32_e64 s[6:7], v5, v0
	v_cmp_gt_i32_e64 s[10:11], s98, v5
	s_and_b64 s[6:7], s[6:7], s[10:11]
	s_and_b64 s[6:7], s[6:7], vcc
	v_lshl_add_u32 v4, v5, 6, v0
	s_xor_b64 s[6:7], s[6:7], -1
	s_and_saveexec_b64 s[10:11], s[6:7]
	s_xor_b64 s[6:7], exec, s[10:11]
	s_cbranch_execz .LBB61_67
; %bb.64:
	v_or_b32_e32 v2, v5, v0
	v_cmp_gt_u32_e32 vcc, 64, v2
	s_and_saveexec_b64 s[10:11], vcc
; %bb.65:
	v_mov_b32_e32 v2, 0
	v_lshlrev_b32_e32 v4, 3, v4
	v_mov_b32_e32 v3, v2
	ds_write_b64 v4, v[2:3]
; %bb.66:
	s_or_b64 exec, exec, s[10:11]
                                        ; implicit-def: $vgpr5
                                        ; implicit-def: $vgpr2
                                        ; implicit-def: $vgpr3
                                        ; implicit-def: $vgpr4
.LBB61_67:
	s_andn2_saveexec_b64 s[6:7], s[6:7]
	s_cbranch_execz .LBB61_69
; %bb.68:
	v_mad_u64_u32 v[8:9], s[10:11], s24, v5, 0
	v_lshlrev_b32_e32 v4, 3, v4
	v_mov_b32_e32 v6, v9
	v_mad_u64_u32 v[5:6], s[10:11], s25, v5, v[6:7]
	v_mov_b32_e32 v9, v5
	v_lshlrev_b64 v[5:6], 3, v[8:9]
	v_add_co_u32_e32 v2, vcc, v2, v5
	v_addc_co_u32_e32 v3, vcc, v3, v6, vcc
	global_load_dwordx2 v[2:3], v[2:3], off
	s_waitcnt vmcnt(0)
	v_xor_b32_e32 v2, 0x80000000, v2
	v_xor_b32_e32 v3, 0x80000000, v3
	ds_write_b64 v4, v[2:3]
.LBB61_69:
	s_or_b64 exec, exec, s[6:7]
.LBB61_70:
	s_cmp_lt_i32 s8, 5
	s_cselect_b64 s[6:7], -1, 0
	s_or_b64 s[26:27], s[6:7], s[22:23]
	s_and_b64 vcc, exec, s[26:27]
	s_waitcnt vmcnt(0) lgkmcnt(0)
	s_barrier
	s_cbranch_vccnz .LBB61_930
; %bb.71:
	v_or_b32_e32 v2, v0, v1
	s_mov_b32 s11, 0
	v_cmp_eq_u32_e32 vcc, 0, v2
	s_and_saveexec_b64 s[6:7], vcc
	s_cbranch_execz .LBB61_73
; %bb.72:
	s_mov_b32 s10, 1.0
	v_mov_b32_e32 v2, s10
	v_mov_b32_e32 v3, s11
	s_movk_i32 s10, 0x7800
	v_add_u32_e64 v4, s10, 0
	ds_write2_b64 v4, v[2:3], v[2:3] offset0:190 offset1:255
.LBB61_73:
	s_or_b64 exec, exec, s[6:7]
	v_lshlrev_b32_e32 v2, 6, v1
	v_add_u32_e32 v8, v2, v0
	v_and_b32_e32 v3, v2, v0
	v_xor_b32_e32 v2, v2, v0
	v_lshrrev_b16_e32 v2, 1, v2
	v_add_u16_e32 v6, v3, v2
	v_and_b32_e32 v4, 1, v0
	v_sub_u32_e32 v5, 1, v6
	v_cmp_lt_u32_e64 s[10:11], 3, v8
	v_cmp_gt_u32_e64 s[6:7], 4, v8
	v_mov_b32_e32 v2, 0
	v_mov_b32_e32 v3, 0
	s_waitcnt lgkmcnt(0)
	s_barrier
	buffer_wbinvl1_vol
	s_and_saveexec_b64 s[14:15], s[6:7]
	s_cbranch_execz .LBB61_77
; %bb.74:
	v_lshlrev_b32_e32 v2, 3, v4
	v_lshlrev_b32_e32 v9, 9, v5
	ds_read_b64 v[2:3], v2 offset:32224
	ds_read_b64 v[9:10], v9 offset:32240
	v_cmp_gt_u32_e64 s[12:13], 2, v8
	s_waitcnt lgkmcnt(0)
	v_mul_f32_e32 v11, v10, v3
	v_mul_f32_e32 v3, v9, v3
	v_fma_f32 v9, v9, v2, -v11
	v_fmac_f32_e32 v3, v10, v2
	v_add_f32_e32 v2, 0, v9
	v_add_f32_e32 v3, 0, v3
	s_and_saveexec_b64 s[16:17], s[12:13]
	s_cbranch_execz .LBB61_76
; %bb.75:
	v_lshlrev_b32_e32 v9, 3, v0
	v_mov_b32_e32 v11, 0
	ds_read_b64 v[9:10], v9 offset:32736
	ds_read_b64 v[11:12], v11 offset:32760
	s_waitcnt lgkmcnt(0)
	v_mul_f32_e32 v13, v12, v10
	v_mul_f32_e32 v10, v11, v10
	v_fma_f32 v11, v11, v9, -v13
	v_fmac_f32_e32 v10, v12, v9
	v_add_f32_e32 v2, v2, v11
	v_add_f32_e32 v3, v3, v10
.LBB61_76:
	s_or_b64 exec, exec, s[16:17]
.LBB61_77:
	s_or_b64 exec, exec, s[14:15]
	v_mov_b32_e32 v9, 0x8000
	v_cmp_ne_u32_e64 s[12:13], 0, v4
	s_xor_b64 s[14:15], s[10:11], -1
	v_lshl_add_u32 v6, v6, 3, v9
	s_and_b64 s[36:37], s[12:13], s[14:15]
	s_and_saveexec_b64 s[10:11], s[36:37]
; %bb.78:
	v_xor_b32_e32 v10, 0x80000000, v3
	v_xor_b32_e32 v9, 0x80000000, v2
	ds_write_b64 v6, v[9:10]
; %bb.79:
	s_or_b64 exec, exec, s[10:11]
	v_cmp_eq_u32_e64 s[10:11], 0, v4
	s_and_b64 s[34:35], s[10:11], s[14:15]
	s_waitcnt lgkmcnt(0)
	s_barrier
	s_and_saveexec_b64 s[10:11], s[34:35]
	s_cbranch_execz .LBB61_81
; %bb.80:
	v_mov_b32_e32 v9, 0
	ds_read_b64 v[9:10], v9 offset:31712
	ds_read_b64 v[11:12], v6
	s_waitcnt lgkmcnt(0)
	v_mul_f32_e32 v13, v11, v9
	v_mul_f32_e32 v11, v11, v10
	v_fmac_f32_e32 v11, v12, v9
	v_fma_f32 v9, v12, v10, -v13
	v_add_f32_e32 v2, v2, v9
	v_sub_f32_e32 v3, v3, v11
.LBB61_81:
	s_or_b64 exec, exec, s[10:11]
	s_barrier
	s_and_saveexec_b64 s[10:11], s[34:35]
; %bb.82:
	v_xor_b32_e32 v10, 0x80000000, v3
	v_xor_b32_e32 v9, 0x80000000, v2
	ds_write_b64 v6, v[9:10]
; %bb.83:
	s_or_b64 exec, exec, s[10:11]
	s_waitcnt lgkmcnt(0)
	s_barrier
	s_barrier
	s_and_saveexec_b64 s[10:11], s[6:7]
; %bb.84:
	v_lshlrev_b32_e32 v9, 3, v4
	v_lshl_or_b32 v9, v5, 9, v9
	ds_write_b64 v9, v[2:3] offset:32224
; %bb.85:
	s_or_b64 exec, exec, s[10:11]
	s_waitcnt lgkmcnt(0)
	s_barrier
	s_barrier
	s_and_saveexec_b64 s[10:11], vcc
	s_cbranch_execz .LBB61_87
; %bb.86:
	s_mov_b64 s[12:13], 0x3f800000
	v_mov_b32_e32 v2, s12
	v_mov_b32_e32 v3, s13
	s_movk_i32 s12, 0x7800
	v_add_u32_e64 v9, s12, 0
	ds_write2_b64 v9, v[2:3], v[2:3] offset0:60 offset1:125
.LBB61_87:
	s_or_b64 exec, exec, s[10:11]
	v_lshrrev_b32_e32 v11, 2, v8
	v_and_b32_e32 v9, 3, v0
	v_sub_u32_e32 v10, 3, v11
	v_cmp_lt_u32_e64 s[10:11], 15, v8
	v_cmp_gt_u32_e64 s[18:19], 16, v8
	v_mov_b32_e32 v3, 0
	v_mov_b32_e32 v2, 0
	s_waitcnt lgkmcnt(0)
	s_barrier
	buffer_wbinvl1_vol
	s_and_saveexec_b64 s[14:15], s[18:19]
	s_cbranch_execz .LBB61_93
; %bb.88:
	v_lshlrev_b32_e32 v12, 3, v9
	v_lshlrev_b32_e32 v13, 9, v10
	ds_read_b64 v[2:3], v12 offset:31168
	ds_read_b64 v[14:15], v13 offset:31200
	v_cmp_gt_u32_e64 s[12:13], 12, v8
	s_waitcnt lgkmcnt(0)
	v_mul_f32_e32 v16, v15, v3
	v_mul_f32_e32 v3, v14, v3
	v_fma_f32 v14, v14, v2, -v16
	v_fmac_f32_e32 v3, v15, v2
	v_add_f32_e32 v2, 0, v14
	v_add_f32_e32 v3, 0, v3
	s_and_saveexec_b64 s[16:17], s[12:13]
	s_cbranch_execnz .LBB61_988
; %bb.89:
	s_or_b64 exec, exec, s[16:17]
	v_cmp_gt_u32_e64 s[12:13], 8, v8
	s_and_saveexec_b64 s[16:17], s[12:13]
	s_cbranch_execnz .LBB61_989
.LBB61_90:
	s_or_b64 exec, exec, s[16:17]
	v_cmp_gt_u32_e64 s[12:13], 4, v8
	s_and_saveexec_b64 s[16:17], s[12:13]
	s_cbranch_execz .LBB61_92
.LBB61_91:
	v_lshlrev_b32_e32 v12, 3, v0
	v_mov_b32_e32 v14, 0
	ds_read_b64 v[12:13], v12 offset:32704
	ds_read_b64 v[14:15], v14 offset:32760
	s_waitcnt lgkmcnt(0)
	v_mul_f32_e32 v16, v15, v13
	v_mul_f32_e32 v13, v14, v13
	v_fma_f32 v14, v14, v12, -v16
	v_fmac_f32_e32 v13, v15, v12
	v_add_f32_e32 v2, v2, v14
	v_add_f32_e32 v3, v3, v13
.LBB61_92:
	s_or_b64 exec, exec, s[16:17]
.LBB61_93:
	s_or_b64 exec, exec, s[14:15]
	v_mov_b32_e32 v12, 0x8000
	v_cmp_eq_u32_e64 s[12:13], 3, v9
	s_xor_b64 s[14:15], s[10:11], -1
	v_lshl_add_u32 v11, v11, 3, v12
	s_and_b64 s[40:41], s[12:13], s[14:15]
	s_and_saveexec_b64 s[10:11], s[40:41]
; %bb.94:
	v_xor_b32_e32 v12, 0x80000000, v2
	v_xor_b32_e32 v13, 0x80000000, v3
	ds_write_b64 v11, v[12:13]
; %bb.95:
	s_or_b64 exec, exec, s[10:11]
	v_cmp_ne_u32_e64 s[10:11], 3, v9
	s_and_b64 s[42:43], s[10:11], s[14:15]
	s_waitcnt lgkmcnt(0)
	s_barrier
	s_and_saveexec_b64 s[10:11], s[42:43]
	s_cbranch_execz .LBB61_97
; %bb.96:
	v_lshlrev_b32_e32 v12, 3, v9
	ds_read_b64 v[12:13], v12 offset:30656
	ds_read_b64 v[14:15], v11
	s_waitcnt lgkmcnt(0)
	v_mul_f32_e32 v16, v15, v13
	v_mul_f32_e32 v13, v14, v13
	v_fma_f32 v14, v14, v12, -v16
	v_fmac_f32_e32 v13, v15, v12
	v_sub_f32_e32 v2, v2, v14
	v_sub_f32_e32 v3, v3, v13
.LBB61_97:
	s_or_b64 exec, exec, s[10:11]
	v_cmp_eq_u32_e64 s[10:11], 2, v9
	s_and_b64 s[44:45], s[10:11], s[14:15]
	s_barrier
	s_and_saveexec_b64 s[10:11], s[44:45]
; %bb.98:
	v_xor_b32_e32 v12, 0x80000000, v2
	v_xor_b32_e32 v13, 0x80000000, v3
	ds_write_b64 v11, v[12:13]
; %bb.99:
	s_or_b64 exec, exec, s[10:11]
	v_cmp_gt_u32_e64 s[10:11], 2, v9
	s_and_b64 s[46:47], s[10:11], s[14:15]
	s_waitcnt lgkmcnt(0)
	s_barrier
	s_and_saveexec_b64 s[10:11], s[46:47]
	s_cbranch_execz .LBB61_101
; %bb.100:
	v_lshlrev_b32_e32 v12, 3, v9
	ds_read_b64 v[12:13], v12 offset:30144
	ds_read_b64 v[14:15], v11
	s_waitcnt lgkmcnt(0)
	v_mul_f32_e32 v16, v15, v13
	v_mul_f32_e32 v13, v14, v13
	v_fma_f32 v14, v14, v12, -v16
	v_fmac_f32_e32 v13, v15, v12
	v_sub_f32_e32 v2, v2, v14
	v_sub_f32_e32 v3, v3, v13
.LBB61_101:
	s_or_b64 exec, exec, s[10:11]
	v_cmp_eq_u32_e64 s[10:11], 1, v9
	s_and_b64 s[48:49], s[10:11], s[14:15]
	s_barrier
	s_and_saveexec_b64 s[10:11], s[48:49]
; %bb.102:
	v_xor_b32_e32 v12, 0x80000000, v2
	v_xor_b32_e32 v13, 0x80000000, v3
	ds_write_b64 v11, v[12:13]
; %bb.103:
	s_or_b64 exec, exec, s[10:11]
	v_cmp_eq_u32_e64 s[10:11], 0, v9
	s_and_b64 s[38:39], s[10:11], s[14:15]
	s_waitcnt lgkmcnt(0)
	s_barrier
	s_and_saveexec_b64 s[10:11], s[38:39]
	s_cbranch_execz .LBB61_105
; %bb.104:
	v_mov_b32_e32 v12, 0
	ds_read_b64 v[12:13], v12 offset:29632
	ds_read_b64 v[14:15], v11
	s_waitcnt lgkmcnt(0)
	v_mul_f32_e32 v16, v15, v13
	v_mul_f32_e32 v13, v14, v13
	v_fma_f32 v14, v14, v12, -v16
	v_fmac_f32_e32 v13, v15, v12
	v_sub_f32_e32 v2, v2, v14
	v_sub_f32_e32 v3, v3, v13
.LBB61_105:
	s_or_b64 exec, exec, s[10:11]
	s_barrier
	s_and_saveexec_b64 s[10:11], s[38:39]
; %bb.106:
	v_xor_b32_e32 v12, 0x80000000, v2
	v_xor_b32_e32 v13, 0x80000000, v3
	ds_write_b64 v11, v[12:13]
; %bb.107:
	s_or_b64 exec, exec, s[10:11]
	s_waitcnt lgkmcnt(0)
	s_barrier
	s_barrier
	s_and_saveexec_b64 s[10:11], s[18:19]
; %bb.108:
	v_lshlrev_b32_e32 v12, 3, v9
	v_lshl_or_b32 v12, v10, 9, v12
	ds_write_b64 v12, v[2:3] offset:31168
; %bb.109:
	s_or_b64 exec, exec, s[10:11]
	s_waitcnt lgkmcnt(0)
	s_barrier
	s_barrier
	s_and_saveexec_b64 s[10:11], vcc
	s_cbranch_execz .LBB61_111
; %bb.110:
	s_mov_b64 s[12:13], 0x3f800000
	v_mov_b32_e32 v2, s12
	v_mov_b32_e32 v3, s13
	s_movk_i32 s12, 0x7000
	v_add_u32_e64 v12, s12, 0
	ds_write2_b64 v12, v[2:3], v[2:3] offset0:186 offset1:251
.LBB61_111:
	s_or_b64 exec, exec, s[10:11]
	v_mov_b32_e32 v2, 0
	v_mov_b32_e32 v3, 0
	s_waitcnt lgkmcnt(0)
	s_barrier
	buffer_wbinvl1_vol
	s_and_saveexec_b64 s[12:13], s[6:7]
	s_cbranch_execz .LBB61_115
; %bb.112:
	v_lshlrev_b32_e32 v2, 3, v4
	v_lshlrev_b32_e32 v12, 9, v5
	ds_read_b64 v[2:3], v2 offset:30144
	ds_read_b64 v[12:13], v12 offset:30160
	v_cmp_gt_u32_e64 s[10:11], 2, v8
	s_waitcnt lgkmcnt(0)
	v_mul_f32_e32 v14, v13, v3
	v_mul_f32_e32 v3, v12, v3
	v_fma_f32 v12, v12, v2, -v14
	v_fmac_f32_e32 v3, v13, v2
	v_add_f32_e32 v2, 0, v12
	v_add_f32_e32 v3, 0, v3
	s_and_saveexec_b64 s[14:15], s[10:11]
	s_cbranch_execz .LBB61_114
; %bb.113:
	v_lshlrev_b32_e32 v12, 3, v0
	v_mov_b32_e32 v14, 0
	ds_read_b64 v[12:13], v12 offset:30656
	ds_read_b64 v[14:15], v14 offset:30680
	s_waitcnt lgkmcnt(0)
	v_mul_f32_e32 v16, v15, v13
	v_mul_f32_e32 v13, v14, v13
	v_fma_f32 v14, v14, v12, -v16
	v_fmac_f32_e32 v13, v15, v12
	v_add_f32_e32 v2, v2, v14
	v_add_f32_e32 v3, v3, v13
.LBB61_114:
	s_or_b64 exec, exec, s[14:15]
.LBB61_115:
	s_or_b64 exec, exec, s[12:13]
	s_and_saveexec_b64 s[10:11], s[36:37]
; %bb.116:
	v_xor_b32_e32 v13, 0x80000000, v3
	v_xor_b32_e32 v12, 0x80000000, v2
	ds_write_b64 v6, v[12:13]
; %bb.117:
	s_or_b64 exec, exec, s[10:11]
	s_waitcnt lgkmcnt(0)
	s_barrier
	s_and_saveexec_b64 s[10:11], s[34:35]
	s_cbranch_execz .LBB61_119
; %bb.118:
	v_mov_b32_e32 v12, 0
	ds_read_b64 v[12:13], v12 offset:29632
	ds_read_b64 v[14:15], v6
	s_waitcnt lgkmcnt(0)
	v_mul_f32_e32 v16, v14, v12
	v_mul_f32_e32 v14, v14, v13
	v_fmac_f32_e32 v14, v15, v12
	v_fma_f32 v12, v15, v13, -v16
	v_add_f32_e32 v2, v2, v12
	v_sub_f32_e32 v3, v3, v14
.LBB61_119:
	s_or_b64 exec, exec, s[10:11]
	s_barrier
	s_and_saveexec_b64 s[10:11], s[34:35]
; %bb.120:
	v_xor_b32_e32 v13, 0x80000000, v3
	v_xor_b32_e32 v12, 0x80000000, v2
	ds_write_b64 v6, v[12:13]
; %bb.121:
	s_or_b64 exec, exec, s[10:11]
	s_waitcnt lgkmcnt(0)
	s_barrier
	s_barrier
	s_and_saveexec_b64 s[10:11], s[6:7]
; %bb.122:
	v_lshlrev_b32_e32 v12, 3, v4
	v_lshl_or_b32 v12, v5, 9, v12
	ds_write_b64 v12, v[2:3] offset:30144
; %bb.123:
	s_or_b64 exec, exec, s[10:11]
	s_waitcnt lgkmcnt(0)
	s_barrier
	s_barrier
	s_and_saveexec_b64 s[10:11], vcc
	s_cbranch_execz .LBB61_125
; %bb.124:
	s_mov_b64 s[12:13], 0x3f800000
	v_mov_b32_e32 v2, s12
	v_mov_b32_e32 v3, s13
	s_movk_i32 s12, 0x7000
	v_add_u32_e64 v12, s12, 0
	ds_write2_b64 v12, v[2:3], v[2:3] offset0:56 offset1:121
.LBB61_125:
	s_or_b64 exec, exec, s[10:11]
	v_lshrrev_b32_e32 v14, 3, v8
	v_and_b32_e32 v12, 7, v0
	v_sub_u32_e32 v13, 7, v14
	v_cmp_lt_u32_e64 s[12:13], 63, v8
	v_cmp_gt_u32_e64 s[10:11], 64, v8
	v_mov_b32_e32 v3, 0
	v_mov_b32_e32 v2, 0
	s_waitcnt lgkmcnt(0)
	s_barrier
	buffer_wbinvl1_vol
	s_and_saveexec_b64 s[16:17], s[10:11]
	s_cbranch_execz .LBB61_135
; %bb.126:
	v_lshlrev_b32_e32 v15, 3, v12
	v_lshlrev_b32_e32 v16, 9, v13
	ds_read_b64 v[2:3], v15 offset:29056
	ds_read_b64 v[17:18], v16 offset:29120
	v_cmp_gt_u32_e64 s[14:15], 56, v8
	s_waitcnt lgkmcnt(0)
	v_mul_f32_e32 v19, v18, v3
	v_mul_f32_e32 v3, v17, v3
	v_fma_f32 v17, v17, v2, -v19
	v_fmac_f32_e32 v3, v18, v2
	v_add_f32_e32 v2, 0, v17
	v_add_f32_e32 v3, 0, v3
	s_and_saveexec_b64 s[20:21], s[14:15]
	s_cbranch_execnz .LBB61_990
; %bb.127:
	s_or_b64 exec, exec, s[20:21]
	v_cmp_gt_u32_e64 s[14:15], 48, v8
	s_and_saveexec_b64 s[20:21], s[14:15]
	s_cbranch_execnz .LBB61_991
.LBB61_128:
	s_or_b64 exec, exec, s[20:21]
	v_cmp_gt_u32_e64 s[14:15], 40, v8
	s_and_saveexec_b64 s[20:21], s[14:15]
	s_cbranch_execnz .LBB61_992
.LBB61_129:
	s_or_b64 exec, exec, s[20:21]
	v_cmp_gt_u32_e64 s[14:15], 32, v8
	s_and_saveexec_b64 s[20:21], s[14:15]
	s_cbranch_execnz .LBB61_993
.LBB61_130:
	s_or_b64 exec, exec, s[20:21]
	v_cmp_gt_u32_e64 s[14:15], 24, v8
	s_and_saveexec_b64 s[20:21], s[14:15]
	s_cbranch_execnz .LBB61_994
.LBB61_131:
	s_or_b64 exec, exec, s[20:21]
	s_and_saveexec_b64 s[14:15], s[18:19]
	s_cbranch_execnz .LBB61_995
.LBB61_132:
	s_or_b64 exec, exec, s[14:15]
	v_cmp_gt_u32_e64 s[14:15], 8, v8
	s_and_saveexec_b64 s[20:21], s[14:15]
	s_cbranch_execz .LBB61_134
.LBB61_133:
	v_lshlrev_b32_e32 v15, 3, v0
	v_mov_b32_e32 v17, 0
	ds_read_b64 v[15:16], v15 offset:32640
	ds_read_b64 v[17:18], v17 offset:32760
	s_waitcnt lgkmcnt(0)
	v_mul_f32_e32 v19, v18, v16
	v_mul_f32_e32 v16, v17, v16
	v_fma_f32 v17, v17, v15, -v19
	v_fmac_f32_e32 v16, v18, v15
	v_add_f32_e32 v2, v2, v17
	v_add_f32_e32 v3, v3, v16
.LBB61_134:
	s_or_b64 exec, exec, s[20:21]
.LBB61_135:
	s_or_b64 exec, exec, s[16:17]
	v_mov_b32_e32 v15, 0x8000
	v_cmp_eq_u32_e64 s[14:15], 7, v12
	s_xor_b64 s[16:17], s[12:13], -1
	v_lshl_add_u32 v14, v14, 3, v15
	s_and_b64 s[52:53], s[14:15], s[16:17]
	s_and_saveexec_b64 s[12:13], s[52:53]
; %bb.136:
	v_xor_b32_e32 v16, 0x80000000, v3
	v_xor_b32_e32 v15, 0x80000000, v2
	ds_write_b64 v14, v[15:16]
; %bb.137:
	s_or_b64 exec, exec, s[12:13]
	v_cmp_ne_u32_e64 s[12:13], 7, v12
	s_and_b64 s[54:55], s[12:13], s[16:17]
	s_waitcnt lgkmcnt(0)
	s_barrier
	s_and_saveexec_b64 s[12:13], s[54:55]
	s_cbranch_execz .LBB61_139
; %bb.138:
	v_lshlrev_b32_e32 v15, 3, v12
	ds_read_b64 v[15:16], v15 offset:28544
	ds_read_b64 v[17:18], v14
	s_waitcnt lgkmcnt(0)
	v_mul_f32_e32 v19, v18, v16
	v_mul_f32_e32 v16, v17, v16
	v_fma_f32 v17, v17, v15, -v19
	v_fmac_f32_e32 v16, v18, v15
	v_sub_f32_e32 v2, v2, v17
	v_sub_f32_e32 v3, v3, v16
.LBB61_139:
	s_or_b64 exec, exec, s[12:13]
	v_cmp_eq_u32_e64 s[12:13], 6, v12
	s_and_b64 s[56:57], s[12:13], s[16:17]
	s_barrier
	s_and_saveexec_b64 s[12:13], s[56:57]
; %bb.140:
	v_xor_b32_e32 v16, 0x80000000, v3
	v_xor_b32_e32 v15, 0x80000000, v2
	ds_write_b64 v14, v[15:16]
; %bb.141:
	s_or_b64 exec, exec, s[12:13]
	v_cmp_gt_u32_e64 s[12:13], 6, v12
	s_and_b64 s[58:59], s[12:13], s[16:17]
	s_waitcnt lgkmcnt(0)
	s_barrier
	s_and_saveexec_b64 s[12:13], s[58:59]
	s_cbranch_execz .LBB61_143
; %bb.142:
	v_lshlrev_b32_e32 v15, 3, v12
	ds_read_b64 v[15:16], v15 offset:28032
	ds_read_b64 v[17:18], v14
	s_waitcnt lgkmcnt(0)
	v_mul_f32_e32 v19, v18, v16
	v_mul_f32_e32 v16, v17, v16
	v_fma_f32 v17, v17, v15, -v19
	v_fmac_f32_e32 v16, v18, v15
	v_sub_f32_e32 v2, v2, v17
	v_sub_f32_e32 v3, v3, v16
.LBB61_143:
	s_or_b64 exec, exec, s[12:13]
	v_cmp_eq_u32_e64 s[12:13], 5, v12
	s_and_b64 s[60:61], s[12:13], s[16:17]
	s_barrier
	s_and_saveexec_b64 s[12:13], s[60:61]
; %bb.144:
	v_xor_b32_e32 v16, 0x80000000, v3
	v_xor_b32_e32 v15, 0x80000000, v2
	ds_write_b64 v14, v[15:16]
; %bb.145:
	s_or_b64 exec, exec, s[12:13]
	v_cmp_gt_u32_e64 s[12:13], 5, v12
	;; [unrolled: 29-line block ×5, first 2 shown]
	s_and_b64 s[74:75], s[12:13], s[16:17]
	s_waitcnt lgkmcnt(0)
	s_barrier
	s_and_saveexec_b64 s[12:13], s[74:75]
	s_cbranch_execz .LBB61_159
; %bb.158:
	v_lshlrev_b32_e32 v15, 3, v12
	ds_read_b64 v[15:16], v15 offset:25984
	ds_read_b64 v[17:18], v14
	s_waitcnt lgkmcnt(0)
	v_mul_f32_e32 v19, v18, v16
	v_mul_f32_e32 v16, v17, v16
	v_fma_f32 v17, v17, v15, -v19
	v_fmac_f32_e32 v16, v18, v15
	v_sub_f32_e32 v2, v2, v17
	v_sub_f32_e32 v3, v3, v16
.LBB61_159:
	s_or_b64 exec, exec, s[12:13]
	v_cmp_eq_u32_e64 s[12:13], 1, v12
	s_and_b64 s[76:77], s[12:13], s[16:17]
	s_barrier
	s_and_saveexec_b64 s[12:13], s[76:77]
; %bb.160:
	v_xor_b32_e32 v16, 0x80000000, v3
	v_xor_b32_e32 v15, 0x80000000, v2
	ds_write_b64 v14, v[15:16]
; %bb.161:
	s_or_b64 exec, exec, s[12:13]
	v_cmp_eq_u32_e64 s[12:13], 0, v12
	s_and_b64 s[50:51], s[12:13], s[16:17]
	s_waitcnt lgkmcnt(0)
	s_barrier
	s_and_saveexec_b64 s[12:13], s[50:51]
	s_cbranch_execz .LBB61_163
; %bb.162:
	v_mov_b32_e32 v15, 0
	ds_read_b64 v[15:16], v15 offset:25472
	ds_read_b64 v[17:18], v14
	s_waitcnt lgkmcnt(0)
	v_mul_f32_e32 v19, v18, v16
	v_mul_f32_e32 v16, v17, v16
	v_fma_f32 v17, v17, v15, -v19
	v_fmac_f32_e32 v16, v18, v15
	v_sub_f32_e32 v2, v2, v17
	v_sub_f32_e32 v3, v3, v16
.LBB61_163:
	s_or_b64 exec, exec, s[12:13]
	s_barrier
	s_and_saveexec_b64 s[12:13], s[50:51]
; %bb.164:
	v_xor_b32_e32 v16, 0x80000000, v3
	v_xor_b32_e32 v15, 0x80000000, v2
	ds_write_b64 v14, v[15:16]
; %bb.165:
	s_or_b64 exec, exec, s[12:13]
	s_waitcnt lgkmcnt(0)
	s_barrier
	s_barrier
	s_and_saveexec_b64 s[12:13], s[10:11]
; %bb.166:
	v_lshlrev_b32_e32 v15, 3, v12
	v_lshl_or_b32 v15, v13, 9, v15
	ds_write_b64 v15, v[2:3] offset:29056
; %bb.167:
	s_or_b64 exec, exec, s[12:13]
	s_waitcnt lgkmcnt(0)
	s_barrier
	s_barrier
	s_and_saveexec_b64 s[12:13], vcc
	s_cbranch_execz .LBB61_169
; %bb.168:
	s_mov_b64 s[14:15], 0x3f800000
	v_mov_b32_e32 v2, s14
	v_mov_b32_e32 v3, s15
	s_movk_i32 s14, 0x6800
	v_add_u32_e64 v15, s14, 0
	ds_write2_b64 v15, v[2:3], v[2:3] offset0:182 offset1:247
.LBB61_169:
	s_or_b64 exec, exec, s[12:13]
	v_mov_b32_e32 v2, 0
	v_mov_b32_e32 v3, 0
	s_waitcnt lgkmcnt(0)
	s_barrier
	buffer_wbinvl1_vol
	s_and_saveexec_b64 s[14:15], s[6:7]
	s_cbranch_execz .LBB61_173
; %bb.170:
	v_lshlrev_b32_e32 v2, 3, v4
	v_lshlrev_b32_e32 v15, 9, v5
	ds_read_b64 v[2:3], v2 offset:28064
	ds_read_b64 v[15:16], v15 offset:28080
	v_cmp_gt_u32_e64 s[12:13], 2, v8
	s_waitcnt lgkmcnt(0)
	v_mul_f32_e32 v17, v16, v3
	v_mul_f32_e32 v3, v15, v3
	v_fma_f32 v15, v15, v2, -v17
	v_fmac_f32_e32 v3, v16, v2
	v_add_f32_e32 v2, 0, v15
	v_add_f32_e32 v3, 0, v3
	s_and_saveexec_b64 s[16:17], s[12:13]
	s_cbranch_execz .LBB61_172
; %bb.171:
	v_lshlrev_b32_e32 v15, 3, v0
	v_mov_b32_e32 v17, 0
	ds_read_b64 v[15:16], v15 offset:28576
	ds_read_b64 v[17:18], v17 offset:28600
	s_waitcnt lgkmcnt(0)
	v_mul_f32_e32 v19, v18, v16
	v_mul_f32_e32 v16, v17, v16
	v_fma_f32 v17, v17, v15, -v19
	v_fmac_f32_e32 v16, v18, v15
	v_add_f32_e32 v2, v2, v17
	v_add_f32_e32 v3, v3, v16
.LBB61_172:
	s_or_b64 exec, exec, s[16:17]
.LBB61_173:
	s_or_b64 exec, exec, s[14:15]
	s_and_saveexec_b64 s[12:13], s[36:37]
; %bb.174:
	v_xor_b32_e32 v16, 0x80000000, v3
	v_xor_b32_e32 v15, 0x80000000, v2
	ds_write_b64 v6, v[15:16]
; %bb.175:
	s_or_b64 exec, exec, s[12:13]
	s_waitcnt lgkmcnt(0)
	s_barrier
	s_and_saveexec_b64 s[12:13], s[34:35]
	s_cbranch_execz .LBB61_177
; %bb.176:
	v_mov_b32_e32 v15, 0
	ds_read_b64 v[15:16], v15 offset:27552
	ds_read_b64 v[17:18], v6
	s_waitcnt lgkmcnt(0)
	v_mul_f32_e32 v19, v17, v15
	v_mul_f32_e32 v17, v17, v16
	v_fmac_f32_e32 v17, v18, v15
	v_fma_f32 v15, v18, v16, -v19
	v_add_f32_e32 v2, v2, v15
	v_sub_f32_e32 v3, v3, v17
.LBB61_177:
	s_or_b64 exec, exec, s[12:13]
	s_barrier
	s_and_saveexec_b64 s[12:13], s[34:35]
; %bb.178:
	v_xor_b32_e32 v16, 0x80000000, v3
	v_xor_b32_e32 v15, 0x80000000, v2
	ds_write_b64 v6, v[15:16]
; %bb.179:
	s_or_b64 exec, exec, s[12:13]
	s_waitcnt lgkmcnt(0)
	s_barrier
	s_barrier
	s_and_saveexec_b64 s[12:13], s[6:7]
; %bb.180:
	v_lshlrev_b32_e32 v15, 3, v4
	v_lshl_or_b32 v15, v5, 9, v15
	ds_write_b64 v15, v[2:3] offset:28064
; %bb.181:
	s_or_b64 exec, exec, s[12:13]
	s_waitcnt lgkmcnt(0)
	s_barrier
	s_barrier
	s_and_saveexec_b64 s[12:13], vcc
	s_cbranch_execz .LBB61_183
; %bb.182:
	s_mov_b64 s[14:15], 0x3f800000
	v_mov_b32_e32 v2, s14
	v_mov_b32_e32 v3, s15
	s_movk_i32 s14, 0x6800
	v_add_u32_e64 v15, s14, 0
	ds_write2_b64 v15, v[2:3], v[2:3] offset0:52 offset1:117
.LBB61_183:
	s_or_b64 exec, exec, s[12:13]
	v_mov_b32_e32 v3, 0
	v_mov_b32_e32 v2, 0
	s_waitcnt lgkmcnt(0)
	s_barrier
	buffer_wbinvl1_vol
	s_and_saveexec_b64 s[14:15], s[18:19]
	s_cbranch_execz .LBB61_189
; %bb.184:
	v_lshlrev_b32_e32 v15, 3, v9
	v_lshlrev_b32_e32 v16, 9, v10
	ds_read_b64 v[2:3], v15 offset:27008
	ds_read_b64 v[17:18], v16 offset:27040
	v_cmp_gt_u32_e64 s[12:13], 12, v8
	s_waitcnt lgkmcnt(0)
	v_mul_f32_e32 v19, v18, v3
	v_mul_f32_e32 v3, v17, v3
	v_fma_f32 v17, v17, v2, -v19
	v_fmac_f32_e32 v3, v18, v2
	v_add_f32_e32 v2, 0, v17
	v_add_f32_e32 v3, 0, v3
	s_and_saveexec_b64 s[16:17], s[12:13]
	s_cbranch_execnz .LBB61_996
; %bb.185:
	s_or_b64 exec, exec, s[16:17]
	v_cmp_gt_u32_e64 s[12:13], 8, v8
	s_and_saveexec_b64 s[16:17], s[12:13]
	s_cbranch_execnz .LBB61_997
.LBB61_186:
	s_or_b64 exec, exec, s[16:17]
	v_cmp_gt_u32_e64 s[12:13], 4, v8
	s_and_saveexec_b64 s[16:17], s[12:13]
	s_cbranch_execz .LBB61_188
.LBB61_187:
	v_lshlrev_b32_e32 v15, 3, v0
	v_mov_b32_e32 v17, 0
	ds_read_b64 v[15:16], v15 offset:28544
	ds_read_b64 v[17:18], v17 offset:28600
	s_waitcnt lgkmcnt(0)
	v_mul_f32_e32 v19, v18, v16
	v_mul_f32_e32 v16, v17, v16
	v_fma_f32 v17, v17, v15, -v19
	v_fmac_f32_e32 v16, v18, v15
	v_add_f32_e32 v2, v2, v17
	v_add_f32_e32 v3, v3, v16
.LBB61_188:
	s_or_b64 exec, exec, s[16:17]
.LBB61_189:
	s_or_b64 exec, exec, s[14:15]
	s_and_saveexec_b64 s[12:13], s[40:41]
; %bb.190:
	v_xor_b32_e32 v15, 0x80000000, v2
	v_xor_b32_e32 v16, 0x80000000, v3
	ds_write_b64 v11, v[15:16]
; %bb.191:
	s_or_b64 exec, exec, s[12:13]
	s_waitcnt lgkmcnt(0)
	s_barrier
	s_and_saveexec_b64 s[12:13], s[42:43]
	s_cbranch_execz .LBB61_193
; %bb.192:
	v_lshlrev_b32_e32 v15, 3, v9
	ds_read_b64 v[15:16], v15 offset:26496
	ds_read_b64 v[17:18], v11
	s_waitcnt lgkmcnt(0)
	v_mul_f32_e32 v19, v18, v16
	v_mul_f32_e32 v16, v17, v16
	v_fma_f32 v17, v17, v15, -v19
	v_fmac_f32_e32 v16, v18, v15
	v_sub_f32_e32 v2, v2, v17
	v_sub_f32_e32 v3, v3, v16
.LBB61_193:
	s_or_b64 exec, exec, s[12:13]
	s_barrier
	s_and_saveexec_b64 s[12:13], s[44:45]
; %bb.194:
	v_xor_b32_e32 v15, 0x80000000, v2
	v_xor_b32_e32 v16, 0x80000000, v3
	ds_write_b64 v11, v[15:16]
; %bb.195:
	s_or_b64 exec, exec, s[12:13]
	s_waitcnt lgkmcnt(0)
	s_barrier
	s_and_saveexec_b64 s[12:13], s[46:47]
	s_cbranch_execz .LBB61_197
; %bb.196:
	v_lshlrev_b32_e32 v15, 3, v9
	ds_read_b64 v[15:16], v15 offset:25984
	ds_read_b64 v[17:18], v11
	s_waitcnt lgkmcnt(0)
	v_mul_f32_e32 v19, v18, v16
	v_mul_f32_e32 v16, v17, v16
	v_fma_f32 v17, v17, v15, -v19
	v_fmac_f32_e32 v16, v18, v15
	v_sub_f32_e32 v2, v2, v17
	v_sub_f32_e32 v3, v3, v16
.LBB61_197:
	s_or_b64 exec, exec, s[12:13]
	s_barrier
	s_and_saveexec_b64 s[12:13], s[48:49]
; %bb.198:
	v_xor_b32_e32 v15, 0x80000000, v2
	v_xor_b32_e32 v16, 0x80000000, v3
	ds_write_b64 v11, v[15:16]
; %bb.199:
	s_or_b64 exec, exec, s[12:13]
	s_waitcnt lgkmcnt(0)
	s_barrier
	s_and_saveexec_b64 s[12:13], s[38:39]
	s_cbranch_execz .LBB61_201
; %bb.200:
	v_mov_b32_e32 v15, 0
	ds_read_b64 v[15:16], v15 offset:25472
	ds_read_b64 v[17:18], v11
	s_waitcnt lgkmcnt(0)
	v_mul_f32_e32 v19, v18, v16
	v_mul_f32_e32 v16, v17, v16
	v_fma_f32 v17, v17, v15, -v19
	v_fmac_f32_e32 v16, v18, v15
	v_sub_f32_e32 v2, v2, v17
	v_sub_f32_e32 v3, v3, v16
.LBB61_201:
	s_or_b64 exec, exec, s[12:13]
	s_barrier
	s_and_saveexec_b64 s[12:13], s[38:39]
; %bb.202:
	v_xor_b32_e32 v15, 0x80000000, v2
	v_xor_b32_e32 v16, 0x80000000, v3
	ds_write_b64 v11, v[15:16]
; %bb.203:
	s_or_b64 exec, exec, s[12:13]
	s_waitcnt lgkmcnt(0)
	s_barrier
	s_barrier
	s_and_saveexec_b64 s[12:13], s[18:19]
; %bb.204:
	v_lshlrev_b32_e32 v15, 3, v9
	v_lshl_or_b32 v15, v10, 9, v15
	ds_write_b64 v15, v[2:3] offset:27008
; %bb.205:
	s_or_b64 exec, exec, s[12:13]
	s_waitcnt lgkmcnt(0)
	s_barrier
	s_barrier
	s_and_saveexec_b64 s[12:13], vcc
	s_cbranch_execz .LBB61_207
; %bb.206:
	s_mov_b64 s[14:15], 0x3f800000
	v_mov_b32_e32 v2, s14
	v_mov_b32_e32 v3, s15
	s_movk_i32 s14, 0x6000
	v_add_u32_e64 v15, s14, 0
	ds_write2_b64 v15, v[2:3], v[2:3] offset0:178 offset1:243
.LBB61_207:
	s_or_b64 exec, exec, s[12:13]
	v_mov_b32_e32 v2, 0
	v_mov_b32_e32 v3, 0
	s_waitcnt lgkmcnt(0)
	s_barrier
	buffer_wbinvl1_vol
	s_and_saveexec_b64 s[14:15], s[6:7]
	s_cbranch_execz .LBB61_211
; %bb.208:
	v_lshlrev_b32_e32 v2, 3, v4
	v_lshlrev_b32_e32 v15, 9, v5
	ds_read_b64 v[2:3], v2 offset:25984
	ds_read_b64 v[15:16], v15 offset:26000
	v_cmp_gt_u32_e64 s[12:13], 2, v8
	s_waitcnt lgkmcnt(0)
	v_mul_f32_e32 v17, v16, v3
	v_mul_f32_e32 v3, v15, v3
	v_fma_f32 v15, v15, v2, -v17
	v_fmac_f32_e32 v3, v16, v2
	v_add_f32_e32 v2, 0, v15
	v_add_f32_e32 v3, 0, v3
	s_and_saveexec_b64 s[16:17], s[12:13]
	s_cbranch_execz .LBB61_210
; %bb.209:
	v_lshlrev_b32_e32 v15, 3, v0
	v_mov_b32_e32 v17, 0
	ds_read_b64 v[15:16], v15 offset:26496
	ds_read_b64 v[17:18], v17 offset:26520
	s_waitcnt lgkmcnt(0)
	v_mul_f32_e32 v19, v18, v16
	v_mul_f32_e32 v16, v17, v16
	v_fma_f32 v17, v17, v15, -v19
	v_fmac_f32_e32 v16, v18, v15
	v_add_f32_e32 v2, v2, v17
	v_add_f32_e32 v3, v3, v16
.LBB61_210:
	s_or_b64 exec, exec, s[16:17]
.LBB61_211:
	s_or_b64 exec, exec, s[14:15]
	s_and_saveexec_b64 s[12:13], s[36:37]
; %bb.212:
	v_xor_b32_e32 v16, 0x80000000, v3
	v_xor_b32_e32 v15, 0x80000000, v2
	ds_write_b64 v6, v[15:16]
; %bb.213:
	s_or_b64 exec, exec, s[12:13]
	s_waitcnt lgkmcnt(0)
	s_barrier
	s_and_saveexec_b64 s[12:13], s[34:35]
	s_cbranch_execz .LBB61_215
; %bb.214:
	v_mov_b32_e32 v15, 0
	ds_read_b64 v[15:16], v15 offset:25472
	ds_read_b64 v[17:18], v6
	s_waitcnt lgkmcnt(0)
	v_mul_f32_e32 v19, v17, v15
	v_mul_f32_e32 v17, v17, v16
	v_fmac_f32_e32 v17, v18, v15
	v_fma_f32 v15, v18, v16, -v19
	v_add_f32_e32 v2, v2, v15
	v_sub_f32_e32 v3, v3, v17
.LBB61_215:
	s_or_b64 exec, exec, s[12:13]
	s_barrier
	s_and_saveexec_b64 s[12:13], s[34:35]
; %bb.216:
	v_xor_b32_e32 v16, 0x80000000, v3
	v_xor_b32_e32 v15, 0x80000000, v2
	ds_write_b64 v6, v[15:16]
; %bb.217:
	s_or_b64 exec, exec, s[12:13]
	s_waitcnt lgkmcnt(0)
	s_barrier
	s_barrier
	s_and_saveexec_b64 s[12:13], s[6:7]
; %bb.218:
	v_lshlrev_b32_e32 v15, 3, v4
	v_lshl_or_b32 v15, v5, 9, v15
	ds_write_b64 v15, v[2:3] offset:25984
; %bb.219:
	s_or_b64 exec, exec, s[12:13]
	s_waitcnt lgkmcnt(0)
	s_barrier
	s_barrier
	s_and_saveexec_b64 s[12:13], vcc
	s_cbranch_execz .LBB61_221
; %bb.220:
	s_mov_b64 s[14:15], 0x3f800000
	v_mov_b32_e32 v2, s14
	v_mov_b32_e32 v3, s15
	s_movk_i32 s14, 0x6000
	v_add_u32_e64 v15, s14, 0
	ds_write2_b64 v15, v[2:3], v[2:3] offset0:48 offset1:113
.LBB61_221:
	s_or_b64 exec, exec, s[12:13]
	s_movk_i32 s12, 0xff
	v_lshrrev_b32_e32 v17, 4, v8
	v_cmp_lt_u32_e64 s[14:15], s12, v8
	s_movk_i32 s12, 0x100
	v_and_b32_e32 v15, 15, v0
	v_sub_u32_e32 v16, 15, v17
	v_cmp_gt_u32_e64 s[12:13], s12, v8
	v_mov_b32_e32 v3, 0
	v_mov_b32_e32 v2, 0
	s_waitcnt lgkmcnt(0)
	s_barrier
	buffer_wbinvl1_vol
	s_and_saveexec_b64 s[20:21], s[12:13]
	s_cbranch_execz .LBB61_249
; %bb.222:
	v_lshlrev_b32_e32 v18, 3, v15
	v_lshlrev_b32_e32 v19, 9, v16
	ds_read_b64 v[2:3], v18 offset:24832
	ds_read_b64 v[20:21], v19 offset:24960
	s_movk_i32 s16, 0xf0
	v_cmp_gt_u32_e64 s[16:17], s16, v8
	s_waitcnt lgkmcnt(0)
	v_mul_f32_e32 v22, v21, v3
	v_mul_f32_e32 v3, v20, v3
	v_fma_f32 v20, v20, v2, -v22
	v_fmac_f32_e32 v3, v21, v2
	v_add_f32_e32 v2, 0, v20
	v_add_f32_e32 v3, 0, v3
	s_and_saveexec_b64 s[78:79], s[16:17]
	s_cbranch_execz .LBB61_224
; %bb.223:
	ds_read_b64 v[20:21], v18 offset:25344
	ds_read_b64 v[22:23], v19 offset:24968
	s_waitcnt lgkmcnt(0)
	v_mul_f32_e32 v24, v23, v21
	v_mul_f32_e32 v21, v22, v21
	v_fma_f32 v22, v22, v20, -v24
	v_fmac_f32_e32 v21, v23, v20
	v_add_f32_e32 v2, v2, v22
	v_add_f32_e32 v3, v3, v21
.LBB61_224:
	s_or_b64 exec, exec, s[78:79]
	s_movk_i32 s16, 0xe0
	v_cmp_gt_u32_e64 s[16:17], s16, v8
	s_and_saveexec_b64 s[78:79], s[16:17]
	s_cbranch_execz .LBB61_226
; %bb.225:
	ds_read_b64 v[20:21], v18 offset:25856
	ds_read_b64 v[22:23], v19 offset:24976
	s_waitcnt lgkmcnt(0)
	v_mul_f32_e32 v24, v23, v21
	v_mul_f32_e32 v21, v22, v21
	v_fma_f32 v22, v22, v20, -v24
	v_fmac_f32_e32 v21, v23, v20
	v_add_f32_e32 v2, v2, v22
	v_add_f32_e32 v3, v3, v21
.LBB61_226:
	s_or_b64 exec, exec, s[78:79]
	s_movk_i32 s16, 0xd0
	v_cmp_gt_u32_e64 s[16:17], s16, v8
	;; [unrolled: 16-line block ×10, first 2 shown]
	s_and_saveexec_b64 s[78:79], s[16:17]
	s_cbranch_execnz .LBB61_998
; %bb.243:
	s_or_b64 exec, exec, s[78:79]
	s_and_saveexec_b64 s[16:17], s[10:11]
	s_cbranch_execnz .LBB61_999
.LBB61_244:
	s_or_b64 exec, exec, s[16:17]
	v_cmp_gt_u32_e64 s[16:17], 48, v8
	s_and_saveexec_b64 s[78:79], s[16:17]
	s_cbranch_execnz .LBB61_1000
.LBB61_245:
	s_or_b64 exec, exec, s[78:79]
	v_cmp_gt_u32_e64 s[16:17], 32, v8
	s_and_saveexec_b64 s[78:79], s[16:17]
	s_cbranch_execnz .LBB61_1001
.LBB61_246:
	s_or_b64 exec, exec, s[78:79]
	v_cmp_gt_u32_e64 s[16:17], 16, v8
	s_and_saveexec_b64 s[78:79], s[16:17]
	s_cbranch_execz .LBB61_248
.LBB61_247:
	v_lshlrev_b32_e32 v18, 3, v0
	v_mov_b32_e32 v20, 0
	ds_read_b64 v[18:19], v18 offset:32512
	ds_read_b64 v[20:21], v20 offset:32760
	s_waitcnt lgkmcnt(0)
	v_mul_f32_e32 v22, v21, v19
	v_mul_f32_e32 v19, v20, v19
	v_fma_f32 v20, v20, v18, -v22
	v_fmac_f32_e32 v19, v21, v18
	v_add_f32_e32 v2, v2, v20
	v_add_f32_e32 v3, v3, v19
.LBB61_248:
	s_or_b64 exec, exec, s[78:79]
.LBB61_249:
	s_or_b64 exec, exec, s[20:21]
	v_mov_b32_e32 v18, 0x8000
	v_lshl_add_u32 v17, v17, 3, v18
	v_cmp_eq_u32_e64 s[16:17], 15, v15
	s_xor_b64 s[20:21], s[14:15], -1
	s_and_b64 s[16:17], s[16:17], s[20:21]
	s_mov_b64 s[14:15], exec
                                        ; implicit-def: $vgpr28 : SGPR spill to VGPR lane
	v_writelane_b32 v28, s16, 0
	v_writelane_b32 v28, s17, 1
	s_and_b64 s[16:17], s[14:15], s[16:17]
	s_mov_b64 exec, s[16:17]
; %bb.250:
	v_xor_b32_e32 v18, 0x80000000, v2
	v_xor_b32_e32 v19, 0x80000000, v3
	ds_write_b64 v17, v[18:19]
; %bb.251:
	s_or_b64 exec, exec, s[14:15]
	v_cmp_ne_u32_e64 s[14:15], 15, v15
	s_waitcnt lgkmcnt(0)
	s_barrier
	s_and_b64 s[16:17], s[14:15], s[20:21]
	s_mov_b64 s[14:15], exec
	v_writelane_b32 v28, s16, 2
	v_writelane_b32 v28, s17, 3
	s_and_b64 s[16:17], s[14:15], s[16:17]
	s_mov_b64 exec, s[16:17]
	s_cbranch_execz .LBB61_253
; %bb.252:
	v_lshlrev_b32_e32 v18, 3, v15
	ds_read_b64 v[18:19], v18 offset:24320
	ds_read_b64 v[20:21], v17
	s_waitcnt lgkmcnt(0)
	v_mul_f32_e32 v22, v21, v19
	v_mul_f32_e32 v19, v20, v19
	v_fma_f32 v20, v20, v18, -v22
	v_fmac_f32_e32 v19, v21, v18
	v_sub_f32_e32 v2, v2, v20
	v_sub_f32_e32 v3, v3, v19
.LBB61_253:
	s_or_b64 exec, exec, s[14:15]
	v_cmp_eq_u32_e64 s[14:15], 14, v15
	s_barrier
	s_and_b64 s[16:17], s[14:15], s[20:21]
	s_mov_b64 s[14:15], exec
	v_writelane_b32 v28, s16, 4
	v_writelane_b32 v28, s17, 5
	s_and_b64 s[16:17], s[14:15], s[16:17]
	s_mov_b64 exec, s[16:17]
; %bb.254:
	v_xor_b32_e32 v18, 0x80000000, v2
	v_xor_b32_e32 v19, 0x80000000, v3
	ds_write_b64 v17, v[18:19]
; %bb.255:
	s_or_b64 exec, exec, s[14:15]
	v_cmp_gt_u32_e64 s[14:15], 14, v15
	s_waitcnt lgkmcnt(0)
	s_barrier
	s_and_b64 s[16:17], s[14:15], s[20:21]
	s_mov_b64 s[14:15], exec
	v_writelane_b32 v28, s16, 6
	v_writelane_b32 v28, s17, 7
	s_and_b64 s[16:17], s[14:15], s[16:17]
	s_mov_b64 exec, s[16:17]
	s_cbranch_execz .LBB61_257
; %bb.256:
	v_lshlrev_b32_e32 v18, 3, v15
	ds_read_b64 v[18:19], v18 offset:23808
	ds_read_b64 v[20:21], v17
	s_waitcnt lgkmcnt(0)
	v_mul_f32_e32 v22, v21, v19
	v_mul_f32_e32 v19, v20, v19
	v_fma_f32 v20, v20, v18, -v22
	v_fmac_f32_e32 v19, v21, v18
	v_sub_f32_e32 v2, v2, v20
	v_sub_f32_e32 v3, v3, v19
.LBB61_257:
	s_or_b64 exec, exec, s[14:15]
	v_cmp_eq_u32_e64 s[14:15], 13, v15
	s_barrier
	s_and_b64 s[16:17], s[14:15], s[20:21]
	s_mov_b64 s[14:15], exec
	v_writelane_b32 v28, s16, 8
	v_writelane_b32 v28, s17, 9
	s_and_b64 s[16:17], s[14:15], s[16:17]
	s_mov_b64 exec, s[16:17]
; %bb.258:
	v_xor_b32_e32 v18, 0x80000000, v2
	v_xor_b32_e32 v19, 0x80000000, v3
	ds_write_b64 v17, v[18:19]
; %bb.259:
	s_or_b64 exec, exec, s[14:15]
	v_cmp_gt_u32_e64 s[14:15], 13, v15
	;; [unrolled: 37-line block ×11, first 2 shown]
	s_and_b64 s[82:83], s[14:15], s[20:21]
	s_waitcnt lgkmcnt(0)
	s_barrier
	s_and_saveexec_b64 s[14:15], s[82:83]
	s_cbranch_execz .LBB61_297
; %bb.296:
	v_lshlrev_b32_e32 v18, 3, v15
	ds_read_b64 v[18:19], v18 offset:18688
	ds_read_b64 v[20:21], v17
	s_waitcnt lgkmcnt(0)
	v_mul_f32_e32 v22, v21, v19
	v_mul_f32_e32 v19, v20, v19
	v_fma_f32 v20, v20, v18, -v22
	v_fmac_f32_e32 v19, v21, v18
	v_sub_f32_e32 v2, v2, v20
	v_sub_f32_e32 v3, v3, v19
.LBB61_297:
	s_or_b64 exec, exec, s[14:15]
	v_cmp_eq_u32_e64 s[14:15], 3, v15
	s_and_b64 s[84:85], s[14:15], s[20:21]
	s_barrier
	s_and_saveexec_b64 s[14:15], s[84:85]
; %bb.298:
	v_xor_b32_e32 v18, 0x80000000, v2
	v_xor_b32_e32 v19, 0x80000000, v3
	ds_write_b64 v17, v[18:19]
; %bb.299:
	s_or_b64 exec, exec, s[14:15]
	v_cmp_gt_u32_e64 s[14:15], 3, v15
	s_and_b64 s[86:87], s[14:15], s[20:21]
	s_waitcnt lgkmcnt(0)
	s_barrier
	s_and_saveexec_b64 s[14:15], s[86:87]
	s_cbranch_execz .LBB61_301
; %bb.300:
	v_lshlrev_b32_e32 v18, 3, v15
	ds_read_b64 v[18:19], v18 offset:18176
	ds_read_b64 v[20:21], v17
	s_waitcnt lgkmcnt(0)
	v_mul_f32_e32 v22, v21, v19
	v_mul_f32_e32 v19, v20, v19
	v_fma_f32 v20, v20, v18, -v22
	v_fmac_f32_e32 v19, v21, v18
	v_sub_f32_e32 v2, v2, v20
	v_sub_f32_e32 v3, v3, v19
.LBB61_301:
	s_or_b64 exec, exec, s[14:15]
	v_cmp_eq_u32_e64 s[14:15], 2, v15
	s_and_b64 s[88:89], s[14:15], s[20:21]
	s_barrier
	s_and_saveexec_b64 s[14:15], s[88:89]
; %bb.302:
	v_xor_b32_e32 v18, 0x80000000, v2
	v_xor_b32_e32 v19, 0x80000000, v3
	ds_write_b64 v17, v[18:19]
; %bb.303:
	s_or_b64 exec, exec, s[14:15]
	v_cmp_gt_u32_e64 s[14:15], 2, v15
	s_and_b64 s[90:91], s[14:15], s[20:21]
	s_waitcnt lgkmcnt(0)
	s_barrier
	s_and_saveexec_b64 s[14:15], s[90:91]
	s_cbranch_execz .LBB61_305
; %bb.304:
	v_lshlrev_b32_e32 v18, 3, v15
	ds_read_b64 v[18:19], v18 offset:17664
	ds_read_b64 v[20:21], v17
	s_waitcnt lgkmcnt(0)
	v_mul_f32_e32 v22, v21, v19
	v_mul_f32_e32 v19, v20, v19
	v_fma_f32 v20, v20, v18, -v22
	v_fmac_f32_e32 v19, v21, v18
	v_sub_f32_e32 v2, v2, v20
	v_sub_f32_e32 v3, v3, v19
.LBB61_305:
	s_or_b64 exec, exec, s[14:15]
	v_cmp_eq_u32_e64 s[14:15], 1, v15
	s_and_b64 s[92:93], s[14:15], s[20:21]
	s_barrier
	s_and_saveexec_b64 s[14:15], s[92:93]
; %bb.306:
	v_xor_b32_e32 v18, 0x80000000, v2
	v_xor_b32_e32 v19, 0x80000000, v3
	ds_write_b64 v17, v[18:19]
; %bb.307:
	s_or_b64 exec, exec, s[14:15]
	v_cmp_eq_u32_e64 s[14:15], 0, v15
	s_and_b64 s[96:97], s[14:15], s[20:21]
	s_waitcnt lgkmcnt(0)
	s_barrier
	s_and_saveexec_b64 s[14:15], s[96:97]
	s_cbranch_execz .LBB61_309
; %bb.308:
	v_mov_b32_e32 v18, 0
	ds_read_b64 v[18:19], v18 offset:17152
	ds_read_b64 v[20:21], v17
	s_waitcnt lgkmcnt(0)
	v_mul_f32_e32 v22, v21, v19
	v_mul_f32_e32 v19, v20, v19
	v_fma_f32 v20, v20, v18, -v22
	v_fmac_f32_e32 v19, v21, v18
	v_sub_f32_e32 v2, v2, v20
	v_sub_f32_e32 v3, v3, v19
.LBB61_309:
	s_or_b64 exec, exec, s[14:15]
	s_barrier
	s_and_saveexec_b64 s[14:15], s[96:97]
; %bb.310:
	v_xor_b32_e32 v18, 0x80000000, v2
	v_xor_b32_e32 v19, 0x80000000, v3
	ds_write_b64 v17, v[18:19]
; %bb.311:
	s_or_b64 exec, exec, s[14:15]
	s_waitcnt lgkmcnt(0)
	s_barrier
	s_barrier
	s_and_saveexec_b64 s[14:15], s[12:13]
; %bb.312:
	v_lshlrev_b32_e32 v18, 3, v15
	v_lshl_or_b32 v18, v16, 9, v18
	ds_write_b64 v18, v[2:3] offset:24832
; %bb.313:
	s_or_b64 exec, exec, s[14:15]
	s_waitcnt lgkmcnt(0)
	s_barrier
	s_barrier
	s_and_saveexec_b64 s[14:15], vcc
	s_cbranch_execz .LBB61_315
; %bb.314:
	s_mov_b64 s[16:17], 0x3f800000
	v_mov_b32_e32 v2, s16
	v_mov_b32_e32 v3, s17
	s_movk_i32 s16, 0x5800
	v_add_u32_e64 v18, s16, 0
	ds_write2_b64 v18, v[2:3], v[2:3] offset0:174 offset1:239
.LBB61_315:
	s_or_b64 exec, exec, s[14:15]
	v_mov_b32_e32 v2, 0
	v_mov_b32_e32 v3, 0
	s_waitcnt lgkmcnt(0)
	s_barrier
	buffer_wbinvl1_vol
	s_and_saveexec_b64 s[16:17], s[6:7]
	s_cbranch_execz .LBB61_319
; %bb.316:
	v_lshlrev_b32_e32 v2, 3, v4
	v_lshlrev_b32_e32 v18, 9, v5
	ds_read_b64 v[2:3], v2 offset:23904
	ds_read_b64 v[18:19], v18 offset:23920
	v_cmp_gt_u32_e64 s[14:15], 2, v8
	s_waitcnt lgkmcnt(0)
	v_mul_f32_e32 v20, v19, v3
	v_mul_f32_e32 v3, v18, v3
	v_fma_f32 v18, v18, v2, -v20
	v_fmac_f32_e32 v3, v19, v2
	v_add_f32_e32 v2, 0, v18
	v_add_f32_e32 v3, 0, v3
	s_and_saveexec_b64 s[20:21], s[14:15]
	s_cbranch_execz .LBB61_318
; %bb.317:
	v_lshlrev_b32_e32 v18, 3, v0
	v_mov_b32_e32 v20, 0
	ds_read_b64 v[18:19], v18 offset:24416
	ds_read_b64 v[20:21], v20 offset:24440
	s_waitcnt lgkmcnt(0)
	v_mul_f32_e32 v22, v21, v19
	v_mul_f32_e32 v19, v20, v19
	v_fma_f32 v20, v20, v18, -v22
	v_fmac_f32_e32 v19, v21, v18
	v_add_f32_e32 v2, v2, v20
	v_add_f32_e32 v3, v3, v19
.LBB61_318:
	s_or_b64 exec, exec, s[20:21]
.LBB61_319:
	s_or_b64 exec, exec, s[16:17]
	s_and_saveexec_b64 s[14:15], s[36:37]
; %bb.320:
	v_xor_b32_e32 v19, 0x80000000, v3
	v_xor_b32_e32 v18, 0x80000000, v2
	ds_write_b64 v6, v[18:19]
; %bb.321:
	s_or_b64 exec, exec, s[14:15]
	s_waitcnt lgkmcnt(0)
	s_barrier
	s_and_saveexec_b64 s[14:15], s[34:35]
	s_cbranch_execz .LBB61_323
; %bb.322:
	v_mov_b32_e32 v18, 0
	ds_read_b64 v[18:19], v18 offset:23392
	ds_read_b64 v[20:21], v6
	s_waitcnt lgkmcnt(0)
	v_mul_f32_e32 v22, v20, v18
	v_mul_f32_e32 v20, v20, v19
	v_fmac_f32_e32 v20, v21, v18
	v_fma_f32 v18, v21, v19, -v22
	v_add_f32_e32 v2, v2, v18
	v_sub_f32_e32 v3, v3, v20
.LBB61_323:
	s_or_b64 exec, exec, s[14:15]
	s_barrier
	s_and_saveexec_b64 s[14:15], s[34:35]
; %bb.324:
	v_xor_b32_e32 v19, 0x80000000, v3
	v_xor_b32_e32 v18, 0x80000000, v2
	ds_write_b64 v6, v[18:19]
; %bb.325:
	s_or_b64 exec, exec, s[14:15]
	s_waitcnt lgkmcnt(0)
	s_barrier
	s_barrier
	s_and_saveexec_b64 s[14:15], s[6:7]
; %bb.326:
	v_lshlrev_b32_e32 v18, 3, v4
	v_lshl_or_b32 v18, v5, 9, v18
	ds_write_b64 v18, v[2:3] offset:23904
; %bb.327:
	s_or_b64 exec, exec, s[14:15]
	s_waitcnt lgkmcnt(0)
	s_barrier
	s_barrier
	s_and_saveexec_b64 s[14:15], vcc
	s_cbranch_execz .LBB61_329
; %bb.328:
	s_mov_b64 s[16:17], 0x3f800000
	v_mov_b32_e32 v2, s16
	v_mov_b32_e32 v3, s17
	s_movk_i32 s16, 0x5800
	v_add_u32_e64 v18, s16, 0
	ds_write2_b64 v18, v[2:3], v[2:3] offset0:44 offset1:109
.LBB61_329:
	s_or_b64 exec, exec, s[14:15]
	v_mov_b32_e32 v3, 0
	v_mov_b32_e32 v2, 0
	s_waitcnt lgkmcnt(0)
	s_barrier
	buffer_wbinvl1_vol
	s_and_saveexec_b64 s[16:17], s[18:19]
	s_cbranch_execz .LBB61_335
; %bb.330:
	v_lshlrev_b32_e32 v18, 3, v9
	v_lshlrev_b32_e32 v19, 9, v10
	ds_read_b64 v[2:3], v18 offset:22848
	ds_read_b64 v[20:21], v19 offset:22880
	v_cmp_gt_u32_e64 s[14:15], 12, v8
	s_waitcnt lgkmcnt(0)
	v_mul_f32_e32 v22, v21, v3
	v_mul_f32_e32 v3, v20, v3
	v_fma_f32 v20, v20, v2, -v22
	v_fmac_f32_e32 v3, v21, v2
	v_add_f32_e32 v2, 0, v20
	v_add_f32_e32 v3, 0, v3
	s_and_saveexec_b64 s[20:21], s[14:15]
	s_cbranch_execnz .LBB61_1002
; %bb.331:
	s_or_b64 exec, exec, s[20:21]
	v_cmp_gt_u32_e64 s[14:15], 8, v8
	s_and_saveexec_b64 s[20:21], s[14:15]
	s_cbranch_execnz .LBB61_1003
.LBB61_332:
	s_or_b64 exec, exec, s[20:21]
	v_cmp_gt_u32_e64 s[14:15], 4, v8
	s_and_saveexec_b64 s[20:21], s[14:15]
	s_cbranch_execz .LBB61_334
.LBB61_333:
	v_lshlrev_b32_e32 v18, 3, v0
	v_mov_b32_e32 v20, 0
	ds_read_b64 v[18:19], v18 offset:24384
	ds_read_b64 v[20:21], v20 offset:24440
	s_waitcnt lgkmcnt(0)
	v_mul_f32_e32 v22, v21, v19
	v_mul_f32_e32 v19, v20, v19
	v_fma_f32 v20, v20, v18, -v22
	v_fmac_f32_e32 v19, v21, v18
	v_add_f32_e32 v2, v2, v20
	v_add_f32_e32 v3, v3, v19
.LBB61_334:
	s_or_b64 exec, exec, s[20:21]
.LBB61_335:
	s_or_b64 exec, exec, s[16:17]
	s_and_saveexec_b64 s[14:15], s[40:41]
; %bb.336:
	v_xor_b32_e32 v18, 0x80000000, v2
	v_xor_b32_e32 v19, 0x80000000, v3
	ds_write_b64 v11, v[18:19]
; %bb.337:
	s_or_b64 exec, exec, s[14:15]
	s_waitcnt lgkmcnt(0)
	s_barrier
	s_and_saveexec_b64 s[14:15], s[42:43]
	s_cbranch_execz .LBB61_339
; %bb.338:
	v_lshlrev_b32_e32 v18, 3, v9
	ds_read_b64 v[18:19], v18 offset:22336
	ds_read_b64 v[20:21], v11
	s_waitcnt lgkmcnt(0)
	v_mul_f32_e32 v22, v21, v19
	v_mul_f32_e32 v19, v20, v19
	v_fma_f32 v20, v20, v18, -v22
	v_fmac_f32_e32 v19, v21, v18
	v_sub_f32_e32 v2, v2, v20
	v_sub_f32_e32 v3, v3, v19
.LBB61_339:
	s_or_b64 exec, exec, s[14:15]
	s_barrier
	s_and_saveexec_b64 s[14:15], s[44:45]
; %bb.340:
	v_xor_b32_e32 v18, 0x80000000, v2
	v_xor_b32_e32 v19, 0x80000000, v3
	ds_write_b64 v11, v[18:19]
; %bb.341:
	s_or_b64 exec, exec, s[14:15]
	s_waitcnt lgkmcnt(0)
	s_barrier
	s_and_saveexec_b64 s[14:15], s[46:47]
	s_cbranch_execz .LBB61_343
; %bb.342:
	v_lshlrev_b32_e32 v18, 3, v9
	ds_read_b64 v[18:19], v18 offset:21824
	ds_read_b64 v[20:21], v11
	s_waitcnt lgkmcnt(0)
	v_mul_f32_e32 v22, v21, v19
	v_mul_f32_e32 v19, v20, v19
	v_fma_f32 v20, v20, v18, -v22
	v_fmac_f32_e32 v19, v21, v18
	v_sub_f32_e32 v2, v2, v20
	v_sub_f32_e32 v3, v3, v19
.LBB61_343:
	s_or_b64 exec, exec, s[14:15]
	s_barrier
	s_and_saveexec_b64 s[14:15], s[48:49]
; %bb.344:
	v_xor_b32_e32 v18, 0x80000000, v2
	v_xor_b32_e32 v19, 0x80000000, v3
	ds_write_b64 v11, v[18:19]
; %bb.345:
	s_or_b64 exec, exec, s[14:15]
	s_waitcnt lgkmcnt(0)
	s_barrier
	s_and_saveexec_b64 s[14:15], s[38:39]
	s_cbranch_execz .LBB61_347
; %bb.346:
	v_mov_b32_e32 v18, 0
	ds_read_b64 v[18:19], v18 offset:21312
	ds_read_b64 v[20:21], v11
	s_waitcnt lgkmcnt(0)
	v_mul_f32_e32 v22, v21, v19
	v_mul_f32_e32 v19, v20, v19
	v_fma_f32 v20, v20, v18, -v22
	v_fmac_f32_e32 v19, v21, v18
	v_sub_f32_e32 v2, v2, v20
	v_sub_f32_e32 v3, v3, v19
.LBB61_347:
	s_or_b64 exec, exec, s[14:15]
	s_barrier
	s_and_saveexec_b64 s[14:15], s[38:39]
; %bb.348:
	v_xor_b32_e32 v18, 0x80000000, v2
	v_xor_b32_e32 v19, 0x80000000, v3
	ds_write_b64 v11, v[18:19]
; %bb.349:
	s_or_b64 exec, exec, s[14:15]
	s_waitcnt lgkmcnt(0)
	s_barrier
	s_barrier
	s_and_saveexec_b64 s[14:15], s[18:19]
; %bb.350:
	v_lshlrev_b32_e32 v18, 3, v9
	v_lshl_or_b32 v18, v10, 9, v18
	ds_write_b64 v18, v[2:3] offset:22848
; %bb.351:
	s_or_b64 exec, exec, s[14:15]
	s_waitcnt lgkmcnt(0)
	s_barrier
	s_barrier
	s_and_saveexec_b64 s[14:15], vcc
	s_cbranch_execz .LBB61_353
; %bb.352:
	s_mov_b64 s[16:17], 0x3f800000
	v_mov_b32_e32 v2, s16
	v_mov_b32_e32 v3, s17
	s_movk_i32 s16, 0x5000
	v_add_u32_e64 v18, s16, 0
	ds_write2_b64 v18, v[2:3], v[2:3] offset0:170 offset1:235
.LBB61_353:
	s_or_b64 exec, exec, s[14:15]
	v_mov_b32_e32 v2, 0
	v_mov_b32_e32 v3, 0
	s_waitcnt lgkmcnt(0)
	s_barrier
	buffer_wbinvl1_vol
	s_and_saveexec_b64 s[16:17], s[6:7]
	s_cbranch_execz .LBB61_357
; %bb.354:
	v_lshlrev_b32_e32 v2, 3, v4
	v_lshlrev_b32_e32 v18, 9, v5
	ds_read_b64 v[2:3], v2 offset:21824
	ds_read_b64 v[18:19], v18 offset:21840
	v_cmp_gt_u32_e64 s[14:15], 2, v8
	s_waitcnt lgkmcnt(0)
	v_mul_f32_e32 v20, v19, v3
	v_mul_f32_e32 v3, v18, v3
	v_fma_f32 v18, v18, v2, -v20
	v_fmac_f32_e32 v3, v19, v2
	v_add_f32_e32 v2, 0, v18
	v_add_f32_e32 v3, 0, v3
	s_and_saveexec_b64 s[20:21], s[14:15]
	s_cbranch_execz .LBB61_356
; %bb.355:
	v_lshlrev_b32_e32 v18, 3, v0
	v_mov_b32_e32 v20, 0
	ds_read_b64 v[18:19], v18 offset:22336
	ds_read_b64 v[20:21], v20 offset:22360
	s_waitcnt lgkmcnt(0)
	v_mul_f32_e32 v22, v21, v19
	v_mul_f32_e32 v19, v20, v19
	v_fma_f32 v20, v20, v18, -v22
	v_fmac_f32_e32 v19, v21, v18
	v_add_f32_e32 v2, v2, v20
	v_add_f32_e32 v3, v3, v19
.LBB61_356:
	s_or_b64 exec, exec, s[20:21]
.LBB61_357:
	s_or_b64 exec, exec, s[16:17]
	s_and_saveexec_b64 s[14:15], s[36:37]
; %bb.358:
	v_xor_b32_e32 v19, 0x80000000, v3
	v_xor_b32_e32 v18, 0x80000000, v2
	ds_write_b64 v6, v[18:19]
; %bb.359:
	s_or_b64 exec, exec, s[14:15]
	s_waitcnt lgkmcnt(0)
	s_barrier
	s_and_saveexec_b64 s[14:15], s[34:35]
	s_cbranch_execz .LBB61_361
; %bb.360:
	v_mov_b32_e32 v18, 0
	ds_read_b64 v[18:19], v18 offset:21312
	ds_read_b64 v[20:21], v6
	s_waitcnt lgkmcnt(0)
	v_mul_f32_e32 v22, v20, v18
	v_mul_f32_e32 v20, v20, v19
	v_fmac_f32_e32 v20, v21, v18
	v_fma_f32 v18, v21, v19, -v22
	v_add_f32_e32 v2, v2, v18
	v_sub_f32_e32 v3, v3, v20
.LBB61_361:
	s_or_b64 exec, exec, s[14:15]
	s_barrier
	s_and_saveexec_b64 s[14:15], s[34:35]
; %bb.362:
	v_xor_b32_e32 v19, 0x80000000, v3
	v_xor_b32_e32 v18, 0x80000000, v2
	ds_write_b64 v6, v[18:19]
; %bb.363:
	s_or_b64 exec, exec, s[14:15]
	s_waitcnt lgkmcnt(0)
	s_barrier
	s_barrier
	s_and_saveexec_b64 s[14:15], s[6:7]
; %bb.364:
	v_lshlrev_b32_e32 v18, 3, v4
	v_lshl_or_b32 v18, v5, 9, v18
	ds_write_b64 v18, v[2:3] offset:21824
; %bb.365:
	s_or_b64 exec, exec, s[14:15]
	s_waitcnt lgkmcnt(0)
	s_barrier
	s_barrier
	s_and_saveexec_b64 s[14:15], vcc
	s_cbranch_execz .LBB61_367
; %bb.366:
	s_mov_b64 s[16:17], 0x3f800000
	v_mov_b32_e32 v2, s16
	v_mov_b32_e32 v3, s17
	s_movk_i32 s16, 0x5000
	v_add_u32_e64 v18, s16, 0
	ds_write2_b64 v18, v[2:3], v[2:3] offset0:40 offset1:105
.LBB61_367:
	s_or_b64 exec, exec, s[14:15]
	v_mov_b32_e32 v3, 0
	v_mov_b32_e32 v2, 0
	s_waitcnt lgkmcnt(0)
	s_barrier
	buffer_wbinvl1_vol
	s_and_saveexec_b64 s[16:17], s[10:11]
	s_cbranch_execz .LBB61_377
; %bb.368:
	v_lshlrev_b32_e32 v18, 3, v12
	v_lshlrev_b32_e32 v19, 9, v13
	ds_read_b64 v[2:3], v18 offset:20736
	ds_read_b64 v[20:21], v19 offset:20800
	v_cmp_gt_u32_e64 s[14:15], 56, v8
	s_waitcnt lgkmcnt(0)
	v_mul_f32_e32 v22, v21, v3
	v_mul_f32_e32 v3, v20, v3
	v_fma_f32 v20, v20, v2, -v22
	v_fmac_f32_e32 v3, v21, v2
	v_add_f32_e32 v2, 0, v20
	v_add_f32_e32 v3, 0, v3
	s_and_saveexec_b64 s[20:21], s[14:15]
	s_cbranch_execnz .LBB61_1004
; %bb.369:
	s_or_b64 exec, exec, s[20:21]
	v_cmp_gt_u32_e64 s[14:15], 48, v8
	s_and_saveexec_b64 s[20:21], s[14:15]
	s_cbranch_execnz .LBB61_1005
.LBB61_370:
	s_or_b64 exec, exec, s[20:21]
	v_cmp_gt_u32_e64 s[14:15], 40, v8
	s_and_saveexec_b64 s[20:21], s[14:15]
	s_cbranch_execnz .LBB61_1006
.LBB61_371:
	s_or_b64 exec, exec, s[20:21]
	v_cmp_gt_u32_e64 s[14:15], 32, v8
	s_and_saveexec_b64 s[20:21], s[14:15]
	s_cbranch_execnz .LBB61_1007
.LBB61_372:
	s_or_b64 exec, exec, s[20:21]
	v_cmp_gt_u32_e64 s[14:15], 24, v8
	s_and_saveexec_b64 s[20:21], s[14:15]
	s_cbranch_execnz .LBB61_1008
.LBB61_373:
	s_or_b64 exec, exec, s[20:21]
	s_and_saveexec_b64 s[14:15], s[18:19]
	s_cbranch_execnz .LBB61_1009
.LBB61_374:
	s_or_b64 exec, exec, s[14:15]
	v_cmp_gt_u32_e64 s[14:15], 8, v8
	s_and_saveexec_b64 s[20:21], s[14:15]
	s_cbranch_execz .LBB61_376
.LBB61_375:
	v_lshlrev_b32_e32 v18, 3, v0
	v_mov_b32_e32 v20, 0
	ds_read_b64 v[18:19], v18 offset:24320
	ds_read_b64 v[20:21], v20 offset:24440
	s_waitcnt lgkmcnt(0)
	v_mul_f32_e32 v22, v21, v19
	v_mul_f32_e32 v19, v20, v19
	v_fma_f32 v20, v20, v18, -v22
	v_fmac_f32_e32 v19, v21, v18
	v_add_f32_e32 v2, v2, v20
	v_add_f32_e32 v3, v3, v19
.LBB61_376:
	s_or_b64 exec, exec, s[20:21]
.LBB61_377:
	s_or_b64 exec, exec, s[16:17]
	s_and_saveexec_b64 s[14:15], s[52:53]
; %bb.378:
	v_xor_b32_e32 v19, 0x80000000, v3
	v_xor_b32_e32 v18, 0x80000000, v2
	ds_write_b64 v14, v[18:19]
; %bb.379:
	s_or_b64 exec, exec, s[14:15]
	s_waitcnt lgkmcnt(0)
	s_barrier
	s_and_saveexec_b64 s[14:15], s[54:55]
	s_cbranch_execz .LBB61_381
; %bb.380:
	v_lshlrev_b32_e32 v18, 3, v12
	ds_read_b64 v[18:19], v18 offset:20224
	ds_read_b64 v[20:21], v14
	s_waitcnt lgkmcnt(0)
	v_mul_f32_e32 v22, v21, v19
	v_mul_f32_e32 v19, v20, v19
	v_fma_f32 v20, v20, v18, -v22
	v_fmac_f32_e32 v19, v21, v18
	v_sub_f32_e32 v2, v2, v20
	v_sub_f32_e32 v3, v3, v19
.LBB61_381:
	s_or_b64 exec, exec, s[14:15]
	s_barrier
	s_and_saveexec_b64 s[14:15], s[56:57]
; %bb.382:
	v_xor_b32_e32 v19, 0x80000000, v3
	v_xor_b32_e32 v18, 0x80000000, v2
	ds_write_b64 v14, v[18:19]
; %bb.383:
	s_or_b64 exec, exec, s[14:15]
	s_waitcnt lgkmcnt(0)
	s_barrier
	s_and_saveexec_b64 s[14:15], s[58:59]
	s_cbranch_execz .LBB61_385
; %bb.384:
	v_lshlrev_b32_e32 v18, 3, v12
	ds_read_b64 v[18:19], v18 offset:19712
	ds_read_b64 v[20:21], v14
	s_waitcnt lgkmcnt(0)
	v_mul_f32_e32 v22, v21, v19
	v_mul_f32_e32 v19, v20, v19
	v_fma_f32 v20, v20, v18, -v22
	v_fmac_f32_e32 v19, v21, v18
	v_sub_f32_e32 v2, v2, v20
	v_sub_f32_e32 v3, v3, v19
.LBB61_385:
	s_or_b64 exec, exec, s[14:15]
	s_barrier
	;; [unrolled: 25-line block ×6, first 2 shown]
	s_and_saveexec_b64 s[14:15], s[76:77]
; %bb.402:
	v_xor_b32_e32 v19, 0x80000000, v3
	v_xor_b32_e32 v18, 0x80000000, v2
	ds_write_b64 v14, v[18:19]
; %bb.403:
	s_or_b64 exec, exec, s[14:15]
	s_waitcnt lgkmcnt(0)
	s_barrier
	s_and_saveexec_b64 s[14:15], s[50:51]
	s_cbranch_execz .LBB61_405
; %bb.404:
	v_mov_b32_e32 v18, 0
	ds_read_b64 v[18:19], v18 offset:17152
	ds_read_b64 v[20:21], v14
	s_waitcnt lgkmcnt(0)
	v_mul_f32_e32 v22, v21, v19
	v_mul_f32_e32 v19, v20, v19
	v_fma_f32 v20, v20, v18, -v22
	v_fmac_f32_e32 v19, v21, v18
	v_sub_f32_e32 v2, v2, v20
	v_sub_f32_e32 v3, v3, v19
.LBB61_405:
	s_or_b64 exec, exec, s[14:15]
	s_barrier
	s_and_saveexec_b64 s[14:15], s[50:51]
; %bb.406:
	v_xor_b32_e32 v19, 0x80000000, v3
	v_xor_b32_e32 v18, 0x80000000, v2
	ds_write_b64 v14, v[18:19]
; %bb.407:
	s_or_b64 exec, exec, s[14:15]
	s_waitcnt lgkmcnt(0)
	s_barrier
	s_barrier
	s_and_saveexec_b64 s[14:15], s[10:11]
; %bb.408:
	v_lshlrev_b32_e32 v18, 3, v12
	v_lshl_or_b32 v18, v13, 9, v18
	ds_write_b64 v18, v[2:3] offset:20736
; %bb.409:
	s_or_b64 exec, exec, s[14:15]
	s_waitcnt lgkmcnt(0)
	s_barrier
	s_barrier
	s_and_saveexec_b64 s[14:15], vcc
	s_cbranch_execz .LBB61_411
; %bb.410:
	s_mov_b64 s[16:17], 0x3f800000
	v_mov_b32_e32 v2, s16
	v_mov_b32_e32 v3, s17
	s_movk_i32 s16, 0x4800
	v_add_u32_e64 v18, s16, 0
	ds_write2_b64 v18, v[2:3], v[2:3] offset0:166 offset1:231
.LBB61_411:
	s_or_b64 exec, exec, s[14:15]
	v_mov_b32_e32 v2, 0
	v_mov_b32_e32 v3, 0
	s_waitcnt lgkmcnt(0)
	s_barrier
	buffer_wbinvl1_vol
	s_and_saveexec_b64 s[16:17], s[6:7]
	s_cbranch_execz .LBB61_415
; %bb.412:
	v_lshlrev_b32_e32 v2, 3, v4
	v_lshlrev_b32_e32 v18, 9, v5
	ds_read_b64 v[2:3], v2 offset:19744
	ds_read_b64 v[18:19], v18 offset:19760
	v_cmp_gt_u32_e64 s[14:15], 2, v8
	s_waitcnt lgkmcnt(0)
	v_mul_f32_e32 v20, v19, v3
	v_mul_f32_e32 v3, v18, v3
	v_fma_f32 v18, v18, v2, -v20
	v_fmac_f32_e32 v3, v19, v2
	v_add_f32_e32 v2, 0, v18
	v_add_f32_e32 v3, 0, v3
	s_and_saveexec_b64 s[20:21], s[14:15]
	s_cbranch_execz .LBB61_414
; %bb.413:
	v_lshlrev_b32_e32 v18, 3, v0
	v_mov_b32_e32 v20, 0
	ds_read_b64 v[18:19], v18 offset:20256
	ds_read_b64 v[20:21], v20 offset:20280
	s_waitcnt lgkmcnt(0)
	v_mul_f32_e32 v22, v21, v19
	v_mul_f32_e32 v19, v20, v19
	v_fma_f32 v20, v20, v18, -v22
	v_fmac_f32_e32 v19, v21, v18
	v_add_f32_e32 v2, v2, v20
	v_add_f32_e32 v3, v3, v19
.LBB61_414:
	s_or_b64 exec, exec, s[20:21]
.LBB61_415:
	s_or_b64 exec, exec, s[16:17]
	s_and_saveexec_b64 s[14:15], s[36:37]
; %bb.416:
	v_xor_b32_e32 v19, 0x80000000, v3
	v_xor_b32_e32 v18, 0x80000000, v2
	ds_write_b64 v6, v[18:19]
; %bb.417:
	s_or_b64 exec, exec, s[14:15]
	s_waitcnt lgkmcnt(0)
	s_barrier
	s_and_saveexec_b64 s[14:15], s[34:35]
	s_cbranch_execz .LBB61_419
; %bb.418:
	v_mov_b32_e32 v18, 0
	ds_read_b64 v[18:19], v18 offset:19232
	ds_read_b64 v[20:21], v6
	s_waitcnt lgkmcnt(0)
	v_mul_f32_e32 v22, v20, v18
	v_mul_f32_e32 v20, v20, v19
	v_fmac_f32_e32 v20, v21, v18
	v_fma_f32 v18, v21, v19, -v22
	v_add_f32_e32 v2, v2, v18
	v_sub_f32_e32 v3, v3, v20
.LBB61_419:
	s_or_b64 exec, exec, s[14:15]
	s_barrier
	s_and_saveexec_b64 s[14:15], s[34:35]
; %bb.420:
	v_xor_b32_e32 v19, 0x80000000, v3
	v_xor_b32_e32 v18, 0x80000000, v2
	ds_write_b64 v6, v[18:19]
; %bb.421:
	s_or_b64 exec, exec, s[14:15]
	s_waitcnt lgkmcnt(0)
	s_barrier
	s_barrier
	s_and_saveexec_b64 s[14:15], s[6:7]
; %bb.422:
	v_lshlrev_b32_e32 v18, 3, v4
	v_lshl_or_b32 v18, v5, 9, v18
	ds_write_b64 v18, v[2:3] offset:19744
; %bb.423:
	s_or_b64 exec, exec, s[14:15]
	s_waitcnt lgkmcnt(0)
	s_barrier
	s_barrier
	s_and_saveexec_b64 s[14:15], vcc
	s_cbranch_execz .LBB61_425
; %bb.424:
	s_mov_b64 s[16:17], 0x3f800000
	v_mov_b32_e32 v2, s16
	v_mov_b32_e32 v3, s17
	s_movk_i32 s16, 0x4800
	v_add_u32_e64 v18, s16, 0
	ds_write2_b64 v18, v[2:3], v[2:3] offset0:36 offset1:101
.LBB61_425:
	s_or_b64 exec, exec, s[14:15]
	v_mov_b32_e32 v3, 0
	v_mov_b32_e32 v2, 0
	s_waitcnt lgkmcnt(0)
	s_barrier
	buffer_wbinvl1_vol
	s_and_saveexec_b64 s[16:17], s[18:19]
	s_cbranch_execz .LBB61_431
; %bb.426:
	v_lshlrev_b32_e32 v18, 3, v9
	v_lshlrev_b32_e32 v19, 9, v10
	ds_read_b64 v[2:3], v18 offset:18688
	ds_read_b64 v[20:21], v19 offset:18720
	v_cmp_gt_u32_e64 s[14:15], 12, v8
	s_waitcnt lgkmcnt(0)
	v_mul_f32_e32 v22, v21, v3
	v_mul_f32_e32 v3, v20, v3
	v_fma_f32 v20, v20, v2, -v22
	v_fmac_f32_e32 v3, v21, v2
	v_add_f32_e32 v2, 0, v20
	v_add_f32_e32 v3, 0, v3
	s_and_saveexec_b64 s[20:21], s[14:15]
	s_cbranch_execnz .LBB61_1010
; %bb.427:
	s_or_b64 exec, exec, s[20:21]
	v_cmp_gt_u32_e64 s[14:15], 8, v8
	s_and_saveexec_b64 s[20:21], s[14:15]
	s_cbranch_execnz .LBB61_1011
.LBB61_428:
	s_or_b64 exec, exec, s[20:21]
	v_cmp_gt_u32_e64 s[14:15], 4, v8
	s_and_saveexec_b64 s[20:21], s[14:15]
	s_cbranch_execz .LBB61_430
.LBB61_429:
	v_lshlrev_b32_e32 v18, 3, v0
	v_mov_b32_e32 v20, 0
	ds_read_b64 v[18:19], v18 offset:20224
	ds_read_b64 v[20:21], v20 offset:20280
	s_waitcnt lgkmcnt(0)
	v_mul_f32_e32 v22, v21, v19
	v_mul_f32_e32 v19, v20, v19
	v_fma_f32 v20, v20, v18, -v22
	v_fmac_f32_e32 v19, v21, v18
	v_add_f32_e32 v2, v2, v20
	v_add_f32_e32 v3, v3, v19
.LBB61_430:
	s_or_b64 exec, exec, s[20:21]
.LBB61_431:
	s_or_b64 exec, exec, s[16:17]
	s_and_saveexec_b64 s[14:15], s[40:41]
; %bb.432:
	v_xor_b32_e32 v18, 0x80000000, v2
	v_xor_b32_e32 v19, 0x80000000, v3
	ds_write_b64 v11, v[18:19]
; %bb.433:
	s_or_b64 exec, exec, s[14:15]
	s_waitcnt lgkmcnt(0)
	s_barrier
	s_and_saveexec_b64 s[14:15], s[42:43]
	s_cbranch_execz .LBB61_435
; %bb.434:
	v_lshlrev_b32_e32 v18, 3, v9
	ds_read_b64 v[18:19], v18 offset:18176
	ds_read_b64 v[20:21], v11
	s_waitcnt lgkmcnt(0)
	v_mul_f32_e32 v22, v21, v19
	v_mul_f32_e32 v19, v20, v19
	v_fma_f32 v20, v20, v18, -v22
	v_fmac_f32_e32 v19, v21, v18
	v_sub_f32_e32 v2, v2, v20
	v_sub_f32_e32 v3, v3, v19
.LBB61_435:
	s_or_b64 exec, exec, s[14:15]
	s_barrier
	s_and_saveexec_b64 s[14:15], s[44:45]
; %bb.436:
	v_xor_b32_e32 v18, 0x80000000, v2
	v_xor_b32_e32 v19, 0x80000000, v3
	ds_write_b64 v11, v[18:19]
; %bb.437:
	s_or_b64 exec, exec, s[14:15]
	s_waitcnt lgkmcnt(0)
	s_barrier
	s_and_saveexec_b64 s[14:15], s[46:47]
	s_cbranch_execz .LBB61_439
; %bb.438:
	v_lshlrev_b32_e32 v18, 3, v9
	ds_read_b64 v[18:19], v18 offset:17664
	ds_read_b64 v[20:21], v11
	s_waitcnt lgkmcnt(0)
	v_mul_f32_e32 v22, v21, v19
	v_mul_f32_e32 v19, v20, v19
	v_fma_f32 v20, v20, v18, -v22
	v_fmac_f32_e32 v19, v21, v18
	v_sub_f32_e32 v2, v2, v20
	v_sub_f32_e32 v3, v3, v19
.LBB61_439:
	s_or_b64 exec, exec, s[14:15]
	s_barrier
	s_and_saveexec_b64 s[14:15], s[48:49]
; %bb.440:
	v_xor_b32_e32 v18, 0x80000000, v2
	v_xor_b32_e32 v19, 0x80000000, v3
	ds_write_b64 v11, v[18:19]
; %bb.441:
	s_or_b64 exec, exec, s[14:15]
	s_waitcnt lgkmcnt(0)
	s_barrier
	s_and_saveexec_b64 s[14:15], s[38:39]
	s_cbranch_execz .LBB61_443
; %bb.442:
	v_mov_b32_e32 v18, 0
	ds_read_b64 v[18:19], v18 offset:17152
	ds_read_b64 v[20:21], v11
	s_waitcnt lgkmcnt(0)
	v_mul_f32_e32 v22, v21, v19
	v_mul_f32_e32 v19, v20, v19
	v_fma_f32 v20, v20, v18, -v22
	v_fmac_f32_e32 v19, v21, v18
	v_sub_f32_e32 v2, v2, v20
	v_sub_f32_e32 v3, v3, v19
.LBB61_443:
	s_or_b64 exec, exec, s[14:15]
	s_barrier
	s_and_saveexec_b64 s[14:15], s[38:39]
; %bb.444:
	v_xor_b32_e32 v18, 0x80000000, v2
	v_xor_b32_e32 v19, 0x80000000, v3
	ds_write_b64 v11, v[18:19]
; %bb.445:
	s_or_b64 exec, exec, s[14:15]
	s_waitcnt lgkmcnt(0)
	s_barrier
	s_barrier
	s_and_saveexec_b64 s[14:15], s[18:19]
; %bb.446:
	v_lshlrev_b32_e32 v18, 3, v9
	v_lshl_or_b32 v18, v10, 9, v18
	ds_write_b64 v18, v[2:3] offset:18688
; %bb.447:
	s_or_b64 exec, exec, s[14:15]
	s_waitcnt lgkmcnt(0)
	s_barrier
	s_barrier
	s_and_saveexec_b64 s[14:15], vcc
	s_cbranch_execz .LBB61_449
; %bb.448:
	s_mov_b64 s[16:17], 0x3f800000
	v_mov_b32_e32 v2, s16
	v_mov_b32_e32 v3, s17
	s_movk_i32 s16, 0x4000
	v_add_u32_e64 v18, s16, 0
	ds_write2_b64 v18, v[2:3], v[2:3] offset0:162 offset1:227
.LBB61_449:
	s_or_b64 exec, exec, s[14:15]
	v_mov_b32_e32 v2, 0
	v_mov_b32_e32 v3, 0
	s_waitcnt lgkmcnt(0)
	s_barrier
	buffer_wbinvl1_vol
	s_and_saveexec_b64 s[16:17], s[6:7]
	s_cbranch_execz .LBB61_453
; %bb.450:
	v_lshlrev_b32_e32 v2, 3, v4
	v_lshlrev_b32_e32 v18, 9, v5
	ds_read_b64 v[2:3], v2 offset:17664
	ds_read_b64 v[18:19], v18 offset:17680
	v_cmp_gt_u32_e64 s[14:15], 2, v8
	s_waitcnt lgkmcnt(0)
	v_mul_f32_e32 v20, v19, v3
	v_mul_f32_e32 v3, v18, v3
	v_fma_f32 v18, v18, v2, -v20
	v_fmac_f32_e32 v3, v19, v2
	v_add_f32_e32 v2, 0, v18
	v_add_f32_e32 v3, 0, v3
	s_and_saveexec_b64 s[20:21], s[14:15]
	s_cbranch_execz .LBB61_452
; %bb.451:
	v_lshlrev_b32_e32 v18, 3, v0
	v_mov_b32_e32 v20, 0
	ds_read_b64 v[18:19], v18 offset:18176
	ds_read_b64 v[20:21], v20 offset:18200
	s_waitcnt lgkmcnt(0)
	v_mul_f32_e32 v22, v21, v19
	v_mul_f32_e32 v19, v20, v19
	v_fma_f32 v20, v20, v18, -v22
	v_fmac_f32_e32 v19, v21, v18
	v_add_f32_e32 v2, v2, v20
	v_add_f32_e32 v3, v3, v19
.LBB61_452:
	s_or_b64 exec, exec, s[20:21]
.LBB61_453:
	s_or_b64 exec, exec, s[16:17]
	s_and_saveexec_b64 s[14:15], s[36:37]
; %bb.454:
	v_xor_b32_e32 v19, 0x80000000, v3
	v_xor_b32_e32 v18, 0x80000000, v2
	ds_write_b64 v6, v[18:19]
; %bb.455:
	s_or_b64 exec, exec, s[14:15]
	s_waitcnt lgkmcnt(0)
	s_barrier
	s_and_saveexec_b64 s[14:15], s[34:35]
	s_cbranch_execz .LBB61_457
; %bb.456:
	v_mov_b32_e32 v18, 0
	ds_read_b64 v[18:19], v18 offset:17152
	ds_read_b64 v[20:21], v6
	s_waitcnt lgkmcnt(0)
	v_mul_f32_e32 v22, v20, v18
	v_mul_f32_e32 v20, v20, v19
	v_fmac_f32_e32 v20, v21, v18
	v_fma_f32 v18, v21, v19, -v22
	v_add_f32_e32 v2, v2, v18
	v_sub_f32_e32 v3, v3, v20
.LBB61_457:
	s_or_b64 exec, exec, s[14:15]
	s_barrier
	s_and_saveexec_b64 s[14:15], s[34:35]
; %bb.458:
	v_xor_b32_e32 v19, 0x80000000, v3
	v_xor_b32_e32 v18, 0x80000000, v2
	ds_write_b64 v6, v[18:19]
; %bb.459:
	s_or_b64 exec, exec, s[14:15]
	s_waitcnt lgkmcnt(0)
	s_barrier
	s_barrier
	s_and_saveexec_b64 s[14:15], s[6:7]
; %bb.460:
	v_lshlrev_b32_e32 v18, 3, v4
	v_lshl_or_b32 v18, v5, 9, v18
	ds_write_b64 v18, v[2:3] offset:17664
; %bb.461:
	s_or_b64 exec, exec, s[14:15]
	s_waitcnt lgkmcnt(0)
	s_barrier
	s_barrier
	s_and_saveexec_b64 s[14:15], vcc
	s_cbranch_execz .LBB61_463
; %bb.462:
	s_mov_b64 s[16:17], 0x3f800000
	v_mov_b32_e32 v2, s16
	v_mov_b32_e32 v3, s17
	s_movk_i32 s16, 0x4000
	v_add_u32_e64 v18, s16, 0
	ds_write2_b64 v18, v[2:3], v[2:3] offset0:32 offset1:97
.LBB61_463:
	s_or_b64 exec, exec, s[14:15]
	s_movk_i32 s14, 0x3ff
	v_lshrrev_b32_e32 v20, 5, v8
	v_cmp_lt_u32_e64 s[16:17], s14, v8
	s_movk_i32 s14, 0x400
	v_and_b32_e32 v18, 31, v0
	v_sub_u32_e32 v19, 31, v20
	v_cmp_gt_u32_e64 s[14:15], s14, v8
	v_mov_b32_e32 v3, 0
	v_mov_b32_e32 v2, 0
	s_waitcnt lgkmcnt(0)
	s_barrier
	buffer_wbinvl1_vol
	s_and_saveexec_b64 s[94:95], s[14:15]
	s_cbranch_execz .LBB61_525
; %bb.464:
	v_lshlrev_b32_e32 v21, 3, v18
	v_lshlrev_b32_e32 v22, 9, v19
	ds_read_b64 v[2:3], v21 offset:16384
	ds_read_b64 v[23:24], v22 offset:16640
	s_movk_i32 s20, 0x3e0
	v_cmp_gt_u32_e64 s[20:21], s20, v8
	s_waitcnt lgkmcnt(0)
	v_mul_f32_e32 v25, v24, v3
	v_mul_f32_e32 v3, v23, v3
	v_fma_f32 v23, v23, v2, -v25
	v_fmac_f32_e32 v3, v24, v2
	v_add_f32_e32 v2, 0, v23
	v_add_f32_e32 v3, 0, v3
	s_and_saveexec_b64 s[78:79], s[20:21]
	s_cbranch_execz .LBB61_466
; %bb.465:
	ds_read_b64 v[23:24], v21 offset:16896
	ds_read_b64 v[25:26], v22 offset:16648
	s_waitcnt lgkmcnt(0)
	v_mul_f32_e32 v27, v26, v24
	v_mul_f32_e32 v24, v25, v24
	v_fma_f32 v25, v25, v23, -v27
	v_fmac_f32_e32 v24, v26, v23
	v_add_f32_e32 v2, v2, v25
	v_add_f32_e32 v3, v3, v24
.LBB61_466:
	s_or_b64 exec, exec, s[78:79]
	s_movk_i32 s20, 0x3c0
	v_cmp_gt_u32_e64 s[20:21], s20, v8
	s_and_saveexec_b64 s[78:79], s[20:21]
	s_cbranch_execz .LBB61_468
; %bb.467:
	ds_read_b64 v[23:24], v21 offset:17408
	ds_read_b64 v[25:26], v22 offset:16656
	s_waitcnt lgkmcnt(0)
	v_mul_f32_e32 v27, v26, v24
	v_mul_f32_e32 v24, v25, v24
	v_fma_f32 v25, v25, v23, -v27
	v_fmac_f32_e32 v24, v26, v23
	v_add_f32_e32 v2, v2, v25
	v_add_f32_e32 v3, v3, v24
.LBB61_468:
	s_or_b64 exec, exec, s[78:79]
	s_movk_i32 s20, 0x3a0
	v_cmp_gt_u32_e64 s[20:21], s20, v8
	;; [unrolled: 16-line block ×22, first 2 shown]
	s_and_saveexec_b64 s[78:79], s[20:21]
	s_cbranch_execz .LBB61_510
; %bb.509:
	ds_read_b64 v[23:24], v21 offset:28160
	ds_read_b64 v[25:26], v22 offset:16824
	s_waitcnt lgkmcnt(0)
	v_mul_f32_e32 v27, v26, v24
	v_mul_f32_e32 v24, v25, v24
	v_fma_f32 v25, v25, v23, -v27
	v_fmac_f32_e32 v24, v26, v23
	v_add_f32_e32 v2, v2, v25
	v_add_f32_e32 v3, v3, v24
.LBB61_510:
	s_or_b64 exec, exec, s[78:79]
	s_and_saveexec_b64 s[20:21], s[12:13]
	s_cbranch_execz .LBB61_512
; %bb.511:
	ds_read_b64 v[23:24], v21 offset:28672
	ds_read_b64 v[25:26], v22 offset:16832
	s_waitcnt lgkmcnt(0)
	v_mul_f32_e32 v27, v26, v24
	v_mul_f32_e32 v24, v25, v24
	v_fma_f32 v25, v25, v23, -v27
	v_fmac_f32_e32 v24, v26, v23
	v_add_f32_e32 v2, v2, v25
	v_add_f32_e32 v3, v3, v24
.LBB61_512:
	s_or_b64 exec, exec, s[20:21]
	s_movk_i32 s20, 0xe0
	v_cmp_gt_u32_e64 s[20:21], s20, v8
	s_and_saveexec_b64 s[78:79], s[20:21]
	s_cbranch_execz .LBB61_514
; %bb.513:
	ds_read_b64 v[23:24], v21 offset:29184
	ds_read_b64 v[25:26], v22 offset:16840
	s_waitcnt lgkmcnt(0)
	v_mul_f32_e32 v27, v26, v24
	v_mul_f32_e32 v24, v25, v24
	v_fma_f32 v25, v25, v23, -v27
	v_fmac_f32_e32 v24, v26, v23
	v_add_f32_e32 v2, v2, v25
	v_add_f32_e32 v3, v3, v24
.LBB61_514:
	s_or_b64 exec, exec, s[78:79]
	s_movk_i32 s20, 0xc0
	v_cmp_gt_u32_e64 s[20:21], s20, v8
	;; [unrolled: 16-line block ×5, first 2 shown]
	s_and_saveexec_b64 s[78:79], s[20:21]
	s_cbranch_execnz .LBB61_1012
; %bb.521:
	s_or_b64 exec, exec, s[78:79]
	s_and_saveexec_b64 s[20:21], s[10:11]
	s_cbranch_execnz .LBB61_1013
.LBB61_522:
	s_or_b64 exec, exec, s[20:21]
	v_cmp_gt_u32_e64 s[20:21], 32, v8
	s_and_saveexec_b64 s[78:79], s[20:21]
	s_cbranch_execz .LBB61_524
.LBB61_523:
	ds_read_b64 v[23:24], v21 offset:32256
	ds_read_b64 v[21:22], v22 offset:16888
	s_waitcnt lgkmcnt(0)
	v_mul_f32_e32 v25, v22, v24
	v_mul_f32_e32 v24, v21, v24
	v_fma_f32 v21, v21, v23, -v25
	v_fmac_f32_e32 v24, v22, v23
	v_add_f32_e32 v2, v2, v21
	v_add_f32_e32 v3, v3, v24
.LBB61_524:
	s_or_b64 exec, exec, s[78:79]
.LBB61_525:
	s_or_b64 exec, exec, s[94:95]
	v_mov_b32_e32 v21, 0x8000
	v_lshl_add_u32 v20, v20, 3, v21
	v_mov_b32_e32 v21, 0x3c00
	v_lshl_or_b32 v21, v18, 3, v21
	s_mov_b32 s78, 31
	v_subrev_u32_e32 v22, 31, v18
	s_xor_b64 s[20:21], s[16:17], -1
	s_branch .LBB61_527
.LBB61_526:                             ;   in Loop: Header=BB61_527 Depth=1
	s_or_b64 exec, exec, s[16:17]
	s_add_i32 s78, s78, -2
	v_add_u32_e32 v21, 0xfffffc00, v21
	s_cmp_eq_u32 s79, 0
	v_add_u32_e32 v22, 2, v22
	s_barrier
	s_cbranch_scc1 .LBB61_535
.LBB61_527:                             ; =>This Inner Loop Header: Depth=1
	v_cmp_eq_u32_e64 s[16:17], 0, v22
	s_and_b64 s[94:95], s[20:21], s[16:17]
	s_and_saveexec_b64 s[16:17], s[94:95]
; %bb.528:                              ;   in Loop: Header=BB61_527 Depth=1
	v_xor_b32_e32 v24, 0x80000000, v3
	v_xor_b32_e32 v23, 0x80000000, v2
	ds_write_b64 v20, v[23:24]
; %bb.529:                              ;   in Loop: Header=BB61_527 Depth=1
	s_or_b64 exec, exec, s[16:17]
	v_cmp_gt_u32_e64 s[16:17], s78, v18
	s_and_b64 s[94:95], s[20:21], s[16:17]
	s_waitcnt lgkmcnt(0)
	s_barrier
	s_and_saveexec_b64 s[16:17], s[94:95]
	s_cbranch_execz .LBB61_531
; %bb.530:                              ;   in Loop: Header=BB61_527 Depth=1
	ds_read_b64 v[23:24], v21 offset:512
	ds_read_b64 v[25:26], v20
	s_waitcnt lgkmcnt(0)
	v_mul_f32_e32 v27, v26, v24
	v_mul_f32_e32 v24, v25, v24
	v_fma_f32 v25, v25, v23, -v27
	v_fmac_f32_e32 v24, v26, v23
	v_sub_f32_e32 v2, v2, v25
	v_sub_f32_e32 v3, v3, v24
.LBB61_531:                             ;   in Loop: Header=BB61_527 Depth=1
	s_or_b64 exec, exec, s[16:17]
	s_add_i32 s79, s78, -1
	v_cmp_eq_u32_e64 s[16:17], s79, v18
	s_and_b64 s[94:95], s[20:21], s[16:17]
	s_barrier
	s_and_saveexec_b64 s[16:17], s[94:95]
; %bb.532:                              ;   in Loop: Header=BB61_527 Depth=1
	v_xor_b32_e32 v24, 0x80000000, v3
	v_xor_b32_e32 v23, 0x80000000, v2
	ds_write_b64 v20, v[23:24]
; %bb.533:                              ;   in Loop: Header=BB61_527 Depth=1
	s_or_b64 exec, exec, s[16:17]
	v_cmp_gt_u32_e64 s[16:17], s79, v18
	s_and_b64 s[94:95], s[20:21], s[16:17]
	s_waitcnt lgkmcnt(0)
	s_barrier
	s_and_saveexec_b64 s[16:17], s[94:95]
	s_cbranch_execz .LBB61_526
; %bb.534:                              ;   in Loop: Header=BB61_527 Depth=1
	ds_read_b64 v[23:24], v21
	ds_read_b64 v[25:26], v20
	s_waitcnt lgkmcnt(0)
	v_mul_f32_e32 v27, v26, v24
	v_mul_f32_e32 v24, v25, v24
	v_fma_f32 v25, v25, v23, -v27
	v_fmac_f32_e32 v24, v26, v23
	v_sub_f32_e32 v2, v2, v25
	v_sub_f32_e32 v3, v3, v24
	s_branch .LBB61_526
.LBB61_535:
	s_and_saveexec_b64 s[16:17], s[14:15]
; %bb.536:
	v_lshlrev_b32_e32 v18, 3, v18
	v_lshl_or_b32 v18, v19, 9, v18
	ds_write_b64 v18, v[2:3] offset:16384
; %bb.537:
	s_or_b64 exec, exec, s[16:17]
	s_waitcnt lgkmcnt(0)
	s_barrier
	s_barrier
	s_and_saveexec_b64 s[14:15], vcc
	s_cbranch_execz .LBB61_539
; %bb.538:
	s_mov_b64 s[16:17], 0x3f800000
	v_mov_b32_e32 v2, s16
	v_mov_b32_e32 v3, s17
	s_movk_i32 s16, 0x3800
	v_add_u32_e64 v18, s16, 0
	ds_write2_b64 v18, v[2:3], v[2:3] offset0:158 offset1:223
.LBB61_539:
	s_or_b64 exec, exec, s[14:15]
	v_mov_b32_e32 v2, 0
	v_mov_b32_e32 v3, 0
	s_waitcnt lgkmcnt(0)
	s_barrier
	buffer_wbinvl1_vol
	s_and_saveexec_b64 s[16:17], s[6:7]
	s_cbranch_execz .LBB61_543
; %bb.540:
	v_lshlrev_b32_e32 v2, 3, v4
	v_lshlrev_b32_e32 v18, 9, v5
	ds_read_b64 v[2:3], v2 offset:15584
	ds_read_b64 v[18:19], v18 offset:15600
	v_cmp_gt_u32_e64 s[14:15], 2, v8
	s_waitcnt lgkmcnt(0)
	v_mul_f32_e32 v20, v19, v3
	v_mul_f32_e32 v3, v18, v3
	v_fma_f32 v18, v18, v2, -v20
	v_fmac_f32_e32 v3, v19, v2
	v_add_f32_e32 v2, 0, v18
	v_add_f32_e32 v3, 0, v3
	s_and_saveexec_b64 s[20:21], s[14:15]
	s_cbranch_execz .LBB61_542
; %bb.541:
	v_lshlrev_b32_e32 v18, 3, v0
	v_mov_b32_e32 v20, 0
	ds_read_b64 v[18:19], v18 offset:16096
	ds_read_b64 v[20:21], v20 offset:16120
	s_waitcnt lgkmcnt(0)
	v_mul_f32_e32 v22, v21, v19
	v_mul_f32_e32 v19, v20, v19
	v_fma_f32 v20, v20, v18, -v22
	v_fmac_f32_e32 v19, v21, v18
	v_add_f32_e32 v2, v2, v20
	v_add_f32_e32 v3, v3, v19
.LBB61_542:
	s_or_b64 exec, exec, s[20:21]
.LBB61_543:
	s_or_b64 exec, exec, s[16:17]
	s_and_saveexec_b64 s[14:15], s[36:37]
; %bb.544:
	v_xor_b32_e32 v19, 0x80000000, v3
	v_xor_b32_e32 v18, 0x80000000, v2
	ds_write_b64 v6, v[18:19]
; %bb.545:
	s_or_b64 exec, exec, s[14:15]
	s_waitcnt lgkmcnt(0)
	s_barrier
	s_and_saveexec_b64 s[14:15], s[34:35]
	s_cbranch_execz .LBB61_547
; %bb.546:
	v_mov_b32_e32 v18, 0
	ds_read_b64 v[18:19], v18 offset:15072
	ds_read_b64 v[20:21], v6
	s_waitcnt lgkmcnt(0)
	v_mul_f32_e32 v22, v20, v18
	v_mul_f32_e32 v20, v20, v19
	v_fmac_f32_e32 v20, v21, v18
	v_fma_f32 v18, v21, v19, -v22
	v_add_f32_e32 v2, v2, v18
	v_sub_f32_e32 v3, v3, v20
.LBB61_547:
	s_or_b64 exec, exec, s[14:15]
	s_barrier
	s_and_saveexec_b64 s[14:15], s[34:35]
; %bb.548:
	v_xor_b32_e32 v19, 0x80000000, v3
	v_xor_b32_e32 v18, 0x80000000, v2
	ds_write_b64 v6, v[18:19]
; %bb.549:
	s_or_b64 exec, exec, s[14:15]
	s_waitcnt lgkmcnt(0)
	s_barrier
	s_barrier
	s_and_saveexec_b64 s[14:15], s[6:7]
; %bb.550:
	v_lshlrev_b32_e32 v18, 3, v4
	v_lshl_or_b32 v18, v5, 9, v18
	ds_write_b64 v18, v[2:3] offset:15584
; %bb.551:
	s_or_b64 exec, exec, s[14:15]
	s_waitcnt lgkmcnt(0)
	s_barrier
	s_barrier
	s_and_saveexec_b64 s[14:15], vcc
	s_cbranch_execz .LBB61_553
; %bb.552:
	s_mov_b64 s[16:17], 0x3f800000
	v_mov_b32_e32 v2, s16
	v_mov_b32_e32 v3, s17
	s_movk_i32 s16, 0x3800
	v_add_u32_e64 v18, s16, 0
	ds_write2_b64 v18, v[2:3], v[2:3] offset0:28 offset1:93
.LBB61_553:
	s_or_b64 exec, exec, s[14:15]
	v_mov_b32_e32 v3, 0
	v_mov_b32_e32 v2, 0
	s_waitcnt lgkmcnt(0)
	s_barrier
	buffer_wbinvl1_vol
	s_and_saveexec_b64 s[16:17], s[18:19]
	s_cbranch_execz .LBB61_559
; %bb.554:
	v_lshlrev_b32_e32 v18, 3, v9
	v_lshlrev_b32_e32 v19, 9, v10
	ds_read_b64 v[2:3], v18 offset:14528
	ds_read_b64 v[20:21], v19 offset:14560
	v_cmp_gt_u32_e64 s[14:15], 12, v8
	s_waitcnt lgkmcnt(0)
	v_mul_f32_e32 v22, v21, v3
	v_mul_f32_e32 v3, v20, v3
	v_fma_f32 v20, v20, v2, -v22
	v_fmac_f32_e32 v3, v21, v2
	v_add_f32_e32 v2, 0, v20
	v_add_f32_e32 v3, 0, v3
	s_and_saveexec_b64 s[20:21], s[14:15]
	s_cbranch_execnz .LBB61_1014
; %bb.555:
	s_or_b64 exec, exec, s[20:21]
	v_cmp_gt_u32_e64 s[14:15], 8, v8
	s_and_saveexec_b64 s[20:21], s[14:15]
	s_cbranch_execnz .LBB61_1015
.LBB61_556:
	s_or_b64 exec, exec, s[20:21]
	v_cmp_gt_u32_e64 s[14:15], 4, v8
	s_and_saveexec_b64 s[20:21], s[14:15]
	s_cbranch_execz .LBB61_558
.LBB61_557:
	v_lshlrev_b32_e32 v18, 3, v0
	v_mov_b32_e32 v20, 0
	ds_read_b64 v[18:19], v18 offset:16064
	ds_read_b64 v[20:21], v20 offset:16120
	s_waitcnt lgkmcnt(0)
	v_mul_f32_e32 v22, v21, v19
	v_mul_f32_e32 v19, v20, v19
	v_fma_f32 v20, v20, v18, -v22
	v_fmac_f32_e32 v19, v21, v18
	v_add_f32_e32 v2, v2, v20
	v_add_f32_e32 v3, v3, v19
.LBB61_558:
	s_or_b64 exec, exec, s[20:21]
.LBB61_559:
	s_or_b64 exec, exec, s[16:17]
	s_and_saveexec_b64 s[14:15], s[40:41]
; %bb.560:
	v_xor_b32_e32 v18, 0x80000000, v2
	v_xor_b32_e32 v19, 0x80000000, v3
	ds_write_b64 v11, v[18:19]
; %bb.561:
	s_or_b64 exec, exec, s[14:15]
	s_waitcnt lgkmcnt(0)
	s_barrier
	s_and_saveexec_b64 s[14:15], s[42:43]
	s_cbranch_execz .LBB61_563
; %bb.562:
	v_lshlrev_b32_e32 v18, 3, v9
	ds_read_b64 v[18:19], v18 offset:14016
	ds_read_b64 v[20:21], v11
	s_waitcnt lgkmcnt(0)
	v_mul_f32_e32 v22, v21, v19
	v_mul_f32_e32 v19, v20, v19
	v_fma_f32 v20, v20, v18, -v22
	v_fmac_f32_e32 v19, v21, v18
	v_sub_f32_e32 v2, v2, v20
	v_sub_f32_e32 v3, v3, v19
.LBB61_563:
	s_or_b64 exec, exec, s[14:15]
	s_barrier
	s_and_saveexec_b64 s[14:15], s[44:45]
; %bb.564:
	v_xor_b32_e32 v18, 0x80000000, v2
	v_xor_b32_e32 v19, 0x80000000, v3
	ds_write_b64 v11, v[18:19]
; %bb.565:
	s_or_b64 exec, exec, s[14:15]
	s_waitcnt lgkmcnt(0)
	s_barrier
	s_and_saveexec_b64 s[14:15], s[46:47]
	s_cbranch_execz .LBB61_567
; %bb.566:
	v_lshlrev_b32_e32 v18, 3, v9
	ds_read_b64 v[18:19], v18 offset:13504
	ds_read_b64 v[20:21], v11
	s_waitcnt lgkmcnt(0)
	v_mul_f32_e32 v22, v21, v19
	v_mul_f32_e32 v19, v20, v19
	v_fma_f32 v20, v20, v18, -v22
	v_fmac_f32_e32 v19, v21, v18
	v_sub_f32_e32 v2, v2, v20
	v_sub_f32_e32 v3, v3, v19
.LBB61_567:
	s_or_b64 exec, exec, s[14:15]
	s_barrier
	s_and_saveexec_b64 s[14:15], s[48:49]
; %bb.568:
	v_xor_b32_e32 v18, 0x80000000, v2
	v_xor_b32_e32 v19, 0x80000000, v3
	ds_write_b64 v11, v[18:19]
; %bb.569:
	s_or_b64 exec, exec, s[14:15]
	s_waitcnt lgkmcnt(0)
	s_barrier
	s_and_saveexec_b64 s[14:15], s[38:39]
	s_cbranch_execz .LBB61_571
; %bb.570:
	v_mov_b32_e32 v18, 0
	ds_read_b64 v[18:19], v18 offset:12992
	ds_read_b64 v[20:21], v11
	s_waitcnt lgkmcnt(0)
	v_mul_f32_e32 v22, v21, v19
	v_mul_f32_e32 v19, v20, v19
	v_fma_f32 v20, v20, v18, -v22
	v_fmac_f32_e32 v19, v21, v18
	v_sub_f32_e32 v2, v2, v20
	v_sub_f32_e32 v3, v3, v19
.LBB61_571:
	s_or_b64 exec, exec, s[14:15]
	s_barrier
	s_and_saveexec_b64 s[14:15], s[38:39]
; %bb.572:
	v_xor_b32_e32 v18, 0x80000000, v2
	v_xor_b32_e32 v19, 0x80000000, v3
	ds_write_b64 v11, v[18:19]
; %bb.573:
	s_or_b64 exec, exec, s[14:15]
	s_waitcnt lgkmcnt(0)
	s_barrier
	s_barrier
	s_and_saveexec_b64 s[14:15], s[18:19]
; %bb.574:
	v_lshlrev_b32_e32 v18, 3, v9
	v_lshl_or_b32 v18, v10, 9, v18
	ds_write_b64 v18, v[2:3] offset:14528
; %bb.575:
	s_or_b64 exec, exec, s[14:15]
	s_waitcnt lgkmcnt(0)
	s_barrier
	s_barrier
	s_and_saveexec_b64 s[14:15], vcc
	s_cbranch_execz .LBB61_577
; %bb.576:
	s_mov_b64 s[16:17], 0x3f800000
	v_mov_b32_e32 v2, s16
	v_mov_b32_e32 v3, s17
	s_movk_i32 s16, 0x3000
	v_add_u32_e64 v18, s16, 0
	ds_write2_b64 v18, v[2:3], v[2:3] offset0:154 offset1:219
.LBB61_577:
	s_or_b64 exec, exec, s[14:15]
	v_mov_b32_e32 v2, 0
	v_mov_b32_e32 v3, 0
	s_waitcnt lgkmcnt(0)
	s_barrier
	buffer_wbinvl1_vol
	s_and_saveexec_b64 s[16:17], s[6:7]
	s_cbranch_execz .LBB61_581
; %bb.578:
	v_lshlrev_b32_e32 v2, 3, v4
	v_lshlrev_b32_e32 v18, 9, v5
	ds_read_b64 v[2:3], v2 offset:13504
	ds_read_b64 v[18:19], v18 offset:13520
	v_cmp_gt_u32_e64 s[14:15], 2, v8
	s_waitcnt lgkmcnt(0)
	v_mul_f32_e32 v20, v19, v3
	v_mul_f32_e32 v3, v18, v3
	v_fma_f32 v18, v18, v2, -v20
	v_fmac_f32_e32 v3, v19, v2
	v_add_f32_e32 v2, 0, v18
	v_add_f32_e32 v3, 0, v3
	s_and_saveexec_b64 s[20:21], s[14:15]
	s_cbranch_execz .LBB61_580
; %bb.579:
	v_lshlrev_b32_e32 v18, 3, v0
	v_mov_b32_e32 v20, 0
	ds_read_b64 v[18:19], v18 offset:14016
	ds_read_b64 v[20:21], v20 offset:14040
	s_waitcnt lgkmcnt(0)
	v_mul_f32_e32 v22, v21, v19
	v_mul_f32_e32 v19, v20, v19
	v_fma_f32 v20, v20, v18, -v22
	v_fmac_f32_e32 v19, v21, v18
	v_add_f32_e32 v2, v2, v20
	v_add_f32_e32 v3, v3, v19
.LBB61_580:
	s_or_b64 exec, exec, s[20:21]
.LBB61_581:
	s_or_b64 exec, exec, s[16:17]
	s_and_saveexec_b64 s[14:15], s[36:37]
; %bb.582:
	v_xor_b32_e32 v19, 0x80000000, v3
	v_xor_b32_e32 v18, 0x80000000, v2
	ds_write_b64 v6, v[18:19]
; %bb.583:
	s_or_b64 exec, exec, s[14:15]
	s_waitcnt lgkmcnt(0)
	s_barrier
	s_and_saveexec_b64 s[14:15], s[34:35]
	s_cbranch_execz .LBB61_585
; %bb.584:
	v_mov_b32_e32 v18, 0
	ds_read_b64 v[18:19], v18 offset:12992
	ds_read_b64 v[20:21], v6
	s_waitcnt lgkmcnt(0)
	v_mul_f32_e32 v22, v20, v18
	v_mul_f32_e32 v20, v20, v19
	v_fmac_f32_e32 v20, v21, v18
	v_fma_f32 v18, v21, v19, -v22
	v_add_f32_e32 v2, v2, v18
	v_sub_f32_e32 v3, v3, v20
.LBB61_585:
	s_or_b64 exec, exec, s[14:15]
	s_barrier
	s_and_saveexec_b64 s[14:15], s[34:35]
; %bb.586:
	v_xor_b32_e32 v19, 0x80000000, v3
	v_xor_b32_e32 v18, 0x80000000, v2
	ds_write_b64 v6, v[18:19]
; %bb.587:
	s_or_b64 exec, exec, s[14:15]
	s_waitcnt lgkmcnt(0)
	s_barrier
	s_barrier
	s_and_saveexec_b64 s[14:15], s[6:7]
; %bb.588:
	v_lshlrev_b32_e32 v18, 3, v4
	v_lshl_or_b32 v18, v5, 9, v18
	ds_write_b64 v18, v[2:3] offset:13504
; %bb.589:
	s_or_b64 exec, exec, s[14:15]
	s_waitcnt lgkmcnt(0)
	s_barrier
	s_barrier
	s_and_saveexec_b64 s[14:15], vcc
	s_cbranch_execz .LBB61_591
; %bb.590:
	s_mov_b64 s[16:17], 0x3f800000
	v_mov_b32_e32 v2, s16
	v_mov_b32_e32 v3, s17
	s_movk_i32 s16, 0x3000
	v_add_u32_e64 v18, s16, 0
	ds_write2_b64 v18, v[2:3], v[2:3] offset0:24 offset1:89
.LBB61_591:
	s_or_b64 exec, exec, s[14:15]
	v_mov_b32_e32 v3, 0
	v_mov_b32_e32 v2, 0
	s_waitcnt lgkmcnt(0)
	s_barrier
	buffer_wbinvl1_vol
	s_and_saveexec_b64 s[16:17], s[10:11]
	s_cbranch_execz .LBB61_601
; %bb.592:
	v_lshlrev_b32_e32 v18, 3, v12
	v_lshlrev_b32_e32 v19, 9, v13
	ds_read_b64 v[2:3], v18 offset:12416
	ds_read_b64 v[20:21], v19 offset:12480
	v_cmp_gt_u32_e64 s[14:15], 56, v8
	s_waitcnt lgkmcnt(0)
	v_mul_f32_e32 v22, v21, v3
	v_mul_f32_e32 v3, v20, v3
	v_fma_f32 v20, v20, v2, -v22
	v_fmac_f32_e32 v3, v21, v2
	v_add_f32_e32 v2, 0, v20
	v_add_f32_e32 v3, 0, v3
	s_and_saveexec_b64 s[20:21], s[14:15]
	s_cbranch_execnz .LBB61_1016
; %bb.593:
	s_or_b64 exec, exec, s[20:21]
	v_cmp_gt_u32_e64 s[14:15], 48, v8
	s_and_saveexec_b64 s[20:21], s[14:15]
	s_cbranch_execnz .LBB61_1017
.LBB61_594:
	s_or_b64 exec, exec, s[20:21]
	v_cmp_gt_u32_e64 s[14:15], 40, v8
	s_and_saveexec_b64 s[20:21], s[14:15]
	s_cbranch_execnz .LBB61_1018
.LBB61_595:
	s_or_b64 exec, exec, s[20:21]
	v_cmp_gt_u32_e64 s[14:15], 32, v8
	s_and_saveexec_b64 s[20:21], s[14:15]
	s_cbranch_execnz .LBB61_1019
.LBB61_596:
	s_or_b64 exec, exec, s[20:21]
	v_cmp_gt_u32_e64 s[14:15], 24, v8
	s_and_saveexec_b64 s[20:21], s[14:15]
	s_cbranch_execnz .LBB61_1020
.LBB61_597:
	s_or_b64 exec, exec, s[20:21]
	s_and_saveexec_b64 s[14:15], s[18:19]
	s_cbranch_execnz .LBB61_1021
.LBB61_598:
	s_or_b64 exec, exec, s[14:15]
	v_cmp_gt_u32_e64 s[14:15], 8, v8
	s_and_saveexec_b64 s[20:21], s[14:15]
	s_cbranch_execz .LBB61_600
.LBB61_599:
	v_lshlrev_b32_e32 v18, 3, v0
	v_mov_b32_e32 v20, 0
	ds_read_b64 v[18:19], v18 offset:16000
	ds_read_b64 v[20:21], v20 offset:16120
	s_waitcnt lgkmcnt(0)
	v_mul_f32_e32 v22, v21, v19
	v_mul_f32_e32 v19, v20, v19
	v_fma_f32 v20, v20, v18, -v22
	v_fmac_f32_e32 v19, v21, v18
	v_add_f32_e32 v2, v2, v20
	v_add_f32_e32 v3, v3, v19
.LBB61_600:
	s_or_b64 exec, exec, s[20:21]
.LBB61_601:
	s_or_b64 exec, exec, s[16:17]
	s_and_saveexec_b64 s[14:15], s[52:53]
; %bb.602:
	v_xor_b32_e32 v19, 0x80000000, v3
	v_xor_b32_e32 v18, 0x80000000, v2
	ds_write_b64 v14, v[18:19]
; %bb.603:
	s_or_b64 exec, exec, s[14:15]
	s_waitcnt lgkmcnt(0)
	s_barrier
	s_and_saveexec_b64 s[14:15], s[54:55]
	s_cbranch_execz .LBB61_605
; %bb.604:
	v_lshlrev_b32_e32 v18, 3, v12
	ds_read_b64 v[18:19], v18 offset:11904
	ds_read_b64 v[20:21], v14
	s_waitcnt lgkmcnt(0)
	v_mul_f32_e32 v22, v21, v19
	v_mul_f32_e32 v19, v20, v19
	v_fma_f32 v20, v20, v18, -v22
	v_fmac_f32_e32 v19, v21, v18
	v_sub_f32_e32 v2, v2, v20
	v_sub_f32_e32 v3, v3, v19
.LBB61_605:
	s_or_b64 exec, exec, s[14:15]
	s_barrier
	s_and_saveexec_b64 s[14:15], s[56:57]
; %bb.606:
	v_xor_b32_e32 v19, 0x80000000, v3
	v_xor_b32_e32 v18, 0x80000000, v2
	ds_write_b64 v14, v[18:19]
; %bb.607:
	s_or_b64 exec, exec, s[14:15]
	s_waitcnt lgkmcnt(0)
	s_barrier
	s_and_saveexec_b64 s[14:15], s[58:59]
	s_cbranch_execz .LBB61_609
; %bb.608:
	v_lshlrev_b32_e32 v18, 3, v12
	ds_read_b64 v[18:19], v18 offset:11392
	ds_read_b64 v[20:21], v14
	s_waitcnt lgkmcnt(0)
	v_mul_f32_e32 v22, v21, v19
	v_mul_f32_e32 v19, v20, v19
	v_fma_f32 v20, v20, v18, -v22
	v_fmac_f32_e32 v19, v21, v18
	v_sub_f32_e32 v2, v2, v20
	v_sub_f32_e32 v3, v3, v19
.LBB61_609:
	s_or_b64 exec, exec, s[14:15]
	s_barrier
	;; [unrolled: 25-line block ×6, first 2 shown]
	s_and_saveexec_b64 s[14:15], s[76:77]
; %bb.626:
	v_xor_b32_e32 v19, 0x80000000, v3
	v_xor_b32_e32 v18, 0x80000000, v2
	ds_write_b64 v14, v[18:19]
; %bb.627:
	s_or_b64 exec, exec, s[14:15]
	s_waitcnt lgkmcnt(0)
	s_barrier
	s_and_saveexec_b64 s[14:15], s[50:51]
	s_cbranch_execz .LBB61_629
; %bb.628:
	v_mov_b32_e32 v18, 0
	ds_read_b64 v[18:19], v18 offset:8832
	ds_read_b64 v[20:21], v14
	s_waitcnt lgkmcnt(0)
	v_mul_f32_e32 v22, v21, v19
	v_mul_f32_e32 v19, v20, v19
	v_fma_f32 v20, v20, v18, -v22
	v_fmac_f32_e32 v19, v21, v18
	v_sub_f32_e32 v2, v2, v20
	v_sub_f32_e32 v3, v3, v19
.LBB61_629:
	s_or_b64 exec, exec, s[14:15]
	s_barrier
	s_and_saveexec_b64 s[14:15], s[50:51]
; %bb.630:
	v_xor_b32_e32 v19, 0x80000000, v3
	v_xor_b32_e32 v18, 0x80000000, v2
	ds_write_b64 v14, v[18:19]
; %bb.631:
	s_or_b64 exec, exec, s[14:15]
	s_waitcnt lgkmcnt(0)
	s_barrier
	s_barrier
	s_and_saveexec_b64 s[14:15], s[10:11]
; %bb.632:
	v_lshlrev_b32_e32 v18, 3, v12
	v_lshl_or_b32 v18, v13, 9, v18
	ds_write_b64 v18, v[2:3] offset:12416
; %bb.633:
	s_or_b64 exec, exec, s[14:15]
	s_waitcnt lgkmcnt(0)
	s_barrier
	s_barrier
	s_and_saveexec_b64 s[14:15], vcc
	s_cbranch_execz .LBB61_635
; %bb.634:
	s_mov_b64 s[16:17], 0x3f800000
	v_mov_b32_e32 v2, s16
	v_mov_b32_e32 v3, s17
	s_movk_i32 s16, 0x2800
	v_add_u32_e64 v18, s16, 0
	ds_write2_b64 v18, v[2:3], v[2:3] offset0:150 offset1:215
.LBB61_635:
	s_or_b64 exec, exec, s[14:15]
	v_mov_b32_e32 v2, 0
	v_mov_b32_e32 v3, 0
	s_waitcnt lgkmcnt(0)
	s_barrier
	buffer_wbinvl1_vol
	s_and_saveexec_b64 s[16:17], s[6:7]
	s_cbranch_execz .LBB61_639
; %bb.636:
	v_lshlrev_b32_e32 v2, 3, v4
	v_lshlrev_b32_e32 v18, 9, v5
	ds_read_b64 v[2:3], v2 offset:11424
	ds_read_b64 v[18:19], v18 offset:11440
	v_cmp_gt_u32_e64 s[14:15], 2, v8
	s_waitcnt lgkmcnt(0)
	v_mul_f32_e32 v20, v19, v3
	v_mul_f32_e32 v3, v18, v3
	v_fma_f32 v18, v18, v2, -v20
	v_fmac_f32_e32 v3, v19, v2
	v_add_f32_e32 v2, 0, v18
	v_add_f32_e32 v3, 0, v3
	s_and_saveexec_b64 s[20:21], s[14:15]
	s_cbranch_execz .LBB61_638
; %bb.637:
	v_lshlrev_b32_e32 v18, 3, v0
	v_mov_b32_e32 v20, 0
	ds_read_b64 v[18:19], v18 offset:11936
	ds_read_b64 v[20:21], v20 offset:11960
	s_waitcnt lgkmcnt(0)
	v_mul_f32_e32 v22, v21, v19
	v_mul_f32_e32 v19, v20, v19
	v_fma_f32 v20, v20, v18, -v22
	v_fmac_f32_e32 v19, v21, v18
	v_add_f32_e32 v2, v2, v20
	v_add_f32_e32 v3, v3, v19
.LBB61_638:
	s_or_b64 exec, exec, s[20:21]
.LBB61_639:
	s_or_b64 exec, exec, s[16:17]
	s_and_saveexec_b64 s[14:15], s[36:37]
; %bb.640:
	v_xor_b32_e32 v19, 0x80000000, v3
	v_xor_b32_e32 v18, 0x80000000, v2
	ds_write_b64 v6, v[18:19]
; %bb.641:
	s_or_b64 exec, exec, s[14:15]
	s_waitcnt lgkmcnt(0)
	s_barrier
	s_and_saveexec_b64 s[14:15], s[34:35]
	s_cbranch_execz .LBB61_643
; %bb.642:
	v_mov_b32_e32 v18, 0
	ds_read_b64 v[18:19], v18 offset:10912
	ds_read_b64 v[20:21], v6
	s_waitcnt lgkmcnt(0)
	v_mul_f32_e32 v22, v20, v18
	v_mul_f32_e32 v20, v20, v19
	v_fmac_f32_e32 v20, v21, v18
	v_fma_f32 v18, v21, v19, -v22
	v_add_f32_e32 v2, v2, v18
	v_sub_f32_e32 v3, v3, v20
.LBB61_643:
	s_or_b64 exec, exec, s[14:15]
	s_barrier
	s_and_saveexec_b64 s[14:15], s[34:35]
; %bb.644:
	v_xor_b32_e32 v19, 0x80000000, v3
	v_xor_b32_e32 v18, 0x80000000, v2
	ds_write_b64 v6, v[18:19]
; %bb.645:
	s_or_b64 exec, exec, s[14:15]
	s_waitcnt lgkmcnt(0)
	s_barrier
	s_barrier
	s_and_saveexec_b64 s[14:15], s[6:7]
; %bb.646:
	v_lshlrev_b32_e32 v18, 3, v4
	v_lshl_or_b32 v18, v5, 9, v18
	ds_write_b64 v18, v[2:3] offset:11424
; %bb.647:
	s_or_b64 exec, exec, s[14:15]
	s_waitcnt lgkmcnt(0)
	s_barrier
	s_barrier
	s_and_saveexec_b64 s[14:15], vcc
	s_cbranch_execz .LBB61_649
; %bb.648:
	s_mov_b64 s[16:17], 0x3f800000
	v_mov_b32_e32 v2, s16
	v_mov_b32_e32 v3, s17
	s_movk_i32 s16, 0x2800
	v_add_u32_e64 v18, s16, 0
	ds_write2_b64 v18, v[2:3], v[2:3] offset0:20 offset1:85
.LBB61_649:
	s_or_b64 exec, exec, s[14:15]
	v_mov_b32_e32 v3, 0
	v_mov_b32_e32 v2, 0
	s_waitcnt lgkmcnt(0)
	s_barrier
	buffer_wbinvl1_vol
	s_and_saveexec_b64 s[16:17], s[18:19]
	s_cbranch_execz .LBB61_655
; %bb.650:
	v_lshlrev_b32_e32 v18, 3, v9
	v_lshlrev_b32_e32 v19, 9, v10
	ds_read_b64 v[2:3], v18 offset:10368
	ds_read_b64 v[20:21], v19 offset:10400
	v_cmp_gt_u32_e64 s[14:15], 12, v8
	s_waitcnt lgkmcnt(0)
	v_mul_f32_e32 v22, v21, v3
	v_mul_f32_e32 v3, v20, v3
	v_fma_f32 v20, v20, v2, -v22
	v_fmac_f32_e32 v3, v21, v2
	v_add_f32_e32 v2, 0, v20
	v_add_f32_e32 v3, 0, v3
	s_and_saveexec_b64 s[20:21], s[14:15]
	s_cbranch_execnz .LBB61_1022
; %bb.651:
	s_or_b64 exec, exec, s[20:21]
	v_cmp_gt_u32_e64 s[14:15], 8, v8
	s_and_saveexec_b64 s[20:21], s[14:15]
	s_cbranch_execnz .LBB61_1023
.LBB61_652:
	s_or_b64 exec, exec, s[20:21]
	v_cmp_gt_u32_e64 s[14:15], 4, v8
	s_and_saveexec_b64 s[20:21], s[14:15]
	s_cbranch_execz .LBB61_654
.LBB61_653:
	v_lshlrev_b32_e32 v18, 3, v0
	v_mov_b32_e32 v20, 0
	ds_read_b64 v[18:19], v18 offset:11904
	ds_read_b64 v[20:21], v20 offset:11960
	s_waitcnt lgkmcnt(0)
	v_mul_f32_e32 v22, v21, v19
	v_mul_f32_e32 v19, v20, v19
	v_fma_f32 v20, v20, v18, -v22
	v_fmac_f32_e32 v19, v21, v18
	v_add_f32_e32 v2, v2, v20
	v_add_f32_e32 v3, v3, v19
.LBB61_654:
	s_or_b64 exec, exec, s[20:21]
.LBB61_655:
	s_or_b64 exec, exec, s[16:17]
	s_and_saveexec_b64 s[14:15], s[40:41]
; %bb.656:
	v_xor_b32_e32 v18, 0x80000000, v2
	v_xor_b32_e32 v19, 0x80000000, v3
	ds_write_b64 v11, v[18:19]
; %bb.657:
	s_or_b64 exec, exec, s[14:15]
	s_waitcnt lgkmcnt(0)
	s_barrier
	s_and_saveexec_b64 s[14:15], s[42:43]
	s_cbranch_execz .LBB61_659
; %bb.658:
	v_lshlrev_b32_e32 v18, 3, v9
	ds_read_b64 v[18:19], v18 offset:9856
	ds_read_b64 v[20:21], v11
	s_waitcnt lgkmcnt(0)
	v_mul_f32_e32 v22, v21, v19
	v_mul_f32_e32 v19, v20, v19
	v_fma_f32 v20, v20, v18, -v22
	v_fmac_f32_e32 v19, v21, v18
	v_sub_f32_e32 v2, v2, v20
	v_sub_f32_e32 v3, v3, v19
.LBB61_659:
	s_or_b64 exec, exec, s[14:15]
	s_barrier
	s_and_saveexec_b64 s[14:15], s[44:45]
; %bb.660:
	v_xor_b32_e32 v18, 0x80000000, v2
	v_xor_b32_e32 v19, 0x80000000, v3
	ds_write_b64 v11, v[18:19]
; %bb.661:
	s_or_b64 exec, exec, s[14:15]
	s_waitcnt lgkmcnt(0)
	s_barrier
	s_and_saveexec_b64 s[14:15], s[46:47]
	s_cbranch_execz .LBB61_663
; %bb.662:
	v_lshlrev_b32_e32 v18, 3, v9
	ds_read_b64 v[18:19], v18 offset:9344
	ds_read_b64 v[20:21], v11
	s_waitcnt lgkmcnt(0)
	v_mul_f32_e32 v22, v21, v19
	v_mul_f32_e32 v19, v20, v19
	v_fma_f32 v20, v20, v18, -v22
	v_fmac_f32_e32 v19, v21, v18
	v_sub_f32_e32 v2, v2, v20
	v_sub_f32_e32 v3, v3, v19
.LBB61_663:
	s_or_b64 exec, exec, s[14:15]
	s_barrier
	s_and_saveexec_b64 s[14:15], s[48:49]
; %bb.664:
	v_xor_b32_e32 v18, 0x80000000, v2
	v_xor_b32_e32 v19, 0x80000000, v3
	ds_write_b64 v11, v[18:19]
; %bb.665:
	s_or_b64 exec, exec, s[14:15]
	s_waitcnt lgkmcnt(0)
	s_barrier
	s_and_saveexec_b64 s[14:15], s[38:39]
	s_cbranch_execz .LBB61_667
; %bb.666:
	v_mov_b32_e32 v18, 0
	ds_read_b64 v[18:19], v18 offset:8832
	ds_read_b64 v[20:21], v11
	s_waitcnt lgkmcnt(0)
	v_mul_f32_e32 v22, v21, v19
	v_mul_f32_e32 v19, v20, v19
	v_fma_f32 v20, v20, v18, -v22
	v_fmac_f32_e32 v19, v21, v18
	v_sub_f32_e32 v2, v2, v20
	v_sub_f32_e32 v3, v3, v19
.LBB61_667:
	s_or_b64 exec, exec, s[14:15]
	s_barrier
	s_and_saveexec_b64 s[14:15], s[38:39]
; %bb.668:
	v_xor_b32_e32 v18, 0x80000000, v2
	v_xor_b32_e32 v19, 0x80000000, v3
	ds_write_b64 v11, v[18:19]
; %bb.669:
	s_or_b64 exec, exec, s[14:15]
	s_waitcnt lgkmcnt(0)
	s_barrier
	s_barrier
	s_and_saveexec_b64 s[14:15], s[18:19]
; %bb.670:
	v_lshlrev_b32_e32 v18, 3, v9
	v_lshl_or_b32 v18, v10, 9, v18
	ds_write_b64 v18, v[2:3] offset:10368
; %bb.671:
	s_or_b64 exec, exec, s[14:15]
	s_waitcnt lgkmcnt(0)
	s_barrier
	s_barrier
	s_and_saveexec_b64 s[14:15], vcc
	s_cbranch_execz .LBB61_673
; %bb.672:
	s_mov_b64 s[16:17], 0x3f800000
	v_mov_b32_e32 v2, s16
	v_mov_b32_e32 v3, s17
	s_movk_i32 s16, 0x2000
	v_add_u32_e64 v18, s16, 0
	ds_write2_b64 v18, v[2:3], v[2:3] offset0:146 offset1:211
.LBB61_673:
	s_or_b64 exec, exec, s[14:15]
	v_mov_b32_e32 v2, 0
	v_mov_b32_e32 v3, 0
	s_waitcnt lgkmcnt(0)
	s_barrier
	buffer_wbinvl1_vol
	s_and_saveexec_b64 s[16:17], s[6:7]
	s_cbranch_execz .LBB61_677
; %bb.674:
	v_lshlrev_b32_e32 v2, 3, v4
	v_lshlrev_b32_e32 v18, 9, v5
	ds_read_b64 v[2:3], v2 offset:9344
	ds_read_b64 v[18:19], v18 offset:9360
	v_cmp_gt_u32_e64 s[14:15], 2, v8
	s_waitcnt lgkmcnt(0)
	v_mul_f32_e32 v20, v19, v3
	v_mul_f32_e32 v3, v18, v3
	v_fma_f32 v18, v18, v2, -v20
	v_fmac_f32_e32 v3, v19, v2
	v_add_f32_e32 v2, 0, v18
	v_add_f32_e32 v3, 0, v3
	s_and_saveexec_b64 s[20:21], s[14:15]
	s_cbranch_execz .LBB61_676
; %bb.675:
	v_lshlrev_b32_e32 v18, 3, v0
	v_mov_b32_e32 v20, 0
	ds_read_b64 v[18:19], v18 offset:9856
	ds_read_b64 v[20:21], v20 offset:9880
	s_waitcnt lgkmcnt(0)
	v_mul_f32_e32 v22, v21, v19
	v_mul_f32_e32 v19, v20, v19
	v_fma_f32 v20, v20, v18, -v22
	v_fmac_f32_e32 v19, v21, v18
	v_add_f32_e32 v2, v2, v20
	v_add_f32_e32 v3, v3, v19
.LBB61_676:
	s_or_b64 exec, exec, s[20:21]
.LBB61_677:
	s_or_b64 exec, exec, s[16:17]
	s_and_saveexec_b64 s[14:15], s[36:37]
; %bb.678:
	v_xor_b32_e32 v19, 0x80000000, v3
	v_xor_b32_e32 v18, 0x80000000, v2
	ds_write_b64 v6, v[18:19]
; %bb.679:
	s_or_b64 exec, exec, s[14:15]
	s_waitcnt lgkmcnt(0)
	s_barrier
	s_and_saveexec_b64 s[14:15], s[34:35]
	s_cbranch_execz .LBB61_681
; %bb.680:
	v_mov_b32_e32 v18, 0
	ds_read_b64 v[18:19], v18 offset:8832
	ds_read_b64 v[20:21], v6
	s_waitcnt lgkmcnt(0)
	v_mul_f32_e32 v22, v20, v18
	v_mul_f32_e32 v20, v20, v19
	v_fmac_f32_e32 v20, v21, v18
	v_fma_f32 v18, v21, v19, -v22
	v_add_f32_e32 v2, v2, v18
	v_sub_f32_e32 v3, v3, v20
.LBB61_681:
	s_or_b64 exec, exec, s[14:15]
	s_barrier
	s_and_saveexec_b64 s[14:15], s[34:35]
; %bb.682:
	v_xor_b32_e32 v19, 0x80000000, v3
	v_xor_b32_e32 v18, 0x80000000, v2
	ds_write_b64 v6, v[18:19]
; %bb.683:
	s_or_b64 exec, exec, s[14:15]
	s_waitcnt lgkmcnt(0)
	s_barrier
	s_barrier
	s_and_saveexec_b64 s[14:15], s[6:7]
; %bb.684:
	v_lshlrev_b32_e32 v18, 3, v4
	v_lshl_or_b32 v18, v5, 9, v18
	ds_write_b64 v18, v[2:3] offset:9344
; %bb.685:
	s_or_b64 exec, exec, s[14:15]
	s_waitcnt lgkmcnt(0)
	s_barrier
	s_barrier
	s_and_saveexec_b64 s[14:15], vcc
	s_cbranch_execz .LBB61_687
; %bb.686:
	s_mov_b64 s[16:17], 0x3f800000
	v_mov_b32_e32 v2, s16
	v_mov_b32_e32 v3, s17
	s_movk_i32 s16, 0x2000
	v_add_u32_e64 v18, s16, 0
	ds_write2_b64 v18, v[2:3], v[2:3] offset0:16 offset1:81
.LBB61_687:
	s_or_b64 exec, exec, s[14:15]
	v_mov_b32_e32 v3, 0
	v_mov_b32_e32 v2, 0
	s_waitcnt lgkmcnt(0)
	s_barrier
	buffer_wbinvl1_vol
	s_and_saveexec_b64 s[16:17], s[12:13]
	s_cbranch_execz .LBB61_715
; %bb.688:
	v_lshlrev_b32_e32 v18, 3, v15
	v_lshlrev_b32_e32 v19, 9, v16
	ds_read_b64 v[2:3], v18 offset:8192
	ds_read_b64 v[20:21], v19 offset:8320
	s_movk_i32 s14, 0xf0
	v_cmp_gt_u32_e64 s[14:15], s14, v8
	s_waitcnt lgkmcnt(0)
	v_mul_f32_e32 v22, v21, v3
	v_mul_f32_e32 v3, v20, v3
	v_fma_f32 v20, v20, v2, -v22
	v_fmac_f32_e32 v3, v21, v2
	v_add_f32_e32 v2, 0, v20
	v_add_f32_e32 v3, 0, v3
	s_and_saveexec_b64 s[20:21], s[14:15]
	s_cbranch_execz .LBB61_690
; %bb.689:
	ds_read_b64 v[20:21], v18 offset:8704
	ds_read_b64 v[22:23], v19 offset:8328
	s_waitcnt lgkmcnt(0)
	v_mul_f32_e32 v24, v23, v21
	v_mul_f32_e32 v21, v22, v21
	v_fma_f32 v22, v22, v20, -v24
	v_fmac_f32_e32 v21, v23, v20
	v_add_f32_e32 v2, v2, v22
	v_add_f32_e32 v3, v3, v21
.LBB61_690:
	s_or_b64 exec, exec, s[20:21]
	s_movk_i32 s14, 0xe0
	v_cmp_gt_u32_e64 s[14:15], s14, v8
	s_and_saveexec_b64 s[20:21], s[14:15]
	s_cbranch_execz .LBB61_692
; %bb.691:
	ds_read_b64 v[20:21], v18 offset:9216
	ds_read_b64 v[22:23], v19 offset:8336
	s_waitcnt lgkmcnt(0)
	v_mul_f32_e32 v24, v23, v21
	v_mul_f32_e32 v21, v22, v21
	v_fma_f32 v22, v22, v20, -v24
	v_fmac_f32_e32 v21, v23, v20
	v_add_f32_e32 v2, v2, v22
	v_add_f32_e32 v3, v3, v21
.LBB61_692:
	s_or_b64 exec, exec, s[20:21]
	s_movk_i32 s14, 0xd0
	v_cmp_gt_u32_e64 s[14:15], s14, v8
	;; [unrolled: 16-line block ×10, first 2 shown]
	s_and_saveexec_b64 s[20:21], s[14:15]
	s_cbranch_execnz .LBB61_1024
; %bb.709:
	s_or_b64 exec, exec, s[20:21]
	s_and_saveexec_b64 s[14:15], s[10:11]
	s_cbranch_execnz .LBB61_1025
.LBB61_710:
	s_or_b64 exec, exec, s[14:15]
	v_cmp_gt_u32_e64 s[14:15], 48, v8
	s_and_saveexec_b64 s[20:21], s[14:15]
	s_cbranch_execnz .LBB61_1026
.LBB61_711:
	s_or_b64 exec, exec, s[20:21]
	v_cmp_gt_u32_e64 s[14:15], 32, v8
	s_and_saveexec_b64 s[20:21], s[14:15]
	s_cbranch_execnz .LBB61_1027
.LBB61_712:
	s_or_b64 exec, exec, s[20:21]
	v_cmp_gt_u32_e64 s[14:15], 16, v8
	s_and_saveexec_b64 s[20:21], s[14:15]
	s_cbranch_execz .LBB61_714
.LBB61_713:
	v_lshlrev_b32_e32 v18, 3, v0
	v_mov_b32_e32 v20, 0
	ds_read_b64 v[18:19], v18 offset:15872
	ds_read_b64 v[20:21], v20 offset:16120
	s_waitcnt lgkmcnt(0)
	v_mul_f32_e32 v22, v21, v19
	v_mul_f32_e32 v19, v20, v19
	v_fma_f32 v20, v20, v18, -v22
	v_fmac_f32_e32 v19, v21, v18
	v_add_f32_e32 v2, v2, v20
	v_add_f32_e32 v3, v3, v19
.LBB61_714:
	s_or_b64 exec, exec, s[20:21]
.LBB61_715:
	s_or_b64 exec, exec, s[16:17]
	s_mov_b64 s[14:15], exec
	v_readlane_b32 s16, v28, 0
	v_readlane_b32 s17, v28, 1
	s_and_b64 s[16:17], s[14:15], s[16:17]
	s_mov_b64 exec, s[16:17]
; %bb.716:
	v_xor_b32_e32 v18, 0x80000000, v2
	v_xor_b32_e32 v19, 0x80000000, v3
	ds_write_b64 v17, v[18:19]
; %bb.717:
	s_or_b64 exec, exec, s[14:15]
	s_waitcnt lgkmcnt(0)
	s_barrier
	s_mov_b64 s[14:15], exec
	v_readlane_b32 s16, v28, 2
	v_readlane_b32 s17, v28, 3
	s_and_b64 s[16:17], s[14:15], s[16:17]
	s_mov_b64 exec, s[16:17]
	s_cbranch_execz .LBB61_719
; %bb.718:
	v_lshlrev_b32_e32 v18, 3, v15
	ds_read_b64 v[18:19], v18 offset:7680
	ds_read_b64 v[20:21], v17
	s_waitcnt lgkmcnt(0)
	v_mul_f32_e32 v22, v21, v19
	v_mul_f32_e32 v19, v20, v19
	v_fma_f32 v20, v20, v18, -v22
	v_fmac_f32_e32 v19, v21, v18
	v_sub_f32_e32 v2, v2, v20
	v_sub_f32_e32 v3, v3, v19
.LBB61_719:
	s_or_b64 exec, exec, s[14:15]
	s_barrier
	s_mov_b64 s[14:15], exec
	v_readlane_b32 s16, v28, 4
	v_readlane_b32 s17, v28, 5
	s_and_b64 s[16:17], s[14:15], s[16:17]
	s_mov_b64 exec, s[16:17]
; %bb.720:
	v_xor_b32_e32 v18, 0x80000000, v2
	v_xor_b32_e32 v19, 0x80000000, v3
	ds_write_b64 v17, v[18:19]
; %bb.721:
	s_or_b64 exec, exec, s[14:15]
	s_waitcnt lgkmcnt(0)
	s_barrier
	s_mov_b64 s[14:15], exec
	v_readlane_b32 s16, v28, 6
	v_readlane_b32 s17, v28, 7
	s_and_b64 s[16:17], s[14:15], s[16:17]
	s_mov_b64 exec, s[16:17]
	s_cbranch_execz .LBB61_723
; %bb.722:
	v_lshlrev_b32_e32 v18, 3, v15
	ds_read_b64 v[18:19], v18 offset:7168
	ds_read_b64 v[20:21], v17
	s_waitcnt lgkmcnt(0)
	v_mul_f32_e32 v22, v21, v19
	v_mul_f32_e32 v19, v20, v19
	v_fma_f32 v20, v20, v18, -v22
	v_fmac_f32_e32 v19, v21, v18
	v_sub_f32_e32 v2, v2, v20
	v_sub_f32_e32 v3, v3, v19
.LBB61_723:
	s_or_b64 exec, exec, s[14:15]
	s_barrier
	;; [unrolled: 33-line block ×11, first 2 shown]
	s_mov_b64 s[14:15], exec
	v_readlane_b32 s16, v28, 44
	v_readlane_b32 s17, v28, 45
	s_and_b64 s[16:17], s[14:15], s[16:17]
	s_mov_b64 exec, s[16:17]
; %bb.760:
	v_xor_b32_e32 v18, 0x80000000, v2
	v_xor_b32_e32 v19, 0x80000000, v3
	ds_write_b64 v17, v[18:19]
; %bb.761:
	s_or_b64 exec, exec, s[14:15]
	s_waitcnt lgkmcnt(0)
	s_barrier
	s_and_saveexec_b64 s[14:15], s[82:83]
	s_cbranch_execz .LBB61_763
; %bb.762:
	v_lshlrev_b32_e32 v18, 3, v15
	ds_read_b64 v[18:19], v18 offset:2048
	ds_read_b64 v[20:21], v17
	s_waitcnt lgkmcnt(0)
	v_mul_f32_e32 v22, v21, v19
	v_mul_f32_e32 v19, v20, v19
	v_fma_f32 v20, v20, v18, -v22
	v_fmac_f32_e32 v19, v21, v18
	v_sub_f32_e32 v2, v2, v20
	v_sub_f32_e32 v3, v3, v19
.LBB61_763:
	s_or_b64 exec, exec, s[14:15]
	s_barrier
	s_and_saveexec_b64 s[14:15], s[84:85]
; %bb.764:
	v_xor_b32_e32 v18, 0x80000000, v2
	v_xor_b32_e32 v19, 0x80000000, v3
	ds_write_b64 v17, v[18:19]
; %bb.765:
	s_or_b64 exec, exec, s[14:15]
	s_waitcnt lgkmcnt(0)
	s_barrier
	s_and_saveexec_b64 s[14:15], s[86:87]
	s_cbranch_execz .LBB61_767
; %bb.766:
	v_lshlrev_b32_e32 v18, 3, v15
	ds_read_b64 v[18:19], v18 offset:1536
	ds_read_b64 v[20:21], v17
	s_waitcnt lgkmcnt(0)
	v_mul_f32_e32 v22, v21, v19
	v_mul_f32_e32 v19, v20, v19
	v_fma_f32 v20, v20, v18, -v22
	v_fmac_f32_e32 v19, v21, v18
	v_sub_f32_e32 v2, v2, v20
	v_sub_f32_e32 v3, v3, v19
.LBB61_767:
	s_or_b64 exec, exec, s[14:15]
	s_barrier
	s_and_saveexec_b64 s[14:15], s[88:89]
	;; [unrolled: 25-line block ×3, first 2 shown]
; %bb.772:
	v_xor_b32_e32 v18, 0x80000000, v2
	v_xor_b32_e32 v19, 0x80000000, v3
	ds_write_b64 v17, v[18:19]
; %bb.773:
	s_or_b64 exec, exec, s[14:15]
	s_waitcnt lgkmcnt(0)
	s_barrier
	s_and_saveexec_b64 s[14:15], s[96:97]
	s_cbranch_execz .LBB61_775
; %bb.774:
	v_mov_b32_e32 v18, 0
	ds_read_b64 v[18:19], v18 offset:512
	ds_read_b64 v[20:21], v17
	s_waitcnt lgkmcnt(0)
	v_mul_f32_e32 v22, v21, v19
	v_mul_f32_e32 v19, v20, v19
	v_fma_f32 v20, v20, v18, -v22
	v_fmac_f32_e32 v19, v21, v18
	v_sub_f32_e32 v2, v2, v20
	v_sub_f32_e32 v3, v3, v19
.LBB61_775:
	s_or_b64 exec, exec, s[14:15]
	s_barrier
	s_and_saveexec_b64 s[14:15], s[96:97]
; %bb.776:
	v_xor_b32_e32 v18, 0x80000000, v2
	v_xor_b32_e32 v19, 0x80000000, v3
	ds_write_b64 v17, v[18:19]
; %bb.777:
	s_or_b64 exec, exec, s[14:15]
	s_waitcnt lgkmcnt(0)
	s_barrier
	s_barrier
	s_and_saveexec_b64 s[14:15], s[12:13]
; %bb.778:
	v_lshlrev_b32_e32 v15, 3, v15
	v_lshl_or_b32 v15, v16, 9, v15
	ds_write_b64 v15, v[2:3] offset:8192
; %bb.779:
	s_or_b64 exec, exec, s[14:15]
	s_waitcnt lgkmcnt(0)
	s_barrier
	s_barrier
	s_and_saveexec_b64 s[12:13], vcc
	s_cbranch_execz .LBB61_781
; %bb.780:
	s_mov_b64 s[14:15], 0x3f800000
	v_mov_b32_e32 v2, s14
	v_mov_b32_e32 v3, s15
	s_movk_i32 s14, 0x1800
	v_add_u32_e64 v15, s14, 0
	ds_write2_b64 v15, v[2:3], v[2:3] offset0:142 offset1:207
.LBB61_781:
	s_or_b64 exec, exec, s[12:13]
	v_mov_b32_e32 v2, 0
	v_mov_b32_e32 v3, 0
	s_waitcnt lgkmcnt(0)
	s_barrier
	buffer_wbinvl1_vol
	s_and_saveexec_b64 s[14:15], s[6:7]
	s_cbranch_execz .LBB61_785
; %bb.782:
	v_lshlrev_b32_e32 v2, 3, v4
	v_lshlrev_b32_e32 v15, 9, v5
	ds_read_b64 v[2:3], v2 offset:7264
	ds_read_b64 v[15:16], v15 offset:7280
	v_cmp_gt_u32_e64 s[12:13], 2, v8
	s_waitcnt lgkmcnt(0)
	v_mul_f32_e32 v17, v16, v3
	v_mul_f32_e32 v3, v15, v3
	v_fma_f32 v15, v15, v2, -v17
	v_fmac_f32_e32 v3, v16, v2
	v_add_f32_e32 v2, 0, v15
	v_add_f32_e32 v3, 0, v3
	s_and_saveexec_b64 s[16:17], s[12:13]
	s_cbranch_execz .LBB61_784
; %bb.783:
	v_lshlrev_b32_e32 v15, 3, v0
	v_mov_b32_e32 v17, 0
	ds_read_b64 v[15:16], v15 offset:7776
	ds_read_b64 v[17:18], v17 offset:7800
	s_waitcnt lgkmcnt(0)
	v_mul_f32_e32 v19, v18, v16
	v_mul_f32_e32 v16, v17, v16
	v_fma_f32 v17, v17, v15, -v19
	v_fmac_f32_e32 v16, v18, v15
	v_add_f32_e32 v2, v2, v17
	v_add_f32_e32 v3, v3, v16
.LBB61_784:
	s_or_b64 exec, exec, s[16:17]
.LBB61_785:
	s_or_b64 exec, exec, s[14:15]
	s_and_saveexec_b64 s[12:13], s[36:37]
; %bb.786:
	v_xor_b32_e32 v16, 0x80000000, v3
	v_xor_b32_e32 v15, 0x80000000, v2
	ds_write_b64 v6, v[15:16]
; %bb.787:
	s_or_b64 exec, exec, s[12:13]
	s_waitcnt lgkmcnt(0)
	s_barrier
	s_and_saveexec_b64 s[12:13], s[34:35]
	s_cbranch_execz .LBB61_789
; %bb.788:
	v_mov_b32_e32 v15, 0
	ds_read_b64 v[15:16], v15 offset:6752
	ds_read_b64 v[17:18], v6
	s_waitcnt lgkmcnt(0)
	v_mul_f32_e32 v19, v17, v15
	v_mul_f32_e32 v17, v17, v16
	v_fmac_f32_e32 v17, v18, v15
	v_fma_f32 v15, v18, v16, -v19
	v_add_f32_e32 v2, v2, v15
	v_sub_f32_e32 v3, v3, v17
.LBB61_789:
	s_or_b64 exec, exec, s[12:13]
	s_barrier
	s_and_saveexec_b64 s[12:13], s[34:35]
; %bb.790:
	v_xor_b32_e32 v16, 0x80000000, v3
	v_xor_b32_e32 v15, 0x80000000, v2
	ds_write_b64 v6, v[15:16]
; %bb.791:
	s_or_b64 exec, exec, s[12:13]
	s_waitcnt lgkmcnt(0)
	s_barrier
	s_barrier
	s_and_saveexec_b64 s[12:13], s[6:7]
; %bb.792:
	v_lshlrev_b32_e32 v15, 3, v4
	v_lshl_or_b32 v15, v5, 9, v15
	ds_write_b64 v15, v[2:3] offset:7264
; %bb.793:
	s_or_b64 exec, exec, s[12:13]
	s_waitcnt lgkmcnt(0)
	s_barrier
	s_barrier
	s_and_saveexec_b64 s[12:13], vcc
	s_cbranch_execz .LBB61_795
; %bb.794:
	s_mov_b64 s[14:15], 0x3f800000
	v_mov_b32_e32 v2, s14
	v_mov_b32_e32 v3, s15
	s_movk_i32 s14, 0x1800
	v_add_u32_e64 v15, s14, 0
	ds_write2_b64 v15, v[2:3], v[2:3] offset0:12 offset1:77
.LBB61_795:
	s_or_b64 exec, exec, s[12:13]
	v_mov_b32_e32 v3, 0
	v_mov_b32_e32 v2, 0
	s_waitcnt lgkmcnt(0)
	s_barrier
	buffer_wbinvl1_vol
	s_and_saveexec_b64 s[14:15], s[18:19]
	s_cbranch_execz .LBB61_801
; %bb.796:
	v_lshlrev_b32_e32 v15, 3, v9
	v_lshlrev_b32_e32 v16, 9, v10
	ds_read_b64 v[2:3], v15 offset:6208
	ds_read_b64 v[17:18], v16 offset:6240
	v_cmp_gt_u32_e64 s[12:13], 12, v8
	s_waitcnt lgkmcnt(0)
	v_mul_f32_e32 v19, v18, v3
	v_mul_f32_e32 v3, v17, v3
	v_fma_f32 v17, v17, v2, -v19
	v_fmac_f32_e32 v3, v18, v2
	v_add_f32_e32 v2, 0, v17
	v_add_f32_e32 v3, 0, v3
	s_and_saveexec_b64 s[16:17], s[12:13]
	s_cbranch_execnz .LBB61_1028
; %bb.797:
	s_or_b64 exec, exec, s[16:17]
	v_cmp_gt_u32_e64 s[12:13], 8, v8
	s_and_saveexec_b64 s[16:17], s[12:13]
	s_cbranch_execnz .LBB61_1029
.LBB61_798:
	s_or_b64 exec, exec, s[16:17]
	v_cmp_gt_u32_e64 s[12:13], 4, v8
	s_and_saveexec_b64 s[16:17], s[12:13]
	s_cbranch_execz .LBB61_800
.LBB61_799:
	v_lshlrev_b32_e32 v15, 3, v0
	v_mov_b32_e32 v17, 0
	ds_read_b64 v[15:16], v15 offset:7744
	ds_read_b64 v[17:18], v17 offset:7800
	s_waitcnt lgkmcnt(0)
	v_mul_f32_e32 v19, v18, v16
	v_mul_f32_e32 v16, v17, v16
	v_fma_f32 v17, v17, v15, -v19
	v_fmac_f32_e32 v16, v18, v15
	v_add_f32_e32 v2, v2, v17
	v_add_f32_e32 v3, v3, v16
.LBB61_800:
	s_or_b64 exec, exec, s[16:17]
.LBB61_801:
	s_or_b64 exec, exec, s[14:15]
	s_and_saveexec_b64 s[12:13], s[40:41]
; %bb.802:
	v_xor_b32_e32 v15, 0x80000000, v2
	v_xor_b32_e32 v16, 0x80000000, v3
	ds_write_b64 v11, v[15:16]
; %bb.803:
	s_or_b64 exec, exec, s[12:13]
	s_waitcnt lgkmcnt(0)
	s_barrier
	s_and_saveexec_b64 s[12:13], s[42:43]
	s_cbranch_execz .LBB61_805
; %bb.804:
	v_lshlrev_b32_e32 v15, 3, v9
	ds_read_b64 v[15:16], v15 offset:5696
	ds_read_b64 v[17:18], v11
	s_waitcnt lgkmcnt(0)
	v_mul_f32_e32 v19, v18, v16
	v_mul_f32_e32 v16, v17, v16
	v_fma_f32 v17, v17, v15, -v19
	v_fmac_f32_e32 v16, v18, v15
	v_sub_f32_e32 v2, v2, v17
	v_sub_f32_e32 v3, v3, v16
.LBB61_805:
	s_or_b64 exec, exec, s[12:13]
	s_barrier
	s_and_saveexec_b64 s[12:13], s[44:45]
; %bb.806:
	v_xor_b32_e32 v15, 0x80000000, v2
	v_xor_b32_e32 v16, 0x80000000, v3
	ds_write_b64 v11, v[15:16]
; %bb.807:
	s_or_b64 exec, exec, s[12:13]
	s_waitcnt lgkmcnt(0)
	s_barrier
	s_and_saveexec_b64 s[12:13], s[46:47]
	s_cbranch_execz .LBB61_809
; %bb.808:
	v_lshlrev_b32_e32 v15, 3, v9
	ds_read_b64 v[15:16], v15 offset:5184
	ds_read_b64 v[17:18], v11
	s_waitcnt lgkmcnt(0)
	v_mul_f32_e32 v19, v18, v16
	v_mul_f32_e32 v16, v17, v16
	v_fma_f32 v17, v17, v15, -v19
	v_fmac_f32_e32 v16, v18, v15
	v_sub_f32_e32 v2, v2, v17
	v_sub_f32_e32 v3, v3, v16
.LBB61_809:
	s_or_b64 exec, exec, s[12:13]
	s_barrier
	s_and_saveexec_b64 s[12:13], s[48:49]
; %bb.810:
	v_xor_b32_e32 v15, 0x80000000, v2
	v_xor_b32_e32 v16, 0x80000000, v3
	ds_write_b64 v11, v[15:16]
; %bb.811:
	s_or_b64 exec, exec, s[12:13]
	s_waitcnt lgkmcnt(0)
	s_barrier
	s_and_saveexec_b64 s[12:13], s[38:39]
	s_cbranch_execz .LBB61_813
; %bb.812:
	v_mov_b32_e32 v15, 0
	ds_read_b64 v[15:16], v15 offset:4672
	ds_read_b64 v[17:18], v11
	s_waitcnt lgkmcnt(0)
	v_mul_f32_e32 v19, v18, v16
	v_mul_f32_e32 v16, v17, v16
	v_fma_f32 v17, v17, v15, -v19
	v_fmac_f32_e32 v16, v18, v15
	v_sub_f32_e32 v2, v2, v17
	v_sub_f32_e32 v3, v3, v16
.LBB61_813:
	s_or_b64 exec, exec, s[12:13]
	s_barrier
	s_and_saveexec_b64 s[12:13], s[38:39]
; %bb.814:
	v_xor_b32_e32 v15, 0x80000000, v2
	v_xor_b32_e32 v16, 0x80000000, v3
	ds_write_b64 v11, v[15:16]
; %bb.815:
	s_or_b64 exec, exec, s[12:13]
	s_waitcnt lgkmcnt(0)
	s_barrier
	s_barrier
	s_and_saveexec_b64 s[12:13], s[18:19]
; %bb.816:
	v_lshlrev_b32_e32 v15, 3, v9
	v_lshl_or_b32 v15, v10, 9, v15
	ds_write_b64 v15, v[2:3] offset:6208
; %bb.817:
	s_or_b64 exec, exec, s[12:13]
	s_waitcnt lgkmcnt(0)
	s_barrier
	s_barrier
	s_and_saveexec_b64 s[12:13], vcc
	s_cbranch_execz .LBB61_819
; %bb.818:
	s_mov_b64 s[14:15], 0x3f800000
	v_mov_b32_e32 v2, s14
	v_mov_b32_e32 v3, s15
	s_movk_i32 s14, 0x1000
	v_add_u32_e64 v15, s14, 0
	ds_write2_b64 v15, v[2:3], v[2:3] offset0:138 offset1:203
.LBB61_819:
	s_or_b64 exec, exec, s[12:13]
	v_mov_b32_e32 v2, 0
	v_mov_b32_e32 v3, 0
	s_waitcnt lgkmcnt(0)
	s_barrier
	buffer_wbinvl1_vol
	s_and_saveexec_b64 s[14:15], s[6:7]
	s_cbranch_execz .LBB61_823
; %bb.820:
	v_lshlrev_b32_e32 v2, 3, v4
	v_lshlrev_b32_e32 v15, 9, v5
	ds_read_b64 v[2:3], v2 offset:5184
	ds_read_b64 v[15:16], v15 offset:5200
	v_cmp_gt_u32_e64 s[12:13], 2, v8
	s_waitcnt lgkmcnt(0)
	v_mul_f32_e32 v17, v16, v3
	v_mul_f32_e32 v3, v15, v3
	v_fma_f32 v15, v15, v2, -v17
	v_fmac_f32_e32 v3, v16, v2
	v_add_f32_e32 v2, 0, v15
	v_add_f32_e32 v3, 0, v3
	s_and_saveexec_b64 s[16:17], s[12:13]
	s_cbranch_execz .LBB61_822
; %bb.821:
	v_lshlrev_b32_e32 v15, 3, v0
	v_mov_b32_e32 v17, 0
	ds_read_b64 v[15:16], v15 offset:5696
	ds_read_b64 v[17:18], v17 offset:5720
	s_waitcnt lgkmcnt(0)
	v_mul_f32_e32 v19, v18, v16
	v_mul_f32_e32 v16, v17, v16
	v_fma_f32 v17, v17, v15, -v19
	v_fmac_f32_e32 v16, v18, v15
	v_add_f32_e32 v2, v2, v17
	v_add_f32_e32 v3, v3, v16
.LBB61_822:
	s_or_b64 exec, exec, s[16:17]
.LBB61_823:
	s_or_b64 exec, exec, s[14:15]
	s_and_saveexec_b64 s[12:13], s[36:37]
; %bb.824:
	v_xor_b32_e32 v16, 0x80000000, v3
	v_xor_b32_e32 v15, 0x80000000, v2
	ds_write_b64 v6, v[15:16]
; %bb.825:
	s_or_b64 exec, exec, s[12:13]
	s_waitcnt lgkmcnt(0)
	s_barrier
	s_and_saveexec_b64 s[12:13], s[34:35]
	s_cbranch_execz .LBB61_827
; %bb.826:
	v_mov_b32_e32 v15, 0
	ds_read_b64 v[15:16], v15 offset:4672
	ds_read_b64 v[17:18], v6
	s_waitcnt lgkmcnt(0)
	v_mul_f32_e32 v19, v17, v15
	v_mul_f32_e32 v17, v17, v16
	v_fmac_f32_e32 v17, v18, v15
	v_fma_f32 v15, v18, v16, -v19
	v_add_f32_e32 v2, v2, v15
	v_sub_f32_e32 v3, v3, v17
.LBB61_827:
	s_or_b64 exec, exec, s[12:13]
	s_barrier
	s_and_saveexec_b64 s[12:13], s[34:35]
; %bb.828:
	v_xor_b32_e32 v16, 0x80000000, v3
	v_xor_b32_e32 v15, 0x80000000, v2
	ds_write_b64 v6, v[15:16]
; %bb.829:
	s_or_b64 exec, exec, s[12:13]
	s_waitcnt lgkmcnt(0)
	s_barrier
	s_barrier
	s_and_saveexec_b64 s[12:13], s[6:7]
; %bb.830:
	v_lshlrev_b32_e32 v15, 3, v4
	v_lshl_or_b32 v15, v5, 9, v15
	ds_write_b64 v15, v[2:3] offset:5184
; %bb.831:
	s_or_b64 exec, exec, s[12:13]
	s_waitcnt lgkmcnt(0)
	s_barrier
	s_barrier
	s_and_saveexec_b64 s[12:13], vcc
	s_cbranch_execz .LBB61_833
; %bb.832:
	s_mov_b64 s[14:15], 0x3f800000
	v_mov_b32_e32 v2, s14
	v_mov_b32_e32 v3, s15
	s_movk_i32 s14, 0x1000
	v_add_u32_e64 v15, s14, 0
	ds_write2_b64 v15, v[2:3], v[2:3] offset0:8 offset1:73
.LBB61_833:
	s_or_b64 exec, exec, s[12:13]
	v_mov_b32_e32 v3, 0
	v_mov_b32_e32 v2, 0
	s_waitcnt lgkmcnt(0)
	s_barrier
	buffer_wbinvl1_vol
	s_and_saveexec_b64 s[14:15], s[10:11]
	s_cbranch_execz .LBB61_843
; %bb.834:
	v_lshlrev_b32_e32 v15, 3, v12
	v_lshlrev_b32_e32 v16, 9, v13
	ds_read_b64 v[2:3], v15 offset:4096
	ds_read_b64 v[17:18], v16 offset:4160
	v_cmp_gt_u32_e64 s[12:13], 56, v8
	s_waitcnt lgkmcnt(0)
	v_mul_f32_e32 v19, v18, v3
	v_mul_f32_e32 v3, v17, v3
	v_fma_f32 v17, v17, v2, -v19
	v_fmac_f32_e32 v3, v18, v2
	v_add_f32_e32 v2, 0, v17
	v_add_f32_e32 v3, 0, v3
	s_and_saveexec_b64 s[16:17], s[12:13]
	s_cbranch_execnz .LBB61_1030
; %bb.835:
	s_or_b64 exec, exec, s[16:17]
	v_cmp_gt_u32_e64 s[12:13], 48, v8
	s_and_saveexec_b64 s[16:17], s[12:13]
	s_cbranch_execnz .LBB61_1031
.LBB61_836:
	s_or_b64 exec, exec, s[16:17]
	v_cmp_gt_u32_e64 s[12:13], 40, v8
	s_and_saveexec_b64 s[16:17], s[12:13]
	s_cbranch_execnz .LBB61_1032
.LBB61_837:
	s_or_b64 exec, exec, s[16:17]
	v_cmp_gt_u32_e64 s[12:13], 32, v8
	s_and_saveexec_b64 s[16:17], s[12:13]
	s_cbranch_execnz .LBB61_1033
.LBB61_838:
	s_or_b64 exec, exec, s[16:17]
	v_cmp_gt_u32_e64 s[12:13], 24, v8
	s_and_saveexec_b64 s[16:17], s[12:13]
	s_cbranch_execnz .LBB61_1034
.LBB61_839:
	s_or_b64 exec, exec, s[16:17]
	s_and_saveexec_b64 s[12:13], s[18:19]
	s_cbranch_execnz .LBB61_1035
.LBB61_840:
	s_or_b64 exec, exec, s[12:13]
	v_cmp_gt_u32_e64 s[12:13], 8, v8
	s_and_saveexec_b64 s[16:17], s[12:13]
	s_cbranch_execz .LBB61_842
.LBB61_841:
	v_lshlrev_b32_e32 v15, 3, v0
	v_mov_b32_e32 v17, 0
	ds_read_b64 v[15:16], v15 offset:7680
	ds_read_b64 v[17:18], v17 offset:7800
	s_waitcnt lgkmcnt(0)
	v_mul_f32_e32 v19, v18, v16
	v_mul_f32_e32 v16, v17, v16
	v_fma_f32 v17, v17, v15, -v19
	v_fmac_f32_e32 v16, v18, v15
	v_add_f32_e32 v2, v2, v17
	v_add_f32_e32 v3, v3, v16
.LBB61_842:
	s_or_b64 exec, exec, s[16:17]
.LBB61_843:
	s_or_b64 exec, exec, s[14:15]
	s_and_saveexec_b64 s[12:13], s[52:53]
; %bb.844:
	v_xor_b32_e32 v16, 0x80000000, v3
	v_xor_b32_e32 v15, 0x80000000, v2
	ds_write_b64 v14, v[15:16]
; %bb.845:
	s_or_b64 exec, exec, s[12:13]
	s_waitcnt lgkmcnt(0)
	s_barrier
	s_and_saveexec_b64 s[12:13], s[54:55]
	s_cbranch_execz .LBB61_847
; %bb.846:
	v_lshlrev_b32_e32 v15, 3, v12
	ds_read_b64 v[15:16], v15 offset:3584
	ds_read_b64 v[17:18], v14
	s_waitcnt lgkmcnt(0)
	v_mul_f32_e32 v19, v18, v16
	v_mul_f32_e32 v16, v17, v16
	v_fma_f32 v17, v17, v15, -v19
	v_fmac_f32_e32 v16, v18, v15
	v_sub_f32_e32 v2, v2, v17
	v_sub_f32_e32 v3, v3, v16
.LBB61_847:
	s_or_b64 exec, exec, s[12:13]
	s_barrier
	s_and_saveexec_b64 s[12:13], s[56:57]
; %bb.848:
	v_xor_b32_e32 v16, 0x80000000, v3
	v_xor_b32_e32 v15, 0x80000000, v2
	ds_write_b64 v14, v[15:16]
; %bb.849:
	s_or_b64 exec, exec, s[12:13]
	s_waitcnt lgkmcnt(0)
	s_barrier
	s_and_saveexec_b64 s[12:13], s[58:59]
	s_cbranch_execz .LBB61_851
; %bb.850:
	v_lshlrev_b32_e32 v15, 3, v12
	ds_read_b64 v[15:16], v15 offset:3072
	ds_read_b64 v[17:18], v14
	s_waitcnt lgkmcnt(0)
	v_mul_f32_e32 v19, v18, v16
	v_mul_f32_e32 v16, v17, v16
	v_fma_f32 v17, v17, v15, -v19
	v_fmac_f32_e32 v16, v18, v15
	v_sub_f32_e32 v2, v2, v17
	v_sub_f32_e32 v3, v3, v16
.LBB61_851:
	s_or_b64 exec, exec, s[12:13]
	s_barrier
	;; [unrolled: 25-line block ×6, first 2 shown]
	s_and_saveexec_b64 s[12:13], s[76:77]
; %bb.868:
	v_xor_b32_e32 v16, 0x80000000, v3
	v_xor_b32_e32 v15, 0x80000000, v2
	ds_write_b64 v14, v[15:16]
; %bb.869:
	s_or_b64 exec, exec, s[12:13]
	s_waitcnt lgkmcnt(0)
	s_barrier
	s_and_saveexec_b64 s[12:13], s[50:51]
	s_cbranch_execz .LBB61_871
; %bb.870:
	v_mov_b32_e32 v15, 0
	ds_read_b64 v[15:16], v15 offset:512
	ds_read_b64 v[17:18], v14
	s_waitcnt lgkmcnt(0)
	v_mul_f32_e32 v19, v18, v16
	v_mul_f32_e32 v16, v17, v16
	v_fma_f32 v17, v17, v15, -v19
	v_fmac_f32_e32 v16, v18, v15
	v_sub_f32_e32 v2, v2, v17
	v_sub_f32_e32 v3, v3, v16
.LBB61_871:
	s_or_b64 exec, exec, s[12:13]
	s_barrier
	s_and_saveexec_b64 s[12:13], s[50:51]
; %bb.872:
	v_xor_b32_e32 v16, 0x80000000, v3
	v_xor_b32_e32 v15, 0x80000000, v2
	ds_write_b64 v14, v[15:16]
; %bb.873:
	s_or_b64 exec, exec, s[12:13]
	s_waitcnt lgkmcnt(0)
	s_barrier
	s_barrier
	s_and_saveexec_b64 s[12:13], s[10:11]
; %bb.874:
	v_lshlrev_b32_e32 v12, 3, v12
	v_lshl_or_b32 v12, v13, 9, v12
	ds_write_b64 v12, v[2:3] offset:4096
; %bb.875:
	s_or_b64 exec, exec, s[12:13]
	s_waitcnt lgkmcnt(0)
	s_barrier
	s_barrier
	s_and_saveexec_b64 s[10:11], vcc
	s_cbranch_execz .LBB61_877
; %bb.876:
	s_mov_b64 s[12:13], 0x3f800000
	v_mov_b32_e32 v2, s12
	v_mov_b32_e32 v3, s13
	s_movk_i32 s12, 0x800
	v_add_u32_e64 v12, s12, 0
	ds_write2_b64 v12, v[2:3], v[2:3] offset0:134 offset1:199
.LBB61_877:
	s_or_b64 exec, exec, s[10:11]
	v_mov_b32_e32 v2, 0
	v_mov_b32_e32 v3, 0
	s_waitcnt lgkmcnt(0)
	s_barrier
	buffer_wbinvl1_vol
	s_and_saveexec_b64 s[12:13], s[6:7]
	s_cbranch_execz .LBB61_881
; %bb.878:
	v_lshlrev_b32_e32 v2, 3, v4
	v_lshlrev_b32_e32 v12, 9, v5
	ds_read_b64 v[2:3], v2 offset:3104
	ds_read_b64 v[12:13], v12 offset:3120
	v_cmp_gt_u32_e64 s[10:11], 2, v8
	s_waitcnt lgkmcnt(0)
	v_mul_f32_e32 v14, v13, v3
	v_mul_f32_e32 v3, v12, v3
	v_fma_f32 v12, v12, v2, -v14
	v_fmac_f32_e32 v3, v13, v2
	v_add_f32_e32 v2, 0, v12
	v_add_f32_e32 v3, 0, v3
	s_and_saveexec_b64 s[14:15], s[10:11]
	s_cbranch_execz .LBB61_880
; %bb.879:
	v_lshlrev_b32_e32 v12, 3, v0
	v_mov_b32_e32 v14, 0
	ds_read_b64 v[12:13], v12 offset:3616
	ds_read_b64 v[14:15], v14 offset:3640
	s_waitcnt lgkmcnt(0)
	v_mul_f32_e32 v16, v15, v13
	v_mul_f32_e32 v13, v14, v13
	v_fma_f32 v14, v14, v12, -v16
	v_fmac_f32_e32 v13, v15, v12
	v_add_f32_e32 v2, v2, v14
	v_add_f32_e32 v3, v3, v13
.LBB61_880:
	s_or_b64 exec, exec, s[14:15]
.LBB61_881:
	s_or_b64 exec, exec, s[12:13]
	s_and_saveexec_b64 s[10:11], s[36:37]
; %bb.882:
	v_xor_b32_e32 v13, 0x80000000, v3
	v_xor_b32_e32 v12, 0x80000000, v2
	ds_write_b64 v6, v[12:13]
; %bb.883:
	s_or_b64 exec, exec, s[10:11]
	s_waitcnt lgkmcnt(0)
	s_barrier
	s_and_saveexec_b64 s[10:11], s[34:35]
	s_cbranch_execz .LBB61_885
; %bb.884:
	v_mov_b32_e32 v12, 0
	ds_read_b64 v[12:13], v12 offset:2592
	ds_read_b64 v[14:15], v6
	s_waitcnt lgkmcnt(0)
	v_mul_f32_e32 v16, v14, v12
	v_mul_f32_e32 v14, v14, v13
	v_fmac_f32_e32 v14, v15, v12
	v_fma_f32 v12, v15, v13, -v16
	v_add_f32_e32 v2, v2, v12
	v_sub_f32_e32 v3, v3, v14
.LBB61_885:
	s_or_b64 exec, exec, s[10:11]
	s_barrier
	s_and_saveexec_b64 s[10:11], s[34:35]
; %bb.886:
	v_xor_b32_e32 v13, 0x80000000, v3
	v_xor_b32_e32 v12, 0x80000000, v2
	ds_write_b64 v6, v[12:13]
; %bb.887:
	s_or_b64 exec, exec, s[10:11]
	s_waitcnt lgkmcnt(0)
	s_barrier
	s_barrier
	s_and_saveexec_b64 s[10:11], s[6:7]
; %bb.888:
	v_lshlrev_b32_e32 v12, 3, v4
	v_lshl_or_b32 v12, v5, 9, v12
	ds_write_b64 v12, v[2:3] offset:3104
; %bb.889:
	s_or_b64 exec, exec, s[10:11]
	s_waitcnt lgkmcnt(0)
	s_barrier
	s_barrier
	s_and_saveexec_b64 s[10:11], vcc
	s_cbranch_execz .LBB61_891
; %bb.890:
	s_mov_b64 s[12:13], 0x3f800000
	v_mov_b32_e32 v2, s12
	v_mov_b32_e32 v3, s13
	s_movk_i32 s12, 0x800
	v_add_u32_e64 v12, s12, 0
	ds_write2_b64 v12, v[2:3], v[2:3] offset0:4 offset1:69
.LBB61_891:
	s_or_b64 exec, exec, s[10:11]
	v_mov_b32_e32 v3, 0
	v_mov_b32_e32 v2, 0
	s_waitcnt lgkmcnt(0)
	s_barrier
	buffer_wbinvl1_vol
	s_and_saveexec_b64 s[12:13], s[18:19]
	s_cbranch_execz .LBB61_897
; %bb.892:
	v_lshlrev_b32_e32 v12, 3, v9
	v_lshlrev_b32_e32 v13, 9, v10
	ds_read_b64 v[2:3], v12 offset:2048
	ds_read_b64 v[14:15], v13 offset:2080
	v_cmp_gt_u32_e64 s[10:11], 12, v8
	s_waitcnt lgkmcnt(0)
	v_mul_f32_e32 v16, v15, v3
	v_mul_f32_e32 v3, v14, v3
	v_fma_f32 v14, v14, v2, -v16
	v_fmac_f32_e32 v3, v15, v2
	v_add_f32_e32 v2, 0, v14
	v_add_f32_e32 v3, 0, v3
	s_and_saveexec_b64 s[14:15], s[10:11]
	s_cbranch_execnz .LBB61_1036
; %bb.893:
	s_or_b64 exec, exec, s[14:15]
	v_cmp_gt_u32_e64 s[10:11], 8, v8
	s_and_saveexec_b64 s[14:15], s[10:11]
	s_cbranch_execnz .LBB61_1037
.LBB61_894:
	s_or_b64 exec, exec, s[14:15]
	v_cmp_gt_u32_e64 s[10:11], 4, v8
	s_and_saveexec_b64 s[14:15], s[10:11]
	s_cbranch_execz .LBB61_896
.LBB61_895:
	v_lshlrev_b32_e32 v12, 3, v0
	v_mov_b32_e32 v14, 0
	ds_read_b64 v[12:13], v12 offset:3584
	ds_read_b64 v[14:15], v14 offset:3640
	s_waitcnt lgkmcnt(0)
	v_mul_f32_e32 v16, v15, v13
	v_mul_f32_e32 v13, v14, v13
	v_fma_f32 v14, v14, v12, -v16
	v_fmac_f32_e32 v13, v15, v12
	v_add_f32_e32 v2, v2, v14
	v_add_f32_e32 v3, v3, v13
.LBB61_896:
	s_or_b64 exec, exec, s[14:15]
.LBB61_897:
	s_or_b64 exec, exec, s[12:13]
	s_and_saveexec_b64 s[10:11], s[40:41]
; %bb.898:
	v_xor_b32_e32 v12, 0x80000000, v2
	v_xor_b32_e32 v13, 0x80000000, v3
	ds_write_b64 v11, v[12:13]
; %bb.899:
	s_or_b64 exec, exec, s[10:11]
	s_waitcnt lgkmcnt(0)
	s_barrier
	s_and_saveexec_b64 s[10:11], s[42:43]
	s_cbranch_execz .LBB61_901
; %bb.900:
	v_lshlrev_b32_e32 v12, 3, v9
	ds_read_b64 v[12:13], v12 offset:1536
	ds_read_b64 v[14:15], v11
	s_waitcnt lgkmcnt(0)
	v_mul_f32_e32 v16, v15, v13
	v_mul_f32_e32 v13, v14, v13
	v_fma_f32 v14, v14, v12, -v16
	v_fmac_f32_e32 v13, v15, v12
	v_sub_f32_e32 v2, v2, v14
	v_sub_f32_e32 v3, v3, v13
.LBB61_901:
	s_or_b64 exec, exec, s[10:11]
	s_barrier
	s_and_saveexec_b64 s[10:11], s[44:45]
; %bb.902:
	v_xor_b32_e32 v12, 0x80000000, v2
	v_xor_b32_e32 v13, 0x80000000, v3
	ds_write_b64 v11, v[12:13]
; %bb.903:
	s_or_b64 exec, exec, s[10:11]
	s_waitcnt lgkmcnt(0)
	s_barrier
	s_and_saveexec_b64 s[10:11], s[46:47]
	s_cbranch_execz .LBB61_905
; %bb.904:
	v_lshlrev_b32_e32 v12, 3, v9
	ds_read_b64 v[12:13], v12 offset:1024
	ds_read_b64 v[14:15], v11
	s_waitcnt lgkmcnt(0)
	v_mul_f32_e32 v16, v15, v13
	v_mul_f32_e32 v13, v14, v13
	v_fma_f32 v14, v14, v12, -v16
	v_fmac_f32_e32 v13, v15, v12
	v_sub_f32_e32 v2, v2, v14
	v_sub_f32_e32 v3, v3, v13
.LBB61_905:
	s_or_b64 exec, exec, s[10:11]
	s_barrier
	s_and_saveexec_b64 s[10:11], s[48:49]
; %bb.906:
	v_xor_b32_e32 v12, 0x80000000, v2
	v_xor_b32_e32 v13, 0x80000000, v3
	ds_write_b64 v11, v[12:13]
; %bb.907:
	s_or_b64 exec, exec, s[10:11]
	s_waitcnt lgkmcnt(0)
	s_barrier
	s_and_saveexec_b64 s[10:11], s[38:39]
	s_cbranch_execz .LBB61_909
; %bb.908:
	v_mov_b32_e32 v12, 0
	ds_read_b64 v[12:13], v12 offset:512
	ds_read_b64 v[14:15], v11
	s_waitcnt lgkmcnt(0)
	v_mul_f32_e32 v16, v15, v13
	v_mul_f32_e32 v13, v14, v13
	v_fma_f32 v14, v14, v12, -v16
	v_fmac_f32_e32 v13, v15, v12
	v_sub_f32_e32 v2, v2, v14
	v_sub_f32_e32 v3, v3, v13
.LBB61_909:
	s_or_b64 exec, exec, s[10:11]
	s_barrier
	s_and_saveexec_b64 s[10:11], s[38:39]
; %bb.910:
	v_xor_b32_e32 v12, 0x80000000, v2
	v_xor_b32_e32 v13, 0x80000000, v3
	ds_write_b64 v11, v[12:13]
; %bb.911:
	s_or_b64 exec, exec, s[10:11]
	s_waitcnt lgkmcnt(0)
	s_barrier
	s_barrier
	s_and_saveexec_b64 s[10:11], s[18:19]
; %bb.912:
	v_lshlrev_b32_e32 v9, 3, v9
	v_lshl_or_b32 v9, v10, 9, v9
	ds_write_b64 v9, v[2:3] offset:2048
; %bb.913:
	s_or_b64 exec, exec, s[10:11]
	s_waitcnt lgkmcnt(0)
	s_barrier
	s_barrier
	s_and_saveexec_b64 s[10:11], vcc
; %bb.914:
	s_mov_b64 s[12:13], 0x3f800000
	v_mov_b32_e32 v2, s12
	v_mov_b32_e32 v9, 0
	;; [unrolled: 1-line block ×3, first 2 shown]
	ds_write2_b64 v9, v[2:3], v[2:3] offset0:130 offset1:195
; %bb.915:
	s_or_b64 exec, exec, s[10:11]
	v_mov_b32_e32 v2, 0
	v_mov_b32_e32 v3, 0
	s_waitcnt lgkmcnt(0)
	s_barrier
	buffer_wbinvl1_vol
	s_and_saveexec_b64 s[12:13], s[6:7]
	s_cbranch_execz .LBB61_919
; %bb.916:
	v_lshlrev_b32_e32 v2, 3, v4
	v_lshlrev_b32_e32 v9, 9, v5
	ds_read_b64 v[2:3], v2 offset:1024
	ds_read_b64 v[9:10], v9 offset:1040
	v_cmp_gt_u32_e64 s[10:11], 2, v8
	s_waitcnt lgkmcnt(0)
	v_mul_f32_e32 v11, v10, v3
	v_mul_f32_e32 v3, v9, v3
	v_fma_f32 v9, v9, v2, -v11
	v_fmac_f32_e32 v3, v10, v2
	v_add_f32_e32 v2, 0, v9
	v_add_f32_e32 v3, 0, v3
	s_and_saveexec_b64 s[14:15], s[10:11]
	s_cbranch_execz .LBB61_918
; %bb.917:
	v_lshlrev_b32_e32 v8, 3, v0
	v_mov_b32_e32 v10, 0
	ds_read_b64 v[8:9], v8 offset:1536
	ds_read_b64 v[10:11], v10 offset:1560
	s_waitcnt lgkmcnt(0)
	v_mul_f32_e32 v12, v11, v9
	v_mul_f32_e32 v9, v10, v9
	v_fma_f32 v10, v10, v8, -v12
	v_fmac_f32_e32 v9, v11, v8
	v_add_f32_e32 v2, v2, v10
	v_add_f32_e32 v3, v3, v9
.LBB61_918:
	s_or_b64 exec, exec, s[14:15]
.LBB61_919:
	s_or_b64 exec, exec, s[12:13]
	s_and_saveexec_b64 s[10:11], s[36:37]
; %bb.920:
	v_xor_b32_e32 v9, 0x80000000, v3
	v_xor_b32_e32 v8, 0x80000000, v2
	ds_write_b64 v6, v[8:9]
; %bb.921:
	s_or_b64 exec, exec, s[10:11]
	s_waitcnt lgkmcnt(0)
	s_barrier
	s_and_saveexec_b64 s[10:11], s[34:35]
	s_cbranch_execz .LBB61_923
; %bb.922:
	v_mov_b32_e32 v8, 0
	ds_read_b64 v[8:9], v8 offset:512
	ds_read_b64 v[10:11], v6
	s_waitcnt lgkmcnt(0)
	v_mul_f32_e32 v12, v10, v8
	v_mul_f32_e32 v10, v10, v9
	v_fmac_f32_e32 v10, v11, v8
	v_fma_f32 v8, v11, v9, -v12
	v_add_f32_e32 v2, v2, v8
	v_sub_f32_e32 v3, v3, v10
.LBB61_923:
	s_or_b64 exec, exec, s[10:11]
	s_barrier
	s_and_saveexec_b64 s[10:11], s[34:35]
; %bb.924:
	v_xor_b32_e32 v9, 0x80000000, v3
	v_xor_b32_e32 v8, 0x80000000, v2
	ds_write_b64 v6, v[8:9]
; %bb.925:
	s_or_b64 exec, exec, s[10:11]
	s_waitcnt lgkmcnt(0)
	s_barrier
	s_barrier
	s_and_saveexec_b64 s[10:11], s[6:7]
; %bb.926:
	v_lshlrev_b32_e32 v4, 3, v4
	v_lshl_or_b32 v4, v5, 9, v4
	ds_write_b64 v4, v[2:3] offset:1024
; %bb.927:
	s_or_b64 exec, exec, s[10:11]
	s_waitcnt lgkmcnt(0)
	s_barrier
	s_barrier
	s_and_saveexec_b64 s[6:7], vcc
; %bb.928:
	s_mov_b64 s[10:11], 0x3f800000
	v_mov_b32_e32 v2, s10
	v_mov_b32_e32 v4, 0
	;; [unrolled: 1-line block ×3, first 2 shown]
	ds_write2_b64 v4, v[2:3], v[2:3] offset1:65
; %bb.929:
	s_or_b64 exec, exec, s[6:7]
.LBB61_930:
	s_load_dwordx8 s[12:19], s[4:5], 0x30
	s_load_dwordx2 s[20:21], s[4:5], 0x50
	v_cmp_le_i32_e32 vcc, s98, v0
	v_mov_b32_e32 v2, 0
	v_lshl_add_u32 v4, s33, 6, v0
	s_waitcnt lgkmcnt(0)
	s_mul_i32 s7, s19, s28
	s_mul_hi_u32 s10, s18, s28
	s_mul_i32 s6, s18, s28
	s_add_i32 s7, s10, s7
	s_lshl_b64 s[6:7], s[6:7], 3
	s_add_u32 s10, s12, s6
	s_addc_u32 s11, s13, s7
	s_lshl_b64 s[6:7], s[14:15], 3
	s_add_u32 s44, s10, s6
	s_addc_u32 s45, s11, s7
	s_and_b64 s[18:19], vcc, s[22:23]
	v_cmp_eq_u32_e64 s[6:7], 0, v1
	s_xor_b64 s[10:11], s[18:19], -1
	s_and_b64 s[12:13], s[6:7], s[10:11]
	v_mov_b32_e32 v3, v2
	s_barrier
	s_and_saveexec_b64 s[10:11], s[12:13]
	s_cbranch_execz .LBB61_932
; %bb.931:
	v_ashrrev_i32_e32 v5, 31, v4
	v_mul_lo_u32 v6, s17, v4
	v_mad_u64_u32 v[2:3], s[12:13], s16, v4, 0
	v_mul_lo_u32 v5, s16, v5
	s_load_dwordx2 s[12:13], s[4:5], 0x28
	v_add3_u32 v3, v3, v5, v6
	v_lshlrev_b64 v[2:3], 3, v[2:3]
	v_mov_b32_e32 v5, s45
	v_add_co_u32_e32 v2, vcc, s44, v2
	v_addc_co_u32_e32 v3, vcc, v5, v3, vcc
	global_load_dwordx2 v[5:6], v[2:3], off
	s_waitcnt vmcnt(0) lgkmcnt(0)
	v_mul_f32_e32 v2, s12, v5
	v_mul_f32_e32 v3, s12, v6
	v_fma_f32 v2, s13, v6, -v2
	v_fma_f32 v3, v5, -s13, -v3
.LBB61_932:
	s_or_b64 exec, exec, s[10:11]
	s_and_b32 s4, 0xffff, s81
	v_mad_u32_u24 v8, v1, s4, v0
	s_cmp_lt_i32 s8, 1
	v_cmp_eq_u32_e64 s[4:5], 0, v8
	s_cbranch_scc1 .LBB61_951
; %bb.933:
	s_lshl_b64 s[10:11], s[28:29], 2
	v_ashrrev_i32_e32 v5, 31, v4
	s_add_u32 s36, s20, s10
	s_addc_u32 s37, s21, s11
	v_cmp_gt_i32_e64 s[10:11], s30, v4
	v_lshlrev_b64 v[4:5], 3, v[4:5]
	v_mov_b32_e32 v6, 0xa000
	s_mov_b64 s[34:35], src_private_base
	v_lshl_add_u32 v9, v8, 3, v6
	v_lshl_or_b32 v10, v1, 3, v6
	v_mov_b32_e32 v6, s80
	v_add_co_u32_e32 v11, vcc, s99, v4
	s_mul_i32 s14, s25, 0x180
	s_mul_hi_u32 s15, s24, 0x180
	s_mov_b32 s34, 0
	v_cmp_gt_u32_e64 s[12:13], 64, v8
	s_add_i32 s46, s33, 1
	v_addc_co_u32_e32 v12, vcc, v6, v5, vcc
	s_lshl_b64 s[38:39], s[24:25], 7
	s_lshl_b64 s[40:41], s[24:25], 8
	s_add_i32 s47, s15, s14
	s_mul_i32 s48, s24, 0x180
	v_mov_b32_e32 v15, -1
	v_mov_b32_e32 v4, 0
	v_mov_b32_e32 v13, 0
	;; [unrolled: 1-line block ×5, first 2 shown]
	s_branch .LBB61_935
.LBB61_934:                             ;   in Loop: Header=BB61_935 Depth=1
	s_or_b64 exec, exec, s[42:43]
	s_add_i32 s34, s34, 1
	s_cmp_eq_u32 s34, s8
	s_cbranch_scc1 .LBB61_951
.LBB61_935:                             ; =>This Loop Header: Depth=1
                                        ;     Child Loop BB61_937 Depth 2
	v_cmp_gt_i32_e32 vcc, s34, v15
	s_and_b64 s[42:43], s[4:5], vcc
	s_and_saveexec_b64 s[14:15], s[42:43]
	s_cbranch_execz .LBB61_938
; %bb.936:                              ;   in Loop: Header=BB61_935 Depth=1
	global_load_dword v15, v4, s[36:37]
	s_waitcnt vmcnt(0)
	v_cmp_le_i32_e32 vcc, s34, v15
	s_cbranch_vccnz .LBB61_938
.LBB61_937:                             ;   Parent Loop BB61_935 Depth=1
                                        ; =>  This Inner Loop Header: Depth=2
	buffer_wbinvl1_vol
	global_load_dword v15, v4, s[36:37]
	s_waitcnt vmcnt(0)
	v_cmp_gt_i32_e32 vcc, s34, v15
	s_cbranch_vccnz .LBB61_937
.LBB61_938:                             ;   in Loop: Header=BB61_935 Depth=1
	s_or_b64 exec, exec, s[14:15]
	s_sub_i32 s49, s9, s34
	s_lshl_b32 s50, s49, 6
	buffer_wbinvl1_vol
	s_barrier
	s_and_saveexec_b64 s[14:15], s[12:13]
	s_cbranch_execz .LBB61_943
; %bb.939:                              ;   in Loop: Header=BB61_935 Depth=1
	s_ashr_i32 s42, s50, 31
	v_mov_b32_e32 v6, s42
	v_or_b32_e32 v5, s50, v8
	v_cmp_le_i64_e32 vcc, s[30:31], v[5:6]
	s_and_saveexec_b64 s[42:43], vcc
	s_xor_b64 s[42:43], exec, s[42:43]
; %bb.940:                              ;   in Loop: Header=BB61_935 Depth=1
	v_mov_b32_e32 v5, v4
	ds_write_b64 v9, v[4:5]
                                        ; implicit-def: $vgpr5_vgpr6
; %bb.941:                              ;   in Loop: Header=BB61_935 Depth=1
	s_andn2_saveexec_b64 s[42:43], s[42:43]
	s_cbranch_execz .LBB61_943
; %bb.942:                              ;   in Loop: Header=BB61_935 Depth=1
	v_mul_lo_u32 v18, v6, s16
	v_mul_lo_u32 v19, v5, s17
	v_mad_u64_u32 v[5:6], s[42:43], v5, s16, 0
	v_add3_u32 v6, v6, v19, v18
	v_lshlrev_b64 v[5:6], 3, v[5:6]
	v_mov_b32_e32 v18, s45
	v_add_co_u32_e32 v5, vcc, s44, v5
	v_addc_co_u32_e32 v6, vcc, v18, v6, vcc
	global_load_dwordx2 v[5:6], v[5:6], off
	s_waitcnt vmcnt(0)
	ds_write_b64 v9, v[5:6]
.LBB61_943:                             ;   in Loop: Header=BB61_935 Depth=1
	s_or_b64 exec, exec, s[14:15]
	v_add_u32_e32 v5, s50, v1
	v_ashrrev_i32_e32 v6, 31, v5
	v_mul_lo_u32 v20, s25, v5
	v_mad_u64_u32 v[18:19], s[14:15], s24, v5, 0
	v_mul_lo_u32 v6, s24, v6
	s_cmp_eq_u32 s49, s46
	s_cselect_b64 vcc, -1, 0
	s_waitcnt lgkmcnt(0)
	v_add3_u32 v19, v19, v6, v20
	v_lshlrev_b64 v[18:19], 3, v[18:19]
	s_barrier
	v_add_co_u32_e64 v6, s[14:15], v11, v18
	v_addc_co_u32_e64 v18, s[14:15], v12, v19, s[14:15]
	v_cmp_gt_i32_e64 s[14:15], s30, v5
	s_and_b64 s[42:43], s[10:11], s[14:15]
	s_and_saveexec_b64 s[14:15], s[42:43]
	s_cbranch_execz .LBB61_945
; %bb.944:                              ;   in Loop: Header=BB61_935 Depth=1
	v_mov_b32_e32 v19, s35
	v_cndmask_b32_e32 v20, v18, v19, vcc
	v_cndmask_b32_e32 v19, v6, v13, vcc
	flat_load_dwordx2 v[19:20], v[19:20]
	ds_read_b64 v[21:22], v10
	s_waitcnt vmcnt(0) lgkmcnt(0)
	v_mul_f32_e32 v23, v22, v20
	v_mul_f32_e32 v20, v21, v20
	v_fma_f32 v21, v21, v19, -v23
	v_fmac_f32_e32 v20, v22, v19
	v_add_f32_e32 v2, v2, v21
	v_add_f32_e32 v3, v3, v20
.LBB61_945:                             ;   in Loop: Header=BB61_935 Depth=1
	s_or_b64 exec, exec, s[14:15]
	v_add_u32_e32 v19, 16, v5
	v_cmp_gt_i32_e64 s[14:15], s30, v19
	s_and_b64 s[14:15], s[10:11], s[14:15]
	s_and_saveexec_b64 s[42:43], s[14:15]
	s_cbranch_execz .LBB61_947
; %bb.946:                              ;   in Loop: Header=BB61_935 Depth=1
	v_mov_b32_e32 v19, s39
	v_add_co_u32_e64 v21, s[14:15], s38, v6
	v_addc_co_u32_e64 v19, s[14:15], v18, v19, s[14:15]
	v_mov_b32_e32 v20, s35
	v_cndmask_b32_e32 v20, v19, v20, vcc
	v_cndmask_b32_e32 v19, v21, v14, vcc
	flat_load_dwordx2 v[19:20], v[19:20]
	ds_read_b64 v[21:22], v10 offset:128
	s_waitcnt vmcnt(0) lgkmcnt(0)
	v_mul_f32_e32 v23, v22, v20
	v_mul_f32_e32 v20, v21, v20
	v_fma_f32 v21, v21, v19, -v23
	v_fmac_f32_e32 v20, v22, v19
	v_add_f32_e32 v2, v2, v21
	v_add_f32_e32 v3, v3, v20
.LBB61_947:                             ;   in Loop: Header=BB61_935 Depth=1
	s_or_b64 exec, exec, s[42:43]
	v_add_u32_e32 v19, 32, v5
	v_cmp_gt_i32_e64 s[14:15], s30, v19
	s_and_b64 s[14:15], s[10:11], s[14:15]
	s_and_saveexec_b64 s[42:43], s[14:15]
	s_cbranch_execz .LBB61_949
; %bb.948:                              ;   in Loop: Header=BB61_935 Depth=1
	v_mov_b32_e32 v19, s41
	v_add_co_u32_e64 v21, s[14:15], s40, v6
	v_addc_co_u32_e64 v19, s[14:15], v18, v19, s[14:15]
	v_mov_b32_e32 v20, s35
	v_cndmask_b32_e32 v20, v19, v20, vcc
	v_cndmask_b32_e32 v19, v21, v16, vcc
	flat_load_dwordx2 v[19:20], v[19:20]
	ds_read_b64 v[21:22], v10 offset:256
	s_waitcnt vmcnt(0) lgkmcnt(0)
	v_mul_f32_e32 v23, v22, v20
	v_mul_f32_e32 v20, v21, v20
	v_fma_f32 v21, v21, v19, -v23
	v_fmac_f32_e32 v20, v22, v19
	v_add_f32_e32 v2, v2, v21
	v_add_f32_e32 v3, v3, v20
.LBB61_949:                             ;   in Loop: Header=BB61_935 Depth=1
	s_or_b64 exec, exec, s[42:43]
	v_add_u32_e32 v5, 48, v5
	v_cmp_gt_i32_e64 s[14:15], s30, v5
	s_and_b64 s[14:15], s[10:11], s[14:15]
	s_and_saveexec_b64 s[42:43], s[14:15]
	s_cbranch_execz .LBB61_934
; %bb.950:                              ;   in Loop: Header=BB61_935 Depth=1
	v_mov_b32_e32 v5, s47
	v_add_co_u32_e64 v19, s[14:15], s48, v6
	v_addc_co_u32_e64 v5, s[14:15], v18, v5, s[14:15]
	v_mov_b32_e32 v6, s35
	v_cndmask_b32_e32 v6, v5, v6, vcc
	v_cndmask_b32_e32 v5, v19, v17, vcc
	flat_load_dwordx2 v[5:6], v[5:6]
	ds_read_b64 v[18:19], v10 offset:384
	s_waitcnt vmcnt(0) lgkmcnt(0)
	v_mul_f32_e32 v20, v19, v6
	v_mul_f32_e32 v6, v18, v6
	v_fma_f32 v18, v18, v5, -v20
	v_fmac_f32_e32 v6, v19, v5
	v_add_f32_e32 v2, v2, v18
	v_add_f32_e32 v3, v3, v6
	s_branch .LBB61_934
.LBB61_951:
	s_xor_b64 s[4:5], s[22:23], -1
	s_xor_b64 s[8:9], s[26:27], -1
	v_lshlrev_b32_e32 v6, 3, v7
	ds_write_b64 v6, v[2:3] offset:32768
	s_waitcnt lgkmcnt(0)
	s_barrier
	s_and_saveexec_b64 s[10:11], s[6:7]
	s_cbranch_execz .LBB61_953
; %bb.952:
	v_lshlrev_b32_e32 v7, 3, v0
	ds_read2st64_b64 v[9:12], v7 offset0:65 offset1:66
	ds_read2st64_b64 v[13:16], v7 offset0:67 offset1:68
	ds_read_b64 v[17:18], v7 offset:40448
	s_waitcnt lgkmcnt(2)
	v_add_f32_e32 v2, v2, v9
	v_add_f32_e32 v3, v3, v10
	;; [unrolled: 1-line block ×4, first 2 shown]
	ds_read2st64_b64 v[2:5], v7 offset0:69 offset1:70
	s_waitcnt lgkmcnt(2)
	v_add_f32_e32 v9, v9, v13
	v_add_f32_e32 v10, v10, v14
	;; [unrolled: 1-line block ×4, first 2 shown]
	s_waitcnt lgkmcnt(0)
	v_add_f32_e32 v2, v9, v2
	ds_read2st64_b64 v[9:12], v7 offset0:71 offset1:72
	v_add_f32_e32 v3, v13, v3
	v_add_f32_e32 v13, v2, v4
	;; [unrolled: 1-line block ×3, first 2 shown]
	ds_read2st64_b64 v[2:5], v7 offset0:73 offset1:74
	s_waitcnt lgkmcnt(1)
	v_add_f32_e32 v9, v13, v9
	v_add_f32_e32 v10, v14, v10
	;; [unrolled: 1-line block ×4, first 2 shown]
	s_waitcnt lgkmcnt(0)
	v_add_f32_e32 v2, v9, v2
	ds_read2st64_b64 v[9:12], v7 offset0:75 offset1:76
	v_add_f32_e32 v3, v13, v3
	v_add_f32_e32 v13, v2, v4
	;; [unrolled: 1-line block ×3, first 2 shown]
	ds_read2st64_b64 v[2:5], v7 offset0:77 offset1:78
	s_waitcnt lgkmcnt(1)
	v_add_f32_e32 v7, v13, v9
	v_add_f32_e32 v9, v14, v10
	;; [unrolled: 1-line block ×4, first 2 shown]
	s_waitcnt lgkmcnt(0)
	v_add_f32_e32 v2, v7, v2
	v_add_f32_e32 v3, v9, v3
	;; [unrolled: 1-line block ×6, first 2 shown]
	v_cndmask_b32_e64 v2, -v2, 0, s[18:19]
	v_cndmask_b32_e64 v3, -v3, 0, s[18:19]
.LBB61_953:
	s_or_b64 exec, exec, s[10:11]
	s_andn2_b64 vcc, exec, s[8:9]
	s_cbranch_vccnz .LBB61_966
; %bb.954:
	v_mov_b32_e32 v4, 0xa000
	v_lshl_or_b32 v7, v1, 3, v4
	s_and_saveexec_b64 s[8:9], s[6:7]
; %bb.955:
	v_lshl_add_u32 v4, v0, 3, v7
	ds_write_b64 v4, v[2:3]
; %bb.956:
	s_or_b64 exec, exec, s[8:9]
	v_cmp_le_u32_e32 vcc, v0, v1
	v_mov_b32_e32 v4, 0
	v_mov_b32_e32 v5, 0
	s_waitcnt lgkmcnt(0)
	s_barrier
	s_and_saveexec_b64 s[8:9], vcc
	s_cbranch_execz .LBB61_958
; %bb.957:
	ds_read_b64 v[4:5], v6
	ds_read_b64 v[9:10], v7
	s_waitcnt lgkmcnt(0)
	v_mul_f32_e32 v11, v10, v5
	v_mul_f32_e32 v5, v9, v5
	v_fma_f32 v9, v9, v4, -v11
	v_fmac_f32_e32 v5, v10, v4
	v_add_f32_e32 v4, 0, v9
	v_add_f32_e32 v5, 0, v5
.LBB61_958:
	s_or_b64 exec, exec, s[8:9]
	v_add_u32_e32 v9, 16, v1
	v_cmp_le_u32_e32 vcc, v0, v9
	s_and_saveexec_b64 s[8:9], vcc
	s_cbranch_execz .LBB61_960
; %bb.959:
	ds_read_b64 v[9:10], v6 offset:8192
	ds_read_b64 v[11:12], v7 offset:128
	s_waitcnt lgkmcnt(0)
	v_mul_f32_e32 v13, v12, v10
	v_mul_f32_e32 v10, v11, v10
	v_fma_f32 v11, v11, v9, -v13
	v_fmac_f32_e32 v10, v12, v9
	v_add_f32_e32 v4, v4, v11
	v_add_f32_e32 v5, v5, v10
.LBB61_960:
	s_or_b64 exec, exec, s[8:9]
	v_add_u32_e32 v9, 32, v1
	v_cmp_le_u32_e32 vcc, v0, v9
	s_and_saveexec_b64 s[8:9], vcc
	s_cbranch_execz .LBB61_962
; %bb.961:
	ds_read_b64 v[9:10], v6 offset:16384
	ds_read_b64 v[11:12], v7 offset:256
	s_waitcnt lgkmcnt(0)
	v_mul_f32_e32 v13, v12, v10
	v_mul_f32_e32 v10, v11, v10
	v_fma_f32 v11, v11, v9, -v13
	v_fmac_f32_e32 v10, v12, v9
	v_add_f32_e32 v4, v4, v11
	v_add_f32_e32 v5, v5, v10
.LBB61_962:
	s_or_b64 exec, exec, s[8:9]
	v_add_u32_e32 v1, 48, v1
	v_add_u32_e32 v9, 0x8000, v6
	v_cmp_le_u32_e32 vcc, v0, v1
	s_and_saveexec_b64 s[8:9], vcc
	s_cbranch_execz .LBB61_964
; %bb.963:
	ds_read_b64 v[10:11], v6 offset:24576
	ds_read_b64 v[6:7], v7 offset:384
	s_waitcnt lgkmcnt(0)
	v_mul_f32_e32 v1, v7, v11
	v_mul_f32_e32 v11, v6, v11
	v_fma_f32 v1, v6, v10, -v1
	v_fmac_f32_e32 v11, v7, v10
	v_add_f32_e32 v4, v4, v1
	v_add_f32_e32 v5, v5, v11
.LBB61_964:
	s_or_b64 exec, exec, s[8:9]
	s_mov_b64 s[10:11], 0
	s_mov_b64 s[8:9], 0
	ds_write_b64 v9, v[4:5]
	s_waitcnt lgkmcnt(0)
	s_barrier
                                        ; implicit-def: $vgpr1
                                        ; implicit-def: $vgpr6
	s_and_saveexec_b64 s[12:13], s[6:7]
	s_cbranch_execz .LBB61_984
; %bb.965:
	v_lshlrev_b32_e32 v1, 3, v0
	ds_read2st64_b64 v[9:12], v1 offset0:65 offset1:66
	ds_read2st64_b64 v[13:16], v1 offset0:67 offset1:68
	ds_read_b64 v[17:18], v1 offset:40448
	s_mov_b64 s[8:9], exec
	s_waitcnt lgkmcnt(2)
	v_add_f32_e32 v4, v4, v9
	v_add_f32_e32 v5, v5, v10
	;; [unrolled: 1-line block ×4, first 2 shown]
	ds_read2st64_b64 v[4:7], v1 offset0:69 offset1:70
	s_waitcnt lgkmcnt(2)
	v_add_f32_e32 v9, v9, v13
	v_add_f32_e32 v10, v10, v14
	;; [unrolled: 1-line block ×4, first 2 shown]
	s_waitcnt lgkmcnt(0)
	v_add_f32_e32 v4, v9, v4
	ds_read2st64_b64 v[9:12], v1 offset0:71 offset1:72
	v_add_f32_e32 v5, v13, v5
	v_add_f32_e32 v13, v4, v6
	;; [unrolled: 1-line block ×3, first 2 shown]
	ds_read2st64_b64 v[4:7], v1 offset0:73 offset1:74
	s_waitcnt lgkmcnt(1)
	v_add_f32_e32 v9, v13, v9
	v_add_f32_e32 v10, v14, v10
	;; [unrolled: 1-line block ×4, first 2 shown]
	s_waitcnt lgkmcnt(0)
	v_add_f32_e32 v4, v9, v4
	ds_read2st64_b64 v[9:12], v1 offset0:75 offset1:76
	v_add_f32_e32 v5, v13, v5
	v_add_f32_e32 v13, v4, v6
	;; [unrolled: 1-line block ×3, first 2 shown]
	ds_read2st64_b64 v[4:7], v1 offset0:77 offset1:78
	s_waitcnt lgkmcnt(1)
	v_add_f32_e32 v1, v13, v9
	v_add_f32_e32 v9, v14, v10
	;; [unrolled: 1-line block ×4, first 2 shown]
	s_waitcnt lgkmcnt(0)
	v_add_f32_e32 v1, v1, v4
	v_add_f32_e32 v4, v9, v5
	;; [unrolled: 1-line block ×6, first 2 shown]
	s_or_b64 exec, exec, s[12:13]
	s_and_b64 vcc, exec, s[10:11]
	s_cbranch_vccnz .LBB61_967
	s_branch .LBB61_985
.LBB61_966:
	s_mov_b64 s[8:9], 0
                                        ; implicit-def: $vgpr1
                                        ; implicit-def: $vgpr6
	s_cbranch_execz .LBB61_985
.LBB61_967:
	v_mov_b32_e32 v1, 0x7c00
	v_lshl_add_u32 v1, v0, 3, v1
	v_mov_b32_e32 v5, 63
	v_mov_b32_e32 v4, 0
	s_branch .LBB61_969
.LBB61_968:                             ;   in Loop: Header=BB61_969 Depth=1
	s_or_b64 exec, exec, s[10:11]
	v_subrev_co_u32_e32 v5, vcc, 1, v5
	s_andn2_b64 vcc, exec, vcc
	v_add_u32_e32 v1, 0xfffffc00, v1
	s_barrier
	s_cbranch_vccz .LBB61_977
.LBB61_969:                             ; =>This Inner Loop Header: Depth=1
	v_cmp_eq_u32_e32 vcc, v0, v5
	s_and_b64 s[12:13], s[6:7], vcc
	s_and_saveexec_b64 s[10:11], s[12:13]
; %bb.970:                              ;   in Loop: Header=BB61_969 Depth=1
	ds_write_b64 v4, v[2:3] offset:41472
; %bb.971:                              ;   in Loop: Header=BB61_969 Depth=1
	s_or_b64 exec, exec, s[10:11]
	v_cmp_lt_u32_e32 vcc, v0, v5
	s_and_b64 s[12:13], s[6:7], vcc
	s_waitcnt lgkmcnt(0)
	s_barrier
	s_and_saveexec_b64 s[10:11], s[12:13]
	s_cbranch_execz .LBB61_973
; %bb.972:                              ;   in Loop: Header=BB61_969 Depth=1
	ds_read_b64 v[6:7], v1 offset:512
	ds_read_b64 v[9:10], v4 offset:41472
	s_waitcnt lgkmcnt(0)
	v_mul_f32_e32 v11, v10, v7
	v_mul_f32_e32 v7, v9, v7
	v_fma_f32 v9, v9, v6, -v11
	v_fmac_f32_e32 v7, v10, v6
	v_add_f32_e32 v2, v2, v9
	v_add_f32_e32 v3, v3, v7
.LBB61_973:                             ;   in Loop: Header=BB61_969 Depth=1
	s_or_b64 exec, exec, s[10:11]
	v_add_u32_e32 v5, -1, v5
	v_cmp_eq_u32_e32 vcc, v0, v5
	s_and_b64 s[12:13], s[6:7], vcc
	s_barrier
	s_and_saveexec_b64 s[10:11], s[12:13]
; %bb.974:                              ;   in Loop: Header=BB61_969 Depth=1
	ds_write_b64 v4, v[2:3] offset:41472
; %bb.975:                              ;   in Loop: Header=BB61_969 Depth=1
	s_or_b64 exec, exec, s[10:11]
	v_cmp_lt_u32_e32 vcc, v0, v5
	s_and_b64 s[12:13], s[6:7], vcc
	s_waitcnt lgkmcnt(0)
	s_barrier
	s_and_saveexec_b64 s[10:11], s[12:13]
	s_cbranch_execz .LBB61_968
; %bb.976:                              ;   in Loop: Header=BB61_969 Depth=1
	ds_read_b64 v[6:7], v1
	ds_read_b64 v[9:10], v4 offset:41472
	s_waitcnt lgkmcnt(0)
	v_mul_f32_e32 v11, v10, v7
	v_mul_f32_e32 v7, v9, v7
	v_fma_f32 v9, v9, v6, -v11
	v_fmac_f32_e32 v7, v10, v6
	v_add_f32_e32 v2, v2, v9
	v_add_f32_e32 v3, v3, v7
	s_branch .LBB61_968
.LBB61_977:
	s_mov_b64 s[10:11], -1
	s_and_b64 vcc, exec, s[4:5]
	s_cbranch_vccnz .LBB61_986
; %bb.978:
	s_andn2_b64 vcc, exec, s[10:11]
	s_cbranch_vccz .LBB61_987
.LBB61_979:
	s_and_saveexec_b64 s[4:5], s[8:9]
	s_cbranch_execz .LBB61_981
.LBB61_980:
	s_lshl_b32 s6, s33, 6
	s_ashr_i32 s7, s6, 31
	v_mov_b32_e32 v0, s7
	v_add_co_u32_e32 v1, vcc, s6, v8
	v_addc_co_u32_e32 v0, vcc, 0, v0, vcc
	v_mul_lo_u32 v4, v0, s16
	v_mul_lo_u32 v5, v1, s17
	v_mad_u64_u32 v[0:1], s[6:7], v1, s16, 0
	v_add3_u32 v1, v1, v5, v4
	v_lshlrev_b64 v[0:1], 3, v[0:1]
	v_mov_b32_e32 v4, s45
	v_add_co_u32_e32 v0, vcc, s44, v0
	v_addc_co_u32_e32 v1, vcc, v4, v1, vcc
	global_store_dwordx2 v[0:1], v[2:3], off
.LBB61_981:
	s_or_b64 exec, exec, s[4:5]
	v_cmp_eq_u32_e32 vcc, 0, v8
	s_waitcnt vmcnt(0)
	buffer_wbinvl1_vol
	s_barrier
	s_and_saveexec_b64 s[4:5], vcc
	s_cbranch_execz .LBB61_983
; %bb.982:
	s_lshl_b64 s[6:7], s[28:29], 2
	s_add_u32 s6, s20, s6
	s_addc_u32 s7, s21, s7
	v_mov_b32_e32 v0, 0
	global_load_dword v1, v0, s[6:7]
	s_waitcnt vmcnt(0)
	v_add_u32_e32 v1, 1, v1
	global_store_dword v0, v1, s[6:7]
.LBB61_983:
	s_or_b64 exec, exec, s[4:5]
	s_waitcnt vmcnt(0)
	buffer_wbinvl1_vol
	s_endpgm
.LBB61_984:
	s_or_b64 exec, exec, s[12:13]
	s_and_b64 vcc, exec, s[10:11]
	s_cbranch_vccnz .LBB61_967
.LBB61_985:
	v_mov_b32_e32 v3, v1
	v_mov_b32_e32 v2, v6
	s_and_saveexec_b64 s[4:5], s[8:9]
	s_cbranch_execnz .LBB61_980
	s_branch .LBB61_981
.LBB61_986:
	s_andn2_b64 s[4:5], s[8:9], exec
	s_and_b64 s[8:9], s[6:7], exec
	s_or_b64 s[8:9], s[4:5], s[8:9]
	s_cbranch_execnz .LBB61_979
.LBB61_987:
	v_cmp_gt_i32_e32 vcc, s98, v0
	s_and_b64 s[4:5], s[6:7], vcc
	s_andn2_b64 s[6:7], s[8:9], exec
	s_and_b64 s[4:5], s[4:5], exec
	s_or_b64 s[8:9], s[6:7], s[4:5]
	s_and_saveexec_b64 s[4:5], s[8:9]
	s_cbranch_execnz .LBB61_980
	s_branch .LBB61_981
.LBB61_988:
	ds_read_b64 v[14:15], v12 offset:31680
	ds_read_b64 v[16:17], v13 offset:31208
	s_waitcnt lgkmcnt(0)
	v_mul_f32_e32 v18, v17, v15
	v_mul_f32_e32 v15, v16, v15
	v_fma_f32 v16, v16, v14, -v18
	v_fmac_f32_e32 v15, v17, v14
	v_add_f32_e32 v2, v2, v16
	v_add_f32_e32 v3, v3, v15
	s_or_b64 exec, exec, s[16:17]
	v_cmp_gt_u32_e64 s[12:13], 8, v8
	s_and_saveexec_b64 s[16:17], s[12:13]
	s_cbranch_execz .LBB61_90
.LBB61_989:
	ds_read_b64 v[14:15], v12 offset:32192
	ds_read_b64 v[12:13], v13 offset:31216
	s_waitcnt lgkmcnt(0)
	v_mul_f32_e32 v16, v13, v15
	v_mul_f32_e32 v15, v12, v15
	v_fma_f32 v12, v12, v14, -v16
	v_fmac_f32_e32 v15, v13, v14
	v_add_f32_e32 v2, v2, v12
	v_add_f32_e32 v3, v3, v15
	s_or_b64 exec, exec, s[16:17]
	v_cmp_gt_u32_e64 s[12:13], 4, v8
	s_and_saveexec_b64 s[16:17], s[12:13]
	s_cbranch_execnz .LBB61_91
	s_branch .LBB61_92
.LBB61_990:
	ds_read_b64 v[17:18], v15 offset:29568
	ds_read_b64 v[19:20], v16 offset:29128
	s_waitcnt lgkmcnt(0)
	v_mul_f32_e32 v21, v20, v18
	v_mul_f32_e32 v18, v19, v18
	v_fma_f32 v19, v19, v17, -v21
	v_fmac_f32_e32 v18, v20, v17
	v_add_f32_e32 v2, v2, v19
	v_add_f32_e32 v3, v3, v18
	s_or_b64 exec, exec, s[20:21]
	v_cmp_gt_u32_e64 s[14:15], 48, v8
	s_and_saveexec_b64 s[20:21], s[14:15]
	s_cbranch_execz .LBB61_128
.LBB61_991:
	ds_read_b64 v[17:18], v15 offset:30080
	ds_read_b64 v[19:20], v16 offset:29136
	s_waitcnt lgkmcnt(0)
	v_mul_f32_e32 v21, v20, v18
	v_mul_f32_e32 v18, v19, v18
	v_fma_f32 v19, v19, v17, -v21
	v_fmac_f32_e32 v18, v20, v17
	v_add_f32_e32 v2, v2, v19
	v_add_f32_e32 v3, v3, v18
	s_or_b64 exec, exec, s[20:21]
	v_cmp_gt_u32_e64 s[14:15], 40, v8
	s_and_saveexec_b64 s[20:21], s[14:15]
	s_cbranch_execz .LBB61_129
.LBB61_992:
	ds_read_b64 v[17:18], v15 offset:30592
	ds_read_b64 v[19:20], v16 offset:29144
	s_waitcnt lgkmcnt(0)
	v_mul_f32_e32 v21, v20, v18
	v_mul_f32_e32 v18, v19, v18
	v_fma_f32 v19, v19, v17, -v21
	v_fmac_f32_e32 v18, v20, v17
	v_add_f32_e32 v2, v2, v19
	v_add_f32_e32 v3, v3, v18
	s_or_b64 exec, exec, s[20:21]
	v_cmp_gt_u32_e64 s[14:15], 32, v8
	s_and_saveexec_b64 s[20:21], s[14:15]
	s_cbranch_execz .LBB61_130
.LBB61_993:
	ds_read_b64 v[17:18], v15 offset:31104
	ds_read_b64 v[19:20], v16 offset:29152
	s_waitcnt lgkmcnt(0)
	v_mul_f32_e32 v21, v20, v18
	v_mul_f32_e32 v18, v19, v18
	v_fma_f32 v19, v19, v17, -v21
	v_fmac_f32_e32 v18, v20, v17
	v_add_f32_e32 v2, v2, v19
	v_add_f32_e32 v3, v3, v18
	s_or_b64 exec, exec, s[20:21]
	v_cmp_gt_u32_e64 s[14:15], 24, v8
	s_and_saveexec_b64 s[20:21], s[14:15]
	s_cbranch_execz .LBB61_131
.LBB61_994:
	ds_read_b64 v[17:18], v15 offset:31616
	ds_read_b64 v[19:20], v16 offset:29160
	s_waitcnt lgkmcnt(0)
	v_mul_f32_e32 v21, v20, v18
	v_mul_f32_e32 v18, v19, v18
	v_fma_f32 v19, v19, v17, -v21
	v_fmac_f32_e32 v18, v20, v17
	v_add_f32_e32 v2, v2, v19
	v_add_f32_e32 v3, v3, v18
	s_or_b64 exec, exec, s[20:21]
	s_and_saveexec_b64 s[14:15], s[18:19]
	s_cbranch_execz .LBB61_132
.LBB61_995:
	ds_read_b64 v[17:18], v15 offset:32128
	ds_read_b64 v[15:16], v16 offset:29168
	s_waitcnt lgkmcnt(0)
	v_mul_f32_e32 v19, v16, v18
	v_mul_f32_e32 v18, v15, v18
	v_fma_f32 v15, v15, v17, -v19
	v_fmac_f32_e32 v18, v16, v17
	v_add_f32_e32 v2, v2, v15
	v_add_f32_e32 v3, v3, v18
	s_or_b64 exec, exec, s[14:15]
	v_cmp_gt_u32_e64 s[14:15], 8, v8
	s_and_saveexec_b64 s[20:21], s[14:15]
	s_cbranch_execnz .LBB61_133
	s_branch .LBB61_134
.LBB61_996:
	ds_read_b64 v[17:18], v15 offset:27520
	ds_read_b64 v[19:20], v16 offset:27048
	s_waitcnt lgkmcnt(0)
	v_mul_f32_e32 v21, v20, v18
	v_mul_f32_e32 v18, v19, v18
	v_fma_f32 v19, v19, v17, -v21
	v_fmac_f32_e32 v18, v20, v17
	v_add_f32_e32 v2, v2, v19
	v_add_f32_e32 v3, v3, v18
	s_or_b64 exec, exec, s[16:17]
	v_cmp_gt_u32_e64 s[12:13], 8, v8
	s_and_saveexec_b64 s[16:17], s[12:13]
	s_cbranch_execz .LBB61_186
.LBB61_997:
	ds_read_b64 v[17:18], v15 offset:28032
	ds_read_b64 v[15:16], v16 offset:27056
	s_waitcnt lgkmcnt(0)
	v_mul_f32_e32 v19, v16, v18
	v_mul_f32_e32 v18, v15, v18
	v_fma_f32 v15, v15, v17, -v19
	v_fmac_f32_e32 v18, v16, v17
	v_add_f32_e32 v2, v2, v15
	v_add_f32_e32 v3, v3, v18
	s_or_b64 exec, exec, s[16:17]
	v_cmp_gt_u32_e64 s[12:13], 4, v8
	s_and_saveexec_b64 s[16:17], s[12:13]
	s_cbranch_execnz .LBB61_187
	s_branch .LBB61_188
.LBB61_998:
	ds_read_b64 v[20:21], v18 offset:30464
	ds_read_b64 v[22:23], v19 offset:25048
	s_waitcnt lgkmcnt(0)
	v_mul_f32_e32 v24, v23, v21
	v_mul_f32_e32 v21, v22, v21
	v_fma_f32 v22, v22, v20, -v24
	v_fmac_f32_e32 v21, v23, v20
	v_add_f32_e32 v2, v2, v22
	v_add_f32_e32 v3, v3, v21
	s_or_b64 exec, exec, s[78:79]
	s_and_saveexec_b64 s[16:17], s[10:11]
	s_cbranch_execz .LBB61_244
.LBB61_999:
	ds_read_b64 v[20:21], v18 offset:30976
	ds_read_b64 v[22:23], v19 offset:25056
	s_waitcnt lgkmcnt(0)
	v_mul_f32_e32 v24, v23, v21
	v_mul_f32_e32 v21, v22, v21
	v_fma_f32 v22, v22, v20, -v24
	v_fmac_f32_e32 v21, v23, v20
	v_add_f32_e32 v2, v2, v22
	v_add_f32_e32 v3, v3, v21
	s_or_b64 exec, exec, s[16:17]
	v_cmp_gt_u32_e64 s[16:17], 48, v8
	s_and_saveexec_b64 s[78:79], s[16:17]
	s_cbranch_execz .LBB61_245
.LBB61_1000:
	ds_read_b64 v[20:21], v18 offset:31488
	ds_read_b64 v[22:23], v19 offset:25064
	s_waitcnt lgkmcnt(0)
	v_mul_f32_e32 v24, v23, v21
	v_mul_f32_e32 v21, v22, v21
	v_fma_f32 v22, v22, v20, -v24
	v_fmac_f32_e32 v21, v23, v20
	v_add_f32_e32 v2, v2, v22
	v_add_f32_e32 v3, v3, v21
	s_or_b64 exec, exec, s[78:79]
	v_cmp_gt_u32_e64 s[16:17], 32, v8
	s_and_saveexec_b64 s[78:79], s[16:17]
	s_cbranch_execz .LBB61_246
.LBB61_1001:
	ds_read_b64 v[20:21], v18 offset:32000
	ds_read_b64 v[18:19], v19 offset:25072
	s_waitcnt lgkmcnt(0)
	v_mul_f32_e32 v22, v19, v21
	v_mul_f32_e32 v21, v18, v21
	v_fma_f32 v18, v18, v20, -v22
	v_fmac_f32_e32 v21, v19, v20
	v_add_f32_e32 v2, v2, v18
	v_add_f32_e32 v3, v3, v21
	s_or_b64 exec, exec, s[78:79]
	v_cmp_gt_u32_e64 s[16:17], 16, v8
	s_and_saveexec_b64 s[78:79], s[16:17]
	s_cbranch_execnz .LBB61_247
	s_branch .LBB61_248
.LBB61_1002:
	ds_read_b64 v[20:21], v18 offset:23360
	ds_read_b64 v[22:23], v19 offset:22888
	s_waitcnt lgkmcnt(0)
	v_mul_f32_e32 v24, v23, v21
	v_mul_f32_e32 v21, v22, v21
	v_fma_f32 v22, v22, v20, -v24
	v_fmac_f32_e32 v21, v23, v20
	v_add_f32_e32 v2, v2, v22
	v_add_f32_e32 v3, v3, v21
	s_or_b64 exec, exec, s[20:21]
	v_cmp_gt_u32_e64 s[14:15], 8, v8
	s_and_saveexec_b64 s[20:21], s[14:15]
	s_cbranch_execz .LBB61_332
.LBB61_1003:
	ds_read_b64 v[20:21], v18 offset:23872
	ds_read_b64 v[18:19], v19 offset:22896
	s_waitcnt lgkmcnt(0)
	v_mul_f32_e32 v22, v19, v21
	v_mul_f32_e32 v21, v18, v21
	v_fma_f32 v18, v18, v20, -v22
	v_fmac_f32_e32 v21, v19, v20
	v_add_f32_e32 v2, v2, v18
	v_add_f32_e32 v3, v3, v21
	s_or_b64 exec, exec, s[20:21]
	v_cmp_gt_u32_e64 s[14:15], 4, v8
	s_and_saveexec_b64 s[20:21], s[14:15]
	s_cbranch_execnz .LBB61_333
	s_branch .LBB61_334
.LBB61_1004:
	ds_read_b64 v[20:21], v18 offset:21248
	ds_read_b64 v[22:23], v19 offset:20808
	s_waitcnt lgkmcnt(0)
	v_mul_f32_e32 v24, v23, v21
	v_mul_f32_e32 v21, v22, v21
	v_fma_f32 v22, v22, v20, -v24
	v_fmac_f32_e32 v21, v23, v20
	v_add_f32_e32 v2, v2, v22
	v_add_f32_e32 v3, v3, v21
	s_or_b64 exec, exec, s[20:21]
	v_cmp_gt_u32_e64 s[14:15], 48, v8
	s_and_saveexec_b64 s[20:21], s[14:15]
	s_cbranch_execz .LBB61_370
.LBB61_1005:
	ds_read_b64 v[20:21], v18 offset:21760
	ds_read_b64 v[22:23], v19 offset:20816
	s_waitcnt lgkmcnt(0)
	v_mul_f32_e32 v24, v23, v21
	v_mul_f32_e32 v21, v22, v21
	v_fma_f32 v22, v22, v20, -v24
	v_fmac_f32_e32 v21, v23, v20
	v_add_f32_e32 v2, v2, v22
	v_add_f32_e32 v3, v3, v21
	s_or_b64 exec, exec, s[20:21]
	v_cmp_gt_u32_e64 s[14:15], 40, v8
	s_and_saveexec_b64 s[20:21], s[14:15]
	s_cbranch_execz .LBB61_371
.LBB61_1006:
	ds_read_b64 v[20:21], v18 offset:22272
	ds_read_b64 v[22:23], v19 offset:20824
	s_waitcnt lgkmcnt(0)
	v_mul_f32_e32 v24, v23, v21
	v_mul_f32_e32 v21, v22, v21
	v_fma_f32 v22, v22, v20, -v24
	v_fmac_f32_e32 v21, v23, v20
	v_add_f32_e32 v2, v2, v22
	v_add_f32_e32 v3, v3, v21
	s_or_b64 exec, exec, s[20:21]
	v_cmp_gt_u32_e64 s[14:15], 32, v8
	s_and_saveexec_b64 s[20:21], s[14:15]
	s_cbranch_execz .LBB61_372
.LBB61_1007:
	ds_read_b64 v[20:21], v18 offset:22784
	ds_read_b64 v[22:23], v19 offset:20832
	s_waitcnt lgkmcnt(0)
	v_mul_f32_e32 v24, v23, v21
	v_mul_f32_e32 v21, v22, v21
	v_fma_f32 v22, v22, v20, -v24
	v_fmac_f32_e32 v21, v23, v20
	v_add_f32_e32 v2, v2, v22
	v_add_f32_e32 v3, v3, v21
	s_or_b64 exec, exec, s[20:21]
	v_cmp_gt_u32_e64 s[14:15], 24, v8
	s_and_saveexec_b64 s[20:21], s[14:15]
	s_cbranch_execz .LBB61_373
.LBB61_1008:
	ds_read_b64 v[20:21], v18 offset:23296
	ds_read_b64 v[22:23], v19 offset:20840
	s_waitcnt lgkmcnt(0)
	v_mul_f32_e32 v24, v23, v21
	v_mul_f32_e32 v21, v22, v21
	v_fma_f32 v22, v22, v20, -v24
	v_fmac_f32_e32 v21, v23, v20
	v_add_f32_e32 v2, v2, v22
	v_add_f32_e32 v3, v3, v21
	s_or_b64 exec, exec, s[20:21]
	s_and_saveexec_b64 s[14:15], s[18:19]
	s_cbranch_execz .LBB61_374
.LBB61_1009:
	ds_read_b64 v[20:21], v18 offset:23808
	ds_read_b64 v[18:19], v19 offset:20848
	s_waitcnt lgkmcnt(0)
	v_mul_f32_e32 v22, v19, v21
	v_mul_f32_e32 v21, v18, v21
	v_fma_f32 v18, v18, v20, -v22
	v_fmac_f32_e32 v21, v19, v20
	v_add_f32_e32 v2, v2, v18
	v_add_f32_e32 v3, v3, v21
	s_or_b64 exec, exec, s[14:15]
	v_cmp_gt_u32_e64 s[14:15], 8, v8
	s_and_saveexec_b64 s[20:21], s[14:15]
	s_cbranch_execnz .LBB61_375
	s_branch .LBB61_376
.LBB61_1010:
	ds_read_b64 v[20:21], v18 offset:19200
	ds_read_b64 v[22:23], v19 offset:18728
	s_waitcnt lgkmcnt(0)
	v_mul_f32_e32 v24, v23, v21
	v_mul_f32_e32 v21, v22, v21
	v_fma_f32 v22, v22, v20, -v24
	v_fmac_f32_e32 v21, v23, v20
	v_add_f32_e32 v2, v2, v22
	v_add_f32_e32 v3, v3, v21
	s_or_b64 exec, exec, s[20:21]
	v_cmp_gt_u32_e64 s[14:15], 8, v8
	s_and_saveexec_b64 s[20:21], s[14:15]
	s_cbranch_execz .LBB61_428
.LBB61_1011:
	ds_read_b64 v[20:21], v18 offset:19712
	ds_read_b64 v[18:19], v19 offset:18736
	s_waitcnt lgkmcnt(0)
	v_mul_f32_e32 v22, v19, v21
	v_mul_f32_e32 v21, v18, v21
	v_fma_f32 v18, v18, v20, -v22
	v_fmac_f32_e32 v21, v19, v20
	v_add_f32_e32 v2, v2, v18
	v_add_f32_e32 v3, v3, v21
	s_or_b64 exec, exec, s[20:21]
	v_cmp_gt_u32_e64 s[14:15], 4, v8
	s_and_saveexec_b64 s[20:21], s[14:15]
	s_cbranch_execnz .LBB61_429
	s_branch .LBB61_430
.LBB61_1012:
	ds_read_b64 v[23:24], v21 offset:31232
	ds_read_b64 v[25:26], v22 offset:16872
	s_waitcnt lgkmcnt(0)
	v_mul_f32_e32 v27, v26, v24
	v_mul_f32_e32 v24, v25, v24
	v_fma_f32 v25, v25, v23, -v27
	v_fmac_f32_e32 v24, v26, v23
	v_add_f32_e32 v2, v2, v25
	v_add_f32_e32 v3, v3, v24
	s_or_b64 exec, exec, s[78:79]
	s_and_saveexec_b64 s[20:21], s[10:11]
	s_cbranch_execz .LBB61_522
.LBB61_1013:
	ds_read_b64 v[23:24], v21 offset:31744
	ds_read_b64 v[25:26], v22 offset:16880
	s_waitcnt lgkmcnt(0)
	v_mul_f32_e32 v27, v26, v24
	v_mul_f32_e32 v24, v25, v24
	v_fma_f32 v25, v25, v23, -v27
	v_fmac_f32_e32 v24, v26, v23
	v_add_f32_e32 v2, v2, v25
	v_add_f32_e32 v3, v3, v24
	s_or_b64 exec, exec, s[20:21]
	v_cmp_gt_u32_e64 s[20:21], 32, v8
	s_and_saveexec_b64 s[78:79], s[20:21]
	s_cbranch_execnz .LBB61_523
	s_branch .LBB61_524
.LBB61_1014:
	ds_read_b64 v[20:21], v18 offset:15040
	ds_read_b64 v[22:23], v19 offset:14568
	s_waitcnt lgkmcnt(0)
	v_mul_f32_e32 v24, v23, v21
	v_mul_f32_e32 v21, v22, v21
	v_fma_f32 v22, v22, v20, -v24
	v_fmac_f32_e32 v21, v23, v20
	v_add_f32_e32 v2, v2, v22
	v_add_f32_e32 v3, v3, v21
	s_or_b64 exec, exec, s[20:21]
	v_cmp_gt_u32_e64 s[14:15], 8, v8
	s_and_saveexec_b64 s[20:21], s[14:15]
	s_cbranch_execz .LBB61_556
.LBB61_1015:
	ds_read_b64 v[20:21], v18 offset:15552
	ds_read_b64 v[18:19], v19 offset:14576
	s_waitcnt lgkmcnt(0)
	v_mul_f32_e32 v22, v19, v21
	v_mul_f32_e32 v21, v18, v21
	v_fma_f32 v18, v18, v20, -v22
	v_fmac_f32_e32 v21, v19, v20
	v_add_f32_e32 v2, v2, v18
	v_add_f32_e32 v3, v3, v21
	s_or_b64 exec, exec, s[20:21]
	v_cmp_gt_u32_e64 s[14:15], 4, v8
	s_and_saveexec_b64 s[20:21], s[14:15]
	s_cbranch_execnz .LBB61_557
	s_branch .LBB61_558
.LBB61_1016:
	ds_read_b64 v[20:21], v18 offset:12928
	ds_read_b64 v[22:23], v19 offset:12488
	s_waitcnt lgkmcnt(0)
	v_mul_f32_e32 v24, v23, v21
	v_mul_f32_e32 v21, v22, v21
	v_fma_f32 v22, v22, v20, -v24
	v_fmac_f32_e32 v21, v23, v20
	v_add_f32_e32 v2, v2, v22
	v_add_f32_e32 v3, v3, v21
	s_or_b64 exec, exec, s[20:21]
	v_cmp_gt_u32_e64 s[14:15], 48, v8
	s_and_saveexec_b64 s[20:21], s[14:15]
	s_cbranch_execz .LBB61_594
.LBB61_1017:
	ds_read_b64 v[20:21], v18 offset:13440
	ds_read_b64 v[22:23], v19 offset:12496
	s_waitcnt lgkmcnt(0)
	v_mul_f32_e32 v24, v23, v21
	v_mul_f32_e32 v21, v22, v21
	v_fma_f32 v22, v22, v20, -v24
	v_fmac_f32_e32 v21, v23, v20
	v_add_f32_e32 v2, v2, v22
	v_add_f32_e32 v3, v3, v21
	s_or_b64 exec, exec, s[20:21]
	v_cmp_gt_u32_e64 s[14:15], 40, v8
	s_and_saveexec_b64 s[20:21], s[14:15]
	s_cbranch_execz .LBB61_595
.LBB61_1018:
	ds_read_b64 v[20:21], v18 offset:13952
	ds_read_b64 v[22:23], v19 offset:12504
	s_waitcnt lgkmcnt(0)
	v_mul_f32_e32 v24, v23, v21
	v_mul_f32_e32 v21, v22, v21
	v_fma_f32 v22, v22, v20, -v24
	v_fmac_f32_e32 v21, v23, v20
	v_add_f32_e32 v2, v2, v22
	v_add_f32_e32 v3, v3, v21
	s_or_b64 exec, exec, s[20:21]
	v_cmp_gt_u32_e64 s[14:15], 32, v8
	s_and_saveexec_b64 s[20:21], s[14:15]
	s_cbranch_execz .LBB61_596
.LBB61_1019:
	ds_read_b64 v[20:21], v18 offset:14464
	ds_read_b64 v[22:23], v19 offset:12512
	s_waitcnt lgkmcnt(0)
	v_mul_f32_e32 v24, v23, v21
	v_mul_f32_e32 v21, v22, v21
	v_fma_f32 v22, v22, v20, -v24
	v_fmac_f32_e32 v21, v23, v20
	v_add_f32_e32 v2, v2, v22
	v_add_f32_e32 v3, v3, v21
	s_or_b64 exec, exec, s[20:21]
	v_cmp_gt_u32_e64 s[14:15], 24, v8
	s_and_saveexec_b64 s[20:21], s[14:15]
	s_cbranch_execz .LBB61_597
.LBB61_1020:
	ds_read_b64 v[20:21], v18 offset:14976
	ds_read_b64 v[22:23], v19 offset:12520
	s_waitcnt lgkmcnt(0)
	v_mul_f32_e32 v24, v23, v21
	v_mul_f32_e32 v21, v22, v21
	v_fma_f32 v22, v22, v20, -v24
	v_fmac_f32_e32 v21, v23, v20
	v_add_f32_e32 v2, v2, v22
	v_add_f32_e32 v3, v3, v21
	s_or_b64 exec, exec, s[20:21]
	s_and_saveexec_b64 s[14:15], s[18:19]
	s_cbranch_execz .LBB61_598
.LBB61_1021:
	ds_read_b64 v[20:21], v18 offset:15488
	ds_read_b64 v[18:19], v19 offset:12528
	s_waitcnt lgkmcnt(0)
	v_mul_f32_e32 v22, v19, v21
	v_mul_f32_e32 v21, v18, v21
	v_fma_f32 v18, v18, v20, -v22
	v_fmac_f32_e32 v21, v19, v20
	v_add_f32_e32 v2, v2, v18
	v_add_f32_e32 v3, v3, v21
	s_or_b64 exec, exec, s[14:15]
	v_cmp_gt_u32_e64 s[14:15], 8, v8
	s_and_saveexec_b64 s[20:21], s[14:15]
	s_cbranch_execnz .LBB61_599
	s_branch .LBB61_600
.LBB61_1022:
	ds_read_b64 v[20:21], v18 offset:10880
	ds_read_b64 v[22:23], v19 offset:10408
	s_waitcnt lgkmcnt(0)
	v_mul_f32_e32 v24, v23, v21
	v_mul_f32_e32 v21, v22, v21
	v_fma_f32 v22, v22, v20, -v24
	v_fmac_f32_e32 v21, v23, v20
	v_add_f32_e32 v2, v2, v22
	v_add_f32_e32 v3, v3, v21
	s_or_b64 exec, exec, s[20:21]
	v_cmp_gt_u32_e64 s[14:15], 8, v8
	s_and_saveexec_b64 s[20:21], s[14:15]
	s_cbranch_execz .LBB61_652
.LBB61_1023:
	ds_read_b64 v[20:21], v18 offset:11392
	ds_read_b64 v[18:19], v19 offset:10416
	s_waitcnt lgkmcnt(0)
	v_mul_f32_e32 v22, v19, v21
	v_mul_f32_e32 v21, v18, v21
	v_fma_f32 v18, v18, v20, -v22
	v_fmac_f32_e32 v21, v19, v20
	v_add_f32_e32 v2, v2, v18
	v_add_f32_e32 v3, v3, v21
	s_or_b64 exec, exec, s[20:21]
	v_cmp_gt_u32_e64 s[14:15], 4, v8
	s_and_saveexec_b64 s[20:21], s[14:15]
	s_cbranch_execnz .LBB61_653
	s_branch .LBB61_654
.LBB61_1024:
	ds_read_b64 v[20:21], v18 offset:13824
	ds_read_b64 v[22:23], v19 offset:8408
	s_waitcnt lgkmcnt(0)
	v_mul_f32_e32 v24, v23, v21
	v_mul_f32_e32 v21, v22, v21
	v_fma_f32 v22, v22, v20, -v24
	v_fmac_f32_e32 v21, v23, v20
	v_add_f32_e32 v2, v2, v22
	v_add_f32_e32 v3, v3, v21
	s_or_b64 exec, exec, s[20:21]
	s_and_saveexec_b64 s[14:15], s[10:11]
	s_cbranch_execz .LBB61_710
.LBB61_1025:
	ds_read_b64 v[20:21], v18 offset:14336
	ds_read_b64 v[22:23], v19 offset:8416
	s_waitcnt lgkmcnt(0)
	v_mul_f32_e32 v24, v23, v21
	v_mul_f32_e32 v21, v22, v21
	v_fma_f32 v22, v22, v20, -v24
	v_fmac_f32_e32 v21, v23, v20
	v_add_f32_e32 v2, v2, v22
	v_add_f32_e32 v3, v3, v21
	s_or_b64 exec, exec, s[14:15]
	v_cmp_gt_u32_e64 s[14:15], 48, v8
	s_and_saveexec_b64 s[20:21], s[14:15]
	s_cbranch_execz .LBB61_711
.LBB61_1026:
	ds_read_b64 v[20:21], v18 offset:14848
	ds_read_b64 v[22:23], v19 offset:8424
	s_waitcnt lgkmcnt(0)
	v_mul_f32_e32 v24, v23, v21
	v_mul_f32_e32 v21, v22, v21
	v_fma_f32 v22, v22, v20, -v24
	v_fmac_f32_e32 v21, v23, v20
	v_add_f32_e32 v2, v2, v22
	v_add_f32_e32 v3, v3, v21
	s_or_b64 exec, exec, s[20:21]
	v_cmp_gt_u32_e64 s[14:15], 32, v8
	s_and_saveexec_b64 s[20:21], s[14:15]
	s_cbranch_execz .LBB61_712
.LBB61_1027:
	ds_read_b64 v[20:21], v18 offset:15360
	ds_read_b64 v[18:19], v19 offset:8432
	s_waitcnt lgkmcnt(0)
	v_mul_f32_e32 v22, v19, v21
	v_mul_f32_e32 v21, v18, v21
	v_fma_f32 v18, v18, v20, -v22
	v_fmac_f32_e32 v21, v19, v20
	v_add_f32_e32 v2, v2, v18
	v_add_f32_e32 v3, v3, v21
	s_or_b64 exec, exec, s[20:21]
	v_cmp_gt_u32_e64 s[14:15], 16, v8
	s_and_saveexec_b64 s[20:21], s[14:15]
	s_cbranch_execnz .LBB61_713
	s_branch .LBB61_714
.LBB61_1028:
	ds_read_b64 v[17:18], v15 offset:6720
	ds_read_b64 v[19:20], v16 offset:6248
	s_waitcnt lgkmcnt(0)
	v_mul_f32_e32 v21, v20, v18
	v_mul_f32_e32 v18, v19, v18
	v_fma_f32 v19, v19, v17, -v21
	v_fmac_f32_e32 v18, v20, v17
	v_add_f32_e32 v2, v2, v19
	v_add_f32_e32 v3, v3, v18
	s_or_b64 exec, exec, s[16:17]
	v_cmp_gt_u32_e64 s[12:13], 8, v8
	s_and_saveexec_b64 s[16:17], s[12:13]
	s_cbranch_execz .LBB61_798
.LBB61_1029:
	ds_read_b64 v[17:18], v15 offset:7232
	ds_read_b64 v[15:16], v16 offset:6256
	s_waitcnt lgkmcnt(0)
	v_mul_f32_e32 v19, v16, v18
	v_mul_f32_e32 v18, v15, v18
	v_fma_f32 v15, v15, v17, -v19
	v_fmac_f32_e32 v18, v16, v17
	v_add_f32_e32 v2, v2, v15
	v_add_f32_e32 v3, v3, v18
	s_or_b64 exec, exec, s[16:17]
	v_cmp_gt_u32_e64 s[12:13], 4, v8
	s_and_saveexec_b64 s[16:17], s[12:13]
	s_cbranch_execnz .LBB61_799
	s_branch .LBB61_800
.LBB61_1030:
	ds_read_b64 v[17:18], v15 offset:4608
	ds_read_b64 v[19:20], v16 offset:4168
	s_waitcnt lgkmcnt(0)
	v_mul_f32_e32 v21, v20, v18
	v_mul_f32_e32 v18, v19, v18
	v_fma_f32 v19, v19, v17, -v21
	v_fmac_f32_e32 v18, v20, v17
	v_add_f32_e32 v2, v2, v19
	v_add_f32_e32 v3, v3, v18
	s_or_b64 exec, exec, s[16:17]
	v_cmp_gt_u32_e64 s[12:13], 48, v8
	s_and_saveexec_b64 s[16:17], s[12:13]
	s_cbranch_execz .LBB61_836
.LBB61_1031:
	ds_read_b64 v[17:18], v15 offset:5120
	ds_read_b64 v[19:20], v16 offset:4176
	s_waitcnt lgkmcnt(0)
	v_mul_f32_e32 v21, v20, v18
	v_mul_f32_e32 v18, v19, v18
	v_fma_f32 v19, v19, v17, -v21
	v_fmac_f32_e32 v18, v20, v17
	v_add_f32_e32 v2, v2, v19
	v_add_f32_e32 v3, v3, v18
	s_or_b64 exec, exec, s[16:17]
	v_cmp_gt_u32_e64 s[12:13], 40, v8
	s_and_saveexec_b64 s[16:17], s[12:13]
	s_cbranch_execz .LBB61_837
.LBB61_1032:
	ds_read_b64 v[17:18], v15 offset:5632
	ds_read_b64 v[19:20], v16 offset:4184
	s_waitcnt lgkmcnt(0)
	v_mul_f32_e32 v21, v20, v18
	v_mul_f32_e32 v18, v19, v18
	v_fma_f32 v19, v19, v17, -v21
	v_fmac_f32_e32 v18, v20, v17
	v_add_f32_e32 v2, v2, v19
	v_add_f32_e32 v3, v3, v18
	s_or_b64 exec, exec, s[16:17]
	v_cmp_gt_u32_e64 s[12:13], 32, v8
	s_and_saveexec_b64 s[16:17], s[12:13]
	s_cbranch_execz .LBB61_838
.LBB61_1033:
	ds_read_b64 v[17:18], v15 offset:6144
	ds_read_b64 v[19:20], v16 offset:4192
	s_waitcnt lgkmcnt(0)
	v_mul_f32_e32 v21, v20, v18
	v_mul_f32_e32 v18, v19, v18
	v_fma_f32 v19, v19, v17, -v21
	v_fmac_f32_e32 v18, v20, v17
	v_add_f32_e32 v2, v2, v19
	v_add_f32_e32 v3, v3, v18
	s_or_b64 exec, exec, s[16:17]
	v_cmp_gt_u32_e64 s[12:13], 24, v8
	s_and_saveexec_b64 s[16:17], s[12:13]
	s_cbranch_execz .LBB61_839
.LBB61_1034:
	ds_read_b64 v[17:18], v15 offset:6656
	ds_read_b64 v[19:20], v16 offset:4200
	s_waitcnt lgkmcnt(0)
	v_mul_f32_e32 v21, v20, v18
	v_mul_f32_e32 v18, v19, v18
	v_fma_f32 v19, v19, v17, -v21
	v_fmac_f32_e32 v18, v20, v17
	v_add_f32_e32 v2, v2, v19
	v_add_f32_e32 v3, v3, v18
	s_or_b64 exec, exec, s[16:17]
	s_and_saveexec_b64 s[12:13], s[18:19]
	s_cbranch_execz .LBB61_840
.LBB61_1035:
	ds_read_b64 v[17:18], v15 offset:7168
	ds_read_b64 v[15:16], v16 offset:4208
	s_waitcnt lgkmcnt(0)
	v_mul_f32_e32 v19, v16, v18
	v_mul_f32_e32 v18, v15, v18
	v_fma_f32 v15, v15, v17, -v19
	v_fmac_f32_e32 v18, v16, v17
	v_add_f32_e32 v2, v2, v15
	v_add_f32_e32 v3, v3, v18
	s_or_b64 exec, exec, s[12:13]
	v_cmp_gt_u32_e64 s[12:13], 8, v8
	s_and_saveexec_b64 s[16:17], s[12:13]
	s_cbranch_execnz .LBB61_841
	s_branch .LBB61_842
.LBB61_1036:
	ds_read_b64 v[14:15], v12 offset:2560
	ds_read_b64 v[16:17], v13 offset:2088
	s_waitcnt lgkmcnt(0)
	v_mul_f32_e32 v18, v17, v15
	v_mul_f32_e32 v15, v16, v15
	v_fma_f32 v16, v16, v14, -v18
	v_fmac_f32_e32 v15, v17, v14
	v_add_f32_e32 v2, v2, v16
	v_add_f32_e32 v3, v3, v15
	s_or_b64 exec, exec, s[14:15]
	v_cmp_gt_u32_e64 s[10:11], 8, v8
	s_and_saveexec_b64 s[14:15], s[10:11]
	s_cbranch_execz .LBB61_894
.LBB61_1037:
	ds_read_b64 v[14:15], v12 offset:3072
	ds_read_b64 v[12:13], v13 offset:2096
	s_waitcnt lgkmcnt(0)
	v_mul_f32_e32 v16, v13, v15
	v_mul_f32_e32 v15, v12, v15
	v_fma_f32 v12, v12, v14, -v16
	v_fmac_f32_e32 v15, v13, v14
	v_add_f32_e32 v2, v2, v12
	v_add_f32_e32 v3, v3, v15
	s_or_b64 exec, exec, s[14:15]
	v_cmp_gt_u32_e64 s[10:11], 4, v8
	s_and_saveexec_b64 s[14:15], s[10:11]
	s_cbranch_execnz .LBB61_895
	s_branch .LBB61_896
	.section	.rodata,"a",@progbits
	.p2align	6, 0x0
	.amdhsa_kernel _ZL19rocblas_trsv_deviceILi64ELi16ELb0ELb0ELb0ELb1E19rocblas_complex_numIfES1_PKS1_PS1_EviT7_lllT6_T8_lllPii
		.amdhsa_group_segment_fixed_size 41480
		.amdhsa_private_segment_fixed_size 48
		.amdhsa_kernarg_size 352
		.amdhsa_user_sgpr_count 8
		.amdhsa_user_sgpr_private_segment_buffer 1
		.amdhsa_user_sgpr_dispatch_ptr 0
		.amdhsa_user_sgpr_queue_ptr 0
		.amdhsa_user_sgpr_kernarg_segment_ptr 1
		.amdhsa_user_sgpr_dispatch_id 0
		.amdhsa_user_sgpr_flat_scratch_init 1
		.amdhsa_user_sgpr_private_segment_size 0
		.amdhsa_uses_dynamic_stack 0
		.amdhsa_system_sgpr_private_segment_wavefront_offset 1
		.amdhsa_system_sgpr_workgroup_id_x 1
		.amdhsa_system_sgpr_workgroup_id_y 0
		.amdhsa_system_sgpr_workgroup_id_z 1
		.amdhsa_system_sgpr_workgroup_info 0
		.amdhsa_system_vgpr_workitem_id 1
		.amdhsa_next_free_vgpr 49
		.amdhsa_next_free_sgpr 100
		.amdhsa_reserve_vcc 1
		.amdhsa_reserve_flat_scratch 1
		.amdhsa_float_round_mode_32 0
		.amdhsa_float_round_mode_16_64 0
		.amdhsa_float_denorm_mode_32 3
		.amdhsa_float_denorm_mode_16_64 3
		.amdhsa_dx10_clamp 1
		.amdhsa_ieee_mode 1
		.amdhsa_fp16_overflow 0
		.amdhsa_exception_fp_ieee_invalid_op 0
		.amdhsa_exception_fp_denorm_src 0
		.amdhsa_exception_fp_ieee_div_zero 0
		.amdhsa_exception_fp_ieee_overflow 0
		.amdhsa_exception_fp_ieee_underflow 0
		.amdhsa_exception_fp_ieee_inexact 0
		.amdhsa_exception_int_div_zero 0
	.end_amdhsa_kernel
	.section	.text._ZL19rocblas_trsv_deviceILi64ELi16ELb0ELb0ELb0ELb1E19rocblas_complex_numIfES1_PKS1_PS1_EviT7_lllT6_T8_lllPii,"axG",@progbits,_ZL19rocblas_trsv_deviceILi64ELi16ELb0ELb0ELb0ELb1E19rocblas_complex_numIfES1_PKS1_PS1_EviT7_lllT6_T8_lllPii,comdat
.Lfunc_end61:
	.size	_ZL19rocblas_trsv_deviceILi64ELi16ELb0ELb0ELb0ELb1E19rocblas_complex_numIfES1_PKS1_PS1_EviT7_lllT6_T8_lllPii, .Lfunc_end61-_ZL19rocblas_trsv_deviceILi64ELi16ELb0ELb0ELb0ELb1E19rocblas_complex_numIfES1_PKS1_PS1_EviT7_lllT6_T8_lllPii
                                        ; -- End function
	.set _ZL19rocblas_trsv_deviceILi64ELi16ELb0ELb0ELb0ELb1E19rocblas_complex_numIfES1_PKS1_PS1_EviT7_lllT6_T8_lllPii.num_vgpr, 29
	.set _ZL19rocblas_trsv_deviceILi64ELi16ELb0ELb0ELb0ELb1E19rocblas_complex_numIfES1_PKS1_PS1_EviT7_lllT6_T8_lllPii.num_agpr, 0
	.set _ZL19rocblas_trsv_deviceILi64ELi16ELb0ELb0ELb0ELb1E19rocblas_complex_numIfES1_PKS1_PS1_EviT7_lllT6_T8_lllPii.numbered_sgpr, 100
	.set _ZL19rocblas_trsv_deviceILi64ELi16ELb0ELb0ELb0ELb1E19rocblas_complex_numIfES1_PKS1_PS1_EviT7_lllT6_T8_lllPii.num_named_barrier, 0
	.set _ZL19rocblas_trsv_deviceILi64ELi16ELb0ELb0ELb0ELb1E19rocblas_complex_numIfES1_PKS1_PS1_EviT7_lllT6_T8_lllPii.private_seg_size, 48
	.set _ZL19rocblas_trsv_deviceILi64ELi16ELb0ELb0ELb0ELb1E19rocblas_complex_numIfES1_PKS1_PS1_EviT7_lllT6_T8_lllPii.uses_vcc, 1
	.set _ZL19rocblas_trsv_deviceILi64ELi16ELb0ELb0ELb0ELb1E19rocblas_complex_numIfES1_PKS1_PS1_EviT7_lllT6_T8_lllPii.uses_flat_scratch, 1
	.set _ZL19rocblas_trsv_deviceILi64ELi16ELb0ELb0ELb0ELb1E19rocblas_complex_numIfES1_PKS1_PS1_EviT7_lllT6_T8_lllPii.has_dyn_sized_stack, 0
	.set _ZL19rocblas_trsv_deviceILi64ELi16ELb0ELb0ELb0ELb1E19rocblas_complex_numIfES1_PKS1_PS1_EviT7_lllT6_T8_lllPii.has_recursion, 0
	.set _ZL19rocblas_trsv_deviceILi64ELi16ELb0ELb0ELb0ELb1E19rocblas_complex_numIfES1_PKS1_PS1_EviT7_lllT6_T8_lllPii.has_indirect_call, 0
	.section	.AMDGPU.csdata,"",@progbits
; Kernel info:
; codeLenInByte = 34812
; TotalNumSgprs: 106
; NumVgprs: 29
; ScratchSize: 48
; MemoryBound: 1
; FloatMode: 240
; IeeeMode: 1
; LDSByteSize: 41480 bytes/workgroup (compile time only)
; SGPRBlocks: 13
; VGPRBlocks: 12
; NumSGPRsForWavesPerEU: 106
; NumVGPRsForWavesPerEU: 49
; Occupancy: 4
; WaveLimiterHint : 0
; COMPUTE_PGM_RSRC2:SCRATCH_EN: 1
; COMPUTE_PGM_RSRC2:USER_SGPR: 8
; COMPUTE_PGM_RSRC2:TRAP_HANDLER: 0
; COMPUTE_PGM_RSRC2:TGID_X_EN: 1
; COMPUTE_PGM_RSRC2:TGID_Y_EN: 0
; COMPUTE_PGM_RSRC2:TGID_Z_EN: 1
; COMPUTE_PGM_RSRC2:TIDIG_COMP_CNT: 1
	.section	.text._ZL19rocblas_trsv_deviceILi64ELi16ELb0ELb1ELb0ELb1E19rocblas_complex_numIfES1_PKS1_PS1_EviT7_lllT6_T8_lllPii,"axG",@progbits,_ZL19rocblas_trsv_deviceILi64ELi16ELb0ELb1ELb0ELb1E19rocblas_complex_numIfES1_PKS1_PS1_EviT7_lllT6_T8_lllPii,comdat
	.globl	_ZL19rocblas_trsv_deviceILi64ELi16ELb0ELb1ELb0ELb1E19rocblas_complex_numIfES1_PKS1_PS1_EviT7_lllT6_T8_lllPii ; -- Begin function _ZL19rocblas_trsv_deviceILi64ELi16ELb0ELb1ELb0ELb1E19rocblas_complex_numIfES1_PKS1_PS1_EviT7_lllT6_T8_lllPii
	.p2align	8
	.type	_ZL19rocblas_trsv_deviceILi64ELi16ELb0ELb1ELb0ELb1E19rocblas_complex_numIfES1_PKS1_PS1_EviT7_lllT6_T8_lllPii,@function
_ZL19rocblas_trsv_deviceILi64ELi16ELb0ELb1ELb0ELb1E19rocblas_complex_numIfES1_PKS1_PS1_EviT7_lllT6_T8_lllPii: ; @_ZL19rocblas_trsv_deviceILi64ELi16ELb0ELb1ELb0ELb1E19rocblas_complex_numIfES1_PKS1_PS1_EviT7_lllT6_T8_lllPii
; %bb.0:
	s_load_dwordx8 s[24:31], s[4:5], 0x8
	s_load_dword s33, s[4:5], 0x0
	s_add_u32 flat_scratch_lo, s6, s10
	s_addc_u32 flat_scratch_hi, s7, 0
	s_add_u32 s0, s0, s10
	s_waitcnt lgkmcnt(0)
	s_mul_i32 s6, s31, s9
	s_mul_hi_u32 s7, s30, s9
	s_addc_u32 s1, s1, 0
	s_add_i32 s7, s7, s6
	s_mul_i32 s6, s30, s9
	s_lshl_b64 s[6:7], s[6:7], 3
	s_mov_b32 s34, s9
	s_add_u32 s9, s24, s6
	s_load_dword s24, s[4:5], 0x6c
	s_addc_u32 s10, s25, s7
	s_lshl_b64 s[6:7], s[26:27], 3
	s_add_u32 s98, s9, s6
	s_addc_u32 s99, s10, s7
	s_cmp_eq_u32 s8, 0
	s_mov_b32 s35, 0
	s_cbranch_scc1 .LBB62_18
; %bb.1:
	s_lshl_b32 s9, s8, 6
	v_add_u32_e32 v6, s9, v0
	v_ashrrev_i32_e32 v2, 31, v6
	v_mul_lo_u32 v7, s28, v2
	v_mul_lo_u32 v8, s29, v6
	v_mad_u64_u32 v[2:3], s[6:7], s28, v6, 0
	v_add_u32_e32 v4, s9, v1
	v_subrev_u32_e32 v4, 64, v4
	v_add3_u32 v3, v3, v7, v8
	v_lshlrev_b64 v[2:3], 3, v[2:3]
	v_ashrrev_i32_e32 v5, 31, v4
	v_mov_b32_e32 v7, s99
	v_add_co_u32_e64 v8, s[6:7], s98, v2
	v_addc_co_u32_e64 v7, s[6:7], v7, v3, s[6:7]
	v_lshlrev_b64 v[2:3], 3, v[4:5]
	v_max_i32_e32 v5, v4, v6
	v_add_co_u32_e64 v2, s[6:7], v8, v2
	v_addc_co_u32_e64 v3, s[6:7], v7, v3, s[6:7]
	v_cmp_gt_i32_e32 vcc, s33, v6
	v_cmp_le_i32_e64 s[6:7], s33, v5
	s_waitcnt lgkmcnt(0)
	s_barrier
	s_and_saveexec_b64 s[10:11], s[6:7]
	s_xor_b64 s[6:7], exec, s[10:11]
	s_cbranch_execz .LBB62_3
; %bb.2:
	v_mov_b32_e32 v5, 0
	buffer_store_dword v5, off, s[0:3], 0
	buffer_store_dword v5, off, s[0:3], 0 offset:4
.LBB62_3:
	s_andn2_saveexec_b64 s[6:7], s[6:7]
	s_cbranch_execz .LBB62_5
; %bb.4:
	global_load_dwordx2 v[5:6], v[2:3], off
	s_waitcnt vmcnt(0)
	buffer_store_dword v6, off, s[0:3], 0 offset:4
	buffer_store_dword v5, off, s[0:3], 0
.LBB62_5:
	s_or_b64 exec, exec, s[6:7]
	v_add_u32_e32 v5, 16, v4
	v_cmp_le_i32_e64 s[6:7], s33, v5
	s_xor_b64 s[10:11], vcc, -1
	s_or_b64 s[6:7], s[6:7], s[10:11]
	s_waitcnt vmcnt(0)
	s_barrier
	s_and_saveexec_b64 s[12:13], s[6:7]
	s_xor_b64 s[6:7], exec, s[12:13]
	s_cbranch_execz .LBB62_7
; %bb.6:
	v_mov_b32_e32 v5, 0
	buffer_store_dword v5, off, s[0:3], 0 offset:8
	buffer_store_dword v5, off, s[0:3], 0 offset:12
.LBB62_7:
	s_andn2_saveexec_b64 s[6:7], s[6:7]
	s_cbranch_execz .LBB62_9
; %bb.8:
	global_load_dwordx2 v[5:6], v[2:3], off offset:128
	s_waitcnt vmcnt(0)
	buffer_store_dword v6, off, s[0:3], 0 offset:12
	buffer_store_dword v5, off, s[0:3], 0 offset:8
.LBB62_9:
	s_or_b64 exec, exec, s[6:7]
	v_add_u32_e32 v5, 32, v4
	v_cmp_le_i32_e32 vcc, s33, v5
	s_or_b64 s[6:7], vcc, s[10:11]
	s_waitcnt vmcnt(0)
	s_barrier
	s_and_saveexec_b64 s[12:13], s[6:7]
	s_xor_b64 s[6:7], exec, s[12:13]
	s_cbranch_execz .LBB62_11
; %bb.10:
	v_mov_b32_e32 v5, 0
	buffer_store_dword v5, off, s[0:3], 0 offset:16
	buffer_store_dword v5, off, s[0:3], 0 offset:20
.LBB62_11:
	s_andn2_saveexec_b64 s[6:7], s[6:7]
	s_cbranch_execz .LBB62_13
; %bb.12:
	global_load_dwordx2 v[5:6], v[2:3], off offset:256
	s_waitcnt vmcnt(0)
	buffer_store_dword v6, off, s[0:3], 0 offset:20
	buffer_store_dword v5, off, s[0:3], 0 offset:16
.LBB62_13:
	s_or_b64 exec, exec, s[6:7]
	v_add_u32_e32 v4, 48, v4
	v_cmp_le_i32_e32 vcc, s33, v4
	s_or_b64 s[6:7], vcc, s[10:11]
	s_waitcnt vmcnt(0)
	s_barrier
	s_and_saveexec_b64 s[10:11], s[6:7]
	s_xor_b64 s[6:7], exec, s[10:11]
	s_cbranch_execz .LBB62_15
; %bb.14:
	v_mov_b32_e32 v2, 0
	buffer_store_dword v2, off, s[0:3], 0 offset:24
	buffer_store_dword v2, off, s[0:3], 0 offset:28
                                        ; implicit-def: $vgpr2_vgpr3
.LBB62_15:
	s_andn2_saveexec_b64 s[6:7], s[6:7]
	s_cbranch_execz .LBB62_17
; %bb.16:
	global_load_dwordx2 v[2:3], v[2:3], off offset:384
	s_waitcnt vmcnt(0)
	buffer_store_dword v3, off, s[0:3], 0 offset:28
	buffer_store_dword v2, off, s[0:3], 0 offset:24
.LBB62_17:
	s_or_b64 exec, exec, s[6:7]
.LBB62_18:
	s_ashr_i32 s6, s33, 31
	s_lshr_b32 s6, s6, 26
	s_add_i32 s6, s33, s6
	s_andn2_b32 s6, s6, 63
	s_sub_i32 s9, s33, s6
	s_add_i32 s6, s33, -1
	s_ashr_i32 s7, s6, 31
	s_lshr_b32 s7, s7, 26
	s_add_i32 s6, s6, s7
	s_ashr_i32 s6, s6, 6
	s_cmp_eq_u32 s6, s8
	s_cselect_b64 s[6:7], -1, 0
	s_cmp_lg_u32 s9, 0
	s_cselect_b64 s[10:11], -1, 0
	s_and_b64 s[26:27], s[10:11], s[6:7]
	s_cmp_lt_i32 s8, 5
	s_cselect_b64 s[12:13], -1, 0
	v_lshlrev_b32_e32 v2, 6, v0
	s_mov_b64 s[16:17], -1
	s_or_b64 s[6:7], s[12:13], s[26:27]
	s_and_b64 vcc, exec, s[26:27]
	v_add_u32_e32 v3, v1, v2
	v_cmp_le_u32_e64 s[10:11], v1, v0
	v_lshlrev_b32_e32 v8, 3, v0
	v_lshl_add_u32 v6, v1, 6, v0
	s_cbranch_vccnz .LBB62_44
; %bb.19:
	s_add_u32 s14, s28, 1
	s_addc_u32 s15, s29, 0
	s_lshl_b32 s16, s8, 6
	s_ashr_i32 s17, s16, 31
	s_mul_hi_u32 s18, s14, s16
	s_mul_i32 s17, s14, s17
	s_add_i32 s17, s18, s17
	s_mul_i32 s15, s15, s16
	s_add_i32 s15, s17, s15
	s_mul_i32 s14, s14, s16
	s_lshl_b64 s[14:15], s[14:15], 3
	s_add_u32 s14, s98, s14
	s_addc_u32 s15, s99, s15
	v_lshlrev_b32_e32 v4, 3, v0
	v_mov_b32_e32 v5, s15
	v_add_co_u32_e32 v4, vcc, s14, v4
	v_addc_co_u32_e32 v5, vcc, 0, v5, vcc
	v_cndmask_b32_e64 v7, v6, v3, s[12:13]
	s_and_saveexec_b64 s[12:13], s[10:11]
	s_xor_b64 s[10:11], exec, s[12:13]
	s_cbranch_execz .LBB62_23
; %bb.20:
	v_or_b32_e32 v9, v1, v0
	v_cmp_gt_u32_e32 vcc, 64, v9
	s_and_saveexec_b64 s[12:13], vcc
; %bb.21:
	v_mov_b32_e32 v9, 0
	v_lshlrev_b32_e32 v7, 3, v7
	v_mov_b32_e32 v10, v9
	ds_write_b64 v7, v[9:10]
; %bb.22:
	s_or_b64 exec, exec, s[12:13]
                                        ; implicit-def: $vgpr7
.LBB62_23:
	s_andn2_saveexec_b64 s[10:11], s[10:11]
	s_cbranch_execz .LBB62_25
; %bb.24:
	v_mad_u64_u32 v[9:10], s[12:13], s28, v1, 0
	v_lshlrev_b32_e32 v7, 3, v7
	v_mad_u64_u32 v[10:11], s[12:13], s29, v1, v[10:11]
	v_lshlrev_b64 v[9:10], 3, v[9:10]
	v_add_co_u32_e32 v9, vcc, v4, v9
	v_addc_co_u32_e32 v10, vcc, v5, v10, vcc
	global_load_dwordx2 v[9:10], v[9:10], off
	s_waitcnt vmcnt(0)
	v_xor_b32_e32 v9, 0x80000000, v9
	v_xor_b32_e32 v10, 0x80000000, v10
	ds_write_b64 v7, v[9:10]
.LBB62_25:
	s_or_b64 exec, exec, s[10:11]
	v_add_u32_e32 v9, 16, v1
	v_add_u32_e32 v7, v9, v2
	v_lshl_add_u32 v10, v9, 6, v0
	v_cndmask_b32_e64 v7, v10, v7, s[6:7]
	v_cmp_le_u32_e32 vcc, v9, v0
	s_and_saveexec_b64 s[10:11], vcc
	s_xor_b64 s[10:11], exec, s[10:11]
	s_cbranch_execz .LBB62_29
; %bb.26:
	v_or_b32_e32 v9, v9, v0
	v_cmp_gt_u32_e32 vcc, 64, v9
	s_and_saveexec_b64 s[12:13], vcc
; %bb.27:
	v_mov_b32_e32 v9, 0
	v_lshlrev_b32_e32 v7, 3, v7
	v_mov_b32_e32 v10, v9
	ds_write_b64 v7, v[9:10]
; %bb.28:
	s_or_b64 exec, exec, s[12:13]
                                        ; implicit-def: $vgpr9
                                        ; implicit-def: $vgpr7
.LBB62_29:
	s_andn2_saveexec_b64 s[10:11], s[10:11]
	s_cbranch_execz .LBB62_31
; %bb.30:
	v_mad_u64_u32 v[10:11], s[12:13], s28, v9, 0
	v_lshlrev_b32_e32 v7, 3, v7
	v_mad_u64_u32 v[11:12], s[12:13], s29, v9, v[11:12]
	v_lshlrev_b64 v[9:10], 3, v[10:11]
	v_add_co_u32_e32 v9, vcc, v4, v9
	v_addc_co_u32_e32 v10, vcc, v5, v10, vcc
	global_load_dwordx2 v[9:10], v[9:10], off
	s_waitcnt vmcnt(0)
	v_xor_b32_e32 v9, 0x80000000, v9
	v_xor_b32_e32 v10, 0x80000000, v10
	ds_write_b64 v7, v[9:10]
.LBB62_31:
	s_or_b64 exec, exec, s[10:11]
	v_add_u32_e32 v9, 32, v1
	v_add_u32_e32 v7, v9, v2
	v_lshl_add_u32 v10, v9, 6, v0
	v_cndmask_b32_e64 v7, v10, v7, s[6:7]
	v_cmp_le_u32_e32 vcc, v9, v0
	s_and_saveexec_b64 s[10:11], vcc
	s_xor_b64 s[10:11], exec, s[10:11]
	s_cbranch_execz .LBB62_35
; %bb.32:
	v_or_b32_e32 v9, v9, v0
	v_cmp_gt_u32_e32 vcc, 64, v9
	s_and_saveexec_b64 s[12:13], vcc
; %bb.33:
	v_mov_b32_e32 v9, 0
	v_lshlrev_b32_e32 v7, 3, v7
	v_mov_b32_e32 v10, v9
	ds_write_b64 v7, v[9:10]
; %bb.34:
	s_or_b64 exec, exec, s[12:13]
                                        ; implicit-def: $vgpr9
                                        ; implicit-def: $vgpr7
.LBB62_35:
	s_andn2_saveexec_b64 s[10:11], s[10:11]
	s_cbranch_execz .LBB62_37
; %bb.36:
	v_mad_u64_u32 v[10:11], s[12:13], s28, v9, 0
	v_lshlrev_b32_e32 v7, 3, v7
	v_mad_u64_u32 v[11:12], s[12:13], s29, v9, v[11:12]
	v_lshlrev_b64 v[9:10], 3, v[10:11]
	v_add_co_u32_e32 v9, vcc, v4, v9
	v_addc_co_u32_e32 v10, vcc, v5, v10, vcc
	global_load_dwordx2 v[9:10], v[9:10], off
	s_waitcnt vmcnt(0)
	v_xor_b32_e32 v9, 0x80000000, v9
	v_xor_b32_e32 v10, 0x80000000, v10
	ds_write_b64 v7, v[9:10]
.LBB62_37:
	s_or_b64 exec, exec, s[10:11]
	v_add_u32_e32 v9, 48, v1
	v_add_u32_e32 v7, v9, v2
	v_lshl_add_u32 v10, v9, 6, v0
	v_cndmask_b32_e64 v7, v10, v7, s[6:7]
	v_cmp_le_u32_e32 vcc, v9, v0
	s_and_saveexec_b64 s[10:11], vcc
	s_xor_b64 s[10:11], exec, s[10:11]
	s_cbranch_execz .LBB62_41
; %bb.38:
	v_or_b32_e32 v4, v9, v0
	v_cmp_gt_u32_e32 vcc, 64, v4
	s_and_saveexec_b64 s[12:13], vcc
; %bb.39:
	v_mov_b32_e32 v4, 0
	v_lshlrev_b32_e32 v7, 3, v7
	v_mov_b32_e32 v5, v4
	ds_write_b64 v7, v[4:5]
; %bb.40:
	s_or_b64 exec, exec, s[12:13]
                                        ; implicit-def: $vgpr9
                                        ; implicit-def: $vgpr4
                                        ; implicit-def: $vgpr5
                                        ; implicit-def: $vgpr7
.LBB62_41:
	s_andn2_saveexec_b64 s[10:11], s[10:11]
	s_cbranch_execz .LBB62_43
; %bb.42:
	v_mad_u64_u32 v[10:11], s[12:13], s28, v9, 0
	v_lshlrev_b32_e32 v7, 3, v7
	v_mad_u64_u32 v[11:12], s[12:13], s29, v9, v[11:12]
	v_lshlrev_b64 v[9:10], 3, v[10:11]
	v_add_co_u32_e32 v4, vcc, v4, v9
	v_addc_co_u32_e32 v5, vcc, v5, v10, vcc
	global_load_dwordx2 v[4:5], v[4:5], off
	s_waitcnt vmcnt(0)
	v_xor_b32_e32 v4, 0x80000000, v4
	v_xor_b32_e32 v5, 0x80000000, v5
	ds_write_b64 v7, v[4:5]
.LBB62_43:
	s_or_b64 exec, exec, s[10:11]
	s_mov_b64 s[16:17], 0
.LBB62_44:
	s_xor_b64 s[14:15], s[6:7], -1
	s_and_b64 vcc, exec, s[16:17]
	s_cbranch_vccz .LBB62_70
; %bb.45:
	s_add_u32 s10, s28, 1
	s_addc_u32 s11, s29, 0
	s_lshl_b32 s12, s8, 6
	s_ashr_i32 s13, s12, 31
	s_mul_hi_u32 s16, s10, s12
	s_mul_i32 s13, s10, s13
	s_add_i32 s13, s16, s13
	s_mul_i32 s11, s11, s12
	s_add_i32 s11, s13, s11
	s_mul_i32 s10, s10, s12
	s_lshl_b64 s[10:11], s[10:11], 3
	s_add_u32 s10, s98, s10
	s_addc_u32 s11, s99, s11
	v_lshlrev_b32_e32 v4, 3, v0
	v_mov_b32_e32 v5, s11
	v_add_co_u32_e64 v4, s[10:11], s10, v4
	v_addc_co_u32_e64 v5, s[10:11], 0, v5, s[10:11]
	v_max_i32_e32 v7, v1, v0
	v_cmp_le_u32_e64 s[10:11], v1, v0
	v_cmp_le_i32_e64 s[12:13], s9, v7
	v_cmp_gt_i32_e32 vcc, s9, v0
	s_or_b64 s[10:11], s[12:13], s[10:11]
	s_and_saveexec_b64 s[12:13], s[10:11]
	s_xor_b64 s[12:13], exec, s[12:13]
	s_cbranch_execz .LBB62_49
; %bb.46:
	v_or_b32_e32 v7, v1, v0
	v_cmp_gt_u32_e64 s[10:11], 64, v7
	s_and_saveexec_b64 s[16:17], s[10:11]
; %bb.47:
	v_mov_b32_e32 v9, 0
	v_lshlrev_b32_e32 v3, 3, v3
	v_mov_b32_e32 v10, v9
	ds_write_b64 v3, v[9:10]
; %bb.48:
	s_or_b64 exec, exec, s[16:17]
                                        ; implicit-def: $vgpr3
.LBB62_49:
	s_andn2_saveexec_b64 s[12:13], s[12:13]
	s_cbranch_execz .LBB62_51
; %bb.50:
	v_mad_u64_u32 v[9:10], s[10:11], s28, v1, 0
	v_lshlrev_b32_e32 v3, 3, v3
	v_mov_b32_e32 v7, v10
	v_mad_u64_u32 v[10:11], s[10:11], s29, v1, v[7:8]
	v_lshlrev_b64 v[9:10], 3, v[9:10]
	v_add_co_u32_e64 v9, s[10:11], v4, v9
	v_addc_co_u32_e64 v10, s[10:11], v5, v10, s[10:11]
	global_load_dwordx2 v[9:10], v[9:10], off
	s_waitcnt vmcnt(0)
	v_xor_b32_e32 v9, 0x80000000, v9
	v_xor_b32_e32 v10, 0x80000000, v10
	ds_write_b64 v3, v[9:10]
.LBB62_51:
	s_or_b64 exec, exec, s[12:13]
	v_add_u32_e32 v7, 16, v1
	v_cmp_gt_u32_e64 s[10:11], v7, v0
	v_cmp_gt_i32_e64 s[12:13], s9, v7
	s_and_b64 s[10:11], s[10:11], s[12:13]
	v_add_u32_e32 v3, v7, v2
	v_lshl_add_u32 v9, v7, 6, v0
	s_and_b64 s[10:11], s[10:11], vcc
	v_cndmask_b32_e64 v3, v9, v3, s[6:7]
	s_xor_b64 s[10:11], s[10:11], -1
	s_and_saveexec_b64 s[12:13], s[10:11]
	s_xor_b64 s[12:13], exec, s[12:13]
	s_cbranch_execz .LBB62_55
; %bb.52:
	v_or_b32_e32 v7, v7, v0
	v_cmp_gt_u32_e64 s[10:11], 64, v7
	s_and_saveexec_b64 s[16:17], s[10:11]
; %bb.53:
	v_mov_b32_e32 v9, 0
	v_lshlrev_b32_e32 v3, 3, v3
	v_mov_b32_e32 v10, v9
	ds_write_b64 v3, v[9:10]
; %bb.54:
	s_or_b64 exec, exec, s[16:17]
                                        ; implicit-def: $vgpr7
                                        ; implicit-def: $vgpr3
.LBB62_55:
	s_andn2_saveexec_b64 s[12:13], s[12:13]
	s_cbranch_execz .LBB62_57
; %bb.56:
	v_mad_u64_u32 v[9:10], s[10:11], s28, v7, 0
	v_lshlrev_b32_e32 v3, 3, v3
	v_mad_u64_u32 v[10:11], s[10:11], s29, v7, v[10:11]
	v_lshlrev_b64 v[9:10], 3, v[9:10]
	v_add_co_u32_e64 v9, s[10:11], v4, v9
	v_addc_co_u32_e64 v10, s[10:11], v5, v10, s[10:11]
	global_load_dwordx2 v[9:10], v[9:10], off
	s_waitcnt vmcnt(0)
	v_xor_b32_e32 v9, 0x80000000, v9
	v_xor_b32_e32 v10, 0x80000000, v10
	ds_write_b64 v3, v[9:10]
.LBB62_57:
	s_or_b64 exec, exec, s[12:13]
	v_add_u32_e32 v7, 32, v1
	v_cmp_gt_u32_e64 s[10:11], v7, v0
	v_cmp_gt_i32_e64 s[12:13], s9, v7
	s_and_b64 s[10:11], s[10:11], s[12:13]
	v_add_u32_e32 v3, v7, v2
	v_lshl_add_u32 v9, v7, 6, v0
	s_and_b64 s[10:11], s[10:11], vcc
	v_cndmask_b32_e64 v3, v9, v3, s[6:7]
	s_xor_b64 s[10:11], s[10:11], -1
	s_and_saveexec_b64 s[12:13], s[10:11]
	s_xor_b64 s[12:13], exec, s[12:13]
	s_cbranch_execz .LBB62_61
; %bb.58:
	v_or_b32_e32 v7, v7, v0
	v_cmp_gt_u32_e64 s[10:11], 64, v7
	s_and_saveexec_b64 s[16:17], s[10:11]
; %bb.59:
	v_mov_b32_e32 v9, 0
	v_lshlrev_b32_e32 v3, 3, v3
	v_mov_b32_e32 v10, v9
	ds_write_b64 v3, v[9:10]
; %bb.60:
	s_or_b64 exec, exec, s[16:17]
                                        ; implicit-def: $vgpr7
                                        ; implicit-def: $vgpr3
.LBB62_61:
	s_andn2_saveexec_b64 s[12:13], s[12:13]
	s_cbranch_execz .LBB62_63
; %bb.62:
	v_mad_u64_u32 v[9:10], s[10:11], s28, v7, 0
	v_lshlrev_b32_e32 v3, 3, v3
	v_mad_u64_u32 v[10:11], s[10:11], s29, v7, v[10:11]
	v_lshlrev_b64 v[9:10], 3, v[9:10]
	v_add_co_u32_e64 v9, s[10:11], v4, v9
	v_addc_co_u32_e64 v10, s[10:11], v5, v10, s[10:11]
	global_load_dwordx2 v[9:10], v[9:10], off
	s_waitcnt vmcnt(0)
	v_xor_b32_e32 v9, 0x80000000, v9
	v_xor_b32_e32 v10, 0x80000000, v10
	ds_write_b64 v3, v[9:10]
.LBB62_63:
	s_or_b64 exec, exec, s[12:13]
	v_add_u32_e32 v3, 48, v1
	v_add_u32_e32 v2, v3, v2
	v_lshl_add_u32 v7, v3, 6, v0
	v_cndmask_b32_e64 v2, v7, v2, s[6:7]
	v_cmp_gt_u32_e64 s[6:7], v3, v0
	v_cmp_gt_i32_e64 s[10:11], s9, v3
	s_and_b64 s[6:7], s[6:7], s[10:11]
	s_and_b64 s[6:7], s[6:7], vcc
	s_xor_b64 s[6:7], s[6:7], -1
	s_and_saveexec_b64 s[10:11], s[6:7]
	s_xor_b64 s[6:7], exec, s[10:11]
	s_cbranch_execz .LBB62_67
; %bb.64:
	v_or_b32_e32 v3, v3, v0
	v_cmp_gt_u32_e32 vcc, 64, v3
	s_and_saveexec_b64 s[10:11], vcc
; %bb.65:
	v_lshlrev_b32_e32 v4, 3, v2
	v_mov_b32_e32 v2, 0
	v_mov_b32_e32 v3, v2
	ds_write_b64 v4, v[2:3]
; %bb.66:
	s_or_b64 exec, exec, s[10:11]
                                        ; implicit-def: $vgpr3
                                        ; implicit-def: $vgpr4
                                        ; implicit-def: $vgpr5
                                        ; implicit-def: $vgpr2
.LBB62_67:
	s_andn2_saveexec_b64 s[6:7], s[6:7]
	s_cbranch_execz .LBB62_69
; %bb.68:
	v_mad_u64_u32 v[9:10], s[10:11], s28, v3, 0
	v_lshlrev_b32_e32 v2, 3, v2
	v_mov_b32_e32 v7, v10
	v_mad_u64_u32 v[10:11], s[10:11], s29, v3, v[7:8]
	v_lshlrev_b64 v[9:10], 3, v[9:10]
	v_add_co_u32_e32 v3, vcc, v4, v9
	v_addc_co_u32_e32 v4, vcc, v5, v10, vcc
	global_load_dwordx2 v[3:4], v[3:4], off
	s_waitcnt vmcnt(0)
	v_xor_b32_e32 v3, 0x80000000, v3
	v_xor_b32_e32 v4, 0x80000000, v4
	ds_write_b64 v2, v[3:4]
.LBB62_69:
	s_or_b64 exec, exec, s[6:7]
.LBB62_70:
	v_cndmask_b32_e64 v2, 0, 1, s[14:15]
	v_cmp_ne_u32_e64 s[42:43], 1, v2
	s_andn2_b64 vcc, exec, s[14:15]
	s_waitcnt vmcnt(0) lgkmcnt(0)
	s_barrier
	s_cbranch_vccnz .LBB62_992
; %bb.71:
	v_or_b32_e32 v2, v0, v1
	s_mov_b32 s11, 0
	v_cmp_eq_u32_e32 vcc, 0, v2
	s_and_saveexec_b64 s[6:7], vcc
	s_cbranch_execz .LBB62_73
; %bb.72:
	v_mov_b32_e32 v7, 0
	ds_read_b64 v[2:3], v7 offset:32752
	s_mov_b32 s10, 1.0
	v_mov_b32_e32 v4, s10
	v_mov_b32_e32 v5, s11
	s_movk_i32 s10, 0x7800
	ds_write_b64 v7, v[4:5] offset:32760
	v_add_u32_e64 v7, s10, 0
	s_waitcnt lgkmcnt(1)
	ds_write2_b64 v7, v[4:5], v[2:3] offset0:190 offset1:191
.LBB62_73:
	s_or_b64 exec, exec, s[6:7]
	v_lshlrev_b32_e32 v2, 6, v1
	v_add_u32_e32 v9, v2, v0
	v_and_b32_e32 v3, v2, v0
	v_xor_b32_e32 v2, v2, v0
	v_lshrrev_b16_e32 v2, 1, v2
	v_add_u16_e32 v7, v3, v2
	v_and_b32_e32 v4, 1, v0
	v_sub_u32_e32 v5, 1, v7
	v_cmp_lt_u32_e64 s[10:11], 3, v9
	v_cmp_gt_u32_e64 s[22:23], 4, v9
	v_mov_b32_e32 v2, 0
	v_mov_b32_e32 v3, 0
	s_waitcnt lgkmcnt(0)
	s_barrier
	buffer_wbinvl1_vol
	s_and_saveexec_b64 s[6:7], s[22:23]
	s_cbranch_execz .LBB62_77
; %bb.74:
	v_lshlrev_b32_e32 v2, 3, v4
	v_lshlrev_b32_e32 v10, 9, v5
	ds_read_b64 v[2:3], v2 offset:32224
	ds_read_b64 v[10:11], v10 offset:32240
	v_cmp_gt_u32_e64 s[12:13], 2, v9
	s_waitcnt lgkmcnt(0)
	v_mul_f32_e32 v12, v11, v3
	v_mul_f32_e32 v3, v10, v3
	v_fma_f32 v10, v10, v2, -v12
	v_fmac_f32_e32 v3, v11, v2
	v_add_f32_e32 v2, 0, v10
	v_add_f32_e32 v3, 0, v3
	s_and_saveexec_b64 s[14:15], s[12:13]
	s_cbranch_execz .LBB62_76
; %bb.75:
	v_lshlrev_b32_e32 v10, 3, v0
	v_mov_b32_e32 v12, 0
	ds_read_b64 v[10:11], v10 offset:32736
	ds_read_b64 v[12:13], v12 offset:32760
	s_waitcnt lgkmcnt(0)
	v_mul_f32_e32 v14, v13, v11
	v_mul_f32_e32 v11, v12, v11
	v_fma_f32 v12, v12, v10, -v14
	v_fmac_f32_e32 v11, v13, v10
	v_add_f32_e32 v2, v2, v12
	v_add_f32_e32 v3, v3, v11
.LBB62_76:
	s_or_b64 exec, exec, s[14:15]
.LBB62_77:
	s_or_b64 exec, exec, s[6:7]
	v_mov_b32_e32 v10, 0x8000
	v_cmp_ne_u32_e64 s[12:13], 0, v4
	s_xor_b64 s[6:7], s[10:11], -1
	v_lshl_add_u32 v7, v7, 3, v10
	s_and_b64 s[36:37], s[12:13], s[6:7]
	s_and_saveexec_b64 s[10:11], s[36:37]
; %bb.78:
	v_xor_b32_e32 v11, 0x80000000, v3
	v_xor_b32_e32 v10, 0x80000000, v2
	ds_write_b64 v7, v[10:11]
; %bb.79:
	s_or_b64 exec, exec, s[10:11]
	v_cmp_eq_u32_e64 s[10:11], 0, v4
	s_and_b64 s[30:31], s[10:11], s[6:7]
	s_waitcnt lgkmcnt(0)
	s_barrier
	s_and_saveexec_b64 s[6:7], s[30:31]
	s_cbranch_execz .LBB62_81
; %bb.80:
	v_mov_b32_e32 v10, 0
	ds_read_b64 v[10:11], v10 offset:31712
	ds_read_b64 v[12:13], v7
	s_waitcnt lgkmcnt(0)
	v_mul_f32_e32 v14, v12, v10
	v_mul_f32_e32 v12, v12, v11
	v_fmac_f32_e32 v12, v13, v10
	v_fma_f32 v10, v13, v11, -v14
	v_add_f32_e32 v2, v2, v10
	v_sub_f32_e32 v3, v3, v12
.LBB62_81:
	s_or_b64 exec, exec, s[6:7]
	s_barrier
	s_and_saveexec_b64 s[6:7], s[30:31]
; %bb.82:
	v_xor_b32_e32 v11, 0x80000000, v3
	v_xor_b32_e32 v10, 0x80000000, v2
	ds_write_b64 v7, v[10:11]
; %bb.83:
	s_or_b64 exec, exec, s[6:7]
	s_waitcnt lgkmcnt(0)
	s_barrier
	s_barrier
	s_and_saveexec_b64 s[6:7], s[22:23]
; %bb.84:
	v_lshlrev_b32_e32 v10, 3, v4
	v_lshl_or_b32 v10, v5, 9, v10
	ds_write_b64 v10, v[2:3] offset:32224
; %bb.85:
	s_or_b64 exec, exec, s[6:7]
	v_cmp_eq_u32_e64 s[16:17], 0, v1
	v_cmp_gt_u32_e64 s[10:11], 2, v0
	s_and_b64 s[38:39], s[16:17], s[10:11]
	s_waitcnt lgkmcnt(0)
	s_barrier
	s_barrier
	s_and_saveexec_b64 s[6:7], s[38:39]
	s_cbranch_execz .LBB62_87
; %bb.86:
	v_lshlrev_b32_e32 v10, 3, v0
	s_movk_i32 s10, 0x1f8
	v_mad_u32_u24 v11, v0, s10, v10
	ds_read_b64 v[2:3], v11 offset:32224
	s_waitcnt lgkmcnt(0)
	ds_write_b64 v10, v[2:3] offset:31216
	ds_read_b64 v[2:3], v11 offset:32232
	s_waitcnt lgkmcnt(0)
	ds_write_b64 v10, v[2:3] offset:31728
.LBB62_87:
	s_or_b64 exec, exec, s[6:7]
	s_waitcnt lgkmcnt(0)
	s_barrier
	s_and_saveexec_b64 s[6:7], vcc
	s_cbranch_execz .LBB62_89
; %bb.88:
	v_mov_b32_e32 v12, 0
	ds_read_b64 v[2:3], v12 offset:31712
	s_mov_b64 s[10:11], 0x3f800000
	v_mov_b32_e32 v10, s10
	v_mov_b32_e32 v11, s11
	s_movk_i32 s10, 0x7800
	ds_write_b64 v12, v[10:11] offset:31720
	v_add_u32_e64 v12, s10, 0
	s_waitcnt lgkmcnt(1)
	ds_write2_b64 v12, v[10:11], v[2:3] offset0:60 offset1:61
.LBB62_89:
	s_or_b64 exec, exec, s[6:7]
	v_lshrrev_b32_e32 v12, 2, v9
	v_and_b32_e32 v10, 3, v0
	v_sub_u32_e32 v11, 3, v12
	v_cmp_lt_u32_e64 s[12:13], 15, v9
	v_cmp_gt_u32_e64 s[10:11], 16, v9
	v_mov_b32_e32 v3, 0
	v_mov_b32_e32 v2, 0
	s_waitcnt lgkmcnt(0)
	s_barrier
	buffer_wbinvl1_vol
	s_and_saveexec_b64 s[6:7], s[10:11]
	s_cbranch_execz .LBB62_95
; %bb.90:
	v_lshlrev_b32_e32 v13, 3, v10
	v_lshlrev_b32_e32 v14, 9, v11
	ds_read_b64 v[2:3], v13 offset:31168
	ds_read_b64 v[15:16], v14 offset:31200
	v_cmp_gt_u32_e64 s[14:15], 12, v9
	s_waitcnt lgkmcnt(0)
	v_mul_f32_e32 v17, v16, v3
	v_mul_f32_e32 v3, v15, v3
	v_fma_f32 v15, v15, v2, -v17
	v_fmac_f32_e32 v3, v16, v2
	v_add_f32_e32 v2, 0, v15
	v_add_f32_e32 v3, 0, v3
	s_and_saveexec_b64 s[18:19], s[14:15]
	s_cbranch_execnz .LBB62_1052
; %bb.91:
	s_or_b64 exec, exec, s[18:19]
	v_cmp_gt_u32_e64 s[14:15], 8, v9
	s_and_saveexec_b64 s[18:19], s[14:15]
	s_cbranch_execnz .LBB62_1053
.LBB62_92:
	s_or_b64 exec, exec, s[18:19]
	v_cmp_gt_u32_e64 s[14:15], 4, v9
	s_and_saveexec_b64 s[18:19], s[14:15]
	s_cbranch_execz .LBB62_94
.LBB62_93:
	v_lshlrev_b32_e32 v13, 3, v0
	v_mov_b32_e32 v15, 0
	ds_read_b64 v[13:14], v13 offset:32704
	ds_read_b64 v[15:16], v15 offset:32760
	s_waitcnt lgkmcnt(0)
	v_mul_f32_e32 v17, v16, v14
	v_mul_f32_e32 v14, v15, v14
	v_fma_f32 v15, v15, v13, -v17
	v_fmac_f32_e32 v14, v16, v13
	v_add_f32_e32 v2, v2, v15
	v_add_f32_e32 v3, v3, v14
.LBB62_94:
	s_or_b64 exec, exec, s[18:19]
.LBB62_95:
                                        ; implicit-def: $vgpr29 : SGPR spill to VGPR lane
	v_writelane_b32 v29, s42, 0
	v_writelane_b32 v29, s43, 1
	s_or_b64 exec, exec, s[6:7]
	v_mov_b32_e32 v13, 0x8000
	v_cmp_eq_u32_e64 s[14:15], 3, v10
	s_xor_b64 s[6:7], s[12:13], -1
	v_lshl_add_u32 v12, v12, 3, v13
	s_and_b64 s[42:43], s[14:15], s[6:7]
	s_and_saveexec_b64 s[12:13], s[42:43]
; %bb.96:
	v_xor_b32_e32 v13, 0x80000000, v2
	v_xor_b32_e32 v14, 0x80000000, v3
	ds_write_b64 v12, v[13:14]
; %bb.97:
	s_or_b64 exec, exec, s[12:13]
	v_cmp_ne_u32_e64 s[12:13], 3, v10
	s_and_b64 s[44:45], s[12:13], s[6:7]
	s_waitcnt lgkmcnt(0)
	s_barrier
	s_and_saveexec_b64 s[12:13], s[44:45]
	s_cbranch_execz .LBB62_99
; %bb.98:
	v_lshlrev_b32_e32 v13, 3, v10
	ds_read_b64 v[13:14], v13 offset:30656
	ds_read_b64 v[15:16], v12
	s_waitcnt lgkmcnt(0)
	v_mul_f32_e32 v17, v16, v14
	v_mul_f32_e32 v14, v15, v14
	v_fma_f32 v15, v15, v13, -v17
	v_fmac_f32_e32 v14, v16, v13
	v_sub_f32_e32 v2, v2, v15
	v_sub_f32_e32 v3, v3, v14
.LBB62_99:
	s_or_b64 exec, exec, s[12:13]
	v_cmp_eq_u32_e64 s[12:13], 2, v10
	s_and_b64 s[46:47], s[12:13], s[6:7]
	s_barrier
	s_and_saveexec_b64 s[12:13], s[46:47]
; %bb.100:
	v_xor_b32_e32 v13, 0x80000000, v2
	v_xor_b32_e32 v14, 0x80000000, v3
	ds_write_b64 v12, v[13:14]
; %bb.101:
	s_or_b64 exec, exec, s[12:13]
	v_cmp_gt_u32_e64 s[12:13], 2, v10
	s_and_b64 s[48:49], s[12:13], s[6:7]
	s_waitcnt lgkmcnt(0)
	s_barrier
	s_and_saveexec_b64 s[12:13], s[48:49]
	s_cbranch_execz .LBB62_103
; %bb.102:
	v_lshlrev_b32_e32 v13, 3, v10
	ds_read_b64 v[13:14], v13 offset:30144
	ds_read_b64 v[15:16], v12
	s_waitcnt lgkmcnt(0)
	v_mul_f32_e32 v17, v16, v14
	v_mul_f32_e32 v14, v15, v14
	v_fma_f32 v15, v15, v13, -v17
	v_fmac_f32_e32 v14, v16, v13
	v_sub_f32_e32 v2, v2, v15
	v_sub_f32_e32 v3, v3, v14
.LBB62_103:
	s_or_b64 exec, exec, s[12:13]
	v_cmp_eq_u32_e64 s[12:13], 1, v10
	s_and_b64 s[50:51], s[12:13], s[6:7]
	s_barrier
	s_and_saveexec_b64 s[12:13], s[50:51]
; %bb.104:
	v_xor_b32_e32 v13, 0x80000000, v2
	v_xor_b32_e32 v14, 0x80000000, v3
	ds_write_b64 v12, v[13:14]
; %bb.105:
	s_or_b64 exec, exec, s[12:13]
	v_cmp_eq_u32_e64 s[12:13], 0, v10
	s_and_b64 s[40:41], s[12:13], s[6:7]
	s_waitcnt lgkmcnt(0)
	s_barrier
	s_and_saveexec_b64 s[6:7], s[40:41]
	s_cbranch_execz .LBB62_107
; %bb.106:
	v_mov_b32_e32 v13, 0
	ds_read_b64 v[13:14], v13 offset:29632
	ds_read_b64 v[15:16], v12
	s_waitcnt lgkmcnt(0)
	v_mul_f32_e32 v17, v16, v14
	v_mul_f32_e32 v14, v15, v14
	v_fma_f32 v15, v15, v13, -v17
	v_fmac_f32_e32 v14, v16, v13
	v_sub_f32_e32 v2, v2, v15
	v_sub_f32_e32 v3, v3, v14
.LBB62_107:
	s_or_b64 exec, exec, s[6:7]
	s_barrier
	s_and_saveexec_b64 s[6:7], s[40:41]
; %bb.108:
	v_xor_b32_e32 v13, 0x80000000, v2
	v_xor_b32_e32 v14, 0x80000000, v3
	ds_write_b64 v12, v[13:14]
; %bb.109:
	s_or_b64 exec, exec, s[6:7]
	s_waitcnt lgkmcnt(0)
	s_barrier
	s_barrier
	s_and_saveexec_b64 s[6:7], s[10:11]
; %bb.110:
	v_lshlrev_b32_e32 v13, 3, v10
	v_lshl_or_b32 v13, v11, 9, v13
	ds_write_b64 v13, v[2:3] offset:31168
; %bb.111:
	s_or_b64 exec, exec, s[6:7]
	v_cmp_gt_u32_e64 s[12:13], 4, v0
	s_and_b64 s[52:53], s[16:17], s[12:13]
	s_waitcnt lgkmcnt(0)
	s_barrier
	s_barrier
	s_and_saveexec_b64 s[6:7], s[52:53]
	s_cbranch_execz .LBB62_113
; %bb.112:
	v_lshlrev_b32_e32 v13, 9, v0
	ds_read_b64 v[2:3], v13 offset:31168
	s_movk_i32 s12, 0xfe08
	v_mad_i32_i24 v14, v0, s12, v13
	s_waitcnt lgkmcnt(0)
	ds_write_b64 v14, v[2:3] offset:29152
	ds_read_b64 v[2:3], v13 offset:31176
	s_waitcnt lgkmcnt(0)
	ds_write_b64 v14, v[2:3] offset:29664
	ds_read_b64 v[2:3], v13 offset:31184
	;; [unrolled: 3-line block ×3, first 2 shown]
	s_waitcnt lgkmcnt(0)
	ds_write_b64 v14, v[2:3] offset:30688
.LBB62_113:
	s_or_b64 exec, exec, s[6:7]
	s_waitcnt lgkmcnt(0)
	s_barrier
	s_and_saveexec_b64 s[6:7], vcc
	s_cbranch_execz .LBB62_115
; %bb.114:
	v_mov_b32_e32 v15, 0
	ds_read_b64 v[2:3], v15 offset:30672
	s_mov_b64 s[12:13], 0x3f800000
	v_mov_b32_e32 v14, s13
	v_mov_b32_e32 v13, s12
	s_movk_i32 s12, 0x7000
	ds_write_b64 v15, v[13:14] offset:30680
	v_add_u32_e64 v15, s12, 0
	s_waitcnt lgkmcnt(1)
	ds_write2_b64 v15, v[13:14], v[2:3] offset0:186 offset1:187
.LBB62_115:
	s_or_b64 exec, exec, s[6:7]
	v_mov_b32_e32 v2, 0
	v_mov_b32_e32 v3, 0
	s_waitcnt lgkmcnt(0)
	s_barrier
	buffer_wbinvl1_vol
	s_and_saveexec_b64 s[6:7], s[22:23]
	s_cbranch_execz .LBB62_119
; %bb.116:
	v_lshlrev_b32_e32 v2, 3, v4
	v_lshlrev_b32_e32 v13, 9, v5
	ds_read_b64 v[2:3], v2 offset:30144
	ds_read_b64 v[13:14], v13 offset:30160
	v_cmp_gt_u32_e64 s[12:13], 2, v9
	s_waitcnt lgkmcnt(0)
	v_mul_f32_e32 v15, v14, v3
	v_mul_f32_e32 v3, v13, v3
	v_fma_f32 v13, v13, v2, -v15
	v_fmac_f32_e32 v3, v14, v2
	v_add_f32_e32 v2, 0, v13
	v_add_f32_e32 v3, 0, v3
	s_and_saveexec_b64 s[14:15], s[12:13]
	s_cbranch_execz .LBB62_118
; %bb.117:
	v_lshlrev_b32_e32 v13, 3, v0
	v_mov_b32_e32 v15, 0
	ds_read_b64 v[13:14], v13 offset:30656
	ds_read_b64 v[15:16], v15 offset:30680
	s_waitcnt lgkmcnt(0)
	v_mul_f32_e32 v17, v16, v14
	v_mul_f32_e32 v14, v15, v14
	v_fma_f32 v15, v15, v13, -v17
	v_fmac_f32_e32 v14, v16, v13
	v_add_f32_e32 v2, v2, v15
	v_add_f32_e32 v3, v3, v14
.LBB62_118:
	s_or_b64 exec, exec, s[14:15]
.LBB62_119:
	s_or_b64 exec, exec, s[6:7]
	s_and_saveexec_b64 s[6:7], s[36:37]
; %bb.120:
	v_xor_b32_e32 v14, 0x80000000, v3
	v_xor_b32_e32 v13, 0x80000000, v2
	ds_write_b64 v7, v[13:14]
; %bb.121:
	s_or_b64 exec, exec, s[6:7]
	s_waitcnt lgkmcnt(0)
	s_barrier
	s_and_saveexec_b64 s[6:7], s[30:31]
	s_cbranch_execz .LBB62_123
; %bb.122:
	v_mov_b32_e32 v13, 0
	ds_read_b64 v[13:14], v13 offset:29632
	ds_read_b64 v[15:16], v7
	s_waitcnt lgkmcnt(0)
	v_mul_f32_e32 v17, v15, v13
	v_mul_f32_e32 v15, v15, v14
	v_fmac_f32_e32 v15, v16, v13
	v_fma_f32 v13, v16, v14, -v17
	v_add_f32_e32 v2, v2, v13
	v_sub_f32_e32 v3, v3, v15
.LBB62_123:
	s_or_b64 exec, exec, s[6:7]
	s_barrier
	s_and_saveexec_b64 s[6:7], s[30:31]
; %bb.124:
	v_xor_b32_e32 v14, 0x80000000, v3
	v_xor_b32_e32 v13, 0x80000000, v2
	ds_write_b64 v7, v[13:14]
; %bb.125:
	s_or_b64 exec, exec, s[6:7]
	s_waitcnt lgkmcnt(0)
	s_barrier
	s_barrier
	s_and_saveexec_b64 s[6:7], s[22:23]
; %bb.126:
	v_lshlrev_b32_e32 v13, 3, v4
	v_lshl_or_b32 v13, v5, 9, v13
	ds_write_b64 v13, v[2:3] offset:30144
; %bb.127:
	s_or_b64 exec, exec, s[6:7]
	s_waitcnt lgkmcnt(0)
	s_barrier
	s_barrier
	s_and_saveexec_b64 s[6:7], s[38:39]
	s_cbranch_execz .LBB62_129
; %bb.128:
	v_lshlrev_b32_e32 v13, 3, v0
	s_movk_i32 s12, 0x1f8
	v_mad_u32_u24 v14, v0, s12, v13
	ds_read_b64 v[2:3], v14 offset:30144
	s_waitcnt lgkmcnt(0)
	ds_write_b64 v13, v[2:3] offset:29136
	ds_read_b64 v[2:3], v14 offset:30152
	s_waitcnt lgkmcnt(0)
	ds_write_b64 v13, v[2:3] offset:29648
.LBB62_129:
	s_or_b64 exec, exec, s[6:7]
	s_waitcnt lgkmcnt(0)
	s_barrier
	s_and_saveexec_b64 s[6:7], vcc
	s_cbranch_execz .LBB62_131
; %bb.130:
	v_mov_b32_e32 v15, 0
	ds_read_b64 v[2:3], v15 offset:29632
	s_mov_b64 s[12:13], 0x3f800000
	v_mov_b32_e32 v14, s13
	v_mov_b32_e32 v13, s12
	s_movk_i32 s12, 0x7000
	ds_write_b64 v15, v[13:14] offset:29640
	v_add_u32_e64 v15, s12, 0
	s_waitcnt lgkmcnt(1)
	ds_write2_b64 v15, v[13:14], v[2:3] offset0:56 offset1:57
.LBB62_131:
	s_or_b64 exec, exec, s[6:7]
	v_lshrrev_b32_e32 v15, 3, v9
	v_and_b32_e32 v13, 7, v0
	v_sub_u32_e32 v14, 7, v15
	v_cmp_lt_u32_e64 s[14:15], 63, v9
	v_cmp_gt_u32_e64 s[12:13], 64, v9
	v_mov_b32_e32 v3, 0
	v_mov_b32_e32 v2, 0
	s_waitcnt lgkmcnt(0)
	s_barrier
	buffer_wbinvl1_vol
	s_and_saveexec_b64 s[6:7], s[12:13]
	s_cbranch_execz .LBB62_141
; %bb.132:
	v_lshlrev_b32_e32 v16, 3, v13
	v_lshlrev_b32_e32 v17, 9, v14
	ds_read_b64 v[2:3], v16 offset:29056
	ds_read_b64 v[18:19], v17 offset:29120
	v_cmp_gt_u32_e64 s[18:19], 56, v9
	s_waitcnt lgkmcnt(0)
	v_mul_f32_e32 v20, v19, v3
	v_mul_f32_e32 v3, v18, v3
	v_fma_f32 v18, v18, v2, -v20
	v_fmac_f32_e32 v3, v19, v2
	v_add_f32_e32 v2, 0, v18
	v_add_f32_e32 v3, 0, v3
	s_and_saveexec_b64 s[20:21], s[18:19]
	s_cbranch_execnz .LBB62_1054
; %bb.133:
	s_or_b64 exec, exec, s[20:21]
	v_cmp_gt_u32_e64 s[18:19], 48, v9
	s_and_saveexec_b64 s[20:21], s[18:19]
	s_cbranch_execnz .LBB62_1055
.LBB62_134:
	s_or_b64 exec, exec, s[20:21]
	v_cmp_gt_u32_e64 s[18:19], 40, v9
	s_and_saveexec_b64 s[20:21], s[18:19]
	s_cbranch_execnz .LBB62_1056
.LBB62_135:
	s_or_b64 exec, exec, s[20:21]
	v_cmp_gt_u32_e64 s[18:19], 32, v9
	s_and_saveexec_b64 s[20:21], s[18:19]
	s_cbranch_execnz .LBB62_1057
.LBB62_136:
	s_or_b64 exec, exec, s[20:21]
	v_cmp_gt_u32_e64 s[18:19], 24, v9
	s_and_saveexec_b64 s[20:21], s[18:19]
	s_cbranch_execnz .LBB62_1058
.LBB62_137:
	s_or_b64 exec, exec, s[20:21]
	s_and_saveexec_b64 s[18:19], s[10:11]
	s_cbranch_execnz .LBB62_1059
.LBB62_138:
	s_or_b64 exec, exec, s[18:19]
	v_cmp_gt_u32_e64 s[18:19], 8, v9
	s_and_saveexec_b64 s[20:21], s[18:19]
	s_cbranch_execz .LBB62_140
.LBB62_139:
	v_lshlrev_b32_e32 v16, 3, v0
	v_mov_b32_e32 v18, 0
	ds_read_b64 v[16:17], v16 offset:32640
	ds_read_b64 v[18:19], v18 offset:32760
	s_waitcnt lgkmcnt(0)
	v_mul_f32_e32 v20, v19, v17
	v_mul_f32_e32 v17, v18, v17
	v_fma_f32 v18, v18, v16, -v20
	v_fmac_f32_e32 v17, v19, v16
	v_add_f32_e32 v2, v2, v18
	v_add_f32_e32 v3, v3, v17
.LBB62_140:
	s_or_b64 exec, exec, s[20:21]
.LBB62_141:
	s_or_b64 exec, exec, s[6:7]
	v_mov_b32_e32 v16, 0x8000
	v_cmp_eq_u32_e64 s[18:19], 7, v13
	s_xor_b64 s[6:7], s[14:15], -1
	v_lshl_add_u32 v15, v15, 3, v16
	s_and_b64 s[56:57], s[18:19], s[6:7]
	s_and_saveexec_b64 s[14:15], s[56:57]
; %bb.142:
	v_xor_b32_e32 v17, 0x80000000, v3
	v_xor_b32_e32 v16, 0x80000000, v2
	ds_write_b64 v15, v[16:17]
; %bb.143:
	s_or_b64 exec, exec, s[14:15]
	v_cmp_ne_u32_e64 s[14:15], 7, v13
	s_and_b64 s[58:59], s[14:15], s[6:7]
	s_waitcnt lgkmcnt(0)
	s_barrier
	s_and_saveexec_b64 s[14:15], s[58:59]
	s_cbranch_execz .LBB62_145
; %bb.144:
	v_lshlrev_b32_e32 v16, 3, v13
	ds_read_b64 v[16:17], v16 offset:28544
	ds_read_b64 v[18:19], v15
	s_waitcnt lgkmcnt(0)
	v_mul_f32_e32 v20, v19, v17
	v_mul_f32_e32 v17, v18, v17
	v_fma_f32 v18, v18, v16, -v20
	v_fmac_f32_e32 v17, v19, v16
	v_sub_f32_e32 v2, v2, v18
	v_sub_f32_e32 v3, v3, v17
.LBB62_145:
	s_or_b64 exec, exec, s[14:15]
	v_cmp_eq_u32_e64 s[14:15], 6, v13
	s_and_b64 s[60:61], s[14:15], s[6:7]
	s_barrier
	s_and_saveexec_b64 s[14:15], s[60:61]
; %bb.146:
	v_xor_b32_e32 v17, 0x80000000, v3
	v_xor_b32_e32 v16, 0x80000000, v2
	ds_write_b64 v15, v[16:17]
; %bb.147:
	s_or_b64 exec, exec, s[14:15]
	v_cmp_gt_u32_e64 s[14:15], 6, v13
	s_and_b64 s[62:63], s[14:15], s[6:7]
	s_waitcnt lgkmcnt(0)
	s_barrier
	s_and_saveexec_b64 s[14:15], s[62:63]
	s_cbranch_execz .LBB62_149
; %bb.148:
	v_lshlrev_b32_e32 v16, 3, v13
	ds_read_b64 v[16:17], v16 offset:28032
	ds_read_b64 v[18:19], v15
	s_waitcnt lgkmcnt(0)
	v_mul_f32_e32 v20, v19, v17
	v_mul_f32_e32 v17, v18, v17
	v_fma_f32 v18, v18, v16, -v20
	v_fmac_f32_e32 v17, v19, v16
	v_sub_f32_e32 v2, v2, v18
	v_sub_f32_e32 v3, v3, v17
.LBB62_149:
	s_or_b64 exec, exec, s[14:15]
	v_cmp_eq_u32_e64 s[14:15], 5, v13
	s_and_b64 s[64:65], s[14:15], s[6:7]
	s_barrier
	s_and_saveexec_b64 s[14:15], s[64:65]
; %bb.150:
	v_xor_b32_e32 v17, 0x80000000, v3
	v_xor_b32_e32 v16, 0x80000000, v2
	ds_write_b64 v15, v[16:17]
; %bb.151:
	s_or_b64 exec, exec, s[14:15]
	v_cmp_gt_u32_e64 s[14:15], 5, v13
	;; [unrolled: 29-line block ×5, first 2 shown]
	s_and_b64 s[78:79], s[14:15], s[6:7]
	s_waitcnt lgkmcnt(0)
	s_barrier
	s_and_saveexec_b64 s[14:15], s[78:79]
	s_cbranch_execz .LBB62_165
; %bb.164:
	v_lshlrev_b32_e32 v16, 3, v13
	ds_read_b64 v[16:17], v16 offset:25984
	ds_read_b64 v[18:19], v15
	s_waitcnt lgkmcnt(0)
	v_mul_f32_e32 v20, v19, v17
	v_mul_f32_e32 v17, v18, v17
	v_fma_f32 v18, v18, v16, -v20
	v_fmac_f32_e32 v17, v19, v16
	v_sub_f32_e32 v2, v2, v18
	v_sub_f32_e32 v3, v3, v17
.LBB62_165:
	s_or_b64 exec, exec, s[14:15]
	v_cmp_eq_u32_e64 s[14:15], 1, v13
	s_and_b64 s[80:81], s[14:15], s[6:7]
	s_barrier
	s_and_saveexec_b64 s[14:15], s[80:81]
; %bb.166:
	v_xor_b32_e32 v17, 0x80000000, v3
	v_xor_b32_e32 v16, 0x80000000, v2
	ds_write_b64 v15, v[16:17]
; %bb.167:
	s_or_b64 exec, exec, s[14:15]
	v_cmp_eq_u32_e64 s[14:15], 0, v13
	s_and_b64 s[54:55], s[14:15], s[6:7]
	s_waitcnt lgkmcnt(0)
	s_barrier
	s_and_saveexec_b64 s[6:7], s[54:55]
	s_cbranch_execz .LBB62_169
; %bb.168:
	v_mov_b32_e32 v16, 0
	ds_read_b64 v[16:17], v16 offset:25472
	ds_read_b64 v[18:19], v15
	s_waitcnt lgkmcnt(0)
	v_mul_f32_e32 v20, v19, v17
	v_mul_f32_e32 v17, v18, v17
	v_fma_f32 v18, v18, v16, -v20
	v_fmac_f32_e32 v17, v19, v16
	v_sub_f32_e32 v2, v2, v18
	v_sub_f32_e32 v3, v3, v17
.LBB62_169:
	s_or_b64 exec, exec, s[6:7]
	s_barrier
	s_and_saveexec_b64 s[6:7], s[54:55]
; %bb.170:
	v_xor_b32_e32 v17, 0x80000000, v3
	v_xor_b32_e32 v16, 0x80000000, v2
	ds_write_b64 v15, v[16:17]
; %bb.171:
	s_or_b64 exec, exec, s[6:7]
	s_waitcnt lgkmcnt(0)
	s_barrier
	s_barrier
	s_and_saveexec_b64 s[6:7], s[12:13]
; %bb.172:
	v_lshlrev_b32_e32 v16, 3, v13
	v_lshl_or_b32 v16, v14, 9, v16
	ds_write_b64 v16, v[2:3] offset:29056
; %bb.173:
	s_or_b64 exec, exec, s[6:7]
	v_cmp_gt_u32_e64 s[14:15], 8, v0
	s_and_b64 s[82:83], s[16:17], s[14:15]
	s_waitcnt lgkmcnt(0)
	s_barrier
	s_barrier
	s_and_saveexec_b64 s[6:7], s[82:83]
	s_cbranch_execz .LBB62_175
; %bb.174:
	v_lshlrev_b32_e32 v16, 9, v0
	ds_read_b64 v[2:3], v16 offset:29056
	s_movk_i32 s14, 0xfe08
	v_mad_i32_i24 v17, v0, s14, v16
	s_waitcnt lgkmcnt(0)
	ds_write_b64 v17, v[2:3] offset:25024
	ds_read_b64 v[2:3], v16 offset:29064
	s_waitcnt lgkmcnt(0)
	ds_write_b64 v17, v[2:3] offset:25536
	ds_read_b64 v[2:3], v16 offset:29072
	s_waitcnt lgkmcnt(0)
	ds_write_b64 v17, v[2:3] offset:26048
	ds_read_b64 v[2:3], v16 offset:29080
	s_waitcnt lgkmcnt(0)
	ds_write_b64 v17, v[2:3] offset:26560
	ds_read_b64 v[2:3], v16 offset:29088
	s_waitcnt lgkmcnt(0)
	ds_write_b64 v17, v[2:3] offset:27072
	ds_read_b64 v[2:3], v16 offset:29096
	s_waitcnt lgkmcnt(0)
	ds_write_b64 v17, v[2:3] offset:27584
	ds_read_b64 v[2:3], v16 offset:29104
	s_waitcnt lgkmcnt(0)
	ds_write_b64 v17, v[2:3] offset:28096
	ds_read_b64 v[2:3], v16 offset:29112
	s_waitcnt lgkmcnt(0)
	ds_write_b64 v17, v[2:3] offset:28608
.LBB62_175:
	s_or_b64 exec, exec, s[6:7]
	s_waitcnt lgkmcnt(0)
	s_barrier
	s_and_saveexec_b64 s[6:7], vcc
	s_cbranch_execz .LBB62_177
; %bb.176:
	v_mov_b32_e32 v18, 0
	ds_read_b64 v[2:3], v18 offset:28592
	s_mov_b64 s[14:15], 0x3f800000
	v_mov_b32_e32 v17, s15
	v_mov_b32_e32 v16, s14
	s_movk_i32 s14, 0x6800
	ds_write_b64 v18, v[16:17] offset:28600
	v_add_u32_e64 v18, s14, 0
	s_waitcnt lgkmcnt(1)
	ds_write2_b64 v18, v[16:17], v[2:3] offset0:182 offset1:183
.LBB62_177:
	s_or_b64 exec, exec, s[6:7]
	v_mov_b32_e32 v2, 0
	v_mov_b32_e32 v3, 0
	s_waitcnt lgkmcnt(0)
	s_barrier
	buffer_wbinvl1_vol
	s_and_saveexec_b64 s[6:7], s[22:23]
	s_cbranch_execz .LBB62_181
; %bb.178:
	v_lshlrev_b32_e32 v2, 3, v4
	v_lshlrev_b32_e32 v16, 9, v5
	ds_read_b64 v[2:3], v2 offset:28064
	ds_read_b64 v[16:17], v16 offset:28080
	v_cmp_gt_u32_e64 s[14:15], 2, v9
	s_waitcnt lgkmcnt(0)
	v_mul_f32_e32 v18, v17, v3
	v_mul_f32_e32 v3, v16, v3
	v_fma_f32 v16, v16, v2, -v18
	v_fmac_f32_e32 v3, v17, v2
	v_add_f32_e32 v2, 0, v16
	v_add_f32_e32 v3, 0, v3
	s_and_saveexec_b64 s[18:19], s[14:15]
	s_cbranch_execz .LBB62_180
; %bb.179:
	v_lshlrev_b32_e32 v16, 3, v0
	v_mov_b32_e32 v18, 0
	ds_read_b64 v[16:17], v16 offset:28576
	ds_read_b64 v[18:19], v18 offset:28600
	s_waitcnt lgkmcnt(0)
	v_mul_f32_e32 v20, v19, v17
	v_mul_f32_e32 v17, v18, v17
	v_fma_f32 v18, v18, v16, -v20
	v_fmac_f32_e32 v17, v19, v16
	v_add_f32_e32 v2, v2, v18
	v_add_f32_e32 v3, v3, v17
.LBB62_180:
	s_or_b64 exec, exec, s[18:19]
.LBB62_181:
	s_or_b64 exec, exec, s[6:7]
	s_and_saveexec_b64 s[6:7], s[36:37]
; %bb.182:
	v_xor_b32_e32 v17, 0x80000000, v3
	v_xor_b32_e32 v16, 0x80000000, v2
	ds_write_b64 v7, v[16:17]
; %bb.183:
	s_or_b64 exec, exec, s[6:7]
	s_waitcnt lgkmcnt(0)
	s_barrier
	s_and_saveexec_b64 s[6:7], s[30:31]
	s_cbranch_execz .LBB62_185
; %bb.184:
	v_mov_b32_e32 v16, 0
	ds_read_b64 v[16:17], v16 offset:27552
	ds_read_b64 v[18:19], v7
	s_waitcnt lgkmcnt(0)
	v_mul_f32_e32 v20, v18, v16
	v_mul_f32_e32 v18, v18, v17
	v_fmac_f32_e32 v18, v19, v16
	v_fma_f32 v16, v19, v17, -v20
	v_add_f32_e32 v2, v2, v16
	v_sub_f32_e32 v3, v3, v18
.LBB62_185:
	s_or_b64 exec, exec, s[6:7]
	s_barrier
	s_and_saveexec_b64 s[6:7], s[30:31]
; %bb.186:
	v_xor_b32_e32 v17, 0x80000000, v3
	v_xor_b32_e32 v16, 0x80000000, v2
	ds_write_b64 v7, v[16:17]
; %bb.187:
	s_or_b64 exec, exec, s[6:7]
	s_waitcnt lgkmcnt(0)
	s_barrier
	s_barrier
	s_and_saveexec_b64 s[6:7], s[22:23]
; %bb.188:
	v_lshlrev_b32_e32 v16, 3, v4
	v_lshl_or_b32 v16, v5, 9, v16
	ds_write_b64 v16, v[2:3] offset:28064
; %bb.189:
	s_or_b64 exec, exec, s[6:7]
	s_waitcnt lgkmcnt(0)
	s_barrier
	s_barrier
	s_and_saveexec_b64 s[6:7], s[38:39]
	s_cbranch_execz .LBB62_191
; %bb.190:
	v_lshlrev_b32_e32 v16, 3, v0
	s_movk_i32 s14, 0x1f8
	v_mad_u32_u24 v17, v0, s14, v16
	ds_read_b64 v[2:3], v17 offset:28064
	s_waitcnt lgkmcnt(0)
	ds_write_b64 v16, v[2:3] offset:27056
	ds_read_b64 v[2:3], v17 offset:28072
	s_waitcnt lgkmcnt(0)
	ds_write_b64 v16, v[2:3] offset:27568
.LBB62_191:
	s_or_b64 exec, exec, s[6:7]
	s_waitcnt lgkmcnt(0)
	s_barrier
	s_and_saveexec_b64 s[6:7], vcc
	s_cbranch_execz .LBB62_193
; %bb.192:
	v_mov_b32_e32 v18, 0
	ds_read_b64 v[2:3], v18 offset:27552
	s_mov_b64 s[14:15], 0x3f800000
	v_mov_b32_e32 v17, s15
	v_mov_b32_e32 v16, s14
	s_movk_i32 s14, 0x6800
	ds_write_b64 v18, v[16:17] offset:27560
	v_add_u32_e64 v18, s14, 0
	s_waitcnt lgkmcnt(1)
	ds_write2_b64 v18, v[16:17], v[2:3] offset0:52 offset1:53
.LBB62_193:
	s_or_b64 exec, exec, s[6:7]
	v_mov_b32_e32 v3, 0
	v_mov_b32_e32 v2, 0
	s_waitcnt lgkmcnt(0)
	s_barrier
	buffer_wbinvl1_vol
	s_and_saveexec_b64 s[6:7], s[10:11]
	s_cbranch_execz .LBB62_199
; %bb.194:
	v_lshlrev_b32_e32 v16, 3, v10
	v_lshlrev_b32_e32 v17, 9, v11
	ds_read_b64 v[2:3], v16 offset:27008
	ds_read_b64 v[18:19], v17 offset:27040
	v_cmp_gt_u32_e64 s[14:15], 12, v9
	s_waitcnt lgkmcnt(0)
	v_mul_f32_e32 v20, v19, v3
	v_mul_f32_e32 v3, v18, v3
	v_fma_f32 v18, v18, v2, -v20
	v_fmac_f32_e32 v3, v19, v2
	v_add_f32_e32 v2, 0, v18
	v_add_f32_e32 v3, 0, v3
	s_and_saveexec_b64 s[18:19], s[14:15]
	s_cbranch_execnz .LBB62_1060
; %bb.195:
	s_or_b64 exec, exec, s[18:19]
	v_cmp_gt_u32_e64 s[14:15], 8, v9
	s_and_saveexec_b64 s[18:19], s[14:15]
	s_cbranch_execnz .LBB62_1061
.LBB62_196:
	s_or_b64 exec, exec, s[18:19]
	v_cmp_gt_u32_e64 s[14:15], 4, v9
	s_and_saveexec_b64 s[18:19], s[14:15]
	s_cbranch_execz .LBB62_198
.LBB62_197:
	v_lshlrev_b32_e32 v16, 3, v0
	v_mov_b32_e32 v18, 0
	ds_read_b64 v[16:17], v16 offset:28544
	ds_read_b64 v[18:19], v18 offset:28600
	s_waitcnt lgkmcnt(0)
	v_mul_f32_e32 v20, v19, v17
	v_mul_f32_e32 v17, v18, v17
	v_fma_f32 v18, v18, v16, -v20
	v_fmac_f32_e32 v17, v19, v16
	v_add_f32_e32 v2, v2, v18
	v_add_f32_e32 v3, v3, v17
.LBB62_198:
	s_or_b64 exec, exec, s[18:19]
.LBB62_199:
	s_or_b64 exec, exec, s[6:7]
	s_and_saveexec_b64 s[6:7], s[42:43]
; %bb.200:
	v_xor_b32_e32 v16, 0x80000000, v2
	v_xor_b32_e32 v17, 0x80000000, v3
	ds_write_b64 v12, v[16:17]
; %bb.201:
	s_or_b64 exec, exec, s[6:7]
	s_waitcnt lgkmcnt(0)
	s_barrier
	s_and_saveexec_b64 s[6:7], s[44:45]
	s_cbranch_execz .LBB62_203
; %bb.202:
	v_lshlrev_b32_e32 v16, 3, v10
	ds_read_b64 v[16:17], v16 offset:26496
	ds_read_b64 v[18:19], v12
	s_waitcnt lgkmcnt(0)
	v_mul_f32_e32 v20, v19, v17
	v_mul_f32_e32 v17, v18, v17
	v_fma_f32 v18, v18, v16, -v20
	v_fmac_f32_e32 v17, v19, v16
	v_sub_f32_e32 v2, v2, v18
	v_sub_f32_e32 v3, v3, v17
.LBB62_203:
	s_or_b64 exec, exec, s[6:7]
	s_barrier
	s_and_saveexec_b64 s[6:7], s[46:47]
; %bb.204:
	v_xor_b32_e32 v16, 0x80000000, v2
	v_xor_b32_e32 v17, 0x80000000, v3
	ds_write_b64 v12, v[16:17]
; %bb.205:
	s_or_b64 exec, exec, s[6:7]
	s_waitcnt lgkmcnt(0)
	s_barrier
	s_and_saveexec_b64 s[6:7], s[48:49]
	s_cbranch_execz .LBB62_207
; %bb.206:
	v_lshlrev_b32_e32 v16, 3, v10
	ds_read_b64 v[16:17], v16 offset:25984
	ds_read_b64 v[18:19], v12
	s_waitcnt lgkmcnt(0)
	v_mul_f32_e32 v20, v19, v17
	v_mul_f32_e32 v17, v18, v17
	v_fma_f32 v18, v18, v16, -v20
	v_fmac_f32_e32 v17, v19, v16
	v_sub_f32_e32 v2, v2, v18
	v_sub_f32_e32 v3, v3, v17
.LBB62_207:
	s_or_b64 exec, exec, s[6:7]
	s_barrier
	s_and_saveexec_b64 s[6:7], s[50:51]
; %bb.208:
	v_xor_b32_e32 v16, 0x80000000, v2
	v_xor_b32_e32 v17, 0x80000000, v3
	ds_write_b64 v12, v[16:17]
; %bb.209:
	s_or_b64 exec, exec, s[6:7]
	s_waitcnt lgkmcnt(0)
	s_barrier
	s_and_saveexec_b64 s[6:7], s[40:41]
	s_cbranch_execz .LBB62_211
; %bb.210:
	v_mov_b32_e32 v16, 0
	ds_read_b64 v[16:17], v16 offset:25472
	ds_read_b64 v[18:19], v12
	s_waitcnt lgkmcnt(0)
	v_mul_f32_e32 v20, v19, v17
	v_mul_f32_e32 v17, v18, v17
	v_fma_f32 v18, v18, v16, -v20
	v_fmac_f32_e32 v17, v19, v16
	v_sub_f32_e32 v2, v2, v18
	v_sub_f32_e32 v3, v3, v17
.LBB62_211:
	s_or_b64 exec, exec, s[6:7]
	s_barrier
	s_and_saveexec_b64 s[6:7], s[40:41]
; %bb.212:
	v_xor_b32_e32 v16, 0x80000000, v2
	v_xor_b32_e32 v17, 0x80000000, v3
	ds_write_b64 v12, v[16:17]
; %bb.213:
	s_or_b64 exec, exec, s[6:7]
	s_waitcnt lgkmcnt(0)
	s_barrier
	s_barrier
	s_and_saveexec_b64 s[6:7], s[10:11]
; %bb.214:
	v_lshlrev_b32_e32 v16, 3, v10
	v_lshl_or_b32 v16, v11, 9, v16
	ds_write_b64 v16, v[2:3] offset:27008
; %bb.215:
	s_or_b64 exec, exec, s[6:7]
	s_waitcnt lgkmcnt(0)
	s_barrier
	s_barrier
	s_and_saveexec_b64 s[6:7], s[52:53]
	s_cbranch_execz .LBB62_217
; %bb.216:
	v_lshlrev_b32_e32 v16, 9, v0
	ds_read_b64 v[2:3], v16 offset:27008
	s_movk_i32 s14, 0xfe08
	v_mad_i32_i24 v17, v0, s14, v16
	s_waitcnt lgkmcnt(0)
	ds_write_b64 v17, v[2:3] offset:24992
	ds_read_b64 v[2:3], v16 offset:27016
	s_waitcnt lgkmcnt(0)
	ds_write_b64 v17, v[2:3] offset:25504
	ds_read_b64 v[2:3], v16 offset:27024
	;; [unrolled: 3-line block ×3, first 2 shown]
	s_waitcnt lgkmcnt(0)
	ds_write_b64 v17, v[2:3] offset:26528
.LBB62_217:
	s_or_b64 exec, exec, s[6:7]
	s_waitcnt lgkmcnt(0)
	s_barrier
	s_and_saveexec_b64 s[6:7], vcc
	s_cbranch_execz .LBB62_219
; %bb.218:
	v_mov_b32_e32 v18, 0
	ds_read_b64 v[2:3], v18 offset:26512
	s_mov_b64 s[14:15], 0x3f800000
	v_mov_b32_e32 v17, s15
	v_mov_b32_e32 v16, s14
	s_movk_i32 s14, 0x6000
	ds_write_b64 v18, v[16:17] offset:26520
	v_add_u32_e64 v18, s14, 0
	s_waitcnt lgkmcnt(1)
	ds_write2_b64 v18, v[16:17], v[2:3] offset0:178 offset1:179
.LBB62_219:
	s_or_b64 exec, exec, s[6:7]
	v_mov_b32_e32 v2, 0
	v_mov_b32_e32 v3, 0
	s_waitcnt lgkmcnt(0)
	s_barrier
	buffer_wbinvl1_vol
	s_and_saveexec_b64 s[6:7], s[22:23]
	s_cbranch_execz .LBB62_223
; %bb.220:
	v_lshlrev_b32_e32 v2, 3, v4
	v_lshlrev_b32_e32 v16, 9, v5
	ds_read_b64 v[2:3], v2 offset:25984
	ds_read_b64 v[16:17], v16 offset:26000
	v_cmp_gt_u32_e64 s[14:15], 2, v9
	s_waitcnt lgkmcnt(0)
	v_mul_f32_e32 v18, v17, v3
	v_mul_f32_e32 v3, v16, v3
	v_fma_f32 v16, v16, v2, -v18
	v_fmac_f32_e32 v3, v17, v2
	v_add_f32_e32 v2, 0, v16
	v_add_f32_e32 v3, 0, v3
	s_and_saveexec_b64 s[18:19], s[14:15]
	s_cbranch_execz .LBB62_222
; %bb.221:
	v_lshlrev_b32_e32 v16, 3, v0
	v_mov_b32_e32 v18, 0
	ds_read_b64 v[16:17], v16 offset:26496
	ds_read_b64 v[18:19], v18 offset:26520
	s_waitcnt lgkmcnt(0)
	v_mul_f32_e32 v20, v19, v17
	v_mul_f32_e32 v17, v18, v17
	v_fma_f32 v18, v18, v16, -v20
	v_fmac_f32_e32 v17, v19, v16
	v_add_f32_e32 v2, v2, v18
	v_add_f32_e32 v3, v3, v17
.LBB62_222:
	s_or_b64 exec, exec, s[18:19]
.LBB62_223:
	s_or_b64 exec, exec, s[6:7]
	s_and_saveexec_b64 s[6:7], s[36:37]
; %bb.224:
	v_xor_b32_e32 v17, 0x80000000, v3
	v_xor_b32_e32 v16, 0x80000000, v2
	ds_write_b64 v7, v[16:17]
; %bb.225:
	s_or_b64 exec, exec, s[6:7]
	s_waitcnt lgkmcnt(0)
	s_barrier
	s_and_saveexec_b64 s[6:7], s[30:31]
	s_cbranch_execz .LBB62_227
; %bb.226:
	v_mov_b32_e32 v16, 0
	ds_read_b64 v[16:17], v16 offset:25472
	ds_read_b64 v[18:19], v7
	s_waitcnt lgkmcnt(0)
	v_mul_f32_e32 v20, v18, v16
	v_mul_f32_e32 v18, v18, v17
	v_fmac_f32_e32 v18, v19, v16
	v_fma_f32 v16, v19, v17, -v20
	v_add_f32_e32 v2, v2, v16
	v_sub_f32_e32 v3, v3, v18
.LBB62_227:
	s_or_b64 exec, exec, s[6:7]
	s_barrier
	s_and_saveexec_b64 s[6:7], s[30:31]
; %bb.228:
	v_xor_b32_e32 v17, 0x80000000, v3
	v_xor_b32_e32 v16, 0x80000000, v2
	ds_write_b64 v7, v[16:17]
; %bb.229:
	s_or_b64 exec, exec, s[6:7]
	s_waitcnt lgkmcnt(0)
	s_barrier
	s_barrier
	s_and_saveexec_b64 s[6:7], s[22:23]
; %bb.230:
	v_lshlrev_b32_e32 v16, 3, v4
	v_lshl_or_b32 v16, v5, 9, v16
	ds_write_b64 v16, v[2:3] offset:25984
; %bb.231:
	s_or_b64 exec, exec, s[6:7]
	s_waitcnt lgkmcnt(0)
	s_barrier
	s_barrier
	s_and_saveexec_b64 s[6:7], s[38:39]
	s_cbranch_execz .LBB62_233
; %bb.232:
	v_lshlrev_b32_e32 v16, 3, v0
	s_movk_i32 s14, 0x1f8
	v_mad_u32_u24 v17, v0, s14, v16
	ds_read_b64 v[2:3], v17 offset:25984
	s_waitcnt lgkmcnt(0)
	ds_write_b64 v16, v[2:3] offset:24976
	ds_read_b64 v[2:3], v17 offset:25992
	s_waitcnt lgkmcnt(0)
	ds_write_b64 v16, v[2:3] offset:25488
.LBB62_233:
	s_or_b64 exec, exec, s[6:7]
	s_waitcnt lgkmcnt(0)
	s_barrier
	s_and_saveexec_b64 s[6:7], vcc
	s_cbranch_execz .LBB62_235
; %bb.234:
	v_mov_b32_e32 v18, 0
	ds_read_b64 v[2:3], v18 offset:25472
	s_mov_b64 s[14:15], 0x3f800000
	v_mov_b32_e32 v17, s15
	v_mov_b32_e32 v16, s14
	s_movk_i32 s14, 0x6000
	ds_write_b64 v18, v[16:17] offset:25480
	v_add_u32_e64 v18, s14, 0
	s_waitcnt lgkmcnt(1)
	ds_write2_b64 v18, v[16:17], v[2:3] offset0:48 offset1:49
.LBB62_235:
	s_or_b64 exec, exec, s[6:7]
	s_movk_i32 s6, 0xff
	v_lshrrev_b32_e32 v18, 4, v9
	v_cmp_lt_u32_e64 s[18:19], s6, v9
	s_movk_i32 s6, 0x100
	v_and_b32_e32 v16, 15, v0
	v_sub_u32_e32 v17, 15, v18
	v_cmp_gt_u32_e64 s[14:15], s6, v9
	v_mov_b32_e32 v3, 0
	v_mov_b32_e32 v2, 0
	s_waitcnt lgkmcnt(0)
	s_barrier
	buffer_wbinvl1_vol
	s_and_saveexec_b64 s[6:7], s[14:15]
	s_cbranch_execz .LBB62_263
; %bb.236:
	v_lshlrev_b32_e32 v19, 3, v16
	v_lshlrev_b32_e32 v20, 9, v17
	ds_read_b64 v[2:3], v19 offset:24832
	ds_read_b64 v[21:22], v20 offset:24960
	s_movk_i32 s20, 0xf0
	v_cmp_gt_u32_e64 s[20:21], s20, v9
	s_waitcnt lgkmcnt(0)
	v_mul_f32_e32 v23, v22, v3
	v_mul_f32_e32 v3, v21, v3
	v_fma_f32 v21, v21, v2, -v23
	v_fmac_f32_e32 v3, v22, v2
	v_add_f32_e32 v2, 0, v21
	v_add_f32_e32 v3, 0, v3
	s_and_saveexec_b64 s[24:25], s[20:21]
	s_cbranch_execz .LBB62_238
; %bb.237:
	ds_read_b64 v[21:22], v19 offset:25344
	ds_read_b64 v[23:24], v20 offset:24968
	s_waitcnt lgkmcnt(0)
	v_mul_f32_e32 v25, v24, v22
	v_mul_f32_e32 v22, v23, v22
	v_fma_f32 v23, v23, v21, -v25
	v_fmac_f32_e32 v22, v24, v21
	v_add_f32_e32 v2, v2, v23
	v_add_f32_e32 v3, v3, v22
.LBB62_238:
	s_or_b64 exec, exec, s[24:25]
	s_movk_i32 s20, 0xe0
	v_cmp_gt_u32_e64 s[20:21], s20, v9
	s_and_saveexec_b64 s[24:25], s[20:21]
	s_cbranch_execz .LBB62_240
; %bb.239:
	ds_read_b64 v[21:22], v19 offset:25856
	ds_read_b64 v[23:24], v20 offset:24976
	s_waitcnt lgkmcnt(0)
	v_mul_f32_e32 v25, v24, v22
	v_mul_f32_e32 v22, v23, v22
	v_fma_f32 v23, v23, v21, -v25
	v_fmac_f32_e32 v22, v24, v21
	v_add_f32_e32 v2, v2, v23
	v_add_f32_e32 v3, v3, v22
.LBB62_240:
	s_or_b64 exec, exec, s[24:25]
	s_movk_i32 s20, 0xd0
	v_cmp_gt_u32_e64 s[20:21], s20, v9
	;; [unrolled: 16-line block ×10, first 2 shown]
	s_and_saveexec_b64 s[24:25], s[20:21]
	s_cbranch_execnz .LBB62_1062
; %bb.257:
	s_or_b64 exec, exec, s[24:25]
	s_and_saveexec_b64 s[20:21], s[12:13]
	s_cbranch_execnz .LBB62_1063
.LBB62_258:
	s_or_b64 exec, exec, s[20:21]
	v_cmp_gt_u32_e64 s[20:21], 48, v9
	s_and_saveexec_b64 s[24:25], s[20:21]
	s_cbranch_execnz .LBB62_1064
.LBB62_259:
	s_or_b64 exec, exec, s[24:25]
	v_cmp_gt_u32_e64 s[20:21], 32, v9
	s_and_saveexec_b64 s[24:25], s[20:21]
	s_cbranch_execnz .LBB62_1065
.LBB62_260:
	s_or_b64 exec, exec, s[24:25]
	v_cmp_gt_u32_e64 s[20:21], 16, v9
	s_and_saveexec_b64 s[24:25], s[20:21]
	s_cbranch_execz .LBB62_262
.LBB62_261:
	v_lshlrev_b32_e32 v19, 3, v0
	v_mov_b32_e32 v21, 0
	ds_read_b64 v[19:20], v19 offset:32512
	ds_read_b64 v[21:22], v21 offset:32760
	s_waitcnt lgkmcnt(0)
	v_mul_f32_e32 v23, v22, v20
	v_mul_f32_e32 v20, v21, v20
	v_fma_f32 v21, v21, v19, -v23
	v_fmac_f32_e32 v20, v22, v19
	v_add_f32_e32 v2, v2, v21
	v_add_f32_e32 v3, v3, v20
.LBB62_262:
	s_or_b64 exec, exec, s[24:25]
.LBB62_263:
	s_or_b64 exec, exec, s[6:7]
	v_mov_b32_e32 v19, 0x8000
	v_lshl_add_u32 v18, v18, 3, v19
	v_cmp_eq_u32_e64 s[20:21], 15, v16
	s_xor_b64 s[24:25], s[18:19], -1
	s_and_b64 s[18:19], s[20:21], s[24:25]
	s_mov_b64 s[6:7], exec
	v_writelane_b32 v29, s18, 2
	v_writelane_b32 v29, s19, 3
	s_and_b64 s[18:19], s[6:7], s[18:19]
	s_mov_b64 exec, s[18:19]
; %bb.264:
	v_xor_b32_e32 v19, 0x80000000, v2
	v_xor_b32_e32 v20, 0x80000000, v3
	ds_write_b64 v18, v[19:20]
; %bb.265:
	s_or_b64 exec, exec, s[6:7]
	v_cmp_ne_u32_e64 s[18:19], 15, v16
	s_waitcnt lgkmcnt(0)
	s_barrier
	s_and_b64 s[18:19], s[18:19], s[24:25]
	s_mov_b64 s[6:7], exec
	v_writelane_b32 v29, s18, 4
	v_writelane_b32 v29, s19, 5
	s_and_b64 s[18:19], s[6:7], s[18:19]
	s_mov_b64 exec, s[18:19]
	s_cbranch_execz .LBB62_267
; %bb.266:
	v_lshlrev_b32_e32 v19, 3, v16
	ds_read_b64 v[19:20], v19 offset:24320
	ds_read_b64 v[21:22], v18
	s_waitcnt lgkmcnt(0)
	v_mul_f32_e32 v23, v22, v20
	v_mul_f32_e32 v20, v21, v20
	v_fma_f32 v21, v21, v19, -v23
	v_fmac_f32_e32 v20, v22, v19
	v_sub_f32_e32 v2, v2, v21
	v_sub_f32_e32 v3, v3, v20
.LBB62_267:
	s_or_b64 exec, exec, s[6:7]
	v_cmp_eq_u32_e64 s[18:19], 14, v16
	s_barrier
	s_and_b64 s[18:19], s[18:19], s[24:25]
	s_mov_b64 s[6:7], exec
	v_writelane_b32 v29, s18, 6
	v_writelane_b32 v29, s19, 7
	s_and_b64 s[18:19], s[6:7], s[18:19]
	s_mov_b64 exec, s[18:19]
; %bb.268:
	v_xor_b32_e32 v19, 0x80000000, v2
	v_xor_b32_e32 v20, 0x80000000, v3
	ds_write_b64 v18, v[19:20]
; %bb.269:
	s_or_b64 exec, exec, s[6:7]
	v_cmp_gt_u32_e64 s[18:19], 14, v16
	s_waitcnt lgkmcnt(0)
	s_barrier
	s_and_b64 s[18:19], s[18:19], s[24:25]
	s_mov_b64 s[6:7], exec
	v_writelane_b32 v29, s18, 8
	v_writelane_b32 v29, s19, 9
	s_and_b64 s[18:19], s[6:7], s[18:19]
	s_mov_b64 exec, s[18:19]
	s_cbranch_execz .LBB62_271
; %bb.270:
	v_lshlrev_b32_e32 v19, 3, v16
	ds_read_b64 v[19:20], v19 offset:23808
	ds_read_b64 v[21:22], v18
	s_waitcnt lgkmcnt(0)
	v_mul_f32_e32 v23, v22, v20
	v_mul_f32_e32 v20, v21, v20
	v_fma_f32 v21, v21, v19, -v23
	v_fmac_f32_e32 v20, v22, v19
	v_sub_f32_e32 v2, v2, v21
	v_sub_f32_e32 v3, v3, v20
.LBB62_271:
	s_or_b64 exec, exec, s[6:7]
	v_cmp_eq_u32_e64 s[18:19], 13, v16
	s_barrier
	s_and_b64 s[18:19], s[18:19], s[24:25]
	s_mov_b64 s[6:7], exec
	v_writelane_b32 v29, s18, 10
	v_writelane_b32 v29, s19, 11
	s_and_b64 s[18:19], s[6:7], s[18:19]
	s_mov_b64 exec, s[18:19]
; %bb.272:
	v_xor_b32_e32 v19, 0x80000000, v2
	v_xor_b32_e32 v20, 0x80000000, v3
	ds_write_b64 v18, v[19:20]
; %bb.273:
	s_or_b64 exec, exec, s[6:7]
	v_cmp_gt_u32_e64 s[18:19], 13, v16
	;; [unrolled: 37-line block ×11, first 2 shown]
	s_waitcnt lgkmcnt(0)
	s_barrier
	s_and_b64 s[18:19], s[18:19], s[24:25]
	s_mov_b64 s[6:7], exec
	v_writelane_b32 v29, s18, 48
	v_writelane_b32 v29, s19, 49
	s_and_b64 s[18:19], s[6:7], s[18:19]
	s_mov_b64 exec, s[18:19]
	s_cbranch_execz .LBB62_311
; %bb.310:
	v_lshlrev_b32_e32 v19, 3, v16
	ds_read_b64 v[19:20], v19 offset:18688
	ds_read_b64 v[21:22], v18
	s_waitcnt lgkmcnt(0)
	v_mul_f32_e32 v23, v22, v20
	v_mul_f32_e32 v20, v21, v20
	v_fma_f32 v21, v21, v19, -v23
	v_fmac_f32_e32 v20, v22, v19
	v_sub_f32_e32 v2, v2, v21
	v_sub_f32_e32 v3, v3, v20
.LBB62_311:
	s_or_b64 exec, exec, s[6:7]
	v_cmp_eq_u32_e64 s[18:19], 3, v16
	s_and_b64 s[6:7], s[18:19], s[24:25]
	s_barrier
	s_and_saveexec_b64 s[18:19], s[6:7]
; %bb.312:
	v_xor_b32_e32 v19, 0x80000000, v2
	v_xor_b32_e32 v20, 0x80000000, v3
	ds_write_b64 v18, v[19:20]
; %bb.313:
	s_or_b64 exec, exec, s[18:19]
	v_cmp_gt_u32_e64 s[18:19], 3, v16
	s_waitcnt lgkmcnt(0)
	s_barrier
	s_and_b64 s[20:21], s[18:19], s[24:25]
	s_mov_b64 s[18:19], exec
	v_writelane_b32 v29, s20, 50
	v_writelane_b32 v29, s21, 51
	s_and_b64 s[20:21], s[18:19], s[20:21]
	s_mov_b64 exec, s[20:21]
	s_cbranch_execz .LBB62_315
; %bb.314:
	v_lshlrev_b32_e32 v19, 3, v16
	ds_read_b64 v[19:20], v19 offset:18176
	ds_read_b64 v[21:22], v18
	s_waitcnt lgkmcnt(0)
	v_mul_f32_e32 v23, v22, v20
	v_mul_f32_e32 v20, v21, v20
	v_fma_f32 v21, v21, v19, -v23
	v_fmac_f32_e32 v20, v22, v19
	v_sub_f32_e32 v2, v2, v21
	v_sub_f32_e32 v3, v3, v20
.LBB62_315:
	s_or_b64 exec, exec, s[18:19]
	v_cmp_eq_u32_e64 s[18:19], 2, v16
	s_and_b64 s[84:85], s[18:19], s[24:25]
	s_barrier
	s_and_saveexec_b64 s[18:19], s[84:85]
; %bb.316:
	v_xor_b32_e32 v19, 0x80000000, v2
	v_xor_b32_e32 v20, 0x80000000, v3
	ds_write_b64 v18, v[19:20]
; %bb.317:
	s_or_b64 exec, exec, s[18:19]
	v_cmp_gt_u32_e64 s[18:19], 2, v16
	s_and_b64 s[86:87], s[18:19], s[24:25]
	s_waitcnt lgkmcnt(0)
	s_barrier
	s_and_saveexec_b64 s[18:19], s[86:87]
	s_cbranch_execz .LBB62_319
; %bb.318:
	v_lshlrev_b32_e32 v19, 3, v16
	ds_read_b64 v[19:20], v19 offset:17664
	ds_read_b64 v[21:22], v18
	s_waitcnt lgkmcnt(0)
	v_mul_f32_e32 v23, v22, v20
	v_mul_f32_e32 v20, v21, v20
	v_fma_f32 v21, v21, v19, -v23
	v_fmac_f32_e32 v20, v22, v19
	v_sub_f32_e32 v2, v2, v21
	v_sub_f32_e32 v3, v3, v20
.LBB62_319:
	s_or_b64 exec, exec, s[18:19]
	v_cmp_eq_u32_e64 s[18:19], 1, v16
	s_and_b64 s[90:91], s[18:19], s[24:25]
	s_barrier
	s_and_saveexec_b64 s[18:19], s[90:91]
; %bb.320:
	v_xor_b32_e32 v19, 0x80000000, v2
	v_xor_b32_e32 v20, 0x80000000, v3
	ds_write_b64 v18, v[19:20]
; %bb.321:
	s_or_b64 exec, exec, s[18:19]
	v_cmp_eq_u32_e64 s[18:19], 0, v16
	s_and_b64 s[88:89], s[18:19], s[24:25]
	s_waitcnt lgkmcnt(0)
	s_barrier
	s_and_saveexec_b64 s[18:19], s[88:89]
	s_cbranch_execz .LBB62_323
; %bb.322:
	v_mov_b32_e32 v19, 0
	ds_read_b64 v[19:20], v19 offset:17152
	ds_read_b64 v[21:22], v18
	s_waitcnt lgkmcnt(0)
	v_mul_f32_e32 v23, v22, v20
	v_mul_f32_e32 v20, v21, v20
	v_fma_f32 v21, v21, v19, -v23
	v_fmac_f32_e32 v20, v22, v19
	v_sub_f32_e32 v2, v2, v21
	v_sub_f32_e32 v3, v3, v20
.LBB62_323:
	s_or_b64 exec, exec, s[18:19]
	s_barrier
	s_and_saveexec_b64 s[18:19], s[88:89]
; %bb.324:
	v_xor_b32_e32 v19, 0x80000000, v2
	v_xor_b32_e32 v20, 0x80000000, v3
	ds_write_b64 v18, v[19:20]
; %bb.325:
	s_or_b64 exec, exec, s[18:19]
	s_waitcnt lgkmcnt(0)
	s_barrier
	s_barrier
	s_and_saveexec_b64 s[18:19], s[14:15]
; %bb.326:
	v_lshlrev_b32_e32 v19, 3, v16
	v_lshl_or_b32 v19, v17, 9, v19
	ds_write_b64 v19, v[2:3] offset:24832
; %bb.327:
	s_or_b64 exec, exec, s[18:19]
	v_cmp_gt_u32_e64 s[18:19], 16, v0
	s_and_b64 s[92:93], s[16:17], s[18:19]
	s_waitcnt lgkmcnt(0)
	s_barrier
	s_barrier
	s_and_saveexec_b64 s[18:19], s[92:93]
	s_cbranch_execz .LBB62_329
; %bb.328:
	v_lshlrev_b32_e32 v19, 9, v0
	ds_read_b64 v[2:3], v19 offset:24832
	s_movk_i32 s20, 0xfe08
	v_mad_i32_i24 v20, v0, s20, v19
	s_waitcnt lgkmcnt(0)
	ds_write_b64 v20, v[2:3] offset:16768
	ds_read_b64 v[2:3], v19 offset:24840
	s_waitcnt lgkmcnt(0)
	ds_write_b64 v20, v[2:3] offset:17280
	ds_read_b64 v[2:3], v19 offset:24848
	;; [unrolled: 3-line block ×15, first 2 shown]
	s_waitcnt lgkmcnt(0)
	ds_write_b64 v20, v[2:3] offset:24448
.LBB62_329:
	s_or_b64 exec, exec, s[18:19]
	s_waitcnt lgkmcnt(0)
	s_barrier
	s_and_saveexec_b64 s[18:19], vcc
	s_cbranch_execz .LBB62_331
; %bb.330:
	v_mov_b32_e32 v21, 0
	ds_read_b64 v[2:3], v21 offset:24432
	s_mov_b64 s[20:21], 0x3f800000
	v_mov_b32_e32 v19, s20
	v_mov_b32_e32 v20, s21
	s_movk_i32 s20, 0x5800
	ds_write_b64 v21, v[19:20] offset:24440
	v_add_u32_e64 v21, s20, 0
	s_waitcnt lgkmcnt(1)
	ds_write2_b64 v21, v[19:20], v[2:3] offset0:174 offset1:175
.LBB62_331:
	s_or_b64 exec, exec, s[18:19]
	v_mov_b32_e32 v2, 0
	v_mov_b32_e32 v3, 0
	s_waitcnt lgkmcnt(0)
	s_barrier
	buffer_wbinvl1_vol
	s_and_saveexec_b64 s[20:21], s[22:23]
	s_cbranch_execz .LBB62_335
; %bb.332:
	v_lshlrev_b32_e32 v2, 3, v4
	v_lshlrev_b32_e32 v19, 9, v5
	ds_read_b64 v[2:3], v2 offset:23904
	ds_read_b64 v[19:20], v19 offset:23920
	v_cmp_gt_u32_e64 s[18:19], 2, v9
	s_waitcnt lgkmcnt(0)
	v_mul_f32_e32 v21, v20, v3
	v_mul_f32_e32 v3, v19, v3
	v_fma_f32 v19, v19, v2, -v21
	v_fmac_f32_e32 v3, v20, v2
	v_add_f32_e32 v2, 0, v19
	v_add_f32_e32 v3, 0, v3
	s_and_saveexec_b64 s[24:25], s[18:19]
	s_cbranch_execz .LBB62_334
; %bb.333:
	v_lshlrev_b32_e32 v19, 3, v0
	v_mov_b32_e32 v21, 0
	ds_read_b64 v[19:20], v19 offset:24416
	ds_read_b64 v[21:22], v21 offset:24440
	s_waitcnt lgkmcnt(0)
	v_mul_f32_e32 v23, v22, v20
	v_mul_f32_e32 v20, v21, v20
	v_fma_f32 v21, v21, v19, -v23
	v_fmac_f32_e32 v20, v22, v19
	v_add_f32_e32 v2, v2, v21
	v_add_f32_e32 v3, v3, v20
.LBB62_334:
	s_or_b64 exec, exec, s[24:25]
.LBB62_335:
	s_or_b64 exec, exec, s[20:21]
	s_and_saveexec_b64 s[18:19], s[36:37]
; %bb.336:
	v_xor_b32_e32 v20, 0x80000000, v3
	v_xor_b32_e32 v19, 0x80000000, v2
	ds_write_b64 v7, v[19:20]
; %bb.337:
	s_or_b64 exec, exec, s[18:19]
	s_waitcnt lgkmcnt(0)
	s_barrier
	s_and_saveexec_b64 s[18:19], s[30:31]
	s_cbranch_execz .LBB62_339
; %bb.338:
	v_mov_b32_e32 v19, 0
	ds_read_b64 v[19:20], v19 offset:23392
	ds_read_b64 v[21:22], v7
	s_waitcnt lgkmcnt(0)
	v_mul_f32_e32 v23, v21, v19
	v_mul_f32_e32 v21, v21, v20
	v_fmac_f32_e32 v21, v22, v19
	v_fma_f32 v19, v22, v20, -v23
	v_add_f32_e32 v2, v2, v19
	v_sub_f32_e32 v3, v3, v21
.LBB62_339:
	s_or_b64 exec, exec, s[18:19]
	s_barrier
	s_and_saveexec_b64 s[18:19], s[30:31]
; %bb.340:
	v_xor_b32_e32 v20, 0x80000000, v3
	v_xor_b32_e32 v19, 0x80000000, v2
	ds_write_b64 v7, v[19:20]
; %bb.341:
	s_or_b64 exec, exec, s[18:19]
	s_waitcnt lgkmcnt(0)
	s_barrier
	s_barrier
	s_and_saveexec_b64 s[18:19], s[22:23]
; %bb.342:
	v_lshlrev_b32_e32 v19, 3, v4
	v_lshl_or_b32 v19, v5, 9, v19
	ds_write_b64 v19, v[2:3] offset:23904
; %bb.343:
	s_or_b64 exec, exec, s[18:19]
	s_waitcnt lgkmcnt(0)
	s_barrier
	s_barrier
	s_and_saveexec_b64 s[18:19], s[38:39]
	s_cbranch_execz .LBB62_345
; %bb.344:
	v_lshlrev_b32_e32 v19, 3, v0
	s_movk_i32 s20, 0x1f8
	v_mad_u32_u24 v20, v0, s20, v19
	ds_read_b64 v[2:3], v20 offset:23904
	s_waitcnt lgkmcnt(0)
	ds_write_b64 v19, v[2:3] offset:22896
	ds_read_b64 v[2:3], v20 offset:23912
	s_waitcnt lgkmcnt(0)
	ds_write_b64 v19, v[2:3] offset:23408
.LBB62_345:
	s_or_b64 exec, exec, s[18:19]
	s_waitcnt lgkmcnt(0)
	s_barrier
	s_and_saveexec_b64 s[18:19], vcc
	s_cbranch_execz .LBB62_347
; %bb.346:
	v_mov_b32_e32 v21, 0
	ds_read_b64 v[2:3], v21 offset:23392
	s_mov_b64 s[20:21], 0x3f800000
	v_mov_b32_e32 v19, s20
	v_mov_b32_e32 v20, s21
	s_movk_i32 s20, 0x5800
	ds_write_b64 v21, v[19:20] offset:23400
	v_add_u32_e64 v21, s20, 0
	s_waitcnt lgkmcnt(1)
	ds_write2_b64 v21, v[19:20], v[2:3] offset0:44 offset1:45
.LBB62_347:
	s_or_b64 exec, exec, s[18:19]
	v_mov_b32_e32 v3, 0
	v_mov_b32_e32 v2, 0
	s_waitcnt lgkmcnt(0)
	s_barrier
	buffer_wbinvl1_vol
	s_and_saveexec_b64 s[20:21], s[10:11]
	s_cbranch_execz .LBB62_353
; %bb.348:
	v_lshlrev_b32_e32 v19, 3, v10
	v_lshlrev_b32_e32 v20, 9, v11
	ds_read_b64 v[2:3], v19 offset:22848
	ds_read_b64 v[21:22], v20 offset:22880
	v_cmp_gt_u32_e64 s[18:19], 12, v9
	s_waitcnt lgkmcnt(0)
	v_mul_f32_e32 v23, v22, v3
	v_mul_f32_e32 v3, v21, v3
	v_fma_f32 v21, v21, v2, -v23
	v_fmac_f32_e32 v3, v22, v2
	v_add_f32_e32 v2, 0, v21
	v_add_f32_e32 v3, 0, v3
	s_and_saveexec_b64 s[24:25], s[18:19]
	s_cbranch_execnz .LBB62_1066
; %bb.349:
	s_or_b64 exec, exec, s[24:25]
	v_cmp_gt_u32_e64 s[18:19], 8, v9
	s_and_saveexec_b64 s[24:25], s[18:19]
	s_cbranch_execnz .LBB62_1067
.LBB62_350:
	s_or_b64 exec, exec, s[24:25]
	v_cmp_gt_u32_e64 s[18:19], 4, v9
	s_and_saveexec_b64 s[24:25], s[18:19]
	s_cbranch_execz .LBB62_352
.LBB62_351:
	v_lshlrev_b32_e32 v19, 3, v0
	v_mov_b32_e32 v21, 0
	ds_read_b64 v[19:20], v19 offset:24384
	ds_read_b64 v[21:22], v21 offset:24440
	s_waitcnt lgkmcnt(0)
	v_mul_f32_e32 v23, v22, v20
	v_mul_f32_e32 v20, v21, v20
	v_fma_f32 v21, v21, v19, -v23
	v_fmac_f32_e32 v20, v22, v19
	v_add_f32_e32 v2, v2, v21
	v_add_f32_e32 v3, v3, v20
.LBB62_352:
	s_or_b64 exec, exec, s[24:25]
.LBB62_353:
	s_or_b64 exec, exec, s[20:21]
	s_and_saveexec_b64 s[18:19], s[42:43]
; %bb.354:
	v_xor_b32_e32 v19, 0x80000000, v2
	v_xor_b32_e32 v20, 0x80000000, v3
	ds_write_b64 v12, v[19:20]
; %bb.355:
	s_or_b64 exec, exec, s[18:19]
	s_waitcnt lgkmcnt(0)
	s_barrier
	s_and_saveexec_b64 s[18:19], s[44:45]
	s_cbranch_execz .LBB62_357
; %bb.356:
	v_lshlrev_b32_e32 v19, 3, v10
	ds_read_b64 v[19:20], v19 offset:22336
	ds_read_b64 v[21:22], v12
	s_waitcnt lgkmcnt(0)
	v_mul_f32_e32 v23, v22, v20
	v_mul_f32_e32 v20, v21, v20
	v_fma_f32 v21, v21, v19, -v23
	v_fmac_f32_e32 v20, v22, v19
	v_sub_f32_e32 v2, v2, v21
	v_sub_f32_e32 v3, v3, v20
.LBB62_357:
	s_or_b64 exec, exec, s[18:19]
	s_barrier
	s_and_saveexec_b64 s[18:19], s[46:47]
; %bb.358:
	v_xor_b32_e32 v19, 0x80000000, v2
	v_xor_b32_e32 v20, 0x80000000, v3
	ds_write_b64 v12, v[19:20]
; %bb.359:
	s_or_b64 exec, exec, s[18:19]
	s_waitcnt lgkmcnt(0)
	s_barrier
	s_and_saveexec_b64 s[18:19], s[48:49]
	s_cbranch_execz .LBB62_361
; %bb.360:
	v_lshlrev_b32_e32 v19, 3, v10
	ds_read_b64 v[19:20], v19 offset:21824
	ds_read_b64 v[21:22], v12
	s_waitcnt lgkmcnt(0)
	v_mul_f32_e32 v23, v22, v20
	v_mul_f32_e32 v20, v21, v20
	v_fma_f32 v21, v21, v19, -v23
	v_fmac_f32_e32 v20, v22, v19
	v_sub_f32_e32 v2, v2, v21
	v_sub_f32_e32 v3, v3, v20
.LBB62_361:
	s_or_b64 exec, exec, s[18:19]
	s_barrier
	s_and_saveexec_b64 s[18:19], s[50:51]
; %bb.362:
	v_xor_b32_e32 v19, 0x80000000, v2
	v_xor_b32_e32 v20, 0x80000000, v3
	ds_write_b64 v12, v[19:20]
; %bb.363:
	s_or_b64 exec, exec, s[18:19]
	s_waitcnt lgkmcnt(0)
	s_barrier
	s_and_saveexec_b64 s[18:19], s[40:41]
	s_cbranch_execz .LBB62_365
; %bb.364:
	v_mov_b32_e32 v19, 0
	ds_read_b64 v[19:20], v19 offset:21312
	ds_read_b64 v[21:22], v12
	s_waitcnt lgkmcnt(0)
	v_mul_f32_e32 v23, v22, v20
	v_mul_f32_e32 v20, v21, v20
	v_fma_f32 v21, v21, v19, -v23
	v_fmac_f32_e32 v20, v22, v19
	v_sub_f32_e32 v2, v2, v21
	v_sub_f32_e32 v3, v3, v20
.LBB62_365:
	s_or_b64 exec, exec, s[18:19]
	s_barrier
	s_and_saveexec_b64 s[18:19], s[40:41]
; %bb.366:
	v_xor_b32_e32 v19, 0x80000000, v2
	v_xor_b32_e32 v20, 0x80000000, v3
	ds_write_b64 v12, v[19:20]
; %bb.367:
	s_or_b64 exec, exec, s[18:19]
	s_waitcnt lgkmcnt(0)
	s_barrier
	s_barrier
	s_and_saveexec_b64 s[18:19], s[10:11]
; %bb.368:
	v_lshlrev_b32_e32 v19, 3, v10
	v_lshl_or_b32 v19, v11, 9, v19
	ds_write_b64 v19, v[2:3] offset:22848
; %bb.369:
	s_or_b64 exec, exec, s[18:19]
	s_waitcnt lgkmcnt(0)
	s_barrier
	s_barrier
	s_and_saveexec_b64 s[18:19], s[52:53]
	s_cbranch_execz .LBB62_371
; %bb.370:
	v_lshlrev_b32_e32 v19, 9, v0
	ds_read_b64 v[2:3], v19 offset:22848
	s_movk_i32 s20, 0xfe08
	v_mad_i32_i24 v20, v0, s20, v19
	s_waitcnt lgkmcnt(0)
	ds_write_b64 v20, v[2:3] offset:20832
	ds_read_b64 v[2:3], v19 offset:22856
	s_waitcnt lgkmcnt(0)
	ds_write_b64 v20, v[2:3] offset:21344
	ds_read_b64 v[2:3], v19 offset:22864
	s_waitcnt lgkmcnt(0)
	ds_write_b64 v20, v[2:3] offset:21856
	ds_read_b64 v[2:3], v19 offset:22872
	s_waitcnt lgkmcnt(0)
	ds_write_b64 v20, v[2:3] offset:22368
.LBB62_371:
	s_or_b64 exec, exec, s[18:19]
	s_waitcnt lgkmcnt(0)
	s_barrier
	s_and_saveexec_b64 s[18:19], vcc
	s_cbranch_execz .LBB62_373
; %bb.372:
	v_mov_b32_e32 v21, 0
	ds_read_b64 v[2:3], v21 offset:22352
	s_mov_b64 s[20:21], 0x3f800000
	v_mov_b32_e32 v19, s20
	v_mov_b32_e32 v20, s21
	s_movk_i32 s20, 0x5000
	ds_write_b64 v21, v[19:20] offset:22360
	v_add_u32_e64 v21, s20, 0
	s_waitcnt lgkmcnt(1)
	ds_write2_b64 v21, v[19:20], v[2:3] offset0:170 offset1:171
.LBB62_373:
	s_or_b64 exec, exec, s[18:19]
	v_mov_b32_e32 v2, 0
	v_mov_b32_e32 v3, 0
	s_waitcnt lgkmcnt(0)
	s_barrier
	buffer_wbinvl1_vol
	s_and_saveexec_b64 s[20:21], s[22:23]
	s_cbranch_execz .LBB62_377
; %bb.374:
	v_lshlrev_b32_e32 v2, 3, v4
	v_lshlrev_b32_e32 v19, 9, v5
	ds_read_b64 v[2:3], v2 offset:21824
	ds_read_b64 v[19:20], v19 offset:21840
	v_cmp_gt_u32_e64 s[18:19], 2, v9
	s_waitcnt lgkmcnt(0)
	v_mul_f32_e32 v21, v20, v3
	v_mul_f32_e32 v3, v19, v3
	v_fma_f32 v19, v19, v2, -v21
	v_fmac_f32_e32 v3, v20, v2
	v_add_f32_e32 v2, 0, v19
	v_add_f32_e32 v3, 0, v3
	s_and_saveexec_b64 s[24:25], s[18:19]
	s_cbranch_execz .LBB62_376
; %bb.375:
	v_lshlrev_b32_e32 v19, 3, v0
	v_mov_b32_e32 v21, 0
	ds_read_b64 v[19:20], v19 offset:22336
	ds_read_b64 v[21:22], v21 offset:22360
	s_waitcnt lgkmcnt(0)
	v_mul_f32_e32 v23, v22, v20
	v_mul_f32_e32 v20, v21, v20
	v_fma_f32 v21, v21, v19, -v23
	v_fmac_f32_e32 v20, v22, v19
	v_add_f32_e32 v2, v2, v21
	v_add_f32_e32 v3, v3, v20
.LBB62_376:
	s_or_b64 exec, exec, s[24:25]
.LBB62_377:
	s_or_b64 exec, exec, s[20:21]
	s_and_saveexec_b64 s[18:19], s[36:37]
; %bb.378:
	v_xor_b32_e32 v20, 0x80000000, v3
	v_xor_b32_e32 v19, 0x80000000, v2
	ds_write_b64 v7, v[19:20]
; %bb.379:
	s_or_b64 exec, exec, s[18:19]
	s_waitcnt lgkmcnt(0)
	s_barrier
	s_and_saveexec_b64 s[18:19], s[30:31]
	s_cbranch_execz .LBB62_381
; %bb.380:
	v_mov_b32_e32 v19, 0
	ds_read_b64 v[19:20], v19 offset:21312
	ds_read_b64 v[21:22], v7
	s_waitcnt lgkmcnt(0)
	v_mul_f32_e32 v23, v21, v19
	v_mul_f32_e32 v21, v21, v20
	v_fmac_f32_e32 v21, v22, v19
	v_fma_f32 v19, v22, v20, -v23
	v_add_f32_e32 v2, v2, v19
	v_sub_f32_e32 v3, v3, v21
.LBB62_381:
	s_or_b64 exec, exec, s[18:19]
	s_barrier
	s_and_saveexec_b64 s[18:19], s[30:31]
; %bb.382:
	v_xor_b32_e32 v20, 0x80000000, v3
	v_xor_b32_e32 v19, 0x80000000, v2
	ds_write_b64 v7, v[19:20]
; %bb.383:
	s_or_b64 exec, exec, s[18:19]
	s_waitcnt lgkmcnt(0)
	s_barrier
	s_barrier
	s_and_saveexec_b64 s[18:19], s[22:23]
; %bb.384:
	v_lshlrev_b32_e32 v19, 3, v4
	v_lshl_or_b32 v19, v5, 9, v19
	ds_write_b64 v19, v[2:3] offset:21824
; %bb.385:
	s_or_b64 exec, exec, s[18:19]
	s_waitcnt lgkmcnt(0)
	s_barrier
	s_barrier
	s_and_saveexec_b64 s[18:19], s[38:39]
	s_cbranch_execz .LBB62_387
; %bb.386:
	v_lshlrev_b32_e32 v19, 3, v0
	s_movk_i32 s20, 0x1f8
	v_mad_u32_u24 v20, v0, s20, v19
	ds_read_b64 v[2:3], v20 offset:21824
	s_waitcnt lgkmcnt(0)
	ds_write_b64 v19, v[2:3] offset:20816
	ds_read_b64 v[2:3], v20 offset:21832
	s_waitcnt lgkmcnt(0)
	ds_write_b64 v19, v[2:3] offset:21328
.LBB62_387:
	s_or_b64 exec, exec, s[18:19]
	s_waitcnt lgkmcnt(0)
	s_barrier
	s_and_saveexec_b64 s[18:19], vcc
	s_cbranch_execz .LBB62_389
; %bb.388:
	v_mov_b32_e32 v21, 0
	ds_read_b64 v[2:3], v21 offset:21312
	s_mov_b64 s[20:21], 0x3f800000
	v_mov_b32_e32 v19, s20
	v_mov_b32_e32 v20, s21
	s_movk_i32 s20, 0x5000
	ds_write_b64 v21, v[19:20] offset:21320
	v_add_u32_e64 v21, s20, 0
	s_waitcnt lgkmcnt(1)
	ds_write2_b64 v21, v[19:20], v[2:3] offset0:40 offset1:41
.LBB62_389:
	s_or_b64 exec, exec, s[18:19]
	v_mov_b32_e32 v3, 0
	v_mov_b32_e32 v2, 0
	s_waitcnt lgkmcnt(0)
	s_barrier
	buffer_wbinvl1_vol
	s_and_saveexec_b64 s[20:21], s[12:13]
	s_cbranch_execz .LBB62_399
; %bb.390:
	v_lshlrev_b32_e32 v19, 3, v13
	v_lshlrev_b32_e32 v20, 9, v14
	ds_read_b64 v[2:3], v19 offset:20736
	ds_read_b64 v[21:22], v20 offset:20800
	v_cmp_gt_u32_e64 s[18:19], 56, v9
	s_waitcnt lgkmcnt(0)
	v_mul_f32_e32 v23, v22, v3
	v_mul_f32_e32 v3, v21, v3
	v_fma_f32 v21, v21, v2, -v23
	v_fmac_f32_e32 v3, v22, v2
	v_add_f32_e32 v2, 0, v21
	v_add_f32_e32 v3, 0, v3
	s_and_saveexec_b64 s[24:25], s[18:19]
	s_cbranch_execnz .LBB62_1068
; %bb.391:
	s_or_b64 exec, exec, s[24:25]
	v_cmp_gt_u32_e64 s[18:19], 48, v9
	s_and_saveexec_b64 s[24:25], s[18:19]
	s_cbranch_execnz .LBB62_1069
.LBB62_392:
	s_or_b64 exec, exec, s[24:25]
	v_cmp_gt_u32_e64 s[18:19], 40, v9
	s_and_saveexec_b64 s[24:25], s[18:19]
	s_cbranch_execnz .LBB62_1070
.LBB62_393:
	s_or_b64 exec, exec, s[24:25]
	v_cmp_gt_u32_e64 s[18:19], 32, v9
	s_and_saveexec_b64 s[24:25], s[18:19]
	s_cbranch_execnz .LBB62_1071
.LBB62_394:
	s_or_b64 exec, exec, s[24:25]
	v_cmp_gt_u32_e64 s[18:19], 24, v9
	s_and_saveexec_b64 s[24:25], s[18:19]
	s_cbranch_execnz .LBB62_1072
.LBB62_395:
	s_or_b64 exec, exec, s[24:25]
	s_and_saveexec_b64 s[18:19], s[10:11]
	s_cbranch_execnz .LBB62_1073
.LBB62_396:
	s_or_b64 exec, exec, s[18:19]
	v_cmp_gt_u32_e64 s[18:19], 8, v9
	s_and_saveexec_b64 s[24:25], s[18:19]
	s_cbranch_execz .LBB62_398
.LBB62_397:
	v_lshlrev_b32_e32 v19, 3, v0
	v_mov_b32_e32 v21, 0
	ds_read_b64 v[19:20], v19 offset:24320
	ds_read_b64 v[21:22], v21 offset:24440
	s_waitcnt lgkmcnt(0)
	v_mul_f32_e32 v23, v22, v20
	v_mul_f32_e32 v20, v21, v20
	v_fma_f32 v21, v21, v19, -v23
	v_fmac_f32_e32 v20, v22, v19
	v_add_f32_e32 v2, v2, v21
	v_add_f32_e32 v3, v3, v20
.LBB62_398:
	s_or_b64 exec, exec, s[24:25]
.LBB62_399:
	s_or_b64 exec, exec, s[20:21]
	s_and_saveexec_b64 s[18:19], s[56:57]
; %bb.400:
	v_xor_b32_e32 v20, 0x80000000, v3
	v_xor_b32_e32 v19, 0x80000000, v2
	ds_write_b64 v15, v[19:20]
; %bb.401:
	s_or_b64 exec, exec, s[18:19]
	s_waitcnt lgkmcnt(0)
	s_barrier
	s_and_saveexec_b64 s[18:19], s[58:59]
	s_cbranch_execz .LBB62_403
; %bb.402:
	v_lshlrev_b32_e32 v19, 3, v13
	ds_read_b64 v[19:20], v19 offset:20224
	ds_read_b64 v[21:22], v15
	s_waitcnt lgkmcnt(0)
	v_mul_f32_e32 v23, v22, v20
	v_mul_f32_e32 v20, v21, v20
	v_fma_f32 v21, v21, v19, -v23
	v_fmac_f32_e32 v20, v22, v19
	v_sub_f32_e32 v2, v2, v21
	v_sub_f32_e32 v3, v3, v20
.LBB62_403:
	s_or_b64 exec, exec, s[18:19]
	s_barrier
	s_and_saveexec_b64 s[18:19], s[60:61]
; %bb.404:
	v_xor_b32_e32 v20, 0x80000000, v3
	v_xor_b32_e32 v19, 0x80000000, v2
	ds_write_b64 v15, v[19:20]
; %bb.405:
	s_or_b64 exec, exec, s[18:19]
	s_waitcnt lgkmcnt(0)
	s_barrier
	s_and_saveexec_b64 s[18:19], s[62:63]
	s_cbranch_execz .LBB62_407
; %bb.406:
	v_lshlrev_b32_e32 v19, 3, v13
	ds_read_b64 v[19:20], v19 offset:19712
	ds_read_b64 v[21:22], v15
	s_waitcnt lgkmcnt(0)
	v_mul_f32_e32 v23, v22, v20
	v_mul_f32_e32 v20, v21, v20
	v_fma_f32 v21, v21, v19, -v23
	v_fmac_f32_e32 v20, v22, v19
	v_sub_f32_e32 v2, v2, v21
	v_sub_f32_e32 v3, v3, v20
.LBB62_407:
	s_or_b64 exec, exec, s[18:19]
	s_barrier
	;; [unrolled: 25-line block ×6, first 2 shown]
	s_and_saveexec_b64 s[18:19], s[80:81]
; %bb.424:
	v_xor_b32_e32 v20, 0x80000000, v3
	v_xor_b32_e32 v19, 0x80000000, v2
	ds_write_b64 v15, v[19:20]
; %bb.425:
	s_or_b64 exec, exec, s[18:19]
	s_waitcnt lgkmcnt(0)
	s_barrier
	s_and_saveexec_b64 s[18:19], s[54:55]
	s_cbranch_execz .LBB62_427
; %bb.426:
	v_mov_b32_e32 v19, 0
	ds_read_b64 v[19:20], v19 offset:17152
	ds_read_b64 v[21:22], v15
	s_waitcnt lgkmcnt(0)
	v_mul_f32_e32 v23, v22, v20
	v_mul_f32_e32 v20, v21, v20
	v_fma_f32 v21, v21, v19, -v23
	v_fmac_f32_e32 v20, v22, v19
	v_sub_f32_e32 v2, v2, v21
	v_sub_f32_e32 v3, v3, v20
.LBB62_427:
	s_or_b64 exec, exec, s[18:19]
	s_barrier
	s_and_saveexec_b64 s[18:19], s[54:55]
; %bb.428:
	v_xor_b32_e32 v20, 0x80000000, v3
	v_xor_b32_e32 v19, 0x80000000, v2
	ds_write_b64 v15, v[19:20]
; %bb.429:
	s_or_b64 exec, exec, s[18:19]
	s_waitcnt lgkmcnt(0)
	s_barrier
	s_barrier
	s_and_saveexec_b64 s[18:19], s[12:13]
; %bb.430:
	v_lshlrev_b32_e32 v19, 3, v13
	v_lshl_or_b32 v19, v14, 9, v19
	ds_write_b64 v19, v[2:3] offset:20736
; %bb.431:
	s_or_b64 exec, exec, s[18:19]
	s_waitcnt lgkmcnt(0)
	s_barrier
	s_barrier
	s_and_saveexec_b64 s[18:19], s[82:83]
	s_cbranch_execz .LBB62_433
; %bb.432:
	v_lshlrev_b32_e32 v19, 9, v0
	ds_read_b64 v[2:3], v19 offset:20736
	s_movk_i32 s20, 0xfe08
	v_mad_i32_i24 v20, v0, s20, v19
	s_waitcnt lgkmcnt(0)
	ds_write_b64 v20, v[2:3] offset:16704
	ds_read_b64 v[2:3], v19 offset:20744
	s_waitcnt lgkmcnt(0)
	ds_write_b64 v20, v[2:3] offset:17216
	ds_read_b64 v[2:3], v19 offset:20752
	;; [unrolled: 3-line block ×7, first 2 shown]
	s_waitcnt lgkmcnt(0)
	ds_write_b64 v20, v[2:3] offset:20288
.LBB62_433:
	s_or_b64 exec, exec, s[18:19]
	s_waitcnt lgkmcnt(0)
	s_barrier
	s_and_saveexec_b64 s[18:19], vcc
	s_cbranch_execz .LBB62_435
; %bb.434:
	v_mov_b32_e32 v21, 0
	ds_read_b64 v[2:3], v21 offset:20272
	s_mov_b64 s[20:21], 0x3f800000
	v_mov_b32_e32 v19, s20
	v_mov_b32_e32 v20, s21
	s_movk_i32 s20, 0x4800
	ds_write_b64 v21, v[19:20] offset:20280
	v_add_u32_e64 v21, s20, 0
	s_waitcnt lgkmcnt(1)
	ds_write2_b64 v21, v[19:20], v[2:3] offset0:166 offset1:167
.LBB62_435:
	s_or_b64 exec, exec, s[18:19]
	v_mov_b32_e32 v2, 0
	v_mov_b32_e32 v3, 0
	s_waitcnt lgkmcnt(0)
	s_barrier
	buffer_wbinvl1_vol
	s_and_saveexec_b64 s[20:21], s[22:23]
	s_cbranch_execz .LBB62_439
; %bb.436:
	v_lshlrev_b32_e32 v2, 3, v4
	v_lshlrev_b32_e32 v19, 9, v5
	ds_read_b64 v[2:3], v2 offset:19744
	ds_read_b64 v[19:20], v19 offset:19760
	v_cmp_gt_u32_e64 s[18:19], 2, v9
	s_waitcnt lgkmcnt(0)
	v_mul_f32_e32 v21, v20, v3
	v_mul_f32_e32 v3, v19, v3
	v_fma_f32 v19, v19, v2, -v21
	v_fmac_f32_e32 v3, v20, v2
	v_add_f32_e32 v2, 0, v19
	v_add_f32_e32 v3, 0, v3
	s_and_saveexec_b64 s[24:25], s[18:19]
	s_cbranch_execz .LBB62_438
; %bb.437:
	v_lshlrev_b32_e32 v19, 3, v0
	v_mov_b32_e32 v21, 0
	ds_read_b64 v[19:20], v19 offset:20256
	ds_read_b64 v[21:22], v21 offset:20280
	s_waitcnt lgkmcnt(0)
	v_mul_f32_e32 v23, v22, v20
	v_mul_f32_e32 v20, v21, v20
	v_fma_f32 v21, v21, v19, -v23
	v_fmac_f32_e32 v20, v22, v19
	v_add_f32_e32 v2, v2, v21
	v_add_f32_e32 v3, v3, v20
.LBB62_438:
	s_or_b64 exec, exec, s[24:25]
.LBB62_439:
	s_or_b64 exec, exec, s[20:21]
	s_and_saveexec_b64 s[18:19], s[36:37]
; %bb.440:
	v_xor_b32_e32 v20, 0x80000000, v3
	v_xor_b32_e32 v19, 0x80000000, v2
	ds_write_b64 v7, v[19:20]
; %bb.441:
	s_or_b64 exec, exec, s[18:19]
	s_waitcnt lgkmcnt(0)
	s_barrier
	s_and_saveexec_b64 s[18:19], s[30:31]
	s_cbranch_execz .LBB62_443
; %bb.442:
	v_mov_b32_e32 v19, 0
	ds_read_b64 v[19:20], v19 offset:19232
	ds_read_b64 v[21:22], v7
	s_waitcnt lgkmcnt(0)
	v_mul_f32_e32 v23, v21, v19
	v_mul_f32_e32 v21, v21, v20
	v_fmac_f32_e32 v21, v22, v19
	v_fma_f32 v19, v22, v20, -v23
	v_add_f32_e32 v2, v2, v19
	v_sub_f32_e32 v3, v3, v21
.LBB62_443:
	s_or_b64 exec, exec, s[18:19]
	s_barrier
	s_and_saveexec_b64 s[18:19], s[30:31]
; %bb.444:
	v_xor_b32_e32 v20, 0x80000000, v3
	v_xor_b32_e32 v19, 0x80000000, v2
	ds_write_b64 v7, v[19:20]
; %bb.445:
	s_or_b64 exec, exec, s[18:19]
	s_waitcnt lgkmcnt(0)
	s_barrier
	s_barrier
	s_and_saveexec_b64 s[18:19], s[22:23]
; %bb.446:
	v_lshlrev_b32_e32 v19, 3, v4
	v_lshl_or_b32 v19, v5, 9, v19
	ds_write_b64 v19, v[2:3] offset:19744
; %bb.447:
	s_or_b64 exec, exec, s[18:19]
	s_waitcnt lgkmcnt(0)
	s_barrier
	s_barrier
	s_and_saveexec_b64 s[18:19], s[38:39]
	s_cbranch_execz .LBB62_449
; %bb.448:
	v_lshlrev_b32_e32 v19, 3, v0
	s_movk_i32 s20, 0x1f8
	v_mad_u32_u24 v20, v0, s20, v19
	ds_read_b64 v[2:3], v20 offset:19744
	s_waitcnt lgkmcnt(0)
	ds_write_b64 v19, v[2:3] offset:18736
	ds_read_b64 v[2:3], v20 offset:19752
	s_waitcnt lgkmcnt(0)
	ds_write_b64 v19, v[2:3] offset:19248
.LBB62_449:
	s_or_b64 exec, exec, s[18:19]
	s_waitcnt lgkmcnt(0)
	s_barrier
	s_and_saveexec_b64 s[18:19], vcc
	s_cbranch_execz .LBB62_451
; %bb.450:
	v_mov_b32_e32 v21, 0
	ds_read_b64 v[2:3], v21 offset:19232
	s_mov_b64 s[20:21], 0x3f800000
	v_mov_b32_e32 v19, s20
	v_mov_b32_e32 v20, s21
	s_movk_i32 s20, 0x4800
	ds_write_b64 v21, v[19:20] offset:19240
	v_add_u32_e64 v21, s20, 0
	s_waitcnt lgkmcnt(1)
	ds_write2_b64 v21, v[19:20], v[2:3] offset0:36 offset1:37
.LBB62_451:
	s_or_b64 exec, exec, s[18:19]
	v_mov_b32_e32 v3, 0
	v_mov_b32_e32 v2, 0
	s_waitcnt lgkmcnt(0)
	s_barrier
	buffer_wbinvl1_vol
	s_and_saveexec_b64 s[20:21], s[10:11]
	s_cbranch_execz .LBB62_457
; %bb.452:
	v_lshlrev_b32_e32 v19, 3, v10
	v_lshlrev_b32_e32 v20, 9, v11
	ds_read_b64 v[2:3], v19 offset:18688
	ds_read_b64 v[21:22], v20 offset:18720
	v_cmp_gt_u32_e64 s[18:19], 12, v9
	s_waitcnt lgkmcnt(0)
	v_mul_f32_e32 v23, v22, v3
	v_mul_f32_e32 v3, v21, v3
	v_fma_f32 v21, v21, v2, -v23
	v_fmac_f32_e32 v3, v22, v2
	v_add_f32_e32 v2, 0, v21
	v_add_f32_e32 v3, 0, v3
	s_and_saveexec_b64 s[24:25], s[18:19]
	s_cbranch_execnz .LBB62_1074
; %bb.453:
	s_or_b64 exec, exec, s[24:25]
	v_cmp_gt_u32_e64 s[18:19], 8, v9
	s_and_saveexec_b64 s[24:25], s[18:19]
	s_cbranch_execnz .LBB62_1075
.LBB62_454:
	s_or_b64 exec, exec, s[24:25]
	v_cmp_gt_u32_e64 s[18:19], 4, v9
	s_and_saveexec_b64 s[24:25], s[18:19]
	s_cbranch_execz .LBB62_456
.LBB62_455:
	v_lshlrev_b32_e32 v19, 3, v0
	v_mov_b32_e32 v21, 0
	ds_read_b64 v[19:20], v19 offset:20224
	ds_read_b64 v[21:22], v21 offset:20280
	s_waitcnt lgkmcnt(0)
	v_mul_f32_e32 v23, v22, v20
	v_mul_f32_e32 v20, v21, v20
	v_fma_f32 v21, v21, v19, -v23
	v_fmac_f32_e32 v20, v22, v19
	v_add_f32_e32 v2, v2, v21
	v_add_f32_e32 v3, v3, v20
.LBB62_456:
	s_or_b64 exec, exec, s[24:25]
.LBB62_457:
	s_or_b64 exec, exec, s[20:21]
	s_and_saveexec_b64 s[18:19], s[42:43]
; %bb.458:
	v_xor_b32_e32 v19, 0x80000000, v2
	v_xor_b32_e32 v20, 0x80000000, v3
	ds_write_b64 v12, v[19:20]
; %bb.459:
	s_or_b64 exec, exec, s[18:19]
	s_waitcnt lgkmcnt(0)
	s_barrier
	s_and_saveexec_b64 s[18:19], s[44:45]
	s_cbranch_execz .LBB62_461
; %bb.460:
	v_lshlrev_b32_e32 v19, 3, v10
	ds_read_b64 v[19:20], v19 offset:18176
	ds_read_b64 v[21:22], v12
	s_waitcnt lgkmcnt(0)
	v_mul_f32_e32 v23, v22, v20
	v_mul_f32_e32 v20, v21, v20
	v_fma_f32 v21, v21, v19, -v23
	v_fmac_f32_e32 v20, v22, v19
	v_sub_f32_e32 v2, v2, v21
	v_sub_f32_e32 v3, v3, v20
.LBB62_461:
	s_or_b64 exec, exec, s[18:19]
	s_barrier
	s_and_saveexec_b64 s[18:19], s[46:47]
; %bb.462:
	v_xor_b32_e32 v19, 0x80000000, v2
	v_xor_b32_e32 v20, 0x80000000, v3
	ds_write_b64 v12, v[19:20]
; %bb.463:
	s_or_b64 exec, exec, s[18:19]
	s_waitcnt lgkmcnt(0)
	s_barrier
	s_and_saveexec_b64 s[18:19], s[48:49]
	s_cbranch_execz .LBB62_465
; %bb.464:
	v_lshlrev_b32_e32 v19, 3, v10
	ds_read_b64 v[19:20], v19 offset:17664
	ds_read_b64 v[21:22], v12
	s_waitcnt lgkmcnt(0)
	v_mul_f32_e32 v23, v22, v20
	v_mul_f32_e32 v20, v21, v20
	v_fma_f32 v21, v21, v19, -v23
	v_fmac_f32_e32 v20, v22, v19
	v_sub_f32_e32 v2, v2, v21
	v_sub_f32_e32 v3, v3, v20
.LBB62_465:
	s_or_b64 exec, exec, s[18:19]
	s_barrier
	s_and_saveexec_b64 s[18:19], s[50:51]
; %bb.466:
	v_xor_b32_e32 v19, 0x80000000, v2
	v_xor_b32_e32 v20, 0x80000000, v3
	ds_write_b64 v12, v[19:20]
; %bb.467:
	s_or_b64 exec, exec, s[18:19]
	s_waitcnt lgkmcnt(0)
	s_barrier
	s_and_saveexec_b64 s[18:19], s[40:41]
	s_cbranch_execz .LBB62_469
; %bb.468:
	v_mov_b32_e32 v19, 0
	ds_read_b64 v[19:20], v19 offset:17152
	ds_read_b64 v[21:22], v12
	s_waitcnt lgkmcnt(0)
	v_mul_f32_e32 v23, v22, v20
	v_mul_f32_e32 v20, v21, v20
	v_fma_f32 v21, v21, v19, -v23
	v_fmac_f32_e32 v20, v22, v19
	v_sub_f32_e32 v2, v2, v21
	v_sub_f32_e32 v3, v3, v20
.LBB62_469:
	s_or_b64 exec, exec, s[18:19]
	s_barrier
	s_and_saveexec_b64 s[18:19], s[40:41]
; %bb.470:
	v_xor_b32_e32 v19, 0x80000000, v2
	v_xor_b32_e32 v20, 0x80000000, v3
	ds_write_b64 v12, v[19:20]
; %bb.471:
	s_or_b64 exec, exec, s[18:19]
	s_waitcnt lgkmcnt(0)
	s_barrier
	s_barrier
	s_and_saveexec_b64 s[18:19], s[10:11]
; %bb.472:
	v_lshlrev_b32_e32 v19, 3, v10
	v_lshl_or_b32 v19, v11, 9, v19
	ds_write_b64 v19, v[2:3] offset:18688
; %bb.473:
	s_or_b64 exec, exec, s[18:19]
	s_waitcnt lgkmcnt(0)
	s_barrier
	s_barrier
	s_and_saveexec_b64 s[18:19], s[52:53]
	s_cbranch_execz .LBB62_475
; %bb.474:
	v_lshlrev_b32_e32 v19, 9, v0
	ds_read_b64 v[2:3], v19 offset:18688
	s_movk_i32 s20, 0xfe08
	v_mad_i32_i24 v20, v0, s20, v19
	s_waitcnt lgkmcnt(0)
	ds_write_b64 v20, v[2:3] offset:16672
	ds_read_b64 v[2:3], v19 offset:18696
	s_waitcnt lgkmcnt(0)
	ds_write_b64 v20, v[2:3] offset:17184
	ds_read_b64 v[2:3], v19 offset:18704
	;; [unrolled: 3-line block ×3, first 2 shown]
	s_waitcnt lgkmcnt(0)
	ds_write_b64 v20, v[2:3] offset:18208
.LBB62_475:
	s_or_b64 exec, exec, s[18:19]
	s_waitcnt lgkmcnt(0)
	s_barrier
	s_and_saveexec_b64 s[18:19], vcc
	s_cbranch_execz .LBB62_477
; %bb.476:
	v_mov_b32_e32 v21, 0
	ds_read_b64 v[2:3], v21 offset:18192
	s_mov_b64 s[20:21], 0x3f800000
	v_mov_b32_e32 v19, s20
	v_mov_b32_e32 v20, s21
	s_movk_i32 s20, 0x4000
	ds_write_b64 v21, v[19:20] offset:18200
	v_add_u32_e64 v21, s20, 0
	s_waitcnt lgkmcnt(1)
	ds_write2_b64 v21, v[19:20], v[2:3] offset0:162 offset1:163
.LBB62_477:
	s_or_b64 exec, exec, s[18:19]
	v_mov_b32_e32 v2, 0
	v_mov_b32_e32 v3, 0
	s_waitcnt lgkmcnt(0)
	s_barrier
	buffer_wbinvl1_vol
	s_and_saveexec_b64 s[20:21], s[22:23]
	s_cbranch_execz .LBB62_481
; %bb.478:
	v_lshlrev_b32_e32 v2, 3, v4
	v_lshlrev_b32_e32 v19, 9, v5
	ds_read_b64 v[2:3], v2 offset:17664
	ds_read_b64 v[19:20], v19 offset:17680
	v_cmp_gt_u32_e64 s[18:19], 2, v9
	s_waitcnt lgkmcnt(0)
	v_mul_f32_e32 v21, v20, v3
	v_mul_f32_e32 v3, v19, v3
	v_fma_f32 v19, v19, v2, -v21
	v_fmac_f32_e32 v3, v20, v2
	v_add_f32_e32 v2, 0, v19
	v_add_f32_e32 v3, 0, v3
	s_and_saveexec_b64 s[24:25], s[18:19]
	s_cbranch_execz .LBB62_480
; %bb.479:
	v_lshlrev_b32_e32 v19, 3, v0
	v_mov_b32_e32 v21, 0
	ds_read_b64 v[19:20], v19 offset:18176
	ds_read_b64 v[21:22], v21 offset:18200
	s_waitcnt lgkmcnt(0)
	v_mul_f32_e32 v23, v22, v20
	v_mul_f32_e32 v20, v21, v20
	v_fma_f32 v21, v21, v19, -v23
	v_fmac_f32_e32 v20, v22, v19
	v_add_f32_e32 v2, v2, v21
	v_add_f32_e32 v3, v3, v20
.LBB62_480:
	s_or_b64 exec, exec, s[24:25]
.LBB62_481:
	s_or_b64 exec, exec, s[20:21]
	s_and_saveexec_b64 s[18:19], s[36:37]
; %bb.482:
	v_xor_b32_e32 v20, 0x80000000, v3
	v_xor_b32_e32 v19, 0x80000000, v2
	ds_write_b64 v7, v[19:20]
; %bb.483:
	s_or_b64 exec, exec, s[18:19]
	s_waitcnt lgkmcnt(0)
	s_barrier
	s_and_saveexec_b64 s[18:19], s[30:31]
	s_cbranch_execz .LBB62_485
; %bb.484:
	v_mov_b32_e32 v19, 0
	ds_read_b64 v[19:20], v19 offset:17152
	ds_read_b64 v[21:22], v7
	s_waitcnt lgkmcnt(0)
	v_mul_f32_e32 v23, v21, v19
	v_mul_f32_e32 v21, v21, v20
	v_fmac_f32_e32 v21, v22, v19
	v_fma_f32 v19, v22, v20, -v23
	v_add_f32_e32 v2, v2, v19
	v_sub_f32_e32 v3, v3, v21
.LBB62_485:
	s_or_b64 exec, exec, s[18:19]
	s_barrier
	s_and_saveexec_b64 s[18:19], s[30:31]
; %bb.486:
	v_xor_b32_e32 v20, 0x80000000, v3
	v_xor_b32_e32 v19, 0x80000000, v2
	ds_write_b64 v7, v[19:20]
; %bb.487:
	s_or_b64 exec, exec, s[18:19]
	s_waitcnt lgkmcnt(0)
	s_barrier
	s_barrier
	s_and_saveexec_b64 s[18:19], s[22:23]
; %bb.488:
	v_lshlrev_b32_e32 v19, 3, v4
	v_lshl_or_b32 v19, v5, 9, v19
	ds_write_b64 v19, v[2:3] offset:17664
; %bb.489:
	s_or_b64 exec, exec, s[18:19]
	s_waitcnt lgkmcnt(0)
	s_barrier
	s_barrier
	s_and_saveexec_b64 s[18:19], s[38:39]
	s_cbranch_execz .LBB62_491
; %bb.490:
	v_lshlrev_b32_e32 v19, 3, v0
	s_movk_i32 s20, 0x1f8
	v_mad_u32_u24 v20, v0, s20, v19
	ds_read_b64 v[2:3], v20 offset:17664
	s_waitcnt lgkmcnt(0)
	ds_write_b64 v19, v[2:3] offset:16656
	ds_read_b64 v[2:3], v20 offset:17672
	s_waitcnt lgkmcnt(0)
	ds_write_b64 v19, v[2:3] offset:17168
.LBB62_491:
	s_or_b64 exec, exec, s[18:19]
	s_waitcnt lgkmcnt(0)
	s_barrier
	s_and_saveexec_b64 s[18:19], vcc
	s_cbranch_execz .LBB62_493
; %bb.492:
	v_mov_b32_e32 v21, 0
	ds_read_b64 v[2:3], v21 offset:17152
	s_mov_b64 s[20:21], 0x3f800000
	v_mov_b32_e32 v19, s20
	v_mov_b32_e32 v20, s21
	s_movk_i32 s20, 0x4000
	ds_write_b64 v21, v[19:20] offset:17160
	v_add_u32_e64 v21, s20, 0
	s_waitcnt lgkmcnt(1)
	ds_write2_b64 v21, v[19:20], v[2:3] offset0:32 offset1:33
.LBB62_493:
	s_or_b64 exec, exec, s[18:19]
	s_movk_i32 s18, 0x3ff
	v_lshrrev_b32_e32 v21, 5, v9
	v_cmp_lt_u32_e64 s[20:21], s18, v9
	s_movk_i32 s18, 0x400
	v_and_b32_e32 v19, 31, v0
	v_sub_u32_e32 v20, 31, v21
	v_cmp_gt_u32_e64 s[18:19], s18, v9
	v_mov_b32_e32 v3, 0
	v_mov_b32_e32 v2, 0
	s_waitcnt lgkmcnt(0)
	s_barrier
	buffer_wbinvl1_vol
	s_and_saveexec_b64 s[94:95], s[18:19]
	s_cbranch_execz .LBB62_555
; %bb.494:
	v_lshlrev_b32_e32 v22, 3, v19
	v_lshlrev_b32_e32 v23, 9, v20
	ds_read_b64 v[2:3], v22 offset:16384
	ds_read_b64 v[24:25], v23 offset:16640
	s_movk_i32 s24, 0x3e0
	v_cmp_gt_u32_e64 s[24:25], s24, v9
	s_waitcnt lgkmcnt(0)
	v_mul_f32_e32 v26, v25, v3
	v_mul_f32_e32 v3, v24, v3
	v_fma_f32 v24, v24, v2, -v26
	v_fmac_f32_e32 v3, v25, v2
	v_add_f32_e32 v2, 0, v24
	v_add_f32_e32 v3, 0, v3
	s_and_saveexec_b64 s[96:97], s[24:25]
	s_cbranch_execz .LBB62_496
; %bb.495:
	ds_read_b64 v[24:25], v22 offset:16896
	ds_read_b64 v[26:27], v23 offset:16648
	s_waitcnt lgkmcnt(0)
	v_mul_f32_e32 v28, v27, v25
	v_mul_f32_e32 v25, v26, v25
	v_fma_f32 v26, v26, v24, -v28
	v_fmac_f32_e32 v25, v27, v24
	v_add_f32_e32 v2, v2, v26
	v_add_f32_e32 v3, v3, v25
.LBB62_496:
	s_or_b64 exec, exec, s[96:97]
	s_movk_i32 s24, 0x3c0
	v_cmp_gt_u32_e64 s[24:25], s24, v9
	s_and_saveexec_b64 s[96:97], s[24:25]
	s_cbranch_execz .LBB62_498
; %bb.497:
	ds_read_b64 v[24:25], v22 offset:17408
	ds_read_b64 v[26:27], v23 offset:16656
	s_waitcnt lgkmcnt(0)
	v_mul_f32_e32 v28, v27, v25
	v_mul_f32_e32 v25, v26, v25
	v_fma_f32 v26, v26, v24, -v28
	v_fmac_f32_e32 v25, v27, v24
	v_add_f32_e32 v2, v2, v26
	v_add_f32_e32 v3, v3, v25
.LBB62_498:
	s_or_b64 exec, exec, s[96:97]
	s_movk_i32 s24, 0x3a0
	v_cmp_gt_u32_e64 s[24:25], s24, v9
	;; [unrolled: 16-line block ×22, first 2 shown]
	s_and_saveexec_b64 s[96:97], s[24:25]
	s_cbranch_execz .LBB62_540
; %bb.539:
	ds_read_b64 v[24:25], v22 offset:28160
	ds_read_b64 v[26:27], v23 offset:16824
	s_waitcnt lgkmcnt(0)
	v_mul_f32_e32 v28, v27, v25
	v_mul_f32_e32 v25, v26, v25
	v_fma_f32 v26, v26, v24, -v28
	v_fmac_f32_e32 v25, v27, v24
	v_add_f32_e32 v2, v2, v26
	v_add_f32_e32 v3, v3, v25
.LBB62_540:
	s_or_b64 exec, exec, s[96:97]
	s_and_saveexec_b64 s[24:25], s[14:15]
	s_cbranch_execz .LBB62_542
; %bb.541:
	ds_read_b64 v[24:25], v22 offset:28672
	ds_read_b64 v[26:27], v23 offset:16832
	s_waitcnt lgkmcnt(0)
	v_mul_f32_e32 v28, v27, v25
	v_mul_f32_e32 v25, v26, v25
	v_fma_f32 v26, v26, v24, -v28
	v_fmac_f32_e32 v25, v27, v24
	v_add_f32_e32 v2, v2, v26
	v_add_f32_e32 v3, v3, v25
.LBB62_542:
	s_or_b64 exec, exec, s[24:25]
	s_movk_i32 s24, 0xe0
	v_cmp_gt_u32_e64 s[24:25], s24, v9
	s_and_saveexec_b64 s[96:97], s[24:25]
	s_cbranch_execz .LBB62_544
; %bb.543:
	ds_read_b64 v[24:25], v22 offset:29184
	ds_read_b64 v[26:27], v23 offset:16840
	s_waitcnt lgkmcnt(0)
	v_mul_f32_e32 v28, v27, v25
	v_mul_f32_e32 v25, v26, v25
	v_fma_f32 v26, v26, v24, -v28
	v_fmac_f32_e32 v25, v27, v24
	v_add_f32_e32 v2, v2, v26
	v_add_f32_e32 v3, v3, v25
.LBB62_544:
	s_or_b64 exec, exec, s[96:97]
	s_movk_i32 s24, 0xc0
	v_cmp_gt_u32_e64 s[24:25], s24, v9
	;; [unrolled: 16-line block ×5, first 2 shown]
	s_and_saveexec_b64 s[96:97], s[24:25]
	s_cbranch_execnz .LBB62_1076
; %bb.551:
	s_or_b64 exec, exec, s[96:97]
	s_and_saveexec_b64 s[24:25], s[12:13]
	s_cbranch_execnz .LBB62_1077
.LBB62_552:
	s_or_b64 exec, exec, s[24:25]
	v_cmp_gt_u32_e64 s[24:25], 32, v9
	s_and_saveexec_b64 s[96:97], s[24:25]
	s_cbranch_execz .LBB62_554
.LBB62_553:
	ds_read_b64 v[24:25], v22 offset:32256
	ds_read_b64 v[22:23], v23 offset:16888
	s_waitcnt lgkmcnt(0)
	v_mul_f32_e32 v26, v23, v25
	v_mul_f32_e32 v25, v22, v25
	v_fma_f32 v22, v22, v24, -v26
	v_fmac_f32_e32 v25, v23, v24
	v_add_f32_e32 v2, v2, v22
	v_add_f32_e32 v3, v3, v25
.LBB62_554:
	s_or_b64 exec, exec, s[96:97]
.LBB62_555:
	s_or_b64 exec, exec, s[94:95]
	v_mov_b32_e32 v22, 0x8000
	v_lshl_add_u32 v21, v21, 3, v22
	v_mov_b32_e32 v22, 0x3c00
	v_lshl_or_b32 v22, v19, 3, v22
	s_mov_b32 s94, 31
	v_subrev_u32_e32 v23, 31, v19
	s_xor_b64 s[24:25], s[20:21], -1
	s_branch .LBB62_557
.LBB62_556:                             ;   in Loop: Header=BB62_557 Depth=1
	s_or_b64 exec, exec, s[20:21]
	s_add_i32 s94, s94, -2
	v_add_u32_e32 v22, 0xfffffc00, v22
	s_cmp_eq_u32 s95, 0
	v_add_u32_e32 v23, 2, v23
	s_barrier
	s_cbranch_scc1 .LBB62_565
.LBB62_557:                             ; =>This Inner Loop Header: Depth=1
	v_cmp_eq_u32_e64 s[20:21], 0, v23
	s_and_b64 s[96:97], s[24:25], s[20:21]
	s_and_saveexec_b64 s[20:21], s[96:97]
; %bb.558:                              ;   in Loop: Header=BB62_557 Depth=1
	v_xor_b32_e32 v25, 0x80000000, v3
	v_xor_b32_e32 v24, 0x80000000, v2
	ds_write_b64 v21, v[24:25]
; %bb.559:                              ;   in Loop: Header=BB62_557 Depth=1
	s_or_b64 exec, exec, s[20:21]
	v_cmp_gt_u32_e64 s[20:21], s94, v19
	s_and_b64 s[96:97], s[24:25], s[20:21]
	s_waitcnt lgkmcnt(0)
	s_barrier
	s_and_saveexec_b64 s[20:21], s[96:97]
	s_cbranch_execz .LBB62_561
; %bb.560:                              ;   in Loop: Header=BB62_557 Depth=1
	ds_read_b64 v[24:25], v22 offset:512
	ds_read_b64 v[26:27], v21
	s_waitcnt lgkmcnt(0)
	v_mul_f32_e32 v28, v27, v25
	v_mul_f32_e32 v25, v26, v25
	v_fma_f32 v26, v26, v24, -v28
	v_fmac_f32_e32 v25, v27, v24
	v_sub_f32_e32 v2, v2, v26
	v_sub_f32_e32 v3, v3, v25
.LBB62_561:                             ;   in Loop: Header=BB62_557 Depth=1
	s_or_b64 exec, exec, s[20:21]
	s_add_i32 s95, s94, -1
	v_cmp_eq_u32_e64 s[20:21], s95, v19
	s_and_b64 s[96:97], s[24:25], s[20:21]
	s_barrier
	s_and_saveexec_b64 s[20:21], s[96:97]
; %bb.562:                              ;   in Loop: Header=BB62_557 Depth=1
	v_xor_b32_e32 v25, 0x80000000, v3
	v_xor_b32_e32 v24, 0x80000000, v2
	ds_write_b64 v21, v[24:25]
; %bb.563:                              ;   in Loop: Header=BB62_557 Depth=1
	s_or_b64 exec, exec, s[20:21]
	v_cmp_gt_u32_e64 s[20:21], s95, v19
	s_and_b64 s[96:97], s[24:25], s[20:21]
	s_waitcnt lgkmcnt(0)
	s_barrier
	s_and_saveexec_b64 s[20:21], s[96:97]
	s_cbranch_execz .LBB62_556
; %bb.564:                              ;   in Loop: Header=BB62_557 Depth=1
	ds_read_b64 v[24:25], v22
	ds_read_b64 v[26:27], v21
	s_waitcnt lgkmcnt(0)
	v_mul_f32_e32 v28, v27, v25
	v_mul_f32_e32 v25, v26, v25
	v_fma_f32 v26, v26, v24, -v28
	v_fmac_f32_e32 v25, v27, v24
	v_sub_f32_e32 v2, v2, v26
	v_sub_f32_e32 v3, v3, v25
	s_branch .LBB62_556
.LBB62_565:
	s_and_saveexec_b64 s[20:21], s[18:19]
; %bb.566:
	v_lshlrev_b32_e32 v19, 3, v19
	v_lshl_or_b32 v19, v20, 9, v19
	ds_write_b64 v19, v[2:3] offset:16384
; %bb.567:
	s_or_b64 exec, exec, s[20:21]
	v_cmp_gt_u32_e64 s[18:19], 32, v0
	s_and_b64 s[18:19], s[16:17], s[18:19]
	s_waitcnt lgkmcnt(0)
	s_barrier
	s_barrier
	s_and_saveexec_b64 s[16:17], s[18:19]
	s_cbranch_execz .LBB62_569
; %bb.568:
	v_lshlrev_b32_e32 v19, 9, v0
	ds_read_b64 v[2:3], v19 offset:16384
	s_movk_i32 s18, 0xfe08
	v_mad_i32_i24 v20, v0, s18, v19
	s_waitcnt lgkmcnt(0)
	ds_write_b64 v20, v[2:3] offset:256
	ds_read_b64 v[2:3], v19 offset:16392
	s_waitcnt lgkmcnt(0)
	ds_write_b64 v20, v[2:3] offset:768
	ds_read_b64 v[2:3], v19 offset:16400
	;; [unrolled: 3-line block ×31, first 2 shown]
	s_waitcnt lgkmcnt(0)
	ds_write_b64 v20, v[2:3] offset:16128
.LBB62_569:
	s_or_b64 exec, exec, s[16:17]
	s_waitcnt lgkmcnt(0)
	s_barrier
	s_and_saveexec_b64 s[16:17], vcc
	s_cbranch_execz .LBB62_571
; %bb.570:
	v_mov_b32_e32 v21, 0
	ds_read_b64 v[2:3], v21 offset:16112
	s_mov_b64 s[18:19], 0x3f800000
	v_mov_b32_e32 v20, s19
	v_mov_b32_e32 v19, s18
	s_movk_i32 s18, 0x3800
	ds_write_b64 v21, v[19:20] offset:16120
	v_add_u32_e64 v21, s18, 0
	s_waitcnt lgkmcnt(1)
	ds_write2_b64 v21, v[19:20], v[2:3] offset0:158 offset1:159
.LBB62_571:
	s_or_b64 exec, exec, s[16:17]
	v_mov_b32_e32 v2, 0
	v_mov_b32_e32 v3, 0
	s_waitcnt lgkmcnt(0)
	s_barrier
	buffer_wbinvl1_vol
	s_and_saveexec_b64 s[18:19], s[22:23]
	s_cbranch_execz .LBB62_575
; %bb.572:
	v_lshlrev_b32_e32 v2, 3, v4
	v_lshlrev_b32_e32 v19, 9, v5
	ds_read_b64 v[2:3], v2 offset:15584
	ds_read_b64 v[19:20], v19 offset:15600
	v_cmp_gt_u32_e64 s[16:17], 2, v9
	s_waitcnt lgkmcnt(0)
	v_mul_f32_e32 v21, v20, v3
	v_mul_f32_e32 v3, v19, v3
	v_fma_f32 v19, v19, v2, -v21
	v_fmac_f32_e32 v3, v20, v2
	v_add_f32_e32 v2, 0, v19
	v_add_f32_e32 v3, 0, v3
	s_and_saveexec_b64 s[20:21], s[16:17]
	s_cbranch_execz .LBB62_574
; %bb.573:
	v_lshlrev_b32_e32 v19, 3, v0
	v_mov_b32_e32 v21, 0
	ds_read_b64 v[19:20], v19 offset:16096
	ds_read_b64 v[21:22], v21 offset:16120
	s_waitcnt lgkmcnt(0)
	v_mul_f32_e32 v23, v22, v20
	v_mul_f32_e32 v20, v21, v20
	v_fma_f32 v21, v21, v19, -v23
	v_fmac_f32_e32 v20, v22, v19
	v_add_f32_e32 v2, v2, v21
	v_add_f32_e32 v3, v3, v20
.LBB62_574:
	s_or_b64 exec, exec, s[20:21]
.LBB62_575:
	s_or_b64 exec, exec, s[18:19]
	s_and_saveexec_b64 s[16:17], s[36:37]
; %bb.576:
	v_xor_b32_e32 v20, 0x80000000, v3
	v_xor_b32_e32 v19, 0x80000000, v2
	ds_write_b64 v7, v[19:20]
; %bb.577:
	s_or_b64 exec, exec, s[16:17]
	s_waitcnt lgkmcnt(0)
	s_barrier
	s_and_saveexec_b64 s[16:17], s[30:31]
	s_cbranch_execz .LBB62_579
; %bb.578:
	v_mov_b32_e32 v19, 0
	ds_read_b64 v[19:20], v19 offset:15072
	ds_read_b64 v[21:22], v7
	s_waitcnt lgkmcnt(0)
	v_mul_f32_e32 v23, v21, v19
	v_mul_f32_e32 v21, v21, v20
	v_fmac_f32_e32 v21, v22, v19
	v_fma_f32 v19, v22, v20, -v23
	v_add_f32_e32 v2, v2, v19
	v_sub_f32_e32 v3, v3, v21
.LBB62_579:
	s_or_b64 exec, exec, s[16:17]
	s_barrier
	s_and_saveexec_b64 s[16:17], s[30:31]
; %bb.580:
	v_xor_b32_e32 v20, 0x80000000, v3
	v_xor_b32_e32 v19, 0x80000000, v2
	ds_write_b64 v7, v[19:20]
; %bb.581:
	s_or_b64 exec, exec, s[16:17]
	s_waitcnt lgkmcnt(0)
	s_barrier
	s_barrier
	s_and_saveexec_b64 s[16:17], s[22:23]
; %bb.582:
	v_lshlrev_b32_e32 v19, 3, v4
	v_lshl_or_b32 v19, v5, 9, v19
	ds_write_b64 v19, v[2:3] offset:15584
; %bb.583:
	s_or_b64 exec, exec, s[16:17]
	s_waitcnt lgkmcnt(0)
	s_barrier
	s_barrier
	s_and_saveexec_b64 s[16:17], s[38:39]
	s_cbranch_execz .LBB62_585
; %bb.584:
	v_lshlrev_b32_e32 v19, 3, v0
	s_movk_i32 s18, 0x1f8
	v_mad_u32_u24 v20, v0, s18, v19
	ds_read_b64 v[2:3], v20 offset:15584
	s_waitcnt lgkmcnt(0)
	ds_write_b64 v19, v[2:3] offset:14576
	ds_read_b64 v[2:3], v20 offset:15592
	s_waitcnt lgkmcnt(0)
	ds_write_b64 v19, v[2:3] offset:15088
.LBB62_585:
	s_or_b64 exec, exec, s[16:17]
	s_waitcnt lgkmcnt(0)
	s_barrier
	s_and_saveexec_b64 s[16:17], vcc
	s_cbranch_execz .LBB62_587
; %bb.586:
	v_mov_b32_e32 v21, 0
	ds_read_b64 v[2:3], v21 offset:15072
	s_mov_b64 s[18:19], 0x3f800000
	v_mov_b32_e32 v20, s19
	v_mov_b32_e32 v19, s18
	s_movk_i32 s18, 0x3800
	ds_write_b64 v21, v[19:20] offset:15080
	v_add_u32_e64 v21, s18, 0
	s_waitcnt lgkmcnt(1)
	ds_write2_b64 v21, v[19:20], v[2:3] offset0:28 offset1:29
.LBB62_587:
	s_or_b64 exec, exec, s[16:17]
	v_mov_b32_e32 v3, 0
	v_mov_b32_e32 v2, 0
	s_waitcnt lgkmcnt(0)
	s_barrier
	buffer_wbinvl1_vol
	s_and_saveexec_b64 s[18:19], s[10:11]
	s_cbranch_execz .LBB62_593
; %bb.588:
	v_lshlrev_b32_e32 v19, 3, v10
	v_lshlrev_b32_e32 v20, 9, v11
	ds_read_b64 v[2:3], v19 offset:14528
	ds_read_b64 v[21:22], v20 offset:14560
	v_cmp_gt_u32_e64 s[16:17], 12, v9
	s_waitcnt lgkmcnt(0)
	v_mul_f32_e32 v23, v22, v3
	v_mul_f32_e32 v3, v21, v3
	v_fma_f32 v21, v21, v2, -v23
	v_fmac_f32_e32 v3, v22, v2
	v_add_f32_e32 v2, 0, v21
	v_add_f32_e32 v3, 0, v3
	s_and_saveexec_b64 s[20:21], s[16:17]
	s_cbranch_execnz .LBB62_1078
; %bb.589:
	s_or_b64 exec, exec, s[20:21]
	v_cmp_gt_u32_e64 s[16:17], 8, v9
	s_and_saveexec_b64 s[20:21], s[16:17]
	s_cbranch_execnz .LBB62_1079
.LBB62_590:
	s_or_b64 exec, exec, s[20:21]
	v_cmp_gt_u32_e64 s[16:17], 4, v9
	s_and_saveexec_b64 s[20:21], s[16:17]
	s_cbranch_execz .LBB62_592
.LBB62_591:
	v_lshlrev_b32_e32 v19, 3, v0
	v_mov_b32_e32 v21, 0
	ds_read_b64 v[19:20], v19 offset:16064
	ds_read_b64 v[21:22], v21 offset:16120
	s_waitcnt lgkmcnt(0)
	v_mul_f32_e32 v23, v22, v20
	v_mul_f32_e32 v20, v21, v20
	v_fma_f32 v21, v21, v19, -v23
	v_fmac_f32_e32 v20, v22, v19
	v_add_f32_e32 v2, v2, v21
	v_add_f32_e32 v3, v3, v20
.LBB62_592:
	s_or_b64 exec, exec, s[20:21]
.LBB62_593:
	s_or_b64 exec, exec, s[18:19]
	s_and_saveexec_b64 s[16:17], s[42:43]
; %bb.594:
	v_xor_b32_e32 v19, 0x80000000, v2
	v_xor_b32_e32 v20, 0x80000000, v3
	ds_write_b64 v12, v[19:20]
; %bb.595:
	s_or_b64 exec, exec, s[16:17]
	s_waitcnt lgkmcnt(0)
	s_barrier
	s_and_saveexec_b64 s[16:17], s[44:45]
	s_cbranch_execz .LBB62_597
; %bb.596:
	v_lshlrev_b32_e32 v19, 3, v10
	ds_read_b64 v[19:20], v19 offset:14016
	ds_read_b64 v[21:22], v12
	s_waitcnt lgkmcnt(0)
	v_mul_f32_e32 v23, v22, v20
	v_mul_f32_e32 v20, v21, v20
	v_fma_f32 v21, v21, v19, -v23
	v_fmac_f32_e32 v20, v22, v19
	v_sub_f32_e32 v2, v2, v21
	v_sub_f32_e32 v3, v3, v20
.LBB62_597:
	s_or_b64 exec, exec, s[16:17]
	s_barrier
	s_and_saveexec_b64 s[16:17], s[46:47]
; %bb.598:
	v_xor_b32_e32 v19, 0x80000000, v2
	v_xor_b32_e32 v20, 0x80000000, v3
	ds_write_b64 v12, v[19:20]
; %bb.599:
	s_or_b64 exec, exec, s[16:17]
	s_waitcnt lgkmcnt(0)
	s_barrier
	s_and_saveexec_b64 s[16:17], s[48:49]
	s_cbranch_execz .LBB62_601
; %bb.600:
	v_lshlrev_b32_e32 v19, 3, v10
	ds_read_b64 v[19:20], v19 offset:13504
	ds_read_b64 v[21:22], v12
	s_waitcnt lgkmcnt(0)
	v_mul_f32_e32 v23, v22, v20
	v_mul_f32_e32 v20, v21, v20
	v_fma_f32 v21, v21, v19, -v23
	v_fmac_f32_e32 v20, v22, v19
	v_sub_f32_e32 v2, v2, v21
	v_sub_f32_e32 v3, v3, v20
.LBB62_601:
	s_or_b64 exec, exec, s[16:17]
	s_barrier
	s_and_saveexec_b64 s[16:17], s[50:51]
; %bb.602:
	v_xor_b32_e32 v19, 0x80000000, v2
	v_xor_b32_e32 v20, 0x80000000, v3
	ds_write_b64 v12, v[19:20]
; %bb.603:
	s_or_b64 exec, exec, s[16:17]
	s_waitcnt lgkmcnt(0)
	s_barrier
	s_and_saveexec_b64 s[16:17], s[40:41]
	s_cbranch_execz .LBB62_605
; %bb.604:
	v_mov_b32_e32 v19, 0
	ds_read_b64 v[19:20], v19 offset:12992
	ds_read_b64 v[21:22], v12
	s_waitcnt lgkmcnt(0)
	v_mul_f32_e32 v23, v22, v20
	v_mul_f32_e32 v20, v21, v20
	v_fma_f32 v21, v21, v19, -v23
	v_fmac_f32_e32 v20, v22, v19
	v_sub_f32_e32 v2, v2, v21
	v_sub_f32_e32 v3, v3, v20
.LBB62_605:
	s_or_b64 exec, exec, s[16:17]
	s_barrier
	s_and_saveexec_b64 s[16:17], s[40:41]
; %bb.606:
	v_xor_b32_e32 v19, 0x80000000, v2
	v_xor_b32_e32 v20, 0x80000000, v3
	ds_write_b64 v12, v[19:20]
; %bb.607:
	s_or_b64 exec, exec, s[16:17]
	s_waitcnt lgkmcnt(0)
	s_barrier
	s_barrier
	s_and_saveexec_b64 s[16:17], s[10:11]
; %bb.608:
	v_lshlrev_b32_e32 v19, 3, v10
	v_lshl_or_b32 v19, v11, 9, v19
	ds_write_b64 v19, v[2:3] offset:14528
; %bb.609:
	s_or_b64 exec, exec, s[16:17]
	s_waitcnt lgkmcnt(0)
	s_barrier
	s_barrier
	s_and_saveexec_b64 s[16:17], s[52:53]
	s_cbranch_execz .LBB62_611
; %bb.610:
	v_lshlrev_b32_e32 v19, 9, v0
	ds_read_b64 v[2:3], v19 offset:14528
	s_movk_i32 s18, 0xfe08
	v_mad_i32_i24 v20, v0, s18, v19
	s_waitcnt lgkmcnt(0)
	ds_write_b64 v20, v[2:3] offset:12512
	ds_read_b64 v[2:3], v19 offset:14536
	s_waitcnt lgkmcnt(0)
	ds_write_b64 v20, v[2:3] offset:13024
	ds_read_b64 v[2:3], v19 offset:14544
	;; [unrolled: 3-line block ×3, first 2 shown]
	s_waitcnt lgkmcnt(0)
	ds_write_b64 v20, v[2:3] offset:14048
.LBB62_611:
	s_or_b64 exec, exec, s[16:17]
	s_waitcnt lgkmcnt(0)
	s_barrier
	s_and_saveexec_b64 s[16:17], vcc
	s_cbranch_execz .LBB62_613
; %bb.612:
	v_mov_b32_e32 v21, 0
	ds_read_b64 v[2:3], v21 offset:14032
	s_mov_b64 s[18:19], 0x3f800000
	v_mov_b32_e32 v20, s19
	v_mov_b32_e32 v19, s18
	s_movk_i32 s18, 0x3000
	ds_write_b64 v21, v[19:20] offset:14040
	v_add_u32_e64 v21, s18, 0
	s_waitcnt lgkmcnt(1)
	ds_write2_b64 v21, v[19:20], v[2:3] offset0:154 offset1:155
.LBB62_613:
	s_or_b64 exec, exec, s[16:17]
	v_mov_b32_e32 v2, 0
	v_mov_b32_e32 v3, 0
	s_waitcnt lgkmcnt(0)
	s_barrier
	buffer_wbinvl1_vol
	s_and_saveexec_b64 s[18:19], s[22:23]
	s_cbranch_execz .LBB62_617
; %bb.614:
	v_lshlrev_b32_e32 v2, 3, v4
	v_lshlrev_b32_e32 v19, 9, v5
	ds_read_b64 v[2:3], v2 offset:13504
	ds_read_b64 v[19:20], v19 offset:13520
	v_cmp_gt_u32_e64 s[16:17], 2, v9
	s_waitcnt lgkmcnt(0)
	v_mul_f32_e32 v21, v20, v3
	v_mul_f32_e32 v3, v19, v3
	v_fma_f32 v19, v19, v2, -v21
	v_fmac_f32_e32 v3, v20, v2
	v_add_f32_e32 v2, 0, v19
	v_add_f32_e32 v3, 0, v3
	s_and_saveexec_b64 s[20:21], s[16:17]
	s_cbranch_execz .LBB62_616
; %bb.615:
	v_lshlrev_b32_e32 v19, 3, v0
	v_mov_b32_e32 v21, 0
	ds_read_b64 v[19:20], v19 offset:14016
	ds_read_b64 v[21:22], v21 offset:14040
	s_waitcnt lgkmcnt(0)
	v_mul_f32_e32 v23, v22, v20
	v_mul_f32_e32 v20, v21, v20
	v_fma_f32 v21, v21, v19, -v23
	v_fmac_f32_e32 v20, v22, v19
	v_add_f32_e32 v2, v2, v21
	v_add_f32_e32 v3, v3, v20
.LBB62_616:
	s_or_b64 exec, exec, s[20:21]
.LBB62_617:
	s_or_b64 exec, exec, s[18:19]
	s_and_saveexec_b64 s[16:17], s[36:37]
; %bb.618:
	v_xor_b32_e32 v20, 0x80000000, v3
	v_xor_b32_e32 v19, 0x80000000, v2
	ds_write_b64 v7, v[19:20]
; %bb.619:
	s_or_b64 exec, exec, s[16:17]
	s_waitcnt lgkmcnt(0)
	s_barrier
	s_and_saveexec_b64 s[16:17], s[30:31]
	s_cbranch_execz .LBB62_621
; %bb.620:
	v_mov_b32_e32 v19, 0
	ds_read_b64 v[19:20], v19 offset:12992
	ds_read_b64 v[21:22], v7
	s_waitcnt lgkmcnt(0)
	v_mul_f32_e32 v23, v21, v19
	v_mul_f32_e32 v21, v21, v20
	v_fmac_f32_e32 v21, v22, v19
	v_fma_f32 v19, v22, v20, -v23
	v_add_f32_e32 v2, v2, v19
	v_sub_f32_e32 v3, v3, v21
.LBB62_621:
	s_or_b64 exec, exec, s[16:17]
	s_barrier
	s_and_saveexec_b64 s[16:17], s[30:31]
; %bb.622:
	v_xor_b32_e32 v20, 0x80000000, v3
	v_xor_b32_e32 v19, 0x80000000, v2
	ds_write_b64 v7, v[19:20]
; %bb.623:
	s_or_b64 exec, exec, s[16:17]
	s_waitcnt lgkmcnt(0)
	s_barrier
	s_barrier
	s_and_saveexec_b64 s[16:17], s[22:23]
; %bb.624:
	v_lshlrev_b32_e32 v19, 3, v4
	v_lshl_or_b32 v19, v5, 9, v19
	ds_write_b64 v19, v[2:3] offset:13504
; %bb.625:
	s_or_b64 exec, exec, s[16:17]
	s_waitcnt lgkmcnt(0)
	s_barrier
	s_barrier
	s_and_saveexec_b64 s[16:17], s[38:39]
	s_cbranch_execz .LBB62_627
; %bb.626:
	v_lshlrev_b32_e32 v19, 3, v0
	s_movk_i32 s18, 0x1f8
	v_mad_u32_u24 v20, v0, s18, v19
	ds_read_b64 v[2:3], v20 offset:13504
	s_waitcnt lgkmcnt(0)
	ds_write_b64 v19, v[2:3] offset:12496
	ds_read_b64 v[2:3], v20 offset:13512
	s_waitcnt lgkmcnt(0)
	ds_write_b64 v19, v[2:3] offset:13008
.LBB62_627:
	s_or_b64 exec, exec, s[16:17]
	s_waitcnt lgkmcnt(0)
	s_barrier
	s_and_saveexec_b64 s[16:17], vcc
	s_cbranch_execz .LBB62_629
; %bb.628:
	v_mov_b32_e32 v21, 0
	ds_read_b64 v[2:3], v21 offset:12992
	s_mov_b64 s[18:19], 0x3f800000
	v_mov_b32_e32 v20, s19
	v_mov_b32_e32 v19, s18
	s_movk_i32 s18, 0x3000
	ds_write_b64 v21, v[19:20] offset:13000
	v_add_u32_e64 v21, s18, 0
	s_waitcnt lgkmcnt(1)
	ds_write2_b64 v21, v[19:20], v[2:3] offset0:24 offset1:25
.LBB62_629:
	s_or_b64 exec, exec, s[16:17]
	v_mov_b32_e32 v3, 0
	v_mov_b32_e32 v2, 0
	s_waitcnt lgkmcnt(0)
	s_barrier
	buffer_wbinvl1_vol
	s_and_saveexec_b64 s[18:19], s[12:13]
	s_cbranch_execz .LBB62_639
; %bb.630:
	v_lshlrev_b32_e32 v19, 3, v13
	v_lshlrev_b32_e32 v20, 9, v14
	ds_read_b64 v[2:3], v19 offset:12416
	ds_read_b64 v[21:22], v20 offset:12480
	v_cmp_gt_u32_e64 s[16:17], 56, v9
	s_waitcnt lgkmcnt(0)
	v_mul_f32_e32 v23, v22, v3
	v_mul_f32_e32 v3, v21, v3
	v_fma_f32 v21, v21, v2, -v23
	v_fmac_f32_e32 v3, v22, v2
	v_add_f32_e32 v2, 0, v21
	v_add_f32_e32 v3, 0, v3
	s_and_saveexec_b64 s[20:21], s[16:17]
	s_cbranch_execnz .LBB62_1080
; %bb.631:
	s_or_b64 exec, exec, s[20:21]
	v_cmp_gt_u32_e64 s[16:17], 48, v9
	s_and_saveexec_b64 s[20:21], s[16:17]
	s_cbranch_execnz .LBB62_1081
.LBB62_632:
	s_or_b64 exec, exec, s[20:21]
	v_cmp_gt_u32_e64 s[16:17], 40, v9
	s_and_saveexec_b64 s[20:21], s[16:17]
	s_cbranch_execnz .LBB62_1082
.LBB62_633:
	s_or_b64 exec, exec, s[20:21]
	v_cmp_gt_u32_e64 s[16:17], 32, v9
	s_and_saveexec_b64 s[20:21], s[16:17]
	s_cbranch_execnz .LBB62_1083
.LBB62_634:
	s_or_b64 exec, exec, s[20:21]
	v_cmp_gt_u32_e64 s[16:17], 24, v9
	s_and_saveexec_b64 s[20:21], s[16:17]
	s_cbranch_execnz .LBB62_1084
.LBB62_635:
	s_or_b64 exec, exec, s[20:21]
	s_and_saveexec_b64 s[16:17], s[10:11]
	s_cbranch_execnz .LBB62_1085
.LBB62_636:
	s_or_b64 exec, exec, s[16:17]
	v_cmp_gt_u32_e64 s[16:17], 8, v9
	s_and_saveexec_b64 s[20:21], s[16:17]
	s_cbranch_execz .LBB62_638
.LBB62_637:
	v_lshlrev_b32_e32 v19, 3, v0
	v_mov_b32_e32 v21, 0
	ds_read_b64 v[19:20], v19 offset:16000
	ds_read_b64 v[21:22], v21 offset:16120
	s_waitcnt lgkmcnt(0)
	v_mul_f32_e32 v23, v22, v20
	v_mul_f32_e32 v20, v21, v20
	v_fma_f32 v21, v21, v19, -v23
	v_fmac_f32_e32 v20, v22, v19
	v_add_f32_e32 v2, v2, v21
	v_add_f32_e32 v3, v3, v20
.LBB62_638:
	s_or_b64 exec, exec, s[20:21]
.LBB62_639:
	s_or_b64 exec, exec, s[18:19]
	s_and_saveexec_b64 s[16:17], s[56:57]
; %bb.640:
	v_xor_b32_e32 v20, 0x80000000, v3
	v_xor_b32_e32 v19, 0x80000000, v2
	ds_write_b64 v15, v[19:20]
; %bb.641:
	s_or_b64 exec, exec, s[16:17]
	s_waitcnt lgkmcnt(0)
	s_barrier
	s_and_saveexec_b64 s[16:17], s[58:59]
	s_cbranch_execz .LBB62_643
; %bb.642:
	v_lshlrev_b32_e32 v19, 3, v13
	ds_read_b64 v[19:20], v19 offset:11904
	ds_read_b64 v[21:22], v15
	s_waitcnt lgkmcnt(0)
	v_mul_f32_e32 v23, v22, v20
	v_mul_f32_e32 v20, v21, v20
	v_fma_f32 v21, v21, v19, -v23
	v_fmac_f32_e32 v20, v22, v19
	v_sub_f32_e32 v2, v2, v21
	v_sub_f32_e32 v3, v3, v20
.LBB62_643:
	s_or_b64 exec, exec, s[16:17]
	s_barrier
	s_and_saveexec_b64 s[16:17], s[60:61]
; %bb.644:
	v_xor_b32_e32 v20, 0x80000000, v3
	v_xor_b32_e32 v19, 0x80000000, v2
	ds_write_b64 v15, v[19:20]
; %bb.645:
	s_or_b64 exec, exec, s[16:17]
	s_waitcnt lgkmcnt(0)
	s_barrier
	s_and_saveexec_b64 s[16:17], s[62:63]
	s_cbranch_execz .LBB62_647
; %bb.646:
	v_lshlrev_b32_e32 v19, 3, v13
	ds_read_b64 v[19:20], v19 offset:11392
	ds_read_b64 v[21:22], v15
	s_waitcnt lgkmcnt(0)
	v_mul_f32_e32 v23, v22, v20
	v_mul_f32_e32 v20, v21, v20
	v_fma_f32 v21, v21, v19, -v23
	v_fmac_f32_e32 v20, v22, v19
	v_sub_f32_e32 v2, v2, v21
	v_sub_f32_e32 v3, v3, v20
.LBB62_647:
	s_or_b64 exec, exec, s[16:17]
	s_barrier
	;; [unrolled: 25-line block ×6, first 2 shown]
	s_and_saveexec_b64 s[16:17], s[80:81]
; %bb.664:
	v_xor_b32_e32 v20, 0x80000000, v3
	v_xor_b32_e32 v19, 0x80000000, v2
	ds_write_b64 v15, v[19:20]
; %bb.665:
	s_or_b64 exec, exec, s[16:17]
	s_waitcnt lgkmcnt(0)
	s_barrier
	s_and_saveexec_b64 s[16:17], s[54:55]
	s_cbranch_execz .LBB62_667
; %bb.666:
	v_mov_b32_e32 v19, 0
	ds_read_b64 v[19:20], v19 offset:8832
	ds_read_b64 v[21:22], v15
	s_waitcnt lgkmcnt(0)
	v_mul_f32_e32 v23, v22, v20
	v_mul_f32_e32 v20, v21, v20
	v_fma_f32 v21, v21, v19, -v23
	v_fmac_f32_e32 v20, v22, v19
	v_sub_f32_e32 v2, v2, v21
	v_sub_f32_e32 v3, v3, v20
.LBB62_667:
	s_or_b64 exec, exec, s[16:17]
	s_barrier
	s_and_saveexec_b64 s[16:17], s[54:55]
; %bb.668:
	v_xor_b32_e32 v20, 0x80000000, v3
	v_xor_b32_e32 v19, 0x80000000, v2
	ds_write_b64 v15, v[19:20]
; %bb.669:
	s_or_b64 exec, exec, s[16:17]
	s_waitcnt lgkmcnt(0)
	s_barrier
	s_barrier
	s_and_saveexec_b64 s[16:17], s[12:13]
; %bb.670:
	v_lshlrev_b32_e32 v19, 3, v13
	v_lshl_or_b32 v19, v14, 9, v19
	ds_write_b64 v19, v[2:3] offset:12416
; %bb.671:
	s_or_b64 exec, exec, s[16:17]
	s_waitcnt lgkmcnt(0)
	s_barrier
	s_barrier
	s_and_saveexec_b64 s[16:17], s[82:83]
	s_cbranch_execz .LBB62_673
; %bb.672:
	v_lshlrev_b32_e32 v19, 9, v0
	ds_read_b64 v[2:3], v19 offset:12416
	s_movk_i32 s18, 0xfe08
	v_mad_i32_i24 v20, v0, s18, v19
	s_waitcnt lgkmcnt(0)
	ds_write_b64 v20, v[2:3] offset:8384
	ds_read_b64 v[2:3], v19 offset:12424
	s_waitcnt lgkmcnt(0)
	ds_write_b64 v20, v[2:3] offset:8896
	ds_read_b64 v[2:3], v19 offset:12432
	;; [unrolled: 3-line block ×7, first 2 shown]
	s_waitcnt lgkmcnt(0)
	ds_write_b64 v20, v[2:3] offset:11968
.LBB62_673:
	s_or_b64 exec, exec, s[16:17]
	s_waitcnt lgkmcnt(0)
	s_barrier
	s_and_saveexec_b64 s[16:17], vcc
	s_cbranch_execz .LBB62_675
; %bb.674:
	v_mov_b32_e32 v21, 0
	ds_read_b64 v[2:3], v21 offset:11952
	s_mov_b64 s[18:19], 0x3f800000
	v_mov_b32_e32 v20, s19
	v_mov_b32_e32 v19, s18
	s_movk_i32 s18, 0x2800
	ds_write_b64 v21, v[19:20] offset:11960
	v_add_u32_e64 v21, s18, 0
	s_waitcnt lgkmcnt(1)
	ds_write2_b64 v21, v[19:20], v[2:3] offset0:150 offset1:151
.LBB62_675:
	s_or_b64 exec, exec, s[16:17]
	v_mov_b32_e32 v2, 0
	v_mov_b32_e32 v3, 0
	s_waitcnt lgkmcnt(0)
	s_barrier
	buffer_wbinvl1_vol
	s_and_saveexec_b64 s[18:19], s[22:23]
	s_cbranch_execz .LBB62_679
; %bb.676:
	v_lshlrev_b32_e32 v2, 3, v4
	v_lshlrev_b32_e32 v19, 9, v5
	ds_read_b64 v[2:3], v2 offset:11424
	ds_read_b64 v[19:20], v19 offset:11440
	v_cmp_gt_u32_e64 s[16:17], 2, v9
	s_waitcnt lgkmcnt(0)
	v_mul_f32_e32 v21, v20, v3
	v_mul_f32_e32 v3, v19, v3
	v_fma_f32 v19, v19, v2, -v21
	v_fmac_f32_e32 v3, v20, v2
	v_add_f32_e32 v2, 0, v19
	v_add_f32_e32 v3, 0, v3
	s_and_saveexec_b64 s[20:21], s[16:17]
	s_cbranch_execz .LBB62_678
; %bb.677:
	v_lshlrev_b32_e32 v19, 3, v0
	v_mov_b32_e32 v21, 0
	ds_read_b64 v[19:20], v19 offset:11936
	ds_read_b64 v[21:22], v21 offset:11960
	s_waitcnt lgkmcnt(0)
	v_mul_f32_e32 v23, v22, v20
	v_mul_f32_e32 v20, v21, v20
	v_fma_f32 v21, v21, v19, -v23
	v_fmac_f32_e32 v20, v22, v19
	v_add_f32_e32 v2, v2, v21
	v_add_f32_e32 v3, v3, v20
.LBB62_678:
	s_or_b64 exec, exec, s[20:21]
.LBB62_679:
	s_or_b64 exec, exec, s[18:19]
	s_and_saveexec_b64 s[16:17], s[36:37]
; %bb.680:
	v_xor_b32_e32 v20, 0x80000000, v3
	v_xor_b32_e32 v19, 0x80000000, v2
	ds_write_b64 v7, v[19:20]
; %bb.681:
	s_or_b64 exec, exec, s[16:17]
	s_waitcnt lgkmcnt(0)
	s_barrier
	s_and_saveexec_b64 s[16:17], s[30:31]
	s_cbranch_execz .LBB62_683
; %bb.682:
	v_mov_b32_e32 v19, 0
	ds_read_b64 v[19:20], v19 offset:10912
	ds_read_b64 v[21:22], v7
	s_waitcnt lgkmcnt(0)
	v_mul_f32_e32 v23, v21, v19
	v_mul_f32_e32 v21, v21, v20
	v_fmac_f32_e32 v21, v22, v19
	v_fma_f32 v19, v22, v20, -v23
	v_add_f32_e32 v2, v2, v19
	v_sub_f32_e32 v3, v3, v21
.LBB62_683:
	s_or_b64 exec, exec, s[16:17]
	s_barrier
	s_and_saveexec_b64 s[16:17], s[30:31]
; %bb.684:
	v_xor_b32_e32 v20, 0x80000000, v3
	v_xor_b32_e32 v19, 0x80000000, v2
	ds_write_b64 v7, v[19:20]
; %bb.685:
	s_or_b64 exec, exec, s[16:17]
	s_waitcnt lgkmcnt(0)
	s_barrier
	s_barrier
	s_and_saveexec_b64 s[16:17], s[22:23]
; %bb.686:
	v_lshlrev_b32_e32 v19, 3, v4
	v_lshl_or_b32 v19, v5, 9, v19
	ds_write_b64 v19, v[2:3] offset:11424
; %bb.687:
	s_or_b64 exec, exec, s[16:17]
	s_waitcnt lgkmcnt(0)
	s_barrier
	s_barrier
	s_and_saveexec_b64 s[16:17], s[38:39]
	s_cbranch_execz .LBB62_689
; %bb.688:
	v_lshlrev_b32_e32 v19, 3, v0
	s_movk_i32 s18, 0x1f8
	v_mad_u32_u24 v20, v0, s18, v19
	ds_read_b64 v[2:3], v20 offset:11424
	s_waitcnt lgkmcnt(0)
	ds_write_b64 v19, v[2:3] offset:10416
	ds_read_b64 v[2:3], v20 offset:11432
	s_waitcnt lgkmcnt(0)
	ds_write_b64 v19, v[2:3] offset:10928
.LBB62_689:
	s_or_b64 exec, exec, s[16:17]
	s_waitcnt lgkmcnt(0)
	s_barrier
	s_and_saveexec_b64 s[16:17], vcc
	s_cbranch_execz .LBB62_691
; %bb.690:
	v_mov_b32_e32 v21, 0
	ds_read_b64 v[2:3], v21 offset:10912
	s_mov_b64 s[18:19], 0x3f800000
	v_mov_b32_e32 v20, s19
	v_mov_b32_e32 v19, s18
	s_movk_i32 s18, 0x2800
	ds_write_b64 v21, v[19:20] offset:10920
	v_add_u32_e64 v21, s18, 0
	s_waitcnt lgkmcnt(1)
	ds_write2_b64 v21, v[19:20], v[2:3] offset0:20 offset1:21
.LBB62_691:
	s_or_b64 exec, exec, s[16:17]
	v_mov_b32_e32 v3, 0
	v_mov_b32_e32 v2, 0
	s_waitcnt lgkmcnt(0)
	s_barrier
	buffer_wbinvl1_vol
	s_and_saveexec_b64 s[18:19], s[10:11]
	s_cbranch_execz .LBB62_697
; %bb.692:
	v_lshlrev_b32_e32 v19, 3, v10
	v_lshlrev_b32_e32 v20, 9, v11
	ds_read_b64 v[2:3], v19 offset:10368
	ds_read_b64 v[21:22], v20 offset:10400
	v_cmp_gt_u32_e64 s[16:17], 12, v9
	s_waitcnt lgkmcnt(0)
	v_mul_f32_e32 v23, v22, v3
	v_mul_f32_e32 v3, v21, v3
	v_fma_f32 v21, v21, v2, -v23
	v_fmac_f32_e32 v3, v22, v2
	v_add_f32_e32 v2, 0, v21
	v_add_f32_e32 v3, 0, v3
	s_and_saveexec_b64 s[20:21], s[16:17]
	s_cbranch_execnz .LBB62_1086
; %bb.693:
	s_or_b64 exec, exec, s[20:21]
	v_cmp_gt_u32_e64 s[16:17], 8, v9
	s_and_saveexec_b64 s[20:21], s[16:17]
	s_cbranch_execnz .LBB62_1087
.LBB62_694:
	s_or_b64 exec, exec, s[20:21]
	v_cmp_gt_u32_e64 s[16:17], 4, v9
	s_and_saveexec_b64 s[20:21], s[16:17]
	s_cbranch_execz .LBB62_696
.LBB62_695:
	v_lshlrev_b32_e32 v19, 3, v0
	v_mov_b32_e32 v21, 0
	ds_read_b64 v[19:20], v19 offset:11904
	ds_read_b64 v[21:22], v21 offset:11960
	s_waitcnt lgkmcnt(0)
	v_mul_f32_e32 v23, v22, v20
	v_mul_f32_e32 v20, v21, v20
	v_fma_f32 v21, v21, v19, -v23
	v_fmac_f32_e32 v20, v22, v19
	v_add_f32_e32 v2, v2, v21
	v_add_f32_e32 v3, v3, v20
.LBB62_696:
	s_or_b64 exec, exec, s[20:21]
.LBB62_697:
	s_or_b64 exec, exec, s[18:19]
	s_and_saveexec_b64 s[16:17], s[42:43]
; %bb.698:
	v_xor_b32_e32 v19, 0x80000000, v2
	v_xor_b32_e32 v20, 0x80000000, v3
	ds_write_b64 v12, v[19:20]
; %bb.699:
	s_or_b64 exec, exec, s[16:17]
	s_waitcnt lgkmcnt(0)
	s_barrier
	s_and_saveexec_b64 s[16:17], s[44:45]
	s_cbranch_execz .LBB62_701
; %bb.700:
	v_lshlrev_b32_e32 v19, 3, v10
	ds_read_b64 v[19:20], v19 offset:9856
	ds_read_b64 v[21:22], v12
	s_waitcnt lgkmcnt(0)
	v_mul_f32_e32 v23, v22, v20
	v_mul_f32_e32 v20, v21, v20
	v_fma_f32 v21, v21, v19, -v23
	v_fmac_f32_e32 v20, v22, v19
	v_sub_f32_e32 v2, v2, v21
	v_sub_f32_e32 v3, v3, v20
.LBB62_701:
	s_or_b64 exec, exec, s[16:17]
	s_barrier
	s_and_saveexec_b64 s[16:17], s[46:47]
; %bb.702:
	v_xor_b32_e32 v19, 0x80000000, v2
	v_xor_b32_e32 v20, 0x80000000, v3
	ds_write_b64 v12, v[19:20]
; %bb.703:
	s_or_b64 exec, exec, s[16:17]
	s_waitcnt lgkmcnt(0)
	s_barrier
	s_and_saveexec_b64 s[16:17], s[48:49]
	s_cbranch_execz .LBB62_705
; %bb.704:
	v_lshlrev_b32_e32 v19, 3, v10
	ds_read_b64 v[19:20], v19 offset:9344
	ds_read_b64 v[21:22], v12
	s_waitcnt lgkmcnt(0)
	v_mul_f32_e32 v23, v22, v20
	v_mul_f32_e32 v20, v21, v20
	v_fma_f32 v21, v21, v19, -v23
	v_fmac_f32_e32 v20, v22, v19
	v_sub_f32_e32 v2, v2, v21
	v_sub_f32_e32 v3, v3, v20
.LBB62_705:
	s_or_b64 exec, exec, s[16:17]
	s_barrier
	s_and_saveexec_b64 s[16:17], s[50:51]
; %bb.706:
	v_xor_b32_e32 v19, 0x80000000, v2
	v_xor_b32_e32 v20, 0x80000000, v3
	ds_write_b64 v12, v[19:20]
; %bb.707:
	s_or_b64 exec, exec, s[16:17]
	s_waitcnt lgkmcnt(0)
	s_barrier
	s_and_saveexec_b64 s[16:17], s[40:41]
	s_cbranch_execz .LBB62_709
; %bb.708:
	v_mov_b32_e32 v19, 0
	ds_read_b64 v[19:20], v19 offset:8832
	ds_read_b64 v[21:22], v12
	s_waitcnt lgkmcnt(0)
	v_mul_f32_e32 v23, v22, v20
	v_mul_f32_e32 v20, v21, v20
	v_fma_f32 v21, v21, v19, -v23
	v_fmac_f32_e32 v20, v22, v19
	v_sub_f32_e32 v2, v2, v21
	v_sub_f32_e32 v3, v3, v20
.LBB62_709:
	s_or_b64 exec, exec, s[16:17]
	s_barrier
	s_and_saveexec_b64 s[16:17], s[40:41]
; %bb.710:
	v_xor_b32_e32 v19, 0x80000000, v2
	v_xor_b32_e32 v20, 0x80000000, v3
	ds_write_b64 v12, v[19:20]
; %bb.711:
	s_or_b64 exec, exec, s[16:17]
	s_waitcnt lgkmcnt(0)
	s_barrier
	s_barrier
	s_and_saveexec_b64 s[16:17], s[10:11]
; %bb.712:
	v_lshlrev_b32_e32 v19, 3, v10
	v_lshl_or_b32 v19, v11, 9, v19
	ds_write_b64 v19, v[2:3] offset:10368
; %bb.713:
	s_or_b64 exec, exec, s[16:17]
	s_waitcnt lgkmcnt(0)
	s_barrier
	s_barrier
	s_and_saveexec_b64 s[16:17], s[52:53]
	s_cbranch_execz .LBB62_715
; %bb.714:
	v_lshlrev_b32_e32 v19, 9, v0
	ds_read_b64 v[2:3], v19 offset:10368
	s_movk_i32 s18, 0xfe08
	v_mad_i32_i24 v20, v0, s18, v19
	s_waitcnt lgkmcnt(0)
	ds_write_b64 v20, v[2:3] offset:8352
	ds_read_b64 v[2:3], v19 offset:10376
	s_waitcnt lgkmcnt(0)
	ds_write_b64 v20, v[2:3] offset:8864
	ds_read_b64 v[2:3], v19 offset:10384
	;; [unrolled: 3-line block ×3, first 2 shown]
	s_waitcnt lgkmcnt(0)
	ds_write_b64 v20, v[2:3] offset:9888
.LBB62_715:
	s_or_b64 exec, exec, s[16:17]
	s_waitcnt lgkmcnt(0)
	s_barrier
	s_and_saveexec_b64 s[16:17], vcc
	s_cbranch_execz .LBB62_717
; %bb.716:
	v_mov_b32_e32 v21, 0
	ds_read_b64 v[2:3], v21 offset:9872
	s_mov_b64 s[18:19], 0x3f800000
	v_mov_b32_e32 v20, s19
	v_mov_b32_e32 v19, s18
	s_movk_i32 s18, 0x2000
	ds_write_b64 v21, v[19:20] offset:9880
	v_add_u32_e64 v21, s18, 0
	s_waitcnt lgkmcnt(1)
	ds_write2_b64 v21, v[19:20], v[2:3] offset0:146 offset1:147
.LBB62_717:
	s_or_b64 exec, exec, s[16:17]
	v_mov_b32_e32 v2, 0
	v_mov_b32_e32 v3, 0
	s_waitcnt lgkmcnt(0)
	s_barrier
	buffer_wbinvl1_vol
	s_and_saveexec_b64 s[18:19], s[22:23]
	s_cbranch_execz .LBB62_721
; %bb.718:
	v_lshlrev_b32_e32 v2, 3, v4
	v_lshlrev_b32_e32 v19, 9, v5
	ds_read_b64 v[2:3], v2 offset:9344
	ds_read_b64 v[19:20], v19 offset:9360
	v_cmp_gt_u32_e64 s[16:17], 2, v9
	s_waitcnt lgkmcnt(0)
	v_mul_f32_e32 v21, v20, v3
	v_mul_f32_e32 v3, v19, v3
	v_fma_f32 v19, v19, v2, -v21
	v_fmac_f32_e32 v3, v20, v2
	v_add_f32_e32 v2, 0, v19
	v_add_f32_e32 v3, 0, v3
	s_and_saveexec_b64 s[20:21], s[16:17]
	s_cbranch_execz .LBB62_720
; %bb.719:
	v_lshlrev_b32_e32 v19, 3, v0
	v_mov_b32_e32 v21, 0
	ds_read_b64 v[19:20], v19 offset:9856
	ds_read_b64 v[21:22], v21 offset:9880
	s_waitcnt lgkmcnt(0)
	v_mul_f32_e32 v23, v22, v20
	v_mul_f32_e32 v20, v21, v20
	v_fma_f32 v21, v21, v19, -v23
	v_fmac_f32_e32 v20, v22, v19
	v_add_f32_e32 v2, v2, v21
	v_add_f32_e32 v3, v3, v20
.LBB62_720:
	s_or_b64 exec, exec, s[20:21]
.LBB62_721:
	s_or_b64 exec, exec, s[18:19]
	s_and_saveexec_b64 s[16:17], s[36:37]
; %bb.722:
	v_xor_b32_e32 v20, 0x80000000, v3
	v_xor_b32_e32 v19, 0x80000000, v2
	ds_write_b64 v7, v[19:20]
; %bb.723:
	s_or_b64 exec, exec, s[16:17]
	s_waitcnt lgkmcnt(0)
	s_barrier
	s_and_saveexec_b64 s[16:17], s[30:31]
	s_cbranch_execz .LBB62_725
; %bb.724:
	v_mov_b32_e32 v19, 0
	ds_read_b64 v[19:20], v19 offset:8832
	ds_read_b64 v[21:22], v7
	s_waitcnt lgkmcnt(0)
	v_mul_f32_e32 v23, v21, v19
	v_mul_f32_e32 v21, v21, v20
	v_fmac_f32_e32 v21, v22, v19
	v_fma_f32 v19, v22, v20, -v23
	v_add_f32_e32 v2, v2, v19
	v_sub_f32_e32 v3, v3, v21
.LBB62_725:
	s_or_b64 exec, exec, s[16:17]
	s_barrier
	s_and_saveexec_b64 s[16:17], s[30:31]
; %bb.726:
	v_xor_b32_e32 v20, 0x80000000, v3
	v_xor_b32_e32 v19, 0x80000000, v2
	ds_write_b64 v7, v[19:20]
; %bb.727:
	s_or_b64 exec, exec, s[16:17]
	s_waitcnt lgkmcnt(0)
	s_barrier
	s_barrier
	s_and_saveexec_b64 s[16:17], s[22:23]
; %bb.728:
	v_lshlrev_b32_e32 v19, 3, v4
	v_lshl_or_b32 v19, v5, 9, v19
	ds_write_b64 v19, v[2:3] offset:9344
; %bb.729:
	s_or_b64 exec, exec, s[16:17]
	s_waitcnt lgkmcnt(0)
	s_barrier
	s_barrier
	s_and_saveexec_b64 s[16:17], s[38:39]
	s_cbranch_execz .LBB62_731
; %bb.730:
	v_lshlrev_b32_e32 v19, 3, v0
	s_movk_i32 s18, 0x1f8
	v_mad_u32_u24 v20, v0, s18, v19
	ds_read_b64 v[2:3], v20 offset:9344
	s_waitcnt lgkmcnt(0)
	ds_write_b64 v19, v[2:3] offset:8336
	ds_read_b64 v[2:3], v20 offset:9352
	s_waitcnt lgkmcnt(0)
	ds_write_b64 v19, v[2:3] offset:8848
.LBB62_731:
	s_or_b64 exec, exec, s[16:17]
	s_waitcnt lgkmcnt(0)
	s_barrier
	s_and_saveexec_b64 s[16:17], vcc
	s_cbranch_execz .LBB62_733
; %bb.732:
	v_mov_b32_e32 v21, 0
	ds_read_b64 v[2:3], v21 offset:8832
	s_mov_b64 s[18:19], 0x3f800000
	v_mov_b32_e32 v20, s19
	v_mov_b32_e32 v19, s18
	s_movk_i32 s18, 0x2000
	ds_write_b64 v21, v[19:20] offset:8840
	v_add_u32_e64 v21, s18, 0
	s_waitcnt lgkmcnt(1)
	ds_write2_b64 v21, v[19:20], v[2:3] offset0:16 offset1:17
.LBB62_733:
	s_or_b64 exec, exec, s[16:17]
	v_mov_b32_e32 v3, 0
	v_mov_b32_e32 v2, 0
	s_waitcnt lgkmcnt(0)
	s_barrier
	buffer_wbinvl1_vol
	s_and_saveexec_b64 s[18:19], s[14:15]
	s_cbranch_execz .LBB62_761
; %bb.734:
	v_lshlrev_b32_e32 v19, 3, v16
	v_lshlrev_b32_e32 v20, 9, v17
	ds_read_b64 v[2:3], v19 offset:8192
	ds_read_b64 v[21:22], v20 offset:8320
	s_movk_i32 s16, 0xf0
	v_cmp_gt_u32_e64 s[16:17], s16, v9
	s_waitcnt lgkmcnt(0)
	v_mul_f32_e32 v23, v22, v3
	v_mul_f32_e32 v3, v21, v3
	v_fma_f32 v21, v21, v2, -v23
	v_fmac_f32_e32 v3, v22, v2
	v_add_f32_e32 v2, 0, v21
	v_add_f32_e32 v3, 0, v3
	s_and_saveexec_b64 s[20:21], s[16:17]
	s_cbranch_execz .LBB62_736
; %bb.735:
	ds_read_b64 v[21:22], v19 offset:8704
	ds_read_b64 v[23:24], v20 offset:8328
	s_waitcnt lgkmcnt(0)
	v_mul_f32_e32 v25, v24, v22
	v_mul_f32_e32 v22, v23, v22
	v_fma_f32 v23, v23, v21, -v25
	v_fmac_f32_e32 v22, v24, v21
	v_add_f32_e32 v2, v2, v23
	v_add_f32_e32 v3, v3, v22
.LBB62_736:
	s_or_b64 exec, exec, s[20:21]
	s_movk_i32 s16, 0xe0
	v_cmp_gt_u32_e64 s[16:17], s16, v9
	s_and_saveexec_b64 s[20:21], s[16:17]
	s_cbranch_execz .LBB62_738
; %bb.737:
	ds_read_b64 v[21:22], v19 offset:9216
	ds_read_b64 v[23:24], v20 offset:8336
	s_waitcnt lgkmcnt(0)
	v_mul_f32_e32 v25, v24, v22
	v_mul_f32_e32 v22, v23, v22
	v_fma_f32 v23, v23, v21, -v25
	v_fmac_f32_e32 v22, v24, v21
	v_add_f32_e32 v2, v2, v23
	v_add_f32_e32 v3, v3, v22
.LBB62_738:
	s_or_b64 exec, exec, s[20:21]
	s_movk_i32 s16, 0xd0
	v_cmp_gt_u32_e64 s[16:17], s16, v9
	;; [unrolled: 16-line block ×10, first 2 shown]
	s_and_saveexec_b64 s[20:21], s[16:17]
	s_cbranch_execnz .LBB62_1088
; %bb.755:
	s_or_b64 exec, exec, s[20:21]
	s_and_saveexec_b64 s[16:17], s[12:13]
	s_cbranch_execnz .LBB62_1089
.LBB62_756:
	s_or_b64 exec, exec, s[16:17]
	v_cmp_gt_u32_e64 s[16:17], 48, v9
	s_and_saveexec_b64 s[20:21], s[16:17]
	s_cbranch_execnz .LBB62_1090
.LBB62_757:
	s_or_b64 exec, exec, s[20:21]
	v_cmp_gt_u32_e64 s[16:17], 32, v9
	s_and_saveexec_b64 s[20:21], s[16:17]
	s_cbranch_execnz .LBB62_1091
.LBB62_758:
	s_or_b64 exec, exec, s[20:21]
	v_cmp_gt_u32_e64 s[16:17], 16, v9
	s_and_saveexec_b64 s[20:21], s[16:17]
	s_cbranch_execz .LBB62_760
.LBB62_759:
	v_lshlrev_b32_e32 v19, 3, v0
	v_mov_b32_e32 v21, 0
	ds_read_b64 v[19:20], v19 offset:15872
	ds_read_b64 v[21:22], v21 offset:16120
	s_waitcnt lgkmcnt(0)
	v_mul_f32_e32 v23, v22, v20
	v_mul_f32_e32 v20, v21, v20
	v_fma_f32 v21, v21, v19, -v23
	v_fmac_f32_e32 v20, v22, v19
	v_add_f32_e32 v2, v2, v21
	v_add_f32_e32 v3, v3, v20
.LBB62_760:
	s_or_b64 exec, exec, s[20:21]
.LBB62_761:
	s_or_b64 exec, exec, s[18:19]
	s_mov_b64 s[16:17], exec
	v_readlane_b32 s18, v29, 2
	v_readlane_b32 s19, v29, 3
	s_and_b64 s[18:19], s[16:17], s[18:19]
	s_mov_b64 exec, s[18:19]
; %bb.762:
	v_xor_b32_e32 v19, 0x80000000, v2
	v_xor_b32_e32 v20, 0x80000000, v3
	ds_write_b64 v18, v[19:20]
; %bb.763:
	s_or_b64 exec, exec, s[16:17]
	s_waitcnt lgkmcnt(0)
	s_barrier
	s_mov_b64 s[16:17], exec
	v_readlane_b32 s18, v29, 4
	v_readlane_b32 s19, v29, 5
	s_and_b64 s[18:19], s[16:17], s[18:19]
	s_mov_b64 exec, s[18:19]
	s_cbranch_execz .LBB62_765
; %bb.764:
	v_lshlrev_b32_e32 v19, 3, v16
	ds_read_b64 v[19:20], v19 offset:7680
	ds_read_b64 v[21:22], v18
	s_waitcnt lgkmcnt(0)
	v_mul_f32_e32 v23, v22, v20
	v_mul_f32_e32 v20, v21, v20
	v_fma_f32 v21, v21, v19, -v23
	v_fmac_f32_e32 v20, v22, v19
	v_sub_f32_e32 v2, v2, v21
	v_sub_f32_e32 v3, v3, v20
.LBB62_765:
	s_or_b64 exec, exec, s[16:17]
	s_barrier
	s_mov_b64 s[16:17], exec
	v_readlane_b32 s18, v29, 6
	v_readlane_b32 s19, v29, 7
	s_and_b64 s[18:19], s[16:17], s[18:19]
	s_mov_b64 exec, s[18:19]
; %bb.766:
	v_xor_b32_e32 v19, 0x80000000, v2
	v_xor_b32_e32 v20, 0x80000000, v3
	ds_write_b64 v18, v[19:20]
; %bb.767:
	s_or_b64 exec, exec, s[16:17]
	s_waitcnt lgkmcnt(0)
	s_barrier
	s_mov_b64 s[16:17], exec
	v_readlane_b32 s18, v29, 8
	v_readlane_b32 s19, v29, 9
	s_and_b64 s[18:19], s[16:17], s[18:19]
	s_mov_b64 exec, s[18:19]
	s_cbranch_execz .LBB62_769
; %bb.768:
	v_lshlrev_b32_e32 v19, 3, v16
	ds_read_b64 v[19:20], v19 offset:7168
	ds_read_b64 v[21:22], v18
	s_waitcnt lgkmcnt(0)
	v_mul_f32_e32 v23, v22, v20
	v_mul_f32_e32 v20, v21, v20
	v_fma_f32 v21, v21, v19, -v23
	v_fmac_f32_e32 v20, v22, v19
	v_sub_f32_e32 v2, v2, v21
	v_sub_f32_e32 v3, v3, v20
.LBB62_769:
	s_or_b64 exec, exec, s[16:17]
	s_barrier
	;; [unrolled: 33-line block ×12, first 2 shown]
	s_and_saveexec_b64 s[16:17], s[6:7]
; %bb.810:
	v_xor_b32_e32 v19, 0x80000000, v2
	v_xor_b32_e32 v20, 0x80000000, v3
	ds_write_b64 v18, v[19:20]
; %bb.811:
	s_or_b64 exec, exec, s[16:17]
	s_waitcnt lgkmcnt(0)
	s_barrier
	s_mov_b64 s[6:7], exec
	v_readlane_b32 s16, v29, 50
	v_readlane_b32 s17, v29, 51
	s_and_b64 s[16:17], s[6:7], s[16:17]
	s_mov_b64 exec, s[16:17]
	s_cbranch_execz .LBB62_813
; %bb.812:
	v_lshlrev_b32_e32 v19, 3, v16
	ds_read_b64 v[19:20], v19 offset:1536
	ds_read_b64 v[21:22], v18
	s_waitcnt lgkmcnt(0)
	v_mul_f32_e32 v23, v22, v20
	v_mul_f32_e32 v20, v21, v20
	v_fma_f32 v21, v21, v19, -v23
	v_fmac_f32_e32 v20, v22, v19
	v_sub_f32_e32 v2, v2, v21
	v_sub_f32_e32 v3, v3, v20
.LBB62_813:
	s_or_b64 exec, exec, s[6:7]
	s_barrier
	s_and_saveexec_b64 s[6:7], s[84:85]
; %bb.814:
	v_xor_b32_e32 v19, 0x80000000, v2
	v_xor_b32_e32 v20, 0x80000000, v3
	ds_write_b64 v18, v[19:20]
; %bb.815:
	s_or_b64 exec, exec, s[6:7]
	s_waitcnt lgkmcnt(0)
	s_barrier
	s_and_saveexec_b64 s[6:7], s[86:87]
	s_cbranch_execz .LBB62_817
; %bb.816:
	v_lshlrev_b32_e32 v19, 3, v16
	ds_read_b64 v[19:20], v19 offset:1024
	ds_read_b64 v[21:22], v18
	s_waitcnt lgkmcnt(0)
	v_mul_f32_e32 v23, v22, v20
	v_mul_f32_e32 v20, v21, v20
	v_fma_f32 v21, v21, v19, -v23
	v_fmac_f32_e32 v20, v22, v19
	v_sub_f32_e32 v2, v2, v21
	v_sub_f32_e32 v3, v3, v20
.LBB62_817:
	s_or_b64 exec, exec, s[6:7]
	s_barrier
	s_and_saveexec_b64 s[6:7], s[90:91]
; %bb.818:
	v_xor_b32_e32 v19, 0x80000000, v2
	v_xor_b32_e32 v20, 0x80000000, v3
	ds_write_b64 v18, v[19:20]
; %bb.819:
	s_or_b64 exec, exec, s[6:7]
	s_waitcnt lgkmcnt(0)
	s_barrier
	s_and_saveexec_b64 s[6:7], s[88:89]
	s_cbranch_execz .LBB62_821
; %bb.820:
	v_mov_b32_e32 v19, 0
	ds_read_b64 v[19:20], v19 offset:512
	ds_read_b64 v[21:22], v18
	s_waitcnt lgkmcnt(0)
	v_mul_f32_e32 v23, v22, v20
	v_mul_f32_e32 v20, v21, v20
	v_fma_f32 v21, v21, v19, -v23
	v_fmac_f32_e32 v20, v22, v19
	v_sub_f32_e32 v2, v2, v21
	v_sub_f32_e32 v3, v3, v20
.LBB62_821:
	s_or_b64 exec, exec, s[6:7]
	s_barrier
	s_and_saveexec_b64 s[6:7], s[88:89]
; %bb.822:
	v_xor_b32_e32 v19, 0x80000000, v2
	v_xor_b32_e32 v20, 0x80000000, v3
	ds_write_b64 v18, v[19:20]
; %bb.823:
	s_or_b64 exec, exec, s[6:7]
	s_waitcnt lgkmcnt(0)
	s_barrier
	s_barrier
	s_and_saveexec_b64 s[6:7], s[14:15]
; %bb.824:
	v_lshlrev_b32_e32 v16, 3, v16
	v_lshl_or_b32 v16, v17, 9, v16
	ds_write_b64 v16, v[2:3] offset:8192
; %bb.825:
	s_or_b64 exec, exec, s[6:7]
	s_waitcnt lgkmcnt(0)
	s_barrier
	s_barrier
	s_and_saveexec_b64 s[6:7], s[92:93]
	s_cbranch_execz .LBB62_827
; %bb.826:
	v_lshlrev_b32_e32 v16, 9, v0
	ds_read_b64 v[2:3], v16 offset:8192
	s_movk_i32 s14, 0xfe08
	v_mad_i32_i24 v17, v0, s14, v16
	s_waitcnt lgkmcnt(0)
	ds_write_b64 v17, v[2:3] offset:128
	ds_read_b64 v[2:3], v16 offset:8200
	s_waitcnt lgkmcnt(0)
	ds_write_b64 v17, v[2:3] offset:640
	ds_read_b64 v[2:3], v16 offset:8208
	;; [unrolled: 3-line block ×15, first 2 shown]
	s_waitcnt lgkmcnt(0)
	ds_write_b64 v17, v[2:3] offset:7808
.LBB62_827:
	s_or_b64 exec, exec, s[6:7]
	s_waitcnt lgkmcnt(0)
	s_barrier
	s_and_saveexec_b64 s[6:7], vcc
	s_cbranch_execz .LBB62_829
; %bb.828:
	v_mov_b32_e32 v18, 0
	ds_read_b64 v[2:3], v18 offset:7792
	s_mov_b64 s[14:15], 0x3f800000
	v_mov_b32_e32 v17, s15
	v_mov_b32_e32 v16, s14
	s_movk_i32 s14, 0x1800
	ds_write_b64 v18, v[16:17] offset:7800
	v_add_u32_e64 v18, s14, 0
	s_waitcnt lgkmcnt(1)
	ds_write2_b64 v18, v[16:17], v[2:3] offset0:142 offset1:143
.LBB62_829:
	s_or_b64 exec, exec, s[6:7]
	v_mov_b32_e32 v2, 0
	v_mov_b32_e32 v3, 0
	s_waitcnt lgkmcnt(0)
	s_barrier
	buffer_wbinvl1_vol
	s_and_saveexec_b64 s[6:7], s[22:23]
	s_cbranch_execz .LBB62_833
; %bb.830:
	v_lshlrev_b32_e32 v2, 3, v4
	v_lshlrev_b32_e32 v16, 9, v5
	ds_read_b64 v[2:3], v2 offset:7264
	ds_read_b64 v[16:17], v16 offset:7280
	v_cmp_gt_u32_e64 s[14:15], 2, v9
	s_waitcnt lgkmcnt(0)
	v_mul_f32_e32 v18, v17, v3
	v_mul_f32_e32 v3, v16, v3
	v_fma_f32 v16, v16, v2, -v18
	v_fmac_f32_e32 v3, v17, v2
	v_add_f32_e32 v2, 0, v16
	v_add_f32_e32 v3, 0, v3
	s_and_saveexec_b64 s[16:17], s[14:15]
	s_cbranch_execz .LBB62_832
; %bb.831:
	v_lshlrev_b32_e32 v16, 3, v0
	v_mov_b32_e32 v18, 0
	ds_read_b64 v[16:17], v16 offset:7776
	ds_read_b64 v[18:19], v18 offset:7800
	s_waitcnt lgkmcnt(0)
	v_mul_f32_e32 v20, v19, v17
	v_mul_f32_e32 v17, v18, v17
	v_fma_f32 v18, v18, v16, -v20
	v_fmac_f32_e32 v17, v19, v16
	v_add_f32_e32 v2, v2, v18
	v_add_f32_e32 v3, v3, v17
.LBB62_832:
	s_or_b64 exec, exec, s[16:17]
.LBB62_833:
	s_or_b64 exec, exec, s[6:7]
	s_and_saveexec_b64 s[6:7], s[36:37]
; %bb.834:
	v_xor_b32_e32 v17, 0x80000000, v3
	v_xor_b32_e32 v16, 0x80000000, v2
	ds_write_b64 v7, v[16:17]
; %bb.835:
	s_or_b64 exec, exec, s[6:7]
	s_waitcnt lgkmcnt(0)
	s_barrier
	s_and_saveexec_b64 s[6:7], s[30:31]
	s_cbranch_execz .LBB62_837
; %bb.836:
	v_mov_b32_e32 v16, 0
	ds_read_b64 v[16:17], v16 offset:6752
	ds_read_b64 v[18:19], v7
	s_waitcnt lgkmcnt(0)
	v_mul_f32_e32 v20, v18, v16
	v_mul_f32_e32 v18, v18, v17
	v_fmac_f32_e32 v18, v19, v16
	v_fma_f32 v16, v19, v17, -v20
	v_add_f32_e32 v2, v2, v16
	v_sub_f32_e32 v3, v3, v18
.LBB62_837:
	s_or_b64 exec, exec, s[6:7]
	s_barrier
	s_and_saveexec_b64 s[6:7], s[30:31]
; %bb.838:
	v_xor_b32_e32 v17, 0x80000000, v3
	v_xor_b32_e32 v16, 0x80000000, v2
	ds_write_b64 v7, v[16:17]
; %bb.839:
	s_or_b64 exec, exec, s[6:7]
	s_waitcnt lgkmcnt(0)
	s_barrier
	s_barrier
	s_and_saveexec_b64 s[6:7], s[22:23]
; %bb.840:
	v_lshlrev_b32_e32 v16, 3, v4
	v_lshl_or_b32 v16, v5, 9, v16
	ds_write_b64 v16, v[2:3] offset:7264
; %bb.841:
	s_or_b64 exec, exec, s[6:7]
	s_waitcnt lgkmcnt(0)
	s_barrier
	s_barrier
	s_and_saveexec_b64 s[6:7], s[38:39]
	s_cbranch_execz .LBB62_843
; %bb.842:
	v_lshlrev_b32_e32 v16, 3, v0
	s_movk_i32 s14, 0x1f8
	v_mad_u32_u24 v17, v0, s14, v16
	ds_read_b64 v[2:3], v17 offset:7264
	s_waitcnt lgkmcnt(0)
	ds_write_b64 v16, v[2:3] offset:6256
	ds_read_b64 v[2:3], v17 offset:7272
	s_waitcnt lgkmcnt(0)
	ds_write_b64 v16, v[2:3] offset:6768
.LBB62_843:
	s_or_b64 exec, exec, s[6:7]
	s_waitcnt lgkmcnt(0)
	s_barrier
	s_and_saveexec_b64 s[6:7], vcc
	s_cbranch_execz .LBB62_845
; %bb.844:
	v_mov_b32_e32 v18, 0
	ds_read_b64 v[2:3], v18 offset:6752
	s_mov_b64 s[14:15], 0x3f800000
	v_mov_b32_e32 v17, s15
	v_mov_b32_e32 v16, s14
	s_movk_i32 s14, 0x1800
	ds_write_b64 v18, v[16:17] offset:6760
	v_add_u32_e64 v18, s14, 0
	s_waitcnt lgkmcnt(1)
	ds_write2_b64 v18, v[16:17], v[2:3] offset0:12 offset1:13
.LBB62_845:
	s_or_b64 exec, exec, s[6:7]
	v_mov_b32_e32 v3, 0
	v_mov_b32_e32 v2, 0
	s_waitcnt lgkmcnt(0)
	s_barrier
	buffer_wbinvl1_vol
	s_and_saveexec_b64 s[6:7], s[10:11]
	s_cbranch_execz .LBB62_851
; %bb.846:
	v_lshlrev_b32_e32 v16, 3, v10
	v_lshlrev_b32_e32 v17, 9, v11
	ds_read_b64 v[2:3], v16 offset:6208
	ds_read_b64 v[18:19], v17 offset:6240
	v_cmp_gt_u32_e64 s[14:15], 12, v9
	s_waitcnt lgkmcnt(0)
	v_mul_f32_e32 v20, v19, v3
	v_mul_f32_e32 v3, v18, v3
	v_fma_f32 v18, v18, v2, -v20
	v_fmac_f32_e32 v3, v19, v2
	v_add_f32_e32 v2, 0, v18
	v_add_f32_e32 v3, 0, v3
	s_and_saveexec_b64 s[16:17], s[14:15]
	s_cbranch_execnz .LBB62_1092
; %bb.847:
	s_or_b64 exec, exec, s[16:17]
	v_cmp_gt_u32_e64 s[14:15], 8, v9
	s_and_saveexec_b64 s[16:17], s[14:15]
	s_cbranch_execnz .LBB62_1093
.LBB62_848:
	s_or_b64 exec, exec, s[16:17]
	v_cmp_gt_u32_e64 s[14:15], 4, v9
	s_and_saveexec_b64 s[16:17], s[14:15]
	s_cbranch_execz .LBB62_850
.LBB62_849:
	v_lshlrev_b32_e32 v16, 3, v0
	v_mov_b32_e32 v18, 0
	ds_read_b64 v[16:17], v16 offset:7744
	ds_read_b64 v[18:19], v18 offset:7800
	s_waitcnt lgkmcnt(0)
	v_mul_f32_e32 v20, v19, v17
	v_mul_f32_e32 v17, v18, v17
	v_fma_f32 v18, v18, v16, -v20
	v_fmac_f32_e32 v17, v19, v16
	v_add_f32_e32 v2, v2, v18
	v_add_f32_e32 v3, v3, v17
.LBB62_850:
	s_or_b64 exec, exec, s[16:17]
.LBB62_851:
	s_or_b64 exec, exec, s[6:7]
	s_and_saveexec_b64 s[6:7], s[42:43]
; %bb.852:
	v_xor_b32_e32 v16, 0x80000000, v2
	v_xor_b32_e32 v17, 0x80000000, v3
	ds_write_b64 v12, v[16:17]
; %bb.853:
	s_or_b64 exec, exec, s[6:7]
	s_waitcnt lgkmcnt(0)
	s_barrier
	s_and_saveexec_b64 s[6:7], s[44:45]
	s_cbranch_execz .LBB62_855
; %bb.854:
	v_lshlrev_b32_e32 v16, 3, v10
	ds_read_b64 v[16:17], v16 offset:5696
	ds_read_b64 v[18:19], v12
	s_waitcnt lgkmcnt(0)
	v_mul_f32_e32 v20, v19, v17
	v_mul_f32_e32 v17, v18, v17
	v_fma_f32 v18, v18, v16, -v20
	v_fmac_f32_e32 v17, v19, v16
	v_sub_f32_e32 v2, v2, v18
	v_sub_f32_e32 v3, v3, v17
.LBB62_855:
	s_or_b64 exec, exec, s[6:7]
	s_barrier
	s_and_saveexec_b64 s[6:7], s[46:47]
; %bb.856:
	v_xor_b32_e32 v16, 0x80000000, v2
	v_xor_b32_e32 v17, 0x80000000, v3
	ds_write_b64 v12, v[16:17]
; %bb.857:
	s_or_b64 exec, exec, s[6:7]
	s_waitcnt lgkmcnt(0)
	s_barrier
	s_and_saveexec_b64 s[6:7], s[48:49]
	s_cbranch_execz .LBB62_859
; %bb.858:
	v_lshlrev_b32_e32 v16, 3, v10
	ds_read_b64 v[16:17], v16 offset:5184
	ds_read_b64 v[18:19], v12
	s_waitcnt lgkmcnt(0)
	v_mul_f32_e32 v20, v19, v17
	v_mul_f32_e32 v17, v18, v17
	v_fma_f32 v18, v18, v16, -v20
	v_fmac_f32_e32 v17, v19, v16
	v_sub_f32_e32 v2, v2, v18
	v_sub_f32_e32 v3, v3, v17
.LBB62_859:
	s_or_b64 exec, exec, s[6:7]
	s_barrier
	s_and_saveexec_b64 s[6:7], s[50:51]
; %bb.860:
	v_xor_b32_e32 v16, 0x80000000, v2
	v_xor_b32_e32 v17, 0x80000000, v3
	ds_write_b64 v12, v[16:17]
; %bb.861:
	s_or_b64 exec, exec, s[6:7]
	s_waitcnt lgkmcnt(0)
	s_barrier
	s_and_saveexec_b64 s[6:7], s[40:41]
	s_cbranch_execz .LBB62_863
; %bb.862:
	v_mov_b32_e32 v16, 0
	ds_read_b64 v[16:17], v16 offset:4672
	ds_read_b64 v[18:19], v12
	s_waitcnt lgkmcnt(0)
	v_mul_f32_e32 v20, v19, v17
	v_mul_f32_e32 v17, v18, v17
	v_fma_f32 v18, v18, v16, -v20
	v_fmac_f32_e32 v17, v19, v16
	v_sub_f32_e32 v2, v2, v18
	v_sub_f32_e32 v3, v3, v17
.LBB62_863:
	s_or_b64 exec, exec, s[6:7]
	s_barrier
	s_and_saveexec_b64 s[6:7], s[40:41]
; %bb.864:
	v_xor_b32_e32 v16, 0x80000000, v2
	v_xor_b32_e32 v17, 0x80000000, v3
	ds_write_b64 v12, v[16:17]
; %bb.865:
	s_or_b64 exec, exec, s[6:7]
	s_waitcnt lgkmcnt(0)
	s_barrier
	s_barrier
	s_and_saveexec_b64 s[6:7], s[10:11]
; %bb.866:
	v_lshlrev_b32_e32 v16, 3, v10
	v_lshl_or_b32 v16, v11, 9, v16
	ds_write_b64 v16, v[2:3] offset:6208
; %bb.867:
	s_or_b64 exec, exec, s[6:7]
	s_waitcnt lgkmcnt(0)
	s_barrier
	s_barrier
	s_and_saveexec_b64 s[6:7], s[52:53]
	s_cbranch_execz .LBB62_869
; %bb.868:
	v_lshlrev_b32_e32 v16, 9, v0
	ds_read_b64 v[2:3], v16 offset:6208
	s_movk_i32 s14, 0xfe08
	v_mad_i32_i24 v17, v0, s14, v16
	s_waitcnt lgkmcnt(0)
	ds_write_b64 v17, v[2:3] offset:4192
	ds_read_b64 v[2:3], v16 offset:6216
	s_waitcnt lgkmcnt(0)
	ds_write_b64 v17, v[2:3] offset:4704
	ds_read_b64 v[2:3], v16 offset:6224
	;; [unrolled: 3-line block ×3, first 2 shown]
	s_waitcnt lgkmcnt(0)
	ds_write_b64 v17, v[2:3] offset:5728
.LBB62_869:
	s_or_b64 exec, exec, s[6:7]
	s_waitcnt lgkmcnt(0)
	s_barrier
	s_and_saveexec_b64 s[6:7], vcc
	s_cbranch_execz .LBB62_871
; %bb.870:
	v_mov_b32_e32 v18, 0
	ds_read_b64 v[2:3], v18 offset:5712
	s_mov_b64 s[14:15], 0x3f800000
	v_mov_b32_e32 v17, s15
	v_mov_b32_e32 v16, s14
	s_movk_i32 s14, 0x1000
	ds_write_b64 v18, v[16:17] offset:5720
	v_add_u32_e64 v18, s14, 0
	s_waitcnt lgkmcnt(1)
	ds_write2_b64 v18, v[16:17], v[2:3] offset0:138 offset1:139
.LBB62_871:
	s_or_b64 exec, exec, s[6:7]
	v_mov_b32_e32 v2, 0
	v_mov_b32_e32 v3, 0
	s_waitcnt lgkmcnt(0)
	s_barrier
	buffer_wbinvl1_vol
	s_and_saveexec_b64 s[6:7], s[22:23]
	s_cbranch_execz .LBB62_875
; %bb.872:
	v_lshlrev_b32_e32 v2, 3, v4
	v_lshlrev_b32_e32 v16, 9, v5
	ds_read_b64 v[2:3], v2 offset:5184
	ds_read_b64 v[16:17], v16 offset:5200
	v_cmp_gt_u32_e64 s[14:15], 2, v9
	s_waitcnt lgkmcnt(0)
	v_mul_f32_e32 v18, v17, v3
	v_mul_f32_e32 v3, v16, v3
	v_fma_f32 v16, v16, v2, -v18
	v_fmac_f32_e32 v3, v17, v2
	v_add_f32_e32 v2, 0, v16
	v_add_f32_e32 v3, 0, v3
	s_and_saveexec_b64 s[16:17], s[14:15]
	s_cbranch_execz .LBB62_874
; %bb.873:
	v_lshlrev_b32_e32 v16, 3, v0
	v_mov_b32_e32 v18, 0
	ds_read_b64 v[16:17], v16 offset:5696
	ds_read_b64 v[18:19], v18 offset:5720
	s_waitcnt lgkmcnt(0)
	v_mul_f32_e32 v20, v19, v17
	v_mul_f32_e32 v17, v18, v17
	v_fma_f32 v18, v18, v16, -v20
	v_fmac_f32_e32 v17, v19, v16
	v_add_f32_e32 v2, v2, v18
	v_add_f32_e32 v3, v3, v17
.LBB62_874:
	s_or_b64 exec, exec, s[16:17]
.LBB62_875:
	s_or_b64 exec, exec, s[6:7]
	s_and_saveexec_b64 s[6:7], s[36:37]
; %bb.876:
	v_xor_b32_e32 v17, 0x80000000, v3
	v_xor_b32_e32 v16, 0x80000000, v2
	ds_write_b64 v7, v[16:17]
; %bb.877:
	s_or_b64 exec, exec, s[6:7]
	s_waitcnt lgkmcnt(0)
	s_barrier
	s_and_saveexec_b64 s[6:7], s[30:31]
	s_cbranch_execz .LBB62_879
; %bb.878:
	v_mov_b32_e32 v16, 0
	ds_read_b64 v[16:17], v16 offset:4672
	ds_read_b64 v[18:19], v7
	s_waitcnt lgkmcnt(0)
	v_mul_f32_e32 v20, v18, v16
	v_mul_f32_e32 v18, v18, v17
	v_fmac_f32_e32 v18, v19, v16
	v_fma_f32 v16, v19, v17, -v20
	v_add_f32_e32 v2, v2, v16
	v_sub_f32_e32 v3, v3, v18
.LBB62_879:
	s_or_b64 exec, exec, s[6:7]
	s_barrier
	s_and_saveexec_b64 s[6:7], s[30:31]
; %bb.880:
	v_xor_b32_e32 v17, 0x80000000, v3
	v_xor_b32_e32 v16, 0x80000000, v2
	ds_write_b64 v7, v[16:17]
; %bb.881:
	s_or_b64 exec, exec, s[6:7]
	s_waitcnt lgkmcnt(0)
	s_barrier
	s_barrier
	s_and_saveexec_b64 s[6:7], s[22:23]
; %bb.882:
	v_lshlrev_b32_e32 v16, 3, v4
	v_lshl_or_b32 v16, v5, 9, v16
	ds_write_b64 v16, v[2:3] offset:5184
; %bb.883:
	s_or_b64 exec, exec, s[6:7]
	s_waitcnt lgkmcnt(0)
	s_barrier
	s_barrier
	s_and_saveexec_b64 s[6:7], s[38:39]
	s_cbranch_execz .LBB62_885
; %bb.884:
	v_lshlrev_b32_e32 v16, 3, v0
	s_movk_i32 s14, 0x1f8
	v_mad_u32_u24 v17, v0, s14, v16
	ds_read_b64 v[2:3], v17 offset:5184
	s_waitcnt lgkmcnt(0)
	ds_write_b64 v16, v[2:3] offset:4176
	ds_read_b64 v[2:3], v17 offset:5192
	s_waitcnt lgkmcnt(0)
	ds_write_b64 v16, v[2:3] offset:4688
.LBB62_885:
	s_or_b64 exec, exec, s[6:7]
	s_waitcnt lgkmcnt(0)
	s_barrier
	s_and_saveexec_b64 s[6:7], vcc
	s_cbranch_execz .LBB62_887
; %bb.886:
	v_mov_b32_e32 v18, 0
	ds_read_b64 v[2:3], v18 offset:4672
	s_mov_b64 s[14:15], 0x3f800000
	v_mov_b32_e32 v17, s15
	v_mov_b32_e32 v16, s14
	s_movk_i32 s14, 0x1000
	ds_write_b64 v18, v[16:17] offset:4680
	v_add_u32_e64 v18, s14, 0
	s_waitcnt lgkmcnt(1)
	ds_write2_b64 v18, v[16:17], v[2:3] offset0:8 offset1:9
.LBB62_887:
	s_or_b64 exec, exec, s[6:7]
	v_mov_b32_e32 v3, 0
	v_mov_b32_e32 v2, 0
	s_waitcnt lgkmcnt(0)
	s_barrier
	buffer_wbinvl1_vol
	s_and_saveexec_b64 s[6:7], s[12:13]
	s_cbranch_execz .LBB62_897
; %bb.888:
	v_lshlrev_b32_e32 v16, 3, v13
	v_lshlrev_b32_e32 v17, 9, v14
	ds_read_b64 v[2:3], v16 offset:4096
	ds_read_b64 v[18:19], v17 offset:4160
	v_cmp_gt_u32_e64 s[14:15], 56, v9
	s_waitcnt lgkmcnt(0)
	v_mul_f32_e32 v20, v19, v3
	v_mul_f32_e32 v3, v18, v3
	v_fma_f32 v18, v18, v2, -v20
	v_fmac_f32_e32 v3, v19, v2
	v_add_f32_e32 v2, 0, v18
	v_add_f32_e32 v3, 0, v3
	s_and_saveexec_b64 s[16:17], s[14:15]
	s_cbranch_execnz .LBB62_1094
; %bb.889:
	s_or_b64 exec, exec, s[16:17]
	v_cmp_gt_u32_e64 s[14:15], 48, v9
	s_and_saveexec_b64 s[16:17], s[14:15]
	s_cbranch_execnz .LBB62_1095
.LBB62_890:
	s_or_b64 exec, exec, s[16:17]
	v_cmp_gt_u32_e64 s[14:15], 40, v9
	s_and_saveexec_b64 s[16:17], s[14:15]
	s_cbranch_execnz .LBB62_1096
.LBB62_891:
	s_or_b64 exec, exec, s[16:17]
	v_cmp_gt_u32_e64 s[14:15], 32, v9
	s_and_saveexec_b64 s[16:17], s[14:15]
	s_cbranch_execnz .LBB62_1097
.LBB62_892:
	s_or_b64 exec, exec, s[16:17]
	v_cmp_gt_u32_e64 s[14:15], 24, v9
	s_and_saveexec_b64 s[16:17], s[14:15]
	s_cbranch_execnz .LBB62_1098
.LBB62_893:
	s_or_b64 exec, exec, s[16:17]
	s_and_saveexec_b64 s[14:15], s[10:11]
	s_cbranch_execnz .LBB62_1099
.LBB62_894:
	s_or_b64 exec, exec, s[14:15]
	v_cmp_gt_u32_e64 s[14:15], 8, v9
	s_and_saveexec_b64 s[16:17], s[14:15]
	s_cbranch_execz .LBB62_896
.LBB62_895:
	v_lshlrev_b32_e32 v16, 3, v0
	v_mov_b32_e32 v18, 0
	ds_read_b64 v[16:17], v16 offset:7680
	ds_read_b64 v[18:19], v18 offset:7800
	s_waitcnt lgkmcnt(0)
	v_mul_f32_e32 v20, v19, v17
	v_mul_f32_e32 v17, v18, v17
	v_fma_f32 v18, v18, v16, -v20
	v_fmac_f32_e32 v17, v19, v16
	v_add_f32_e32 v2, v2, v18
	v_add_f32_e32 v3, v3, v17
.LBB62_896:
	s_or_b64 exec, exec, s[16:17]
.LBB62_897:
	s_or_b64 exec, exec, s[6:7]
	s_and_saveexec_b64 s[6:7], s[56:57]
; %bb.898:
	v_xor_b32_e32 v17, 0x80000000, v3
	v_xor_b32_e32 v16, 0x80000000, v2
	ds_write_b64 v15, v[16:17]
; %bb.899:
	s_or_b64 exec, exec, s[6:7]
	s_waitcnt lgkmcnt(0)
	s_barrier
	s_and_saveexec_b64 s[6:7], s[58:59]
	s_cbranch_execz .LBB62_901
; %bb.900:
	v_lshlrev_b32_e32 v16, 3, v13
	ds_read_b64 v[16:17], v16 offset:3584
	ds_read_b64 v[18:19], v15
	s_waitcnt lgkmcnt(0)
	v_mul_f32_e32 v20, v19, v17
	v_mul_f32_e32 v17, v18, v17
	v_fma_f32 v18, v18, v16, -v20
	v_fmac_f32_e32 v17, v19, v16
	v_sub_f32_e32 v2, v2, v18
	v_sub_f32_e32 v3, v3, v17
.LBB62_901:
	s_or_b64 exec, exec, s[6:7]
	s_barrier
	s_and_saveexec_b64 s[6:7], s[60:61]
; %bb.902:
	v_xor_b32_e32 v17, 0x80000000, v3
	v_xor_b32_e32 v16, 0x80000000, v2
	ds_write_b64 v15, v[16:17]
; %bb.903:
	s_or_b64 exec, exec, s[6:7]
	s_waitcnt lgkmcnt(0)
	s_barrier
	s_and_saveexec_b64 s[6:7], s[62:63]
	s_cbranch_execz .LBB62_905
; %bb.904:
	v_lshlrev_b32_e32 v16, 3, v13
	ds_read_b64 v[16:17], v16 offset:3072
	ds_read_b64 v[18:19], v15
	s_waitcnt lgkmcnt(0)
	v_mul_f32_e32 v20, v19, v17
	v_mul_f32_e32 v17, v18, v17
	v_fma_f32 v18, v18, v16, -v20
	v_fmac_f32_e32 v17, v19, v16
	v_sub_f32_e32 v2, v2, v18
	v_sub_f32_e32 v3, v3, v17
.LBB62_905:
	s_or_b64 exec, exec, s[6:7]
	s_barrier
	;; [unrolled: 25-line block ×6, first 2 shown]
	s_and_saveexec_b64 s[6:7], s[80:81]
; %bb.922:
	v_xor_b32_e32 v17, 0x80000000, v3
	v_xor_b32_e32 v16, 0x80000000, v2
	ds_write_b64 v15, v[16:17]
; %bb.923:
	s_or_b64 exec, exec, s[6:7]
	s_waitcnt lgkmcnt(0)
	s_barrier
	s_and_saveexec_b64 s[6:7], s[54:55]
	s_cbranch_execz .LBB62_925
; %bb.924:
	v_mov_b32_e32 v16, 0
	ds_read_b64 v[16:17], v16 offset:512
	ds_read_b64 v[18:19], v15
	s_waitcnt lgkmcnt(0)
	v_mul_f32_e32 v20, v19, v17
	v_mul_f32_e32 v17, v18, v17
	v_fma_f32 v18, v18, v16, -v20
	v_fmac_f32_e32 v17, v19, v16
	v_sub_f32_e32 v2, v2, v18
	v_sub_f32_e32 v3, v3, v17
.LBB62_925:
	s_or_b64 exec, exec, s[6:7]
	s_barrier
	s_and_saveexec_b64 s[6:7], s[54:55]
; %bb.926:
	v_xor_b32_e32 v17, 0x80000000, v3
	v_xor_b32_e32 v16, 0x80000000, v2
	ds_write_b64 v15, v[16:17]
; %bb.927:
	s_or_b64 exec, exec, s[6:7]
	s_waitcnt lgkmcnt(0)
	s_barrier
	s_barrier
	s_and_saveexec_b64 s[6:7], s[12:13]
; %bb.928:
	v_lshlrev_b32_e32 v13, 3, v13
	v_lshl_or_b32 v13, v14, 9, v13
	ds_write_b64 v13, v[2:3] offset:4096
; %bb.929:
	s_or_b64 exec, exec, s[6:7]
	s_waitcnt lgkmcnt(0)
	s_barrier
	s_barrier
	s_and_saveexec_b64 s[6:7], s[82:83]
	s_cbranch_execz .LBB62_931
; %bb.930:
	v_lshlrev_b32_e32 v13, 9, v0
	ds_read_b64 v[2:3], v13 offset:4096
	s_movk_i32 s12, 0xfe08
	v_mad_i32_i24 v14, v0, s12, v13
	s_waitcnt lgkmcnt(0)
	ds_write_b64 v14, v[2:3] offset:64
	ds_read_b64 v[2:3], v13 offset:4104
	s_waitcnt lgkmcnt(0)
	ds_write_b64 v14, v[2:3] offset:576
	ds_read_b64 v[2:3], v13 offset:4112
	;; [unrolled: 3-line block ×7, first 2 shown]
	s_waitcnt lgkmcnt(0)
	ds_write_b64 v14, v[2:3] offset:3648
.LBB62_931:
	s_or_b64 exec, exec, s[6:7]
	s_waitcnt lgkmcnt(0)
	s_barrier
	s_and_saveexec_b64 s[6:7], vcc
	s_cbranch_execz .LBB62_933
; %bb.932:
	v_mov_b32_e32 v15, 0
	ds_read_b64 v[2:3], v15 offset:3632
	s_mov_b64 s[12:13], 0x3f800000
	v_mov_b32_e32 v14, s13
	v_mov_b32_e32 v13, s12
	s_movk_i32 s12, 0x800
	ds_write_b64 v15, v[13:14] offset:3640
	v_add_u32_e64 v15, s12, 0
	s_waitcnt lgkmcnt(1)
	ds_write2_b64 v15, v[13:14], v[2:3] offset0:134 offset1:135
.LBB62_933:
	s_or_b64 exec, exec, s[6:7]
	v_mov_b32_e32 v2, 0
	v_mov_b32_e32 v3, 0
	s_waitcnt lgkmcnt(0)
	s_barrier
	buffer_wbinvl1_vol
	s_and_saveexec_b64 s[6:7], s[22:23]
	s_cbranch_execz .LBB62_937
; %bb.934:
	v_lshlrev_b32_e32 v2, 3, v4
	v_lshlrev_b32_e32 v13, 9, v5
	ds_read_b64 v[2:3], v2 offset:3104
	ds_read_b64 v[13:14], v13 offset:3120
	v_cmp_gt_u32_e64 s[12:13], 2, v9
	s_waitcnt lgkmcnt(0)
	v_mul_f32_e32 v15, v14, v3
	v_mul_f32_e32 v3, v13, v3
	v_fma_f32 v13, v13, v2, -v15
	v_fmac_f32_e32 v3, v14, v2
	v_add_f32_e32 v2, 0, v13
	v_add_f32_e32 v3, 0, v3
	s_and_saveexec_b64 s[14:15], s[12:13]
	s_cbranch_execz .LBB62_936
; %bb.935:
	v_lshlrev_b32_e32 v13, 3, v0
	v_mov_b32_e32 v15, 0
	ds_read_b64 v[13:14], v13 offset:3616
	ds_read_b64 v[15:16], v15 offset:3640
	s_waitcnt lgkmcnt(0)
	v_mul_f32_e32 v17, v16, v14
	v_mul_f32_e32 v14, v15, v14
	v_fma_f32 v15, v15, v13, -v17
	v_fmac_f32_e32 v14, v16, v13
	v_add_f32_e32 v2, v2, v15
	v_add_f32_e32 v3, v3, v14
.LBB62_936:
	s_or_b64 exec, exec, s[14:15]
.LBB62_937:
	s_or_b64 exec, exec, s[6:7]
	s_and_saveexec_b64 s[6:7], s[36:37]
; %bb.938:
	v_xor_b32_e32 v14, 0x80000000, v3
	v_xor_b32_e32 v13, 0x80000000, v2
	ds_write_b64 v7, v[13:14]
; %bb.939:
	s_or_b64 exec, exec, s[6:7]
	s_waitcnt lgkmcnt(0)
	s_barrier
	s_and_saveexec_b64 s[6:7], s[30:31]
	s_cbranch_execz .LBB62_941
; %bb.940:
	v_mov_b32_e32 v13, 0
	ds_read_b64 v[13:14], v13 offset:2592
	ds_read_b64 v[15:16], v7
	s_waitcnt lgkmcnt(0)
	v_mul_f32_e32 v17, v15, v13
	v_mul_f32_e32 v15, v15, v14
	v_fmac_f32_e32 v15, v16, v13
	v_fma_f32 v13, v16, v14, -v17
	v_add_f32_e32 v2, v2, v13
	v_sub_f32_e32 v3, v3, v15
.LBB62_941:
	s_or_b64 exec, exec, s[6:7]
	s_barrier
	s_and_saveexec_b64 s[6:7], s[30:31]
; %bb.942:
	v_xor_b32_e32 v14, 0x80000000, v3
	v_xor_b32_e32 v13, 0x80000000, v2
	ds_write_b64 v7, v[13:14]
; %bb.943:
	s_or_b64 exec, exec, s[6:7]
	s_waitcnt lgkmcnt(0)
	s_barrier
	s_barrier
	s_and_saveexec_b64 s[6:7], s[22:23]
; %bb.944:
	v_lshlrev_b32_e32 v13, 3, v4
	v_lshl_or_b32 v13, v5, 9, v13
	ds_write_b64 v13, v[2:3] offset:3104
; %bb.945:
	s_or_b64 exec, exec, s[6:7]
	s_waitcnt lgkmcnt(0)
	s_barrier
	s_barrier
	s_and_saveexec_b64 s[6:7], s[38:39]
	s_cbranch_execz .LBB62_947
; %bb.946:
	v_lshlrev_b32_e32 v13, 3, v0
	s_movk_i32 s12, 0x1f8
	v_mad_u32_u24 v14, v0, s12, v13
	ds_read_b64 v[2:3], v14 offset:3104
	s_waitcnt lgkmcnt(0)
	ds_write_b64 v13, v[2:3] offset:2096
	ds_read_b64 v[2:3], v14 offset:3112
	s_waitcnt lgkmcnt(0)
	ds_write_b64 v13, v[2:3] offset:2608
.LBB62_947:
	s_or_b64 exec, exec, s[6:7]
	s_waitcnt lgkmcnt(0)
	s_barrier
	s_and_saveexec_b64 s[6:7], vcc
	s_cbranch_execz .LBB62_949
; %bb.948:
	v_mov_b32_e32 v15, 0
	ds_read_b64 v[2:3], v15 offset:2592
	s_mov_b64 s[12:13], 0x3f800000
	v_mov_b32_e32 v14, s13
	v_mov_b32_e32 v13, s12
	s_movk_i32 s12, 0x800
	ds_write_b64 v15, v[13:14] offset:2600
	v_add_u32_e64 v15, s12, 0
	s_waitcnt lgkmcnt(1)
	ds_write2_b64 v15, v[13:14], v[2:3] offset0:4 offset1:5
.LBB62_949:
	s_or_b64 exec, exec, s[6:7]
	v_mov_b32_e32 v3, 0
	v_mov_b32_e32 v2, 0
	s_waitcnt lgkmcnt(0)
	s_barrier
	buffer_wbinvl1_vol
	s_and_saveexec_b64 s[6:7], s[10:11]
	s_cbranch_execz .LBB62_955
; %bb.950:
	v_lshlrev_b32_e32 v13, 3, v10
	v_lshlrev_b32_e32 v14, 9, v11
	ds_read_b64 v[2:3], v13 offset:2048
	ds_read_b64 v[15:16], v14 offset:2080
	v_cmp_gt_u32_e64 s[12:13], 12, v9
	s_waitcnt lgkmcnt(0)
	v_mul_f32_e32 v17, v16, v3
	v_mul_f32_e32 v3, v15, v3
	v_fma_f32 v15, v15, v2, -v17
	v_fmac_f32_e32 v3, v16, v2
	v_add_f32_e32 v2, 0, v15
	v_add_f32_e32 v3, 0, v3
	s_and_saveexec_b64 s[14:15], s[12:13]
	s_cbranch_execnz .LBB62_1100
; %bb.951:
	s_or_b64 exec, exec, s[14:15]
	v_cmp_gt_u32_e64 s[12:13], 8, v9
	s_and_saveexec_b64 s[14:15], s[12:13]
	s_cbranch_execnz .LBB62_1101
.LBB62_952:
	s_or_b64 exec, exec, s[14:15]
	v_cmp_gt_u32_e64 s[12:13], 4, v9
	s_and_saveexec_b64 s[14:15], s[12:13]
	s_cbranch_execz .LBB62_954
.LBB62_953:
	v_lshlrev_b32_e32 v13, 3, v0
	v_mov_b32_e32 v15, 0
	ds_read_b64 v[13:14], v13 offset:3584
	ds_read_b64 v[15:16], v15 offset:3640
	s_waitcnt lgkmcnt(0)
	v_mul_f32_e32 v17, v16, v14
	v_mul_f32_e32 v14, v15, v14
	v_fma_f32 v15, v15, v13, -v17
	v_fmac_f32_e32 v14, v16, v13
	v_add_f32_e32 v2, v2, v15
	v_add_f32_e32 v3, v3, v14
.LBB62_954:
	s_or_b64 exec, exec, s[14:15]
.LBB62_955:
	s_or_b64 exec, exec, s[6:7]
	s_and_saveexec_b64 s[6:7], s[42:43]
; %bb.956:
	v_xor_b32_e32 v13, 0x80000000, v2
	v_xor_b32_e32 v14, 0x80000000, v3
	ds_write_b64 v12, v[13:14]
; %bb.957:
	s_or_b64 exec, exec, s[6:7]
	s_waitcnt lgkmcnt(0)
	s_barrier
	s_and_saveexec_b64 s[6:7], s[44:45]
	s_load_dword s24, s[4:5], 0x6c
	v_readlane_b32 s42, v29, 0
	v_readlane_b32 s43, v29, 1
	s_cbranch_execz .LBB62_959
; %bb.958:
	v_lshlrev_b32_e32 v13, 3, v10
	ds_read_b64 v[13:14], v13 offset:1536
	ds_read_b64 v[15:16], v12
	s_waitcnt lgkmcnt(0)
	v_mul_f32_e32 v17, v16, v14
	v_mul_f32_e32 v14, v15, v14
	v_fma_f32 v15, v15, v13, -v17
	v_fmac_f32_e32 v14, v16, v13
	v_sub_f32_e32 v2, v2, v15
	v_sub_f32_e32 v3, v3, v14
.LBB62_959:
	s_or_b64 exec, exec, s[6:7]
	s_waitcnt lgkmcnt(0)
	s_barrier
	s_and_saveexec_b64 s[6:7], s[46:47]
; %bb.960:
	v_xor_b32_e32 v13, 0x80000000, v2
	v_xor_b32_e32 v14, 0x80000000, v3
	ds_write_b64 v12, v[13:14]
; %bb.961:
	s_or_b64 exec, exec, s[6:7]
	s_waitcnt lgkmcnt(0)
	s_barrier
	s_and_saveexec_b64 s[6:7], s[48:49]
	s_cbranch_execz .LBB62_963
; %bb.962:
	v_lshlrev_b32_e32 v13, 3, v10
	ds_read_b64 v[13:14], v13 offset:1024
	ds_read_b64 v[15:16], v12
	s_waitcnt lgkmcnt(0)
	v_mul_f32_e32 v17, v16, v14
	v_mul_f32_e32 v14, v15, v14
	v_fma_f32 v15, v15, v13, -v17
	v_fmac_f32_e32 v14, v16, v13
	v_sub_f32_e32 v2, v2, v15
	v_sub_f32_e32 v3, v3, v14
.LBB62_963:
	s_or_b64 exec, exec, s[6:7]
	s_barrier
	s_and_saveexec_b64 s[6:7], s[50:51]
; %bb.964:
	v_xor_b32_e32 v13, 0x80000000, v2
	v_xor_b32_e32 v14, 0x80000000, v3
	ds_write_b64 v12, v[13:14]
; %bb.965:
	s_or_b64 exec, exec, s[6:7]
	s_waitcnt lgkmcnt(0)
	s_barrier
	s_and_saveexec_b64 s[6:7], s[40:41]
	s_cbranch_execz .LBB62_967
; %bb.966:
	v_mov_b32_e32 v13, 0
	ds_read_b64 v[13:14], v13 offset:512
	ds_read_b64 v[15:16], v12
	s_waitcnt lgkmcnt(0)
	v_mul_f32_e32 v17, v16, v14
	v_mul_f32_e32 v14, v15, v14
	v_fma_f32 v15, v15, v13, -v17
	v_fmac_f32_e32 v14, v16, v13
	v_sub_f32_e32 v2, v2, v15
	v_sub_f32_e32 v3, v3, v14
.LBB62_967:
	s_or_b64 exec, exec, s[6:7]
	s_barrier
	s_and_saveexec_b64 s[6:7], s[40:41]
; %bb.968:
	v_xor_b32_e32 v13, 0x80000000, v2
	v_xor_b32_e32 v14, 0x80000000, v3
	ds_write_b64 v12, v[13:14]
; %bb.969:
	s_or_b64 exec, exec, s[6:7]
	s_waitcnt lgkmcnt(0)
	s_barrier
	s_barrier
	s_and_saveexec_b64 s[6:7], s[10:11]
; %bb.970:
	v_lshlrev_b32_e32 v10, 3, v10
	v_lshl_or_b32 v10, v11, 9, v10
	ds_write_b64 v10, v[2:3] offset:2048
; %bb.971:
	s_or_b64 exec, exec, s[6:7]
	s_waitcnt lgkmcnt(0)
	s_barrier
	s_barrier
	s_and_saveexec_b64 s[6:7], s[52:53]
	s_cbranch_execz .LBB62_973
; %bb.972:
	v_lshlrev_b32_e32 v10, 9, v0
	ds_read_b64 v[2:3], v10 offset:2048
	s_movk_i32 s10, 0xfe08
	v_mad_i32_i24 v11, v0, s10, v10
	s_waitcnt lgkmcnt(0)
	ds_write_b64 v11, v[2:3] offset:32
	ds_read_b64 v[2:3], v10 offset:2056
	s_waitcnt lgkmcnt(0)
	ds_write_b64 v11, v[2:3] offset:544
	ds_read_b64 v[2:3], v10 offset:2064
	;; [unrolled: 3-line block ×3, first 2 shown]
	s_waitcnt lgkmcnt(0)
	ds_write_b64 v11, v[2:3] offset:1568
.LBB62_973:
	s_or_b64 exec, exec, s[6:7]
	s_waitcnt lgkmcnt(0)
	s_barrier
	s_and_saveexec_b64 s[6:7], vcc
	s_cbranch_execz .LBB62_975
; %bb.974:
	v_mov_b32_e32 v12, 0
	ds_read_b64 v[2:3], v12 offset:1552
	s_mov_b64 s[10:11], 0x3f800000
	v_mov_b32_e32 v10, s10
	v_mov_b32_e32 v11, s11
	ds_write_b64 v12, v[10:11] offset:1560
	s_waitcnt lgkmcnt(1)
	ds_write2_b64 v12, v[10:11], v[2:3] offset0:130 offset1:131
.LBB62_975:
	s_or_b64 exec, exec, s[6:7]
	v_mov_b32_e32 v2, 0
	v_mov_b32_e32 v3, 0
	s_waitcnt lgkmcnt(0)
	s_barrier
	buffer_wbinvl1_vol
	s_and_saveexec_b64 s[6:7], s[22:23]
	s_cbranch_execz .LBB62_979
; %bb.976:
	v_lshlrev_b32_e32 v2, 3, v4
	v_lshlrev_b32_e32 v10, 9, v5
	ds_read_b64 v[2:3], v2 offset:1024
	ds_read_b64 v[10:11], v10 offset:1040
	v_cmp_gt_u32_e64 s[10:11], 2, v9
	s_waitcnt lgkmcnt(0)
	v_mul_f32_e32 v12, v11, v3
	v_mul_f32_e32 v3, v10, v3
	v_fma_f32 v10, v10, v2, -v12
	v_fmac_f32_e32 v3, v11, v2
	v_add_f32_e32 v2, 0, v10
	v_add_f32_e32 v3, 0, v3
	s_and_saveexec_b64 s[12:13], s[10:11]
	s_cbranch_execz .LBB62_978
; %bb.977:
	v_lshlrev_b32_e32 v9, 3, v0
	v_mov_b32_e32 v11, 0
	ds_read_b64 v[9:10], v9 offset:1536
	ds_read_b64 v[11:12], v11 offset:1560
	s_waitcnt lgkmcnt(0)
	v_mul_f32_e32 v13, v12, v10
	v_mul_f32_e32 v10, v11, v10
	v_fma_f32 v11, v11, v9, -v13
	v_fmac_f32_e32 v10, v12, v9
	v_add_f32_e32 v2, v2, v11
	v_add_f32_e32 v3, v3, v10
.LBB62_978:
	s_or_b64 exec, exec, s[12:13]
.LBB62_979:
	s_or_b64 exec, exec, s[6:7]
	s_and_saveexec_b64 s[6:7], s[36:37]
; %bb.980:
	v_xor_b32_e32 v10, 0x80000000, v3
	v_xor_b32_e32 v9, 0x80000000, v2
	ds_write_b64 v7, v[9:10]
; %bb.981:
	s_or_b64 exec, exec, s[6:7]
	s_waitcnt lgkmcnt(0)
	s_barrier
	s_and_saveexec_b64 s[6:7], s[30:31]
	s_cbranch_execz .LBB62_983
; %bb.982:
	v_mov_b32_e32 v9, 0
	ds_read_b64 v[9:10], v9 offset:512
	ds_read_b64 v[11:12], v7
	s_waitcnt lgkmcnt(0)
	v_mul_f32_e32 v13, v11, v9
	v_mul_f32_e32 v11, v11, v10
	v_fmac_f32_e32 v11, v12, v9
	v_fma_f32 v9, v12, v10, -v13
	v_add_f32_e32 v2, v2, v9
	v_sub_f32_e32 v3, v3, v11
.LBB62_983:
	s_or_b64 exec, exec, s[6:7]
	s_barrier
	s_and_saveexec_b64 s[6:7], s[30:31]
; %bb.984:
	v_xor_b32_e32 v10, 0x80000000, v3
	v_xor_b32_e32 v9, 0x80000000, v2
	ds_write_b64 v7, v[9:10]
; %bb.985:
	s_or_b64 exec, exec, s[6:7]
	s_waitcnt lgkmcnt(0)
	s_barrier
	s_barrier
	s_and_saveexec_b64 s[6:7], s[22:23]
; %bb.986:
	v_lshlrev_b32_e32 v4, 3, v4
	v_lshl_or_b32 v4, v5, 9, v4
	ds_write_b64 v4, v[2:3] offset:1024
; %bb.987:
	s_or_b64 exec, exec, s[6:7]
	s_waitcnt lgkmcnt(0)
	s_barrier
	s_barrier
	s_and_saveexec_b64 s[6:7], s[38:39]
	s_cbranch_execz .LBB62_989
; %bb.988:
	v_lshlrev_b32_e32 v4, 3, v0
	s_movk_i32 s10, 0x1f8
	v_mad_u32_u24 v5, v0, s10, v4
	ds_read_b64 v[2:3], v5 offset:1024
	s_waitcnt lgkmcnt(0)
	ds_write_b64 v4, v[2:3] offset:16
	ds_read_b64 v[2:3], v5 offset:1032
	s_waitcnt lgkmcnt(0)
	ds_write_b64 v4, v[2:3] offset:528
.LBB62_989:
	s_or_b64 exec, exec, s[6:7]
	s_waitcnt lgkmcnt(0)
	s_barrier
	s_and_saveexec_b64 s[6:7], vcc
	s_cbranch_execz .LBB62_991
; %bb.990:
	v_mov_b32_e32 v7, 0
	ds_read_b64 v[2:3], v7 offset:512
	s_mov_b64 s[10:11], 0x3f800000
	v_mov_b32_e32 v4, s10
	v_mov_b32_e32 v5, s11
	ds_write_b64 v7, v[4:5] offset:520
	s_waitcnt lgkmcnt(1)
	ds_write2_b64 v7, v[4:5], v[2:3] offset1:1
.LBB62_991:
	s_or_b64 exec, exec, s[6:7]
.LBB62_992:
	s_load_dwordx8 s[16:23], s[4:5], 0x30
	s_load_dwordx2 s[6:7], s[4:5], 0x50
	v_cmp_le_i32_e32 vcc, s9, v0
	v_mov_b32_e32 v2, 0
	v_lshl_add_u32 v4, s8, 6, v0
	s_waitcnt lgkmcnt(0)
	s_mul_i32 s11, s23, s34
	s_mul_hi_u32 s12, s22, s34
	s_mul_i32 s10, s22, s34
	s_add_i32 s11, s12, s11
	s_lshl_b64 s[10:11], s[10:11], 3
	s_add_u32 s12, s16, s10
	s_addc_u32 s13, s17, s11
	s_lshl_b64 s[10:11], s[18:19], 3
	s_add_u32 s30, s12, s10
	s_addc_u32 s31, s13, s11
	s_and_b64 s[18:19], vcc, s[26:27]
	v_cmp_eq_u32_e64 s[16:17], 0, v1
	s_xor_b64 s[10:11], s[18:19], -1
	s_and_b64 s[12:13], s[16:17], s[10:11]
	v_mov_b32_e32 v3, v2
	s_barrier
	s_and_saveexec_b64 s[10:11], s[12:13]
	s_cbranch_execz .LBB62_994
; %bb.993:
	v_ashrrev_i32_e32 v5, 31, v4
	v_mul_lo_u32 v7, s21, v4
	v_mad_u64_u32 v[2:3], s[12:13], s20, v4, 0
	v_mul_lo_u32 v5, s20, v5
	s_load_dwordx2 s[12:13], s[4:5], 0x28
	v_add3_u32 v3, v3, v5, v7
	v_lshlrev_b64 v[2:3], 3, v[2:3]
	v_mov_b32_e32 v5, s31
	v_add_co_u32_e32 v2, vcc, s30, v2
	v_addc_co_u32_e32 v3, vcc, v5, v3, vcc
	global_load_dwordx2 v[9:10], v[2:3], off
	s_waitcnt vmcnt(0) lgkmcnt(0)
	v_mul_f32_e32 v2, s12, v9
	v_mul_f32_e32 v3, s12, v10
	v_fma_f32 v2, s13, v10, -v2
	v_fma_f32 v3, v9, -s13, -v3
.LBB62_994:
	s_or_b64 exec, exec, s[10:11]
	s_and_b32 s4, 0xffff, s24
	v_mad_u32_u24 v9, v1, s4, v0
	s_cmp_lt_i32 s8, 1
	v_cmp_eq_u32_e64 s[4:5], 0, v9
	s_cbranch_scc1 .LBB62_1013
; %bb.995:
	v_mad_u64_u32 v[11:12], s[10:11], s28, v4, 0
	v_cmp_gt_i32_e64 s[12:13], s33, v4
	s_mov_b64 s[22:23], src_private_base
	v_mov_b32_e32 v5, v12
	v_mad_u64_u32 v[12:13], s[10:11], s29, v4, v[5:6]
	v_mov_b32_e32 v5, 0xa000
	v_lshl_add_u32 v7, v9, 3, v5
	v_lshl_or_b32 v10, v1, 3, v5
	v_lshlrev_b64 v[4:5], 3, v[11:12]
	s_lshl_b64 s[10:11], s[34:35], 2
	s_add_u32 s24, s6, s10
	v_mov_b32_e32 v12, s99
	v_add_co_u32_e32 v11, vcc, s98, v4
	s_mov_b32 s22, 0
	s_addc_u32 s25, s7, s11
	v_cmp_gt_u32_e64 s[10:11], 64, v9
	s_add_i32 s36, s8, -1
	v_addc_co_u32_e32 v12, vcc, v12, v5, vcc
	v_mov_b32_e32 v15, -1
	v_mov_b32_e32 v5, 0
	v_mov_b32_e32 v13, 0
	;; [unrolled: 1-line block ×5, first 2 shown]
	s_branch .LBB62_997
.LBB62_996:                             ;   in Loop: Header=BB62_997 Depth=1
	s_or_b64 exec, exec, s[28:29]
	s_add_i32 s22, s22, 1
	s_cmp_eq_u32 s22, s8
	s_cbranch_scc1 .LBB62_1013
.LBB62_997:                             ; =>This Loop Header: Depth=1
                                        ;     Child Loop BB62_999 Depth 2
	v_cmp_gt_i32_e32 vcc, s22, v15
	s_and_b64 s[28:29], s[4:5], vcc
	s_and_saveexec_b64 s[14:15], s[28:29]
	s_cbranch_execz .LBB62_1000
; %bb.998:                              ;   in Loop: Header=BB62_997 Depth=1
	global_load_dword v15, v5, s[24:25]
	s_waitcnt vmcnt(0)
	v_cmp_le_i32_e32 vcc, s22, v15
	s_cbranch_vccnz .LBB62_1000
.LBB62_999:                             ;   Parent Loop BB62_997 Depth=1
                                        ; =>  This Inner Loop Header: Depth=2
	buffer_wbinvl1_vol
	global_load_dword v15, v5, s[24:25]
	s_waitcnt vmcnt(0)
	v_cmp_gt_i32_e32 vcc, s22, v15
	s_cbranch_vccnz .LBB62_999
.LBB62_1000:                            ;   in Loop: Header=BB62_997 Depth=1
	s_or_b64 exec, exec, s[14:15]
	s_lshl_b32 s37, s22, 6
	buffer_wbinvl1_vol
	s_barrier
	s_and_saveexec_b64 s[14:15], s[10:11]
	s_cbranch_execz .LBB62_1005
; %bb.1001:                             ;   in Loop: Header=BB62_997 Depth=1
	v_or_b32_e32 v4, s37, v9
	v_cmp_le_i32_e32 vcc, s33, v4
	s_and_saveexec_b64 s[28:29], vcc
	s_xor_b64 s[28:29], exec, s[28:29]
; %bb.1002:                             ;   in Loop: Header=BB62_997 Depth=1
	v_mov_b32_e32 v4, v5
	ds_write_b64 v7, v[4:5]
                                        ; implicit-def: $vgpr4
; %bb.1003:                             ;   in Loop: Header=BB62_997 Depth=1
	s_andn2_saveexec_b64 s[28:29], s[28:29]
	s_cbranch_execz .LBB62_1005
; %bb.1004:                             ;   in Loop: Header=BB62_997 Depth=1
	v_mad_u64_u32 v[18:19], s[28:29], s20, v4, 0
	v_mad_u64_u32 v[19:20], s[28:29], s21, v4, v[19:20]
	v_mov_b32_e32 v4, s31
	v_lshlrev_b64 v[18:19], 3, v[18:19]
	v_add_co_u32_e32 v18, vcc, s30, v18
	v_addc_co_u32_e32 v19, vcc, v4, v19, vcc
	global_load_dwordx2 v[18:19], v[18:19], off
	s_waitcnt vmcnt(0)
	ds_write_b64 v7, v[18:19]
.LBB62_1005:                            ;   in Loop: Header=BB62_997 Depth=1
	s_or_b64 exec, exec, s[14:15]
	v_add_u32_e32 v4, s37, v1
	v_lshlrev_b64 v[19:20], 3, v[4:5]
	s_cmp_eq_u32 s22, s36
	v_add_co_u32_e32 v19, vcc, v11, v19
	v_addc_co_u32_e32 v18, vcc, v12, v20, vcc
	v_cmp_gt_i32_e32 vcc, s33, v4
	s_cselect_b64 s[14:15], -1, 0
	s_and_b64 s[38:39], vcc, s[12:13]
	s_waitcnt lgkmcnt(0)
	s_barrier
	s_and_saveexec_b64 s[28:29], s[38:39]
	s_cbranch_execz .LBB62_1007
; %bb.1006:                             ;   in Loop: Header=BB62_997 Depth=1
	v_mov_b32_e32 v20, s23
	v_cndmask_b32_e64 v21, v18, v20, s[14:15]
	v_cndmask_b32_e64 v20, v19, v13, s[14:15]
	flat_load_dwordx2 v[20:21], v[20:21]
	ds_read_b64 v[22:23], v10
	s_waitcnt vmcnt(0) lgkmcnt(0)
	v_mul_f32_e32 v24, v23, v21
	v_mul_f32_e32 v21, v22, v21
	v_fma_f32 v22, v22, v20, -v24
	v_fmac_f32_e32 v21, v23, v20
	v_add_f32_e32 v2, v2, v22
	v_add_f32_e32 v3, v3, v21
.LBB62_1007:                            ;   in Loop: Header=BB62_997 Depth=1
	s_or_b64 exec, exec, s[28:29]
	v_add_u32_e32 v20, 16, v4
	v_cmp_gt_i32_e32 vcc, s33, v20
	s_and_b64 s[38:39], vcc, s[12:13]
	s_and_saveexec_b64 s[28:29], s[38:39]
	s_cbranch_execz .LBB62_1009
; %bb.1008:                             ;   in Loop: Header=BB62_997 Depth=1
	v_add_co_u32_e32 v20, vcc, 0x80, v19
	v_addc_co_u32_e32 v21, vcc, 0, v18, vcc
	v_mov_b32_e32 v22, s23
	v_cndmask_b32_e64 v21, v21, v22, s[14:15]
	v_cndmask_b32_e64 v20, v20, v14, s[14:15]
	flat_load_dwordx2 v[20:21], v[20:21]
	ds_read_b64 v[22:23], v10 offset:128
	s_waitcnt vmcnt(0) lgkmcnt(0)
	v_mul_f32_e32 v24, v23, v21
	v_mul_f32_e32 v21, v22, v21
	v_fma_f32 v22, v22, v20, -v24
	v_fmac_f32_e32 v21, v23, v20
	v_add_f32_e32 v2, v2, v22
	v_add_f32_e32 v3, v3, v21
.LBB62_1009:                            ;   in Loop: Header=BB62_997 Depth=1
	s_or_b64 exec, exec, s[28:29]
	v_add_u32_e32 v20, 32, v4
	v_cmp_gt_i32_e32 vcc, s33, v20
	s_and_b64 s[38:39], vcc, s[12:13]
	s_and_saveexec_b64 s[28:29], s[38:39]
	s_cbranch_execz .LBB62_1011
; %bb.1010:                             ;   in Loop: Header=BB62_997 Depth=1
	v_add_co_u32_e32 v20, vcc, 0x100, v19
	v_addc_co_u32_e32 v21, vcc, 0, v18, vcc
	v_mov_b32_e32 v22, s23
	v_cndmask_b32_e64 v21, v21, v22, s[14:15]
	v_cndmask_b32_e64 v20, v20, v16, s[14:15]
	flat_load_dwordx2 v[20:21], v[20:21]
	ds_read_b64 v[22:23], v10 offset:256
	s_waitcnt vmcnt(0) lgkmcnt(0)
	v_mul_f32_e32 v24, v23, v21
	v_mul_f32_e32 v21, v22, v21
	v_fma_f32 v22, v22, v20, -v24
	v_fmac_f32_e32 v21, v23, v20
	v_add_f32_e32 v2, v2, v22
	v_add_f32_e32 v3, v3, v21
.LBB62_1011:                            ;   in Loop: Header=BB62_997 Depth=1
	s_or_b64 exec, exec, s[28:29]
	v_add_u32_e32 v4, 48, v4
	v_cmp_gt_i32_e32 vcc, s33, v4
	s_and_b64 s[38:39], vcc, s[12:13]
	s_and_saveexec_b64 s[28:29], s[38:39]
	s_cbranch_execz .LBB62_996
; %bb.1012:                             ;   in Loop: Header=BB62_997 Depth=1
	v_add_co_u32_e32 v4, vcc, 0x180, v19
	v_addc_co_u32_e32 v18, vcc, 0, v18, vcc
	v_mov_b32_e32 v19, s23
	v_cndmask_b32_e64 v19, v18, v19, s[14:15]
	v_cndmask_b32_e64 v18, v4, v17, s[14:15]
	flat_load_dwordx2 v[18:19], v[18:19]
	ds_read_b64 v[20:21], v10 offset:384
	s_waitcnt vmcnt(0) lgkmcnt(0)
	v_mul_f32_e32 v4, v21, v19
	v_mul_f32_e32 v19, v20, v19
	v_fma_f32 v4, v20, v18, -v4
	v_fmac_f32_e32 v19, v21, v18
	v_add_f32_e32 v2, v2, v4
	v_add_f32_e32 v3, v3, v19
	s_branch .LBB62_996
.LBB62_1013:
	s_xor_b64 s[4:5], s[26:27], -1
	v_lshlrev_b32_e32 v6, 3, v6
	ds_write_b64 v6, v[2:3] offset:32768
	s_waitcnt lgkmcnt(0)
	s_barrier
	s_and_saveexec_b64 s[10:11], s[16:17]
	s_cbranch_execz .LBB62_1015
; %bb.1014:
	v_lshlrev_b32_e32 v7, 3, v0
	ds_read2st64_b64 v[10:13], v7 offset0:65 offset1:66
	ds_read2st64_b64 v[14:17], v7 offset0:67 offset1:68
	ds_read_b64 v[18:19], v7 offset:40448
	s_waitcnt lgkmcnt(2)
	v_add_f32_e32 v2, v2, v10
	v_add_f32_e32 v3, v3, v11
	;; [unrolled: 1-line block ×4, first 2 shown]
	ds_read2st64_b64 v[2:5], v7 offset0:69 offset1:70
	s_waitcnt lgkmcnt(2)
	v_add_f32_e32 v10, v10, v14
	v_add_f32_e32 v11, v11, v15
	;; [unrolled: 1-line block ×4, first 2 shown]
	s_waitcnt lgkmcnt(0)
	v_add_f32_e32 v2, v10, v2
	ds_read2st64_b64 v[10:13], v7 offset0:71 offset1:72
	v_add_f32_e32 v3, v14, v3
	v_add_f32_e32 v14, v2, v4
	;; [unrolled: 1-line block ×3, first 2 shown]
	ds_read2st64_b64 v[2:5], v7 offset0:73 offset1:74
	s_waitcnt lgkmcnt(1)
	v_add_f32_e32 v10, v14, v10
	v_add_f32_e32 v11, v15, v11
	;; [unrolled: 1-line block ×4, first 2 shown]
	s_waitcnt lgkmcnt(0)
	v_add_f32_e32 v2, v10, v2
	ds_read2st64_b64 v[10:13], v7 offset0:75 offset1:76
	v_add_f32_e32 v3, v14, v3
	v_add_f32_e32 v14, v2, v4
	;; [unrolled: 1-line block ×3, first 2 shown]
	ds_read2st64_b64 v[2:5], v7 offset0:77 offset1:78
	s_waitcnt lgkmcnt(1)
	v_add_f32_e32 v7, v14, v10
	v_add_f32_e32 v10, v15, v11
	;; [unrolled: 1-line block ×4, first 2 shown]
	s_waitcnt lgkmcnt(0)
	v_add_f32_e32 v2, v7, v2
	v_add_f32_e32 v3, v10, v3
	v_add_f32_e32 v2, v2, v4
	v_add_f32_e32 v3, v3, v5
	v_add_f32_e32 v2, v2, v18
	v_add_f32_e32 v3, v3, v19
	v_cndmask_b32_e64 v2, -v2, 0, s[18:19]
	v_cndmask_b32_e64 v3, -v3, 0, s[18:19]
.LBB62_1015:
	s_or_b64 exec, exec, s[10:11]
	s_and_b64 vcc, exec, s[42:43]
	s_cbranch_vccnz .LBB62_1028
; %bb.1016:
	v_mov_b32_e32 v4, 0xa000
	v_lshl_or_b32 v7, v1, 3, v4
	s_and_saveexec_b64 s[10:11], s[16:17]
; %bb.1017:
	v_lshl_add_u32 v4, v0, 3, v7
	ds_write_b64 v4, v[2:3]
; %bb.1018:
	s_or_b64 exec, exec, s[10:11]
	v_cmp_le_u32_e32 vcc, v1, v0
	v_mov_b32_e32 v4, 0
	v_mov_b32_e32 v5, 0
	s_waitcnt lgkmcnt(0)
	s_barrier
	s_and_saveexec_b64 s[10:11], vcc
	s_cbranch_execz .LBB62_1020
; %bb.1019:
	ds_read_b64 v[4:5], v6
	ds_read_b64 v[10:11], v7
	s_waitcnt lgkmcnt(0)
	v_mul_f32_e32 v12, v11, v5
	v_mul_f32_e32 v5, v10, v5
	v_fma_f32 v10, v10, v4, -v12
	v_fmac_f32_e32 v5, v11, v4
	v_add_f32_e32 v4, 0, v10
	v_add_f32_e32 v5, 0, v5
.LBB62_1020:
	s_or_b64 exec, exec, s[10:11]
	v_add_u32_e32 v10, 16, v1
	v_cmp_ge_u32_e32 vcc, v0, v10
	s_and_saveexec_b64 s[10:11], vcc
	s_cbranch_execz .LBB62_1022
; %bb.1021:
	ds_read_b64 v[10:11], v6 offset:8192
	ds_read_b64 v[12:13], v7 offset:128
	s_waitcnt lgkmcnt(0)
	v_mul_f32_e32 v14, v13, v11
	v_mul_f32_e32 v11, v12, v11
	v_fma_f32 v12, v12, v10, -v14
	v_fmac_f32_e32 v11, v13, v10
	v_add_f32_e32 v4, v4, v12
	v_add_f32_e32 v5, v5, v11
.LBB62_1022:
	s_or_b64 exec, exec, s[10:11]
	v_add_u32_e32 v10, 32, v1
	v_cmp_ge_u32_e32 vcc, v0, v10
	s_and_saveexec_b64 s[10:11], vcc
	s_cbranch_execz .LBB62_1024
; %bb.1023:
	ds_read_b64 v[10:11], v6 offset:16384
	ds_read_b64 v[12:13], v7 offset:256
	s_waitcnt lgkmcnt(0)
	v_mul_f32_e32 v14, v13, v11
	v_mul_f32_e32 v11, v12, v11
	v_fma_f32 v12, v12, v10, -v14
	v_fmac_f32_e32 v11, v13, v10
	v_add_f32_e32 v4, v4, v12
	v_add_f32_e32 v5, v5, v11
.LBB62_1024:
	s_or_b64 exec, exec, s[10:11]
	v_add_u32_e32 v1, 48, v1
	v_add_u32_e32 v10, 0x8000, v6
	v_cmp_ge_u32_e32 vcc, v0, v1
	s_and_saveexec_b64 s[10:11], vcc
	s_cbranch_execz .LBB62_1026
; %bb.1025:
	ds_read_b64 v[11:12], v6 offset:24576
	ds_read_b64 v[6:7], v7 offset:384
	s_waitcnt lgkmcnt(0)
	v_mul_f32_e32 v1, v7, v12
	v_mul_f32_e32 v12, v6, v12
	v_fma_f32 v1, v6, v11, -v1
	v_fmac_f32_e32 v12, v7, v11
	v_add_f32_e32 v4, v4, v1
	v_add_f32_e32 v5, v5, v12
.LBB62_1026:
	s_or_b64 exec, exec, s[10:11]
	s_mov_b64 s[12:13], 0
	s_mov_b64 s[10:11], 0
	ds_write_b64 v10, v[4:5]
	s_waitcnt lgkmcnt(0)
	s_barrier
                                        ; implicit-def: $vgpr1
                                        ; implicit-def: $vgpr10
                                        ; implicit-def: $vgpr6_vgpr7
	s_and_saveexec_b64 s[14:15], s[16:17]
	s_cbranch_execz .LBB62_1041
; %bb.1027:
	v_lshlrev_b32_e32 v1, 3, v0
	ds_read2st64_b64 v[10:13], v1 offset0:65 offset1:66
	ds_read2st64_b64 v[14:17], v1 offset0:67 offset1:68
	ds_read_b64 v[18:19], v1 offset:40448
	s_mov_b64 s[10:11], exec
	s_waitcnt lgkmcnt(2)
	v_add_f32_e32 v4, v4, v10
	v_add_f32_e32 v5, v5, v11
	;; [unrolled: 1-line block ×4, first 2 shown]
	ds_read2st64_b64 v[4:7], v1 offset0:69 offset1:70
	s_waitcnt lgkmcnt(2)
	v_add_f32_e32 v10, v10, v14
	v_add_f32_e32 v11, v11, v15
	;; [unrolled: 1-line block ×4, first 2 shown]
	s_waitcnt lgkmcnt(0)
	v_add_f32_e32 v4, v10, v4
	ds_read2st64_b64 v[10:13], v1 offset0:71 offset1:72
	v_add_f32_e32 v5, v14, v5
	v_add_f32_e32 v14, v4, v6
	;; [unrolled: 1-line block ×3, first 2 shown]
	ds_read2st64_b64 v[4:7], v1 offset0:73 offset1:74
	s_waitcnt lgkmcnt(1)
	v_add_f32_e32 v10, v14, v10
	v_add_f32_e32 v11, v15, v11
	;; [unrolled: 1-line block ×4, first 2 shown]
	s_waitcnt lgkmcnt(0)
	v_add_f32_e32 v4, v10, v4
	ds_read2st64_b64 v[10:13], v1 offset0:75 offset1:76
	v_add_f32_e32 v5, v14, v5
	v_add_f32_e32 v4, v4, v6
	;; [unrolled: 1-line block ×3, first 2 shown]
	ds_read2st64_b64 v[14:17], v1 offset0:77 offset1:78
	s_waitcnt lgkmcnt(1)
	v_add_f32_e32 v1, v4, v10
	v_add_f32_e32 v4, v5, v11
	v_lshl_add_u32 v5, s8, 6, v9
	v_mad_u64_u32 v[6:7], s[18:19], s20, v5, 0
	v_add_f32_e32 v1, v1, v12
	s_waitcnt lgkmcnt(0)
	v_add_f32_e32 v1, v1, v14
	v_add_f32_e32 v4, v4, v13
	;; [unrolled: 1-line block ×3, first 2 shown]
	v_mov_b32_e32 v1, v7
	v_add_f32_e32 v10, v4, v15
	v_mad_u64_u32 v[4:5], s[18:19], s21, v5, v[1:2]
	v_add_f32_e32 v1, v10, v17
	v_add_f32_e32 v10, v11, v18
	;; [unrolled: 1-line block ×3, first 2 shown]
	v_mov_b32_e32 v7, v4
	s_or_b64 exec, exec, s[14:15]
	s_and_b64 vcc, exec, s[12:13]
	s_cbranch_vccnz .LBB62_1029
	s_branch .LBB62_1042
.LBB62_1028:
	s_mov_b64 s[10:11], 0
                                        ; implicit-def: $vgpr1
                                        ; implicit-def: $vgpr10
                                        ; implicit-def: $vgpr6_vgpr7
	s_cbranch_execz .LBB62_1042
.LBB62_1029:
	s_mov_b32 s14, 0
	v_mov_b32_e32 v1, 0
	v_mov_b32_e32 v4, v0
	s_branch .LBB62_1031
.LBB62_1030:                            ;   in Loop: Header=BB62_1031 Depth=1
	s_or_b64 exec, exec, s[12:13]
	s_add_i32 s14, s14, 2
	v_add_u32_e32 v8, 0x400, v8
	s_cmp_lg_u32 s14, 64
	v_add_u32_e32 v4, -2, v4
	s_barrier
	s_cbranch_scc0 .LBB62_1039
.LBB62_1031:                            ; =>This Inner Loop Header: Depth=1
	v_cmp_eq_u32_e32 vcc, 0, v4
	s_and_b64 s[18:19], s[16:17], vcc
	s_and_saveexec_b64 s[12:13], s[18:19]
; %bb.1032:                             ;   in Loop: Header=BB62_1031 Depth=1
	ds_write_b64 v1, v[2:3] offset:41472
; %bb.1033:                             ;   in Loop: Header=BB62_1031 Depth=1
	s_or_b64 exec, exec, s[12:13]
	v_cmp_lt_u32_e32 vcc, s14, v0
	s_and_b64 s[18:19], s[16:17], vcc
	s_waitcnt lgkmcnt(0)
	s_barrier
	s_and_saveexec_b64 s[12:13], s[18:19]
	s_cbranch_execz .LBB62_1035
; %bb.1034:                             ;   in Loop: Header=BB62_1031 Depth=1
	ds_read_b64 v[5:6], v8
	ds_read_b64 v[10:11], v1 offset:41472
	s_waitcnt lgkmcnt(0)
	v_mul_f32_e32 v7, v11, v6
	v_mul_f32_e32 v6, v10, v6
	v_fma_f32 v7, v10, v5, -v7
	v_fmac_f32_e32 v6, v11, v5
	v_add_f32_e32 v2, v2, v7
	v_add_f32_e32 v3, v3, v6
.LBB62_1035:                            ;   in Loop: Header=BB62_1031 Depth=1
	s_or_b64 exec, exec, s[12:13]
	s_or_b32 s15, s14, 1
	v_cmp_eq_u32_e32 vcc, s15, v0
	s_and_b64 s[18:19], s[16:17], vcc
	s_barrier
	s_and_saveexec_b64 s[12:13], s[18:19]
; %bb.1036:                             ;   in Loop: Header=BB62_1031 Depth=1
	ds_write_b64 v1, v[2:3] offset:41472
; %bb.1037:                             ;   in Loop: Header=BB62_1031 Depth=1
	s_or_b64 exec, exec, s[12:13]
	v_cmp_lt_u32_e32 vcc, s15, v0
	s_and_b64 s[18:19], s[16:17], vcc
	s_waitcnt lgkmcnt(0)
	s_barrier
	s_and_saveexec_b64 s[12:13], s[18:19]
	s_cbranch_execz .LBB62_1030
; %bb.1038:                             ;   in Loop: Header=BB62_1031 Depth=1
	ds_read_b64 v[5:6], v8 offset:512
	ds_read_b64 v[10:11], v1 offset:41472
	s_waitcnt lgkmcnt(0)
	v_mul_f32_e32 v7, v11, v6
	v_mul_f32_e32 v6, v10, v6
	v_fma_f32 v7, v10, v5, -v7
	v_fmac_f32_e32 v6, v11, v5
	v_add_f32_e32 v2, v2, v7
	v_add_f32_e32 v3, v3, v6
	s_branch .LBB62_1030
.LBB62_1039:
	s_and_b64 vcc, exec, s[4:5]
	s_cbranch_vccz .LBB62_1043
; %bb.1040:
	s_and_b64 s[4:5], s[16:17], exec
	s_cbranch_execz .LBB62_1044
	s_branch .LBB62_1045
.LBB62_1041:
	s_or_b64 exec, exec, s[14:15]
	s_and_b64 vcc, exec, s[12:13]
	s_cbranch_vccnz .LBB62_1029
.LBB62_1042:
	v_mov_b32_e32 v3, v1
	v_mov_b32_e32 v2, v10
	s_and_saveexec_b64 s[4:5], s[10:11]
	s_cbranch_execnz .LBB62_1048
	s_branch .LBB62_1049
.LBB62_1043:
	s_mov_b64 s[4:5], 0
.LBB62_1044:
	v_cmp_gt_i32_e32 vcc, s9, v0
	s_and_b64 s[12:13], s[16:17], vcc
	s_andn2_b64 s[4:5], s[4:5], exec
	s_and_b64 s[12:13], s[12:13], exec
	s_or_b64 s[4:5], s[4:5], s[12:13]
.LBB62_1045:
                                        ; implicit-def: $vgpr6_vgpr7
	s_and_saveexec_b64 s[12:13], s[4:5]
	s_cbranch_execz .LBB62_1047
; %bb.1046:
	s_lshl_b32 s4, s8, 6
	s_ashr_i32 s5, s4, 31
	v_mov_b32_e32 v0, s5
	v_add_co_u32_e32 v1, vcc, s4, v9
	v_addc_co_u32_e32 v0, vcc, 0, v0, vcc
	v_mul_lo_u32 v0, v0, s20
	v_mul_lo_u32 v4, v1, s21
	v_mad_u64_u32 v[6:7], s[4:5], v1, s20, 0
	s_or_b64 s[10:11], s[10:11], exec
	v_add3_u32 v7, v7, v4, v0
.LBB62_1047:
	s_or_b64 exec, exec, s[12:13]
	s_and_saveexec_b64 s[4:5], s[10:11]
	s_cbranch_execz .LBB62_1049
.LBB62_1048:
	v_lshlrev_b64 v[0:1], 3, v[6:7]
	v_mov_b32_e32 v4, s31
	v_add_co_u32_e32 v0, vcc, s30, v0
	v_addc_co_u32_e32 v1, vcc, v4, v1, vcc
	global_store_dwordx2 v[0:1], v[2:3], off
.LBB62_1049:
	s_or_b64 exec, exec, s[4:5]
	v_cmp_eq_u32_e32 vcc, 0, v9
	s_waitcnt vmcnt(0)
	buffer_wbinvl1_vol
	s_barrier
	s_and_saveexec_b64 s[4:5], vcc
	s_cbranch_execz .LBB62_1051
; %bb.1050:
	s_lshl_b64 s[8:9], s[34:35], 2
	s_add_u32 s6, s6, s8
	s_addc_u32 s7, s7, s9
	v_mov_b32_e32 v0, 0
	global_load_dword v1, v0, s[6:7]
	s_waitcnt vmcnt(0)
	v_add_u32_e32 v1, 1, v1
	global_store_dword v0, v1, s[6:7]
.LBB62_1051:
	s_or_b64 exec, exec, s[4:5]
	s_waitcnt vmcnt(0)
	buffer_wbinvl1_vol
	s_endpgm
.LBB62_1052:
	ds_read_b64 v[15:16], v13 offset:31680
	ds_read_b64 v[17:18], v14 offset:31208
	s_waitcnt lgkmcnt(0)
	v_mul_f32_e32 v19, v18, v16
	v_mul_f32_e32 v16, v17, v16
	v_fma_f32 v17, v17, v15, -v19
	v_fmac_f32_e32 v16, v18, v15
	v_add_f32_e32 v2, v2, v17
	v_add_f32_e32 v3, v3, v16
	s_or_b64 exec, exec, s[18:19]
	v_cmp_gt_u32_e64 s[14:15], 8, v9
	s_and_saveexec_b64 s[18:19], s[14:15]
	s_cbranch_execz .LBB62_92
.LBB62_1053:
	ds_read_b64 v[15:16], v13 offset:32192
	ds_read_b64 v[13:14], v14 offset:31216
	s_waitcnt lgkmcnt(0)
	v_mul_f32_e32 v17, v14, v16
	v_mul_f32_e32 v16, v13, v16
	v_fma_f32 v13, v13, v15, -v17
	v_fmac_f32_e32 v16, v14, v15
	v_add_f32_e32 v2, v2, v13
	v_add_f32_e32 v3, v3, v16
	s_or_b64 exec, exec, s[18:19]
	v_cmp_gt_u32_e64 s[14:15], 4, v9
	s_and_saveexec_b64 s[18:19], s[14:15]
	s_cbranch_execnz .LBB62_93
	s_branch .LBB62_94
.LBB62_1054:
	ds_read_b64 v[18:19], v16 offset:29568
	ds_read_b64 v[20:21], v17 offset:29128
	s_waitcnt lgkmcnt(0)
	v_mul_f32_e32 v22, v21, v19
	v_mul_f32_e32 v19, v20, v19
	v_fma_f32 v20, v20, v18, -v22
	v_fmac_f32_e32 v19, v21, v18
	v_add_f32_e32 v2, v2, v20
	v_add_f32_e32 v3, v3, v19
	s_or_b64 exec, exec, s[20:21]
	v_cmp_gt_u32_e64 s[18:19], 48, v9
	s_and_saveexec_b64 s[20:21], s[18:19]
	s_cbranch_execz .LBB62_134
.LBB62_1055:
	ds_read_b64 v[18:19], v16 offset:30080
	ds_read_b64 v[20:21], v17 offset:29136
	s_waitcnt lgkmcnt(0)
	v_mul_f32_e32 v22, v21, v19
	v_mul_f32_e32 v19, v20, v19
	v_fma_f32 v20, v20, v18, -v22
	v_fmac_f32_e32 v19, v21, v18
	v_add_f32_e32 v2, v2, v20
	v_add_f32_e32 v3, v3, v19
	s_or_b64 exec, exec, s[20:21]
	v_cmp_gt_u32_e64 s[18:19], 40, v9
	s_and_saveexec_b64 s[20:21], s[18:19]
	s_cbranch_execz .LBB62_135
.LBB62_1056:
	ds_read_b64 v[18:19], v16 offset:30592
	ds_read_b64 v[20:21], v17 offset:29144
	s_waitcnt lgkmcnt(0)
	v_mul_f32_e32 v22, v21, v19
	v_mul_f32_e32 v19, v20, v19
	v_fma_f32 v20, v20, v18, -v22
	v_fmac_f32_e32 v19, v21, v18
	v_add_f32_e32 v2, v2, v20
	v_add_f32_e32 v3, v3, v19
	s_or_b64 exec, exec, s[20:21]
	v_cmp_gt_u32_e64 s[18:19], 32, v9
	s_and_saveexec_b64 s[20:21], s[18:19]
	s_cbranch_execz .LBB62_136
.LBB62_1057:
	ds_read_b64 v[18:19], v16 offset:31104
	ds_read_b64 v[20:21], v17 offset:29152
	s_waitcnt lgkmcnt(0)
	v_mul_f32_e32 v22, v21, v19
	v_mul_f32_e32 v19, v20, v19
	v_fma_f32 v20, v20, v18, -v22
	v_fmac_f32_e32 v19, v21, v18
	v_add_f32_e32 v2, v2, v20
	v_add_f32_e32 v3, v3, v19
	s_or_b64 exec, exec, s[20:21]
	v_cmp_gt_u32_e64 s[18:19], 24, v9
	s_and_saveexec_b64 s[20:21], s[18:19]
	s_cbranch_execz .LBB62_137
.LBB62_1058:
	ds_read_b64 v[18:19], v16 offset:31616
	ds_read_b64 v[20:21], v17 offset:29160
	s_waitcnt lgkmcnt(0)
	v_mul_f32_e32 v22, v21, v19
	v_mul_f32_e32 v19, v20, v19
	v_fma_f32 v20, v20, v18, -v22
	v_fmac_f32_e32 v19, v21, v18
	v_add_f32_e32 v2, v2, v20
	v_add_f32_e32 v3, v3, v19
	s_or_b64 exec, exec, s[20:21]
	s_and_saveexec_b64 s[18:19], s[10:11]
	s_cbranch_execz .LBB62_138
.LBB62_1059:
	ds_read_b64 v[18:19], v16 offset:32128
	ds_read_b64 v[16:17], v17 offset:29168
	s_waitcnt lgkmcnt(0)
	v_mul_f32_e32 v20, v17, v19
	v_mul_f32_e32 v19, v16, v19
	v_fma_f32 v16, v16, v18, -v20
	v_fmac_f32_e32 v19, v17, v18
	v_add_f32_e32 v2, v2, v16
	v_add_f32_e32 v3, v3, v19
	s_or_b64 exec, exec, s[18:19]
	v_cmp_gt_u32_e64 s[18:19], 8, v9
	s_and_saveexec_b64 s[20:21], s[18:19]
	s_cbranch_execnz .LBB62_139
	s_branch .LBB62_140
.LBB62_1060:
	ds_read_b64 v[18:19], v16 offset:27520
	ds_read_b64 v[20:21], v17 offset:27048
	s_waitcnt lgkmcnt(0)
	v_mul_f32_e32 v22, v21, v19
	v_mul_f32_e32 v19, v20, v19
	v_fma_f32 v20, v20, v18, -v22
	v_fmac_f32_e32 v19, v21, v18
	v_add_f32_e32 v2, v2, v20
	v_add_f32_e32 v3, v3, v19
	s_or_b64 exec, exec, s[18:19]
	v_cmp_gt_u32_e64 s[14:15], 8, v9
	s_and_saveexec_b64 s[18:19], s[14:15]
	s_cbranch_execz .LBB62_196
.LBB62_1061:
	ds_read_b64 v[18:19], v16 offset:28032
	ds_read_b64 v[16:17], v17 offset:27056
	s_waitcnt lgkmcnt(0)
	v_mul_f32_e32 v20, v17, v19
	v_mul_f32_e32 v19, v16, v19
	v_fma_f32 v16, v16, v18, -v20
	v_fmac_f32_e32 v19, v17, v18
	v_add_f32_e32 v2, v2, v16
	v_add_f32_e32 v3, v3, v19
	s_or_b64 exec, exec, s[18:19]
	v_cmp_gt_u32_e64 s[14:15], 4, v9
	s_and_saveexec_b64 s[18:19], s[14:15]
	s_cbranch_execnz .LBB62_197
	s_branch .LBB62_198
.LBB62_1062:
	ds_read_b64 v[21:22], v19 offset:30464
	ds_read_b64 v[23:24], v20 offset:25048
	s_waitcnt lgkmcnt(0)
	v_mul_f32_e32 v25, v24, v22
	v_mul_f32_e32 v22, v23, v22
	v_fma_f32 v23, v23, v21, -v25
	v_fmac_f32_e32 v22, v24, v21
	v_add_f32_e32 v2, v2, v23
	v_add_f32_e32 v3, v3, v22
	s_or_b64 exec, exec, s[24:25]
	s_and_saveexec_b64 s[20:21], s[12:13]
	s_cbranch_execz .LBB62_258
.LBB62_1063:
	ds_read_b64 v[21:22], v19 offset:30976
	ds_read_b64 v[23:24], v20 offset:25056
	s_waitcnt lgkmcnt(0)
	v_mul_f32_e32 v25, v24, v22
	v_mul_f32_e32 v22, v23, v22
	v_fma_f32 v23, v23, v21, -v25
	v_fmac_f32_e32 v22, v24, v21
	v_add_f32_e32 v2, v2, v23
	v_add_f32_e32 v3, v3, v22
	s_or_b64 exec, exec, s[20:21]
	v_cmp_gt_u32_e64 s[20:21], 48, v9
	s_and_saveexec_b64 s[24:25], s[20:21]
	s_cbranch_execz .LBB62_259
.LBB62_1064:
	ds_read_b64 v[21:22], v19 offset:31488
	ds_read_b64 v[23:24], v20 offset:25064
	s_waitcnt lgkmcnt(0)
	v_mul_f32_e32 v25, v24, v22
	v_mul_f32_e32 v22, v23, v22
	v_fma_f32 v23, v23, v21, -v25
	v_fmac_f32_e32 v22, v24, v21
	v_add_f32_e32 v2, v2, v23
	v_add_f32_e32 v3, v3, v22
	s_or_b64 exec, exec, s[24:25]
	v_cmp_gt_u32_e64 s[20:21], 32, v9
	s_and_saveexec_b64 s[24:25], s[20:21]
	s_cbranch_execz .LBB62_260
.LBB62_1065:
	ds_read_b64 v[21:22], v19 offset:32000
	ds_read_b64 v[19:20], v20 offset:25072
	s_waitcnt lgkmcnt(0)
	v_mul_f32_e32 v23, v20, v22
	v_mul_f32_e32 v22, v19, v22
	v_fma_f32 v19, v19, v21, -v23
	v_fmac_f32_e32 v22, v20, v21
	v_add_f32_e32 v2, v2, v19
	v_add_f32_e32 v3, v3, v22
	s_or_b64 exec, exec, s[24:25]
	v_cmp_gt_u32_e64 s[20:21], 16, v9
	s_and_saveexec_b64 s[24:25], s[20:21]
	s_cbranch_execnz .LBB62_261
	s_branch .LBB62_262
.LBB62_1066:
	ds_read_b64 v[21:22], v19 offset:23360
	ds_read_b64 v[23:24], v20 offset:22888
	s_waitcnt lgkmcnt(0)
	v_mul_f32_e32 v25, v24, v22
	v_mul_f32_e32 v22, v23, v22
	v_fma_f32 v23, v23, v21, -v25
	v_fmac_f32_e32 v22, v24, v21
	v_add_f32_e32 v2, v2, v23
	v_add_f32_e32 v3, v3, v22
	s_or_b64 exec, exec, s[24:25]
	v_cmp_gt_u32_e64 s[18:19], 8, v9
	s_and_saveexec_b64 s[24:25], s[18:19]
	s_cbranch_execz .LBB62_350
.LBB62_1067:
	ds_read_b64 v[21:22], v19 offset:23872
	ds_read_b64 v[19:20], v20 offset:22896
	s_waitcnt lgkmcnt(0)
	v_mul_f32_e32 v23, v20, v22
	v_mul_f32_e32 v22, v19, v22
	v_fma_f32 v19, v19, v21, -v23
	v_fmac_f32_e32 v22, v20, v21
	v_add_f32_e32 v2, v2, v19
	v_add_f32_e32 v3, v3, v22
	s_or_b64 exec, exec, s[24:25]
	v_cmp_gt_u32_e64 s[18:19], 4, v9
	s_and_saveexec_b64 s[24:25], s[18:19]
	s_cbranch_execnz .LBB62_351
	s_branch .LBB62_352
.LBB62_1068:
	ds_read_b64 v[21:22], v19 offset:21248
	ds_read_b64 v[23:24], v20 offset:20808
	s_waitcnt lgkmcnt(0)
	v_mul_f32_e32 v25, v24, v22
	v_mul_f32_e32 v22, v23, v22
	v_fma_f32 v23, v23, v21, -v25
	v_fmac_f32_e32 v22, v24, v21
	v_add_f32_e32 v2, v2, v23
	v_add_f32_e32 v3, v3, v22
	s_or_b64 exec, exec, s[24:25]
	v_cmp_gt_u32_e64 s[18:19], 48, v9
	s_and_saveexec_b64 s[24:25], s[18:19]
	s_cbranch_execz .LBB62_392
.LBB62_1069:
	ds_read_b64 v[21:22], v19 offset:21760
	ds_read_b64 v[23:24], v20 offset:20816
	s_waitcnt lgkmcnt(0)
	v_mul_f32_e32 v25, v24, v22
	v_mul_f32_e32 v22, v23, v22
	v_fma_f32 v23, v23, v21, -v25
	v_fmac_f32_e32 v22, v24, v21
	v_add_f32_e32 v2, v2, v23
	v_add_f32_e32 v3, v3, v22
	s_or_b64 exec, exec, s[24:25]
	v_cmp_gt_u32_e64 s[18:19], 40, v9
	s_and_saveexec_b64 s[24:25], s[18:19]
	s_cbranch_execz .LBB62_393
.LBB62_1070:
	ds_read_b64 v[21:22], v19 offset:22272
	ds_read_b64 v[23:24], v20 offset:20824
	s_waitcnt lgkmcnt(0)
	v_mul_f32_e32 v25, v24, v22
	v_mul_f32_e32 v22, v23, v22
	v_fma_f32 v23, v23, v21, -v25
	v_fmac_f32_e32 v22, v24, v21
	v_add_f32_e32 v2, v2, v23
	v_add_f32_e32 v3, v3, v22
	s_or_b64 exec, exec, s[24:25]
	v_cmp_gt_u32_e64 s[18:19], 32, v9
	s_and_saveexec_b64 s[24:25], s[18:19]
	s_cbranch_execz .LBB62_394
.LBB62_1071:
	ds_read_b64 v[21:22], v19 offset:22784
	ds_read_b64 v[23:24], v20 offset:20832
	s_waitcnt lgkmcnt(0)
	v_mul_f32_e32 v25, v24, v22
	v_mul_f32_e32 v22, v23, v22
	v_fma_f32 v23, v23, v21, -v25
	v_fmac_f32_e32 v22, v24, v21
	v_add_f32_e32 v2, v2, v23
	v_add_f32_e32 v3, v3, v22
	s_or_b64 exec, exec, s[24:25]
	v_cmp_gt_u32_e64 s[18:19], 24, v9
	s_and_saveexec_b64 s[24:25], s[18:19]
	s_cbranch_execz .LBB62_395
.LBB62_1072:
	ds_read_b64 v[21:22], v19 offset:23296
	ds_read_b64 v[23:24], v20 offset:20840
	s_waitcnt lgkmcnt(0)
	v_mul_f32_e32 v25, v24, v22
	v_mul_f32_e32 v22, v23, v22
	v_fma_f32 v23, v23, v21, -v25
	v_fmac_f32_e32 v22, v24, v21
	v_add_f32_e32 v2, v2, v23
	v_add_f32_e32 v3, v3, v22
	s_or_b64 exec, exec, s[24:25]
	s_and_saveexec_b64 s[18:19], s[10:11]
	s_cbranch_execz .LBB62_396
.LBB62_1073:
	ds_read_b64 v[21:22], v19 offset:23808
	ds_read_b64 v[19:20], v20 offset:20848
	s_waitcnt lgkmcnt(0)
	v_mul_f32_e32 v23, v20, v22
	v_mul_f32_e32 v22, v19, v22
	v_fma_f32 v19, v19, v21, -v23
	v_fmac_f32_e32 v22, v20, v21
	v_add_f32_e32 v2, v2, v19
	v_add_f32_e32 v3, v3, v22
	s_or_b64 exec, exec, s[18:19]
	v_cmp_gt_u32_e64 s[18:19], 8, v9
	s_and_saveexec_b64 s[24:25], s[18:19]
	s_cbranch_execnz .LBB62_397
	s_branch .LBB62_398
.LBB62_1074:
	ds_read_b64 v[21:22], v19 offset:19200
	ds_read_b64 v[23:24], v20 offset:18728
	s_waitcnt lgkmcnt(0)
	v_mul_f32_e32 v25, v24, v22
	v_mul_f32_e32 v22, v23, v22
	v_fma_f32 v23, v23, v21, -v25
	v_fmac_f32_e32 v22, v24, v21
	v_add_f32_e32 v2, v2, v23
	v_add_f32_e32 v3, v3, v22
	s_or_b64 exec, exec, s[24:25]
	v_cmp_gt_u32_e64 s[18:19], 8, v9
	s_and_saveexec_b64 s[24:25], s[18:19]
	s_cbranch_execz .LBB62_454
.LBB62_1075:
	ds_read_b64 v[21:22], v19 offset:19712
	ds_read_b64 v[19:20], v20 offset:18736
	s_waitcnt lgkmcnt(0)
	v_mul_f32_e32 v23, v20, v22
	v_mul_f32_e32 v22, v19, v22
	v_fma_f32 v19, v19, v21, -v23
	v_fmac_f32_e32 v22, v20, v21
	v_add_f32_e32 v2, v2, v19
	v_add_f32_e32 v3, v3, v22
	s_or_b64 exec, exec, s[24:25]
	v_cmp_gt_u32_e64 s[18:19], 4, v9
	s_and_saveexec_b64 s[24:25], s[18:19]
	s_cbranch_execnz .LBB62_455
	s_branch .LBB62_456
.LBB62_1076:
	ds_read_b64 v[24:25], v22 offset:31232
	ds_read_b64 v[26:27], v23 offset:16872
	s_waitcnt lgkmcnt(0)
	v_mul_f32_e32 v28, v27, v25
	v_mul_f32_e32 v25, v26, v25
	v_fma_f32 v26, v26, v24, -v28
	v_fmac_f32_e32 v25, v27, v24
	v_add_f32_e32 v2, v2, v26
	v_add_f32_e32 v3, v3, v25
	s_or_b64 exec, exec, s[96:97]
	s_and_saveexec_b64 s[24:25], s[12:13]
	s_cbranch_execz .LBB62_552
.LBB62_1077:
	ds_read_b64 v[24:25], v22 offset:31744
	ds_read_b64 v[26:27], v23 offset:16880
	s_waitcnt lgkmcnt(0)
	v_mul_f32_e32 v28, v27, v25
	v_mul_f32_e32 v25, v26, v25
	v_fma_f32 v26, v26, v24, -v28
	v_fmac_f32_e32 v25, v27, v24
	v_add_f32_e32 v2, v2, v26
	v_add_f32_e32 v3, v3, v25
	s_or_b64 exec, exec, s[24:25]
	v_cmp_gt_u32_e64 s[24:25], 32, v9
	s_and_saveexec_b64 s[96:97], s[24:25]
	s_cbranch_execnz .LBB62_553
	s_branch .LBB62_554
.LBB62_1078:
	ds_read_b64 v[21:22], v19 offset:15040
	ds_read_b64 v[23:24], v20 offset:14568
	s_waitcnt lgkmcnt(0)
	v_mul_f32_e32 v25, v24, v22
	v_mul_f32_e32 v22, v23, v22
	v_fma_f32 v23, v23, v21, -v25
	v_fmac_f32_e32 v22, v24, v21
	v_add_f32_e32 v2, v2, v23
	v_add_f32_e32 v3, v3, v22
	s_or_b64 exec, exec, s[20:21]
	v_cmp_gt_u32_e64 s[16:17], 8, v9
	s_and_saveexec_b64 s[20:21], s[16:17]
	s_cbranch_execz .LBB62_590
.LBB62_1079:
	ds_read_b64 v[21:22], v19 offset:15552
	ds_read_b64 v[19:20], v20 offset:14576
	s_waitcnt lgkmcnt(0)
	v_mul_f32_e32 v23, v20, v22
	v_mul_f32_e32 v22, v19, v22
	v_fma_f32 v19, v19, v21, -v23
	v_fmac_f32_e32 v22, v20, v21
	v_add_f32_e32 v2, v2, v19
	v_add_f32_e32 v3, v3, v22
	s_or_b64 exec, exec, s[20:21]
	v_cmp_gt_u32_e64 s[16:17], 4, v9
	s_and_saveexec_b64 s[20:21], s[16:17]
	s_cbranch_execnz .LBB62_591
	s_branch .LBB62_592
.LBB62_1080:
	ds_read_b64 v[21:22], v19 offset:12928
	ds_read_b64 v[23:24], v20 offset:12488
	s_waitcnt lgkmcnt(0)
	v_mul_f32_e32 v25, v24, v22
	v_mul_f32_e32 v22, v23, v22
	v_fma_f32 v23, v23, v21, -v25
	v_fmac_f32_e32 v22, v24, v21
	v_add_f32_e32 v2, v2, v23
	v_add_f32_e32 v3, v3, v22
	s_or_b64 exec, exec, s[20:21]
	v_cmp_gt_u32_e64 s[16:17], 48, v9
	s_and_saveexec_b64 s[20:21], s[16:17]
	s_cbranch_execz .LBB62_632
.LBB62_1081:
	ds_read_b64 v[21:22], v19 offset:13440
	ds_read_b64 v[23:24], v20 offset:12496
	s_waitcnt lgkmcnt(0)
	v_mul_f32_e32 v25, v24, v22
	v_mul_f32_e32 v22, v23, v22
	v_fma_f32 v23, v23, v21, -v25
	v_fmac_f32_e32 v22, v24, v21
	v_add_f32_e32 v2, v2, v23
	v_add_f32_e32 v3, v3, v22
	s_or_b64 exec, exec, s[20:21]
	v_cmp_gt_u32_e64 s[16:17], 40, v9
	s_and_saveexec_b64 s[20:21], s[16:17]
	s_cbranch_execz .LBB62_633
.LBB62_1082:
	ds_read_b64 v[21:22], v19 offset:13952
	ds_read_b64 v[23:24], v20 offset:12504
	s_waitcnt lgkmcnt(0)
	v_mul_f32_e32 v25, v24, v22
	v_mul_f32_e32 v22, v23, v22
	v_fma_f32 v23, v23, v21, -v25
	v_fmac_f32_e32 v22, v24, v21
	v_add_f32_e32 v2, v2, v23
	v_add_f32_e32 v3, v3, v22
	s_or_b64 exec, exec, s[20:21]
	v_cmp_gt_u32_e64 s[16:17], 32, v9
	s_and_saveexec_b64 s[20:21], s[16:17]
	s_cbranch_execz .LBB62_634
.LBB62_1083:
	ds_read_b64 v[21:22], v19 offset:14464
	ds_read_b64 v[23:24], v20 offset:12512
	s_waitcnt lgkmcnt(0)
	v_mul_f32_e32 v25, v24, v22
	v_mul_f32_e32 v22, v23, v22
	v_fma_f32 v23, v23, v21, -v25
	v_fmac_f32_e32 v22, v24, v21
	v_add_f32_e32 v2, v2, v23
	v_add_f32_e32 v3, v3, v22
	s_or_b64 exec, exec, s[20:21]
	v_cmp_gt_u32_e64 s[16:17], 24, v9
	s_and_saveexec_b64 s[20:21], s[16:17]
	s_cbranch_execz .LBB62_635
.LBB62_1084:
	ds_read_b64 v[21:22], v19 offset:14976
	ds_read_b64 v[23:24], v20 offset:12520
	s_waitcnt lgkmcnt(0)
	v_mul_f32_e32 v25, v24, v22
	v_mul_f32_e32 v22, v23, v22
	v_fma_f32 v23, v23, v21, -v25
	v_fmac_f32_e32 v22, v24, v21
	v_add_f32_e32 v2, v2, v23
	v_add_f32_e32 v3, v3, v22
	s_or_b64 exec, exec, s[20:21]
	s_and_saveexec_b64 s[16:17], s[10:11]
	s_cbranch_execz .LBB62_636
.LBB62_1085:
	ds_read_b64 v[21:22], v19 offset:15488
	ds_read_b64 v[19:20], v20 offset:12528
	s_waitcnt lgkmcnt(0)
	v_mul_f32_e32 v23, v20, v22
	v_mul_f32_e32 v22, v19, v22
	v_fma_f32 v19, v19, v21, -v23
	v_fmac_f32_e32 v22, v20, v21
	v_add_f32_e32 v2, v2, v19
	v_add_f32_e32 v3, v3, v22
	s_or_b64 exec, exec, s[16:17]
	v_cmp_gt_u32_e64 s[16:17], 8, v9
	s_and_saveexec_b64 s[20:21], s[16:17]
	s_cbranch_execnz .LBB62_637
	s_branch .LBB62_638
.LBB62_1086:
	ds_read_b64 v[21:22], v19 offset:10880
	ds_read_b64 v[23:24], v20 offset:10408
	s_waitcnt lgkmcnt(0)
	v_mul_f32_e32 v25, v24, v22
	v_mul_f32_e32 v22, v23, v22
	v_fma_f32 v23, v23, v21, -v25
	v_fmac_f32_e32 v22, v24, v21
	v_add_f32_e32 v2, v2, v23
	v_add_f32_e32 v3, v3, v22
	s_or_b64 exec, exec, s[20:21]
	v_cmp_gt_u32_e64 s[16:17], 8, v9
	s_and_saveexec_b64 s[20:21], s[16:17]
	s_cbranch_execz .LBB62_694
.LBB62_1087:
	ds_read_b64 v[21:22], v19 offset:11392
	ds_read_b64 v[19:20], v20 offset:10416
	s_waitcnt lgkmcnt(0)
	v_mul_f32_e32 v23, v20, v22
	v_mul_f32_e32 v22, v19, v22
	v_fma_f32 v19, v19, v21, -v23
	v_fmac_f32_e32 v22, v20, v21
	v_add_f32_e32 v2, v2, v19
	v_add_f32_e32 v3, v3, v22
	s_or_b64 exec, exec, s[20:21]
	v_cmp_gt_u32_e64 s[16:17], 4, v9
	s_and_saveexec_b64 s[20:21], s[16:17]
	s_cbranch_execnz .LBB62_695
	s_branch .LBB62_696
.LBB62_1088:
	ds_read_b64 v[21:22], v19 offset:13824
	ds_read_b64 v[23:24], v20 offset:8408
	s_waitcnt lgkmcnt(0)
	v_mul_f32_e32 v25, v24, v22
	v_mul_f32_e32 v22, v23, v22
	v_fma_f32 v23, v23, v21, -v25
	v_fmac_f32_e32 v22, v24, v21
	v_add_f32_e32 v2, v2, v23
	v_add_f32_e32 v3, v3, v22
	s_or_b64 exec, exec, s[20:21]
	s_and_saveexec_b64 s[16:17], s[12:13]
	s_cbranch_execz .LBB62_756
.LBB62_1089:
	ds_read_b64 v[21:22], v19 offset:14336
	ds_read_b64 v[23:24], v20 offset:8416
	s_waitcnt lgkmcnt(0)
	v_mul_f32_e32 v25, v24, v22
	v_mul_f32_e32 v22, v23, v22
	v_fma_f32 v23, v23, v21, -v25
	v_fmac_f32_e32 v22, v24, v21
	v_add_f32_e32 v2, v2, v23
	v_add_f32_e32 v3, v3, v22
	s_or_b64 exec, exec, s[16:17]
	v_cmp_gt_u32_e64 s[16:17], 48, v9
	s_and_saveexec_b64 s[20:21], s[16:17]
	s_cbranch_execz .LBB62_757
.LBB62_1090:
	ds_read_b64 v[21:22], v19 offset:14848
	ds_read_b64 v[23:24], v20 offset:8424
	s_waitcnt lgkmcnt(0)
	v_mul_f32_e32 v25, v24, v22
	v_mul_f32_e32 v22, v23, v22
	v_fma_f32 v23, v23, v21, -v25
	v_fmac_f32_e32 v22, v24, v21
	v_add_f32_e32 v2, v2, v23
	v_add_f32_e32 v3, v3, v22
	s_or_b64 exec, exec, s[20:21]
	v_cmp_gt_u32_e64 s[16:17], 32, v9
	s_and_saveexec_b64 s[20:21], s[16:17]
	s_cbranch_execz .LBB62_758
.LBB62_1091:
	ds_read_b64 v[21:22], v19 offset:15360
	ds_read_b64 v[19:20], v20 offset:8432
	s_waitcnt lgkmcnt(0)
	v_mul_f32_e32 v23, v20, v22
	v_mul_f32_e32 v22, v19, v22
	v_fma_f32 v19, v19, v21, -v23
	v_fmac_f32_e32 v22, v20, v21
	v_add_f32_e32 v2, v2, v19
	v_add_f32_e32 v3, v3, v22
	s_or_b64 exec, exec, s[20:21]
	v_cmp_gt_u32_e64 s[16:17], 16, v9
	s_and_saveexec_b64 s[20:21], s[16:17]
	s_cbranch_execnz .LBB62_759
	s_branch .LBB62_760
.LBB62_1092:
	ds_read_b64 v[18:19], v16 offset:6720
	ds_read_b64 v[20:21], v17 offset:6248
	s_waitcnt lgkmcnt(0)
	v_mul_f32_e32 v22, v21, v19
	v_mul_f32_e32 v19, v20, v19
	v_fma_f32 v20, v20, v18, -v22
	v_fmac_f32_e32 v19, v21, v18
	v_add_f32_e32 v2, v2, v20
	v_add_f32_e32 v3, v3, v19
	s_or_b64 exec, exec, s[16:17]
	v_cmp_gt_u32_e64 s[14:15], 8, v9
	s_and_saveexec_b64 s[16:17], s[14:15]
	s_cbranch_execz .LBB62_848
.LBB62_1093:
	ds_read_b64 v[18:19], v16 offset:7232
	ds_read_b64 v[16:17], v17 offset:6256
	s_waitcnt lgkmcnt(0)
	v_mul_f32_e32 v20, v17, v19
	v_mul_f32_e32 v19, v16, v19
	v_fma_f32 v16, v16, v18, -v20
	v_fmac_f32_e32 v19, v17, v18
	v_add_f32_e32 v2, v2, v16
	v_add_f32_e32 v3, v3, v19
	s_or_b64 exec, exec, s[16:17]
	v_cmp_gt_u32_e64 s[14:15], 4, v9
	s_and_saveexec_b64 s[16:17], s[14:15]
	s_cbranch_execnz .LBB62_849
	s_branch .LBB62_850
.LBB62_1094:
	ds_read_b64 v[18:19], v16 offset:4608
	ds_read_b64 v[20:21], v17 offset:4168
	s_waitcnt lgkmcnt(0)
	v_mul_f32_e32 v22, v21, v19
	v_mul_f32_e32 v19, v20, v19
	v_fma_f32 v20, v20, v18, -v22
	v_fmac_f32_e32 v19, v21, v18
	v_add_f32_e32 v2, v2, v20
	v_add_f32_e32 v3, v3, v19
	s_or_b64 exec, exec, s[16:17]
	v_cmp_gt_u32_e64 s[14:15], 48, v9
	s_and_saveexec_b64 s[16:17], s[14:15]
	s_cbranch_execz .LBB62_890
.LBB62_1095:
	ds_read_b64 v[18:19], v16 offset:5120
	ds_read_b64 v[20:21], v17 offset:4176
	s_waitcnt lgkmcnt(0)
	v_mul_f32_e32 v22, v21, v19
	v_mul_f32_e32 v19, v20, v19
	v_fma_f32 v20, v20, v18, -v22
	v_fmac_f32_e32 v19, v21, v18
	v_add_f32_e32 v2, v2, v20
	v_add_f32_e32 v3, v3, v19
	s_or_b64 exec, exec, s[16:17]
	v_cmp_gt_u32_e64 s[14:15], 40, v9
	s_and_saveexec_b64 s[16:17], s[14:15]
	s_cbranch_execz .LBB62_891
.LBB62_1096:
	ds_read_b64 v[18:19], v16 offset:5632
	ds_read_b64 v[20:21], v17 offset:4184
	s_waitcnt lgkmcnt(0)
	v_mul_f32_e32 v22, v21, v19
	v_mul_f32_e32 v19, v20, v19
	v_fma_f32 v20, v20, v18, -v22
	v_fmac_f32_e32 v19, v21, v18
	v_add_f32_e32 v2, v2, v20
	v_add_f32_e32 v3, v3, v19
	s_or_b64 exec, exec, s[16:17]
	v_cmp_gt_u32_e64 s[14:15], 32, v9
	s_and_saveexec_b64 s[16:17], s[14:15]
	s_cbranch_execz .LBB62_892
.LBB62_1097:
	ds_read_b64 v[18:19], v16 offset:6144
	ds_read_b64 v[20:21], v17 offset:4192
	s_waitcnt lgkmcnt(0)
	v_mul_f32_e32 v22, v21, v19
	v_mul_f32_e32 v19, v20, v19
	v_fma_f32 v20, v20, v18, -v22
	v_fmac_f32_e32 v19, v21, v18
	v_add_f32_e32 v2, v2, v20
	v_add_f32_e32 v3, v3, v19
	s_or_b64 exec, exec, s[16:17]
	v_cmp_gt_u32_e64 s[14:15], 24, v9
	s_and_saveexec_b64 s[16:17], s[14:15]
	s_cbranch_execz .LBB62_893
.LBB62_1098:
	ds_read_b64 v[18:19], v16 offset:6656
	ds_read_b64 v[20:21], v17 offset:4200
	s_waitcnt lgkmcnt(0)
	v_mul_f32_e32 v22, v21, v19
	v_mul_f32_e32 v19, v20, v19
	v_fma_f32 v20, v20, v18, -v22
	v_fmac_f32_e32 v19, v21, v18
	v_add_f32_e32 v2, v2, v20
	v_add_f32_e32 v3, v3, v19
	s_or_b64 exec, exec, s[16:17]
	s_and_saveexec_b64 s[14:15], s[10:11]
	s_cbranch_execz .LBB62_894
.LBB62_1099:
	ds_read_b64 v[18:19], v16 offset:7168
	ds_read_b64 v[16:17], v17 offset:4208
	s_waitcnt lgkmcnt(0)
	v_mul_f32_e32 v20, v17, v19
	v_mul_f32_e32 v19, v16, v19
	v_fma_f32 v16, v16, v18, -v20
	v_fmac_f32_e32 v19, v17, v18
	v_add_f32_e32 v2, v2, v16
	v_add_f32_e32 v3, v3, v19
	s_or_b64 exec, exec, s[14:15]
	v_cmp_gt_u32_e64 s[14:15], 8, v9
	s_and_saveexec_b64 s[16:17], s[14:15]
	s_cbranch_execnz .LBB62_895
	s_branch .LBB62_896
.LBB62_1100:
	ds_read_b64 v[15:16], v13 offset:2560
	ds_read_b64 v[17:18], v14 offset:2088
	s_waitcnt lgkmcnt(0)
	v_mul_f32_e32 v19, v18, v16
	v_mul_f32_e32 v16, v17, v16
	v_fma_f32 v17, v17, v15, -v19
	v_fmac_f32_e32 v16, v18, v15
	v_add_f32_e32 v2, v2, v17
	v_add_f32_e32 v3, v3, v16
	s_or_b64 exec, exec, s[14:15]
	v_cmp_gt_u32_e64 s[12:13], 8, v9
	s_and_saveexec_b64 s[14:15], s[12:13]
	s_cbranch_execz .LBB62_952
.LBB62_1101:
	ds_read_b64 v[15:16], v13 offset:3072
	ds_read_b64 v[13:14], v14 offset:2096
	s_waitcnt lgkmcnt(0)
	v_mul_f32_e32 v17, v14, v16
	v_mul_f32_e32 v16, v13, v16
	v_fma_f32 v13, v13, v15, -v17
	v_fmac_f32_e32 v16, v14, v15
	v_add_f32_e32 v2, v2, v13
	v_add_f32_e32 v3, v3, v16
	s_or_b64 exec, exec, s[14:15]
	v_cmp_gt_u32_e64 s[12:13], 4, v9
	s_and_saveexec_b64 s[14:15], s[12:13]
	s_cbranch_execnz .LBB62_953
	s_branch .LBB62_954
	.section	.rodata,"a",@progbits
	.p2align	6, 0x0
	.amdhsa_kernel _ZL19rocblas_trsv_deviceILi64ELi16ELb0ELb1ELb0ELb1E19rocblas_complex_numIfES1_PKS1_PS1_EviT7_lllT6_T8_lllPii
		.amdhsa_group_segment_fixed_size 41480
		.amdhsa_private_segment_fixed_size 48
		.amdhsa_kernarg_size 352
		.amdhsa_user_sgpr_count 8
		.amdhsa_user_sgpr_private_segment_buffer 1
		.amdhsa_user_sgpr_dispatch_ptr 0
		.amdhsa_user_sgpr_queue_ptr 0
		.amdhsa_user_sgpr_kernarg_segment_ptr 1
		.amdhsa_user_sgpr_dispatch_id 0
		.amdhsa_user_sgpr_flat_scratch_init 1
		.amdhsa_user_sgpr_private_segment_size 0
		.amdhsa_uses_dynamic_stack 0
		.amdhsa_system_sgpr_private_segment_wavefront_offset 1
		.amdhsa_system_sgpr_workgroup_id_x 1
		.amdhsa_system_sgpr_workgroup_id_y 0
		.amdhsa_system_sgpr_workgroup_id_z 1
		.amdhsa_system_sgpr_workgroup_info 0
		.amdhsa_system_vgpr_workitem_id 1
		.amdhsa_next_free_vgpr 49
		.amdhsa_next_free_sgpr 100
		.amdhsa_reserve_vcc 1
		.amdhsa_reserve_flat_scratch 1
		.amdhsa_float_round_mode_32 0
		.amdhsa_float_round_mode_16_64 0
		.amdhsa_float_denorm_mode_32 3
		.amdhsa_float_denorm_mode_16_64 3
		.amdhsa_dx10_clamp 1
		.amdhsa_ieee_mode 1
		.amdhsa_fp16_overflow 0
		.amdhsa_exception_fp_ieee_invalid_op 0
		.amdhsa_exception_fp_denorm_src 0
		.amdhsa_exception_fp_ieee_div_zero 0
		.amdhsa_exception_fp_ieee_overflow 0
		.amdhsa_exception_fp_ieee_underflow 0
		.amdhsa_exception_fp_ieee_inexact 0
		.amdhsa_exception_int_div_zero 0
	.end_amdhsa_kernel
	.section	.text._ZL19rocblas_trsv_deviceILi64ELi16ELb0ELb1ELb0ELb1E19rocblas_complex_numIfES1_PKS1_PS1_EviT7_lllT6_T8_lllPii,"axG",@progbits,_ZL19rocblas_trsv_deviceILi64ELi16ELb0ELb1ELb0ELb1E19rocblas_complex_numIfES1_PKS1_PS1_EviT7_lllT6_T8_lllPii,comdat
.Lfunc_end62:
	.size	_ZL19rocblas_trsv_deviceILi64ELi16ELb0ELb1ELb0ELb1E19rocblas_complex_numIfES1_PKS1_PS1_EviT7_lllT6_T8_lllPii, .Lfunc_end62-_ZL19rocblas_trsv_deviceILi64ELi16ELb0ELb1ELb0ELb1E19rocblas_complex_numIfES1_PKS1_PS1_EviT7_lllT6_T8_lllPii
                                        ; -- End function
	.set _ZL19rocblas_trsv_deviceILi64ELi16ELb0ELb1ELb0ELb1E19rocblas_complex_numIfES1_PKS1_PS1_EviT7_lllT6_T8_lllPii.num_vgpr, 30
	.set _ZL19rocblas_trsv_deviceILi64ELi16ELb0ELb1ELb0ELb1E19rocblas_complex_numIfES1_PKS1_PS1_EviT7_lllT6_T8_lllPii.num_agpr, 0
	.set _ZL19rocblas_trsv_deviceILi64ELi16ELb0ELb1ELb0ELb1E19rocblas_complex_numIfES1_PKS1_PS1_EviT7_lllT6_T8_lllPii.numbered_sgpr, 100
	.set _ZL19rocblas_trsv_deviceILi64ELi16ELb0ELb1ELb0ELb1E19rocblas_complex_numIfES1_PKS1_PS1_EviT7_lllT6_T8_lllPii.num_named_barrier, 0
	.set _ZL19rocblas_trsv_deviceILi64ELi16ELb0ELb1ELb0ELb1E19rocblas_complex_numIfES1_PKS1_PS1_EviT7_lllT6_T8_lllPii.private_seg_size, 48
	.set _ZL19rocblas_trsv_deviceILi64ELi16ELb0ELb1ELb0ELb1E19rocblas_complex_numIfES1_PKS1_PS1_EviT7_lllT6_T8_lllPii.uses_vcc, 1
	.set _ZL19rocblas_trsv_deviceILi64ELi16ELb0ELb1ELb0ELb1E19rocblas_complex_numIfES1_PKS1_PS1_EviT7_lllT6_T8_lllPii.uses_flat_scratch, 1
	.set _ZL19rocblas_trsv_deviceILi64ELi16ELb0ELb1ELb0ELb1E19rocblas_complex_numIfES1_PKS1_PS1_EviT7_lllT6_T8_lllPii.has_dyn_sized_stack, 0
	.set _ZL19rocblas_trsv_deviceILi64ELi16ELb0ELb1ELb0ELb1E19rocblas_complex_numIfES1_PKS1_PS1_EviT7_lllT6_T8_lllPii.has_recursion, 0
	.set _ZL19rocblas_trsv_deviceILi64ELi16ELb0ELb1ELb0ELb1E19rocblas_complex_numIfES1_PKS1_PS1_EviT7_lllT6_T8_lllPii.has_indirect_call, 0
	.section	.AMDGPU.csdata,"",@progbits
; Kernel info:
; codeLenInByte = 40012
; TotalNumSgprs: 106
; NumVgprs: 30
; ScratchSize: 48
; MemoryBound: 1
; FloatMode: 240
; IeeeMode: 1
; LDSByteSize: 41480 bytes/workgroup (compile time only)
; SGPRBlocks: 13
; VGPRBlocks: 12
; NumSGPRsForWavesPerEU: 106
; NumVGPRsForWavesPerEU: 49
; Occupancy: 4
; WaveLimiterHint : 0
; COMPUTE_PGM_RSRC2:SCRATCH_EN: 1
; COMPUTE_PGM_RSRC2:USER_SGPR: 8
; COMPUTE_PGM_RSRC2:TRAP_HANDLER: 0
; COMPUTE_PGM_RSRC2:TGID_X_EN: 1
; COMPUTE_PGM_RSRC2:TGID_Y_EN: 0
; COMPUTE_PGM_RSRC2:TGID_Z_EN: 1
; COMPUTE_PGM_RSRC2:TIDIG_COMP_CNT: 1
	.section	.text._ZL19rocblas_trsv_deviceILi64ELi16ELb0ELb1ELb1ELb1E19rocblas_complex_numIfES1_PKS1_PS1_EviT7_lllT6_T8_lllPii,"axG",@progbits,_ZL19rocblas_trsv_deviceILi64ELi16ELb0ELb1ELb1ELb1E19rocblas_complex_numIfES1_PKS1_PS1_EviT7_lllT6_T8_lllPii,comdat
	.globl	_ZL19rocblas_trsv_deviceILi64ELi16ELb0ELb1ELb1ELb1E19rocblas_complex_numIfES1_PKS1_PS1_EviT7_lllT6_T8_lllPii ; -- Begin function _ZL19rocblas_trsv_deviceILi64ELi16ELb0ELb1ELb1ELb1E19rocblas_complex_numIfES1_PKS1_PS1_EviT7_lllT6_T8_lllPii
	.p2align	8
	.type	_ZL19rocblas_trsv_deviceILi64ELi16ELb0ELb1ELb1ELb1E19rocblas_complex_numIfES1_PKS1_PS1_EviT7_lllT6_T8_lllPii,@function
_ZL19rocblas_trsv_deviceILi64ELi16ELb0ELb1ELb1ELb1E19rocblas_complex_numIfES1_PKS1_PS1_EviT7_lllT6_T8_lllPii: ; @_ZL19rocblas_trsv_deviceILi64ELi16ELb0ELb1ELb1ELb1E19rocblas_complex_numIfES1_PKS1_PS1_EviT7_lllT6_T8_lllPii
; %bb.0:
	s_load_dwordx8 s[20:27], s[4:5], 0x8
	s_load_dword s33, s[4:5], 0x0
	s_mov_b32 s28, s7
	s_mov_b32 s29, 0
	s_waitcnt lgkmcnt(0)
	s_mul_i32 s0, s27, s7
	s_mul_hi_u32 s1, s26, s7
	s_add_i32 s1, s1, s0
	s_mul_i32 s0, s26, s7
	s_lshl_b64 s[0:1], s[0:1], 3
	s_add_u32 s2, s20, s0
	s_load_dwordx2 s[26:27], s[4:5], 0x28
	s_load_dword s20, s[4:5], 0x6c
	s_addc_u32 s3, s21, s1
	s_lshl_b64 s[0:1], s[22:23], 3
	s_add_u32 s86, s2, s0
	s_addc_u32 s87, s3, s1
	s_cmp_eq_u32 s6, 0
	s_cbranch_scc1 .LBB63_10
; %bb.1:
	s_lshl_b32 s2, s6, 6
	v_add_u32_e32 v4, s2, v0
	v_ashrrev_i32_e32 v2, 31, v4
	v_mul_lo_u32 v5, s24, v2
	v_mul_lo_u32 v8, s25, v4
	v_mad_u64_u32 v[2:3], s[0:1], s24, v4, 0
	v_add_u32_e32 v6, s2, v1
	v_subrev_u32_e32 v6, 64, v6
	v_add3_u32 v3, v3, v5, v8
	v_lshlrev_b64 v[2:3], 3, v[2:3]
	v_ashrrev_i32_e32 v7, 31, v6
	v_cmp_gt_i32_e32 vcc, s33, v4
	v_mov_b32_e32 v4, s87
	v_add_co_u32_e64 v5, s[0:1], s86, v2
	v_addc_co_u32_e64 v4, s[0:1], v4, v3, s[0:1]
	v_lshlrev_b64 v[2:3], 3, v[6:7]
	s_waitcnt lgkmcnt(0)
	v_add_co_u32_e64 v10, s[0:1], v5, v2
	v_addc_co_u32_e64 v11, s[0:1], v4, v3, s[0:1]
	v_cmp_gt_i32_e64 s[0:1], s33, v6
	s_and_b64 s[2:3], s[0:1], vcc
	v_mov_b32_e32 v2, 0
	v_mov_b32_e32 v4, 0
	;; [unrolled: 1-line block ×3, first 2 shown]
	s_barrier
	s_and_saveexec_b64 s[0:1], s[2:3]
	s_cbranch_execz .LBB63_3
; %bb.2:
	global_load_dwordx2 v[4:5], v[10:11], off
.LBB63_3:
	s_or_b64 exec, exec, s[0:1]
	v_add_u32_e32 v3, 16, v6
	v_cmp_gt_i32_e64 s[0:1], s33, v3
	s_and_b64 s[2:3], s[0:1], vcc
	v_mov_b32_e32 v3, 0
	s_waitcnt vmcnt(0)
	s_barrier
	s_and_saveexec_b64 s[0:1], s[2:3]
	s_cbranch_execz .LBB63_5
; %bb.4:
	global_load_dwordx2 v[2:3], v[10:11], off offset:128
.LBB63_5:
	s_or_b64 exec, exec, s[0:1]
	v_add_u32_e32 v7, 32, v6
	v_cmp_gt_i32_e64 s[0:1], s33, v7
	s_and_b64 s[2:3], s[0:1], vcc
	v_mov_b32_e32 v7, 0
	v_mov_b32_e32 v8, 0
	;; [unrolled: 1-line block ×3, first 2 shown]
	s_waitcnt vmcnt(0)
	s_barrier
	s_and_saveexec_b64 s[0:1], s[2:3]
	s_cbranch_execz .LBB63_7
; %bb.6:
	global_load_dwordx2 v[8:9], v[10:11], off offset:256
.LBB63_7:
	s_or_b64 exec, exec, s[0:1]
	v_add_u32_e32 v6, 48, v6
	v_cmp_gt_i32_e64 s[0:1], s33, v6
	s_and_b64 s[2:3], s[0:1], vcc
	v_mov_b32_e32 v6, 0
	s_waitcnt vmcnt(0)
	s_barrier
	s_and_saveexec_b64 s[0:1], s[2:3]
	s_cbranch_execz .LBB63_9
; %bb.8:
	global_load_dwordx2 v[6:7], v[10:11], off offset:384
.LBB63_9:
	s_or_b64 exec, exec, s[0:1]
	s_branch .LBB63_11
.LBB63_10:
                                        ; implicit-def: $vgpr7
                                        ; implicit-def: $vgpr9
                                        ; implicit-def: $vgpr3
                                        ; implicit-def: $vgpr5
.LBB63_11:
	s_ashr_i32 s0, s33, 31
	s_lshr_b32 s0, s0, 26
	s_add_i32 s0, s33, s0
	s_andn2_b32 s0, s0, 63
	s_sub_i32 s7, s33, s0
	s_add_i32 s0, s33, -1
	s_ashr_i32 s1, s0, 31
	s_lshr_b32 s1, s1, 26
	s_add_i32 s0, s0, s1
	s_ashr_i32 s0, s0, 6
	s_cmp_eq_u32 s0, s6
	s_cselect_b64 s[0:1], -1, 0
	s_cmp_lg_u32 s7, 0
	s_cselect_b64 s[2:3], -1, 0
	s_and_b64 s[22:23], s[2:3], s[0:1]
	s_cmp_lt_i32 s6, 5
	s_cselect_b64 s[2:3], -1, 0
	v_lshlrev_b32_e32 v10, 6, v0
	s_mov_b64 s[12:13], -1
	s_or_b64 s[0:1], s[2:3], s[22:23]
	s_and_b64 vcc, exec, s[22:23]
	v_add_u32_e32 v11, v1, v10
	v_cmp_le_u32_e64 s[8:9], v1, v0
	v_lshlrev_b32_e32 v16, 3, v0
	v_lshl_add_u32 v17, v1, 6, v0
	s_cbranch_vccnz .LBB63_37
; %bb.12:
	s_add_u32 s10, s24, 1
	s_addc_u32 s11, s25, 0
	s_lshl_b32 s12, s6, 6
	s_ashr_i32 s13, s12, 31
	s_mul_hi_u32 s14, s10, s12
	s_mul_i32 s13, s10, s13
	s_add_i32 s13, s14, s13
	s_mul_i32 s11, s11, s12
	s_add_i32 s11, s13, s11
	s_mul_i32 s10, s10, s12
	s_lshl_b64 s[10:11], s[10:11], 3
	s_add_u32 s10, s86, s10
	s_addc_u32 s11, s87, s11
	v_lshlrev_b32_e32 v12, 3, v0
	v_mov_b32_e32 v13, s11
	v_add_co_u32_e32 v12, vcc, s10, v12
	v_addc_co_u32_e32 v13, vcc, 0, v13, vcc
	v_cndmask_b32_e64 v14, v17, v11, s[2:3]
	s_and_saveexec_b64 s[2:3], s[8:9]
	s_xor_b64 s[2:3], exec, s[2:3]
	s_cbranch_execz .LBB63_16
; %bb.13:
	v_or_b32_e32 v15, v1, v0
	v_cmp_gt_u32_e32 vcc, 64, v15
	s_and_saveexec_b64 s[8:9], vcc
; %bb.14:
	v_lshlrev_b32_e32 v18, 3, v14
	v_mov_b32_e32 v14, 0
	v_mov_b32_e32 v15, v14
	ds_write_b64 v18, v[14:15]
; %bb.15:
	s_or_b64 exec, exec, s[8:9]
                                        ; implicit-def: $vgpr14
.LBB63_16:
	s_andn2_saveexec_b64 s[2:3], s[2:3]
	s_cbranch_execz .LBB63_18
; %bb.17:
	v_mad_u64_u32 v[18:19], s[8:9], s24, v1, 0
	v_lshlrev_b32_e32 v14, 3, v14
	v_mov_b32_e32 v15, v19
	v_mad_u64_u32 v[19:20], s[8:9], s25, v1, v[15:16]
	v_lshlrev_b64 v[18:19], 3, v[18:19]
	v_add_co_u32_e32 v18, vcc, v12, v18
	v_addc_co_u32_e32 v19, vcc, v13, v19, vcc
	global_load_dwordx2 v[18:19], v[18:19], off
	s_waitcnt vmcnt(0)
	v_xor_b32_e32 v18, 0x80000000, v18
	ds_write_b64 v14, v[18:19]
.LBB63_18:
	s_or_b64 exec, exec, s[2:3]
	v_add_u32_e32 v15, 16, v1
	v_add_u32_e32 v14, v15, v10
	v_lshl_add_u32 v18, v15, 6, v0
	v_cndmask_b32_e64 v14, v18, v14, s[0:1]
	v_cmp_le_u32_e32 vcc, v15, v0
	s_and_saveexec_b64 s[2:3], vcc
	s_xor_b64 s[2:3], exec, s[2:3]
	s_cbranch_execz .LBB63_22
; %bb.19:
	v_or_b32_e32 v15, v15, v0
	v_cmp_gt_u32_e32 vcc, 64, v15
	s_and_saveexec_b64 s[8:9], vcc
; %bb.20:
	v_lshlrev_b32_e32 v18, 3, v14
	v_mov_b32_e32 v14, 0
	v_mov_b32_e32 v15, v14
	ds_write_b64 v18, v[14:15]
; %bb.21:
	s_or_b64 exec, exec, s[8:9]
                                        ; implicit-def: $vgpr15
                                        ; implicit-def: $vgpr14
.LBB63_22:
	s_andn2_saveexec_b64 s[2:3], s[2:3]
	s_cbranch_execz .LBB63_24
; %bb.23:
	v_mad_u64_u32 v[18:19], s[8:9], s24, v15, 0
	v_lshlrev_b32_e32 v14, 3, v14
	v_mad_u64_u32 v[19:20], s[8:9], s25, v15, v[19:20]
	v_lshlrev_b64 v[18:19], 3, v[18:19]
	v_add_co_u32_e32 v18, vcc, v12, v18
	v_addc_co_u32_e32 v19, vcc, v13, v19, vcc
	global_load_dwordx2 v[18:19], v[18:19], off
	s_waitcnt vmcnt(0)
	v_xor_b32_e32 v18, 0x80000000, v18
	ds_write_b64 v14, v[18:19]
.LBB63_24:
	s_or_b64 exec, exec, s[2:3]
	v_add_u32_e32 v15, 32, v1
	v_add_u32_e32 v14, v15, v10
	v_lshl_add_u32 v18, v15, 6, v0
	v_cndmask_b32_e64 v14, v18, v14, s[0:1]
	v_cmp_le_u32_e32 vcc, v15, v0
	s_and_saveexec_b64 s[2:3], vcc
	s_xor_b64 s[2:3], exec, s[2:3]
	s_cbranch_execz .LBB63_28
; %bb.25:
	v_or_b32_e32 v15, v15, v0
	v_cmp_gt_u32_e32 vcc, 64, v15
	s_and_saveexec_b64 s[8:9], vcc
; %bb.26:
	v_lshlrev_b32_e32 v18, 3, v14
	v_mov_b32_e32 v14, 0
	v_mov_b32_e32 v15, v14
	ds_write_b64 v18, v[14:15]
; %bb.27:
	s_or_b64 exec, exec, s[8:9]
                                        ; implicit-def: $vgpr15
                                        ; implicit-def: $vgpr14
.LBB63_28:
	s_andn2_saveexec_b64 s[2:3], s[2:3]
	s_cbranch_execz .LBB63_30
; %bb.29:
	v_mad_u64_u32 v[18:19], s[8:9], s24, v15, 0
	v_lshlrev_b32_e32 v14, 3, v14
	v_mad_u64_u32 v[19:20], s[8:9], s25, v15, v[19:20]
	v_lshlrev_b64 v[18:19], 3, v[18:19]
	v_add_co_u32_e32 v18, vcc, v12, v18
	v_addc_co_u32_e32 v19, vcc, v13, v19, vcc
	global_load_dwordx2 v[18:19], v[18:19], off
	s_waitcnt vmcnt(0)
	v_xor_b32_e32 v18, 0x80000000, v18
	ds_write_b64 v14, v[18:19]
.LBB63_30:
	s_or_b64 exec, exec, s[2:3]
	v_add_u32_e32 v15, 48, v1
	v_add_u32_e32 v14, v15, v10
	v_lshl_add_u32 v18, v15, 6, v0
	v_cndmask_b32_e64 v14, v18, v14, s[0:1]
	v_cmp_le_u32_e32 vcc, v15, v0
	s_and_saveexec_b64 s[2:3], vcc
	s_xor_b64 s[2:3], exec, s[2:3]
	s_cbranch_execz .LBB63_34
; %bb.31:
	v_or_b32_e32 v12, v15, v0
	v_cmp_gt_u32_e32 vcc, 64, v12
	s_and_saveexec_b64 s[8:9], vcc
; %bb.32:
	v_mov_b32_e32 v12, 0
	v_lshlrev_b32_e32 v14, 3, v14
	v_mov_b32_e32 v13, v12
	ds_write_b64 v14, v[12:13]
; %bb.33:
	s_or_b64 exec, exec, s[8:9]
                                        ; implicit-def: $vgpr15
                                        ; implicit-def: $vgpr12
                                        ; implicit-def: $vgpr13
                                        ; implicit-def: $vgpr14
.LBB63_34:
	s_andn2_saveexec_b64 s[2:3], s[2:3]
	s_cbranch_execz .LBB63_36
; %bb.35:
	v_mad_u64_u32 v[18:19], s[8:9], s24, v15, 0
	v_lshlrev_b32_e32 v14, 3, v14
	v_mad_u64_u32 v[19:20], s[8:9], s25, v15, v[19:20]
	v_lshlrev_b64 v[18:19], 3, v[18:19]
	v_add_co_u32_e32 v12, vcc, v12, v18
	v_addc_co_u32_e32 v13, vcc, v13, v19, vcc
	global_load_dwordx2 v[12:13], v[12:13], off
	s_waitcnt vmcnt(0)
	v_xor_b32_e32 v12, 0x80000000, v12
	ds_write_b64 v14, v[12:13]
.LBB63_36:
	s_or_b64 exec, exec, s[2:3]
	s_mov_b64 s[12:13], 0
.LBB63_37:
	s_xor_b64 s[10:11], s[0:1], -1
	s_and_b64 vcc, exec, s[12:13]
	s_cbranch_vccz .LBB63_63
; %bb.38:
	s_add_u32 s2, s24, 1
	s_addc_u32 s3, s25, 0
	s_lshl_b32 s8, s6, 6
	s_ashr_i32 s9, s8, 31
	s_mul_hi_u32 s12, s2, s8
	s_mul_i32 s9, s2, s9
	s_add_i32 s9, s12, s9
	s_mul_i32 s3, s3, s8
	s_add_i32 s3, s9, s3
	s_mul_i32 s2, s2, s8
	s_lshl_b64 s[2:3], s[2:3], 3
	s_add_u32 s2, s86, s2
	s_addc_u32 s3, s87, s3
	v_lshlrev_b32_e32 v12, 3, v0
	v_mov_b32_e32 v13, s3
	v_add_co_u32_e64 v12, s[2:3], s2, v12
	v_addc_co_u32_e64 v13, s[2:3], 0, v13, s[2:3]
	v_max_i32_e32 v14, v1, v0
	v_cmp_le_u32_e64 s[2:3], v1, v0
	v_cmp_le_i32_e64 s[8:9], s7, v14
	v_cmp_gt_i32_e32 vcc, s7, v0
	s_or_b64 s[2:3], s[8:9], s[2:3]
	s_and_saveexec_b64 s[8:9], s[2:3]
	s_xor_b64 s[8:9], exec, s[8:9]
	s_cbranch_execz .LBB63_42
; %bb.39:
	v_or_b32_e32 v14, v1, v0
	v_cmp_gt_u32_e64 s[2:3], 64, v14
	s_and_saveexec_b64 s[12:13], s[2:3]
; %bb.40:
	v_mov_b32_e32 v14, 0
	v_lshlrev_b32_e32 v11, 3, v11
	v_mov_b32_e32 v15, v14
	ds_write_b64 v11, v[14:15]
; %bb.41:
	s_or_b64 exec, exec, s[12:13]
                                        ; implicit-def: $vgpr11
.LBB63_42:
	s_andn2_saveexec_b64 s[8:9], s[8:9]
	s_cbranch_execz .LBB63_44
; %bb.43:
	v_mad_u64_u32 v[14:15], s[2:3], s24, v1, 0
	v_lshlrev_b32_e32 v11, 3, v11
	v_mad_u64_u32 v[18:19], s[2:3], s25, v1, v[15:16]
	v_mov_b32_e32 v15, v18
	v_lshlrev_b64 v[14:15], 3, v[14:15]
	v_add_co_u32_e64 v14, s[2:3], v12, v14
	v_addc_co_u32_e64 v15, s[2:3], v13, v15, s[2:3]
	global_load_dwordx2 v[14:15], v[14:15], off
	s_waitcnt vmcnt(0)
	v_xor_b32_e32 v14, 0x80000000, v14
	ds_write_b64 v11, v[14:15]
.LBB63_44:
	s_or_b64 exec, exec, s[8:9]
	v_add_u32_e32 v14, 16, v1
	v_cmp_gt_u32_e64 s[2:3], v14, v0
	v_cmp_gt_i32_e64 s[8:9], s7, v14
	s_and_b64 s[2:3], s[2:3], s[8:9]
	v_add_u32_e32 v11, v14, v10
	v_lshl_add_u32 v15, v14, 6, v0
	s_and_b64 s[2:3], s[2:3], vcc
	v_cndmask_b32_e64 v11, v15, v11, s[0:1]
	s_xor_b64 s[2:3], s[2:3], -1
	s_and_saveexec_b64 s[8:9], s[2:3]
	s_xor_b64 s[8:9], exec, s[8:9]
	s_cbranch_execz .LBB63_48
; %bb.45:
	v_or_b32_e32 v14, v14, v0
	v_cmp_gt_u32_e64 s[2:3], 64, v14
	s_and_saveexec_b64 s[12:13], s[2:3]
; %bb.46:
	v_mov_b32_e32 v14, 0
	v_lshlrev_b32_e32 v11, 3, v11
	v_mov_b32_e32 v15, v14
	ds_write_b64 v11, v[14:15]
; %bb.47:
	s_or_b64 exec, exec, s[12:13]
                                        ; implicit-def: $vgpr14
                                        ; implicit-def: $vgpr11
.LBB63_48:
	s_andn2_saveexec_b64 s[8:9], s[8:9]
	s_cbranch_execz .LBB63_50
; %bb.49:
	v_mad_u64_u32 v[18:19], s[2:3], s24, v14, 0
	v_lshlrev_b32_e32 v11, 3, v11
	v_mov_b32_e32 v15, v19
	v_mad_u64_u32 v[14:15], s[2:3], s25, v14, v[15:16]
	v_mov_b32_e32 v19, v14
	v_lshlrev_b64 v[14:15], 3, v[18:19]
	v_add_co_u32_e64 v14, s[2:3], v12, v14
	v_addc_co_u32_e64 v15, s[2:3], v13, v15, s[2:3]
	global_load_dwordx2 v[14:15], v[14:15], off
	s_waitcnt vmcnt(0)
	v_xor_b32_e32 v14, 0x80000000, v14
	ds_write_b64 v11, v[14:15]
.LBB63_50:
	s_or_b64 exec, exec, s[8:9]
	v_add_u32_e32 v14, 32, v1
	v_cmp_gt_u32_e64 s[2:3], v14, v0
	v_cmp_gt_i32_e64 s[8:9], s7, v14
	s_and_b64 s[2:3], s[2:3], s[8:9]
	v_add_u32_e32 v11, v14, v10
	v_lshl_add_u32 v15, v14, 6, v0
	s_and_b64 s[2:3], s[2:3], vcc
	v_cndmask_b32_e64 v11, v15, v11, s[0:1]
	s_xor_b64 s[2:3], s[2:3], -1
	s_and_saveexec_b64 s[8:9], s[2:3]
	s_xor_b64 s[8:9], exec, s[8:9]
	s_cbranch_execz .LBB63_54
; %bb.51:
	v_or_b32_e32 v14, v14, v0
	v_cmp_gt_u32_e64 s[2:3], 64, v14
	s_and_saveexec_b64 s[12:13], s[2:3]
; %bb.52:
	v_mov_b32_e32 v14, 0
	v_lshlrev_b32_e32 v11, 3, v11
	v_mov_b32_e32 v15, v14
	ds_write_b64 v11, v[14:15]
; %bb.53:
	s_or_b64 exec, exec, s[12:13]
                                        ; implicit-def: $vgpr14
                                        ; implicit-def: $vgpr11
.LBB63_54:
	s_andn2_saveexec_b64 s[8:9], s[8:9]
	s_cbranch_execz .LBB63_56
; %bb.55:
	v_mad_u64_u32 v[18:19], s[2:3], s24, v14, 0
	v_lshlrev_b32_e32 v11, 3, v11
	v_mov_b32_e32 v15, v19
	v_mad_u64_u32 v[14:15], s[2:3], s25, v14, v[15:16]
	v_mov_b32_e32 v19, v14
	v_lshlrev_b64 v[14:15], 3, v[18:19]
	v_add_co_u32_e64 v14, s[2:3], v12, v14
	v_addc_co_u32_e64 v15, s[2:3], v13, v15, s[2:3]
	global_load_dwordx2 v[14:15], v[14:15], off
	s_waitcnt vmcnt(0)
	v_xor_b32_e32 v14, 0x80000000, v14
	ds_write_b64 v11, v[14:15]
.LBB63_56:
	s_or_b64 exec, exec, s[8:9]
	v_add_u32_e32 v11, 48, v1
	v_add_u32_e32 v10, v11, v10
	v_lshl_add_u32 v14, v11, 6, v0
	v_cndmask_b32_e64 v10, v14, v10, s[0:1]
	v_cmp_gt_u32_e64 s[0:1], v11, v0
	v_cmp_gt_i32_e64 s[2:3], s7, v11
	s_and_b64 s[0:1], s[0:1], s[2:3]
	s_and_b64 s[0:1], s[0:1], vcc
	s_xor_b64 s[0:1], s[0:1], -1
	s_and_saveexec_b64 s[2:3], s[0:1]
	s_xor_b64 s[0:1], exec, s[2:3]
	s_cbranch_execz .LBB63_60
; %bb.57:
	v_or_b32_e32 v11, v11, v0
	v_cmp_gt_u32_e32 vcc, 64, v11
	s_and_saveexec_b64 s[2:3], vcc
; %bb.58:
	v_lshlrev_b32_e32 v12, 3, v10
	v_mov_b32_e32 v10, 0
	v_mov_b32_e32 v11, v10
	ds_write_b64 v12, v[10:11]
; %bb.59:
	s_or_b64 exec, exec, s[2:3]
                                        ; implicit-def: $vgpr11
                                        ; implicit-def: $vgpr12
                                        ; implicit-def: $vgpr13
                                        ; implicit-def: $vgpr10
.LBB63_60:
	s_andn2_saveexec_b64 s[0:1], s[0:1]
	s_cbranch_execz .LBB63_62
; %bb.61:
	v_mad_u64_u32 v[14:15], s[2:3], s24, v11, 0
	v_lshlrev_b32_e32 v10, 3, v10
	v_mad_u64_u32 v[18:19], s[2:3], s25, v11, v[15:16]
	v_mov_b32_e32 v15, v18
	v_lshlrev_b64 v[14:15], 3, v[14:15]
	v_add_co_u32_e32 v11, vcc, v12, v14
	v_addc_co_u32_e32 v12, vcc, v13, v15, vcc
	global_load_dwordx2 v[11:12], v[11:12], off
	s_waitcnt vmcnt(0)
	v_xor_b32_e32 v11, 0x80000000, v11
	ds_write_b64 v10, v[11:12]
.LBB63_62:
	s_or_b64 exec, exec, s[0:1]
.LBB63_63:
	v_cndmask_b32_e64 v10, 0, 1, s[10:11]
	v_cmp_ne_u32_e64 s[40:41], 1, v10
	s_andn2_b64 vcc, exec, s[10:11]
	s_waitcnt vmcnt(0) lgkmcnt(0)
	s_barrier
	s_cbranch_vccnz .LBB63_985
; %bb.64:
	v_or_b32_e32 v10, v0, v1
	s_mov_b32 s3, 0
	v_cmp_eq_u32_e32 vcc, 0, v10
	s_and_saveexec_b64 s[0:1], vcc
	s_cbranch_execz .LBB63_66
; %bb.65:
	v_mov_b32_e32 v14, 0
	ds_read_b64 v[10:11], v14 offset:32752
	s_mov_b32 s2, 1.0
	v_mov_b32_e32 v13, s3
	v_mov_b32_e32 v12, s2
	s_movk_i32 s2, 0x7800
	ds_write_b64 v14, v[12:13] offset:32760
	v_add_u32_e64 v14, s2, 0
	s_waitcnt lgkmcnt(1)
	ds_write2_b64 v14, v[12:13], v[10:11] offset0:190 offset1:191
.LBB63_66:
	s_or_b64 exec, exec, s[0:1]
	v_lshlrev_b32_e32 v10, 6, v1
	v_add_u32_e32 v15, v10, v0
	v_and_b32_e32 v11, v10, v0
	v_xor_b32_e32 v10, v10, v0
	v_lshrrev_b16_e32 v10, 1, v10
	v_add_u16_e32 v14, v11, v10
	v_and_b32_e32 v12, 1, v0
	v_sub_u32_e32 v13, 1, v14
	v_cmp_lt_u32_e64 s[8:9], 3, v15
	v_cmp_gt_u32_e64 s[2:3], 4, v15
	v_mov_b32_e32 v10, 0
	v_mov_b32_e32 v11, 0
	s_waitcnt lgkmcnt(0)
	s_barrier
	buffer_wbinvl1_vol
	s_and_saveexec_b64 s[0:1], s[2:3]
	s_cbranch_execz .LBB63_70
; %bb.67:
	v_lshlrev_b32_e32 v10, 3, v12
	v_lshlrev_b32_e32 v18, 9, v13
	ds_read_b64 v[10:11], v10 offset:32224
	ds_read_b64 v[18:19], v18 offset:32240
	v_cmp_gt_u32_e64 s[10:11], 2, v15
	s_waitcnt lgkmcnt(0)
	v_mul_f32_e32 v20, v19, v11
	v_mul_f32_e32 v11, v18, v11
	v_fma_f32 v18, v18, v10, -v20
	v_fmac_f32_e32 v11, v19, v10
	v_add_f32_e32 v10, 0, v18
	v_add_f32_e32 v11, 0, v11
	s_and_saveexec_b64 s[12:13], s[10:11]
	s_cbranch_execz .LBB63_69
; %bb.68:
	v_lshlrev_b32_e32 v18, 3, v0
	v_mov_b32_e32 v20, 0
	ds_read_b64 v[18:19], v18 offset:32736
	ds_read_b64 v[20:21], v20 offset:32760
	s_waitcnt lgkmcnt(0)
	v_mul_f32_e32 v22, v21, v19
	v_mul_f32_e32 v19, v20, v19
	v_fma_f32 v20, v20, v18, -v22
	v_fmac_f32_e32 v19, v21, v18
	v_add_f32_e32 v10, v10, v20
	v_add_f32_e32 v11, v11, v19
.LBB63_69:
	s_or_b64 exec, exec, s[12:13]
.LBB63_70:
	s_or_b64 exec, exec, s[0:1]
	v_mov_b32_e32 v18, 0x8000
	v_cmp_ne_u32_e64 s[10:11], 0, v12
	s_xor_b64 s[0:1], s[8:9], -1
	v_lshl_add_u32 v14, v14, 3, v18
	s_and_b64 s[34:35], s[10:11], s[0:1]
	s_and_saveexec_b64 s[8:9], s[34:35]
; %bb.71:
	v_xor_b32_e32 v19, 0x80000000, v11
	v_xor_b32_e32 v18, 0x80000000, v10
	ds_write_b64 v14, v[18:19]
; %bb.72:
	s_or_b64 exec, exec, s[8:9]
	v_cmp_eq_u32_e64 s[8:9], 0, v12
	s_and_b64 s[30:31], s[8:9], s[0:1]
	s_waitcnt lgkmcnt(0)
	s_barrier
	s_and_saveexec_b64 s[0:1], s[30:31]
	s_cbranch_execz .LBB63_74
; %bb.73:
	v_mov_b32_e32 v18, 0
	ds_read_b64 v[18:19], v18 offset:31712
	ds_read_b64 v[20:21], v14
	s_waitcnt lgkmcnt(0)
	v_mul_f32_e32 v22, v20, v18
	v_mul_f32_e32 v20, v20, v19
	v_fmac_f32_e32 v20, v21, v18
	v_fma_f32 v18, v21, v19, -v22
	v_add_f32_e32 v10, v10, v18
	v_sub_f32_e32 v11, v11, v20
.LBB63_74:
	s_or_b64 exec, exec, s[0:1]
	s_barrier
	s_and_saveexec_b64 s[0:1], s[30:31]
; %bb.75:
	v_xor_b32_e32 v19, 0x80000000, v11
	v_xor_b32_e32 v18, 0x80000000, v10
	ds_write_b64 v14, v[18:19]
; %bb.76:
	s_or_b64 exec, exec, s[0:1]
	s_waitcnt lgkmcnt(0)
	s_barrier
	s_barrier
	s_and_saveexec_b64 s[0:1], s[2:3]
; %bb.77:
	v_lshlrev_b32_e32 v18, 3, v12
	v_lshl_or_b32 v18, v13, 9, v18
	ds_write_b64 v18, v[10:11] offset:32224
; %bb.78:
	s_or_b64 exec, exec, s[0:1]
	v_cmp_eq_u32_e64 s[12:13], 0, v1
	v_cmp_gt_u32_e64 s[8:9], 2, v0
	s_and_b64 s[36:37], s[12:13], s[8:9]
	s_waitcnt lgkmcnt(0)
	s_barrier
	s_barrier
	s_and_saveexec_b64 s[0:1], s[36:37]
	s_cbranch_execz .LBB63_80
; %bb.79:
	v_lshlrev_b32_e32 v18, 3, v0
	s_movk_i32 s8, 0x1f8
	v_mad_u32_u24 v19, v0, s8, v18
	ds_read_b64 v[10:11], v19 offset:32224
	s_waitcnt lgkmcnt(0)
	ds_write_b64 v18, v[10:11] offset:31216
	ds_read_b64 v[10:11], v19 offset:32232
	s_waitcnt lgkmcnt(0)
	ds_write_b64 v18, v[10:11] offset:31728
.LBB63_80:
	s_or_b64 exec, exec, s[0:1]
	s_waitcnt lgkmcnt(0)
	s_barrier
	s_and_saveexec_b64 s[0:1], vcc
	s_cbranch_execz .LBB63_82
; %bb.81:
	v_mov_b32_e32 v20, 0
	ds_read_b64 v[10:11], v20 offset:31712
	s_mov_b64 s[8:9], 0x3f800000
	v_mov_b32_e32 v19, s9
	v_mov_b32_e32 v18, s8
	s_movk_i32 s8, 0x7800
	ds_write_b64 v20, v[18:19] offset:31720
	v_add_u32_e64 v20, s8, 0
	s_waitcnt lgkmcnt(1)
	ds_write2_b64 v20, v[18:19], v[10:11] offset0:60 offset1:61
.LBB63_82:
	s_or_b64 exec, exec, s[0:1]
	v_lshrrev_b32_e32 v20, 2, v15
	v_and_b32_e32 v18, 3, v0
	v_sub_u32_e32 v19, 3, v20
	v_cmp_lt_u32_e64 s[8:9], 15, v15
	v_cmp_gt_u32_e64 s[18:19], 16, v15
	v_mov_b32_e32 v11, 0
	v_mov_b32_e32 v10, 0
	s_waitcnt lgkmcnt(0)
	s_barrier
	buffer_wbinvl1_vol
	s_and_saveexec_b64 s[0:1], s[18:19]
	s_cbranch_execz .LBB63_88
; %bb.83:
	v_lshlrev_b32_e32 v21, 3, v18
	v_lshlrev_b32_e32 v22, 9, v19
	ds_read_b64 v[10:11], v21 offset:31168
	ds_read_b64 v[23:24], v22 offset:31200
	v_cmp_gt_u32_e64 s[10:11], 12, v15
	s_waitcnt lgkmcnt(0)
	v_mul_f32_e32 v25, v24, v11
	v_mul_f32_e32 v11, v23, v11
	v_fma_f32 v23, v23, v10, -v25
	v_fmac_f32_e32 v11, v24, v10
	v_add_f32_e32 v10, 0, v23
	v_add_f32_e32 v11, 0, v11
	s_and_saveexec_b64 s[14:15], s[10:11]
	s_cbranch_execnz .LBB63_1061
; %bb.84:
	s_or_b64 exec, exec, s[14:15]
	v_cmp_gt_u32_e64 s[10:11], 8, v15
	s_and_saveexec_b64 s[14:15], s[10:11]
	s_cbranch_execnz .LBB63_1062
.LBB63_85:
	s_or_b64 exec, exec, s[14:15]
	v_cmp_gt_u32_e64 s[10:11], 4, v15
	s_and_saveexec_b64 s[14:15], s[10:11]
	s_cbranch_execz .LBB63_87
.LBB63_86:
	v_lshlrev_b32_e32 v21, 3, v0
	v_mov_b32_e32 v23, 0
	ds_read_b64 v[21:22], v21 offset:32704
	ds_read_b64 v[23:24], v23 offset:32760
	s_waitcnt lgkmcnt(0)
	v_mul_f32_e32 v25, v24, v22
	v_mul_f32_e32 v22, v23, v22
	v_fma_f32 v23, v23, v21, -v25
	v_fmac_f32_e32 v22, v24, v21
	v_add_f32_e32 v10, v10, v23
	v_add_f32_e32 v11, v11, v22
.LBB63_87:
	s_or_b64 exec, exec, s[14:15]
.LBB63_88:
                                        ; implicit-def: $vgpr37 : SGPR spill to VGPR lane
	v_writelane_b32 v37, s40, 0
	v_writelane_b32 v37, s41, 1
	s_or_b64 exec, exec, s[0:1]
	v_mov_b32_e32 v21, 0x8000
	v_cmp_eq_u32_e64 s[10:11], 3, v18
	s_xor_b64 s[0:1], s[8:9], -1
	v_lshl_add_u32 v20, v20, 3, v21
	s_and_b64 s[40:41], s[10:11], s[0:1]
	s_and_saveexec_b64 s[8:9], s[40:41]
; %bb.89:
	v_xor_b32_e32 v21, 0x80000000, v10
	v_xor_b32_e32 v22, 0x80000000, v11
	ds_write_b64 v20, v[21:22]
; %bb.90:
	s_or_b64 exec, exec, s[8:9]
	v_cmp_ne_u32_e64 s[8:9], 3, v18
	s_and_b64 s[42:43], s[8:9], s[0:1]
	s_waitcnt lgkmcnt(0)
	s_barrier
	s_and_saveexec_b64 s[8:9], s[42:43]
	s_cbranch_execz .LBB63_92
; %bb.91:
	v_lshlrev_b32_e32 v21, 3, v18
	ds_read_b64 v[21:22], v21 offset:30656
	ds_read_b64 v[23:24], v20
	s_waitcnt lgkmcnt(0)
	v_mul_f32_e32 v25, v24, v22
	v_mul_f32_e32 v22, v23, v22
	v_fma_f32 v23, v23, v21, -v25
	v_fmac_f32_e32 v22, v24, v21
	v_sub_f32_e32 v10, v10, v23
	v_sub_f32_e32 v11, v11, v22
.LBB63_92:
	s_or_b64 exec, exec, s[8:9]
	v_cmp_eq_u32_e64 s[8:9], 2, v18
	s_and_b64 s[44:45], s[8:9], s[0:1]
	s_barrier
	s_and_saveexec_b64 s[8:9], s[44:45]
; %bb.93:
	v_xor_b32_e32 v21, 0x80000000, v10
	v_xor_b32_e32 v22, 0x80000000, v11
	ds_write_b64 v20, v[21:22]
; %bb.94:
	s_or_b64 exec, exec, s[8:9]
	v_cmp_gt_u32_e64 s[8:9], 2, v18
	s_and_b64 s[46:47], s[8:9], s[0:1]
	s_waitcnt lgkmcnt(0)
	s_barrier
	s_and_saveexec_b64 s[8:9], s[46:47]
	s_cbranch_execz .LBB63_96
; %bb.95:
	v_lshlrev_b32_e32 v21, 3, v18
	ds_read_b64 v[21:22], v21 offset:30144
	ds_read_b64 v[23:24], v20
	s_waitcnt lgkmcnt(0)
	v_mul_f32_e32 v25, v24, v22
	v_mul_f32_e32 v22, v23, v22
	v_fma_f32 v23, v23, v21, -v25
	v_fmac_f32_e32 v22, v24, v21
	v_sub_f32_e32 v10, v10, v23
	v_sub_f32_e32 v11, v11, v22
.LBB63_96:
	s_or_b64 exec, exec, s[8:9]
	v_cmp_eq_u32_e64 s[8:9], 1, v18
	s_and_b64 s[48:49], s[8:9], s[0:1]
	s_barrier
	s_and_saveexec_b64 s[8:9], s[48:49]
; %bb.97:
	v_xor_b32_e32 v21, 0x80000000, v10
	v_xor_b32_e32 v22, 0x80000000, v11
	ds_write_b64 v20, v[21:22]
; %bb.98:
	s_or_b64 exec, exec, s[8:9]
	v_cmp_eq_u32_e64 s[8:9], 0, v18
	s_and_b64 s[38:39], s[8:9], s[0:1]
	s_waitcnt lgkmcnt(0)
	s_barrier
	s_and_saveexec_b64 s[0:1], s[38:39]
	s_cbranch_execz .LBB63_100
; %bb.99:
	v_mov_b32_e32 v21, 0
	ds_read_b64 v[21:22], v21 offset:29632
	ds_read_b64 v[23:24], v20
	s_waitcnt lgkmcnt(0)
	v_mul_f32_e32 v25, v24, v22
	v_mul_f32_e32 v22, v23, v22
	v_fma_f32 v23, v23, v21, -v25
	v_fmac_f32_e32 v22, v24, v21
	v_sub_f32_e32 v10, v10, v23
	v_sub_f32_e32 v11, v11, v22
.LBB63_100:
	s_or_b64 exec, exec, s[0:1]
	s_barrier
	s_and_saveexec_b64 s[0:1], s[38:39]
; %bb.101:
	v_xor_b32_e32 v21, 0x80000000, v10
	v_xor_b32_e32 v22, 0x80000000, v11
	ds_write_b64 v20, v[21:22]
; %bb.102:
	s_or_b64 exec, exec, s[0:1]
	s_waitcnt lgkmcnt(0)
	s_barrier
	s_barrier
	s_and_saveexec_b64 s[0:1], s[18:19]
; %bb.103:
	v_lshlrev_b32_e32 v21, 3, v18
	v_lshl_or_b32 v21, v19, 9, v21
	ds_write_b64 v21, v[10:11] offset:31168
; %bb.104:
	s_or_b64 exec, exec, s[0:1]
	v_cmp_gt_u32_e64 s[8:9], 4, v0
	s_and_b64 s[50:51], s[12:13], s[8:9]
	s_waitcnt lgkmcnt(0)
	s_barrier
	s_barrier
	s_and_saveexec_b64 s[0:1], s[50:51]
	s_cbranch_execz .LBB63_106
; %bb.105:
	v_lshlrev_b32_e32 v21, 9, v0
	ds_read_b64 v[10:11], v21 offset:31168
	s_movk_i32 s8, 0xfe08
	v_mad_i32_i24 v22, v0, s8, v21
	s_waitcnt lgkmcnt(0)
	ds_write_b64 v22, v[10:11] offset:29152
	ds_read_b64 v[10:11], v21 offset:31176
	s_waitcnt lgkmcnt(0)
	ds_write_b64 v22, v[10:11] offset:29664
	ds_read_b64 v[10:11], v21 offset:31184
	s_waitcnt lgkmcnt(0)
	ds_write_b64 v22, v[10:11] offset:30176
	ds_read_b64 v[10:11], v21 offset:31192
	s_waitcnt lgkmcnt(0)
	ds_write_b64 v22, v[10:11] offset:30688
.LBB63_106:
	s_or_b64 exec, exec, s[0:1]
	s_waitcnt lgkmcnt(0)
	s_barrier
	s_and_saveexec_b64 s[0:1], vcc
	s_cbranch_execz .LBB63_108
; %bb.107:
	v_mov_b32_e32 v23, 0
	ds_read_b64 v[10:11], v23 offset:30672
	s_mov_b64 s[8:9], 0x3f800000
	v_mov_b32_e32 v22, s9
	v_mov_b32_e32 v21, s8
	s_movk_i32 s8, 0x7000
	ds_write_b64 v23, v[21:22] offset:30680
	v_add_u32_e64 v23, s8, 0
	s_waitcnt lgkmcnt(1)
	ds_write2_b64 v23, v[21:22], v[10:11] offset0:186 offset1:187
.LBB63_108:
	s_or_b64 exec, exec, s[0:1]
	v_mov_b32_e32 v10, 0
	v_mov_b32_e32 v11, 0
	s_waitcnt lgkmcnt(0)
	s_barrier
	buffer_wbinvl1_vol
	s_and_saveexec_b64 s[0:1], s[2:3]
	s_cbranch_execz .LBB63_112
; %bb.109:
	v_lshlrev_b32_e32 v10, 3, v12
	v_lshlrev_b32_e32 v21, 9, v13
	ds_read_b64 v[10:11], v10 offset:30144
	ds_read_b64 v[21:22], v21 offset:30160
	v_cmp_gt_u32_e64 s[8:9], 2, v15
	s_waitcnt lgkmcnt(0)
	v_mul_f32_e32 v23, v22, v11
	v_mul_f32_e32 v11, v21, v11
	v_fma_f32 v21, v21, v10, -v23
	v_fmac_f32_e32 v11, v22, v10
	v_add_f32_e32 v10, 0, v21
	v_add_f32_e32 v11, 0, v11
	s_and_saveexec_b64 s[10:11], s[8:9]
	s_cbranch_execz .LBB63_111
; %bb.110:
	v_lshlrev_b32_e32 v21, 3, v0
	v_mov_b32_e32 v23, 0
	ds_read_b64 v[21:22], v21 offset:30656
	ds_read_b64 v[23:24], v23 offset:30680
	s_waitcnt lgkmcnt(0)
	v_mul_f32_e32 v25, v24, v22
	v_mul_f32_e32 v22, v23, v22
	v_fma_f32 v23, v23, v21, -v25
	v_fmac_f32_e32 v22, v24, v21
	v_add_f32_e32 v10, v10, v23
	v_add_f32_e32 v11, v11, v22
.LBB63_111:
	s_or_b64 exec, exec, s[10:11]
.LBB63_112:
	s_or_b64 exec, exec, s[0:1]
	s_and_saveexec_b64 s[0:1], s[34:35]
; %bb.113:
	v_xor_b32_e32 v22, 0x80000000, v11
	v_xor_b32_e32 v21, 0x80000000, v10
	ds_write_b64 v14, v[21:22]
; %bb.114:
	s_or_b64 exec, exec, s[0:1]
	s_waitcnt lgkmcnt(0)
	s_barrier
	s_and_saveexec_b64 s[0:1], s[30:31]
	s_cbranch_execz .LBB63_116
; %bb.115:
	v_mov_b32_e32 v21, 0
	ds_read_b64 v[21:22], v21 offset:29632
	ds_read_b64 v[23:24], v14
	s_waitcnt lgkmcnt(0)
	v_mul_f32_e32 v25, v23, v21
	v_mul_f32_e32 v23, v23, v22
	v_fmac_f32_e32 v23, v24, v21
	v_fma_f32 v21, v24, v22, -v25
	v_add_f32_e32 v10, v10, v21
	v_sub_f32_e32 v11, v11, v23
.LBB63_116:
	s_or_b64 exec, exec, s[0:1]
	s_barrier
	s_and_saveexec_b64 s[0:1], s[30:31]
; %bb.117:
	v_xor_b32_e32 v22, 0x80000000, v11
	v_xor_b32_e32 v21, 0x80000000, v10
	ds_write_b64 v14, v[21:22]
; %bb.118:
	s_or_b64 exec, exec, s[0:1]
	s_waitcnt lgkmcnt(0)
	s_barrier
	s_barrier
	s_and_saveexec_b64 s[0:1], s[2:3]
; %bb.119:
	v_lshlrev_b32_e32 v21, 3, v12
	v_lshl_or_b32 v21, v13, 9, v21
	ds_write_b64 v21, v[10:11] offset:30144
; %bb.120:
	s_or_b64 exec, exec, s[0:1]
	s_waitcnt lgkmcnt(0)
	s_barrier
	s_barrier
	s_and_saveexec_b64 s[0:1], s[36:37]
	s_cbranch_execz .LBB63_122
; %bb.121:
	v_lshlrev_b32_e32 v21, 3, v0
	s_movk_i32 s8, 0x1f8
	v_mad_u32_u24 v22, v0, s8, v21
	ds_read_b64 v[10:11], v22 offset:30144
	s_waitcnt lgkmcnt(0)
	ds_write_b64 v21, v[10:11] offset:29136
	ds_read_b64 v[10:11], v22 offset:30152
	s_waitcnt lgkmcnt(0)
	ds_write_b64 v21, v[10:11] offset:29648
.LBB63_122:
	s_or_b64 exec, exec, s[0:1]
	s_waitcnt lgkmcnt(0)
	s_barrier
	s_and_saveexec_b64 s[0:1], vcc
	s_cbranch_execz .LBB63_124
; %bb.123:
	v_mov_b32_e32 v23, 0
	ds_read_b64 v[10:11], v23 offset:29632
	s_mov_b64 s[8:9], 0x3f800000
	v_mov_b32_e32 v22, s9
	v_mov_b32_e32 v21, s8
	s_movk_i32 s8, 0x7000
	ds_write_b64 v23, v[21:22] offset:29640
	v_add_u32_e64 v23, s8, 0
	s_waitcnt lgkmcnt(1)
	ds_write2_b64 v23, v[21:22], v[10:11] offset0:56 offset1:57
.LBB63_124:
	s_or_b64 exec, exec, s[0:1]
	v_lshrrev_b32_e32 v23, 3, v15
	v_and_b32_e32 v21, 7, v0
	v_sub_u32_e32 v22, 7, v23
	v_cmp_lt_u32_e64 s[10:11], 63, v15
	v_cmp_gt_u32_e64 s[8:9], 64, v15
	v_mov_b32_e32 v11, 0
	v_mov_b32_e32 v10, 0
	s_waitcnt lgkmcnt(0)
	s_barrier
	buffer_wbinvl1_vol
	s_and_saveexec_b64 s[0:1], s[8:9]
	s_cbranch_execz .LBB63_134
; %bb.125:
	v_lshlrev_b32_e32 v24, 3, v21
	v_lshlrev_b32_e32 v25, 9, v22
	ds_read_b64 v[10:11], v24 offset:29056
	ds_read_b64 v[26:27], v25 offset:29120
	v_cmp_gt_u32_e64 s[14:15], 56, v15
	s_waitcnt lgkmcnt(0)
	v_mul_f32_e32 v28, v27, v11
	v_mul_f32_e32 v11, v26, v11
	v_fma_f32 v26, v26, v10, -v28
	v_fmac_f32_e32 v11, v27, v10
	v_add_f32_e32 v10, 0, v26
	v_add_f32_e32 v11, 0, v11
	s_and_saveexec_b64 s[16:17], s[14:15]
	s_cbranch_execnz .LBB63_1063
; %bb.126:
	s_or_b64 exec, exec, s[16:17]
	v_cmp_gt_u32_e64 s[14:15], 48, v15
	s_and_saveexec_b64 s[16:17], s[14:15]
	s_cbranch_execnz .LBB63_1064
.LBB63_127:
	s_or_b64 exec, exec, s[16:17]
	v_cmp_gt_u32_e64 s[14:15], 40, v15
	s_and_saveexec_b64 s[16:17], s[14:15]
	s_cbranch_execnz .LBB63_1065
.LBB63_128:
	s_or_b64 exec, exec, s[16:17]
	v_cmp_gt_u32_e64 s[14:15], 32, v15
	s_and_saveexec_b64 s[16:17], s[14:15]
	s_cbranch_execnz .LBB63_1066
.LBB63_129:
	s_or_b64 exec, exec, s[16:17]
	v_cmp_gt_u32_e64 s[14:15], 24, v15
	s_and_saveexec_b64 s[16:17], s[14:15]
	s_cbranch_execnz .LBB63_1067
.LBB63_130:
	s_or_b64 exec, exec, s[16:17]
	s_and_saveexec_b64 s[14:15], s[18:19]
	s_cbranch_execnz .LBB63_1068
.LBB63_131:
	s_or_b64 exec, exec, s[14:15]
	v_cmp_gt_u32_e64 s[14:15], 8, v15
	s_and_saveexec_b64 s[16:17], s[14:15]
	s_cbranch_execz .LBB63_133
.LBB63_132:
	v_lshlrev_b32_e32 v24, 3, v0
	v_mov_b32_e32 v26, 0
	ds_read_b64 v[24:25], v24 offset:32640
	ds_read_b64 v[26:27], v26 offset:32760
	s_waitcnt lgkmcnt(0)
	v_mul_f32_e32 v28, v27, v25
	v_mul_f32_e32 v25, v26, v25
	v_fma_f32 v26, v26, v24, -v28
	v_fmac_f32_e32 v25, v27, v24
	v_add_f32_e32 v10, v10, v26
	v_add_f32_e32 v11, v11, v25
.LBB63_133:
	s_or_b64 exec, exec, s[16:17]
.LBB63_134:
	s_or_b64 exec, exec, s[0:1]
	v_mov_b32_e32 v24, 0x8000
	v_cmp_eq_u32_e64 s[14:15], 7, v21
	s_xor_b64 s[0:1], s[10:11], -1
	v_lshl_add_u32 v23, v23, 3, v24
	s_and_b64 s[54:55], s[14:15], s[0:1]
	s_and_saveexec_b64 s[10:11], s[54:55]
; %bb.135:
	v_xor_b32_e32 v25, 0x80000000, v11
	v_xor_b32_e32 v24, 0x80000000, v10
	ds_write_b64 v23, v[24:25]
; %bb.136:
	s_or_b64 exec, exec, s[10:11]
	v_cmp_ne_u32_e64 s[10:11], 7, v21
	s_and_b64 s[56:57], s[10:11], s[0:1]
	s_waitcnt lgkmcnt(0)
	s_barrier
	s_and_saveexec_b64 s[10:11], s[56:57]
	s_cbranch_execz .LBB63_138
; %bb.137:
	v_lshlrev_b32_e32 v24, 3, v21
	ds_read_b64 v[24:25], v24 offset:28544
	ds_read_b64 v[26:27], v23
	s_waitcnt lgkmcnt(0)
	v_mul_f32_e32 v28, v27, v25
	v_mul_f32_e32 v25, v26, v25
	v_fma_f32 v26, v26, v24, -v28
	v_fmac_f32_e32 v25, v27, v24
	v_sub_f32_e32 v10, v10, v26
	v_sub_f32_e32 v11, v11, v25
.LBB63_138:
	s_or_b64 exec, exec, s[10:11]
	v_cmp_eq_u32_e64 s[10:11], 6, v21
	s_and_b64 s[58:59], s[10:11], s[0:1]
	s_barrier
	s_and_saveexec_b64 s[10:11], s[58:59]
; %bb.139:
	v_xor_b32_e32 v25, 0x80000000, v11
	v_xor_b32_e32 v24, 0x80000000, v10
	ds_write_b64 v23, v[24:25]
; %bb.140:
	s_or_b64 exec, exec, s[10:11]
	v_cmp_gt_u32_e64 s[10:11], 6, v21
	s_and_b64 s[60:61], s[10:11], s[0:1]
	s_waitcnt lgkmcnt(0)
	s_barrier
	s_and_saveexec_b64 s[10:11], s[60:61]
	s_cbranch_execz .LBB63_142
; %bb.141:
	v_lshlrev_b32_e32 v24, 3, v21
	ds_read_b64 v[24:25], v24 offset:28032
	ds_read_b64 v[26:27], v23
	s_waitcnt lgkmcnt(0)
	v_mul_f32_e32 v28, v27, v25
	v_mul_f32_e32 v25, v26, v25
	v_fma_f32 v26, v26, v24, -v28
	v_fmac_f32_e32 v25, v27, v24
	v_sub_f32_e32 v10, v10, v26
	v_sub_f32_e32 v11, v11, v25
.LBB63_142:
	s_or_b64 exec, exec, s[10:11]
	v_cmp_eq_u32_e64 s[10:11], 5, v21
	s_and_b64 s[62:63], s[10:11], s[0:1]
	s_barrier
	s_and_saveexec_b64 s[10:11], s[62:63]
; %bb.143:
	v_xor_b32_e32 v25, 0x80000000, v11
	v_xor_b32_e32 v24, 0x80000000, v10
	ds_write_b64 v23, v[24:25]
; %bb.144:
	s_or_b64 exec, exec, s[10:11]
	v_cmp_gt_u32_e64 s[10:11], 5, v21
	;; [unrolled: 29-line block ×5, first 2 shown]
	s_and_b64 s[76:77], s[10:11], s[0:1]
	s_waitcnt lgkmcnt(0)
	s_barrier
	s_and_saveexec_b64 s[10:11], s[76:77]
	s_cbranch_execz .LBB63_158
; %bb.157:
	v_lshlrev_b32_e32 v24, 3, v21
	ds_read_b64 v[24:25], v24 offset:25984
	ds_read_b64 v[26:27], v23
	s_waitcnt lgkmcnt(0)
	v_mul_f32_e32 v28, v27, v25
	v_mul_f32_e32 v25, v26, v25
	v_fma_f32 v26, v26, v24, -v28
	v_fmac_f32_e32 v25, v27, v24
	v_sub_f32_e32 v10, v10, v26
	v_sub_f32_e32 v11, v11, v25
.LBB63_158:
	s_or_b64 exec, exec, s[10:11]
	v_cmp_eq_u32_e64 s[10:11], 1, v21
	s_and_b64 s[78:79], s[10:11], s[0:1]
	s_barrier
	s_and_saveexec_b64 s[10:11], s[78:79]
; %bb.159:
	v_xor_b32_e32 v25, 0x80000000, v11
	v_xor_b32_e32 v24, 0x80000000, v10
	ds_write_b64 v23, v[24:25]
; %bb.160:
	s_or_b64 exec, exec, s[10:11]
	v_cmp_eq_u32_e64 s[10:11], 0, v21
	s_and_b64 s[52:53], s[10:11], s[0:1]
	s_waitcnt lgkmcnt(0)
	s_barrier
	s_and_saveexec_b64 s[0:1], s[52:53]
	s_cbranch_execz .LBB63_162
; %bb.161:
	v_mov_b32_e32 v24, 0
	ds_read_b64 v[24:25], v24 offset:25472
	ds_read_b64 v[26:27], v23
	s_waitcnt lgkmcnt(0)
	v_mul_f32_e32 v28, v27, v25
	v_mul_f32_e32 v25, v26, v25
	v_fma_f32 v26, v26, v24, -v28
	v_fmac_f32_e32 v25, v27, v24
	v_sub_f32_e32 v10, v10, v26
	v_sub_f32_e32 v11, v11, v25
.LBB63_162:
	s_or_b64 exec, exec, s[0:1]
	s_barrier
	s_and_saveexec_b64 s[0:1], s[52:53]
; %bb.163:
	v_xor_b32_e32 v25, 0x80000000, v11
	v_xor_b32_e32 v24, 0x80000000, v10
	ds_write_b64 v23, v[24:25]
; %bb.164:
	s_or_b64 exec, exec, s[0:1]
	s_waitcnt lgkmcnt(0)
	s_barrier
	s_barrier
	s_and_saveexec_b64 s[0:1], s[8:9]
; %bb.165:
	v_lshlrev_b32_e32 v24, 3, v21
	v_lshl_or_b32 v24, v22, 9, v24
	ds_write_b64 v24, v[10:11] offset:29056
; %bb.166:
	s_or_b64 exec, exec, s[0:1]
	v_cmp_gt_u32_e64 s[10:11], 8, v0
	s_and_b64 s[80:81], s[12:13], s[10:11]
	s_waitcnt lgkmcnt(0)
	s_barrier
	s_barrier
	s_and_saveexec_b64 s[0:1], s[80:81]
	s_cbranch_execz .LBB63_168
; %bb.167:
	v_lshlrev_b32_e32 v24, 9, v0
	ds_read_b64 v[10:11], v24 offset:29056
	s_movk_i32 s10, 0xfe08
	v_mad_i32_i24 v25, v0, s10, v24
	s_waitcnt lgkmcnt(0)
	ds_write_b64 v25, v[10:11] offset:25024
	ds_read_b64 v[10:11], v24 offset:29064
	s_waitcnt lgkmcnt(0)
	ds_write_b64 v25, v[10:11] offset:25536
	ds_read_b64 v[10:11], v24 offset:29072
	;; [unrolled: 3-line block ×7, first 2 shown]
	s_waitcnt lgkmcnt(0)
	ds_write_b64 v25, v[10:11] offset:28608
.LBB63_168:
	s_or_b64 exec, exec, s[0:1]
	s_waitcnt lgkmcnt(0)
	s_barrier
	s_and_saveexec_b64 s[0:1], vcc
	s_cbranch_execz .LBB63_170
; %bb.169:
	v_mov_b32_e32 v26, 0
	ds_read_b64 v[10:11], v26 offset:28592
	s_mov_b64 s[10:11], 0x3f800000
	v_mov_b32_e32 v25, s11
	v_mov_b32_e32 v24, s10
	s_movk_i32 s10, 0x6800
	ds_write_b64 v26, v[24:25] offset:28600
	v_add_u32_e64 v26, s10, 0
	s_waitcnt lgkmcnt(1)
	ds_write2_b64 v26, v[24:25], v[10:11] offset0:182 offset1:183
.LBB63_170:
	s_or_b64 exec, exec, s[0:1]
	v_mov_b32_e32 v10, 0
	v_mov_b32_e32 v11, 0
	s_waitcnt lgkmcnt(0)
	s_barrier
	buffer_wbinvl1_vol
	s_and_saveexec_b64 s[0:1], s[2:3]
	s_cbranch_execz .LBB63_174
; %bb.171:
	v_lshlrev_b32_e32 v10, 3, v12
	v_lshlrev_b32_e32 v24, 9, v13
	ds_read_b64 v[10:11], v10 offset:28064
	ds_read_b64 v[24:25], v24 offset:28080
	v_cmp_gt_u32_e64 s[10:11], 2, v15
	s_waitcnt lgkmcnt(0)
	v_mul_f32_e32 v26, v25, v11
	v_mul_f32_e32 v11, v24, v11
	v_fma_f32 v24, v24, v10, -v26
	v_fmac_f32_e32 v11, v25, v10
	v_add_f32_e32 v10, 0, v24
	v_add_f32_e32 v11, 0, v11
	s_and_saveexec_b64 s[14:15], s[10:11]
	s_cbranch_execz .LBB63_173
; %bb.172:
	v_lshlrev_b32_e32 v24, 3, v0
	v_mov_b32_e32 v26, 0
	ds_read_b64 v[24:25], v24 offset:28576
	ds_read_b64 v[26:27], v26 offset:28600
	s_waitcnt lgkmcnt(0)
	v_mul_f32_e32 v28, v27, v25
	v_mul_f32_e32 v25, v26, v25
	v_fma_f32 v26, v26, v24, -v28
	v_fmac_f32_e32 v25, v27, v24
	v_add_f32_e32 v10, v10, v26
	v_add_f32_e32 v11, v11, v25
.LBB63_173:
	s_or_b64 exec, exec, s[14:15]
.LBB63_174:
	s_or_b64 exec, exec, s[0:1]
	s_and_saveexec_b64 s[0:1], s[34:35]
; %bb.175:
	v_xor_b32_e32 v25, 0x80000000, v11
	v_xor_b32_e32 v24, 0x80000000, v10
	ds_write_b64 v14, v[24:25]
; %bb.176:
	s_or_b64 exec, exec, s[0:1]
	s_waitcnt lgkmcnt(0)
	s_barrier
	s_and_saveexec_b64 s[0:1], s[30:31]
	s_cbranch_execz .LBB63_178
; %bb.177:
	v_mov_b32_e32 v24, 0
	ds_read_b64 v[24:25], v24 offset:27552
	ds_read_b64 v[26:27], v14
	s_waitcnt lgkmcnt(0)
	v_mul_f32_e32 v28, v26, v24
	v_mul_f32_e32 v26, v26, v25
	v_fmac_f32_e32 v26, v27, v24
	v_fma_f32 v24, v27, v25, -v28
	v_add_f32_e32 v10, v10, v24
	v_sub_f32_e32 v11, v11, v26
.LBB63_178:
	s_or_b64 exec, exec, s[0:1]
	s_barrier
	s_and_saveexec_b64 s[0:1], s[30:31]
; %bb.179:
	v_xor_b32_e32 v25, 0x80000000, v11
	v_xor_b32_e32 v24, 0x80000000, v10
	ds_write_b64 v14, v[24:25]
; %bb.180:
	s_or_b64 exec, exec, s[0:1]
	s_waitcnt lgkmcnt(0)
	s_barrier
	s_barrier
	s_and_saveexec_b64 s[0:1], s[2:3]
; %bb.181:
	v_lshlrev_b32_e32 v24, 3, v12
	v_lshl_or_b32 v24, v13, 9, v24
	ds_write_b64 v24, v[10:11] offset:28064
; %bb.182:
	s_or_b64 exec, exec, s[0:1]
	s_waitcnt lgkmcnt(0)
	s_barrier
	s_barrier
	s_and_saveexec_b64 s[0:1], s[36:37]
	s_cbranch_execz .LBB63_184
; %bb.183:
	v_lshlrev_b32_e32 v24, 3, v0
	s_movk_i32 s10, 0x1f8
	v_mad_u32_u24 v25, v0, s10, v24
	ds_read_b64 v[10:11], v25 offset:28064
	s_waitcnt lgkmcnt(0)
	ds_write_b64 v24, v[10:11] offset:27056
	ds_read_b64 v[10:11], v25 offset:28072
	s_waitcnt lgkmcnt(0)
	ds_write_b64 v24, v[10:11] offset:27568
.LBB63_184:
	s_or_b64 exec, exec, s[0:1]
	s_waitcnt lgkmcnt(0)
	s_barrier
	s_and_saveexec_b64 s[0:1], vcc
	s_cbranch_execz .LBB63_186
; %bb.185:
	v_mov_b32_e32 v26, 0
	ds_read_b64 v[10:11], v26 offset:27552
	s_mov_b64 s[10:11], 0x3f800000
	v_mov_b32_e32 v25, s11
	v_mov_b32_e32 v24, s10
	s_movk_i32 s10, 0x6800
	ds_write_b64 v26, v[24:25] offset:27560
	v_add_u32_e64 v26, s10, 0
	s_waitcnt lgkmcnt(1)
	ds_write2_b64 v26, v[24:25], v[10:11] offset0:52 offset1:53
.LBB63_186:
	s_or_b64 exec, exec, s[0:1]
	v_mov_b32_e32 v11, 0
	v_mov_b32_e32 v10, 0
	s_waitcnt lgkmcnt(0)
	s_barrier
	buffer_wbinvl1_vol
	s_and_saveexec_b64 s[0:1], s[18:19]
	s_cbranch_execz .LBB63_192
; %bb.187:
	v_lshlrev_b32_e32 v24, 3, v18
	v_lshlrev_b32_e32 v25, 9, v19
	ds_read_b64 v[10:11], v24 offset:27008
	ds_read_b64 v[26:27], v25 offset:27040
	v_cmp_gt_u32_e64 s[10:11], 12, v15
	s_waitcnt lgkmcnt(0)
	v_mul_f32_e32 v28, v27, v11
	v_mul_f32_e32 v11, v26, v11
	v_fma_f32 v26, v26, v10, -v28
	v_fmac_f32_e32 v11, v27, v10
	v_add_f32_e32 v10, 0, v26
	v_add_f32_e32 v11, 0, v11
	s_and_saveexec_b64 s[14:15], s[10:11]
	s_cbranch_execnz .LBB63_1069
; %bb.188:
	s_or_b64 exec, exec, s[14:15]
	v_cmp_gt_u32_e64 s[10:11], 8, v15
	s_and_saveexec_b64 s[14:15], s[10:11]
	s_cbranch_execnz .LBB63_1070
.LBB63_189:
	s_or_b64 exec, exec, s[14:15]
	v_cmp_gt_u32_e64 s[10:11], 4, v15
	s_and_saveexec_b64 s[14:15], s[10:11]
	s_cbranch_execz .LBB63_191
.LBB63_190:
	v_lshlrev_b32_e32 v24, 3, v0
	v_mov_b32_e32 v26, 0
	ds_read_b64 v[24:25], v24 offset:28544
	ds_read_b64 v[26:27], v26 offset:28600
	s_waitcnt lgkmcnt(0)
	v_mul_f32_e32 v28, v27, v25
	v_mul_f32_e32 v25, v26, v25
	v_fma_f32 v26, v26, v24, -v28
	v_fmac_f32_e32 v25, v27, v24
	v_add_f32_e32 v10, v10, v26
	v_add_f32_e32 v11, v11, v25
.LBB63_191:
	s_or_b64 exec, exec, s[14:15]
.LBB63_192:
	s_or_b64 exec, exec, s[0:1]
	s_and_saveexec_b64 s[0:1], s[40:41]
; %bb.193:
	v_xor_b32_e32 v24, 0x80000000, v10
	v_xor_b32_e32 v25, 0x80000000, v11
	ds_write_b64 v20, v[24:25]
; %bb.194:
	s_or_b64 exec, exec, s[0:1]
	s_waitcnt lgkmcnt(0)
	s_barrier
	s_and_saveexec_b64 s[0:1], s[42:43]
	s_cbranch_execz .LBB63_196
; %bb.195:
	v_lshlrev_b32_e32 v24, 3, v18
	ds_read_b64 v[24:25], v24 offset:26496
	ds_read_b64 v[26:27], v20
	s_waitcnt lgkmcnt(0)
	v_mul_f32_e32 v28, v27, v25
	v_mul_f32_e32 v25, v26, v25
	v_fma_f32 v26, v26, v24, -v28
	v_fmac_f32_e32 v25, v27, v24
	v_sub_f32_e32 v10, v10, v26
	v_sub_f32_e32 v11, v11, v25
.LBB63_196:
	s_or_b64 exec, exec, s[0:1]
	s_barrier
	s_and_saveexec_b64 s[0:1], s[44:45]
; %bb.197:
	v_xor_b32_e32 v24, 0x80000000, v10
	v_xor_b32_e32 v25, 0x80000000, v11
	ds_write_b64 v20, v[24:25]
; %bb.198:
	s_or_b64 exec, exec, s[0:1]
	s_waitcnt lgkmcnt(0)
	s_barrier
	s_and_saveexec_b64 s[0:1], s[46:47]
	s_cbranch_execz .LBB63_200
; %bb.199:
	v_lshlrev_b32_e32 v24, 3, v18
	ds_read_b64 v[24:25], v24 offset:25984
	ds_read_b64 v[26:27], v20
	s_waitcnt lgkmcnt(0)
	v_mul_f32_e32 v28, v27, v25
	v_mul_f32_e32 v25, v26, v25
	v_fma_f32 v26, v26, v24, -v28
	v_fmac_f32_e32 v25, v27, v24
	v_sub_f32_e32 v10, v10, v26
	v_sub_f32_e32 v11, v11, v25
.LBB63_200:
	s_or_b64 exec, exec, s[0:1]
	s_barrier
	s_and_saveexec_b64 s[0:1], s[48:49]
; %bb.201:
	v_xor_b32_e32 v24, 0x80000000, v10
	v_xor_b32_e32 v25, 0x80000000, v11
	ds_write_b64 v20, v[24:25]
; %bb.202:
	s_or_b64 exec, exec, s[0:1]
	s_waitcnt lgkmcnt(0)
	s_barrier
	s_and_saveexec_b64 s[0:1], s[38:39]
	s_cbranch_execz .LBB63_204
; %bb.203:
	v_mov_b32_e32 v24, 0
	ds_read_b64 v[24:25], v24 offset:25472
	ds_read_b64 v[26:27], v20
	s_waitcnt lgkmcnt(0)
	v_mul_f32_e32 v28, v27, v25
	v_mul_f32_e32 v25, v26, v25
	v_fma_f32 v26, v26, v24, -v28
	v_fmac_f32_e32 v25, v27, v24
	v_sub_f32_e32 v10, v10, v26
	v_sub_f32_e32 v11, v11, v25
.LBB63_204:
	s_or_b64 exec, exec, s[0:1]
	s_barrier
	s_and_saveexec_b64 s[0:1], s[38:39]
; %bb.205:
	v_xor_b32_e32 v24, 0x80000000, v10
	v_xor_b32_e32 v25, 0x80000000, v11
	ds_write_b64 v20, v[24:25]
; %bb.206:
	s_or_b64 exec, exec, s[0:1]
	s_waitcnt lgkmcnt(0)
	s_barrier
	s_barrier
	s_and_saveexec_b64 s[0:1], s[18:19]
; %bb.207:
	v_lshlrev_b32_e32 v24, 3, v18
	v_lshl_or_b32 v24, v19, 9, v24
	ds_write_b64 v24, v[10:11] offset:27008
; %bb.208:
	s_or_b64 exec, exec, s[0:1]
	s_waitcnt lgkmcnt(0)
	s_barrier
	s_barrier
	s_and_saveexec_b64 s[0:1], s[50:51]
	s_cbranch_execz .LBB63_210
; %bb.209:
	v_lshlrev_b32_e32 v24, 9, v0
	ds_read_b64 v[10:11], v24 offset:27008
	s_movk_i32 s10, 0xfe08
	v_mad_i32_i24 v25, v0, s10, v24
	s_waitcnt lgkmcnt(0)
	ds_write_b64 v25, v[10:11] offset:24992
	ds_read_b64 v[10:11], v24 offset:27016
	s_waitcnt lgkmcnt(0)
	ds_write_b64 v25, v[10:11] offset:25504
	ds_read_b64 v[10:11], v24 offset:27024
	s_waitcnt lgkmcnt(0)
	ds_write_b64 v25, v[10:11] offset:26016
	ds_read_b64 v[10:11], v24 offset:27032
	s_waitcnt lgkmcnt(0)
	ds_write_b64 v25, v[10:11] offset:26528
.LBB63_210:
	s_or_b64 exec, exec, s[0:1]
	s_waitcnt lgkmcnt(0)
	s_barrier
	s_and_saveexec_b64 s[0:1], vcc
	s_cbranch_execz .LBB63_212
; %bb.211:
	v_mov_b32_e32 v26, 0
	ds_read_b64 v[10:11], v26 offset:26512
	s_mov_b64 s[10:11], 0x3f800000
	v_mov_b32_e32 v25, s11
	v_mov_b32_e32 v24, s10
	s_movk_i32 s10, 0x6000
	ds_write_b64 v26, v[24:25] offset:26520
	v_add_u32_e64 v26, s10, 0
	s_waitcnt lgkmcnt(1)
	ds_write2_b64 v26, v[24:25], v[10:11] offset0:178 offset1:179
.LBB63_212:
	s_or_b64 exec, exec, s[0:1]
	v_mov_b32_e32 v10, 0
	v_mov_b32_e32 v11, 0
	s_waitcnt lgkmcnt(0)
	s_barrier
	buffer_wbinvl1_vol
	s_and_saveexec_b64 s[0:1], s[2:3]
	s_cbranch_execz .LBB63_216
; %bb.213:
	v_lshlrev_b32_e32 v10, 3, v12
	v_lshlrev_b32_e32 v24, 9, v13
	ds_read_b64 v[10:11], v10 offset:25984
	ds_read_b64 v[24:25], v24 offset:26000
	v_cmp_gt_u32_e64 s[10:11], 2, v15
	s_waitcnt lgkmcnt(0)
	v_mul_f32_e32 v26, v25, v11
	v_mul_f32_e32 v11, v24, v11
	v_fma_f32 v24, v24, v10, -v26
	v_fmac_f32_e32 v11, v25, v10
	v_add_f32_e32 v10, 0, v24
	v_add_f32_e32 v11, 0, v11
	s_and_saveexec_b64 s[14:15], s[10:11]
	s_cbranch_execz .LBB63_215
; %bb.214:
	v_lshlrev_b32_e32 v24, 3, v0
	v_mov_b32_e32 v26, 0
	ds_read_b64 v[24:25], v24 offset:26496
	ds_read_b64 v[26:27], v26 offset:26520
	s_waitcnt lgkmcnt(0)
	v_mul_f32_e32 v28, v27, v25
	v_mul_f32_e32 v25, v26, v25
	v_fma_f32 v26, v26, v24, -v28
	v_fmac_f32_e32 v25, v27, v24
	v_add_f32_e32 v10, v10, v26
	v_add_f32_e32 v11, v11, v25
.LBB63_215:
	s_or_b64 exec, exec, s[14:15]
.LBB63_216:
	s_or_b64 exec, exec, s[0:1]
	s_and_saveexec_b64 s[0:1], s[34:35]
; %bb.217:
	v_xor_b32_e32 v25, 0x80000000, v11
	v_xor_b32_e32 v24, 0x80000000, v10
	ds_write_b64 v14, v[24:25]
; %bb.218:
	s_or_b64 exec, exec, s[0:1]
	s_waitcnt lgkmcnt(0)
	s_barrier
	s_and_saveexec_b64 s[0:1], s[30:31]
	s_cbranch_execz .LBB63_220
; %bb.219:
	v_mov_b32_e32 v24, 0
	ds_read_b64 v[24:25], v24 offset:25472
	ds_read_b64 v[26:27], v14
	s_waitcnt lgkmcnt(0)
	v_mul_f32_e32 v28, v26, v24
	v_mul_f32_e32 v26, v26, v25
	v_fmac_f32_e32 v26, v27, v24
	v_fma_f32 v24, v27, v25, -v28
	v_add_f32_e32 v10, v10, v24
	v_sub_f32_e32 v11, v11, v26
.LBB63_220:
	s_or_b64 exec, exec, s[0:1]
	s_barrier
	s_and_saveexec_b64 s[0:1], s[30:31]
; %bb.221:
	v_xor_b32_e32 v25, 0x80000000, v11
	v_xor_b32_e32 v24, 0x80000000, v10
	ds_write_b64 v14, v[24:25]
; %bb.222:
	s_or_b64 exec, exec, s[0:1]
	s_waitcnt lgkmcnt(0)
	s_barrier
	s_barrier
	s_and_saveexec_b64 s[0:1], s[2:3]
; %bb.223:
	v_lshlrev_b32_e32 v24, 3, v12
	v_lshl_or_b32 v24, v13, 9, v24
	ds_write_b64 v24, v[10:11] offset:25984
; %bb.224:
	s_or_b64 exec, exec, s[0:1]
	s_waitcnt lgkmcnt(0)
	s_barrier
	s_barrier
	s_and_saveexec_b64 s[0:1], s[36:37]
	s_cbranch_execz .LBB63_226
; %bb.225:
	v_lshlrev_b32_e32 v24, 3, v0
	s_movk_i32 s10, 0x1f8
	v_mad_u32_u24 v25, v0, s10, v24
	ds_read_b64 v[10:11], v25 offset:25984
	s_waitcnt lgkmcnt(0)
	ds_write_b64 v24, v[10:11] offset:24976
	ds_read_b64 v[10:11], v25 offset:25992
	s_waitcnt lgkmcnt(0)
	ds_write_b64 v24, v[10:11] offset:25488
.LBB63_226:
	s_or_b64 exec, exec, s[0:1]
	s_waitcnt lgkmcnt(0)
	s_barrier
	s_and_saveexec_b64 s[0:1], vcc
	s_cbranch_execz .LBB63_228
; %bb.227:
	v_mov_b32_e32 v26, 0
	ds_read_b64 v[10:11], v26 offset:25472
	s_mov_b64 s[10:11], 0x3f800000
	v_mov_b32_e32 v25, s11
	v_mov_b32_e32 v24, s10
	s_movk_i32 s10, 0x6000
	ds_write_b64 v26, v[24:25] offset:25480
	v_add_u32_e64 v26, s10, 0
	s_waitcnt lgkmcnt(1)
	ds_write2_b64 v26, v[24:25], v[10:11] offset0:48 offset1:49
.LBB63_228:
	s_or_b64 exec, exec, s[0:1]
	s_movk_i32 s0, 0xff
	v_lshrrev_b32_e32 v26, 4, v15
	v_cmp_lt_u32_e64 s[14:15], s0, v15
	s_movk_i32 s0, 0x100
	v_and_b32_e32 v24, 15, v0
	v_sub_u32_e32 v25, 15, v26
	v_cmp_gt_u32_e64 s[10:11], s0, v15
	v_mov_b32_e32 v11, 0
	v_mov_b32_e32 v10, 0
	s_waitcnt lgkmcnt(0)
	s_barrier
	buffer_wbinvl1_vol
	s_and_saveexec_b64 s[0:1], s[10:11]
	s_cbranch_execz .LBB63_256
; %bb.229:
	v_lshlrev_b32_e32 v27, 3, v24
	v_lshlrev_b32_e32 v28, 9, v25
	ds_read_b64 v[10:11], v27 offset:24832
	ds_read_b64 v[29:30], v28 offset:24960
	s_movk_i32 s16, 0xf0
	v_cmp_gt_u32_e64 s[16:17], s16, v15
	s_waitcnt lgkmcnt(0)
	v_mul_f32_e32 v31, v30, v11
	v_mul_f32_e32 v11, v29, v11
	v_fma_f32 v29, v29, v10, -v31
	v_fmac_f32_e32 v11, v30, v10
	v_add_f32_e32 v10, 0, v29
	v_add_f32_e32 v11, 0, v11
	s_and_saveexec_b64 s[20:21], s[16:17]
	s_cbranch_execz .LBB63_231
; %bb.230:
	ds_read_b64 v[29:30], v27 offset:25344
	ds_read_b64 v[31:32], v28 offset:24968
	s_waitcnt lgkmcnt(0)
	v_mul_f32_e32 v33, v32, v30
	v_mul_f32_e32 v30, v31, v30
	v_fma_f32 v31, v31, v29, -v33
	v_fmac_f32_e32 v30, v32, v29
	v_add_f32_e32 v10, v10, v31
	v_add_f32_e32 v11, v11, v30
.LBB63_231:
	s_or_b64 exec, exec, s[20:21]
	s_movk_i32 s16, 0xe0
	v_cmp_gt_u32_e64 s[16:17], s16, v15
	s_and_saveexec_b64 s[20:21], s[16:17]
	s_cbranch_execz .LBB63_233
; %bb.232:
	ds_read_b64 v[29:30], v27 offset:25856
	ds_read_b64 v[31:32], v28 offset:24976
	s_waitcnt lgkmcnt(0)
	v_mul_f32_e32 v33, v32, v30
	v_mul_f32_e32 v30, v31, v30
	v_fma_f32 v31, v31, v29, -v33
	v_fmac_f32_e32 v30, v32, v29
	v_add_f32_e32 v10, v10, v31
	v_add_f32_e32 v11, v11, v30
.LBB63_233:
	s_or_b64 exec, exec, s[20:21]
	s_movk_i32 s16, 0xd0
	v_cmp_gt_u32_e64 s[16:17], s16, v15
	s_and_saveexec_b64 s[20:21], s[16:17]
	s_cbranch_execz .LBB63_235
; %bb.234:
	ds_read_b64 v[29:30], v27 offset:26368
	ds_read_b64 v[31:32], v28 offset:24984
	s_waitcnt lgkmcnt(0)
	v_mul_f32_e32 v33, v32, v30
	v_mul_f32_e32 v30, v31, v30
	v_fma_f32 v31, v31, v29, -v33
	v_fmac_f32_e32 v30, v32, v29
	v_add_f32_e32 v10, v10, v31
	v_add_f32_e32 v11, v11, v30
.LBB63_235:
	s_or_b64 exec, exec, s[20:21]
	s_movk_i32 s16, 0xc0
	v_cmp_gt_u32_e64 s[16:17], s16, v15
	s_and_saveexec_b64 s[20:21], s[16:17]
	s_cbranch_execz .LBB63_237
; %bb.236:
	ds_read_b64 v[29:30], v27 offset:26880
	ds_read_b64 v[31:32], v28 offset:24992
	s_waitcnt lgkmcnt(0)
	v_mul_f32_e32 v33, v32, v30
	v_mul_f32_e32 v30, v31, v30
	v_fma_f32 v31, v31, v29, -v33
	v_fmac_f32_e32 v30, v32, v29
	v_add_f32_e32 v10, v10, v31
	v_add_f32_e32 v11, v11, v30
.LBB63_237:
	s_or_b64 exec, exec, s[20:21]
	s_movk_i32 s16, 0xb0
	v_cmp_gt_u32_e64 s[16:17], s16, v15
	s_and_saveexec_b64 s[20:21], s[16:17]
	s_cbranch_execz .LBB63_239
; %bb.238:
	ds_read_b64 v[29:30], v27 offset:27392
	ds_read_b64 v[31:32], v28 offset:25000
	s_waitcnt lgkmcnt(0)
	v_mul_f32_e32 v33, v32, v30
	v_mul_f32_e32 v30, v31, v30
	v_fma_f32 v31, v31, v29, -v33
	v_fmac_f32_e32 v30, v32, v29
	v_add_f32_e32 v10, v10, v31
	v_add_f32_e32 v11, v11, v30
.LBB63_239:
	s_or_b64 exec, exec, s[20:21]
	s_movk_i32 s16, 0xa0
	v_cmp_gt_u32_e64 s[16:17], s16, v15
	s_and_saveexec_b64 s[20:21], s[16:17]
	s_cbranch_execz .LBB63_241
; %bb.240:
	ds_read_b64 v[29:30], v27 offset:27904
	ds_read_b64 v[31:32], v28 offset:25008
	s_waitcnt lgkmcnt(0)
	v_mul_f32_e32 v33, v32, v30
	v_mul_f32_e32 v30, v31, v30
	v_fma_f32 v31, v31, v29, -v33
	v_fmac_f32_e32 v30, v32, v29
	v_add_f32_e32 v10, v10, v31
	v_add_f32_e32 v11, v11, v30
.LBB63_241:
	s_or_b64 exec, exec, s[20:21]
	s_movk_i32 s16, 0x90
	v_cmp_gt_u32_e64 s[16:17], s16, v15
	s_and_saveexec_b64 s[20:21], s[16:17]
	s_cbranch_execz .LBB63_243
; %bb.242:
	ds_read_b64 v[29:30], v27 offset:28416
	ds_read_b64 v[31:32], v28 offset:25016
	s_waitcnt lgkmcnt(0)
	v_mul_f32_e32 v33, v32, v30
	v_mul_f32_e32 v30, v31, v30
	v_fma_f32 v31, v31, v29, -v33
	v_fmac_f32_e32 v30, v32, v29
	v_add_f32_e32 v10, v10, v31
	v_add_f32_e32 v11, v11, v30
.LBB63_243:
	s_or_b64 exec, exec, s[20:21]
	s_movk_i32 s16, 0x80
	v_cmp_gt_u32_e64 s[16:17], s16, v15
	s_and_saveexec_b64 s[20:21], s[16:17]
	s_cbranch_execz .LBB63_245
; %bb.244:
	ds_read_b64 v[29:30], v27 offset:28928
	ds_read_b64 v[31:32], v28 offset:25024
	s_waitcnt lgkmcnt(0)
	v_mul_f32_e32 v33, v32, v30
	v_mul_f32_e32 v30, v31, v30
	v_fma_f32 v31, v31, v29, -v33
	v_fmac_f32_e32 v30, v32, v29
	v_add_f32_e32 v10, v10, v31
	v_add_f32_e32 v11, v11, v30
.LBB63_245:
	s_or_b64 exec, exec, s[20:21]
	s_movk_i32 s16, 0x70
	v_cmp_gt_u32_e64 s[16:17], s16, v15
	s_and_saveexec_b64 s[20:21], s[16:17]
	s_cbranch_execz .LBB63_247
; %bb.246:
	ds_read_b64 v[29:30], v27 offset:29440
	ds_read_b64 v[31:32], v28 offset:25032
	s_waitcnt lgkmcnt(0)
	v_mul_f32_e32 v33, v32, v30
	v_mul_f32_e32 v30, v31, v30
	v_fma_f32 v31, v31, v29, -v33
	v_fmac_f32_e32 v30, v32, v29
	v_add_f32_e32 v10, v10, v31
	v_add_f32_e32 v11, v11, v30
.LBB63_247:
	s_or_b64 exec, exec, s[20:21]
	s_movk_i32 s16, 0x60
	v_cmp_gt_u32_e64 s[16:17], s16, v15
	s_and_saveexec_b64 s[20:21], s[16:17]
	s_cbranch_execz .LBB63_249
; %bb.248:
	ds_read_b64 v[29:30], v27 offset:29952
	ds_read_b64 v[31:32], v28 offset:25040
	s_waitcnt lgkmcnt(0)
	v_mul_f32_e32 v33, v32, v30
	v_mul_f32_e32 v30, v31, v30
	v_fma_f32 v31, v31, v29, -v33
	v_fmac_f32_e32 v30, v32, v29
	v_add_f32_e32 v10, v10, v31
	v_add_f32_e32 v11, v11, v30
.LBB63_249:
	s_or_b64 exec, exec, s[20:21]
	s_movk_i32 s16, 0x50
	v_cmp_gt_u32_e64 s[16:17], s16, v15
	s_and_saveexec_b64 s[20:21], s[16:17]
	s_cbranch_execnz .LBB63_1071
; %bb.250:
	s_or_b64 exec, exec, s[20:21]
	s_and_saveexec_b64 s[16:17], s[8:9]
	s_cbranch_execnz .LBB63_1072
.LBB63_251:
	s_or_b64 exec, exec, s[16:17]
	v_cmp_gt_u32_e64 s[16:17], 48, v15
	s_and_saveexec_b64 s[20:21], s[16:17]
	s_cbranch_execnz .LBB63_1073
.LBB63_252:
	s_or_b64 exec, exec, s[20:21]
	v_cmp_gt_u32_e64 s[16:17], 32, v15
	s_and_saveexec_b64 s[20:21], s[16:17]
	s_cbranch_execnz .LBB63_1074
.LBB63_253:
	s_or_b64 exec, exec, s[20:21]
	v_cmp_gt_u32_e64 s[16:17], 16, v15
	s_and_saveexec_b64 s[20:21], s[16:17]
	s_cbranch_execz .LBB63_255
.LBB63_254:
	v_lshlrev_b32_e32 v27, 3, v0
	v_mov_b32_e32 v29, 0
	ds_read_b64 v[27:28], v27 offset:32512
	ds_read_b64 v[29:30], v29 offset:32760
	s_waitcnt lgkmcnt(0)
	v_mul_f32_e32 v31, v30, v28
	v_mul_f32_e32 v28, v29, v28
	v_fma_f32 v29, v29, v27, -v31
	v_fmac_f32_e32 v28, v30, v27
	v_add_f32_e32 v10, v10, v29
	v_add_f32_e32 v11, v11, v28
.LBB63_255:
	s_or_b64 exec, exec, s[20:21]
.LBB63_256:
	s_or_b64 exec, exec, s[0:1]
	v_mov_b32_e32 v27, 0x8000
	v_lshl_add_u32 v26, v26, 3, v27
	v_cmp_eq_u32_e64 s[16:17], 15, v24
	s_xor_b64 s[20:21], s[14:15], -1
	s_and_b64 s[14:15], s[16:17], s[20:21]
	s_mov_b64 s[0:1], exec
	v_writelane_b32 v37, s14, 2
	v_writelane_b32 v37, s15, 3
	s_and_b64 s[14:15], s[0:1], s[14:15]
	s_mov_b64 exec, s[14:15]
; %bb.257:
	v_xor_b32_e32 v27, 0x80000000, v10
	v_xor_b32_e32 v28, 0x80000000, v11
	ds_write_b64 v26, v[27:28]
; %bb.258:
	s_or_b64 exec, exec, s[0:1]
	v_cmp_ne_u32_e64 s[14:15], 15, v24
	s_waitcnt lgkmcnt(0)
	s_barrier
	s_and_b64 s[14:15], s[14:15], s[20:21]
	s_mov_b64 s[0:1], exec
	v_writelane_b32 v37, s14, 4
	v_writelane_b32 v37, s15, 5
	s_and_b64 s[14:15], s[0:1], s[14:15]
	s_mov_b64 exec, s[14:15]
	s_cbranch_execz .LBB63_260
; %bb.259:
	v_lshlrev_b32_e32 v27, 3, v24
	ds_read_b64 v[27:28], v27 offset:24320
	ds_read_b64 v[29:30], v26
	s_waitcnt lgkmcnt(0)
	v_mul_f32_e32 v31, v30, v28
	v_mul_f32_e32 v28, v29, v28
	v_fma_f32 v29, v29, v27, -v31
	v_fmac_f32_e32 v28, v30, v27
	v_sub_f32_e32 v10, v10, v29
	v_sub_f32_e32 v11, v11, v28
.LBB63_260:
	s_or_b64 exec, exec, s[0:1]
	v_cmp_eq_u32_e64 s[14:15], 14, v24
	s_barrier
	s_and_b64 s[14:15], s[14:15], s[20:21]
	s_mov_b64 s[0:1], exec
	v_writelane_b32 v37, s14, 6
	v_writelane_b32 v37, s15, 7
	s_and_b64 s[14:15], s[0:1], s[14:15]
	s_mov_b64 exec, s[14:15]
; %bb.261:
	v_xor_b32_e32 v27, 0x80000000, v10
	v_xor_b32_e32 v28, 0x80000000, v11
	ds_write_b64 v26, v[27:28]
; %bb.262:
	s_or_b64 exec, exec, s[0:1]
	v_cmp_gt_u32_e64 s[14:15], 14, v24
	s_waitcnt lgkmcnt(0)
	s_barrier
	s_and_b64 s[14:15], s[14:15], s[20:21]
	s_mov_b64 s[0:1], exec
	v_writelane_b32 v37, s14, 8
	v_writelane_b32 v37, s15, 9
	s_and_b64 s[14:15], s[0:1], s[14:15]
	s_mov_b64 exec, s[14:15]
	s_cbranch_execz .LBB63_264
; %bb.263:
	v_lshlrev_b32_e32 v27, 3, v24
	ds_read_b64 v[27:28], v27 offset:23808
	ds_read_b64 v[29:30], v26
	s_waitcnt lgkmcnt(0)
	v_mul_f32_e32 v31, v30, v28
	v_mul_f32_e32 v28, v29, v28
	v_fma_f32 v29, v29, v27, -v31
	v_fmac_f32_e32 v28, v30, v27
	v_sub_f32_e32 v10, v10, v29
	v_sub_f32_e32 v11, v11, v28
.LBB63_264:
	s_or_b64 exec, exec, s[0:1]
	v_cmp_eq_u32_e64 s[14:15], 13, v24
	s_barrier
	s_and_b64 s[14:15], s[14:15], s[20:21]
	s_mov_b64 s[0:1], exec
	v_writelane_b32 v37, s14, 10
	v_writelane_b32 v37, s15, 11
	s_and_b64 s[14:15], s[0:1], s[14:15]
	s_mov_b64 exec, s[14:15]
; %bb.265:
	v_xor_b32_e32 v27, 0x80000000, v10
	v_xor_b32_e32 v28, 0x80000000, v11
	ds_write_b64 v26, v[27:28]
; %bb.266:
	s_or_b64 exec, exec, s[0:1]
	v_cmp_gt_u32_e64 s[14:15], 13, v24
	;; [unrolled: 37-line block ×12, first 2 shown]
	s_waitcnt lgkmcnt(0)
	s_barrier
	s_and_b64 s[14:15], s[14:15], s[20:21]
	s_mov_b64 s[0:1], exec
	v_writelane_b32 v37, s14, 52
	v_writelane_b32 v37, s15, 53
	s_and_b64 s[14:15], s[0:1], s[14:15]
	s_mov_b64 exec, s[14:15]
	s_cbranch_execz .LBB63_308
; %bb.307:
	v_lshlrev_b32_e32 v27, 3, v24
	ds_read_b64 v[27:28], v27 offset:18176
	ds_read_b64 v[29:30], v26
	s_waitcnt lgkmcnt(0)
	v_mul_f32_e32 v31, v30, v28
	v_mul_f32_e32 v28, v29, v28
	v_fma_f32 v29, v29, v27, -v31
	v_fmac_f32_e32 v28, v30, v27
	v_sub_f32_e32 v10, v10, v29
	v_sub_f32_e32 v11, v11, v28
.LBB63_308:
	s_or_b64 exec, exec, s[0:1]
	v_cmp_eq_u32_e64 s[14:15], 2, v24
	s_and_b64 s[88:89], s[14:15], s[20:21]
	s_barrier
	s_and_saveexec_b64 s[0:1], s[88:89]
; %bb.309:
	v_xor_b32_e32 v27, 0x80000000, v10
	v_xor_b32_e32 v28, 0x80000000, v11
	ds_write_b64 v26, v[27:28]
; %bb.310:
	s_or_b64 exec, exec, s[0:1]
	v_cmp_gt_u32_e64 s[14:15], 2, v24
	s_and_b64 s[0:1], s[14:15], s[20:21]
	s_waitcnt lgkmcnt(0)
	s_barrier
	s_and_saveexec_b64 s[14:15], s[0:1]
	s_cbranch_execz .LBB63_312
; %bb.311:
	v_lshlrev_b32_e32 v27, 3, v24
	ds_read_b64 v[27:28], v27 offset:17664
	ds_read_b64 v[29:30], v26
	s_waitcnt lgkmcnt(0)
	v_mul_f32_e32 v31, v30, v28
	v_mul_f32_e32 v28, v29, v28
	v_fma_f32 v29, v29, v27, -v31
	v_fmac_f32_e32 v28, v30, v27
	v_sub_f32_e32 v10, v10, v29
	v_sub_f32_e32 v11, v11, v28
.LBB63_312:
	s_or_b64 exec, exec, s[14:15]
	v_cmp_eq_u32_e64 s[14:15], 1, v24
	s_and_b64 s[92:93], s[14:15], s[20:21]
	s_barrier
	s_and_saveexec_b64 s[14:15], s[92:93]
; %bb.313:
	v_xor_b32_e32 v27, 0x80000000, v10
	v_xor_b32_e32 v28, 0x80000000, v11
	ds_write_b64 v26, v[27:28]
; %bb.314:
	s_or_b64 exec, exec, s[14:15]
	v_cmp_eq_u32_e64 s[14:15], 0, v24
	s_and_b64 s[90:91], s[14:15], s[20:21]
	s_waitcnt lgkmcnt(0)
	s_barrier
	s_and_saveexec_b64 s[14:15], s[90:91]
	s_cbranch_execz .LBB63_316
; %bb.315:
	v_mov_b32_e32 v27, 0
	ds_read_b64 v[27:28], v27 offset:17152
	ds_read_b64 v[29:30], v26
	s_waitcnt lgkmcnt(0)
	v_mul_f32_e32 v31, v30, v28
	v_mul_f32_e32 v28, v29, v28
	v_fma_f32 v29, v29, v27, -v31
	v_fmac_f32_e32 v28, v30, v27
	v_sub_f32_e32 v10, v10, v29
	v_sub_f32_e32 v11, v11, v28
.LBB63_316:
	s_or_b64 exec, exec, s[14:15]
	s_barrier
	s_and_saveexec_b64 s[14:15], s[90:91]
; %bb.317:
	v_xor_b32_e32 v27, 0x80000000, v10
	v_xor_b32_e32 v28, 0x80000000, v11
	ds_write_b64 v26, v[27:28]
; %bb.318:
	s_or_b64 exec, exec, s[14:15]
	s_waitcnt lgkmcnt(0)
	s_barrier
	s_barrier
	s_and_saveexec_b64 s[14:15], s[10:11]
; %bb.319:
	v_lshlrev_b32_e32 v27, 3, v24
	v_lshl_or_b32 v27, v25, 9, v27
	ds_write_b64 v27, v[10:11] offset:24832
; %bb.320:
	s_or_b64 exec, exec, s[14:15]
	v_cmp_gt_u32_e64 s[14:15], 16, v0
	s_and_b64 s[82:83], s[12:13], s[14:15]
	s_waitcnt lgkmcnt(0)
	s_barrier
	s_barrier
	s_and_saveexec_b64 s[14:15], s[82:83]
	s_cbranch_execz .LBB63_322
; %bb.321:
	v_lshlrev_b32_e32 v27, 9, v0
	ds_read_b64 v[10:11], v27 offset:24832
	s_movk_i32 s16, 0xfe08
	v_mad_i32_i24 v28, v0, s16, v27
	s_waitcnt lgkmcnt(0)
	ds_write_b64 v28, v[10:11] offset:16768
	ds_read_b64 v[10:11], v27 offset:24840
	s_waitcnt lgkmcnt(0)
	ds_write_b64 v28, v[10:11] offset:17280
	ds_read_b64 v[10:11], v27 offset:24848
	;; [unrolled: 3-line block ×15, first 2 shown]
	s_waitcnt lgkmcnt(0)
	ds_write_b64 v28, v[10:11] offset:24448
.LBB63_322:
	s_or_b64 exec, exec, s[14:15]
	s_waitcnt lgkmcnt(0)
	s_barrier
	s_and_saveexec_b64 s[14:15], vcc
	s_cbranch_execz .LBB63_324
; %bb.323:
	v_mov_b32_e32 v29, 0
	ds_read_b64 v[10:11], v29 offset:24432
	s_mov_b64 s[16:17], 0x3f800000
	v_mov_b32_e32 v28, s17
	v_mov_b32_e32 v27, s16
	s_movk_i32 s16, 0x5800
	ds_write_b64 v29, v[27:28] offset:24440
	v_add_u32_e64 v29, s16, 0
	s_waitcnt lgkmcnt(1)
	ds_write2_b64 v29, v[27:28], v[10:11] offset0:174 offset1:175
.LBB63_324:
	s_or_b64 exec, exec, s[14:15]
	v_mov_b32_e32 v10, 0
	v_mov_b32_e32 v11, 0
	s_waitcnt lgkmcnt(0)
	s_barrier
	buffer_wbinvl1_vol
	s_and_saveexec_b64 s[16:17], s[2:3]
	s_cbranch_execz .LBB63_328
; %bb.325:
	v_lshlrev_b32_e32 v10, 3, v12
	v_lshlrev_b32_e32 v27, 9, v13
	ds_read_b64 v[10:11], v10 offset:23904
	ds_read_b64 v[27:28], v27 offset:23920
	v_cmp_gt_u32_e64 s[14:15], 2, v15
	s_waitcnt lgkmcnt(0)
	v_mul_f32_e32 v29, v28, v11
	v_mul_f32_e32 v11, v27, v11
	v_fma_f32 v27, v27, v10, -v29
	v_fmac_f32_e32 v11, v28, v10
	v_add_f32_e32 v10, 0, v27
	v_add_f32_e32 v11, 0, v11
	s_and_saveexec_b64 s[20:21], s[14:15]
	s_cbranch_execz .LBB63_327
; %bb.326:
	v_lshlrev_b32_e32 v27, 3, v0
	v_mov_b32_e32 v29, 0
	ds_read_b64 v[27:28], v27 offset:24416
	ds_read_b64 v[29:30], v29 offset:24440
	s_waitcnt lgkmcnt(0)
	v_mul_f32_e32 v31, v30, v28
	v_mul_f32_e32 v28, v29, v28
	v_fma_f32 v29, v29, v27, -v31
	v_fmac_f32_e32 v28, v30, v27
	v_add_f32_e32 v10, v10, v29
	v_add_f32_e32 v11, v11, v28
.LBB63_327:
	s_or_b64 exec, exec, s[20:21]
.LBB63_328:
	s_or_b64 exec, exec, s[16:17]
	s_and_saveexec_b64 s[14:15], s[34:35]
; %bb.329:
	v_xor_b32_e32 v28, 0x80000000, v11
	v_xor_b32_e32 v27, 0x80000000, v10
	ds_write_b64 v14, v[27:28]
; %bb.330:
	s_or_b64 exec, exec, s[14:15]
	s_waitcnt lgkmcnt(0)
	s_barrier
	s_and_saveexec_b64 s[14:15], s[30:31]
	s_cbranch_execz .LBB63_332
; %bb.331:
	v_mov_b32_e32 v27, 0
	ds_read_b64 v[27:28], v27 offset:23392
	ds_read_b64 v[29:30], v14
	s_waitcnt lgkmcnt(0)
	v_mul_f32_e32 v31, v29, v27
	v_mul_f32_e32 v29, v29, v28
	v_fmac_f32_e32 v29, v30, v27
	v_fma_f32 v27, v30, v28, -v31
	v_add_f32_e32 v10, v10, v27
	v_sub_f32_e32 v11, v11, v29
.LBB63_332:
	s_or_b64 exec, exec, s[14:15]
	s_barrier
	s_and_saveexec_b64 s[14:15], s[30:31]
; %bb.333:
	v_xor_b32_e32 v28, 0x80000000, v11
	v_xor_b32_e32 v27, 0x80000000, v10
	ds_write_b64 v14, v[27:28]
; %bb.334:
	s_or_b64 exec, exec, s[14:15]
	s_waitcnt lgkmcnt(0)
	s_barrier
	s_barrier
	s_and_saveexec_b64 s[14:15], s[2:3]
; %bb.335:
	v_lshlrev_b32_e32 v27, 3, v12
	v_lshl_or_b32 v27, v13, 9, v27
	ds_write_b64 v27, v[10:11] offset:23904
; %bb.336:
	s_or_b64 exec, exec, s[14:15]
	s_waitcnt lgkmcnt(0)
	s_barrier
	s_barrier
	s_and_saveexec_b64 s[14:15], s[36:37]
	s_cbranch_execz .LBB63_338
; %bb.337:
	v_lshlrev_b32_e32 v27, 3, v0
	s_movk_i32 s16, 0x1f8
	v_mad_u32_u24 v28, v0, s16, v27
	ds_read_b64 v[10:11], v28 offset:23904
	s_waitcnt lgkmcnt(0)
	ds_write_b64 v27, v[10:11] offset:22896
	ds_read_b64 v[10:11], v28 offset:23912
	s_waitcnt lgkmcnt(0)
	ds_write_b64 v27, v[10:11] offset:23408
.LBB63_338:
	s_or_b64 exec, exec, s[14:15]
	s_waitcnt lgkmcnt(0)
	s_barrier
	s_and_saveexec_b64 s[14:15], vcc
	s_cbranch_execz .LBB63_340
; %bb.339:
	v_mov_b32_e32 v29, 0
	ds_read_b64 v[10:11], v29 offset:23392
	s_mov_b64 s[16:17], 0x3f800000
	v_mov_b32_e32 v28, s17
	v_mov_b32_e32 v27, s16
	s_movk_i32 s16, 0x5800
	ds_write_b64 v29, v[27:28] offset:23400
	v_add_u32_e64 v29, s16, 0
	s_waitcnt lgkmcnt(1)
	ds_write2_b64 v29, v[27:28], v[10:11] offset0:44 offset1:45
.LBB63_340:
	s_or_b64 exec, exec, s[14:15]
	v_mov_b32_e32 v11, 0
	v_mov_b32_e32 v10, 0
	s_waitcnt lgkmcnt(0)
	s_barrier
	buffer_wbinvl1_vol
	s_and_saveexec_b64 s[16:17], s[18:19]
	s_cbranch_execz .LBB63_346
; %bb.341:
	v_lshlrev_b32_e32 v27, 3, v18
	v_lshlrev_b32_e32 v28, 9, v19
	ds_read_b64 v[10:11], v27 offset:22848
	ds_read_b64 v[29:30], v28 offset:22880
	v_cmp_gt_u32_e64 s[14:15], 12, v15
	s_waitcnt lgkmcnt(0)
	v_mul_f32_e32 v31, v30, v11
	v_mul_f32_e32 v11, v29, v11
	v_fma_f32 v29, v29, v10, -v31
	v_fmac_f32_e32 v11, v30, v10
	v_add_f32_e32 v10, 0, v29
	v_add_f32_e32 v11, 0, v11
	s_and_saveexec_b64 s[20:21], s[14:15]
	s_cbranch_execnz .LBB63_1075
; %bb.342:
	s_or_b64 exec, exec, s[20:21]
	v_cmp_gt_u32_e64 s[14:15], 8, v15
	s_and_saveexec_b64 s[20:21], s[14:15]
	s_cbranch_execnz .LBB63_1076
.LBB63_343:
	s_or_b64 exec, exec, s[20:21]
	v_cmp_gt_u32_e64 s[14:15], 4, v15
	s_and_saveexec_b64 s[20:21], s[14:15]
	s_cbranch_execz .LBB63_345
.LBB63_344:
	v_lshlrev_b32_e32 v27, 3, v0
	v_mov_b32_e32 v29, 0
	ds_read_b64 v[27:28], v27 offset:24384
	ds_read_b64 v[29:30], v29 offset:24440
	s_waitcnt lgkmcnt(0)
	v_mul_f32_e32 v31, v30, v28
	v_mul_f32_e32 v28, v29, v28
	v_fma_f32 v29, v29, v27, -v31
	v_fmac_f32_e32 v28, v30, v27
	v_add_f32_e32 v10, v10, v29
	v_add_f32_e32 v11, v11, v28
.LBB63_345:
	s_or_b64 exec, exec, s[20:21]
.LBB63_346:
	s_or_b64 exec, exec, s[16:17]
	s_and_saveexec_b64 s[14:15], s[40:41]
; %bb.347:
	v_xor_b32_e32 v27, 0x80000000, v10
	v_xor_b32_e32 v28, 0x80000000, v11
	ds_write_b64 v20, v[27:28]
; %bb.348:
	s_or_b64 exec, exec, s[14:15]
	s_waitcnt lgkmcnt(0)
	s_barrier
	s_and_saveexec_b64 s[14:15], s[42:43]
	s_cbranch_execz .LBB63_350
; %bb.349:
	v_lshlrev_b32_e32 v27, 3, v18
	ds_read_b64 v[27:28], v27 offset:22336
	ds_read_b64 v[29:30], v20
	s_waitcnt lgkmcnt(0)
	v_mul_f32_e32 v31, v30, v28
	v_mul_f32_e32 v28, v29, v28
	v_fma_f32 v29, v29, v27, -v31
	v_fmac_f32_e32 v28, v30, v27
	v_sub_f32_e32 v10, v10, v29
	v_sub_f32_e32 v11, v11, v28
.LBB63_350:
	s_or_b64 exec, exec, s[14:15]
	s_barrier
	s_and_saveexec_b64 s[14:15], s[44:45]
; %bb.351:
	v_xor_b32_e32 v27, 0x80000000, v10
	v_xor_b32_e32 v28, 0x80000000, v11
	ds_write_b64 v20, v[27:28]
; %bb.352:
	s_or_b64 exec, exec, s[14:15]
	s_waitcnt lgkmcnt(0)
	s_barrier
	s_and_saveexec_b64 s[14:15], s[46:47]
	s_cbranch_execz .LBB63_354
; %bb.353:
	v_lshlrev_b32_e32 v27, 3, v18
	ds_read_b64 v[27:28], v27 offset:21824
	ds_read_b64 v[29:30], v20
	s_waitcnt lgkmcnt(0)
	v_mul_f32_e32 v31, v30, v28
	v_mul_f32_e32 v28, v29, v28
	v_fma_f32 v29, v29, v27, -v31
	v_fmac_f32_e32 v28, v30, v27
	v_sub_f32_e32 v10, v10, v29
	v_sub_f32_e32 v11, v11, v28
.LBB63_354:
	s_or_b64 exec, exec, s[14:15]
	s_barrier
	s_and_saveexec_b64 s[14:15], s[48:49]
; %bb.355:
	v_xor_b32_e32 v27, 0x80000000, v10
	v_xor_b32_e32 v28, 0x80000000, v11
	ds_write_b64 v20, v[27:28]
; %bb.356:
	s_or_b64 exec, exec, s[14:15]
	s_waitcnt lgkmcnt(0)
	s_barrier
	s_and_saveexec_b64 s[14:15], s[38:39]
	s_cbranch_execz .LBB63_358
; %bb.357:
	v_mov_b32_e32 v27, 0
	ds_read_b64 v[27:28], v27 offset:21312
	ds_read_b64 v[29:30], v20
	s_waitcnt lgkmcnt(0)
	v_mul_f32_e32 v31, v30, v28
	v_mul_f32_e32 v28, v29, v28
	v_fma_f32 v29, v29, v27, -v31
	v_fmac_f32_e32 v28, v30, v27
	v_sub_f32_e32 v10, v10, v29
	v_sub_f32_e32 v11, v11, v28
.LBB63_358:
	s_or_b64 exec, exec, s[14:15]
	s_barrier
	s_and_saveexec_b64 s[14:15], s[38:39]
; %bb.359:
	v_xor_b32_e32 v27, 0x80000000, v10
	v_xor_b32_e32 v28, 0x80000000, v11
	ds_write_b64 v20, v[27:28]
; %bb.360:
	s_or_b64 exec, exec, s[14:15]
	s_waitcnt lgkmcnt(0)
	s_barrier
	s_barrier
	s_and_saveexec_b64 s[14:15], s[18:19]
; %bb.361:
	v_lshlrev_b32_e32 v27, 3, v18
	v_lshl_or_b32 v27, v19, 9, v27
	ds_write_b64 v27, v[10:11] offset:22848
; %bb.362:
	s_or_b64 exec, exec, s[14:15]
	s_waitcnt lgkmcnt(0)
	s_barrier
	s_barrier
	s_and_saveexec_b64 s[14:15], s[50:51]
	s_cbranch_execz .LBB63_364
; %bb.363:
	v_lshlrev_b32_e32 v27, 9, v0
	ds_read_b64 v[10:11], v27 offset:22848
	s_movk_i32 s16, 0xfe08
	v_mad_i32_i24 v28, v0, s16, v27
	s_waitcnt lgkmcnt(0)
	ds_write_b64 v28, v[10:11] offset:20832
	ds_read_b64 v[10:11], v27 offset:22856
	s_waitcnt lgkmcnt(0)
	ds_write_b64 v28, v[10:11] offset:21344
	ds_read_b64 v[10:11], v27 offset:22864
	;; [unrolled: 3-line block ×3, first 2 shown]
	s_waitcnt lgkmcnt(0)
	ds_write_b64 v28, v[10:11] offset:22368
.LBB63_364:
	s_or_b64 exec, exec, s[14:15]
	s_waitcnt lgkmcnt(0)
	s_barrier
	s_and_saveexec_b64 s[14:15], vcc
	s_cbranch_execz .LBB63_366
; %bb.365:
	v_mov_b32_e32 v29, 0
	ds_read_b64 v[10:11], v29 offset:22352
	s_mov_b64 s[16:17], 0x3f800000
	v_mov_b32_e32 v28, s17
	v_mov_b32_e32 v27, s16
	s_movk_i32 s16, 0x5000
	ds_write_b64 v29, v[27:28] offset:22360
	v_add_u32_e64 v29, s16, 0
	s_waitcnt lgkmcnt(1)
	ds_write2_b64 v29, v[27:28], v[10:11] offset0:170 offset1:171
.LBB63_366:
	s_or_b64 exec, exec, s[14:15]
	v_mov_b32_e32 v10, 0
	v_mov_b32_e32 v11, 0
	s_waitcnt lgkmcnt(0)
	s_barrier
	buffer_wbinvl1_vol
	s_and_saveexec_b64 s[16:17], s[2:3]
	s_cbranch_execz .LBB63_370
; %bb.367:
	v_lshlrev_b32_e32 v10, 3, v12
	v_lshlrev_b32_e32 v27, 9, v13
	ds_read_b64 v[10:11], v10 offset:21824
	ds_read_b64 v[27:28], v27 offset:21840
	v_cmp_gt_u32_e64 s[14:15], 2, v15
	s_waitcnt lgkmcnt(0)
	v_mul_f32_e32 v29, v28, v11
	v_mul_f32_e32 v11, v27, v11
	v_fma_f32 v27, v27, v10, -v29
	v_fmac_f32_e32 v11, v28, v10
	v_add_f32_e32 v10, 0, v27
	v_add_f32_e32 v11, 0, v11
	s_and_saveexec_b64 s[20:21], s[14:15]
	s_cbranch_execz .LBB63_369
; %bb.368:
	v_lshlrev_b32_e32 v27, 3, v0
	v_mov_b32_e32 v29, 0
	ds_read_b64 v[27:28], v27 offset:22336
	ds_read_b64 v[29:30], v29 offset:22360
	s_waitcnt lgkmcnt(0)
	v_mul_f32_e32 v31, v30, v28
	v_mul_f32_e32 v28, v29, v28
	v_fma_f32 v29, v29, v27, -v31
	v_fmac_f32_e32 v28, v30, v27
	v_add_f32_e32 v10, v10, v29
	v_add_f32_e32 v11, v11, v28
.LBB63_369:
	s_or_b64 exec, exec, s[20:21]
.LBB63_370:
	s_or_b64 exec, exec, s[16:17]
	s_and_saveexec_b64 s[14:15], s[34:35]
; %bb.371:
	v_xor_b32_e32 v28, 0x80000000, v11
	v_xor_b32_e32 v27, 0x80000000, v10
	ds_write_b64 v14, v[27:28]
; %bb.372:
	s_or_b64 exec, exec, s[14:15]
	s_waitcnt lgkmcnt(0)
	s_barrier
	s_and_saveexec_b64 s[14:15], s[30:31]
	s_cbranch_execz .LBB63_374
; %bb.373:
	v_mov_b32_e32 v27, 0
	ds_read_b64 v[27:28], v27 offset:21312
	ds_read_b64 v[29:30], v14
	s_waitcnt lgkmcnt(0)
	v_mul_f32_e32 v31, v29, v27
	v_mul_f32_e32 v29, v29, v28
	v_fmac_f32_e32 v29, v30, v27
	v_fma_f32 v27, v30, v28, -v31
	v_add_f32_e32 v10, v10, v27
	v_sub_f32_e32 v11, v11, v29
.LBB63_374:
	s_or_b64 exec, exec, s[14:15]
	s_barrier
	s_and_saveexec_b64 s[14:15], s[30:31]
; %bb.375:
	v_xor_b32_e32 v28, 0x80000000, v11
	v_xor_b32_e32 v27, 0x80000000, v10
	ds_write_b64 v14, v[27:28]
; %bb.376:
	s_or_b64 exec, exec, s[14:15]
	s_waitcnt lgkmcnt(0)
	s_barrier
	s_barrier
	s_and_saveexec_b64 s[14:15], s[2:3]
; %bb.377:
	v_lshlrev_b32_e32 v27, 3, v12
	v_lshl_or_b32 v27, v13, 9, v27
	ds_write_b64 v27, v[10:11] offset:21824
; %bb.378:
	s_or_b64 exec, exec, s[14:15]
	s_waitcnt lgkmcnt(0)
	s_barrier
	s_barrier
	s_and_saveexec_b64 s[14:15], s[36:37]
	s_cbranch_execz .LBB63_380
; %bb.379:
	v_lshlrev_b32_e32 v27, 3, v0
	s_movk_i32 s16, 0x1f8
	v_mad_u32_u24 v28, v0, s16, v27
	ds_read_b64 v[10:11], v28 offset:21824
	s_waitcnt lgkmcnt(0)
	ds_write_b64 v27, v[10:11] offset:20816
	ds_read_b64 v[10:11], v28 offset:21832
	s_waitcnt lgkmcnt(0)
	ds_write_b64 v27, v[10:11] offset:21328
.LBB63_380:
	s_or_b64 exec, exec, s[14:15]
	s_waitcnt lgkmcnt(0)
	s_barrier
	s_and_saveexec_b64 s[14:15], vcc
	s_cbranch_execz .LBB63_382
; %bb.381:
	v_mov_b32_e32 v29, 0
	ds_read_b64 v[10:11], v29 offset:21312
	s_mov_b64 s[16:17], 0x3f800000
	v_mov_b32_e32 v28, s17
	v_mov_b32_e32 v27, s16
	s_movk_i32 s16, 0x5000
	ds_write_b64 v29, v[27:28] offset:21320
	v_add_u32_e64 v29, s16, 0
	s_waitcnt lgkmcnt(1)
	ds_write2_b64 v29, v[27:28], v[10:11] offset0:40 offset1:41
.LBB63_382:
	s_or_b64 exec, exec, s[14:15]
	v_mov_b32_e32 v11, 0
	v_mov_b32_e32 v10, 0
	s_waitcnt lgkmcnt(0)
	s_barrier
	buffer_wbinvl1_vol
	s_and_saveexec_b64 s[16:17], s[8:9]
	s_cbranch_execz .LBB63_392
; %bb.383:
	v_lshlrev_b32_e32 v27, 3, v21
	v_lshlrev_b32_e32 v28, 9, v22
	ds_read_b64 v[10:11], v27 offset:20736
	ds_read_b64 v[29:30], v28 offset:20800
	v_cmp_gt_u32_e64 s[14:15], 56, v15
	s_waitcnt lgkmcnt(0)
	v_mul_f32_e32 v31, v30, v11
	v_mul_f32_e32 v11, v29, v11
	v_fma_f32 v29, v29, v10, -v31
	v_fmac_f32_e32 v11, v30, v10
	v_add_f32_e32 v10, 0, v29
	v_add_f32_e32 v11, 0, v11
	s_and_saveexec_b64 s[20:21], s[14:15]
	s_cbranch_execnz .LBB63_1077
; %bb.384:
	s_or_b64 exec, exec, s[20:21]
	v_cmp_gt_u32_e64 s[14:15], 48, v15
	s_and_saveexec_b64 s[20:21], s[14:15]
	s_cbranch_execnz .LBB63_1078
.LBB63_385:
	s_or_b64 exec, exec, s[20:21]
	v_cmp_gt_u32_e64 s[14:15], 40, v15
	s_and_saveexec_b64 s[20:21], s[14:15]
	s_cbranch_execnz .LBB63_1079
.LBB63_386:
	s_or_b64 exec, exec, s[20:21]
	v_cmp_gt_u32_e64 s[14:15], 32, v15
	s_and_saveexec_b64 s[20:21], s[14:15]
	s_cbranch_execnz .LBB63_1080
.LBB63_387:
	s_or_b64 exec, exec, s[20:21]
	v_cmp_gt_u32_e64 s[14:15], 24, v15
	s_and_saveexec_b64 s[20:21], s[14:15]
	s_cbranch_execnz .LBB63_1081
.LBB63_388:
	s_or_b64 exec, exec, s[20:21]
	s_and_saveexec_b64 s[14:15], s[18:19]
	s_cbranch_execnz .LBB63_1082
.LBB63_389:
	s_or_b64 exec, exec, s[14:15]
	v_cmp_gt_u32_e64 s[14:15], 8, v15
	s_and_saveexec_b64 s[20:21], s[14:15]
	s_cbranch_execz .LBB63_391
.LBB63_390:
	v_lshlrev_b32_e32 v27, 3, v0
	v_mov_b32_e32 v29, 0
	ds_read_b64 v[27:28], v27 offset:24320
	ds_read_b64 v[29:30], v29 offset:24440
	s_waitcnt lgkmcnt(0)
	v_mul_f32_e32 v31, v30, v28
	v_mul_f32_e32 v28, v29, v28
	v_fma_f32 v29, v29, v27, -v31
	v_fmac_f32_e32 v28, v30, v27
	v_add_f32_e32 v10, v10, v29
	v_add_f32_e32 v11, v11, v28
.LBB63_391:
	s_or_b64 exec, exec, s[20:21]
.LBB63_392:
	s_or_b64 exec, exec, s[16:17]
	s_and_saveexec_b64 s[14:15], s[54:55]
; %bb.393:
	v_xor_b32_e32 v28, 0x80000000, v11
	v_xor_b32_e32 v27, 0x80000000, v10
	ds_write_b64 v23, v[27:28]
; %bb.394:
	s_or_b64 exec, exec, s[14:15]
	s_waitcnt lgkmcnt(0)
	s_barrier
	s_and_saveexec_b64 s[14:15], s[56:57]
	s_cbranch_execz .LBB63_396
; %bb.395:
	v_lshlrev_b32_e32 v27, 3, v21
	ds_read_b64 v[27:28], v27 offset:20224
	ds_read_b64 v[29:30], v23
	s_waitcnt lgkmcnt(0)
	v_mul_f32_e32 v31, v30, v28
	v_mul_f32_e32 v28, v29, v28
	v_fma_f32 v29, v29, v27, -v31
	v_fmac_f32_e32 v28, v30, v27
	v_sub_f32_e32 v10, v10, v29
	v_sub_f32_e32 v11, v11, v28
.LBB63_396:
	s_or_b64 exec, exec, s[14:15]
	s_barrier
	s_and_saveexec_b64 s[14:15], s[58:59]
; %bb.397:
	v_xor_b32_e32 v28, 0x80000000, v11
	v_xor_b32_e32 v27, 0x80000000, v10
	ds_write_b64 v23, v[27:28]
; %bb.398:
	s_or_b64 exec, exec, s[14:15]
	s_waitcnt lgkmcnt(0)
	s_barrier
	s_and_saveexec_b64 s[14:15], s[60:61]
	s_cbranch_execz .LBB63_400
; %bb.399:
	v_lshlrev_b32_e32 v27, 3, v21
	ds_read_b64 v[27:28], v27 offset:19712
	ds_read_b64 v[29:30], v23
	s_waitcnt lgkmcnt(0)
	v_mul_f32_e32 v31, v30, v28
	v_mul_f32_e32 v28, v29, v28
	v_fma_f32 v29, v29, v27, -v31
	v_fmac_f32_e32 v28, v30, v27
	v_sub_f32_e32 v10, v10, v29
	v_sub_f32_e32 v11, v11, v28
.LBB63_400:
	s_or_b64 exec, exec, s[14:15]
	s_barrier
	;; [unrolled: 25-line block ×6, first 2 shown]
	s_and_saveexec_b64 s[14:15], s[78:79]
; %bb.417:
	v_xor_b32_e32 v28, 0x80000000, v11
	v_xor_b32_e32 v27, 0x80000000, v10
	ds_write_b64 v23, v[27:28]
; %bb.418:
	s_or_b64 exec, exec, s[14:15]
	s_waitcnt lgkmcnt(0)
	s_barrier
	s_and_saveexec_b64 s[14:15], s[52:53]
	s_cbranch_execz .LBB63_420
; %bb.419:
	v_mov_b32_e32 v27, 0
	ds_read_b64 v[27:28], v27 offset:17152
	ds_read_b64 v[29:30], v23
	s_waitcnt lgkmcnt(0)
	v_mul_f32_e32 v31, v30, v28
	v_mul_f32_e32 v28, v29, v28
	v_fma_f32 v29, v29, v27, -v31
	v_fmac_f32_e32 v28, v30, v27
	v_sub_f32_e32 v10, v10, v29
	v_sub_f32_e32 v11, v11, v28
.LBB63_420:
	s_or_b64 exec, exec, s[14:15]
	s_barrier
	s_and_saveexec_b64 s[14:15], s[52:53]
; %bb.421:
	v_xor_b32_e32 v28, 0x80000000, v11
	v_xor_b32_e32 v27, 0x80000000, v10
	ds_write_b64 v23, v[27:28]
; %bb.422:
	s_or_b64 exec, exec, s[14:15]
	s_waitcnt lgkmcnt(0)
	s_barrier
	s_barrier
	s_and_saveexec_b64 s[14:15], s[8:9]
; %bb.423:
	v_lshlrev_b32_e32 v27, 3, v21
	v_lshl_or_b32 v27, v22, 9, v27
	ds_write_b64 v27, v[10:11] offset:20736
; %bb.424:
	s_or_b64 exec, exec, s[14:15]
	s_waitcnt lgkmcnt(0)
	s_barrier
	s_barrier
	s_and_saveexec_b64 s[14:15], s[80:81]
	s_cbranch_execz .LBB63_426
; %bb.425:
	v_lshlrev_b32_e32 v27, 9, v0
	ds_read_b64 v[10:11], v27 offset:20736
	s_movk_i32 s16, 0xfe08
	v_mad_i32_i24 v28, v0, s16, v27
	s_waitcnt lgkmcnt(0)
	ds_write_b64 v28, v[10:11] offset:16704
	ds_read_b64 v[10:11], v27 offset:20744
	s_waitcnt lgkmcnt(0)
	ds_write_b64 v28, v[10:11] offset:17216
	ds_read_b64 v[10:11], v27 offset:20752
	;; [unrolled: 3-line block ×7, first 2 shown]
	s_waitcnt lgkmcnt(0)
	ds_write_b64 v28, v[10:11] offset:20288
.LBB63_426:
	s_or_b64 exec, exec, s[14:15]
	s_waitcnt lgkmcnt(0)
	s_barrier
	s_and_saveexec_b64 s[14:15], vcc
	s_cbranch_execz .LBB63_428
; %bb.427:
	v_mov_b32_e32 v29, 0
	ds_read_b64 v[10:11], v29 offset:20272
	s_mov_b64 s[16:17], 0x3f800000
	v_mov_b32_e32 v28, s17
	v_mov_b32_e32 v27, s16
	s_movk_i32 s16, 0x4800
	ds_write_b64 v29, v[27:28] offset:20280
	v_add_u32_e64 v29, s16, 0
	s_waitcnt lgkmcnt(1)
	ds_write2_b64 v29, v[27:28], v[10:11] offset0:166 offset1:167
.LBB63_428:
	s_or_b64 exec, exec, s[14:15]
	v_mov_b32_e32 v10, 0
	v_mov_b32_e32 v11, 0
	s_waitcnt lgkmcnt(0)
	s_barrier
	buffer_wbinvl1_vol
	s_and_saveexec_b64 s[16:17], s[2:3]
	s_cbranch_execz .LBB63_432
; %bb.429:
	v_lshlrev_b32_e32 v10, 3, v12
	v_lshlrev_b32_e32 v27, 9, v13
	ds_read_b64 v[10:11], v10 offset:19744
	ds_read_b64 v[27:28], v27 offset:19760
	v_cmp_gt_u32_e64 s[14:15], 2, v15
	s_waitcnt lgkmcnt(0)
	v_mul_f32_e32 v29, v28, v11
	v_mul_f32_e32 v11, v27, v11
	v_fma_f32 v27, v27, v10, -v29
	v_fmac_f32_e32 v11, v28, v10
	v_add_f32_e32 v10, 0, v27
	v_add_f32_e32 v11, 0, v11
	s_and_saveexec_b64 s[20:21], s[14:15]
	s_cbranch_execz .LBB63_431
; %bb.430:
	v_lshlrev_b32_e32 v27, 3, v0
	v_mov_b32_e32 v29, 0
	ds_read_b64 v[27:28], v27 offset:20256
	ds_read_b64 v[29:30], v29 offset:20280
	s_waitcnt lgkmcnt(0)
	v_mul_f32_e32 v31, v30, v28
	v_mul_f32_e32 v28, v29, v28
	v_fma_f32 v29, v29, v27, -v31
	v_fmac_f32_e32 v28, v30, v27
	v_add_f32_e32 v10, v10, v29
	v_add_f32_e32 v11, v11, v28
.LBB63_431:
	s_or_b64 exec, exec, s[20:21]
.LBB63_432:
	s_or_b64 exec, exec, s[16:17]
	s_and_saveexec_b64 s[14:15], s[34:35]
; %bb.433:
	v_xor_b32_e32 v28, 0x80000000, v11
	v_xor_b32_e32 v27, 0x80000000, v10
	ds_write_b64 v14, v[27:28]
; %bb.434:
	s_or_b64 exec, exec, s[14:15]
	s_waitcnt lgkmcnt(0)
	s_barrier
	s_and_saveexec_b64 s[14:15], s[30:31]
	s_cbranch_execz .LBB63_436
; %bb.435:
	v_mov_b32_e32 v27, 0
	ds_read_b64 v[27:28], v27 offset:19232
	ds_read_b64 v[29:30], v14
	s_waitcnt lgkmcnt(0)
	v_mul_f32_e32 v31, v29, v27
	v_mul_f32_e32 v29, v29, v28
	v_fmac_f32_e32 v29, v30, v27
	v_fma_f32 v27, v30, v28, -v31
	v_add_f32_e32 v10, v10, v27
	v_sub_f32_e32 v11, v11, v29
.LBB63_436:
	s_or_b64 exec, exec, s[14:15]
	s_barrier
	s_and_saveexec_b64 s[14:15], s[30:31]
; %bb.437:
	v_xor_b32_e32 v28, 0x80000000, v11
	v_xor_b32_e32 v27, 0x80000000, v10
	ds_write_b64 v14, v[27:28]
; %bb.438:
	s_or_b64 exec, exec, s[14:15]
	s_waitcnt lgkmcnt(0)
	s_barrier
	s_barrier
	s_and_saveexec_b64 s[14:15], s[2:3]
; %bb.439:
	v_lshlrev_b32_e32 v27, 3, v12
	v_lshl_or_b32 v27, v13, 9, v27
	ds_write_b64 v27, v[10:11] offset:19744
; %bb.440:
	s_or_b64 exec, exec, s[14:15]
	s_waitcnt lgkmcnt(0)
	s_barrier
	s_barrier
	s_and_saveexec_b64 s[14:15], s[36:37]
	s_cbranch_execz .LBB63_442
; %bb.441:
	v_lshlrev_b32_e32 v27, 3, v0
	s_movk_i32 s16, 0x1f8
	v_mad_u32_u24 v28, v0, s16, v27
	ds_read_b64 v[10:11], v28 offset:19744
	s_waitcnt lgkmcnt(0)
	ds_write_b64 v27, v[10:11] offset:18736
	ds_read_b64 v[10:11], v28 offset:19752
	s_waitcnt lgkmcnt(0)
	ds_write_b64 v27, v[10:11] offset:19248
.LBB63_442:
	s_or_b64 exec, exec, s[14:15]
	s_waitcnt lgkmcnt(0)
	s_barrier
	s_and_saveexec_b64 s[14:15], vcc
	s_cbranch_execz .LBB63_444
; %bb.443:
	v_mov_b32_e32 v29, 0
	ds_read_b64 v[10:11], v29 offset:19232
	s_mov_b64 s[16:17], 0x3f800000
	v_mov_b32_e32 v28, s17
	v_mov_b32_e32 v27, s16
	s_movk_i32 s16, 0x4800
	ds_write_b64 v29, v[27:28] offset:19240
	v_add_u32_e64 v29, s16, 0
	s_waitcnt lgkmcnt(1)
	ds_write2_b64 v29, v[27:28], v[10:11] offset0:36 offset1:37
.LBB63_444:
	s_or_b64 exec, exec, s[14:15]
	v_mov_b32_e32 v11, 0
	v_mov_b32_e32 v10, 0
	s_waitcnt lgkmcnt(0)
	s_barrier
	buffer_wbinvl1_vol
	s_and_saveexec_b64 s[16:17], s[18:19]
	s_cbranch_execz .LBB63_450
; %bb.445:
	v_lshlrev_b32_e32 v27, 3, v18
	v_lshlrev_b32_e32 v28, 9, v19
	ds_read_b64 v[10:11], v27 offset:18688
	ds_read_b64 v[29:30], v28 offset:18720
	v_cmp_gt_u32_e64 s[14:15], 12, v15
	s_waitcnt lgkmcnt(0)
	v_mul_f32_e32 v31, v30, v11
	v_mul_f32_e32 v11, v29, v11
	v_fma_f32 v29, v29, v10, -v31
	v_fmac_f32_e32 v11, v30, v10
	v_add_f32_e32 v10, 0, v29
	v_add_f32_e32 v11, 0, v11
	s_and_saveexec_b64 s[20:21], s[14:15]
	s_cbranch_execnz .LBB63_1083
; %bb.446:
	s_or_b64 exec, exec, s[20:21]
	v_cmp_gt_u32_e64 s[14:15], 8, v15
	s_and_saveexec_b64 s[20:21], s[14:15]
	s_cbranch_execnz .LBB63_1084
.LBB63_447:
	s_or_b64 exec, exec, s[20:21]
	v_cmp_gt_u32_e64 s[14:15], 4, v15
	s_and_saveexec_b64 s[20:21], s[14:15]
	s_cbranch_execz .LBB63_449
.LBB63_448:
	v_lshlrev_b32_e32 v27, 3, v0
	v_mov_b32_e32 v29, 0
	ds_read_b64 v[27:28], v27 offset:20224
	ds_read_b64 v[29:30], v29 offset:20280
	s_waitcnt lgkmcnt(0)
	v_mul_f32_e32 v31, v30, v28
	v_mul_f32_e32 v28, v29, v28
	v_fma_f32 v29, v29, v27, -v31
	v_fmac_f32_e32 v28, v30, v27
	v_add_f32_e32 v10, v10, v29
	v_add_f32_e32 v11, v11, v28
.LBB63_449:
	s_or_b64 exec, exec, s[20:21]
.LBB63_450:
	s_or_b64 exec, exec, s[16:17]
	s_and_saveexec_b64 s[14:15], s[40:41]
; %bb.451:
	v_xor_b32_e32 v27, 0x80000000, v10
	v_xor_b32_e32 v28, 0x80000000, v11
	ds_write_b64 v20, v[27:28]
; %bb.452:
	s_or_b64 exec, exec, s[14:15]
	s_waitcnt lgkmcnt(0)
	s_barrier
	s_and_saveexec_b64 s[14:15], s[42:43]
	s_cbranch_execz .LBB63_454
; %bb.453:
	v_lshlrev_b32_e32 v27, 3, v18
	ds_read_b64 v[27:28], v27 offset:18176
	ds_read_b64 v[29:30], v20
	s_waitcnt lgkmcnt(0)
	v_mul_f32_e32 v31, v30, v28
	v_mul_f32_e32 v28, v29, v28
	v_fma_f32 v29, v29, v27, -v31
	v_fmac_f32_e32 v28, v30, v27
	v_sub_f32_e32 v10, v10, v29
	v_sub_f32_e32 v11, v11, v28
.LBB63_454:
	s_or_b64 exec, exec, s[14:15]
	s_barrier
	s_and_saveexec_b64 s[14:15], s[44:45]
; %bb.455:
	v_xor_b32_e32 v27, 0x80000000, v10
	v_xor_b32_e32 v28, 0x80000000, v11
	ds_write_b64 v20, v[27:28]
; %bb.456:
	s_or_b64 exec, exec, s[14:15]
	s_waitcnt lgkmcnt(0)
	s_barrier
	s_and_saveexec_b64 s[14:15], s[46:47]
	s_cbranch_execz .LBB63_458
; %bb.457:
	v_lshlrev_b32_e32 v27, 3, v18
	ds_read_b64 v[27:28], v27 offset:17664
	ds_read_b64 v[29:30], v20
	s_waitcnt lgkmcnt(0)
	v_mul_f32_e32 v31, v30, v28
	v_mul_f32_e32 v28, v29, v28
	v_fma_f32 v29, v29, v27, -v31
	v_fmac_f32_e32 v28, v30, v27
	v_sub_f32_e32 v10, v10, v29
	v_sub_f32_e32 v11, v11, v28
.LBB63_458:
	s_or_b64 exec, exec, s[14:15]
	s_barrier
	s_and_saveexec_b64 s[14:15], s[48:49]
; %bb.459:
	v_xor_b32_e32 v27, 0x80000000, v10
	v_xor_b32_e32 v28, 0x80000000, v11
	ds_write_b64 v20, v[27:28]
; %bb.460:
	s_or_b64 exec, exec, s[14:15]
	s_waitcnt lgkmcnt(0)
	s_barrier
	s_and_saveexec_b64 s[14:15], s[38:39]
	s_cbranch_execz .LBB63_462
; %bb.461:
	v_mov_b32_e32 v27, 0
	ds_read_b64 v[27:28], v27 offset:17152
	ds_read_b64 v[29:30], v20
	s_waitcnt lgkmcnt(0)
	v_mul_f32_e32 v31, v30, v28
	v_mul_f32_e32 v28, v29, v28
	v_fma_f32 v29, v29, v27, -v31
	v_fmac_f32_e32 v28, v30, v27
	v_sub_f32_e32 v10, v10, v29
	v_sub_f32_e32 v11, v11, v28
.LBB63_462:
	s_or_b64 exec, exec, s[14:15]
	s_barrier
	s_and_saveexec_b64 s[14:15], s[38:39]
; %bb.463:
	v_xor_b32_e32 v27, 0x80000000, v10
	v_xor_b32_e32 v28, 0x80000000, v11
	ds_write_b64 v20, v[27:28]
; %bb.464:
	s_or_b64 exec, exec, s[14:15]
	s_waitcnt lgkmcnt(0)
	s_barrier
	s_barrier
	s_and_saveexec_b64 s[14:15], s[18:19]
; %bb.465:
	v_lshlrev_b32_e32 v27, 3, v18
	v_lshl_or_b32 v27, v19, 9, v27
	ds_write_b64 v27, v[10:11] offset:18688
; %bb.466:
	s_or_b64 exec, exec, s[14:15]
	s_waitcnt lgkmcnt(0)
	s_barrier
	s_barrier
	s_and_saveexec_b64 s[14:15], s[50:51]
	s_cbranch_execz .LBB63_468
; %bb.467:
	v_lshlrev_b32_e32 v27, 9, v0
	ds_read_b64 v[10:11], v27 offset:18688
	s_movk_i32 s16, 0xfe08
	v_mad_i32_i24 v28, v0, s16, v27
	s_waitcnt lgkmcnt(0)
	ds_write_b64 v28, v[10:11] offset:16672
	ds_read_b64 v[10:11], v27 offset:18696
	s_waitcnt lgkmcnt(0)
	ds_write_b64 v28, v[10:11] offset:17184
	ds_read_b64 v[10:11], v27 offset:18704
	;; [unrolled: 3-line block ×3, first 2 shown]
	s_waitcnt lgkmcnt(0)
	ds_write_b64 v28, v[10:11] offset:18208
.LBB63_468:
	s_or_b64 exec, exec, s[14:15]
	s_waitcnt lgkmcnt(0)
	s_barrier
	s_and_saveexec_b64 s[14:15], vcc
	s_cbranch_execz .LBB63_470
; %bb.469:
	v_mov_b32_e32 v29, 0
	ds_read_b64 v[10:11], v29 offset:18192
	s_mov_b64 s[16:17], 0x3f800000
	v_mov_b32_e32 v28, s17
	v_mov_b32_e32 v27, s16
	s_movk_i32 s16, 0x4000
	ds_write_b64 v29, v[27:28] offset:18200
	v_add_u32_e64 v29, s16, 0
	s_waitcnt lgkmcnt(1)
	ds_write2_b64 v29, v[27:28], v[10:11] offset0:162 offset1:163
.LBB63_470:
	s_or_b64 exec, exec, s[14:15]
	v_mov_b32_e32 v10, 0
	v_mov_b32_e32 v11, 0
	s_waitcnt lgkmcnt(0)
	s_barrier
	buffer_wbinvl1_vol
	s_and_saveexec_b64 s[16:17], s[2:3]
	s_cbranch_execz .LBB63_474
; %bb.471:
	v_lshlrev_b32_e32 v10, 3, v12
	v_lshlrev_b32_e32 v27, 9, v13
	ds_read_b64 v[10:11], v10 offset:17664
	ds_read_b64 v[27:28], v27 offset:17680
	v_cmp_gt_u32_e64 s[14:15], 2, v15
	s_waitcnt lgkmcnt(0)
	v_mul_f32_e32 v29, v28, v11
	v_mul_f32_e32 v11, v27, v11
	v_fma_f32 v27, v27, v10, -v29
	v_fmac_f32_e32 v11, v28, v10
	v_add_f32_e32 v10, 0, v27
	v_add_f32_e32 v11, 0, v11
	s_and_saveexec_b64 s[20:21], s[14:15]
	s_cbranch_execz .LBB63_473
; %bb.472:
	v_lshlrev_b32_e32 v27, 3, v0
	v_mov_b32_e32 v29, 0
	ds_read_b64 v[27:28], v27 offset:18176
	ds_read_b64 v[29:30], v29 offset:18200
	s_waitcnt lgkmcnt(0)
	v_mul_f32_e32 v31, v30, v28
	v_mul_f32_e32 v28, v29, v28
	v_fma_f32 v29, v29, v27, -v31
	v_fmac_f32_e32 v28, v30, v27
	v_add_f32_e32 v10, v10, v29
	v_add_f32_e32 v11, v11, v28
.LBB63_473:
	s_or_b64 exec, exec, s[20:21]
.LBB63_474:
	s_or_b64 exec, exec, s[16:17]
	s_and_saveexec_b64 s[14:15], s[34:35]
; %bb.475:
	v_xor_b32_e32 v28, 0x80000000, v11
	v_xor_b32_e32 v27, 0x80000000, v10
	ds_write_b64 v14, v[27:28]
; %bb.476:
	s_or_b64 exec, exec, s[14:15]
	s_waitcnt lgkmcnt(0)
	s_barrier
	s_and_saveexec_b64 s[14:15], s[30:31]
	s_cbranch_execz .LBB63_478
; %bb.477:
	v_mov_b32_e32 v27, 0
	ds_read_b64 v[27:28], v27 offset:17152
	ds_read_b64 v[29:30], v14
	s_waitcnt lgkmcnt(0)
	v_mul_f32_e32 v31, v29, v27
	v_mul_f32_e32 v29, v29, v28
	v_fmac_f32_e32 v29, v30, v27
	v_fma_f32 v27, v30, v28, -v31
	v_add_f32_e32 v10, v10, v27
	v_sub_f32_e32 v11, v11, v29
.LBB63_478:
	s_or_b64 exec, exec, s[14:15]
	s_barrier
	s_and_saveexec_b64 s[14:15], s[30:31]
; %bb.479:
	v_xor_b32_e32 v28, 0x80000000, v11
	v_xor_b32_e32 v27, 0x80000000, v10
	ds_write_b64 v14, v[27:28]
; %bb.480:
	s_or_b64 exec, exec, s[14:15]
	s_waitcnt lgkmcnt(0)
	s_barrier
	s_barrier
	s_and_saveexec_b64 s[14:15], s[2:3]
; %bb.481:
	v_lshlrev_b32_e32 v27, 3, v12
	v_lshl_or_b32 v27, v13, 9, v27
	ds_write_b64 v27, v[10:11] offset:17664
; %bb.482:
	s_or_b64 exec, exec, s[14:15]
	s_waitcnt lgkmcnt(0)
	s_barrier
	s_barrier
	s_and_saveexec_b64 s[14:15], s[36:37]
	s_cbranch_execz .LBB63_484
; %bb.483:
	v_lshlrev_b32_e32 v27, 3, v0
	s_movk_i32 s16, 0x1f8
	v_mad_u32_u24 v28, v0, s16, v27
	ds_read_b64 v[10:11], v28 offset:17664
	s_waitcnt lgkmcnt(0)
	ds_write_b64 v27, v[10:11] offset:16656
	ds_read_b64 v[10:11], v28 offset:17672
	s_waitcnt lgkmcnt(0)
	ds_write_b64 v27, v[10:11] offset:17168
.LBB63_484:
	s_or_b64 exec, exec, s[14:15]
	s_waitcnt lgkmcnt(0)
	s_barrier
	s_and_saveexec_b64 s[14:15], vcc
	s_cbranch_execz .LBB63_486
; %bb.485:
	v_mov_b32_e32 v29, 0
	ds_read_b64 v[10:11], v29 offset:17152
	s_mov_b64 s[16:17], 0x3f800000
	v_mov_b32_e32 v28, s17
	v_mov_b32_e32 v27, s16
	s_movk_i32 s16, 0x4000
	ds_write_b64 v29, v[27:28] offset:17160
	v_add_u32_e64 v29, s16, 0
	s_waitcnt lgkmcnt(1)
	ds_write2_b64 v29, v[27:28], v[10:11] offset0:32 offset1:33
.LBB63_486:
	s_or_b64 exec, exec, s[14:15]
	s_movk_i32 s14, 0x3ff
	v_lshrrev_b32_e32 v29, 5, v15
	v_cmp_lt_u32_e64 s[16:17], s14, v15
	s_movk_i32 s14, 0x400
	v_and_b32_e32 v27, 31, v0
	v_sub_u32_e32 v28, 31, v29
	v_cmp_gt_u32_e64 s[14:15], s14, v15
	v_mov_b32_e32 v11, 0
	v_mov_b32_e32 v10, 0
	s_waitcnt lgkmcnt(0)
	s_barrier
	buffer_wbinvl1_vol
	s_and_saveexec_b64 s[94:95], s[14:15]
	s_cbranch_execz .LBB63_548
; %bb.487:
	v_lshlrev_b32_e32 v30, 3, v27
	v_lshlrev_b32_e32 v31, 9, v28
	ds_read_b64 v[10:11], v30 offset:16384
	ds_read_b64 v[32:33], v31 offset:16640
	s_movk_i32 s20, 0x3e0
	v_cmp_gt_u32_e64 s[20:21], s20, v15
	s_waitcnt lgkmcnt(0)
	v_mul_f32_e32 v34, v33, v11
	v_mul_f32_e32 v11, v32, v11
	v_fma_f32 v32, v32, v10, -v34
	v_fmac_f32_e32 v11, v33, v10
	v_add_f32_e32 v10, 0, v32
	v_add_f32_e32 v11, 0, v11
	s_and_saveexec_b64 s[84:85], s[20:21]
	s_cbranch_execz .LBB63_489
; %bb.488:
	ds_read_b64 v[32:33], v30 offset:16896
	ds_read_b64 v[34:35], v31 offset:16648
	s_waitcnt lgkmcnt(0)
	v_mul_f32_e32 v36, v35, v33
	v_mul_f32_e32 v33, v34, v33
	v_fma_f32 v34, v34, v32, -v36
	v_fmac_f32_e32 v33, v35, v32
	v_add_f32_e32 v10, v10, v34
	v_add_f32_e32 v11, v11, v33
.LBB63_489:
	s_or_b64 exec, exec, s[84:85]
	s_movk_i32 s20, 0x3c0
	v_cmp_gt_u32_e64 s[20:21], s20, v15
	s_and_saveexec_b64 s[84:85], s[20:21]
	s_cbranch_execz .LBB63_491
; %bb.490:
	ds_read_b64 v[32:33], v30 offset:17408
	ds_read_b64 v[34:35], v31 offset:16656
	s_waitcnt lgkmcnt(0)
	v_mul_f32_e32 v36, v35, v33
	v_mul_f32_e32 v33, v34, v33
	v_fma_f32 v34, v34, v32, -v36
	v_fmac_f32_e32 v33, v35, v32
	v_add_f32_e32 v10, v10, v34
	v_add_f32_e32 v11, v11, v33
.LBB63_491:
	s_or_b64 exec, exec, s[84:85]
	s_movk_i32 s20, 0x3a0
	v_cmp_gt_u32_e64 s[20:21], s20, v15
	;; [unrolled: 16-line block ×22, first 2 shown]
	s_and_saveexec_b64 s[84:85], s[20:21]
	s_cbranch_execz .LBB63_533
; %bb.532:
	ds_read_b64 v[32:33], v30 offset:28160
	ds_read_b64 v[34:35], v31 offset:16824
	s_waitcnt lgkmcnt(0)
	v_mul_f32_e32 v36, v35, v33
	v_mul_f32_e32 v33, v34, v33
	v_fma_f32 v34, v34, v32, -v36
	v_fmac_f32_e32 v33, v35, v32
	v_add_f32_e32 v10, v10, v34
	v_add_f32_e32 v11, v11, v33
.LBB63_533:
	s_or_b64 exec, exec, s[84:85]
	s_and_saveexec_b64 s[20:21], s[10:11]
	s_cbranch_execz .LBB63_535
; %bb.534:
	ds_read_b64 v[32:33], v30 offset:28672
	ds_read_b64 v[34:35], v31 offset:16832
	s_waitcnt lgkmcnt(0)
	v_mul_f32_e32 v36, v35, v33
	v_mul_f32_e32 v33, v34, v33
	v_fma_f32 v34, v34, v32, -v36
	v_fmac_f32_e32 v33, v35, v32
	v_add_f32_e32 v10, v10, v34
	v_add_f32_e32 v11, v11, v33
.LBB63_535:
	s_or_b64 exec, exec, s[20:21]
	s_movk_i32 s20, 0xe0
	v_cmp_gt_u32_e64 s[20:21], s20, v15
	s_and_saveexec_b64 s[84:85], s[20:21]
	s_cbranch_execz .LBB63_537
; %bb.536:
	ds_read_b64 v[32:33], v30 offset:29184
	ds_read_b64 v[34:35], v31 offset:16840
	s_waitcnt lgkmcnt(0)
	v_mul_f32_e32 v36, v35, v33
	v_mul_f32_e32 v33, v34, v33
	v_fma_f32 v34, v34, v32, -v36
	v_fmac_f32_e32 v33, v35, v32
	v_add_f32_e32 v10, v10, v34
	v_add_f32_e32 v11, v11, v33
.LBB63_537:
	s_or_b64 exec, exec, s[84:85]
	s_movk_i32 s20, 0xc0
	v_cmp_gt_u32_e64 s[20:21], s20, v15
	;; [unrolled: 16-line block ×5, first 2 shown]
	s_and_saveexec_b64 s[84:85], s[20:21]
	s_cbranch_execnz .LBB63_1085
; %bb.544:
	s_or_b64 exec, exec, s[84:85]
	s_and_saveexec_b64 s[20:21], s[8:9]
	s_cbranch_execnz .LBB63_1086
.LBB63_545:
	s_or_b64 exec, exec, s[20:21]
	v_cmp_gt_u32_e64 s[20:21], 32, v15
	s_and_saveexec_b64 s[84:85], s[20:21]
	s_cbranch_execz .LBB63_547
.LBB63_546:
	ds_read_b64 v[32:33], v30 offset:32256
	ds_read_b64 v[30:31], v31 offset:16888
	s_waitcnt lgkmcnt(0)
	v_mul_f32_e32 v34, v31, v33
	v_mul_f32_e32 v33, v30, v33
	v_fma_f32 v30, v30, v32, -v34
	v_fmac_f32_e32 v33, v31, v32
	v_add_f32_e32 v10, v10, v30
	v_add_f32_e32 v11, v11, v33
.LBB63_547:
	s_or_b64 exec, exec, s[84:85]
.LBB63_548:
	s_or_b64 exec, exec, s[94:95]
	v_mov_b32_e32 v30, 0x8000
	v_lshl_add_u32 v29, v29, 3, v30
	v_mov_b32_e32 v30, 0x3c00
	v_lshl_or_b32 v30, v27, 3, v30
	s_mov_b32 s84, 31
	v_subrev_u32_e32 v31, 31, v27
	s_xor_b64 s[20:21], s[16:17], -1
	s_branch .LBB63_550
.LBB63_549:                             ;   in Loop: Header=BB63_550 Depth=1
	s_or_b64 exec, exec, s[16:17]
	s_add_i32 s84, s84, -2
	v_add_u32_e32 v30, 0xfffffc00, v30
	s_cmp_eq_u32 s85, 0
	v_add_u32_e32 v31, 2, v31
	s_barrier
	s_cbranch_scc1 .LBB63_558
.LBB63_550:                             ; =>This Inner Loop Header: Depth=1
	v_cmp_eq_u32_e64 s[16:17], 0, v31
	s_and_b64 s[94:95], s[20:21], s[16:17]
	s_and_saveexec_b64 s[16:17], s[94:95]
; %bb.551:                              ;   in Loop: Header=BB63_550 Depth=1
	v_xor_b32_e32 v33, 0x80000000, v11
	v_xor_b32_e32 v32, 0x80000000, v10
	ds_write_b64 v29, v[32:33]
; %bb.552:                              ;   in Loop: Header=BB63_550 Depth=1
	s_or_b64 exec, exec, s[16:17]
	v_cmp_gt_u32_e64 s[16:17], s84, v27
	s_and_b64 s[94:95], s[20:21], s[16:17]
	s_waitcnt lgkmcnt(0)
	s_barrier
	s_and_saveexec_b64 s[16:17], s[94:95]
	s_cbranch_execz .LBB63_554
; %bb.553:                              ;   in Loop: Header=BB63_550 Depth=1
	ds_read_b64 v[32:33], v30 offset:512
	ds_read_b64 v[34:35], v29
	s_waitcnt lgkmcnt(0)
	v_mul_f32_e32 v36, v35, v33
	v_mul_f32_e32 v33, v34, v33
	v_fma_f32 v34, v34, v32, -v36
	v_fmac_f32_e32 v33, v35, v32
	v_sub_f32_e32 v10, v10, v34
	v_sub_f32_e32 v11, v11, v33
.LBB63_554:                             ;   in Loop: Header=BB63_550 Depth=1
	s_or_b64 exec, exec, s[16:17]
	s_add_i32 s85, s84, -1
	v_cmp_eq_u32_e64 s[16:17], s85, v27
	s_and_b64 s[94:95], s[20:21], s[16:17]
	s_barrier
	s_and_saveexec_b64 s[16:17], s[94:95]
; %bb.555:                              ;   in Loop: Header=BB63_550 Depth=1
	v_xor_b32_e32 v33, 0x80000000, v11
	v_xor_b32_e32 v32, 0x80000000, v10
	ds_write_b64 v29, v[32:33]
; %bb.556:                              ;   in Loop: Header=BB63_550 Depth=1
	s_or_b64 exec, exec, s[16:17]
	v_cmp_gt_u32_e64 s[16:17], s85, v27
	s_and_b64 s[94:95], s[20:21], s[16:17]
	s_waitcnt lgkmcnt(0)
	s_barrier
	s_and_saveexec_b64 s[16:17], s[94:95]
	s_cbranch_execz .LBB63_549
; %bb.557:                              ;   in Loop: Header=BB63_550 Depth=1
	ds_read_b64 v[32:33], v30
	ds_read_b64 v[34:35], v29
	s_waitcnt lgkmcnt(0)
	v_mul_f32_e32 v36, v35, v33
	v_mul_f32_e32 v33, v34, v33
	v_fma_f32 v34, v34, v32, -v36
	v_fmac_f32_e32 v33, v35, v32
	v_sub_f32_e32 v10, v10, v34
	v_sub_f32_e32 v11, v11, v33
	s_branch .LBB63_549
.LBB63_558:
	s_and_saveexec_b64 s[16:17], s[14:15]
; %bb.559:
	v_lshlrev_b32_e32 v27, 3, v27
	v_lshl_or_b32 v27, v28, 9, v27
	ds_write_b64 v27, v[10:11] offset:16384
; %bb.560:
	s_or_b64 exec, exec, s[16:17]
	v_cmp_gt_u32_e64 s[14:15], 32, v0
	s_and_b64 s[14:15], s[12:13], s[14:15]
	s_waitcnt lgkmcnt(0)
	s_barrier
	s_barrier
	s_and_saveexec_b64 s[12:13], s[14:15]
	s_cbranch_execz .LBB63_562
; %bb.561:
	v_lshlrev_b32_e32 v27, 9, v0
	ds_read_b64 v[10:11], v27 offset:16384
	s_movk_i32 s14, 0xfe08
	v_mad_i32_i24 v28, v0, s14, v27
	s_waitcnt lgkmcnt(0)
	ds_write_b64 v28, v[10:11] offset:256
	ds_read_b64 v[10:11], v27 offset:16392
	s_waitcnt lgkmcnt(0)
	ds_write_b64 v28, v[10:11] offset:768
	ds_read_b64 v[10:11], v27 offset:16400
	;; [unrolled: 3-line block ×31, first 2 shown]
	s_waitcnt lgkmcnt(0)
	ds_write_b64 v28, v[10:11] offset:16128
.LBB63_562:
	s_or_b64 exec, exec, s[12:13]
	s_waitcnt lgkmcnt(0)
	s_barrier
	s_and_saveexec_b64 s[12:13], vcc
	s_cbranch_execz .LBB63_564
; %bb.563:
	v_mov_b32_e32 v29, 0
	ds_read_b64 v[10:11], v29 offset:16112
	s_mov_b64 s[14:15], 0x3f800000
	v_mov_b32_e32 v28, s15
	v_mov_b32_e32 v27, s14
	s_movk_i32 s14, 0x3800
	ds_write_b64 v29, v[27:28] offset:16120
	v_add_u32_e64 v29, s14, 0
	s_waitcnt lgkmcnt(1)
	ds_write2_b64 v29, v[27:28], v[10:11] offset0:158 offset1:159
.LBB63_564:
	s_or_b64 exec, exec, s[12:13]
	v_mov_b32_e32 v10, 0
	v_mov_b32_e32 v11, 0
	s_waitcnt lgkmcnt(0)
	s_barrier
	buffer_wbinvl1_vol
	s_and_saveexec_b64 s[14:15], s[2:3]
	s_cbranch_execz .LBB63_568
; %bb.565:
	v_lshlrev_b32_e32 v10, 3, v12
	v_lshlrev_b32_e32 v27, 9, v13
	ds_read_b64 v[10:11], v10 offset:15584
	ds_read_b64 v[27:28], v27 offset:15600
	v_cmp_gt_u32_e64 s[12:13], 2, v15
	s_waitcnt lgkmcnt(0)
	v_mul_f32_e32 v29, v28, v11
	v_mul_f32_e32 v11, v27, v11
	v_fma_f32 v27, v27, v10, -v29
	v_fmac_f32_e32 v11, v28, v10
	v_add_f32_e32 v10, 0, v27
	v_add_f32_e32 v11, 0, v11
	s_and_saveexec_b64 s[16:17], s[12:13]
	s_cbranch_execz .LBB63_567
; %bb.566:
	v_lshlrev_b32_e32 v27, 3, v0
	v_mov_b32_e32 v29, 0
	ds_read_b64 v[27:28], v27 offset:16096
	ds_read_b64 v[29:30], v29 offset:16120
	s_waitcnt lgkmcnt(0)
	v_mul_f32_e32 v31, v30, v28
	v_mul_f32_e32 v28, v29, v28
	v_fma_f32 v29, v29, v27, -v31
	v_fmac_f32_e32 v28, v30, v27
	v_add_f32_e32 v10, v10, v29
	v_add_f32_e32 v11, v11, v28
.LBB63_567:
	s_or_b64 exec, exec, s[16:17]
.LBB63_568:
	s_or_b64 exec, exec, s[14:15]
	s_and_saveexec_b64 s[12:13], s[34:35]
; %bb.569:
	v_xor_b32_e32 v28, 0x80000000, v11
	v_xor_b32_e32 v27, 0x80000000, v10
	ds_write_b64 v14, v[27:28]
; %bb.570:
	s_or_b64 exec, exec, s[12:13]
	s_waitcnt lgkmcnt(0)
	s_barrier
	s_and_saveexec_b64 s[12:13], s[30:31]
	s_cbranch_execz .LBB63_572
; %bb.571:
	v_mov_b32_e32 v27, 0
	ds_read_b64 v[27:28], v27 offset:15072
	ds_read_b64 v[29:30], v14
	s_waitcnt lgkmcnt(0)
	v_mul_f32_e32 v31, v29, v27
	v_mul_f32_e32 v29, v29, v28
	v_fmac_f32_e32 v29, v30, v27
	v_fma_f32 v27, v30, v28, -v31
	v_add_f32_e32 v10, v10, v27
	v_sub_f32_e32 v11, v11, v29
.LBB63_572:
	s_or_b64 exec, exec, s[12:13]
	s_barrier
	s_and_saveexec_b64 s[12:13], s[30:31]
; %bb.573:
	v_xor_b32_e32 v28, 0x80000000, v11
	v_xor_b32_e32 v27, 0x80000000, v10
	ds_write_b64 v14, v[27:28]
; %bb.574:
	s_or_b64 exec, exec, s[12:13]
	s_waitcnt lgkmcnt(0)
	s_barrier
	s_barrier
	s_and_saveexec_b64 s[12:13], s[2:3]
; %bb.575:
	v_lshlrev_b32_e32 v27, 3, v12
	v_lshl_or_b32 v27, v13, 9, v27
	ds_write_b64 v27, v[10:11] offset:15584
; %bb.576:
	s_or_b64 exec, exec, s[12:13]
	s_waitcnt lgkmcnt(0)
	s_barrier
	s_barrier
	s_and_saveexec_b64 s[12:13], s[36:37]
	s_cbranch_execz .LBB63_578
; %bb.577:
	v_lshlrev_b32_e32 v27, 3, v0
	s_movk_i32 s14, 0x1f8
	v_mad_u32_u24 v28, v0, s14, v27
	ds_read_b64 v[10:11], v28 offset:15584
	s_waitcnt lgkmcnt(0)
	ds_write_b64 v27, v[10:11] offset:14576
	ds_read_b64 v[10:11], v28 offset:15592
	s_waitcnt lgkmcnt(0)
	ds_write_b64 v27, v[10:11] offset:15088
.LBB63_578:
	s_or_b64 exec, exec, s[12:13]
	s_waitcnt lgkmcnt(0)
	s_barrier
	s_and_saveexec_b64 s[12:13], vcc
	s_cbranch_execz .LBB63_580
; %bb.579:
	v_mov_b32_e32 v29, 0
	ds_read_b64 v[10:11], v29 offset:15072
	s_mov_b64 s[14:15], 0x3f800000
	v_mov_b32_e32 v28, s15
	v_mov_b32_e32 v27, s14
	s_movk_i32 s14, 0x3800
	ds_write_b64 v29, v[27:28] offset:15080
	v_add_u32_e64 v29, s14, 0
	s_waitcnt lgkmcnt(1)
	ds_write2_b64 v29, v[27:28], v[10:11] offset0:28 offset1:29
.LBB63_580:
	s_or_b64 exec, exec, s[12:13]
	v_mov_b32_e32 v11, 0
	v_mov_b32_e32 v10, 0
	s_waitcnt lgkmcnt(0)
	s_barrier
	buffer_wbinvl1_vol
	s_and_saveexec_b64 s[14:15], s[18:19]
	s_cbranch_execz .LBB63_586
; %bb.581:
	v_lshlrev_b32_e32 v27, 3, v18
	v_lshlrev_b32_e32 v28, 9, v19
	ds_read_b64 v[10:11], v27 offset:14528
	ds_read_b64 v[29:30], v28 offset:14560
	v_cmp_gt_u32_e64 s[12:13], 12, v15
	s_waitcnt lgkmcnt(0)
	v_mul_f32_e32 v31, v30, v11
	v_mul_f32_e32 v11, v29, v11
	v_fma_f32 v29, v29, v10, -v31
	v_fmac_f32_e32 v11, v30, v10
	v_add_f32_e32 v10, 0, v29
	v_add_f32_e32 v11, 0, v11
	s_and_saveexec_b64 s[16:17], s[12:13]
	s_cbranch_execnz .LBB63_1087
; %bb.582:
	s_or_b64 exec, exec, s[16:17]
	v_cmp_gt_u32_e64 s[12:13], 8, v15
	s_and_saveexec_b64 s[16:17], s[12:13]
	s_cbranch_execnz .LBB63_1088
.LBB63_583:
	s_or_b64 exec, exec, s[16:17]
	v_cmp_gt_u32_e64 s[12:13], 4, v15
	s_and_saveexec_b64 s[16:17], s[12:13]
	s_cbranch_execz .LBB63_585
.LBB63_584:
	v_lshlrev_b32_e32 v27, 3, v0
	v_mov_b32_e32 v29, 0
	ds_read_b64 v[27:28], v27 offset:16064
	ds_read_b64 v[29:30], v29 offset:16120
	s_waitcnt lgkmcnt(0)
	v_mul_f32_e32 v31, v30, v28
	v_mul_f32_e32 v28, v29, v28
	v_fma_f32 v29, v29, v27, -v31
	v_fmac_f32_e32 v28, v30, v27
	v_add_f32_e32 v10, v10, v29
	v_add_f32_e32 v11, v11, v28
.LBB63_585:
	s_or_b64 exec, exec, s[16:17]
.LBB63_586:
	s_or_b64 exec, exec, s[14:15]
	s_and_saveexec_b64 s[12:13], s[40:41]
; %bb.587:
	v_xor_b32_e32 v27, 0x80000000, v10
	v_xor_b32_e32 v28, 0x80000000, v11
	ds_write_b64 v20, v[27:28]
; %bb.588:
	s_or_b64 exec, exec, s[12:13]
	s_waitcnt lgkmcnt(0)
	s_barrier
	s_and_saveexec_b64 s[12:13], s[42:43]
	s_cbranch_execz .LBB63_590
; %bb.589:
	v_lshlrev_b32_e32 v27, 3, v18
	ds_read_b64 v[27:28], v27 offset:14016
	ds_read_b64 v[29:30], v20
	s_waitcnt lgkmcnt(0)
	v_mul_f32_e32 v31, v30, v28
	v_mul_f32_e32 v28, v29, v28
	v_fma_f32 v29, v29, v27, -v31
	v_fmac_f32_e32 v28, v30, v27
	v_sub_f32_e32 v10, v10, v29
	v_sub_f32_e32 v11, v11, v28
.LBB63_590:
	s_or_b64 exec, exec, s[12:13]
	s_barrier
	s_and_saveexec_b64 s[12:13], s[44:45]
; %bb.591:
	v_xor_b32_e32 v27, 0x80000000, v10
	v_xor_b32_e32 v28, 0x80000000, v11
	ds_write_b64 v20, v[27:28]
; %bb.592:
	s_or_b64 exec, exec, s[12:13]
	s_waitcnt lgkmcnt(0)
	s_barrier
	s_and_saveexec_b64 s[12:13], s[46:47]
	s_cbranch_execz .LBB63_594
; %bb.593:
	v_lshlrev_b32_e32 v27, 3, v18
	ds_read_b64 v[27:28], v27 offset:13504
	ds_read_b64 v[29:30], v20
	s_waitcnt lgkmcnt(0)
	v_mul_f32_e32 v31, v30, v28
	v_mul_f32_e32 v28, v29, v28
	v_fma_f32 v29, v29, v27, -v31
	v_fmac_f32_e32 v28, v30, v27
	v_sub_f32_e32 v10, v10, v29
	v_sub_f32_e32 v11, v11, v28
.LBB63_594:
	s_or_b64 exec, exec, s[12:13]
	s_barrier
	s_and_saveexec_b64 s[12:13], s[48:49]
; %bb.595:
	v_xor_b32_e32 v27, 0x80000000, v10
	v_xor_b32_e32 v28, 0x80000000, v11
	ds_write_b64 v20, v[27:28]
; %bb.596:
	s_or_b64 exec, exec, s[12:13]
	s_waitcnt lgkmcnt(0)
	s_barrier
	s_and_saveexec_b64 s[12:13], s[38:39]
	s_cbranch_execz .LBB63_598
; %bb.597:
	v_mov_b32_e32 v27, 0
	ds_read_b64 v[27:28], v27 offset:12992
	ds_read_b64 v[29:30], v20
	s_waitcnt lgkmcnt(0)
	v_mul_f32_e32 v31, v30, v28
	v_mul_f32_e32 v28, v29, v28
	v_fma_f32 v29, v29, v27, -v31
	v_fmac_f32_e32 v28, v30, v27
	v_sub_f32_e32 v10, v10, v29
	v_sub_f32_e32 v11, v11, v28
.LBB63_598:
	s_or_b64 exec, exec, s[12:13]
	s_barrier
	s_and_saveexec_b64 s[12:13], s[38:39]
; %bb.599:
	v_xor_b32_e32 v27, 0x80000000, v10
	v_xor_b32_e32 v28, 0x80000000, v11
	ds_write_b64 v20, v[27:28]
; %bb.600:
	s_or_b64 exec, exec, s[12:13]
	s_waitcnt lgkmcnt(0)
	s_barrier
	s_barrier
	s_and_saveexec_b64 s[12:13], s[18:19]
; %bb.601:
	v_lshlrev_b32_e32 v27, 3, v18
	v_lshl_or_b32 v27, v19, 9, v27
	ds_write_b64 v27, v[10:11] offset:14528
; %bb.602:
	s_or_b64 exec, exec, s[12:13]
	s_waitcnt lgkmcnt(0)
	s_barrier
	s_barrier
	s_and_saveexec_b64 s[12:13], s[50:51]
	s_cbranch_execz .LBB63_604
; %bb.603:
	v_lshlrev_b32_e32 v27, 9, v0
	ds_read_b64 v[10:11], v27 offset:14528
	s_movk_i32 s14, 0xfe08
	v_mad_i32_i24 v28, v0, s14, v27
	s_waitcnt lgkmcnt(0)
	ds_write_b64 v28, v[10:11] offset:12512
	ds_read_b64 v[10:11], v27 offset:14536
	s_waitcnt lgkmcnt(0)
	ds_write_b64 v28, v[10:11] offset:13024
	ds_read_b64 v[10:11], v27 offset:14544
	s_waitcnt lgkmcnt(0)
	ds_write_b64 v28, v[10:11] offset:13536
	ds_read_b64 v[10:11], v27 offset:14552
	s_waitcnt lgkmcnt(0)
	ds_write_b64 v28, v[10:11] offset:14048
.LBB63_604:
	s_or_b64 exec, exec, s[12:13]
	s_waitcnt lgkmcnt(0)
	s_barrier
	s_and_saveexec_b64 s[12:13], vcc
	s_cbranch_execz .LBB63_606
; %bb.605:
	v_mov_b32_e32 v29, 0
	ds_read_b64 v[10:11], v29 offset:14032
	s_mov_b64 s[14:15], 0x3f800000
	v_mov_b32_e32 v28, s15
	v_mov_b32_e32 v27, s14
	s_movk_i32 s14, 0x3000
	ds_write_b64 v29, v[27:28] offset:14040
	v_add_u32_e64 v29, s14, 0
	s_waitcnt lgkmcnt(1)
	ds_write2_b64 v29, v[27:28], v[10:11] offset0:154 offset1:155
.LBB63_606:
	s_or_b64 exec, exec, s[12:13]
	v_mov_b32_e32 v10, 0
	v_mov_b32_e32 v11, 0
	s_waitcnt lgkmcnt(0)
	s_barrier
	buffer_wbinvl1_vol
	s_and_saveexec_b64 s[14:15], s[2:3]
	s_cbranch_execz .LBB63_610
; %bb.607:
	v_lshlrev_b32_e32 v10, 3, v12
	v_lshlrev_b32_e32 v27, 9, v13
	ds_read_b64 v[10:11], v10 offset:13504
	ds_read_b64 v[27:28], v27 offset:13520
	v_cmp_gt_u32_e64 s[12:13], 2, v15
	s_waitcnt lgkmcnt(0)
	v_mul_f32_e32 v29, v28, v11
	v_mul_f32_e32 v11, v27, v11
	v_fma_f32 v27, v27, v10, -v29
	v_fmac_f32_e32 v11, v28, v10
	v_add_f32_e32 v10, 0, v27
	v_add_f32_e32 v11, 0, v11
	s_and_saveexec_b64 s[16:17], s[12:13]
	s_cbranch_execz .LBB63_609
; %bb.608:
	v_lshlrev_b32_e32 v27, 3, v0
	v_mov_b32_e32 v29, 0
	ds_read_b64 v[27:28], v27 offset:14016
	ds_read_b64 v[29:30], v29 offset:14040
	s_waitcnt lgkmcnt(0)
	v_mul_f32_e32 v31, v30, v28
	v_mul_f32_e32 v28, v29, v28
	v_fma_f32 v29, v29, v27, -v31
	v_fmac_f32_e32 v28, v30, v27
	v_add_f32_e32 v10, v10, v29
	v_add_f32_e32 v11, v11, v28
.LBB63_609:
	s_or_b64 exec, exec, s[16:17]
.LBB63_610:
	s_or_b64 exec, exec, s[14:15]
	s_and_saveexec_b64 s[12:13], s[34:35]
; %bb.611:
	v_xor_b32_e32 v28, 0x80000000, v11
	v_xor_b32_e32 v27, 0x80000000, v10
	ds_write_b64 v14, v[27:28]
; %bb.612:
	s_or_b64 exec, exec, s[12:13]
	s_waitcnt lgkmcnt(0)
	s_barrier
	s_and_saveexec_b64 s[12:13], s[30:31]
	s_cbranch_execz .LBB63_614
; %bb.613:
	v_mov_b32_e32 v27, 0
	ds_read_b64 v[27:28], v27 offset:12992
	ds_read_b64 v[29:30], v14
	s_waitcnt lgkmcnt(0)
	v_mul_f32_e32 v31, v29, v27
	v_mul_f32_e32 v29, v29, v28
	v_fmac_f32_e32 v29, v30, v27
	v_fma_f32 v27, v30, v28, -v31
	v_add_f32_e32 v10, v10, v27
	v_sub_f32_e32 v11, v11, v29
.LBB63_614:
	s_or_b64 exec, exec, s[12:13]
	s_barrier
	s_and_saveexec_b64 s[12:13], s[30:31]
; %bb.615:
	v_xor_b32_e32 v28, 0x80000000, v11
	v_xor_b32_e32 v27, 0x80000000, v10
	ds_write_b64 v14, v[27:28]
; %bb.616:
	s_or_b64 exec, exec, s[12:13]
	s_waitcnt lgkmcnt(0)
	s_barrier
	s_barrier
	s_and_saveexec_b64 s[12:13], s[2:3]
; %bb.617:
	v_lshlrev_b32_e32 v27, 3, v12
	v_lshl_or_b32 v27, v13, 9, v27
	ds_write_b64 v27, v[10:11] offset:13504
; %bb.618:
	s_or_b64 exec, exec, s[12:13]
	s_waitcnt lgkmcnt(0)
	s_barrier
	s_barrier
	s_and_saveexec_b64 s[12:13], s[36:37]
	s_cbranch_execz .LBB63_620
; %bb.619:
	v_lshlrev_b32_e32 v27, 3, v0
	s_movk_i32 s14, 0x1f8
	v_mad_u32_u24 v28, v0, s14, v27
	ds_read_b64 v[10:11], v28 offset:13504
	s_waitcnt lgkmcnt(0)
	ds_write_b64 v27, v[10:11] offset:12496
	ds_read_b64 v[10:11], v28 offset:13512
	s_waitcnt lgkmcnt(0)
	ds_write_b64 v27, v[10:11] offset:13008
.LBB63_620:
	s_or_b64 exec, exec, s[12:13]
	s_waitcnt lgkmcnt(0)
	s_barrier
	s_and_saveexec_b64 s[12:13], vcc
	s_cbranch_execz .LBB63_622
; %bb.621:
	v_mov_b32_e32 v29, 0
	ds_read_b64 v[10:11], v29 offset:12992
	s_mov_b64 s[14:15], 0x3f800000
	v_mov_b32_e32 v28, s15
	v_mov_b32_e32 v27, s14
	s_movk_i32 s14, 0x3000
	ds_write_b64 v29, v[27:28] offset:13000
	v_add_u32_e64 v29, s14, 0
	s_waitcnt lgkmcnt(1)
	ds_write2_b64 v29, v[27:28], v[10:11] offset0:24 offset1:25
.LBB63_622:
	s_or_b64 exec, exec, s[12:13]
	v_mov_b32_e32 v11, 0
	v_mov_b32_e32 v10, 0
	s_waitcnt lgkmcnt(0)
	s_barrier
	buffer_wbinvl1_vol
	s_and_saveexec_b64 s[14:15], s[8:9]
	s_cbranch_execz .LBB63_632
; %bb.623:
	v_lshlrev_b32_e32 v27, 3, v21
	v_lshlrev_b32_e32 v28, 9, v22
	ds_read_b64 v[10:11], v27 offset:12416
	ds_read_b64 v[29:30], v28 offset:12480
	v_cmp_gt_u32_e64 s[12:13], 56, v15
	s_waitcnt lgkmcnt(0)
	v_mul_f32_e32 v31, v30, v11
	v_mul_f32_e32 v11, v29, v11
	v_fma_f32 v29, v29, v10, -v31
	v_fmac_f32_e32 v11, v30, v10
	v_add_f32_e32 v10, 0, v29
	v_add_f32_e32 v11, 0, v11
	s_and_saveexec_b64 s[16:17], s[12:13]
	s_cbranch_execnz .LBB63_1089
; %bb.624:
	s_or_b64 exec, exec, s[16:17]
	v_cmp_gt_u32_e64 s[12:13], 48, v15
	s_and_saveexec_b64 s[16:17], s[12:13]
	s_cbranch_execnz .LBB63_1090
.LBB63_625:
	s_or_b64 exec, exec, s[16:17]
	v_cmp_gt_u32_e64 s[12:13], 40, v15
	s_and_saveexec_b64 s[16:17], s[12:13]
	s_cbranch_execnz .LBB63_1091
.LBB63_626:
	s_or_b64 exec, exec, s[16:17]
	v_cmp_gt_u32_e64 s[12:13], 32, v15
	s_and_saveexec_b64 s[16:17], s[12:13]
	s_cbranch_execnz .LBB63_1092
.LBB63_627:
	s_or_b64 exec, exec, s[16:17]
	v_cmp_gt_u32_e64 s[12:13], 24, v15
	s_and_saveexec_b64 s[16:17], s[12:13]
	s_cbranch_execnz .LBB63_1093
.LBB63_628:
	s_or_b64 exec, exec, s[16:17]
	s_and_saveexec_b64 s[12:13], s[18:19]
	s_cbranch_execnz .LBB63_1094
.LBB63_629:
	s_or_b64 exec, exec, s[12:13]
	v_cmp_gt_u32_e64 s[12:13], 8, v15
	s_and_saveexec_b64 s[16:17], s[12:13]
	s_cbranch_execz .LBB63_631
.LBB63_630:
	v_lshlrev_b32_e32 v27, 3, v0
	v_mov_b32_e32 v29, 0
	ds_read_b64 v[27:28], v27 offset:16000
	ds_read_b64 v[29:30], v29 offset:16120
	s_waitcnt lgkmcnt(0)
	v_mul_f32_e32 v31, v30, v28
	v_mul_f32_e32 v28, v29, v28
	v_fma_f32 v29, v29, v27, -v31
	v_fmac_f32_e32 v28, v30, v27
	v_add_f32_e32 v10, v10, v29
	v_add_f32_e32 v11, v11, v28
.LBB63_631:
	s_or_b64 exec, exec, s[16:17]
.LBB63_632:
	s_or_b64 exec, exec, s[14:15]
	s_and_saveexec_b64 s[12:13], s[54:55]
; %bb.633:
	v_xor_b32_e32 v28, 0x80000000, v11
	v_xor_b32_e32 v27, 0x80000000, v10
	ds_write_b64 v23, v[27:28]
; %bb.634:
	s_or_b64 exec, exec, s[12:13]
	s_waitcnt lgkmcnt(0)
	s_barrier
	s_and_saveexec_b64 s[12:13], s[56:57]
	s_cbranch_execz .LBB63_636
; %bb.635:
	v_lshlrev_b32_e32 v27, 3, v21
	ds_read_b64 v[27:28], v27 offset:11904
	ds_read_b64 v[29:30], v23
	s_waitcnt lgkmcnt(0)
	v_mul_f32_e32 v31, v30, v28
	v_mul_f32_e32 v28, v29, v28
	v_fma_f32 v29, v29, v27, -v31
	v_fmac_f32_e32 v28, v30, v27
	v_sub_f32_e32 v10, v10, v29
	v_sub_f32_e32 v11, v11, v28
.LBB63_636:
	s_or_b64 exec, exec, s[12:13]
	s_barrier
	s_and_saveexec_b64 s[12:13], s[58:59]
; %bb.637:
	v_xor_b32_e32 v28, 0x80000000, v11
	v_xor_b32_e32 v27, 0x80000000, v10
	ds_write_b64 v23, v[27:28]
; %bb.638:
	s_or_b64 exec, exec, s[12:13]
	s_waitcnt lgkmcnt(0)
	s_barrier
	s_and_saveexec_b64 s[12:13], s[60:61]
	s_cbranch_execz .LBB63_640
; %bb.639:
	v_lshlrev_b32_e32 v27, 3, v21
	ds_read_b64 v[27:28], v27 offset:11392
	ds_read_b64 v[29:30], v23
	s_waitcnt lgkmcnt(0)
	v_mul_f32_e32 v31, v30, v28
	v_mul_f32_e32 v28, v29, v28
	v_fma_f32 v29, v29, v27, -v31
	v_fmac_f32_e32 v28, v30, v27
	v_sub_f32_e32 v10, v10, v29
	v_sub_f32_e32 v11, v11, v28
.LBB63_640:
	s_or_b64 exec, exec, s[12:13]
	s_barrier
	;; [unrolled: 25-line block ×6, first 2 shown]
	s_and_saveexec_b64 s[12:13], s[78:79]
; %bb.657:
	v_xor_b32_e32 v28, 0x80000000, v11
	v_xor_b32_e32 v27, 0x80000000, v10
	ds_write_b64 v23, v[27:28]
; %bb.658:
	s_or_b64 exec, exec, s[12:13]
	s_waitcnt lgkmcnt(0)
	s_barrier
	s_and_saveexec_b64 s[12:13], s[52:53]
	s_cbranch_execz .LBB63_660
; %bb.659:
	v_mov_b32_e32 v27, 0
	ds_read_b64 v[27:28], v27 offset:8832
	ds_read_b64 v[29:30], v23
	s_waitcnt lgkmcnt(0)
	v_mul_f32_e32 v31, v30, v28
	v_mul_f32_e32 v28, v29, v28
	v_fma_f32 v29, v29, v27, -v31
	v_fmac_f32_e32 v28, v30, v27
	v_sub_f32_e32 v10, v10, v29
	v_sub_f32_e32 v11, v11, v28
.LBB63_660:
	s_or_b64 exec, exec, s[12:13]
	s_barrier
	s_and_saveexec_b64 s[12:13], s[52:53]
; %bb.661:
	v_xor_b32_e32 v28, 0x80000000, v11
	v_xor_b32_e32 v27, 0x80000000, v10
	ds_write_b64 v23, v[27:28]
; %bb.662:
	s_or_b64 exec, exec, s[12:13]
	s_waitcnt lgkmcnt(0)
	s_barrier
	s_barrier
	s_and_saveexec_b64 s[12:13], s[8:9]
; %bb.663:
	v_lshlrev_b32_e32 v27, 3, v21
	v_lshl_or_b32 v27, v22, 9, v27
	ds_write_b64 v27, v[10:11] offset:12416
; %bb.664:
	s_or_b64 exec, exec, s[12:13]
	s_waitcnt lgkmcnt(0)
	s_barrier
	s_barrier
	s_and_saveexec_b64 s[12:13], s[80:81]
	s_cbranch_execz .LBB63_666
; %bb.665:
	v_lshlrev_b32_e32 v27, 9, v0
	ds_read_b64 v[10:11], v27 offset:12416
	s_movk_i32 s14, 0xfe08
	v_mad_i32_i24 v28, v0, s14, v27
	s_waitcnt lgkmcnt(0)
	ds_write_b64 v28, v[10:11] offset:8384
	ds_read_b64 v[10:11], v27 offset:12424
	s_waitcnt lgkmcnt(0)
	ds_write_b64 v28, v[10:11] offset:8896
	ds_read_b64 v[10:11], v27 offset:12432
	;; [unrolled: 3-line block ×7, first 2 shown]
	s_waitcnt lgkmcnt(0)
	ds_write_b64 v28, v[10:11] offset:11968
.LBB63_666:
	s_or_b64 exec, exec, s[12:13]
	s_waitcnt lgkmcnt(0)
	s_barrier
	s_and_saveexec_b64 s[12:13], vcc
	s_cbranch_execz .LBB63_668
; %bb.667:
	v_mov_b32_e32 v29, 0
	ds_read_b64 v[10:11], v29 offset:11952
	s_mov_b64 s[14:15], 0x3f800000
	v_mov_b32_e32 v28, s15
	v_mov_b32_e32 v27, s14
	s_movk_i32 s14, 0x2800
	ds_write_b64 v29, v[27:28] offset:11960
	v_add_u32_e64 v29, s14, 0
	s_waitcnt lgkmcnt(1)
	ds_write2_b64 v29, v[27:28], v[10:11] offset0:150 offset1:151
.LBB63_668:
	s_or_b64 exec, exec, s[12:13]
	v_mov_b32_e32 v10, 0
	v_mov_b32_e32 v11, 0
	s_waitcnt lgkmcnt(0)
	s_barrier
	buffer_wbinvl1_vol
	s_and_saveexec_b64 s[14:15], s[2:3]
	s_cbranch_execz .LBB63_672
; %bb.669:
	v_lshlrev_b32_e32 v10, 3, v12
	v_lshlrev_b32_e32 v27, 9, v13
	ds_read_b64 v[10:11], v10 offset:11424
	ds_read_b64 v[27:28], v27 offset:11440
	v_cmp_gt_u32_e64 s[12:13], 2, v15
	s_waitcnt lgkmcnt(0)
	v_mul_f32_e32 v29, v28, v11
	v_mul_f32_e32 v11, v27, v11
	v_fma_f32 v27, v27, v10, -v29
	v_fmac_f32_e32 v11, v28, v10
	v_add_f32_e32 v10, 0, v27
	v_add_f32_e32 v11, 0, v11
	s_and_saveexec_b64 s[16:17], s[12:13]
	s_cbranch_execz .LBB63_671
; %bb.670:
	v_lshlrev_b32_e32 v27, 3, v0
	v_mov_b32_e32 v29, 0
	ds_read_b64 v[27:28], v27 offset:11936
	ds_read_b64 v[29:30], v29 offset:11960
	s_waitcnt lgkmcnt(0)
	v_mul_f32_e32 v31, v30, v28
	v_mul_f32_e32 v28, v29, v28
	v_fma_f32 v29, v29, v27, -v31
	v_fmac_f32_e32 v28, v30, v27
	v_add_f32_e32 v10, v10, v29
	v_add_f32_e32 v11, v11, v28
.LBB63_671:
	s_or_b64 exec, exec, s[16:17]
.LBB63_672:
	s_or_b64 exec, exec, s[14:15]
	s_and_saveexec_b64 s[12:13], s[34:35]
; %bb.673:
	v_xor_b32_e32 v28, 0x80000000, v11
	v_xor_b32_e32 v27, 0x80000000, v10
	ds_write_b64 v14, v[27:28]
; %bb.674:
	s_or_b64 exec, exec, s[12:13]
	s_waitcnt lgkmcnt(0)
	s_barrier
	s_and_saveexec_b64 s[12:13], s[30:31]
	s_cbranch_execz .LBB63_676
; %bb.675:
	v_mov_b32_e32 v27, 0
	ds_read_b64 v[27:28], v27 offset:10912
	ds_read_b64 v[29:30], v14
	s_waitcnt lgkmcnt(0)
	v_mul_f32_e32 v31, v29, v27
	v_mul_f32_e32 v29, v29, v28
	v_fmac_f32_e32 v29, v30, v27
	v_fma_f32 v27, v30, v28, -v31
	v_add_f32_e32 v10, v10, v27
	v_sub_f32_e32 v11, v11, v29
.LBB63_676:
	s_or_b64 exec, exec, s[12:13]
	s_barrier
	s_and_saveexec_b64 s[12:13], s[30:31]
; %bb.677:
	v_xor_b32_e32 v28, 0x80000000, v11
	v_xor_b32_e32 v27, 0x80000000, v10
	ds_write_b64 v14, v[27:28]
; %bb.678:
	s_or_b64 exec, exec, s[12:13]
	s_waitcnt lgkmcnt(0)
	s_barrier
	s_barrier
	s_and_saveexec_b64 s[12:13], s[2:3]
; %bb.679:
	v_lshlrev_b32_e32 v27, 3, v12
	v_lshl_or_b32 v27, v13, 9, v27
	ds_write_b64 v27, v[10:11] offset:11424
; %bb.680:
	s_or_b64 exec, exec, s[12:13]
	s_waitcnt lgkmcnt(0)
	s_barrier
	s_barrier
	s_and_saveexec_b64 s[12:13], s[36:37]
	s_cbranch_execz .LBB63_682
; %bb.681:
	v_lshlrev_b32_e32 v27, 3, v0
	s_movk_i32 s14, 0x1f8
	v_mad_u32_u24 v28, v0, s14, v27
	ds_read_b64 v[10:11], v28 offset:11424
	s_waitcnt lgkmcnt(0)
	ds_write_b64 v27, v[10:11] offset:10416
	ds_read_b64 v[10:11], v28 offset:11432
	s_waitcnt lgkmcnt(0)
	ds_write_b64 v27, v[10:11] offset:10928
.LBB63_682:
	s_or_b64 exec, exec, s[12:13]
	s_waitcnt lgkmcnt(0)
	s_barrier
	s_and_saveexec_b64 s[12:13], vcc
	s_cbranch_execz .LBB63_684
; %bb.683:
	v_mov_b32_e32 v29, 0
	ds_read_b64 v[10:11], v29 offset:10912
	s_mov_b64 s[14:15], 0x3f800000
	v_mov_b32_e32 v28, s15
	v_mov_b32_e32 v27, s14
	s_movk_i32 s14, 0x2800
	ds_write_b64 v29, v[27:28] offset:10920
	v_add_u32_e64 v29, s14, 0
	s_waitcnt lgkmcnt(1)
	ds_write2_b64 v29, v[27:28], v[10:11] offset0:20 offset1:21
.LBB63_684:
	s_or_b64 exec, exec, s[12:13]
	v_mov_b32_e32 v11, 0
	v_mov_b32_e32 v10, 0
	s_waitcnt lgkmcnt(0)
	s_barrier
	buffer_wbinvl1_vol
	s_and_saveexec_b64 s[14:15], s[18:19]
	s_cbranch_execz .LBB63_690
; %bb.685:
	v_lshlrev_b32_e32 v27, 3, v18
	v_lshlrev_b32_e32 v28, 9, v19
	ds_read_b64 v[10:11], v27 offset:10368
	ds_read_b64 v[29:30], v28 offset:10400
	v_cmp_gt_u32_e64 s[12:13], 12, v15
	s_waitcnt lgkmcnt(0)
	v_mul_f32_e32 v31, v30, v11
	v_mul_f32_e32 v11, v29, v11
	v_fma_f32 v29, v29, v10, -v31
	v_fmac_f32_e32 v11, v30, v10
	v_add_f32_e32 v10, 0, v29
	v_add_f32_e32 v11, 0, v11
	s_and_saveexec_b64 s[16:17], s[12:13]
	s_cbranch_execnz .LBB63_1095
; %bb.686:
	s_or_b64 exec, exec, s[16:17]
	v_cmp_gt_u32_e64 s[12:13], 8, v15
	s_and_saveexec_b64 s[16:17], s[12:13]
	s_cbranch_execnz .LBB63_1096
.LBB63_687:
	s_or_b64 exec, exec, s[16:17]
	v_cmp_gt_u32_e64 s[12:13], 4, v15
	s_and_saveexec_b64 s[16:17], s[12:13]
	s_cbranch_execz .LBB63_689
.LBB63_688:
	v_lshlrev_b32_e32 v27, 3, v0
	v_mov_b32_e32 v29, 0
	ds_read_b64 v[27:28], v27 offset:11904
	ds_read_b64 v[29:30], v29 offset:11960
	s_waitcnt lgkmcnt(0)
	v_mul_f32_e32 v31, v30, v28
	v_mul_f32_e32 v28, v29, v28
	v_fma_f32 v29, v29, v27, -v31
	v_fmac_f32_e32 v28, v30, v27
	v_add_f32_e32 v10, v10, v29
	v_add_f32_e32 v11, v11, v28
.LBB63_689:
	s_or_b64 exec, exec, s[16:17]
.LBB63_690:
	s_or_b64 exec, exec, s[14:15]
	s_and_saveexec_b64 s[12:13], s[40:41]
; %bb.691:
	v_xor_b32_e32 v27, 0x80000000, v10
	v_xor_b32_e32 v28, 0x80000000, v11
	ds_write_b64 v20, v[27:28]
; %bb.692:
	s_or_b64 exec, exec, s[12:13]
	s_waitcnt lgkmcnt(0)
	s_barrier
	s_and_saveexec_b64 s[12:13], s[42:43]
	s_cbranch_execz .LBB63_694
; %bb.693:
	v_lshlrev_b32_e32 v27, 3, v18
	ds_read_b64 v[27:28], v27 offset:9856
	ds_read_b64 v[29:30], v20
	s_waitcnt lgkmcnt(0)
	v_mul_f32_e32 v31, v30, v28
	v_mul_f32_e32 v28, v29, v28
	v_fma_f32 v29, v29, v27, -v31
	v_fmac_f32_e32 v28, v30, v27
	v_sub_f32_e32 v10, v10, v29
	v_sub_f32_e32 v11, v11, v28
.LBB63_694:
	s_or_b64 exec, exec, s[12:13]
	s_barrier
	s_and_saveexec_b64 s[12:13], s[44:45]
; %bb.695:
	v_xor_b32_e32 v27, 0x80000000, v10
	v_xor_b32_e32 v28, 0x80000000, v11
	ds_write_b64 v20, v[27:28]
; %bb.696:
	s_or_b64 exec, exec, s[12:13]
	s_waitcnt lgkmcnt(0)
	s_barrier
	s_and_saveexec_b64 s[12:13], s[46:47]
	s_cbranch_execz .LBB63_698
; %bb.697:
	v_lshlrev_b32_e32 v27, 3, v18
	ds_read_b64 v[27:28], v27 offset:9344
	ds_read_b64 v[29:30], v20
	s_waitcnt lgkmcnt(0)
	v_mul_f32_e32 v31, v30, v28
	v_mul_f32_e32 v28, v29, v28
	v_fma_f32 v29, v29, v27, -v31
	v_fmac_f32_e32 v28, v30, v27
	v_sub_f32_e32 v10, v10, v29
	v_sub_f32_e32 v11, v11, v28
.LBB63_698:
	s_or_b64 exec, exec, s[12:13]
	s_barrier
	s_and_saveexec_b64 s[12:13], s[48:49]
; %bb.699:
	v_xor_b32_e32 v27, 0x80000000, v10
	v_xor_b32_e32 v28, 0x80000000, v11
	ds_write_b64 v20, v[27:28]
; %bb.700:
	s_or_b64 exec, exec, s[12:13]
	s_waitcnt lgkmcnt(0)
	s_barrier
	s_and_saveexec_b64 s[12:13], s[38:39]
	s_cbranch_execz .LBB63_702
; %bb.701:
	v_mov_b32_e32 v27, 0
	ds_read_b64 v[27:28], v27 offset:8832
	ds_read_b64 v[29:30], v20
	s_waitcnt lgkmcnt(0)
	v_mul_f32_e32 v31, v30, v28
	v_mul_f32_e32 v28, v29, v28
	v_fma_f32 v29, v29, v27, -v31
	v_fmac_f32_e32 v28, v30, v27
	v_sub_f32_e32 v10, v10, v29
	v_sub_f32_e32 v11, v11, v28
.LBB63_702:
	s_or_b64 exec, exec, s[12:13]
	s_barrier
	s_and_saveexec_b64 s[12:13], s[38:39]
; %bb.703:
	v_xor_b32_e32 v27, 0x80000000, v10
	v_xor_b32_e32 v28, 0x80000000, v11
	ds_write_b64 v20, v[27:28]
; %bb.704:
	s_or_b64 exec, exec, s[12:13]
	s_waitcnt lgkmcnt(0)
	s_barrier
	s_barrier
	s_and_saveexec_b64 s[12:13], s[18:19]
; %bb.705:
	v_lshlrev_b32_e32 v27, 3, v18
	v_lshl_or_b32 v27, v19, 9, v27
	ds_write_b64 v27, v[10:11] offset:10368
; %bb.706:
	s_or_b64 exec, exec, s[12:13]
	s_waitcnt lgkmcnt(0)
	s_barrier
	s_barrier
	s_and_saveexec_b64 s[12:13], s[50:51]
	s_cbranch_execz .LBB63_708
; %bb.707:
	v_lshlrev_b32_e32 v27, 9, v0
	ds_read_b64 v[10:11], v27 offset:10368
	s_movk_i32 s14, 0xfe08
	v_mad_i32_i24 v28, v0, s14, v27
	s_waitcnt lgkmcnt(0)
	ds_write_b64 v28, v[10:11] offset:8352
	ds_read_b64 v[10:11], v27 offset:10376
	s_waitcnt lgkmcnt(0)
	ds_write_b64 v28, v[10:11] offset:8864
	ds_read_b64 v[10:11], v27 offset:10384
	;; [unrolled: 3-line block ×3, first 2 shown]
	s_waitcnt lgkmcnt(0)
	ds_write_b64 v28, v[10:11] offset:9888
.LBB63_708:
	s_or_b64 exec, exec, s[12:13]
	s_waitcnt lgkmcnt(0)
	s_barrier
	s_and_saveexec_b64 s[12:13], vcc
	s_cbranch_execz .LBB63_710
; %bb.709:
	v_mov_b32_e32 v29, 0
	ds_read_b64 v[10:11], v29 offset:9872
	s_mov_b64 s[14:15], 0x3f800000
	v_mov_b32_e32 v28, s15
	v_mov_b32_e32 v27, s14
	s_movk_i32 s14, 0x2000
	ds_write_b64 v29, v[27:28] offset:9880
	v_add_u32_e64 v29, s14, 0
	s_waitcnt lgkmcnt(1)
	ds_write2_b64 v29, v[27:28], v[10:11] offset0:146 offset1:147
.LBB63_710:
	s_or_b64 exec, exec, s[12:13]
	v_mov_b32_e32 v10, 0
	v_mov_b32_e32 v11, 0
	s_waitcnt lgkmcnt(0)
	s_barrier
	buffer_wbinvl1_vol
	s_and_saveexec_b64 s[14:15], s[2:3]
	s_cbranch_execz .LBB63_714
; %bb.711:
	v_lshlrev_b32_e32 v10, 3, v12
	v_lshlrev_b32_e32 v27, 9, v13
	ds_read_b64 v[10:11], v10 offset:9344
	ds_read_b64 v[27:28], v27 offset:9360
	v_cmp_gt_u32_e64 s[12:13], 2, v15
	s_waitcnt lgkmcnt(0)
	v_mul_f32_e32 v29, v28, v11
	v_mul_f32_e32 v11, v27, v11
	v_fma_f32 v27, v27, v10, -v29
	v_fmac_f32_e32 v11, v28, v10
	v_add_f32_e32 v10, 0, v27
	v_add_f32_e32 v11, 0, v11
	s_and_saveexec_b64 s[16:17], s[12:13]
	s_cbranch_execz .LBB63_713
; %bb.712:
	v_lshlrev_b32_e32 v27, 3, v0
	v_mov_b32_e32 v29, 0
	ds_read_b64 v[27:28], v27 offset:9856
	ds_read_b64 v[29:30], v29 offset:9880
	s_waitcnt lgkmcnt(0)
	v_mul_f32_e32 v31, v30, v28
	v_mul_f32_e32 v28, v29, v28
	v_fma_f32 v29, v29, v27, -v31
	v_fmac_f32_e32 v28, v30, v27
	v_add_f32_e32 v10, v10, v29
	v_add_f32_e32 v11, v11, v28
.LBB63_713:
	s_or_b64 exec, exec, s[16:17]
.LBB63_714:
	s_or_b64 exec, exec, s[14:15]
	s_and_saveexec_b64 s[12:13], s[34:35]
; %bb.715:
	v_xor_b32_e32 v28, 0x80000000, v11
	v_xor_b32_e32 v27, 0x80000000, v10
	ds_write_b64 v14, v[27:28]
; %bb.716:
	s_or_b64 exec, exec, s[12:13]
	s_waitcnt lgkmcnt(0)
	s_barrier
	s_and_saveexec_b64 s[12:13], s[30:31]
	s_cbranch_execz .LBB63_718
; %bb.717:
	v_mov_b32_e32 v27, 0
	ds_read_b64 v[27:28], v27 offset:8832
	ds_read_b64 v[29:30], v14
	s_waitcnt lgkmcnt(0)
	v_mul_f32_e32 v31, v29, v27
	v_mul_f32_e32 v29, v29, v28
	v_fmac_f32_e32 v29, v30, v27
	v_fma_f32 v27, v30, v28, -v31
	v_add_f32_e32 v10, v10, v27
	v_sub_f32_e32 v11, v11, v29
.LBB63_718:
	s_or_b64 exec, exec, s[12:13]
	s_barrier
	s_and_saveexec_b64 s[12:13], s[30:31]
; %bb.719:
	v_xor_b32_e32 v28, 0x80000000, v11
	v_xor_b32_e32 v27, 0x80000000, v10
	ds_write_b64 v14, v[27:28]
; %bb.720:
	s_or_b64 exec, exec, s[12:13]
	s_waitcnt lgkmcnt(0)
	s_barrier
	s_barrier
	s_and_saveexec_b64 s[12:13], s[2:3]
; %bb.721:
	v_lshlrev_b32_e32 v27, 3, v12
	v_lshl_or_b32 v27, v13, 9, v27
	ds_write_b64 v27, v[10:11] offset:9344
; %bb.722:
	s_or_b64 exec, exec, s[12:13]
	s_waitcnt lgkmcnt(0)
	s_barrier
	s_barrier
	s_and_saveexec_b64 s[12:13], s[36:37]
	s_cbranch_execz .LBB63_724
; %bb.723:
	v_lshlrev_b32_e32 v27, 3, v0
	s_movk_i32 s14, 0x1f8
	v_mad_u32_u24 v28, v0, s14, v27
	ds_read_b64 v[10:11], v28 offset:9344
	s_waitcnt lgkmcnt(0)
	ds_write_b64 v27, v[10:11] offset:8336
	ds_read_b64 v[10:11], v28 offset:9352
	s_waitcnt lgkmcnt(0)
	ds_write_b64 v27, v[10:11] offset:8848
.LBB63_724:
	s_or_b64 exec, exec, s[12:13]
	s_waitcnt lgkmcnt(0)
	s_barrier
	s_and_saveexec_b64 s[12:13], vcc
	s_cbranch_execz .LBB63_726
; %bb.725:
	v_mov_b32_e32 v29, 0
	ds_read_b64 v[10:11], v29 offset:8832
	s_mov_b64 s[14:15], 0x3f800000
	v_mov_b32_e32 v28, s15
	v_mov_b32_e32 v27, s14
	s_movk_i32 s14, 0x2000
	ds_write_b64 v29, v[27:28] offset:8840
	v_add_u32_e64 v29, s14, 0
	s_waitcnt lgkmcnt(1)
	ds_write2_b64 v29, v[27:28], v[10:11] offset0:16 offset1:17
.LBB63_726:
	s_or_b64 exec, exec, s[12:13]
	v_mov_b32_e32 v11, 0
	v_mov_b32_e32 v10, 0
	s_waitcnt lgkmcnt(0)
	s_barrier
	buffer_wbinvl1_vol
	s_and_saveexec_b64 s[14:15], s[10:11]
	s_cbranch_execz .LBB63_754
; %bb.727:
	v_lshlrev_b32_e32 v27, 3, v24
	v_lshlrev_b32_e32 v28, 9, v25
	ds_read_b64 v[10:11], v27 offset:8192
	ds_read_b64 v[29:30], v28 offset:8320
	s_movk_i32 s12, 0xf0
	v_cmp_gt_u32_e64 s[12:13], s12, v15
	s_waitcnt lgkmcnt(0)
	v_mul_f32_e32 v31, v30, v11
	v_mul_f32_e32 v11, v29, v11
	v_fma_f32 v29, v29, v10, -v31
	v_fmac_f32_e32 v11, v30, v10
	v_add_f32_e32 v10, 0, v29
	v_add_f32_e32 v11, 0, v11
	s_and_saveexec_b64 s[16:17], s[12:13]
	s_cbranch_execz .LBB63_729
; %bb.728:
	ds_read_b64 v[29:30], v27 offset:8704
	ds_read_b64 v[31:32], v28 offset:8328
	s_waitcnt lgkmcnt(0)
	v_mul_f32_e32 v33, v32, v30
	v_mul_f32_e32 v30, v31, v30
	v_fma_f32 v31, v31, v29, -v33
	v_fmac_f32_e32 v30, v32, v29
	v_add_f32_e32 v10, v10, v31
	v_add_f32_e32 v11, v11, v30
.LBB63_729:
	s_or_b64 exec, exec, s[16:17]
	s_movk_i32 s12, 0xe0
	v_cmp_gt_u32_e64 s[12:13], s12, v15
	s_and_saveexec_b64 s[16:17], s[12:13]
	s_cbranch_execz .LBB63_731
; %bb.730:
	ds_read_b64 v[29:30], v27 offset:9216
	ds_read_b64 v[31:32], v28 offset:8336
	s_waitcnt lgkmcnt(0)
	v_mul_f32_e32 v33, v32, v30
	v_mul_f32_e32 v30, v31, v30
	v_fma_f32 v31, v31, v29, -v33
	v_fmac_f32_e32 v30, v32, v29
	v_add_f32_e32 v10, v10, v31
	v_add_f32_e32 v11, v11, v30
.LBB63_731:
	s_or_b64 exec, exec, s[16:17]
	s_movk_i32 s12, 0xd0
	v_cmp_gt_u32_e64 s[12:13], s12, v15
	;; [unrolled: 16-line block ×10, first 2 shown]
	s_and_saveexec_b64 s[16:17], s[12:13]
	s_cbranch_execnz .LBB63_1097
; %bb.748:
	s_or_b64 exec, exec, s[16:17]
	s_and_saveexec_b64 s[12:13], s[8:9]
	s_cbranch_execnz .LBB63_1098
.LBB63_749:
	s_or_b64 exec, exec, s[12:13]
	v_cmp_gt_u32_e64 s[12:13], 48, v15
	s_and_saveexec_b64 s[16:17], s[12:13]
	s_cbranch_execnz .LBB63_1099
.LBB63_750:
	s_or_b64 exec, exec, s[16:17]
	v_cmp_gt_u32_e64 s[12:13], 32, v15
	s_and_saveexec_b64 s[16:17], s[12:13]
	s_cbranch_execnz .LBB63_1100
.LBB63_751:
	s_or_b64 exec, exec, s[16:17]
	v_cmp_gt_u32_e64 s[12:13], 16, v15
	s_and_saveexec_b64 s[16:17], s[12:13]
	s_cbranch_execz .LBB63_753
.LBB63_752:
	v_lshlrev_b32_e32 v27, 3, v0
	v_mov_b32_e32 v29, 0
	ds_read_b64 v[27:28], v27 offset:15872
	ds_read_b64 v[29:30], v29 offset:16120
	s_waitcnt lgkmcnt(0)
	v_mul_f32_e32 v31, v30, v28
	v_mul_f32_e32 v28, v29, v28
	v_fma_f32 v29, v29, v27, -v31
	v_fmac_f32_e32 v28, v30, v27
	v_add_f32_e32 v10, v10, v29
	v_add_f32_e32 v11, v11, v28
.LBB63_753:
	s_or_b64 exec, exec, s[16:17]
.LBB63_754:
	s_or_b64 exec, exec, s[14:15]
	s_mov_b64 s[12:13], exec
	v_readlane_b32 s14, v37, 2
	v_readlane_b32 s15, v37, 3
	s_and_b64 s[14:15], s[12:13], s[14:15]
	s_mov_b64 exec, s[14:15]
; %bb.755:
	v_xor_b32_e32 v27, 0x80000000, v10
	v_xor_b32_e32 v28, 0x80000000, v11
	ds_write_b64 v26, v[27:28]
; %bb.756:
	s_or_b64 exec, exec, s[12:13]
	s_waitcnt lgkmcnt(0)
	s_barrier
	s_mov_b64 s[12:13], exec
	v_readlane_b32 s14, v37, 4
	v_readlane_b32 s15, v37, 5
	s_and_b64 s[14:15], s[12:13], s[14:15]
	s_mov_b64 exec, s[14:15]
	s_cbranch_execz .LBB63_758
; %bb.757:
	v_lshlrev_b32_e32 v27, 3, v24
	ds_read_b64 v[27:28], v27 offset:7680
	ds_read_b64 v[29:30], v26
	s_waitcnt lgkmcnt(0)
	v_mul_f32_e32 v31, v30, v28
	v_mul_f32_e32 v28, v29, v28
	v_fma_f32 v29, v29, v27, -v31
	v_fmac_f32_e32 v28, v30, v27
	v_sub_f32_e32 v10, v10, v29
	v_sub_f32_e32 v11, v11, v28
.LBB63_758:
	s_or_b64 exec, exec, s[12:13]
	s_barrier
	s_mov_b64 s[12:13], exec
	v_readlane_b32 s14, v37, 6
	v_readlane_b32 s15, v37, 7
	s_and_b64 s[14:15], s[12:13], s[14:15]
	s_mov_b64 exec, s[14:15]
; %bb.759:
	v_xor_b32_e32 v27, 0x80000000, v10
	v_xor_b32_e32 v28, 0x80000000, v11
	ds_write_b64 v26, v[27:28]
; %bb.760:
	s_or_b64 exec, exec, s[12:13]
	s_waitcnt lgkmcnt(0)
	s_barrier
	s_mov_b64 s[12:13], exec
	v_readlane_b32 s14, v37, 8
	v_readlane_b32 s15, v37, 9
	s_and_b64 s[14:15], s[12:13], s[14:15]
	s_mov_b64 exec, s[14:15]
	s_cbranch_execz .LBB63_762
; %bb.761:
	v_lshlrev_b32_e32 v27, 3, v24
	ds_read_b64 v[27:28], v27 offset:7168
	ds_read_b64 v[29:30], v26
	s_waitcnt lgkmcnt(0)
	v_mul_f32_e32 v31, v30, v28
	v_mul_f32_e32 v28, v29, v28
	v_fma_f32 v29, v29, v27, -v31
	v_fmac_f32_e32 v28, v30, v27
	v_sub_f32_e32 v10, v10, v29
	v_sub_f32_e32 v11, v11, v28
.LBB63_762:
	s_or_b64 exec, exec, s[12:13]
	s_barrier
	;; [unrolled: 33-line block ×13, first 2 shown]
	s_and_saveexec_b64 s[12:13], s[88:89]
; %bb.807:
	v_xor_b32_e32 v27, 0x80000000, v10
	v_xor_b32_e32 v28, 0x80000000, v11
	ds_write_b64 v26, v[27:28]
; %bb.808:
	s_or_b64 exec, exec, s[12:13]
	s_waitcnt lgkmcnt(0)
	s_barrier
	s_and_saveexec_b64 s[12:13], s[0:1]
	s_cbranch_execz .LBB63_810
; %bb.809:
	v_lshlrev_b32_e32 v27, 3, v24
	ds_read_b64 v[27:28], v27 offset:1024
	ds_read_b64 v[29:30], v26
	s_waitcnt lgkmcnt(0)
	v_mul_f32_e32 v31, v30, v28
	v_mul_f32_e32 v28, v29, v28
	v_fma_f32 v29, v29, v27, -v31
	v_fmac_f32_e32 v28, v30, v27
	v_sub_f32_e32 v10, v10, v29
	v_sub_f32_e32 v11, v11, v28
.LBB63_810:
	s_or_b64 exec, exec, s[12:13]
	s_barrier
	s_and_saveexec_b64 s[0:1], s[92:93]
; %bb.811:
	v_xor_b32_e32 v27, 0x80000000, v10
	v_xor_b32_e32 v28, 0x80000000, v11
	ds_write_b64 v26, v[27:28]
; %bb.812:
	s_or_b64 exec, exec, s[0:1]
	s_waitcnt lgkmcnt(0)
	s_barrier
	s_and_saveexec_b64 s[0:1], s[90:91]
	s_cbranch_execz .LBB63_814
; %bb.813:
	v_mov_b32_e32 v27, 0
	ds_read_b64 v[27:28], v27 offset:512
	ds_read_b64 v[29:30], v26
	s_waitcnt lgkmcnt(0)
	v_mul_f32_e32 v31, v30, v28
	v_mul_f32_e32 v28, v29, v28
	v_fma_f32 v29, v29, v27, -v31
	v_fmac_f32_e32 v28, v30, v27
	v_sub_f32_e32 v10, v10, v29
	v_sub_f32_e32 v11, v11, v28
.LBB63_814:
	s_or_b64 exec, exec, s[0:1]
	s_barrier
	s_and_saveexec_b64 s[0:1], s[90:91]
; %bb.815:
	v_xor_b32_e32 v27, 0x80000000, v10
	v_xor_b32_e32 v28, 0x80000000, v11
	ds_write_b64 v26, v[27:28]
; %bb.816:
	s_or_b64 exec, exec, s[0:1]
	s_waitcnt lgkmcnt(0)
	s_barrier
	s_barrier
	s_and_saveexec_b64 s[0:1], s[10:11]
; %bb.817:
	v_lshlrev_b32_e32 v24, 3, v24
	v_lshl_or_b32 v24, v25, 9, v24
	ds_write_b64 v24, v[10:11] offset:8192
; %bb.818:
	s_or_b64 exec, exec, s[0:1]
	s_waitcnt lgkmcnt(0)
	s_barrier
	s_barrier
	s_and_saveexec_b64 s[0:1], s[82:83]
	s_cbranch_execz .LBB63_820
; %bb.819:
	v_lshlrev_b32_e32 v24, 9, v0
	ds_read_b64 v[10:11], v24 offset:8192
	s_movk_i32 s10, 0xfe08
	v_mad_i32_i24 v25, v0, s10, v24
	s_waitcnt lgkmcnt(0)
	ds_write_b64 v25, v[10:11] offset:128
	ds_read_b64 v[10:11], v24 offset:8200
	s_waitcnt lgkmcnt(0)
	ds_write_b64 v25, v[10:11] offset:640
	ds_read_b64 v[10:11], v24 offset:8208
	;; [unrolled: 3-line block ×15, first 2 shown]
	s_waitcnt lgkmcnt(0)
	ds_write_b64 v25, v[10:11] offset:7808
.LBB63_820:
	s_or_b64 exec, exec, s[0:1]
	s_waitcnt lgkmcnt(0)
	s_barrier
	s_and_saveexec_b64 s[0:1], vcc
	s_cbranch_execz .LBB63_822
; %bb.821:
	v_mov_b32_e32 v26, 0
	ds_read_b64 v[10:11], v26 offset:7792
	s_mov_b64 s[10:11], 0x3f800000
	v_mov_b32_e32 v25, s11
	v_mov_b32_e32 v24, s10
	s_movk_i32 s10, 0x1800
	ds_write_b64 v26, v[24:25] offset:7800
	v_add_u32_e64 v26, s10, 0
	s_waitcnt lgkmcnt(1)
	ds_write2_b64 v26, v[24:25], v[10:11] offset0:142 offset1:143
.LBB63_822:
	s_or_b64 exec, exec, s[0:1]
	v_mov_b32_e32 v10, 0
	v_mov_b32_e32 v11, 0
	s_waitcnt lgkmcnt(0)
	s_barrier
	buffer_wbinvl1_vol
	s_and_saveexec_b64 s[0:1], s[2:3]
	s_cbranch_execz .LBB63_826
; %bb.823:
	v_lshlrev_b32_e32 v10, 3, v12
	v_lshlrev_b32_e32 v24, 9, v13
	ds_read_b64 v[10:11], v10 offset:7264
	ds_read_b64 v[24:25], v24 offset:7280
	v_cmp_gt_u32_e64 s[10:11], 2, v15
	s_waitcnt lgkmcnt(0)
	v_mul_f32_e32 v26, v25, v11
	v_mul_f32_e32 v11, v24, v11
	v_fma_f32 v24, v24, v10, -v26
	v_fmac_f32_e32 v11, v25, v10
	v_add_f32_e32 v10, 0, v24
	v_add_f32_e32 v11, 0, v11
	s_and_saveexec_b64 s[12:13], s[10:11]
	s_cbranch_execz .LBB63_825
; %bb.824:
	v_lshlrev_b32_e32 v24, 3, v0
	v_mov_b32_e32 v26, 0
	ds_read_b64 v[24:25], v24 offset:7776
	ds_read_b64 v[26:27], v26 offset:7800
	s_waitcnt lgkmcnt(0)
	v_mul_f32_e32 v28, v27, v25
	v_mul_f32_e32 v25, v26, v25
	v_fma_f32 v26, v26, v24, -v28
	v_fmac_f32_e32 v25, v27, v24
	v_add_f32_e32 v10, v10, v26
	v_add_f32_e32 v11, v11, v25
.LBB63_825:
	s_or_b64 exec, exec, s[12:13]
.LBB63_826:
	s_or_b64 exec, exec, s[0:1]
	s_and_saveexec_b64 s[0:1], s[34:35]
; %bb.827:
	v_xor_b32_e32 v25, 0x80000000, v11
	v_xor_b32_e32 v24, 0x80000000, v10
	ds_write_b64 v14, v[24:25]
; %bb.828:
	s_or_b64 exec, exec, s[0:1]
	s_waitcnt lgkmcnt(0)
	s_barrier
	s_and_saveexec_b64 s[0:1], s[30:31]
	s_cbranch_execz .LBB63_830
; %bb.829:
	v_mov_b32_e32 v24, 0
	ds_read_b64 v[24:25], v24 offset:6752
	ds_read_b64 v[26:27], v14
	s_waitcnt lgkmcnt(0)
	v_mul_f32_e32 v28, v26, v24
	v_mul_f32_e32 v26, v26, v25
	v_fmac_f32_e32 v26, v27, v24
	v_fma_f32 v24, v27, v25, -v28
	v_add_f32_e32 v10, v10, v24
	v_sub_f32_e32 v11, v11, v26
.LBB63_830:
	s_or_b64 exec, exec, s[0:1]
	s_barrier
	s_and_saveexec_b64 s[0:1], s[30:31]
; %bb.831:
	v_xor_b32_e32 v25, 0x80000000, v11
	v_xor_b32_e32 v24, 0x80000000, v10
	ds_write_b64 v14, v[24:25]
; %bb.832:
	s_or_b64 exec, exec, s[0:1]
	s_waitcnt lgkmcnt(0)
	s_barrier
	s_barrier
	s_and_saveexec_b64 s[0:1], s[2:3]
; %bb.833:
	v_lshlrev_b32_e32 v24, 3, v12
	v_lshl_or_b32 v24, v13, 9, v24
	ds_write_b64 v24, v[10:11] offset:7264
; %bb.834:
	s_or_b64 exec, exec, s[0:1]
	s_waitcnt lgkmcnt(0)
	s_barrier
	s_barrier
	s_and_saveexec_b64 s[0:1], s[36:37]
	s_cbranch_execz .LBB63_836
; %bb.835:
	v_lshlrev_b32_e32 v24, 3, v0
	s_movk_i32 s10, 0x1f8
	v_mad_u32_u24 v25, v0, s10, v24
	ds_read_b64 v[10:11], v25 offset:7264
	s_waitcnt lgkmcnt(0)
	ds_write_b64 v24, v[10:11] offset:6256
	ds_read_b64 v[10:11], v25 offset:7272
	s_waitcnt lgkmcnt(0)
	ds_write_b64 v24, v[10:11] offset:6768
.LBB63_836:
	s_or_b64 exec, exec, s[0:1]
	s_waitcnt lgkmcnt(0)
	s_barrier
	s_and_saveexec_b64 s[0:1], vcc
	s_cbranch_execz .LBB63_838
; %bb.837:
	v_mov_b32_e32 v26, 0
	ds_read_b64 v[10:11], v26 offset:6752
	s_mov_b64 s[10:11], 0x3f800000
	v_mov_b32_e32 v25, s11
	v_mov_b32_e32 v24, s10
	s_movk_i32 s10, 0x1800
	ds_write_b64 v26, v[24:25] offset:6760
	v_add_u32_e64 v26, s10, 0
	s_waitcnt lgkmcnt(1)
	ds_write2_b64 v26, v[24:25], v[10:11] offset0:12 offset1:13
.LBB63_838:
	s_or_b64 exec, exec, s[0:1]
	v_mov_b32_e32 v11, 0
	v_mov_b32_e32 v10, 0
	s_waitcnt lgkmcnt(0)
	s_barrier
	buffer_wbinvl1_vol
	s_and_saveexec_b64 s[0:1], s[18:19]
	s_cbranch_execz .LBB63_844
; %bb.839:
	v_lshlrev_b32_e32 v24, 3, v18
	v_lshlrev_b32_e32 v25, 9, v19
	ds_read_b64 v[10:11], v24 offset:6208
	ds_read_b64 v[26:27], v25 offset:6240
	v_cmp_gt_u32_e64 s[10:11], 12, v15
	s_waitcnt lgkmcnt(0)
	v_mul_f32_e32 v28, v27, v11
	v_mul_f32_e32 v11, v26, v11
	v_fma_f32 v26, v26, v10, -v28
	v_fmac_f32_e32 v11, v27, v10
	v_add_f32_e32 v10, 0, v26
	v_add_f32_e32 v11, 0, v11
	s_and_saveexec_b64 s[12:13], s[10:11]
	s_cbranch_execnz .LBB63_1101
; %bb.840:
	s_or_b64 exec, exec, s[12:13]
	v_cmp_gt_u32_e64 s[10:11], 8, v15
	s_and_saveexec_b64 s[12:13], s[10:11]
	s_cbranch_execnz .LBB63_1102
.LBB63_841:
	s_or_b64 exec, exec, s[12:13]
	v_cmp_gt_u32_e64 s[10:11], 4, v15
	s_and_saveexec_b64 s[12:13], s[10:11]
	s_cbranch_execz .LBB63_843
.LBB63_842:
	v_lshlrev_b32_e32 v24, 3, v0
	v_mov_b32_e32 v26, 0
	ds_read_b64 v[24:25], v24 offset:7744
	ds_read_b64 v[26:27], v26 offset:7800
	s_waitcnt lgkmcnt(0)
	v_mul_f32_e32 v28, v27, v25
	v_mul_f32_e32 v25, v26, v25
	v_fma_f32 v26, v26, v24, -v28
	v_fmac_f32_e32 v25, v27, v24
	v_add_f32_e32 v10, v10, v26
	v_add_f32_e32 v11, v11, v25
.LBB63_843:
	s_or_b64 exec, exec, s[12:13]
.LBB63_844:
	s_or_b64 exec, exec, s[0:1]
	s_and_saveexec_b64 s[0:1], s[40:41]
; %bb.845:
	v_xor_b32_e32 v24, 0x80000000, v10
	v_xor_b32_e32 v25, 0x80000000, v11
	ds_write_b64 v20, v[24:25]
; %bb.846:
	s_or_b64 exec, exec, s[0:1]
	s_waitcnt lgkmcnt(0)
	s_barrier
	s_and_saveexec_b64 s[0:1], s[42:43]
	s_cbranch_execz .LBB63_848
; %bb.847:
	v_lshlrev_b32_e32 v24, 3, v18
	ds_read_b64 v[24:25], v24 offset:5696
	ds_read_b64 v[26:27], v20
	s_waitcnt lgkmcnt(0)
	v_mul_f32_e32 v28, v27, v25
	v_mul_f32_e32 v25, v26, v25
	v_fma_f32 v26, v26, v24, -v28
	v_fmac_f32_e32 v25, v27, v24
	v_sub_f32_e32 v10, v10, v26
	v_sub_f32_e32 v11, v11, v25
.LBB63_848:
	s_or_b64 exec, exec, s[0:1]
	s_barrier
	s_and_saveexec_b64 s[0:1], s[44:45]
; %bb.849:
	v_xor_b32_e32 v24, 0x80000000, v10
	v_xor_b32_e32 v25, 0x80000000, v11
	ds_write_b64 v20, v[24:25]
; %bb.850:
	s_or_b64 exec, exec, s[0:1]
	s_waitcnt lgkmcnt(0)
	s_barrier
	s_and_saveexec_b64 s[0:1], s[46:47]
	s_cbranch_execz .LBB63_852
; %bb.851:
	v_lshlrev_b32_e32 v24, 3, v18
	ds_read_b64 v[24:25], v24 offset:5184
	ds_read_b64 v[26:27], v20
	s_waitcnt lgkmcnt(0)
	v_mul_f32_e32 v28, v27, v25
	v_mul_f32_e32 v25, v26, v25
	v_fma_f32 v26, v26, v24, -v28
	v_fmac_f32_e32 v25, v27, v24
	v_sub_f32_e32 v10, v10, v26
	v_sub_f32_e32 v11, v11, v25
.LBB63_852:
	s_or_b64 exec, exec, s[0:1]
	s_barrier
	s_and_saveexec_b64 s[0:1], s[48:49]
; %bb.853:
	v_xor_b32_e32 v24, 0x80000000, v10
	v_xor_b32_e32 v25, 0x80000000, v11
	ds_write_b64 v20, v[24:25]
; %bb.854:
	s_or_b64 exec, exec, s[0:1]
	s_waitcnt lgkmcnt(0)
	s_barrier
	s_and_saveexec_b64 s[0:1], s[38:39]
	s_cbranch_execz .LBB63_856
; %bb.855:
	v_mov_b32_e32 v24, 0
	ds_read_b64 v[24:25], v24 offset:4672
	ds_read_b64 v[26:27], v20
	s_waitcnt lgkmcnt(0)
	v_mul_f32_e32 v28, v27, v25
	v_mul_f32_e32 v25, v26, v25
	v_fma_f32 v26, v26, v24, -v28
	v_fmac_f32_e32 v25, v27, v24
	v_sub_f32_e32 v10, v10, v26
	v_sub_f32_e32 v11, v11, v25
.LBB63_856:
	s_or_b64 exec, exec, s[0:1]
	s_barrier
	s_and_saveexec_b64 s[0:1], s[38:39]
; %bb.857:
	v_xor_b32_e32 v24, 0x80000000, v10
	v_xor_b32_e32 v25, 0x80000000, v11
	ds_write_b64 v20, v[24:25]
; %bb.858:
	s_or_b64 exec, exec, s[0:1]
	s_waitcnt lgkmcnt(0)
	s_barrier
	s_barrier
	s_and_saveexec_b64 s[0:1], s[18:19]
; %bb.859:
	v_lshlrev_b32_e32 v24, 3, v18
	v_lshl_or_b32 v24, v19, 9, v24
	ds_write_b64 v24, v[10:11] offset:6208
; %bb.860:
	s_or_b64 exec, exec, s[0:1]
	s_waitcnt lgkmcnt(0)
	s_barrier
	s_barrier
	s_and_saveexec_b64 s[0:1], s[50:51]
	s_cbranch_execz .LBB63_862
; %bb.861:
	v_lshlrev_b32_e32 v24, 9, v0
	ds_read_b64 v[10:11], v24 offset:6208
	s_movk_i32 s10, 0xfe08
	v_mad_i32_i24 v25, v0, s10, v24
	s_waitcnt lgkmcnt(0)
	ds_write_b64 v25, v[10:11] offset:4192
	ds_read_b64 v[10:11], v24 offset:6216
	s_waitcnt lgkmcnt(0)
	ds_write_b64 v25, v[10:11] offset:4704
	ds_read_b64 v[10:11], v24 offset:6224
	;; [unrolled: 3-line block ×3, first 2 shown]
	s_waitcnt lgkmcnt(0)
	ds_write_b64 v25, v[10:11] offset:5728
.LBB63_862:
	s_or_b64 exec, exec, s[0:1]
	s_waitcnt lgkmcnt(0)
	s_barrier
	s_and_saveexec_b64 s[0:1], vcc
	s_cbranch_execz .LBB63_864
; %bb.863:
	v_mov_b32_e32 v26, 0
	ds_read_b64 v[10:11], v26 offset:5712
	s_mov_b64 s[10:11], 0x3f800000
	v_mov_b32_e32 v25, s11
	v_mov_b32_e32 v24, s10
	s_movk_i32 s10, 0x1000
	ds_write_b64 v26, v[24:25] offset:5720
	v_add_u32_e64 v26, s10, 0
	s_waitcnt lgkmcnt(1)
	ds_write2_b64 v26, v[24:25], v[10:11] offset0:138 offset1:139
.LBB63_864:
	s_or_b64 exec, exec, s[0:1]
	v_mov_b32_e32 v10, 0
	v_mov_b32_e32 v11, 0
	s_waitcnt lgkmcnt(0)
	s_barrier
	buffer_wbinvl1_vol
	s_and_saveexec_b64 s[0:1], s[2:3]
	s_cbranch_execz .LBB63_868
; %bb.865:
	v_lshlrev_b32_e32 v10, 3, v12
	v_lshlrev_b32_e32 v24, 9, v13
	ds_read_b64 v[10:11], v10 offset:5184
	ds_read_b64 v[24:25], v24 offset:5200
	v_cmp_gt_u32_e64 s[10:11], 2, v15
	s_waitcnt lgkmcnt(0)
	v_mul_f32_e32 v26, v25, v11
	v_mul_f32_e32 v11, v24, v11
	v_fma_f32 v24, v24, v10, -v26
	v_fmac_f32_e32 v11, v25, v10
	v_add_f32_e32 v10, 0, v24
	v_add_f32_e32 v11, 0, v11
	s_and_saveexec_b64 s[12:13], s[10:11]
	s_cbranch_execz .LBB63_867
; %bb.866:
	v_lshlrev_b32_e32 v24, 3, v0
	v_mov_b32_e32 v26, 0
	ds_read_b64 v[24:25], v24 offset:5696
	ds_read_b64 v[26:27], v26 offset:5720
	s_waitcnt lgkmcnt(0)
	v_mul_f32_e32 v28, v27, v25
	v_mul_f32_e32 v25, v26, v25
	v_fma_f32 v26, v26, v24, -v28
	v_fmac_f32_e32 v25, v27, v24
	v_add_f32_e32 v10, v10, v26
	v_add_f32_e32 v11, v11, v25
.LBB63_867:
	s_or_b64 exec, exec, s[12:13]
.LBB63_868:
	s_or_b64 exec, exec, s[0:1]
	s_and_saveexec_b64 s[0:1], s[34:35]
; %bb.869:
	v_xor_b32_e32 v25, 0x80000000, v11
	v_xor_b32_e32 v24, 0x80000000, v10
	ds_write_b64 v14, v[24:25]
; %bb.870:
	s_or_b64 exec, exec, s[0:1]
	s_waitcnt lgkmcnt(0)
	s_barrier
	s_and_saveexec_b64 s[0:1], s[30:31]
	s_cbranch_execz .LBB63_872
; %bb.871:
	v_mov_b32_e32 v24, 0
	ds_read_b64 v[24:25], v24 offset:4672
	ds_read_b64 v[26:27], v14
	s_waitcnt lgkmcnt(0)
	v_mul_f32_e32 v28, v26, v24
	v_mul_f32_e32 v26, v26, v25
	v_fmac_f32_e32 v26, v27, v24
	v_fma_f32 v24, v27, v25, -v28
	v_add_f32_e32 v10, v10, v24
	v_sub_f32_e32 v11, v11, v26
.LBB63_872:
	s_or_b64 exec, exec, s[0:1]
	s_barrier
	s_and_saveexec_b64 s[0:1], s[30:31]
; %bb.873:
	v_xor_b32_e32 v25, 0x80000000, v11
	v_xor_b32_e32 v24, 0x80000000, v10
	ds_write_b64 v14, v[24:25]
; %bb.874:
	s_or_b64 exec, exec, s[0:1]
	s_waitcnt lgkmcnt(0)
	s_barrier
	s_barrier
	s_and_saveexec_b64 s[0:1], s[2:3]
; %bb.875:
	v_lshlrev_b32_e32 v24, 3, v12
	v_lshl_or_b32 v24, v13, 9, v24
	ds_write_b64 v24, v[10:11] offset:5184
; %bb.876:
	s_or_b64 exec, exec, s[0:1]
	s_waitcnt lgkmcnt(0)
	s_barrier
	s_barrier
	s_and_saveexec_b64 s[0:1], s[36:37]
	s_cbranch_execz .LBB63_878
; %bb.877:
	v_lshlrev_b32_e32 v24, 3, v0
	s_movk_i32 s10, 0x1f8
	v_mad_u32_u24 v25, v0, s10, v24
	ds_read_b64 v[10:11], v25 offset:5184
	s_waitcnt lgkmcnt(0)
	ds_write_b64 v24, v[10:11] offset:4176
	ds_read_b64 v[10:11], v25 offset:5192
	s_waitcnt lgkmcnt(0)
	ds_write_b64 v24, v[10:11] offset:4688
.LBB63_878:
	s_or_b64 exec, exec, s[0:1]
	s_waitcnt lgkmcnt(0)
	s_barrier
	s_and_saveexec_b64 s[0:1], vcc
	s_cbranch_execz .LBB63_880
; %bb.879:
	v_mov_b32_e32 v26, 0
	ds_read_b64 v[10:11], v26 offset:4672
	s_mov_b64 s[10:11], 0x3f800000
	v_mov_b32_e32 v25, s11
	v_mov_b32_e32 v24, s10
	s_movk_i32 s10, 0x1000
	ds_write_b64 v26, v[24:25] offset:4680
	v_add_u32_e64 v26, s10, 0
	s_waitcnt lgkmcnt(1)
	ds_write2_b64 v26, v[24:25], v[10:11] offset0:8 offset1:9
.LBB63_880:
	s_or_b64 exec, exec, s[0:1]
	v_mov_b32_e32 v11, 0
	v_mov_b32_e32 v10, 0
	s_waitcnt lgkmcnt(0)
	s_barrier
	buffer_wbinvl1_vol
	s_and_saveexec_b64 s[0:1], s[8:9]
	s_cbranch_execz .LBB63_890
; %bb.881:
	v_lshlrev_b32_e32 v24, 3, v21
	v_lshlrev_b32_e32 v25, 9, v22
	ds_read_b64 v[10:11], v24 offset:4096
	ds_read_b64 v[26:27], v25 offset:4160
	v_cmp_gt_u32_e64 s[10:11], 56, v15
	s_waitcnt lgkmcnt(0)
	v_mul_f32_e32 v28, v27, v11
	v_mul_f32_e32 v11, v26, v11
	v_fma_f32 v26, v26, v10, -v28
	v_fmac_f32_e32 v11, v27, v10
	v_add_f32_e32 v10, 0, v26
	v_add_f32_e32 v11, 0, v11
	s_and_saveexec_b64 s[12:13], s[10:11]
	s_cbranch_execnz .LBB63_1103
; %bb.882:
	s_or_b64 exec, exec, s[12:13]
	v_cmp_gt_u32_e64 s[10:11], 48, v15
	s_and_saveexec_b64 s[12:13], s[10:11]
	s_cbranch_execnz .LBB63_1104
.LBB63_883:
	s_or_b64 exec, exec, s[12:13]
	v_cmp_gt_u32_e64 s[10:11], 40, v15
	s_and_saveexec_b64 s[12:13], s[10:11]
	s_cbranch_execnz .LBB63_1105
.LBB63_884:
	s_or_b64 exec, exec, s[12:13]
	v_cmp_gt_u32_e64 s[10:11], 32, v15
	s_and_saveexec_b64 s[12:13], s[10:11]
	s_cbranch_execnz .LBB63_1106
.LBB63_885:
	s_or_b64 exec, exec, s[12:13]
	v_cmp_gt_u32_e64 s[10:11], 24, v15
	s_and_saveexec_b64 s[12:13], s[10:11]
	s_cbranch_execnz .LBB63_1107
.LBB63_886:
	s_or_b64 exec, exec, s[12:13]
	s_and_saveexec_b64 s[10:11], s[18:19]
	s_cbranch_execnz .LBB63_1108
.LBB63_887:
	s_or_b64 exec, exec, s[10:11]
	v_cmp_gt_u32_e64 s[10:11], 8, v15
	s_and_saveexec_b64 s[12:13], s[10:11]
	s_cbranch_execz .LBB63_889
.LBB63_888:
	v_lshlrev_b32_e32 v24, 3, v0
	v_mov_b32_e32 v26, 0
	ds_read_b64 v[24:25], v24 offset:7680
	ds_read_b64 v[26:27], v26 offset:7800
	s_waitcnt lgkmcnt(0)
	v_mul_f32_e32 v28, v27, v25
	v_mul_f32_e32 v25, v26, v25
	v_fma_f32 v26, v26, v24, -v28
	v_fmac_f32_e32 v25, v27, v24
	v_add_f32_e32 v10, v10, v26
	v_add_f32_e32 v11, v11, v25
.LBB63_889:
	s_or_b64 exec, exec, s[12:13]
.LBB63_890:
	s_or_b64 exec, exec, s[0:1]
	s_and_saveexec_b64 s[0:1], s[54:55]
; %bb.891:
	v_xor_b32_e32 v25, 0x80000000, v11
	v_xor_b32_e32 v24, 0x80000000, v10
	ds_write_b64 v23, v[24:25]
; %bb.892:
	s_or_b64 exec, exec, s[0:1]
	s_waitcnt lgkmcnt(0)
	s_barrier
	s_and_saveexec_b64 s[0:1], s[56:57]
	s_cbranch_execz .LBB63_894
; %bb.893:
	v_lshlrev_b32_e32 v24, 3, v21
	ds_read_b64 v[24:25], v24 offset:3584
	ds_read_b64 v[26:27], v23
	s_waitcnt lgkmcnt(0)
	v_mul_f32_e32 v28, v27, v25
	v_mul_f32_e32 v25, v26, v25
	v_fma_f32 v26, v26, v24, -v28
	v_fmac_f32_e32 v25, v27, v24
	v_sub_f32_e32 v10, v10, v26
	v_sub_f32_e32 v11, v11, v25
.LBB63_894:
	s_or_b64 exec, exec, s[0:1]
	s_barrier
	s_and_saveexec_b64 s[0:1], s[58:59]
; %bb.895:
	v_xor_b32_e32 v25, 0x80000000, v11
	v_xor_b32_e32 v24, 0x80000000, v10
	ds_write_b64 v23, v[24:25]
; %bb.896:
	s_or_b64 exec, exec, s[0:1]
	s_waitcnt lgkmcnt(0)
	s_barrier
	s_and_saveexec_b64 s[0:1], s[60:61]
	s_cbranch_execz .LBB63_898
; %bb.897:
	v_lshlrev_b32_e32 v24, 3, v21
	ds_read_b64 v[24:25], v24 offset:3072
	ds_read_b64 v[26:27], v23
	s_waitcnt lgkmcnt(0)
	v_mul_f32_e32 v28, v27, v25
	v_mul_f32_e32 v25, v26, v25
	v_fma_f32 v26, v26, v24, -v28
	v_fmac_f32_e32 v25, v27, v24
	v_sub_f32_e32 v10, v10, v26
	v_sub_f32_e32 v11, v11, v25
.LBB63_898:
	s_or_b64 exec, exec, s[0:1]
	s_barrier
	;; [unrolled: 25-line block ×6, first 2 shown]
	s_and_saveexec_b64 s[0:1], s[78:79]
; %bb.915:
	v_xor_b32_e32 v25, 0x80000000, v11
	v_xor_b32_e32 v24, 0x80000000, v10
	ds_write_b64 v23, v[24:25]
; %bb.916:
	s_or_b64 exec, exec, s[0:1]
	s_waitcnt lgkmcnt(0)
	s_barrier
	s_and_saveexec_b64 s[0:1], s[52:53]
	s_cbranch_execz .LBB63_918
; %bb.917:
	v_mov_b32_e32 v24, 0
	ds_read_b64 v[24:25], v24 offset:512
	ds_read_b64 v[26:27], v23
	s_waitcnt lgkmcnt(0)
	v_mul_f32_e32 v28, v27, v25
	v_mul_f32_e32 v25, v26, v25
	v_fma_f32 v26, v26, v24, -v28
	v_fmac_f32_e32 v25, v27, v24
	v_sub_f32_e32 v10, v10, v26
	v_sub_f32_e32 v11, v11, v25
.LBB63_918:
	s_or_b64 exec, exec, s[0:1]
	s_barrier
	s_and_saveexec_b64 s[0:1], s[52:53]
; %bb.919:
	v_xor_b32_e32 v25, 0x80000000, v11
	v_xor_b32_e32 v24, 0x80000000, v10
	ds_write_b64 v23, v[24:25]
; %bb.920:
	s_or_b64 exec, exec, s[0:1]
	s_waitcnt lgkmcnt(0)
	s_barrier
	s_barrier
	s_and_saveexec_b64 s[0:1], s[8:9]
; %bb.921:
	v_lshlrev_b32_e32 v21, 3, v21
	v_lshl_or_b32 v21, v22, 9, v21
	ds_write_b64 v21, v[10:11] offset:4096
; %bb.922:
	s_or_b64 exec, exec, s[0:1]
	s_waitcnt lgkmcnt(0)
	s_barrier
	s_barrier
	s_and_saveexec_b64 s[0:1], s[80:81]
	s_cbranch_execz .LBB63_924
; %bb.923:
	v_lshlrev_b32_e32 v21, 9, v0
	ds_read_b64 v[10:11], v21 offset:4096
	s_movk_i32 s8, 0xfe08
	v_mad_i32_i24 v22, v0, s8, v21
	s_waitcnt lgkmcnt(0)
	ds_write_b64 v22, v[10:11] offset:64
	ds_read_b64 v[10:11], v21 offset:4104
	s_waitcnt lgkmcnt(0)
	ds_write_b64 v22, v[10:11] offset:576
	ds_read_b64 v[10:11], v21 offset:4112
	;; [unrolled: 3-line block ×7, first 2 shown]
	s_waitcnt lgkmcnt(0)
	ds_write_b64 v22, v[10:11] offset:3648
.LBB63_924:
	s_or_b64 exec, exec, s[0:1]
	s_waitcnt lgkmcnt(0)
	s_barrier
	s_and_saveexec_b64 s[0:1], vcc
	s_cbranch_execz .LBB63_926
; %bb.925:
	v_mov_b32_e32 v23, 0
	ds_read_b64 v[10:11], v23 offset:3632
	s_mov_b64 s[8:9], 0x3f800000
	v_mov_b32_e32 v22, s9
	v_mov_b32_e32 v21, s8
	s_movk_i32 s8, 0x800
	ds_write_b64 v23, v[21:22] offset:3640
	v_add_u32_e64 v23, s8, 0
	s_waitcnt lgkmcnt(1)
	ds_write2_b64 v23, v[21:22], v[10:11] offset0:134 offset1:135
.LBB63_926:
	s_or_b64 exec, exec, s[0:1]
	v_mov_b32_e32 v10, 0
	v_mov_b32_e32 v11, 0
	s_waitcnt lgkmcnt(0)
	s_barrier
	buffer_wbinvl1_vol
	s_and_saveexec_b64 s[0:1], s[2:3]
	s_cbranch_execz .LBB63_930
; %bb.927:
	v_lshlrev_b32_e32 v10, 3, v12
	v_lshlrev_b32_e32 v21, 9, v13
	ds_read_b64 v[10:11], v10 offset:3104
	ds_read_b64 v[21:22], v21 offset:3120
	v_cmp_gt_u32_e64 s[8:9], 2, v15
	s_waitcnt lgkmcnt(0)
	v_mul_f32_e32 v23, v22, v11
	v_mul_f32_e32 v11, v21, v11
	v_fma_f32 v21, v21, v10, -v23
	v_fmac_f32_e32 v11, v22, v10
	v_add_f32_e32 v10, 0, v21
	v_add_f32_e32 v11, 0, v11
	s_and_saveexec_b64 s[10:11], s[8:9]
	s_cbranch_execz .LBB63_929
; %bb.928:
	v_lshlrev_b32_e32 v21, 3, v0
	v_mov_b32_e32 v23, 0
	ds_read_b64 v[21:22], v21 offset:3616
	ds_read_b64 v[23:24], v23 offset:3640
	s_waitcnt lgkmcnt(0)
	v_mul_f32_e32 v25, v24, v22
	v_mul_f32_e32 v22, v23, v22
	v_fma_f32 v23, v23, v21, -v25
	v_fmac_f32_e32 v22, v24, v21
	v_add_f32_e32 v10, v10, v23
	v_add_f32_e32 v11, v11, v22
.LBB63_929:
	s_or_b64 exec, exec, s[10:11]
.LBB63_930:
	s_or_b64 exec, exec, s[0:1]
	s_and_saveexec_b64 s[0:1], s[34:35]
; %bb.931:
	v_xor_b32_e32 v22, 0x80000000, v11
	v_xor_b32_e32 v21, 0x80000000, v10
	ds_write_b64 v14, v[21:22]
; %bb.932:
	s_or_b64 exec, exec, s[0:1]
	s_waitcnt lgkmcnt(0)
	s_barrier
	s_and_saveexec_b64 s[0:1], s[30:31]
	s_cbranch_execz .LBB63_934
; %bb.933:
	v_mov_b32_e32 v21, 0
	ds_read_b64 v[21:22], v21 offset:2592
	ds_read_b64 v[23:24], v14
	s_waitcnt lgkmcnt(0)
	v_mul_f32_e32 v25, v23, v21
	v_mul_f32_e32 v23, v23, v22
	v_fmac_f32_e32 v23, v24, v21
	v_fma_f32 v21, v24, v22, -v25
	v_add_f32_e32 v10, v10, v21
	v_sub_f32_e32 v11, v11, v23
.LBB63_934:
	s_or_b64 exec, exec, s[0:1]
	s_barrier
	s_and_saveexec_b64 s[0:1], s[30:31]
; %bb.935:
	v_xor_b32_e32 v22, 0x80000000, v11
	v_xor_b32_e32 v21, 0x80000000, v10
	ds_write_b64 v14, v[21:22]
; %bb.936:
	s_or_b64 exec, exec, s[0:1]
	s_waitcnt lgkmcnt(0)
	s_barrier
	s_barrier
	s_and_saveexec_b64 s[0:1], s[2:3]
; %bb.937:
	v_lshlrev_b32_e32 v21, 3, v12
	v_lshl_or_b32 v21, v13, 9, v21
	ds_write_b64 v21, v[10:11] offset:3104
; %bb.938:
	s_or_b64 exec, exec, s[0:1]
	s_waitcnt lgkmcnt(0)
	s_barrier
	s_barrier
	s_and_saveexec_b64 s[0:1], s[36:37]
	s_cbranch_execz .LBB63_940
; %bb.939:
	v_lshlrev_b32_e32 v21, 3, v0
	s_movk_i32 s8, 0x1f8
	v_mad_u32_u24 v22, v0, s8, v21
	ds_read_b64 v[10:11], v22 offset:3104
	s_waitcnt lgkmcnt(0)
	ds_write_b64 v21, v[10:11] offset:2096
	ds_read_b64 v[10:11], v22 offset:3112
	s_waitcnt lgkmcnt(0)
	ds_write_b64 v21, v[10:11] offset:2608
.LBB63_940:
	s_or_b64 exec, exec, s[0:1]
	s_waitcnt lgkmcnt(0)
	s_barrier
	s_and_saveexec_b64 s[0:1], vcc
	s_cbranch_execz .LBB63_942
; %bb.941:
	v_mov_b32_e32 v23, 0
	ds_read_b64 v[10:11], v23 offset:2592
	s_mov_b64 s[8:9], 0x3f800000
	v_mov_b32_e32 v22, s9
	v_mov_b32_e32 v21, s8
	s_movk_i32 s8, 0x800
	ds_write_b64 v23, v[21:22] offset:2600
	v_add_u32_e64 v23, s8, 0
	s_waitcnt lgkmcnt(1)
	ds_write2_b64 v23, v[21:22], v[10:11] offset0:4 offset1:5
.LBB63_942:
	s_or_b64 exec, exec, s[0:1]
	v_mov_b32_e32 v11, 0
	v_mov_b32_e32 v10, 0
	s_waitcnt lgkmcnt(0)
	s_barrier
	buffer_wbinvl1_vol
	s_and_saveexec_b64 s[0:1], s[18:19]
	s_cbranch_execz .LBB63_948
; %bb.943:
	v_lshlrev_b32_e32 v21, 3, v18
	v_lshlrev_b32_e32 v22, 9, v19
	ds_read_b64 v[10:11], v21 offset:2048
	ds_read_b64 v[23:24], v22 offset:2080
	v_cmp_gt_u32_e64 s[8:9], 12, v15
	s_waitcnt lgkmcnt(0)
	v_mul_f32_e32 v25, v24, v11
	v_mul_f32_e32 v11, v23, v11
	v_fma_f32 v23, v23, v10, -v25
	v_fmac_f32_e32 v11, v24, v10
	v_add_f32_e32 v10, 0, v23
	v_add_f32_e32 v11, 0, v11
	s_and_saveexec_b64 s[10:11], s[8:9]
	s_cbranch_execnz .LBB63_1109
; %bb.944:
	s_or_b64 exec, exec, s[10:11]
	v_cmp_gt_u32_e64 s[8:9], 8, v15
	s_and_saveexec_b64 s[10:11], s[8:9]
	s_cbranch_execnz .LBB63_1110
.LBB63_945:
	s_or_b64 exec, exec, s[10:11]
	v_cmp_gt_u32_e64 s[8:9], 4, v15
	s_and_saveexec_b64 s[10:11], s[8:9]
	s_cbranch_execz .LBB63_947
.LBB63_946:
	v_lshlrev_b32_e32 v21, 3, v0
	v_mov_b32_e32 v23, 0
	ds_read_b64 v[21:22], v21 offset:3584
	ds_read_b64 v[23:24], v23 offset:3640
	s_waitcnt lgkmcnt(0)
	v_mul_f32_e32 v25, v24, v22
	v_mul_f32_e32 v22, v23, v22
	v_fma_f32 v23, v23, v21, -v25
	v_fmac_f32_e32 v22, v24, v21
	v_add_f32_e32 v10, v10, v23
	v_add_f32_e32 v11, v11, v22
.LBB63_947:
	s_or_b64 exec, exec, s[10:11]
.LBB63_948:
	s_or_b64 exec, exec, s[0:1]
	s_and_saveexec_b64 s[0:1], s[40:41]
; %bb.949:
	v_xor_b32_e32 v21, 0x80000000, v10
	v_xor_b32_e32 v22, 0x80000000, v11
	ds_write_b64 v20, v[21:22]
; %bb.950:
	s_or_b64 exec, exec, s[0:1]
	s_waitcnt lgkmcnt(0)
	s_barrier
	s_and_saveexec_b64 s[0:1], s[42:43]
	s_load_dword s20, s[4:5], 0x6c
	v_readlane_b32 s40, v37, 0
	v_readlane_b32 s41, v37, 1
	s_cbranch_execz .LBB63_952
; %bb.951:
	v_lshlrev_b32_e32 v21, 3, v18
	ds_read_b64 v[21:22], v21 offset:1536
	ds_read_b64 v[23:24], v20
	s_waitcnt lgkmcnt(0)
	v_mul_f32_e32 v25, v24, v22
	v_mul_f32_e32 v22, v23, v22
	v_fma_f32 v23, v23, v21, -v25
	v_fmac_f32_e32 v22, v24, v21
	v_sub_f32_e32 v10, v10, v23
	v_sub_f32_e32 v11, v11, v22
.LBB63_952:
	s_or_b64 exec, exec, s[0:1]
	s_waitcnt lgkmcnt(0)
	s_barrier
	s_and_saveexec_b64 s[0:1], s[44:45]
; %bb.953:
	v_xor_b32_e32 v21, 0x80000000, v10
	v_xor_b32_e32 v22, 0x80000000, v11
	ds_write_b64 v20, v[21:22]
; %bb.954:
	s_or_b64 exec, exec, s[0:1]
	s_waitcnt lgkmcnt(0)
	s_barrier
	s_and_saveexec_b64 s[0:1], s[46:47]
	s_cbranch_execz .LBB63_956
; %bb.955:
	v_lshlrev_b32_e32 v21, 3, v18
	ds_read_b64 v[21:22], v21 offset:1024
	ds_read_b64 v[23:24], v20
	s_waitcnt lgkmcnt(0)
	v_mul_f32_e32 v25, v24, v22
	v_mul_f32_e32 v22, v23, v22
	v_fma_f32 v23, v23, v21, -v25
	v_fmac_f32_e32 v22, v24, v21
	v_sub_f32_e32 v10, v10, v23
	v_sub_f32_e32 v11, v11, v22
.LBB63_956:
	s_or_b64 exec, exec, s[0:1]
	s_barrier
	s_and_saveexec_b64 s[0:1], s[48:49]
; %bb.957:
	v_xor_b32_e32 v21, 0x80000000, v10
	v_xor_b32_e32 v22, 0x80000000, v11
	ds_write_b64 v20, v[21:22]
; %bb.958:
	s_or_b64 exec, exec, s[0:1]
	s_waitcnt lgkmcnt(0)
	s_barrier
	s_and_saveexec_b64 s[0:1], s[38:39]
	s_cbranch_execz .LBB63_960
; %bb.959:
	v_mov_b32_e32 v21, 0
	ds_read_b64 v[21:22], v21 offset:512
	ds_read_b64 v[23:24], v20
	s_waitcnt lgkmcnt(0)
	v_mul_f32_e32 v25, v24, v22
	v_mul_f32_e32 v22, v23, v22
	v_fma_f32 v23, v23, v21, -v25
	v_fmac_f32_e32 v22, v24, v21
	v_sub_f32_e32 v10, v10, v23
	v_sub_f32_e32 v11, v11, v22
.LBB63_960:
	s_or_b64 exec, exec, s[0:1]
	s_barrier
	s_and_saveexec_b64 s[0:1], s[38:39]
; %bb.961:
	v_xor_b32_e32 v21, 0x80000000, v10
	v_xor_b32_e32 v22, 0x80000000, v11
	ds_write_b64 v20, v[21:22]
; %bb.962:
	s_or_b64 exec, exec, s[0:1]
	s_waitcnt lgkmcnt(0)
	s_barrier
	s_barrier
	s_and_saveexec_b64 s[0:1], s[18:19]
; %bb.963:
	v_lshlrev_b32_e32 v18, 3, v18
	v_lshl_or_b32 v18, v19, 9, v18
	ds_write_b64 v18, v[10:11] offset:2048
; %bb.964:
	s_or_b64 exec, exec, s[0:1]
	s_waitcnt lgkmcnt(0)
	s_barrier
	s_barrier
	s_and_saveexec_b64 s[0:1], s[50:51]
	s_cbranch_execz .LBB63_966
; %bb.965:
	v_lshlrev_b32_e32 v18, 9, v0
	ds_read_b64 v[10:11], v18 offset:2048
	s_movk_i32 s8, 0xfe08
	v_mad_i32_i24 v19, v0, s8, v18
	s_waitcnt lgkmcnt(0)
	ds_write_b64 v19, v[10:11] offset:32
	ds_read_b64 v[10:11], v18 offset:2056
	s_waitcnt lgkmcnt(0)
	ds_write_b64 v19, v[10:11] offset:544
	ds_read_b64 v[10:11], v18 offset:2064
	;; [unrolled: 3-line block ×3, first 2 shown]
	s_waitcnt lgkmcnt(0)
	ds_write_b64 v19, v[10:11] offset:1568
.LBB63_966:
	s_or_b64 exec, exec, s[0:1]
	s_waitcnt lgkmcnt(0)
	s_barrier
	s_and_saveexec_b64 s[0:1], vcc
	s_cbranch_execz .LBB63_968
; %bb.967:
	v_mov_b32_e32 v20, 0
	ds_read_b64 v[10:11], v20 offset:1552
	s_mov_b64 s[8:9], 0x3f800000
	v_mov_b32_e32 v19, s9
	v_mov_b32_e32 v18, s8
	ds_write_b64 v20, v[18:19] offset:1560
	s_waitcnt lgkmcnt(1)
	ds_write2_b64 v20, v[18:19], v[10:11] offset0:130 offset1:131
.LBB63_968:
	s_or_b64 exec, exec, s[0:1]
	v_mov_b32_e32 v10, 0
	v_mov_b32_e32 v11, 0
	s_waitcnt lgkmcnt(0)
	s_barrier
	buffer_wbinvl1_vol
	s_and_saveexec_b64 s[0:1], s[2:3]
	s_cbranch_execz .LBB63_972
; %bb.969:
	v_lshlrev_b32_e32 v10, 3, v12
	v_lshlrev_b32_e32 v18, 9, v13
	ds_read_b64 v[10:11], v10 offset:1024
	ds_read_b64 v[18:19], v18 offset:1040
	v_cmp_gt_u32_e64 s[8:9], 2, v15
	s_waitcnt lgkmcnt(0)
	v_mul_f32_e32 v20, v19, v11
	v_mul_f32_e32 v11, v18, v11
	v_fma_f32 v18, v18, v10, -v20
	v_fmac_f32_e32 v11, v19, v10
	v_add_f32_e32 v10, 0, v18
	v_add_f32_e32 v11, 0, v11
	s_and_saveexec_b64 s[10:11], s[8:9]
	s_cbranch_execz .LBB63_971
; %bb.970:
	v_lshlrev_b32_e32 v15, 3, v0
	v_mov_b32_e32 v20, 0
	ds_read_b64 v[18:19], v15 offset:1536
	ds_read_b64 v[20:21], v20 offset:1560
	s_waitcnt lgkmcnt(0)
	v_mul_f32_e32 v15, v21, v19
	v_mul_f32_e32 v19, v20, v19
	v_fma_f32 v15, v20, v18, -v15
	v_fmac_f32_e32 v19, v21, v18
	v_add_f32_e32 v10, v10, v15
	v_add_f32_e32 v11, v11, v19
.LBB63_971:
	s_or_b64 exec, exec, s[10:11]
.LBB63_972:
	s_or_b64 exec, exec, s[0:1]
	s_and_saveexec_b64 s[0:1], s[34:35]
; %bb.973:
	v_xor_b32_e32 v19, 0x80000000, v11
	v_xor_b32_e32 v18, 0x80000000, v10
	ds_write_b64 v14, v[18:19]
; %bb.974:
	s_or_b64 exec, exec, s[0:1]
	s_waitcnt lgkmcnt(0)
	s_barrier
	s_and_saveexec_b64 s[0:1], s[30:31]
	s_cbranch_execz .LBB63_976
; %bb.975:
	v_mov_b32_e32 v15, 0
	ds_read_b64 v[18:19], v15 offset:512
	ds_read_b64 v[20:21], v14
	s_waitcnt lgkmcnt(0)
	v_mul_f32_e32 v15, v20, v18
	v_mul_f32_e32 v20, v20, v19
	v_fmac_f32_e32 v20, v21, v18
	v_fma_f32 v15, v21, v19, -v15
	v_add_f32_e32 v10, v10, v15
	v_sub_f32_e32 v11, v11, v20
.LBB63_976:
	s_or_b64 exec, exec, s[0:1]
	s_barrier
	s_and_saveexec_b64 s[0:1], s[30:31]
; %bb.977:
	v_xor_b32_e32 v19, 0x80000000, v11
	v_xor_b32_e32 v18, 0x80000000, v10
	ds_write_b64 v14, v[18:19]
; %bb.978:
	s_or_b64 exec, exec, s[0:1]
	s_waitcnt lgkmcnt(0)
	s_barrier
	s_barrier
	s_and_saveexec_b64 s[0:1], s[2:3]
; %bb.979:
	v_lshlrev_b32_e32 v12, 3, v12
	v_lshl_or_b32 v12, v13, 9, v12
	ds_write_b64 v12, v[10:11] offset:1024
; %bb.980:
	s_or_b64 exec, exec, s[0:1]
	s_waitcnt lgkmcnt(0)
	s_barrier
	s_barrier
	s_and_saveexec_b64 s[0:1], s[36:37]
	s_cbranch_execz .LBB63_982
; %bb.981:
	v_lshlrev_b32_e32 v12, 3, v0
	s_movk_i32 s2, 0x1f8
	v_mad_u32_u24 v13, v0, s2, v12
	ds_read_b64 v[10:11], v13 offset:1024
	s_waitcnt lgkmcnt(0)
	ds_write_b64 v12, v[10:11] offset:16
	ds_read_b64 v[10:11], v13 offset:1032
	s_waitcnt lgkmcnt(0)
	ds_write_b64 v12, v[10:11] offset:528
.LBB63_982:
	s_or_b64 exec, exec, s[0:1]
	s_waitcnt lgkmcnt(0)
	s_barrier
	s_and_saveexec_b64 s[0:1], vcc
	s_cbranch_execz .LBB63_984
; %bb.983:
	v_mov_b32_e32 v14, 0
	ds_read_b64 v[10:11], v14 offset:512
	s_mov_b64 s[2:3], 0x3f800000
	v_mov_b32_e32 v13, s3
	v_mov_b32_e32 v12, s2
	ds_write_b64 v14, v[12:13] offset:520
	s_waitcnt lgkmcnt(1)
	ds_write2_b64 v14, v[12:13], v[10:11] offset1:1
.LBB63_984:
	s_or_b64 exec, exec, s[0:1]
.LBB63_985:
	s_load_dwordx8 s[12:19], s[4:5], 0x30
	s_load_dwordx2 s[0:1], s[4:5], 0x50
	v_cmp_le_i32_e32 vcc, s7, v0
	v_mov_b32_e32 v10, 0
	v_lshl_add_u32 v12, s6, 6, v0
	s_waitcnt lgkmcnt(0)
	s_mul_i32 s3, s19, s28
	s_mul_hi_u32 s4, s18, s28
	s_mul_i32 s2, s18, s28
	s_add_i32 s3, s4, s3
	s_lshl_b64 s[2:3], s[2:3], 3
	s_add_u32 s4, s12, s2
	s_addc_u32 s5, s13, s3
	s_lshl_b64 s[2:3], s[14:15], 3
	s_add_u32 s30, s4, s2
	s_addc_u32 s31, s5, s3
	s_and_b64 s[14:15], vcc, s[22:23]
	v_cmp_eq_u32_e64 s[2:3], 0, v1
	s_xor_b64 s[4:5], s[14:15], -1
	s_and_b64 s[8:9], s[2:3], s[4:5]
	v_mov_b32_e32 v11, v10
	s_barrier
	s_and_saveexec_b64 s[4:5], s[8:9]
	s_cbranch_execz .LBB63_987
; %bb.986:
	v_ashrrev_i32_e32 v13, 31, v12
	v_mul_lo_u32 v14, s17, v12
	v_mad_u64_u32 v[10:11], s[8:9], s16, v12, 0
	v_mul_lo_u32 v13, s16, v13
	v_add3_u32 v11, v11, v13, v14
	v_lshlrev_b64 v[10:11], 3, v[10:11]
	v_mov_b32_e32 v13, s31
	v_add_co_u32_e32 v10, vcc, s30, v10
	v_addc_co_u32_e32 v11, vcc, v13, v11, vcc
	global_load_dwordx2 v[13:14], v[10:11], off
	s_waitcnt vmcnt(0)
	v_mul_f32_e32 v10, s26, v13
	v_mul_f32_e32 v11, s26, v14
	v_fma_f32 v10, s27, v14, -v10
	v_fma_f32 v11, v13, -s27, -v11
.LBB63_987:
	s_or_b64 exec, exec, s[4:5]
	s_and_b32 s4, 0xffff, s20
	v_mad_u32_u24 v18, v1, s4, v0
	s_cmp_lt_i32 s6, 1
	v_cmp_eq_u32_e64 s[4:5], 0, v18
	s_cbranch_scc1 .LBB63_1022
; %bb.988:
	v_mad_u64_u32 v[13:14], s[8:9], s24, v12, 0
	s_mov_b32 s24, 0
	v_cmp_gt_u32_e64 s[12:13], 64, v18
	v_mad_u64_u32 v[14:15], s[8:9], s25, v12, v[14:15]
	s_lshl_b64 s[8:9], s[28:29], 2
	s_add_u32 s18, s0, s8
	s_addc_u32 s19, s1, s9
	v_cmp_gt_i32_e64 s[8:9], s33, v12
	v_lshlrev_b64 v[12:13], 3, v[13:14]
	v_mov_b32_e32 v15, 0xa000
	v_mov_b32_e32 v14, s87
	v_add_co_u32_e32 v21, vcc, s86, v12
	v_lshl_add_u32 v19, v18, 3, v15
	v_lshl_or_b32 v20, v1, 3, v15
	s_add_i32 s25, s6, -1
	v_addc_co_u32_e32 v22, vcc, v14, v13, vcc
	v_mov_b32_e32 v23, -1
	v_mov_b32_e32 v13, 0
	s_branch .LBB63_991
.LBB63_989:                             ;   in Loop: Header=BB63_991 Depth=1
	ds_read_b64 v[14:15], v20 offset:384
	s_waitcnt vmcnt(0) lgkmcnt(0)
	v_mul_f32_e32 v25, v24, v15
	v_mul_f32_e32 v24, v24, v14
	v_fmac_f32_e32 v25, v12, v14
	v_fma_f32 v12, v12, v15, -v24
	v_add_f32_e32 v10, v10, v25
	v_add_f32_e32 v11, v11, v12
.LBB63_990:                             ;   in Loop: Header=BB63_991 Depth=1
	s_or_b64 exec, exec, s[20:21]
	s_add_i32 s24, s24, 1
	s_cmp_eq_u32 s24, s6
	s_cbranch_scc1 .LBB63_1022
.LBB63_991:                             ; =>This Loop Header: Depth=1
                                        ;     Child Loop BB63_993 Depth 2
	v_cmp_gt_i32_e32 vcc, s24, v23
	s_and_b64 s[20:21], s[4:5], vcc
	s_and_saveexec_b64 s[10:11], s[20:21]
	s_cbranch_execz .LBB63_994
; %bb.992:                              ;   in Loop: Header=BB63_991 Depth=1
	global_load_dword v23, v13, s[18:19]
	s_waitcnt vmcnt(0)
	v_cmp_le_i32_e32 vcc, s24, v23
	s_cbranch_vccnz .LBB63_994
.LBB63_993:                             ;   Parent Loop BB63_991 Depth=1
                                        ; =>  This Inner Loop Header: Depth=2
	buffer_wbinvl1_vol
	global_load_dword v23, v13, s[18:19]
	s_waitcnt vmcnt(0)
	v_cmp_gt_i32_e32 vcc, s24, v23
	s_cbranch_vccnz .LBB63_993
.LBB63_994:                             ;   in Loop: Header=BB63_991 Depth=1
	s_or_b64 exec, exec, s[10:11]
	s_lshl_b32 s26, s24, 6
	buffer_wbinvl1_vol
	s_barrier
	s_and_saveexec_b64 s[10:11], s[12:13]
	s_cbranch_execz .LBB63_999
; %bb.995:                              ;   in Loop: Header=BB63_991 Depth=1
	v_or_b32_e32 v12, s26, v18
	v_cmp_le_i32_e32 vcc, s33, v12
	s_and_saveexec_b64 s[20:21], vcc
	s_xor_b64 s[20:21], exec, s[20:21]
; %bb.996:                              ;   in Loop: Header=BB63_991 Depth=1
	v_mov_b32_e32 v12, v13
	ds_write_b64 v19, v[12:13]
                                        ; implicit-def: $vgpr12
; %bb.997:                              ;   in Loop: Header=BB63_991 Depth=1
	s_andn2_saveexec_b64 s[20:21], s[20:21]
	s_cbranch_execz .LBB63_999
; %bb.998:                              ;   in Loop: Header=BB63_991 Depth=1
	v_mad_u64_u32 v[14:15], s[20:21], s16, v12, 0
	v_mad_u64_u32 v[24:25], s[20:21], s17, v12, v[15:16]
	v_mov_b32_e32 v12, s31
	v_mov_b32_e32 v15, v24
	v_lshlrev_b64 v[14:15], 3, v[14:15]
	v_add_co_u32_e32 v14, vcc, s30, v14
	v_addc_co_u32_e32 v15, vcc, v12, v15, vcc
	global_load_dwordx2 v[14:15], v[14:15], off
	s_waitcnt vmcnt(0)
	ds_write_b64 v19, v[14:15]
.LBB63_999:                             ;   in Loop: Header=BB63_991 Depth=1
	s_or_b64 exec, exec, s[10:11]
	v_add_u32_e32 v12, s26, v1
	v_lshlrev_b64 v[14:15], 3, v[12:13]
	s_cmp_lg_u32 s24, s25
	v_add_co_u32_e32 v14, vcc, v21, v14
	s_cselect_b64 s[10:11], -1, 0
	v_addc_co_u32_e32 v15, vcc, v22, v15, vcc
	v_cmp_gt_i32_e32 vcc, s33, v12
	v_cndmask_b32_e64 v24, 0, 1, s[10:11]
	s_and_b64 s[26:27], vcc, s[8:9]
	v_cmp_ne_u32_e64 s[10:11], 1, v24
	s_waitcnt lgkmcnt(0)
	s_barrier
	s_and_saveexec_b64 s[20:21], s[26:27]
	s_cbranch_execz .LBB63_1005
; %bb.1000:                             ;   in Loop: Header=BB63_991 Depth=1
	s_and_b64 vcc, exec, s[10:11]
	v_mov_b32_e32 v24, v4
	s_cbranch_vccnz .LBB63_1002
; %bb.1001:                             ;   in Loop: Header=BB63_991 Depth=1
	global_load_dword v24, v[14:15], off
.LBB63_1002:                            ;   in Loop: Header=BB63_991 Depth=1
	s_and_b64 vcc, exec, s[10:11]
	v_mov_b32_e32 v25, v5
	s_cbranch_vccnz .LBB63_1004
; %bb.1003:                             ;   in Loop: Header=BB63_991 Depth=1
	global_load_dword v25, v[14:15], off offset:4
.LBB63_1004:                            ;   in Loop: Header=BB63_991 Depth=1
	ds_read_b64 v[26:27], v20
	s_waitcnt vmcnt(0) lgkmcnt(0)
	v_mul_f32_e32 v28, v25, v27
	v_mul_f32_e32 v25, v25, v26
	v_fmac_f32_e32 v28, v24, v26
	v_fma_f32 v24, v24, v27, -v25
	v_add_f32_e32 v10, v10, v28
	v_add_f32_e32 v11, v11, v24
.LBB63_1005:                            ;   in Loop: Header=BB63_991 Depth=1
	s_or_b64 exec, exec, s[20:21]
	v_add_u32_e32 v24, 16, v12
	v_cmp_gt_i32_e32 vcc, s33, v24
	s_and_b64 s[26:27], vcc, s[8:9]
	s_and_saveexec_b64 s[20:21], s[26:27]
	s_cbranch_execz .LBB63_1011
; %bb.1006:                             ;   in Loop: Header=BB63_991 Depth=1
	s_and_b64 vcc, exec, s[10:11]
	v_mov_b32_e32 v24, v2
	s_cbranch_vccnz .LBB63_1008
; %bb.1007:                             ;   in Loop: Header=BB63_991 Depth=1
	global_load_dword v24, v[14:15], off offset:128
.LBB63_1008:                            ;   in Loop: Header=BB63_991 Depth=1
	s_and_b64 vcc, exec, s[10:11]
	v_mov_b32_e32 v25, v3
	s_cbranch_vccnz .LBB63_1010
; %bb.1009:                             ;   in Loop: Header=BB63_991 Depth=1
	global_load_dword v25, v[14:15], off offset:132
.LBB63_1010:                            ;   in Loop: Header=BB63_991 Depth=1
	ds_read_b64 v[26:27], v20 offset:128
	s_waitcnt vmcnt(0) lgkmcnt(0)
	v_mul_f32_e32 v28, v25, v27
	v_mul_f32_e32 v25, v25, v26
	v_fmac_f32_e32 v28, v24, v26
	v_fma_f32 v24, v24, v27, -v25
	v_add_f32_e32 v10, v10, v28
	v_add_f32_e32 v11, v11, v24
.LBB63_1011:                            ;   in Loop: Header=BB63_991 Depth=1
	s_or_b64 exec, exec, s[20:21]
	v_add_u32_e32 v24, 32, v12
	v_cmp_gt_i32_e32 vcc, s33, v24
	s_and_b64 s[26:27], vcc, s[8:9]
	s_and_saveexec_b64 s[20:21], s[26:27]
	s_cbranch_execz .LBB63_1017
; %bb.1012:                             ;   in Loop: Header=BB63_991 Depth=1
	s_and_b64 vcc, exec, s[10:11]
	v_mov_b32_e32 v24, v8
	s_cbranch_vccnz .LBB63_1014
; %bb.1013:                             ;   in Loop: Header=BB63_991 Depth=1
	global_load_dword v24, v[14:15], off offset:256
.LBB63_1014:                            ;   in Loop: Header=BB63_991 Depth=1
	s_and_b64 vcc, exec, s[10:11]
	v_mov_b32_e32 v25, v9
	s_cbranch_vccnz .LBB63_1016
; %bb.1015:                             ;   in Loop: Header=BB63_991 Depth=1
	global_load_dword v25, v[14:15], off offset:260
.LBB63_1016:                            ;   in Loop: Header=BB63_991 Depth=1
	ds_read_b64 v[26:27], v20 offset:256
	s_waitcnt vmcnt(0) lgkmcnt(0)
	v_mul_f32_e32 v28, v25, v27
	v_mul_f32_e32 v25, v25, v26
	v_fmac_f32_e32 v28, v24, v26
	v_fma_f32 v24, v24, v27, -v25
	v_add_f32_e32 v10, v10, v28
	v_add_f32_e32 v11, v11, v24
.LBB63_1017:                            ;   in Loop: Header=BB63_991 Depth=1
	s_or_b64 exec, exec, s[20:21]
	v_add_u32_e32 v12, 48, v12
	v_cmp_gt_i32_e32 vcc, s33, v12
	s_and_b64 s[26:27], vcc, s[8:9]
	s_and_saveexec_b64 s[20:21], s[26:27]
	s_cbranch_execz .LBB63_990
; %bb.1018:                             ;   in Loop: Header=BB63_991 Depth=1
	s_and_b64 vcc, exec, s[10:11]
	v_mov_b32_e32 v12, v6
	s_cbranch_vccnz .LBB63_1020
; %bb.1019:                             ;   in Loop: Header=BB63_991 Depth=1
	global_load_dword v12, v[14:15], off offset:384
.LBB63_1020:                            ;   in Loop: Header=BB63_991 Depth=1
	s_and_b64 vcc, exec, s[10:11]
	v_mov_b32_e32 v24, v7
	s_cbranch_vccnz .LBB63_989
; %bb.1021:                             ;   in Loop: Header=BB63_991 Depth=1
	global_load_dword v24, v[14:15], off offset:388
	s_branch .LBB63_989
.LBB63_1022:
	s_xor_b64 s[4:5], s[22:23], -1
	v_lshlrev_b32_e32 v4, 3, v17
	ds_write_b64 v4, v[10:11] offset:32768
	s_waitcnt lgkmcnt(0)
	s_barrier
	s_and_saveexec_b64 s[8:9], s[2:3]
	s_cbranch_execz .LBB63_1024
; %bb.1023:
	v_lshlrev_b32_e32 v17, 3, v0
	ds_read2st64_b64 v[5:8], v17 offset0:65 offset1:66
	ds_read2st64_b64 v[12:15], v17 offset0:67 offset1:68
	ds_read_b64 v[2:3], v17 offset:40448
	s_waitcnt lgkmcnt(2)
	v_add_f32_e32 v5, v10, v5
	v_add_f32_e32 v6, v11, v6
	;; [unrolled: 1-line block ×4, first 2 shown]
	ds_read2st64_b64 v[5:8], v17 offset0:69 offset1:70
	s_waitcnt lgkmcnt(2)
	v_add_f32_e32 v9, v9, v12
	v_add_f32_e32 v10, v10, v13
	;; [unrolled: 1-line block ×4, first 2 shown]
	s_waitcnt lgkmcnt(0)
	v_add_f32_e32 v5, v9, v5
	ds_read2st64_b64 v[9:12], v17 offset0:71 offset1:72
	v_add_f32_e32 v6, v13, v6
	v_add_f32_e32 v13, v5, v7
	;; [unrolled: 1-line block ×3, first 2 shown]
	ds_read2st64_b64 v[5:8], v17 offset0:73 offset1:74
	s_waitcnt lgkmcnt(1)
	v_add_f32_e32 v9, v13, v9
	v_add_f32_e32 v10, v14, v10
	;; [unrolled: 1-line block ×4, first 2 shown]
	s_waitcnt lgkmcnt(0)
	v_add_f32_e32 v5, v9, v5
	ds_read2st64_b64 v[9:12], v17 offset0:75 offset1:76
	v_add_f32_e32 v6, v13, v6
	v_add_f32_e32 v13, v5, v7
	v_add_f32_e32 v14, v6, v8
	ds_read2st64_b64 v[5:8], v17 offset0:77 offset1:78
	s_waitcnt lgkmcnt(1)
	v_add_f32_e32 v9, v13, v9
	v_add_f32_e32 v10, v14, v10
	;; [unrolled: 1-line block ×4, first 2 shown]
	s_waitcnt lgkmcnt(0)
	v_add_f32_e32 v5, v9, v5
	v_add_f32_e32 v6, v10, v6
	;; [unrolled: 1-line block ×6, first 2 shown]
	v_cndmask_b32_e64 v10, -v2, 0, s[14:15]
	v_cndmask_b32_e64 v11, -v3, 0, s[14:15]
.LBB63_1024:
	s_or_b64 exec, exec, s[8:9]
	s_and_b64 vcc, exec, s[40:41]
	s_cbranch_vccnz .LBB63_1037
; %bb.1025:
	v_mov_b32_e32 v2, 0xa000
	v_lshl_or_b32 v5, v1, 3, v2
	s_and_saveexec_b64 s[8:9], s[2:3]
; %bb.1026:
	v_lshl_add_u32 v2, v0, 3, v5
	ds_write_b64 v2, v[10:11]
; %bb.1027:
	s_or_b64 exec, exec, s[8:9]
	v_cmp_le_u32_e32 vcc, v1, v0
	v_mov_b32_e32 v2, 0
	v_mov_b32_e32 v3, 0
	s_waitcnt lgkmcnt(0)
	s_barrier
	s_and_saveexec_b64 s[8:9], vcc
	s_cbranch_execz .LBB63_1029
; %bb.1028:
	ds_read_b64 v[2:3], v4
	ds_read_b64 v[6:7], v5
	s_waitcnt lgkmcnt(0)
	v_mul_f32_e32 v8, v7, v3
	v_mul_f32_e32 v3, v6, v3
	v_fma_f32 v6, v6, v2, -v8
	v_fmac_f32_e32 v3, v7, v2
	v_add_f32_e32 v2, 0, v6
	v_add_f32_e32 v3, 0, v3
.LBB63_1029:
	s_or_b64 exec, exec, s[8:9]
	v_add_u32_e32 v6, 16, v1
	v_cmp_ge_u32_e32 vcc, v0, v6
	s_and_saveexec_b64 s[8:9], vcc
	s_cbranch_execz .LBB63_1031
; %bb.1030:
	ds_read_b64 v[6:7], v4 offset:8192
	ds_read_b64 v[8:9], v5 offset:128
	s_waitcnt lgkmcnt(0)
	v_mul_f32_e32 v12, v9, v7
	v_mul_f32_e32 v7, v8, v7
	v_fma_f32 v8, v8, v6, -v12
	v_fmac_f32_e32 v7, v9, v6
	v_add_f32_e32 v2, v2, v8
	v_add_f32_e32 v3, v3, v7
.LBB63_1031:
	s_or_b64 exec, exec, s[8:9]
	v_add_u32_e32 v6, 32, v1
	v_cmp_ge_u32_e32 vcc, v0, v6
	s_and_saveexec_b64 s[8:9], vcc
	s_cbranch_execz .LBB63_1033
; %bb.1032:
	ds_read_b64 v[6:7], v4 offset:16384
	ds_read_b64 v[8:9], v5 offset:256
	s_waitcnt lgkmcnt(0)
	v_mul_f32_e32 v12, v9, v7
	v_mul_f32_e32 v7, v8, v7
	v_fma_f32 v8, v8, v6, -v12
	v_fmac_f32_e32 v7, v9, v6
	v_add_f32_e32 v2, v2, v8
	v_add_f32_e32 v3, v3, v7
.LBB63_1033:
	s_or_b64 exec, exec, s[8:9]
	v_add_u32_e32 v1, 48, v1
	v_add_u32_e32 v6, 0x8000, v4
	v_cmp_ge_u32_e32 vcc, v0, v1
	s_and_saveexec_b64 s[8:9], vcc
	s_cbranch_execz .LBB63_1035
; %bb.1034:
	ds_read_b64 v[7:8], v4 offset:24576
	ds_read_b64 v[4:5], v5 offset:384
	s_waitcnt lgkmcnt(0)
	v_mul_f32_e32 v1, v5, v8
	v_mul_f32_e32 v8, v4, v8
	v_fma_f32 v1, v4, v7, -v1
	v_fmac_f32_e32 v8, v5, v7
	v_add_f32_e32 v2, v2, v1
	v_add_f32_e32 v3, v3, v8
.LBB63_1035:
	s_or_b64 exec, exec, s[8:9]
	s_mov_b64 s[10:11], 0
	s_mov_b64 s[8:9], 0
	ds_write_b64 v6, v[2:3]
	s_waitcnt lgkmcnt(0)
	s_barrier
                                        ; implicit-def: $vgpr1
                                        ; implicit-def: $vgpr6
                                        ; implicit-def: $vgpr4_vgpr5
	s_and_saveexec_b64 s[12:13], s[2:3]
	s_cbranch_execz .LBB63_1050
; %bb.1036:
	v_lshlrev_b32_e32 v9, 3, v0
	ds_read2st64_b64 v[4:7], v9 offset0:65 offset1:66
	ds_read2st64_b64 v[12:15], v9 offset0:67 offset1:68
	ds_read_b64 v[19:20], v9 offset:40448
	s_mov_b64 s[8:9], exec
	s_waitcnt lgkmcnt(2)
	v_add_f32_e32 v1, v2, v4
	v_add_f32_e32 v2, v3, v5
	;; [unrolled: 1-line block ×4, first 2 shown]
	ds_read2st64_b64 v[1:4], v9 offset0:69 offset1:70
	s_waitcnt lgkmcnt(2)
	v_add_f32_e32 v5, v5, v12
	v_add_f32_e32 v6, v6, v13
	;; [unrolled: 1-line block ×4, first 2 shown]
	s_waitcnt lgkmcnt(0)
	v_add_f32_e32 v1, v5, v1
	ds_read2st64_b64 v[5:8], v9 offset0:71 offset1:72
	v_add_f32_e32 v2, v12, v2
	v_add_f32_e32 v12, v1, v3
	v_add_f32_e32 v13, v2, v4
	ds_read2st64_b64 v[1:4], v9 offset0:73 offset1:74
	s_waitcnt lgkmcnt(1)
	v_add_f32_e32 v5, v12, v5
	v_add_f32_e32 v6, v13, v6
	v_add_f32_e32 v5, v5, v7
	v_add_f32_e32 v12, v6, v8
	s_waitcnt lgkmcnt(0)
	v_add_f32_e32 v1, v5, v1
	ds_read2st64_b64 v[5:8], v9 offset0:75 offset1:76
	v_add_f32_e32 v2, v12, v2
	ds_read2st64_b64 v[12:15], v9 offset0:77 offset1:78
	v_add_f32_e32 v1, v1, v3
	v_lshl_add_u32 v3, s6, 6, v18
	v_add_f32_e32 v2, v2, v4
	s_waitcnt lgkmcnt(1)
	v_add_f32_e32 v1, v1, v5
	v_mad_u64_u32 v[4:5], s[14:15], s16, v3, 0
	v_add_f32_e32 v1, v1, v7
	v_add_f32_e32 v2, v2, v6
	s_waitcnt lgkmcnt(0)
	v_add_f32_e32 v1, v1, v12
	v_add_f32_e32 v2, v2, v8
	v_add_f32_e32 v7, v1, v14
	v_mov_b32_e32 v1, v5
	v_add_f32_e32 v6, v2, v13
	v_mad_u64_u32 v[2:3], s[14:15], s17, v3, v[1:2]
	v_add_f32_e32 v1, v6, v15
	v_add_f32_e32 v6, v7, v19
	;; [unrolled: 1-line block ×3, first 2 shown]
	v_mov_b32_e32 v5, v2
	s_or_b64 exec, exec, s[12:13]
	s_and_b64 vcc, exec, s[10:11]
	s_cbranch_vccnz .LBB63_1038
	s_branch .LBB63_1051
.LBB63_1037:
	s_mov_b64 s[8:9], 0
                                        ; implicit-def: $vgpr1
                                        ; implicit-def: $vgpr6
                                        ; implicit-def: $vgpr4_vgpr5
	s_cbranch_execz .LBB63_1051
.LBB63_1038:
	s_mov_b32 s12, 0
	v_mov_b32_e32 v1, 0
	v_mov_b32_e32 v2, v0
	s_branch .LBB63_1040
.LBB63_1039:                            ;   in Loop: Header=BB63_1040 Depth=1
	s_or_b64 exec, exec, s[10:11]
	s_add_i32 s12, s12, 2
	v_add_u32_e32 v16, 0x400, v16
	s_cmp_lg_u32 s12, 64
	v_add_u32_e32 v2, -2, v2
	s_barrier
	s_cbranch_scc0 .LBB63_1048
.LBB63_1040:                            ; =>This Inner Loop Header: Depth=1
	v_cmp_eq_u32_e32 vcc, 0, v2
	s_and_b64 s[14:15], s[2:3], vcc
	s_and_saveexec_b64 s[10:11], s[14:15]
; %bb.1041:                             ;   in Loop: Header=BB63_1040 Depth=1
	ds_write_b64 v1, v[10:11] offset:41472
; %bb.1042:                             ;   in Loop: Header=BB63_1040 Depth=1
	s_or_b64 exec, exec, s[10:11]
	v_cmp_lt_u32_e32 vcc, s12, v0
	s_and_b64 s[14:15], s[2:3], vcc
	s_waitcnt lgkmcnt(0)
	s_barrier
	s_and_saveexec_b64 s[10:11], s[14:15]
	s_cbranch_execz .LBB63_1044
; %bb.1043:                             ;   in Loop: Header=BB63_1040 Depth=1
	ds_read_b64 v[3:4], v16
	ds_read_b64 v[5:6], v1 offset:41472
	s_waitcnt lgkmcnt(0)
	v_mul_f32_e32 v7, v6, v4
	v_mul_f32_e32 v4, v5, v4
	v_fma_f32 v5, v5, v3, -v7
	v_fmac_f32_e32 v4, v6, v3
	v_add_f32_e32 v10, v10, v5
	v_add_f32_e32 v11, v11, v4
.LBB63_1044:                            ;   in Loop: Header=BB63_1040 Depth=1
	s_or_b64 exec, exec, s[10:11]
	s_or_b32 s13, s12, 1
	v_cmp_eq_u32_e32 vcc, s13, v0
	s_and_b64 s[14:15], s[2:3], vcc
	s_barrier
	s_and_saveexec_b64 s[10:11], s[14:15]
; %bb.1045:                             ;   in Loop: Header=BB63_1040 Depth=1
	ds_write_b64 v1, v[10:11] offset:41472
; %bb.1046:                             ;   in Loop: Header=BB63_1040 Depth=1
	s_or_b64 exec, exec, s[10:11]
	v_cmp_lt_u32_e32 vcc, s13, v0
	s_and_b64 s[14:15], s[2:3], vcc
	s_waitcnt lgkmcnt(0)
	s_barrier
	s_and_saveexec_b64 s[10:11], s[14:15]
	s_cbranch_execz .LBB63_1039
; %bb.1047:                             ;   in Loop: Header=BB63_1040 Depth=1
	ds_read_b64 v[3:4], v16 offset:512
	ds_read_b64 v[5:6], v1 offset:41472
	s_waitcnt lgkmcnt(0)
	v_mul_f32_e32 v7, v6, v4
	v_mul_f32_e32 v4, v5, v4
	v_fma_f32 v5, v5, v3, -v7
	v_fmac_f32_e32 v4, v6, v3
	v_add_f32_e32 v10, v10, v5
	v_add_f32_e32 v11, v11, v4
	s_branch .LBB63_1039
.LBB63_1048:
	s_and_b64 vcc, exec, s[4:5]
	s_cbranch_vccz .LBB63_1052
; %bb.1049:
	s_and_b64 s[4:5], s[2:3], exec
	s_cbranch_execz .LBB63_1053
	s_branch .LBB63_1054
.LBB63_1050:
	s_or_b64 exec, exec, s[12:13]
	s_and_b64 vcc, exec, s[10:11]
	s_cbranch_vccnz .LBB63_1038
.LBB63_1051:
	v_mov_b32_e32 v11, v1
	v_mov_b32_e32 v10, v6
	s_and_saveexec_b64 s[2:3], s[8:9]
	s_cbranch_execnz .LBB63_1057
	s_branch .LBB63_1058
.LBB63_1052:
	s_mov_b64 s[4:5], 0
.LBB63_1053:
	v_cmp_gt_i32_e32 vcc, s7, v0
	s_and_b64 s[2:3], s[2:3], vcc
	s_andn2_b64 s[4:5], s[4:5], exec
	s_and_b64 s[2:3], s[2:3], exec
	s_or_b64 s[4:5], s[4:5], s[2:3]
.LBB63_1054:
                                        ; implicit-def: $vgpr4_vgpr5
	s_and_saveexec_b64 s[2:3], s[4:5]
	s_cbranch_execz .LBB63_1056
; %bb.1055:
	s_lshl_b32 s4, s6, 6
	s_ashr_i32 s5, s4, 31
	v_mov_b32_e32 v0, s5
	v_add_co_u32_e32 v1, vcc, s4, v18
	v_addc_co_u32_e32 v0, vcc, 0, v0, vcc
	v_mul_lo_u32 v0, v0, s16
	v_mul_lo_u32 v2, v1, s17
	v_mad_u64_u32 v[4:5], s[4:5], v1, s16, 0
	s_or_b64 s[8:9], s[8:9], exec
	v_add3_u32 v5, v5, v2, v0
.LBB63_1056:
	s_or_b64 exec, exec, s[2:3]
	s_and_saveexec_b64 s[2:3], s[8:9]
	s_cbranch_execz .LBB63_1058
.LBB63_1057:
	v_lshlrev_b64 v[0:1], 3, v[4:5]
	v_mov_b32_e32 v2, s31
	v_add_co_u32_e32 v0, vcc, s30, v0
	v_addc_co_u32_e32 v1, vcc, v2, v1, vcc
	global_store_dwordx2 v[0:1], v[10:11], off
.LBB63_1058:
	s_or_b64 exec, exec, s[2:3]
	v_cmp_eq_u32_e32 vcc, 0, v18
	s_waitcnt vmcnt(0)
	buffer_wbinvl1_vol
	s_barrier
	s_and_saveexec_b64 s[2:3], vcc
	s_cbranch_execz .LBB63_1060
; %bb.1059:
	s_lshl_b64 s[4:5], s[28:29], 2
	s_add_u32 s0, s0, s4
	s_addc_u32 s1, s1, s5
	v_mov_b32_e32 v0, 0
	global_load_dword v1, v0, s[0:1]
	s_waitcnt vmcnt(0)
	v_add_u32_e32 v1, 1, v1
	global_store_dword v0, v1, s[0:1]
.LBB63_1060:
	s_or_b64 exec, exec, s[2:3]
	s_waitcnt vmcnt(0)
	buffer_wbinvl1_vol
	s_endpgm
.LBB63_1061:
	ds_read_b64 v[23:24], v21 offset:31680
	ds_read_b64 v[25:26], v22 offset:31208
	s_waitcnt lgkmcnt(0)
	v_mul_f32_e32 v27, v26, v24
	v_mul_f32_e32 v24, v25, v24
	v_fma_f32 v25, v25, v23, -v27
	v_fmac_f32_e32 v24, v26, v23
	v_add_f32_e32 v10, v10, v25
	v_add_f32_e32 v11, v11, v24
	s_or_b64 exec, exec, s[14:15]
	v_cmp_gt_u32_e64 s[10:11], 8, v15
	s_and_saveexec_b64 s[14:15], s[10:11]
	s_cbranch_execz .LBB63_85
.LBB63_1062:
	ds_read_b64 v[23:24], v21 offset:32192
	ds_read_b64 v[21:22], v22 offset:31216
	s_waitcnt lgkmcnt(0)
	v_mul_f32_e32 v25, v22, v24
	v_mul_f32_e32 v24, v21, v24
	v_fma_f32 v21, v21, v23, -v25
	v_fmac_f32_e32 v24, v22, v23
	v_add_f32_e32 v10, v10, v21
	v_add_f32_e32 v11, v11, v24
	s_or_b64 exec, exec, s[14:15]
	v_cmp_gt_u32_e64 s[10:11], 4, v15
	s_and_saveexec_b64 s[14:15], s[10:11]
	s_cbranch_execnz .LBB63_86
	s_branch .LBB63_87
.LBB63_1063:
	ds_read_b64 v[26:27], v24 offset:29568
	ds_read_b64 v[28:29], v25 offset:29128
	s_waitcnt lgkmcnt(0)
	v_mul_f32_e32 v30, v29, v27
	v_mul_f32_e32 v27, v28, v27
	v_fma_f32 v28, v28, v26, -v30
	v_fmac_f32_e32 v27, v29, v26
	v_add_f32_e32 v10, v10, v28
	v_add_f32_e32 v11, v11, v27
	s_or_b64 exec, exec, s[16:17]
	v_cmp_gt_u32_e64 s[14:15], 48, v15
	s_and_saveexec_b64 s[16:17], s[14:15]
	s_cbranch_execz .LBB63_127
.LBB63_1064:
	ds_read_b64 v[26:27], v24 offset:30080
	ds_read_b64 v[28:29], v25 offset:29136
	s_waitcnt lgkmcnt(0)
	v_mul_f32_e32 v30, v29, v27
	v_mul_f32_e32 v27, v28, v27
	v_fma_f32 v28, v28, v26, -v30
	v_fmac_f32_e32 v27, v29, v26
	v_add_f32_e32 v10, v10, v28
	v_add_f32_e32 v11, v11, v27
	s_or_b64 exec, exec, s[16:17]
	v_cmp_gt_u32_e64 s[14:15], 40, v15
	s_and_saveexec_b64 s[16:17], s[14:15]
	s_cbranch_execz .LBB63_128
.LBB63_1065:
	ds_read_b64 v[26:27], v24 offset:30592
	ds_read_b64 v[28:29], v25 offset:29144
	s_waitcnt lgkmcnt(0)
	v_mul_f32_e32 v30, v29, v27
	v_mul_f32_e32 v27, v28, v27
	v_fma_f32 v28, v28, v26, -v30
	v_fmac_f32_e32 v27, v29, v26
	v_add_f32_e32 v10, v10, v28
	v_add_f32_e32 v11, v11, v27
	s_or_b64 exec, exec, s[16:17]
	v_cmp_gt_u32_e64 s[14:15], 32, v15
	s_and_saveexec_b64 s[16:17], s[14:15]
	s_cbranch_execz .LBB63_129
.LBB63_1066:
	ds_read_b64 v[26:27], v24 offset:31104
	ds_read_b64 v[28:29], v25 offset:29152
	s_waitcnt lgkmcnt(0)
	v_mul_f32_e32 v30, v29, v27
	v_mul_f32_e32 v27, v28, v27
	v_fma_f32 v28, v28, v26, -v30
	v_fmac_f32_e32 v27, v29, v26
	v_add_f32_e32 v10, v10, v28
	v_add_f32_e32 v11, v11, v27
	s_or_b64 exec, exec, s[16:17]
	v_cmp_gt_u32_e64 s[14:15], 24, v15
	s_and_saveexec_b64 s[16:17], s[14:15]
	s_cbranch_execz .LBB63_130
.LBB63_1067:
	ds_read_b64 v[26:27], v24 offset:31616
	ds_read_b64 v[28:29], v25 offset:29160
	s_waitcnt lgkmcnt(0)
	v_mul_f32_e32 v30, v29, v27
	v_mul_f32_e32 v27, v28, v27
	v_fma_f32 v28, v28, v26, -v30
	v_fmac_f32_e32 v27, v29, v26
	v_add_f32_e32 v10, v10, v28
	v_add_f32_e32 v11, v11, v27
	s_or_b64 exec, exec, s[16:17]
	s_and_saveexec_b64 s[14:15], s[18:19]
	s_cbranch_execz .LBB63_131
.LBB63_1068:
	ds_read_b64 v[26:27], v24 offset:32128
	ds_read_b64 v[24:25], v25 offset:29168
	s_waitcnt lgkmcnt(0)
	v_mul_f32_e32 v28, v25, v27
	v_mul_f32_e32 v27, v24, v27
	v_fma_f32 v24, v24, v26, -v28
	v_fmac_f32_e32 v27, v25, v26
	v_add_f32_e32 v10, v10, v24
	v_add_f32_e32 v11, v11, v27
	s_or_b64 exec, exec, s[14:15]
	v_cmp_gt_u32_e64 s[14:15], 8, v15
	s_and_saveexec_b64 s[16:17], s[14:15]
	s_cbranch_execnz .LBB63_132
	s_branch .LBB63_133
.LBB63_1069:
	ds_read_b64 v[26:27], v24 offset:27520
	ds_read_b64 v[28:29], v25 offset:27048
	s_waitcnt lgkmcnt(0)
	v_mul_f32_e32 v30, v29, v27
	v_mul_f32_e32 v27, v28, v27
	v_fma_f32 v28, v28, v26, -v30
	v_fmac_f32_e32 v27, v29, v26
	v_add_f32_e32 v10, v10, v28
	v_add_f32_e32 v11, v11, v27
	s_or_b64 exec, exec, s[14:15]
	v_cmp_gt_u32_e64 s[10:11], 8, v15
	s_and_saveexec_b64 s[14:15], s[10:11]
	s_cbranch_execz .LBB63_189
.LBB63_1070:
	ds_read_b64 v[26:27], v24 offset:28032
	ds_read_b64 v[24:25], v25 offset:27056
	s_waitcnt lgkmcnt(0)
	v_mul_f32_e32 v28, v25, v27
	v_mul_f32_e32 v27, v24, v27
	v_fma_f32 v24, v24, v26, -v28
	v_fmac_f32_e32 v27, v25, v26
	v_add_f32_e32 v10, v10, v24
	v_add_f32_e32 v11, v11, v27
	s_or_b64 exec, exec, s[14:15]
	v_cmp_gt_u32_e64 s[10:11], 4, v15
	s_and_saveexec_b64 s[14:15], s[10:11]
	s_cbranch_execnz .LBB63_190
	s_branch .LBB63_191
.LBB63_1071:
	ds_read_b64 v[29:30], v27 offset:30464
	ds_read_b64 v[31:32], v28 offset:25048
	s_waitcnt lgkmcnt(0)
	v_mul_f32_e32 v33, v32, v30
	v_mul_f32_e32 v30, v31, v30
	v_fma_f32 v31, v31, v29, -v33
	v_fmac_f32_e32 v30, v32, v29
	v_add_f32_e32 v10, v10, v31
	v_add_f32_e32 v11, v11, v30
	s_or_b64 exec, exec, s[20:21]
	s_and_saveexec_b64 s[16:17], s[8:9]
	s_cbranch_execz .LBB63_251
.LBB63_1072:
	ds_read_b64 v[29:30], v27 offset:30976
	ds_read_b64 v[31:32], v28 offset:25056
	s_waitcnt lgkmcnt(0)
	v_mul_f32_e32 v33, v32, v30
	v_mul_f32_e32 v30, v31, v30
	v_fma_f32 v31, v31, v29, -v33
	v_fmac_f32_e32 v30, v32, v29
	v_add_f32_e32 v10, v10, v31
	v_add_f32_e32 v11, v11, v30
	s_or_b64 exec, exec, s[16:17]
	v_cmp_gt_u32_e64 s[16:17], 48, v15
	s_and_saveexec_b64 s[20:21], s[16:17]
	s_cbranch_execz .LBB63_252
.LBB63_1073:
	ds_read_b64 v[29:30], v27 offset:31488
	ds_read_b64 v[31:32], v28 offset:25064
	s_waitcnt lgkmcnt(0)
	v_mul_f32_e32 v33, v32, v30
	v_mul_f32_e32 v30, v31, v30
	v_fma_f32 v31, v31, v29, -v33
	v_fmac_f32_e32 v30, v32, v29
	v_add_f32_e32 v10, v10, v31
	v_add_f32_e32 v11, v11, v30
	s_or_b64 exec, exec, s[20:21]
	v_cmp_gt_u32_e64 s[16:17], 32, v15
	s_and_saveexec_b64 s[20:21], s[16:17]
	s_cbranch_execz .LBB63_253
.LBB63_1074:
	ds_read_b64 v[29:30], v27 offset:32000
	ds_read_b64 v[27:28], v28 offset:25072
	s_waitcnt lgkmcnt(0)
	v_mul_f32_e32 v31, v28, v30
	v_mul_f32_e32 v30, v27, v30
	v_fma_f32 v27, v27, v29, -v31
	v_fmac_f32_e32 v30, v28, v29
	v_add_f32_e32 v10, v10, v27
	v_add_f32_e32 v11, v11, v30
	s_or_b64 exec, exec, s[20:21]
	v_cmp_gt_u32_e64 s[16:17], 16, v15
	s_and_saveexec_b64 s[20:21], s[16:17]
	s_cbranch_execnz .LBB63_254
	s_branch .LBB63_255
.LBB63_1075:
	ds_read_b64 v[29:30], v27 offset:23360
	ds_read_b64 v[31:32], v28 offset:22888
	s_waitcnt lgkmcnt(0)
	v_mul_f32_e32 v33, v32, v30
	v_mul_f32_e32 v30, v31, v30
	v_fma_f32 v31, v31, v29, -v33
	v_fmac_f32_e32 v30, v32, v29
	v_add_f32_e32 v10, v10, v31
	v_add_f32_e32 v11, v11, v30
	s_or_b64 exec, exec, s[20:21]
	v_cmp_gt_u32_e64 s[14:15], 8, v15
	s_and_saveexec_b64 s[20:21], s[14:15]
	s_cbranch_execz .LBB63_343
.LBB63_1076:
	ds_read_b64 v[29:30], v27 offset:23872
	ds_read_b64 v[27:28], v28 offset:22896
	s_waitcnt lgkmcnt(0)
	v_mul_f32_e32 v31, v28, v30
	v_mul_f32_e32 v30, v27, v30
	v_fma_f32 v27, v27, v29, -v31
	v_fmac_f32_e32 v30, v28, v29
	v_add_f32_e32 v10, v10, v27
	v_add_f32_e32 v11, v11, v30
	s_or_b64 exec, exec, s[20:21]
	v_cmp_gt_u32_e64 s[14:15], 4, v15
	s_and_saveexec_b64 s[20:21], s[14:15]
	s_cbranch_execnz .LBB63_344
	s_branch .LBB63_345
.LBB63_1077:
	ds_read_b64 v[29:30], v27 offset:21248
	ds_read_b64 v[31:32], v28 offset:20808
	s_waitcnt lgkmcnt(0)
	v_mul_f32_e32 v33, v32, v30
	v_mul_f32_e32 v30, v31, v30
	v_fma_f32 v31, v31, v29, -v33
	v_fmac_f32_e32 v30, v32, v29
	v_add_f32_e32 v10, v10, v31
	v_add_f32_e32 v11, v11, v30
	s_or_b64 exec, exec, s[20:21]
	v_cmp_gt_u32_e64 s[14:15], 48, v15
	s_and_saveexec_b64 s[20:21], s[14:15]
	s_cbranch_execz .LBB63_385
.LBB63_1078:
	ds_read_b64 v[29:30], v27 offset:21760
	ds_read_b64 v[31:32], v28 offset:20816
	s_waitcnt lgkmcnt(0)
	v_mul_f32_e32 v33, v32, v30
	v_mul_f32_e32 v30, v31, v30
	v_fma_f32 v31, v31, v29, -v33
	v_fmac_f32_e32 v30, v32, v29
	v_add_f32_e32 v10, v10, v31
	v_add_f32_e32 v11, v11, v30
	s_or_b64 exec, exec, s[20:21]
	v_cmp_gt_u32_e64 s[14:15], 40, v15
	s_and_saveexec_b64 s[20:21], s[14:15]
	s_cbranch_execz .LBB63_386
.LBB63_1079:
	ds_read_b64 v[29:30], v27 offset:22272
	ds_read_b64 v[31:32], v28 offset:20824
	s_waitcnt lgkmcnt(0)
	v_mul_f32_e32 v33, v32, v30
	v_mul_f32_e32 v30, v31, v30
	v_fma_f32 v31, v31, v29, -v33
	v_fmac_f32_e32 v30, v32, v29
	v_add_f32_e32 v10, v10, v31
	v_add_f32_e32 v11, v11, v30
	s_or_b64 exec, exec, s[20:21]
	v_cmp_gt_u32_e64 s[14:15], 32, v15
	s_and_saveexec_b64 s[20:21], s[14:15]
	s_cbranch_execz .LBB63_387
.LBB63_1080:
	ds_read_b64 v[29:30], v27 offset:22784
	ds_read_b64 v[31:32], v28 offset:20832
	s_waitcnt lgkmcnt(0)
	v_mul_f32_e32 v33, v32, v30
	v_mul_f32_e32 v30, v31, v30
	v_fma_f32 v31, v31, v29, -v33
	v_fmac_f32_e32 v30, v32, v29
	v_add_f32_e32 v10, v10, v31
	v_add_f32_e32 v11, v11, v30
	s_or_b64 exec, exec, s[20:21]
	v_cmp_gt_u32_e64 s[14:15], 24, v15
	s_and_saveexec_b64 s[20:21], s[14:15]
	s_cbranch_execz .LBB63_388
.LBB63_1081:
	ds_read_b64 v[29:30], v27 offset:23296
	ds_read_b64 v[31:32], v28 offset:20840
	s_waitcnt lgkmcnt(0)
	v_mul_f32_e32 v33, v32, v30
	v_mul_f32_e32 v30, v31, v30
	v_fma_f32 v31, v31, v29, -v33
	v_fmac_f32_e32 v30, v32, v29
	v_add_f32_e32 v10, v10, v31
	v_add_f32_e32 v11, v11, v30
	s_or_b64 exec, exec, s[20:21]
	s_and_saveexec_b64 s[14:15], s[18:19]
	s_cbranch_execz .LBB63_389
.LBB63_1082:
	ds_read_b64 v[29:30], v27 offset:23808
	ds_read_b64 v[27:28], v28 offset:20848
	s_waitcnt lgkmcnt(0)
	v_mul_f32_e32 v31, v28, v30
	v_mul_f32_e32 v30, v27, v30
	v_fma_f32 v27, v27, v29, -v31
	v_fmac_f32_e32 v30, v28, v29
	v_add_f32_e32 v10, v10, v27
	v_add_f32_e32 v11, v11, v30
	s_or_b64 exec, exec, s[14:15]
	v_cmp_gt_u32_e64 s[14:15], 8, v15
	s_and_saveexec_b64 s[20:21], s[14:15]
	s_cbranch_execnz .LBB63_390
	s_branch .LBB63_391
.LBB63_1083:
	ds_read_b64 v[29:30], v27 offset:19200
	ds_read_b64 v[31:32], v28 offset:18728
	s_waitcnt lgkmcnt(0)
	v_mul_f32_e32 v33, v32, v30
	v_mul_f32_e32 v30, v31, v30
	v_fma_f32 v31, v31, v29, -v33
	v_fmac_f32_e32 v30, v32, v29
	v_add_f32_e32 v10, v10, v31
	v_add_f32_e32 v11, v11, v30
	s_or_b64 exec, exec, s[20:21]
	v_cmp_gt_u32_e64 s[14:15], 8, v15
	s_and_saveexec_b64 s[20:21], s[14:15]
	s_cbranch_execz .LBB63_447
.LBB63_1084:
	ds_read_b64 v[29:30], v27 offset:19712
	ds_read_b64 v[27:28], v28 offset:18736
	s_waitcnt lgkmcnt(0)
	v_mul_f32_e32 v31, v28, v30
	v_mul_f32_e32 v30, v27, v30
	v_fma_f32 v27, v27, v29, -v31
	v_fmac_f32_e32 v30, v28, v29
	v_add_f32_e32 v10, v10, v27
	v_add_f32_e32 v11, v11, v30
	s_or_b64 exec, exec, s[20:21]
	v_cmp_gt_u32_e64 s[14:15], 4, v15
	s_and_saveexec_b64 s[20:21], s[14:15]
	s_cbranch_execnz .LBB63_448
	s_branch .LBB63_449
.LBB63_1085:
	ds_read_b64 v[32:33], v30 offset:31232
	ds_read_b64 v[34:35], v31 offset:16872
	s_waitcnt lgkmcnt(0)
	v_mul_f32_e32 v36, v35, v33
	v_mul_f32_e32 v33, v34, v33
	v_fma_f32 v34, v34, v32, -v36
	v_fmac_f32_e32 v33, v35, v32
	v_add_f32_e32 v10, v10, v34
	v_add_f32_e32 v11, v11, v33
	s_or_b64 exec, exec, s[84:85]
	s_and_saveexec_b64 s[20:21], s[8:9]
	s_cbranch_execz .LBB63_545
.LBB63_1086:
	ds_read_b64 v[32:33], v30 offset:31744
	ds_read_b64 v[34:35], v31 offset:16880
	s_waitcnt lgkmcnt(0)
	v_mul_f32_e32 v36, v35, v33
	v_mul_f32_e32 v33, v34, v33
	v_fma_f32 v34, v34, v32, -v36
	v_fmac_f32_e32 v33, v35, v32
	v_add_f32_e32 v10, v10, v34
	v_add_f32_e32 v11, v11, v33
	s_or_b64 exec, exec, s[20:21]
	v_cmp_gt_u32_e64 s[20:21], 32, v15
	s_and_saveexec_b64 s[84:85], s[20:21]
	s_cbranch_execnz .LBB63_546
	s_branch .LBB63_547
.LBB63_1087:
	ds_read_b64 v[29:30], v27 offset:15040
	ds_read_b64 v[31:32], v28 offset:14568
	s_waitcnt lgkmcnt(0)
	v_mul_f32_e32 v33, v32, v30
	v_mul_f32_e32 v30, v31, v30
	v_fma_f32 v31, v31, v29, -v33
	v_fmac_f32_e32 v30, v32, v29
	v_add_f32_e32 v10, v10, v31
	v_add_f32_e32 v11, v11, v30
	s_or_b64 exec, exec, s[16:17]
	v_cmp_gt_u32_e64 s[12:13], 8, v15
	s_and_saveexec_b64 s[16:17], s[12:13]
	s_cbranch_execz .LBB63_583
.LBB63_1088:
	ds_read_b64 v[29:30], v27 offset:15552
	ds_read_b64 v[27:28], v28 offset:14576
	s_waitcnt lgkmcnt(0)
	v_mul_f32_e32 v31, v28, v30
	v_mul_f32_e32 v30, v27, v30
	v_fma_f32 v27, v27, v29, -v31
	v_fmac_f32_e32 v30, v28, v29
	v_add_f32_e32 v10, v10, v27
	v_add_f32_e32 v11, v11, v30
	s_or_b64 exec, exec, s[16:17]
	v_cmp_gt_u32_e64 s[12:13], 4, v15
	s_and_saveexec_b64 s[16:17], s[12:13]
	s_cbranch_execnz .LBB63_584
	s_branch .LBB63_585
.LBB63_1089:
	ds_read_b64 v[29:30], v27 offset:12928
	ds_read_b64 v[31:32], v28 offset:12488
	s_waitcnt lgkmcnt(0)
	v_mul_f32_e32 v33, v32, v30
	v_mul_f32_e32 v30, v31, v30
	v_fma_f32 v31, v31, v29, -v33
	v_fmac_f32_e32 v30, v32, v29
	v_add_f32_e32 v10, v10, v31
	v_add_f32_e32 v11, v11, v30
	s_or_b64 exec, exec, s[16:17]
	v_cmp_gt_u32_e64 s[12:13], 48, v15
	s_and_saveexec_b64 s[16:17], s[12:13]
	s_cbranch_execz .LBB63_625
.LBB63_1090:
	ds_read_b64 v[29:30], v27 offset:13440
	ds_read_b64 v[31:32], v28 offset:12496
	s_waitcnt lgkmcnt(0)
	v_mul_f32_e32 v33, v32, v30
	v_mul_f32_e32 v30, v31, v30
	v_fma_f32 v31, v31, v29, -v33
	v_fmac_f32_e32 v30, v32, v29
	v_add_f32_e32 v10, v10, v31
	v_add_f32_e32 v11, v11, v30
	s_or_b64 exec, exec, s[16:17]
	v_cmp_gt_u32_e64 s[12:13], 40, v15
	s_and_saveexec_b64 s[16:17], s[12:13]
	s_cbranch_execz .LBB63_626
.LBB63_1091:
	ds_read_b64 v[29:30], v27 offset:13952
	ds_read_b64 v[31:32], v28 offset:12504
	s_waitcnt lgkmcnt(0)
	v_mul_f32_e32 v33, v32, v30
	v_mul_f32_e32 v30, v31, v30
	v_fma_f32 v31, v31, v29, -v33
	v_fmac_f32_e32 v30, v32, v29
	v_add_f32_e32 v10, v10, v31
	v_add_f32_e32 v11, v11, v30
	s_or_b64 exec, exec, s[16:17]
	v_cmp_gt_u32_e64 s[12:13], 32, v15
	s_and_saveexec_b64 s[16:17], s[12:13]
	s_cbranch_execz .LBB63_627
.LBB63_1092:
	ds_read_b64 v[29:30], v27 offset:14464
	ds_read_b64 v[31:32], v28 offset:12512
	s_waitcnt lgkmcnt(0)
	v_mul_f32_e32 v33, v32, v30
	v_mul_f32_e32 v30, v31, v30
	v_fma_f32 v31, v31, v29, -v33
	v_fmac_f32_e32 v30, v32, v29
	v_add_f32_e32 v10, v10, v31
	v_add_f32_e32 v11, v11, v30
	s_or_b64 exec, exec, s[16:17]
	v_cmp_gt_u32_e64 s[12:13], 24, v15
	s_and_saveexec_b64 s[16:17], s[12:13]
	s_cbranch_execz .LBB63_628
.LBB63_1093:
	ds_read_b64 v[29:30], v27 offset:14976
	ds_read_b64 v[31:32], v28 offset:12520
	s_waitcnt lgkmcnt(0)
	v_mul_f32_e32 v33, v32, v30
	v_mul_f32_e32 v30, v31, v30
	v_fma_f32 v31, v31, v29, -v33
	v_fmac_f32_e32 v30, v32, v29
	v_add_f32_e32 v10, v10, v31
	v_add_f32_e32 v11, v11, v30
	s_or_b64 exec, exec, s[16:17]
	s_and_saveexec_b64 s[12:13], s[18:19]
	s_cbranch_execz .LBB63_629
.LBB63_1094:
	ds_read_b64 v[29:30], v27 offset:15488
	ds_read_b64 v[27:28], v28 offset:12528
	s_waitcnt lgkmcnt(0)
	v_mul_f32_e32 v31, v28, v30
	v_mul_f32_e32 v30, v27, v30
	v_fma_f32 v27, v27, v29, -v31
	v_fmac_f32_e32 v30, v28, v29
	v_add_f32_e32 v10, v10, v27
	v_add_f32_e32 v11, v11, v30
	s_or_b64 exec, exec, s[12:13]
	v_cmp_gt_u32_e64 s[12:13], 8, v15
	s_and_saveexec_b64 s[16:17], s[12:13]
	s_cbranch_execnz .LBB63_630
	s_branch .LBB63_631
.LBB63_1095:
	ds_read_b64 v[29:30], v27 offset:10880
	ds_read_b64 v[31:32], v28 offset:10408
	s_waitcnt lgkmcnt(0)
	v_mul_f32_e32 v33, v32, v30
	v_mul_f32_e32 v30, v31, v30
	v_fma_f32 v31, v31, v29, -v33
	v_fmac_f32_e32 v30, v32, v29
	v_add_f32_e32 v10, v10, v31
	v_add_f32_e32 v11, v11, v30
	s_or_b64 exec, exec, s[16:17]
	v_cmp_gt_u32_e64 s[12:13], 8, v15
	s_and_saveexec_b64 s[16:17], s[12:13]
	s_cbranch_execz .LBB63_687
.LBB63_1096:
	ds_read_b64 v[29:30], v27 offset:11392
	ds_read_b64 v[27:28], v28 offset:10416
	s_waitcnt lgkmcnt(0)
	v_mul_f32_e32 v31, v28, v30
	v_mul_f32_e32 v30, v27, v30
	v_fma_f32 v27, v27, v29, -v31
	v_fmac_f32_e32 v30, v28, v29
	v_add_f32_e32 v10, v10, v27
	v_add_f32_e32 v11, v11, v30
	s_or_b64 exec, exec, s[16:17]
	v_cmp_gt_u32_e64 s[12:13], 4, v15
	s_and_saveexec_b64 s[16:17], s[12:13]
	s_cbranch_execnz .LBB63_688
	s_branch .LBB63_689
.LBB63_1097:
	ds_read_b64 v[29:30], v27 offset:13824
	ds_read_b64 v[31:32], v28 offset:8408
	s_waitcnt lgkmcnt(0)
	v_mul_f32_e32 v33, v32, v30
	v_mul_f32_e32 v30, v31, v30
	v_fma_f32 v31, v31, v29, -v33
	v_fmac_f32_e32 v30, v32, v29
	v_add_f32_e32 v10, v10, v31
	v_add_f32_e32 v11, v11, v30
	s_or_b64 exec, exec, s[16:17]
	s_and_saveexec_b64 s[12:13], s[8:9]
	s_cbranch_execz .LBB63_749
.LBB63_1098:
	ds_read_b64 v[29:30], v27 offset:14336
	ds_read_b64 v[31:32], v28 offset:8416
	s_waitcnt lgkmcnt(0)
	v_mul_f32_e32 v33, v32, v30
	v_mul_f32_e32 v30, v31, v30
	v_fma_f32 v31, v31, v29, -v33
	v_fmac_f32_e32 v30, v32, v29
	v_add_f32_e32 v10, v10, v31
	v_add_f32_e32 v11, v11, v30
	s_or_b64 exec, exec, s[12:13]
	v_cmp_gt_u32_e64 s[12:13], 48, v15
	s_and_saveexec_b64 s[16:17], s[12:13]
	s_cbranch_execz .LBB63_750
.LBB63_1099:
	ds_read_b64 v[29:30], v27 offset:14848
	ds_read_b64 v[31:32], v28 offset:8424
	s_waitcnt lgkmcnt(0)
	v_mul_f32_e32 v33, v32, v30
	v_mul_f32_e32 v30, v31, v30
	v_fma_f32 v31, v31, v29, -v33
	v_fmac_f32_e32 v30, v32, v29
	v_add_f32_e32 v10, v10, v31
	v_add_f32_e32 v11, v11, v30
	s_or_b64 exec, exec, s[16:17]
	v_cmp_gt_u32_e64 s[12:13], 32, v15
	s_and_saveexec_b64 s[16:17], s[12:13]
	s_cbranch_execz .LBB63_751
.LBB63_1100:
	ds_read_b64 v[29:30], v27 offset:15360
	ds_read_b64 v[27:28], v28 offset:8432
	s_waitcnt lgkmcnt(0)
	v_mul_f32_e32 v31, v28, v30
	v_mul_f32_e32 v30, v27, v30
	v_fma_f32 v27, v27, v29, -v31
	v_fmac_f32_e32 v30, v28, v29
	v_add_f32_e32 v10, v10, v27
	v_add_f32_e32 v11, v11, v30
	s_or_b64 exec, exec, s[16:17]
	v_cmp_gt_u32_e64 s[12:13], 16, v15
	s_and_saveexec_b64 s[16:17], s[12:13]
	s_cbranch_execnz .LBB63_752
	s_branch .LBB63_753
.LBB63_1101:
	ds_read_b64 v[26:27], v24 offset:6720
	ds_read_b64 v[28:29], v25 offset:6248
	s_waitcnt lgkmcnt(0)
	v_mul_f32_e32 v30, v29, v27
	v_mul_f32_e32 v27, v28, v27
	v_fma_f32 v28, v28, v26, -v30
	v_fmac_f32_e32 v27, v29, v26
	v_add_f32_e32 v10, v10, v28
	v_add_f32_e32 v11, v11, v27
	s_or_b64 exec, exec, s[12:13]
	v_cmp_gt_u32_e64 s[10:11], 8, v15
	s_and_saveexec_b64 s[12:13], s[10:11]
	s_cbranch_execz .LBB63_841
.LBB63_1102:
	ds_read_b64 v[26:27], v24 offset:7232
	ds_read_b64 v[24:25], v25 offset:6256
	s_waitcnt lgkmcnt(0)
	v_mul_f32_e32 v28, v25, v27
	v_mul_f32_e32 v27, v24, v27
	v_fma_f32 v24, v24, v26, -v28
	v_fmac_f32_e32 v27, v25, v26
	v_add_f32_e32 v10, v10, v24
	v_add_f32_e32 v11, v11, v27
	s_or_b64 exec, exec, s[12:13]
	v_cmp_gt_u32_e64 s[10:11], 4, v15
	s_and_saveexec_b64 s[12:13], s[10:11]
	s_cbranch_execnz .LBB63_842
	s_branch .LBB63_843
.LBB63_1103:
	ds_read_b64 v[26:27], v24 offset:4608
	ds_read_b64 v[28:29], v25 offset:4168
	s_waitcnt lgkmcnt(0)
	v_mul_f32_e32 v30, v29, v27
	v_mul_f32_e32 v27, v28, v27
	v_fma_f32 v28, v28, v26, -v30
	v_fmac_f32_e32 v27, v29, v26
	v_add_f32_e32 v10, v10, v28
	v_add_f32_e32 v11, v11, v27
	s_or_b64 exec, exec, s[12:13]
	v_cmp_gt_u32_e64 s[10:11], 48, v15
	s_and_saveexec_b64 s[12:13], s[10:11]
	s_cbranch_execz .LBB63_883
.LBB63_1104:
	ds_read_b64 v[26:27], v24 offset:5120
	ds_read_b64 v[28:29], v25 offset:4176
	s_waitcnt lgkmcnt(0)
	v_mul_f32_e32 v30, v29, v27
	v_mul_f32_e32 v27, v28, v27
	v_fma_f32 v28, v28, v26, -v30
	v_fmac_f32_e32 v27, v29, v26
	v_add_f32_e32 v10, v10, v28
	v_add_f32_e32 v11, v11, v27
	s_or_b64 exec, exec, s[12:13]
	v_cmp_gt_u32_e64 s[10:11], 40, v15
	s_and_saveexec_b64 s[12:13], s[10:11]
	s_cbranch_execz .LBB63_884
.LBB63_1105:
	ds_read_b64 v[26:27], v24 offset:5632
	ds_read_b64 v[28:29], v25 offset:4184
	s_waitcnt lgkmcnt(0)
	v_mul_f32_e32 v30, v29, v27
	v_mul_f32_e32 v27, v28, v27
	v_fma_f32 v28, v28, v26, -v30
	v_fmac_f32_e32 v27, v29, v26
	v_add_f32_e32 v10, v10, v28
	v_add_f32_e32 v11, v11, v27
	s_or_b64 exec, exec, s[12:13]
	v_cmp_gt_u32_e64 s[10:11], 32, v15
	s_and_saveexec_b64 s[12:13], s[10:11]
	s_cbranch_execz .LBB63_885
.LBB63_1106:
	ds_read_b64 v[26:27], v24 offset:6144
	ds_read_b64 v[28:29], v25 offset:4192
	s_waitcnt lgkmcnt(0)
	v_mul_f32_e32 v30, v29, v27
	v_mul_f32_e32 v27, v28, v27
	v_fma_f32 v28, v28, v26, -v30
	v_fmac_f32_e32 v27, v29, v26
	v_add_f32_e32 v10, v10, v28
	v_add_f32_e32 v11, v11, v27
	s_or_b64 exec, exec, s[12:13]
	v_cmp_gt_u32_e64 s[10:11], 24, v15
	s_and_saveexec_b64 s[12:13], s[10:11]
	s_cbranch_execz .LBB63_886
.LBB63_1107:
	ds_read_b64 v[26:27], v24 offset:6656
	ds_read_b64 v[28:29], v25 offset:4200
	s_waitcnt lgkmcnt(0)
	v_mul_f32_e32 v30, v29, v27
	v_mul_f32_e32 v27, v28, v27
	v_fma_f32 v28, v28, v26, -v30
	v_fmac_f32_e32 v27, v29, v26
	v_add_f32_e32 v10, v10, v28
	v_add_f32_e32 v11, v11, v27
	s_or_b64 exec, exec, s[12:13]
	s_and_saveexec_b64 s[10:11], s[18:19]
	s_cbranch_execz .LBB63_887
.LBB63_1108:
	ds_read_b64 v[26:27], v24 offset:7168
	ds_read_b64 v[24:25], v25 offset:4208
	s_waitcnt lgkmcnt(0)
	v_mul_f32_e32 v28, v25, v27
	v_mul_f32_e32 v27, v24, v27
	v_fma_f32 v24, v24, v26, -v28
	v_fmac_f32_e32 v27, v25, v26
	v_add_f32_e32 v10, v10, v24
	v_add_f32_e32 v11, v11, v27
	s_or_b64 exec, exec, s[10:11]
	v_cmp_gt_u32_e64 s[10:11], 8, v15
	s_and_saveexec_b64 s[12:13], s[10:11]
	s_cbranch_execnz .LBB63_888
	s_branch .LBB63_889
.LBB63_1109:
	ds_read_b64 v[23:24], v21 offset:2560
	ds_read_b64 v[25:26], v22 offset:2088
	s_waitcnt lgkmcnt(0)
	v_mul_f32_e32 v27, v26, v24
	v_mul_f32_e32 v24, v25, v24
	v_fma_f32 v25, v25, v23, -v27
	v_fmac_f32_e32 v24, v26, v23
	v_add_f32_e32 v10, v10, v25
	v_add_f32_e32 v11, v11, v24
	s_or_b64 exec, exec, s[10:11]
	v_cmp_gt_u32_e64 s[8:9], 8, v15
	s_and_saveexec_b64 s[10:11], s[8:9]
	s_cbranch_execz .LBB63_945
.LBB63_1110:
	ds_read_b64 v[23:24], v21 offset:3072
	ds_read_b64 v[21:22], v22 offset:2096
	s_waitcnt lgkmcnt(0)
	v_mul_f32_e32 v25, v22, v24
	v_mul_f32_e32 v24, v21, v24
	v_fma_f32 v21, v21, v23, -v25
	v_fmac_f32_e32 v24, v22, v23
	v_add_f32_e32 v10, v10, v21
	v_add_f32_e32 v11, v11, v24
	s_or_b64 exec, exec, s[10:11]
	v_cmp_gt_u32_e64 s[8:9], 4, v15
	s_and_saveexec_b64 s[10:11], s[8:9]
	s_cbranch_execnz .LBB63_946
	s_branch .LBB63_947
	.section	.rodata,"a",@progbits
	.p2align	6, 0x0
	.amdhsa_kernel _ZL19rocblas_trsv_deviceILi64ELi16ELb0ELb1ELb1ELb1E19rocblas_complex_numIfES1_PKS1_PS1_EviT7_lllT6_T8_lllPii
		.amdhsa_group_segment_fixed_size 41480
		.amdhsa_private_segment_fixed_size 0
		.amdhsa_kernarg_size 352
		.amdhsa_user_sgpr_count 6
		.amdhsa_user_sgpr_private_segment_buffer 1
		.amdhsa_user_sgpr_dispatch_ptr 0
		.amdhsa_user_sgpr_queue_ptr 0
		.amdhsa_user_sgpr_kernarg_segment_ptr 1
		.amdhsa_user_sgpr_dispatch_id 0
		.amdhsa_user_sgpr_flat_scratch_init 0
		.amdhsa_user_sgpr_private_segment_size 0
		.amdhsa_uses_dynamic_stack 0
		.amdhsa_system_sgpr_private_segment_wavefront_offset 0
		.amdhsa_system_sgpr_workgroup_id_x 1
		.amdhsa_system_sgpr_workgroup_id_y 0
		.amdhsa_system_sgpr_workgroup_id_z 1
		.amdhsa_system_sgpr_workgroup_info 0
		.amdhsa_system_vgpr_workitem_id 1
		.amdhsa_next_free_vgpr 49
		.amdhsa_next_free_sgpr 98
		.amdhsa_reserve_vcc 1
		.amdhsa_reserve_flat_scratch 0
		.amdhsa_float_round_mode_32 0
		.amdhsa_float_round_mode_16_64 0
		.amdhsa_float_denorm_mode_32 3
		.amdhsa_float_denorm_mode_16_64 3
		.amdhsa_dx10_clamp 1
		.amdhsa_ieee_mode 1
		.amdhsa_fp16_overflow 0
		.amdhsa_exception_fp_ieee_invalid_op 0
		.amdhsa_exception_fp_denorm_src 0
		.amdhsa_exception_fp_ieee_div_zero 0
		.amdhsa_exception_fp_ieee_overflow 0
		.amdhsa_exception_fp_ieee_underflow 0
		.amdhsa_exception_fp_ieee_inexact 0
		.amdhsa_exception_int_div_zero 0
	.end_amdhsa_kernel
	.section	.text._ZL19rocblas_trsv_deviceILi64ELi16ELb0ELb1ELb1ELb1E19rocblas_complex_numIfES1_PKS1_PS1_EviT7_lllT6_T8_lllPii,"axG",@progbits,_ZL19rocblas_trsv_deviceILi64ELi16ELb0ELb1ELb1ELb1E19rocblas_complex_numIfES1_PKS1_PS1_EviT7_lllT6_T8_lllPii,comdat
.Lfunc_end63:
	.size	_ZL19rocblas_trsv_deviceILi64ELi16ELb0ELb1ELb1ELb1E19rocblas_complex_numIfES1_PKS1_PS1_EviT7_lllT6_T8_lllPii, .Lfunc_end63-_ZL19rocblas_trsv_deviceILi64ELi16ELb0ELb1ELb1ELb1E19rocblas_complex_numIfES1_PKS1_PS1_EviT7_lllT6_T8_lllPii
                                        ; -- End function
	.set _ZL19rocblas_trsv_deviceILi64ELi16ELb0ELb1ELb1ELb1E19rocblas_complex_numIfES1_PKS1_PS1_EviT7_lllT6_T8_lllPii.num_vgpr, 38
	.set _ZL19rocblas_trsv_deviceILi64ELi16ELb0ELb1ELb1ELb1E19rocblas_complex_numIfES1_PKS1_PS1_EviT7_lllT6_T8_lllPii.num_agpr, 0
	.set _ZL19rocblas_trsv_deviceILi64ELi16ELb0ELb1ELb1ELb1E19rocblas_complex_numIfES1_PKS1_PS1_EviT7_lllT6_T8_lllPii.numbered_sgpr, 96
	.set _ZL19rocblas_trsv_deviceILi64ELi16ELb0ELb1ELb1ELb1E19rocblas_complex_numIfES1_PKS1_PS1_EviT7_lllT6_T8_lllPii.num_named_barrier, 0
	.set _ZL19rocblas_trsv_deviceILi64ELi16ELb0ELb1ELb1ELb1E19rocblas_complex_numIfES1_PKS1_PS1_EviT7_lllT6_T8_lllPii.private_seg_size, 0
	.set _ZL19rocblas_trsv_deviceILi64ELi16ELb0ELb1ELb1ELb1E19rocblas_complex_numIfES1_PKS1_PS1_EviT7_lllT6_T8_lllPii.uses_vcc, 1
	.set _ZL19rocblas_trsv_deviceILi64ELi16ELb0ELb1ELb1ELb1E19rocblas_complex_numIfES1_PKS1_PS1_EviT7_lllT6_T8_lllPii.uses_flat_scratch, 0
	.set _ZL19rocblas_trsv_deviceILi64ELi16ELb0ELb1ELb1ELb1E19rocblas_complex_numIfES1_PKS1_PS1_EviT7_lllT6_T8_lllPii.has_dyn_sized_stack, 0
	.set _ZL19rocblas_trsv_deviceILi64ELi16ELb0ELb1ELb1ELb1E19rocblas_complex_numIfES1_PKS1_PS1_EviT7_lllT6_T8_lllPii.has_recursion, 0
	.set _ZL19rocblas_trsv_deviceILi64ELi16ELb0ELb1ELb1ELb1E19rocblas_complex_numIfES1_PKS1_PS1_EviT7_lllT6_T8_lllPii.has_indirect_call, 0
	.section	.AMDGPU.csdata,"",@progbits
; Kernel info:
; codeLenInByte = 39840
; TotalNumSgprs: 100
; NumVgprs: 38
; ScratchSize: 0
; MemoryBound: 0
; FloatMode: 240
; IeeeMode: 1
; LDSByteSize: 41480 bytes/workgroup (compile time only)
; SGPRBlocks: 12
; VGPRBlocks: 12
; NumSGPRsForWavesPerEU: 102
; NumVGPRsForWavesPerEU: 49
; Occupancy: 4
; WaveLimiterHint : 0
; COMPUTE_PGM_RSRC2:SCRATCH_EN: 0
; COMPUTE_PGM_RSRC2:USER_SGPR: 6
; COMPUTE_PGM_RSRC2:TRAP_HANDLER: 0
; COMPUTE_PGM_RSRC2:TGID_X_EN: 1
; COMPUTE_PGM_RSRC2:TGID_Y_EN: 0
; COMPUTE_PGM_RSRC2:TGID_Z_EN: 1
; COMPUTE_PGM_RSRC2:TIDIG_COMP_CNT: 1
	.section	.text._ZL19rocblas_trsv_deviceILi64ELi16ELb0ELb0ELb0ELb0E19rocblas_complex_numIfES1_PKS1_PS1_EviT7_lllT6_T8_lllPii,"axG",@progbits,_ZL19rocblas_trsv_deviceILi64ELi16ELb0ELb0ELb0ELb0E19rocblas_complex_numIfES1_PKS1_PS1_EviT7_lllT6_T8_lllPii,comdat
	.globl	_ZL19rocblas_trsv_deviceILi64ELi16ELb0ELb0ELb0ELb0E19rocblas_complex_numIfES1_PKS1_PS1_EviT7_lllT6_T8_lllPii ; -- Begin function _ZL19rocblas_trsv_deviceILi64ELi16ELb0ELb0ELb0ELb0E19rocblas_complex_numIfES1_PKS1_PS1_EviT7_lllT6_T8_lllPii
	.p2align	8
	.type	_ZL19rocblas_trsv_deviceILi64ELi16ELb0ELb0ELb0ELb0E19rocblas_complex_numIfES1_PKS1_PS1_EviT7_lllT6_T8_lllPii,@function
_ZL19rocblas_trsv_deviceILi64ELi16ELb0ELb0ELb0ELb0E19rocblas_complex_numIfES1_PKS1_PS1_EviT7_lllT6_T8_lllPii: ; @_ZL19rocblas_trsv_deviceILi64ELi16ELb0ELb0ELb0ELb0E19rocblas_complex_numIfES1_PKS1_PS1_EviT7_lllT6_T8_lllPii
; %bb.0:
	s_load_dwordx8 s[20:27], s[4:5], 0x8
	s_load_dword s30, s[4:5], 0x0
	s_add_u32 flat_scratch_lo, s6, s10
	s_addc_u32 flat_scratch_hi, s7, 0
	s_add_u32 s0, s0, s10
	s_waitcnt lgkmcnt(0)
	s_mul_i32 s6, s27, s9
	s_mul_hi_u32 s7, s26, s9
	s_addc_u32 s1, s1, 0
	s_add_i32 s7, s7, s6
	s_mul_i32 s6, s26, s9
	s_load_dword s11, s[4:5], 0x60
	s_load_dword s40, s[4:5], 0x6c
	s_lshl_b64 s[6:7], s[6:7], 3
	s_mov_b32 s28, s9
	s_add_u32 s9, s20, s6
	s_addc_u32 s10, s21, s7
	s_lshl_b64 s[6:7], s[22:23], 3
	s_add_u32 s81, s9, s6
	s_addc_u32 s82, s10, s7
	s_waitcnt lgkmcnt(0)
	s_add_i32 s9, s11, -1
	s_sub_i32 s83, s9, s8
	v_mov_b32_e32 v2, v1
	s_cmp_lg_u32 s8, 0
	s_mov_b32 s29, 0
	s_cbranch_scc0 .LBB64_1049
; %bb.1:
	s_lshl_b32 s33, s83, 6
	v_add3_u32 v1, v2, s33, 64
	v_ashrrev_i32_e32 v3, 31, v1
	v_mul_lo_u32 v7, s24, v3
	v_mul_lo_u32 v8, s25, v1
	v_mad_u64_u32 v[3:4], s[6:7], s24, v1, 0
	v_add_u32_e32 v5, s33, v0
	v_ashrrev_i32_e32 v6, 31, v5
	v_add3_u32 v4, v4, v7, v8
	v_lshlrev_b64 v[3:4], 3, v[3:4]
	v_mov_b32_e32 v7, s82
	v_add_co_u32_e64 v8, s[6:7], s81, v3
	v_addc_co_u32_e64 v7, s[6:7], v7, v4, s[6:7]
	v_lshlrev_b64 v[3:4], 3, v[5:6]
	v_cmp_gt_i32_e32 vcc, s30, v5
	v_add_co_u32_e64 v3, s[6:7], v8, v3
	v_addc_co_u32_e64 v4, s[6:7], v7, v4, s[6:7]
	v_max_i32_e32 v5, v5, v1
	v_cmp_le_i32_e64 s[6:7], s30, v5
	s_barrier
	s_and_saveexec_b64 s[10:11], s[6:7]
	s_xor_b64 s[6:7], exec, s[10:11]
	s_cbranch_execz .LBB64_3
; %bb.2:
	v_mov_b32_e32 v5, 0
	buffer_store_dword v5, off, s[0:3], 0
	buffer_store_dword v5, off, s[0:3], 0 offset:4
.LBB64_3:
	s_andn2_saveexec_b64 s[6:7], s[6:7]
	s_cbranch_execz .LBB64_5
; %bb.4:
	global_load_dwordx2 v[5:6], v[3:4], off
	s_waitcnt vmcnt(0)
	buffer_store_dword v6, off, s[0:3], 0 offset:4
	buffer_store_dword v5, off, s[0:3], 0
.LBB64_5:
	s_or_b64 exec, exec, s[6:7]
	v_add_u32_e32 v5, 16, v1
	v_cmp_le_i32_e64 s[6:7], s30, v5
	s_xor_b64 s[10:11], vcc, -1
	s_or_b64 s[6:7], s[10:11], s[6:7]
	s_waitcnt vmcnt(0)
	s_barrier
	s_and_saveexec_b64 s[12:13], s[6:7]
	s_xor_b64 s[6:7], exec, s[12:13]
	s_cbranch_execz .LBB64_7
; %bb.6:
	v_mov_b32_e32 v5, 0
	buffer_store_dword v5, off, s[0:3], 0 offset:8
	buffer_store_dword v5, off, s[0:3], 0 offset:12
.LBB64_7:
	s_andn2_saveexec_b64 s[6:7], s[6:7]
	s_cbranch_execz .LBB64_9
; %bb.8:
	s_lshl_b64 s[12:13], s[24:25], 7
	v_mov_b32_e32 v6, s13
	v_add_co_u32_e32 v5, vcc, s12, v3
	v_addc_co_u32_e32 v6, vcc, v4, v6, vcc
	global_load_dwordx2 v[5:6], v[5:6], off
	s_waitcnt vmcnt(0)
	buffer_store_dword v6, off, s[0:3], 0 offset:12
	buffer_store_dword v5, off, s[0:3], 0 offset:8
.LBB64_9:
	s_or_b64 exec, exec, s[6:7]
	v_add_u32_e32 v5, 32, v1
	v_cmp_le_i32_e32 vcc, s30, v5
	s_or_b64 s[6:7], s[10:11], vcc
	s_waitcnt vmcnt(0)
	s_barrier
	s_and_saveexec_b64 s[12:13], s[6:7]
	s_xor_b64 s[6:7], exec, s[12:13]
	s_cbranch_execz .LBB64_11
; %bb.10:
	v_mov_b32_e32 v5, 0
	buffer_store_dword v5, off, s[0:3], 0 offset:16
	buffer_store_dword v5, off, s[0:3], 0 offset:20
.LBB64_11:
	s_andn2_saveexec_b64 s[6:7], s[6:7]
	s_cbranch_execz .LBB64_13
; %bb.12:
	s_lshl_b64 s[12:13], s[24:25], 8
	v_mov_b32_e32 v6, s13
	v_add_co_u32_e32 v5, vcc, s12, v3
	v_addc_co_u32_e32 v6, vcc, v4, v6, vcc
	global_load_dwordx2 v[5:6], v[5:6], off
	s_waitcnt vmcnt(0)
	buffer_store_dword v6, off, s[0:3], 0 offset:20
	buffer_store_dword v5, off, s[0:3], 0 offset:16
.LBB64_13:
	s_or_b64 exec, exec, s[6:7]
	v_add_u32_e32 v1, 48, v1
	v_cmp_le_i32_e32 vcc, s30, v1
	s_or_b64 s[6:7], s[10:11], vcc
	s_waitcnt vmcnt(0)
	s_barrier
	s_and_saveexec_b64 s[10:11], s[6:7]
	s_xor_b64 s[6:7], exec, s[10:11]
	s_cbranch_execz .LBB64_15
; %bb.14:
	v_mov_b32_e32 v1, 0
	buffer_store_dword v1, off, s[0:3], 0 offset:24
	buffer_store_dword v1, off, s[0:3], 0 offset:28
                                        ; implicit-def: $vgpr3_vgpr4
.LBB64_15:
	s_andn2_saveexec_b64 s[6:7], s[6:7]
	s_cbranch_execz .LBB64_17
; %bb.16:
	v_mov_b32_e32 v1, 0x180
	v_mad_u64_u32 v[3:4], s[10:11], s24, v1, v[3:4]
	s_mul_i32 s10, s25, 0x180
	v_add_u32_e32 v4, s10, v4
	global_load_dwordx2 v[3:4], v[3:4], off
	s_waitcnt vmcnt(0)
	buffer_store_dword v4, off, s[0:3], 0 offset:28
	buffer_store_dword v3, off, s[0:3], 0 offset:24
.LBB64_17:
	s_or_b64 exec, exec, s[6:7]
	s_branch .LBB64_19
.LBB64_18:
	s_lshl_b32 s33, s83, 6
.LBB64_19:
	s_ashr_i32 s31, s30, 31
	s_lshr_b32 s6, s31, 26
	s_add_i32 s6, s30, s6
	s_andn2_b32 s6, s6, 63
	s_sub_i32 s80, s30, s6
	s_add_i32 s6, s30, -1
	s_ashr_i32 s7, s6, 31
	s_lshr_b32 s7, s7, 26
	s_add_i32 s6, s6, s7
	s_ashr_i32 s6, s6, 6
	s_cmp_eq_u32 s6, s83
	s_cselect_b64 s[6:7], -1, 0
	s_cmp_lg_u32 s80, 0
	s_cselect_b64 s[10:11], -1, 0
	s_and_b64 s[22:23], s[10:11], s[6:7]
	s_ashr_i32 s52, s33, 31
	s_add_u32 s12, s24, 1
	v_mov_b32_e32 v1, 0
	v_mov_b32_e32 v3, s33
	v_mad_u64_u32 v[3:4], s[6:7], s12, v3, v[0:1]
	s_addc_u32 s13, s25, 0
	s_mul_i32 s6, s12, s52
	s_mul_i32 s13, s13, s33
	s_add_i32 s6, s6, s13
	s_mov_b64 s[10:11], -1
	v_add_u32_e32 v4, s6, v4
	s_and_b64 vcc, exec, s[22:23]
	v_cmp_le_u32_e64 s[6:7], v2, v0
	v_lshl_add_u32 v1, v2, 6, v0
	s_cbranch_vccnz .LBB64_77
; %bb.20:
	v_mad_u64_u32 v[5:6], s[10:11], s24, v2, v[3:4]
	v_mad_u64_u32 v[6:7], s[10:11], s25, v2, v[6:7]
	s_and_saveexec_b64 s[10:11], s[6:7]
	s_xor_b64 s[6:7], exec, s[10:11]
	s_cbranch_execz .LBB64_32
; %bb.21:
	v_cmp_ne_u32_e32 vcc, v0, v2
	s_and_saveexec_b64 s[10:11], vcc
	s_xor_b64 s[10:11], exec, s[10:11]
	s_cbranch_execz .LBB64_25
; %bb.22:
	v_or_b32_e32 v5, v2, v0
	v_cmp_gt_u32_e32 vcc, 64, v5
	s_and_saveexec_b64 s[12:13], vcc
; %bb.23:
	v_mov_b32_e32 v5, 0
	v_lshlrev_b32_e32 v7, 3, v1
	v_mov_b32_e32 v6, v5
	ds_write_b64 v7, v[5:6]
; %bb.24:
	s_or_b64 exec, exec, s[12:13]
                                        ; implicit-def: $vgpr5_vgpr6
.LBB64_25:
	s_andn2_saveexec_b64 s[10:11], s[10:11]
	s_cbranch_execz .LBB64_31
; %bb.26:
	v_lshlrev_b64 v[5:6], 3, v[5:6]
	v_mov_b32_e32 v7, s82
	v_add_co_u32_e32 v5, vcc, s81, v5
	v_addc_co_u32_e32 v6, vcc, v7, v6, vcc
	global_load_dwordx2 v[5:6], v[5:6], off
                                        ; implicit-def: $vgpr7
	s_waitcnt vmcnt(0)
	v_cmp_ngt_f32_e64 s[12:13], |v5|, |v6|
	s_and_saveexec_b64 s[14:15], s[12:13]
	s_xor_b64 s[12:13], exec, s[14:15]
	s_cbranch_execz .LBB64_28
; %bb.27:
	v_div_scale_f32 v7, s[14:15], v6, v6, v5
	v_div_scale_f32 v8, vcc, v5, v6, v5
	v_rcp_f32_e32 v9, v7
	v_fma_f32 v10, -v7, v9, 1.0
	v_fmac_f32_e32 v9, v10, v9
	v_mul_f32_e32 v10, v8, v9
	v_fma_f32 v11, -v7, v10, v8
	v_fmac_f32_e32 v10, v11, v9
	v_fma_f32 v7, -v7, v10, v8
	v_div_fmas_f32 v7, v7, v9, v10
	v_div_fixup_f32 v7, v7, v6, v5
	v_fmac_f32_e32 v6, v5, v7
	v_div_scale_f32 v5, s[14:15], v6, v6, 1.0
	v_div_scale_f32 v8, vcc, 1.0, v6, 1.0
	v_rcp_f32_e32 v9, v5
	v_fma_f32 v10, -v5, v9, 1.0
	v_fmac_f32_e32 v9, v10, v9
	v_mul_f32_e32 v10, v8, v9
	v_fma_f32 v11, -v5, v10, v8
	v_fmac_f32_e32 v10, v11, v9
	v_fma_f32 v5, -v5, v10, v8
	v_div_fmas_f32 v5, v5, v9, v10
	v_div_fixup_f32 v5, v5, v6, 1.0
	v_mul_f32_e32 v7, v7, v5
	v_xor_b32_e32 v8, 0x80000000, v5
                                        ; implicit-def: $vgpr5_vgpr6
.LBB64_28:
	s_andn2_saveexec_b64 s[12:13], s[12:13]
	s_cbranch_execz .LBB64_30
; %bb.29:
	v_div_scale_f32 v7, s[14:15], v5, v5, v6
	v_div_scale_f32 v8, vcc, v6, v5, v6
	v_rcp_f32_e32 v9, v7
	v_fma_f32 v10, -v7, v9, 1.0
	v_fmac_f32_e32 v9, v10, v9
	v_mul_f32_e32 v10, v8, v9
	v_fma_f32 v11, -v7, v10, v8
	v_fmac_f32_e32 v10, v11, v9
	v_fma_f32 v7, -v7, v10, v8
	v_div_fmas_f32 v7, v7, v9, v10
	v_div_fixup_f32 v8, v7, v5, v6
	v_fmac_f32_e32 v5, v6, v8
	v_div_scale_f32 v6, s[14:15], v5, v5, 1.0
	v_div_scale_f32 v7, vcc, 1.0, v5, 1.0
	v_rcp_f32_e32 v9, v6
	v_fma_f32 v10, -v6, v9, 1.0
	v_fmac_f32_e32 v9, v10, v9
	v_mul_f32_e32 v10, v7, v9
	v_fma_f32 v11, -v6, v10, v7
	v_fmac_f32_e32 v10, v11, v9
	v_fma_f32 v6, -v6, v10, v7
	v_div_fmas_f32 v6, v6, v9, v10
	v_div_fixup_f32 v7, v6, v5, 1.0
	v_mul_f32_e64 v8, v8, -v7
.LBB64_30:
	s_or_b64 exec, exec, s[12:13]
	v_lshlrev_b32_e32 v5, 3, v1
	ds_write_b64 v5, v[7:8]
.LBB64_31:
	s_or_b64 exec, exec, s[10:11]
                                        ; implicit-def: $vgpr5_vgpr6
.LBB64_32:
	s_andn2_saveexec_b64 s[6:7], s[6:7]
	s_cbranch_execz .LBB64_34
; %bb.33:
	v_lshlrev_b64 v[5:6], 3, v[5:6]
	v_mov_b32_e32 v7, s82
	v_add_co_u32_e32 v5, vcc, s81, v5
	v_addc_co_u32_e32 v6, vcc, v7, v6, vcc
	global_load_dwordx2 v[5:6], v[5:6], off
	v_lshlrev_b32_e32 v7, 3, v1
	s_waitcnt vmcnt(0)
	v_xor_b32_e32 v5, 0x80000000, v5
	v_xor_b32_e32 v6, 0x80000000, v6
	ds_write_b64 v7, v[5:6]
.LBB64_34:
	s_or_b64 exec, exec, s[6:7]
	v_add_u32_e32 v7, 16, v2
	v_mad_u64_u32 v[5:6], s[6:7], s24, v7, v[3:4]
	v_cmp_le_u32_e32 vcc, v7, v0
	v_mad_u64_u32 v[8:9], s[6:7], s25, v7, v[6:7]
	v_lshl_add_u32 v9, v7, 6, v0
	v_mov_b32_e32 v6, v8
	s_and_saveexec_b64 s[6:7], vcc
	s_xor_b64 s[6:7], exec, s[6:7]
	s_cbranch_execz .LBB64_46
; %bb.35:
	v_cmp_ne_u32_e32 vcc, v0, v7
	s_and_saveexec_b64 s[10:11], vcc
	s_xor_b64 s[10:11], exec, s[10:11]
	s_cbranch_execz .LBB64_39
; %bb.36:
	v_or_b32_e32 v5, v7, v0
	v_cmp_gt_u32_e32 vcc, 64, v5
	s_and_saveexec_b64 s[12:13], vcc
; %bb.37:
	v_mov_b32_e32 v5, 0
	v_lshlrev_b32_e32 v7, 3, v9
	v_mov_b32_e32 v6, v5
	ds_write_b64 v7, v[5:6]
; %bb.38:
	s_or_b64 exec, exec, s[12:13]
                                        ; implicit-def: $vgpr9
                                        ; implicit-def: $vgpr5_vgpr6
.LBB64_39:
	s_andn2_saveexec_b64 s[10:11], s[10:11]
	s_cbranch_execz .LBB64_45
; %bb.40:
	v_lshlrev_b64 v[5:6], 3, v[5:6]
	v_mov_b32_e32 v7, s82
	v_add_co_u32_e32 v5, vcc, s81, v5
	v_addc_co_u32_e32 v6, vcc, v7, v6, vcc
	global_load_dwordx2 v[5:6], v[5:6], off
                                        ; implicit-def: $vgpr7
	s_waitcnt vmcnt(0)
	v_cmp_ngt_f32_e64 s[12:13], |v5|, |v6|
	s_and_saveexec_b64 s[14:15], s[12:13]
	s_xor_b64 s[12:13], exec, s[14:15]
	s_cbranch_execz .LBB64_42
; %bb.41:
	v_div_scale_f32 v7, s[14:15], v6, v6, v5
	v_div_scale_f32 v8, vcc, v5, v6, v5
	v_rcp_f32_e32 v10, v7
	v_fma_f32 v11, -v7, v10, 1.0
	v_fmac_f32_e32 v10, v11, v10
	v_mul_f32_e32 v11, v8, v10
	v_fma_f32 v12, -v7, v11, v8
	v_fmac_f32_e32 v11, v12, v10
	v_fma_f32 v7, -v7, v11, v8
	v_div_fmas_f32 v7, v7, v10, v11
	v_div_fixup_f32 v7, v7, v6, v5
	v_fmac_f32_e32 v6, v5, v7
	v_div_scale_f32 v5, s[14:15], v6, v6, 1.0
	v_div_scale_f32 v8, vcc, 1.0, v6, 1.0
	v_rcp_f32_e32 v10, v5
	v_fma_f32 v11, -v5, v10, 1.0
	v_fmac_f32_e32 v10, v11, v10
	v_mul_f32_e32 v11, v8, v10
	v_fma_f32 v12, -v5, v11, v8
	v_fmac_f32_e32 v11, v12, v10
	v_fma_f32 v5, -v5, v11, v8
	v_div_fmas_f32 v5, v5, v10, v11
	v_div_fixup_f32 v5, v5, v6, 1.0
	v_mul_f32_e32 v7, v7, v5
	v_xor_b32_e32 v8, 0x80000000, v5
                                        ; implicit-def: $vgpr5_vgpr6
.LBB64_42:
	s_andn2_saveexec_b64 s[12:13], s[12:13]
	s_cbranch_execz .LBB64_44
; %bb.43:
	v_div_scale_f32 v7, s[14:15], v5, v5, v6
	v_div_scale_f32 v8, vcc, v6, v5, v6
	v_rcp_f32_e32 v10, v7
	v_fma_f32 v11, -v7, v10, 1.0
	v_fmac_f32_e32 v10, v11, v10
	v_mul_f32_e32 v11, v8, v10
	v_fma_f32 v12, -v7, v11, v8
	v_fmac_f32_e32 v11, v12, v10
	v_fma_f32 v7, -v7, v11, v8
	v_div_fmas_f32 v7, v7, v10, v11
	v_div_fixup_f32 v8, v7, v5, v6
	v_fmac_f32_e32 v5, v6, v8
	v_div_scale_f32 v6, s[14:15], v5, v5, 1.0
	v_div_scale_f32 v7, vcc, 1.0, v5, 1.0
	v_rcp_f32_e32 v10, v6
	v_fma_f32 v11, -v6, v10, 1.0
	v_fmac_f32_e32 v10, v11, v10
	v_mul_f32_e32 v11, v7, v10
	v_fma_f32 v12, -v6, v11, v7
	v_fmac_f32_e32 v11, v12, v10
	v_fma_f32 v6, -v6, v11, v7
	v_div_fmas_f32 v6, v6, v10, v11
	v_div_fixup_f32 v7, v6, v5, 1.0
	v_mul_f32_e64 v8, v8, -v7
.LBB64_44:
	s_or_b64 exec, exec, s[12:13]
	v_lshlrev_b32_e32 v5, 3, v9
	ds_write_b64 v5, v[7:8]
.LBB64_45:
	s_or_b64 exec, exec, s[10:11]
                                        ; implicit-def: $vgpr5_vgpr6
                                        ; implicit-def: $vgpr9
.LBB64_46:
	s_andn2_saveexec_b64 s[6:7], s[6:7]
	s_cbranch_execz .LBB64_48
; %bb.47:
	v_lshlrev_b64 v[5:6], 3, v[5:6]
	v_mov_b32_e32 v7, s82
	v_add_co_u32_e32 v5, vcc, s81, v5
	v_addc_co_u32_e32 v6, vcc, v7, v6, vcc
	global_load_dwordx2 v[5:6], v[5:6], off
	v_lshlrev_b32_e32 v7, 3, v9
	s_waitcnt vmcnt(0)
	v_xor_b32_e32 v5, 0x80000000, v5
	v_xor_b32_e32 v6, 0x80000000, v6
	ds_write_b64 v7, v[5:6]
.LBB64_48:
	s_or_b64 exec, exec, s[6:7]
	v_add_u32_e32 v7, 32, v2
	v_mad_u64_u32 v[5:6], s[6:7], s24, v7, v[3:4]
	v_cmp_le_u32_e32 vcc, v7, v0
	v_mad_u64_u32 v[8:9], s[6:7], s25, v7, v[6:7]
	v_lshl_add_u32 v9, v7, 6, v0
	v_mov_b32_e32 v6, v8
	s_and_saveexec_b64 s[6:7], vcc
	s_xor_b64 s[6:7], exec, s[6:7]
	s_cbranch_execz .LBB64_60
; %bb.49:
	v_cmp_ne_u32_e32 vcc, v0, v7
	s_and_saveexec_b64 s[10:11], vcc
	s_xor_b64 s[10:11], exec, s[10:11]
	s_cbranch_execz .LBB64_53
; %bb.50:
	v_or_b32_e32 v5, v7, v0
	v_cmp_gt_u32_e32 vcc, 64, v5
	s_and_saveexec_b64 s[12:13], vcc
; %bb.51:
	v_mov_b32_e32 v5, 0
	v_lshlrev_b32_e32 v7, 3, v9
	v_mov_b32_e32 v6, v5
	ds_write_b64 v7, v[5:6]
; %bb.52:
	s_or_b64 exec, exec, s[12:13]
                                        ; implicit-def: $vgpr9
                                        ; implicit-def: $vgpr5_vgpr6
.LBB64_53:
	s_andn2_saveexec_b64 s[10:11], s[10:11]
	s_cbranch_execz .LBB64_59
; %bb.54:
	v_lshlrev_b64 v[5:6], 3, v[5:6]
	v_mov_b32_e32 v7, s82
	v_add_co_u32_e32 v5, vcc, s81, v5
	v_addc_co_u32_e32 v6, vcc, v7, v6, vcc
	global_load_dwordx2 v[5:6], v[5:6], off
                                        ; implicit-def: $vgpr7
	s_waitcnt vmcnt(0)
	v_cmp_ngt_f32_e64 s[12:13], |v5|, |v6|
	s_and_saveexec_b64 s[14:15], s[12:13]
	s_xor_b64 s[12:13], exec, s[14:15]
	s_cbranch_execz .LBB64_56
; %bb.55:
	v_div_scale_f32 v7, s[14:15], v6, v6, v5
	v_div_scale_f32 v8, vcc, v5, v6, v5
	v_rcp_f32_e32 v10, v7
	v_fma_f32 v11, -v7, v10, 1.0
	v_fmac_f32_e32 v10, v11, v10
	v_mul_f32_e32 v11, v8, v10
	v_fma_f32 v12, -v7, v11, v8
	v_fmac_f32_e32 v11, v12, v10
	v_fma_f32 v7, -v7, v11, v8
	v_div_fmas_f32 v7, v7, v10, v11
	v_div_fixup_f32 v7, v7, v6, v5
	v_fmac_f32_e32 v6, v5, v7
	v_div_scale_f32 v5, s[14:15], v6, v6, 1.0
	v_div_scale_f32 v8, vcc, 1.0, v6, 1.0
	v_rcp_f32_e32 v10, v5
	v_fma_f32 v11, -v5, v10, 1.0
	v_fmac_f32_e32 v10, v11, v10
	v_mul_f32_e32 v11, v8, v10
	v_fma_f32 v12, -v5, v11, v8
	v_fmac_f32_e32 v11, v12, v10
	v_fma_f32 v5, -v5, v11, v8
	v_div_fmas_f32 v5, v5, v10, v11
	v_div_fixup_f32 v5, v5, v6, 1.0
	v_mul_f32_e32 v7, v7, v5
	v_xor_b32_e32 v8, 0x80000000, v5
                                        ; implicit-def: $vgpr5_vgpr6
.LBB64_56:
	s_andn2_saveexec_b64 s[12:13], s[12:13]
	s_cbranch_execz .LBB64_58
; %bb.57:
	v_div_scale_f32 v7, s[14:15], v5, v5, v6
	v_div_scale_f32 v8, vcc, v6, v5, v6
	v_rcp_f32_e32 v10, v7
	v_fma_f32 v11, -v7, v10, 1.0
	v_fmac_f32_e32 v10, v11, v10
	v_mul_f32_e32 v11, v8, v10
	v_fma_f32 v12, -v7, v11, v8
	v_fmac_f32_e32 v11, v12, v10
	v_fma_f32 v7, -v7, v11, v8
	v_div_fmas_f32 v7, v7, v10, v11
	v_div_fixup_f32 v8, v7, v5, v6
	v_fmac_f32_e32 v5, v6, v8
	v_div_scale_f32 v6, s[14:15], v5, v5, 1.0
	v_div_scale_f32 v7, vcc, 1.0, v5, 1.0
	v_rcp_f32_e32 v10, v6
	v_fma_f32 v11, -v6, v10, 1.0
	v_fmac_f32_e32 v10, v11, v10
	v_mul_f32_e32 v11, v7, v10
	v_fma_f32 v12, -v6, v11, v7
	v_fmac_f32_e32 v11, v12, v10
	v_fma_f32 v6, -v6, v11, v7
	v_div_fmas_f32 v6, v6, v10, v11
	v_div_fixup_f32 v7, v6, v5, 1.0
	v_mul_f32_e64 v8, v8, -v7
.LBB64_58:
	s_or_b64 exec, exec, s[12:13]
	v_lshlrev_b32_e32 v5, 3, v9
	ds_write_b64 v5, v[7:8]
.LBB64_59:
	s_or_b64 exec, exec, s[10:11]
                                        ; implicit-def: $vgpr5_vgpr6
                                        ; implicit-def: $vgpr9
.LBB64_60:
	s_andn2_saveexec_b64 s[6:7], s[6:7]
	s_cbranch_execz .LBB64_62
; %bb.61:
	v_lshlrev_b64 v[5:6], 3, v[5:6]
	v_mov_b32_e32 v7, s82
	v_add_co_u32_e32 v5, vcc, s81, v5
	v_addc_co_u32_e32 v6, vcc, v7, v6, vcc
	global_load_dwordx2 v[5:6], v[5:6], off
	v_lshlrev_b32_e32 v7, 3, v9
	s_waitcnt vmcnt(0)
	v_xor_b32_e32 v5, 0x80000000, v5
	v_xor_b32_e32 v6, 0x80000000, v6
	ds_write_b64 v7, v[5:6]
.LBB64_62:
	s_or_b64 exec, exec, s[6:7]
	v_add_u32_e32 v7, 48, v2
	v_mad_u64_u32 v[5:6], s[6:7], s24, v7, v[3:4]
	v_cmp_le_u32_e32 vcc, v7, v0
	v_mad_u64_u32 v[8:9], s[6:7], s25, v7, v[6:7]
	v_lshl_add_u32 v9, v7, 6, v0
	v_mov_b32_e32 v6, v8
	s_and_saveexec_b64 s[6:7], vcc
	s_xor_b64 s[6:7], exec, s[6:7]
	s_cbranch_execz .LBB64_74
; %bb.63:
	v_cmp_ne_u32_e32 vcc, v0, v7
	s_and_saveexec_b64 s[10:11], vcc
	s_xor_b64 s[10:11], exec, s[10:11]
	s_cbranch_execz .LBB64_67
; %bb.64:
	v_or_b32_e32 v5, v7, v0
	v_cmp_gt_u32_e32 vcc, 64, v5
	s_and_saveexec_b64 s[12:13], vcc
; %bb.65:
	v_mov_b32_e32 v5, 0
	v_lshlrev_b32_e32 v7, 3, v9
	v_mov_b32_e32 v6, v5
	ds_write_b64 v7, v[5:6]
; %bb.66:
	s_or_b64 exec, exec, s[12:13]
                                        ; implicit-def: $vgpr9
                                        ; implicit-def: $vgpr5_vgpr6
.LBB64_67:
	s_andn2_saveexec_b64 s[10:11], s[10:11]
	s_cbranch_execz .LBB64_73
; %bb.68:
	v_lshlrev_b64 v[5:6], 3, v[5:6]
	v_mov_b32_e32 v7, s82
	v_add_co_u32_e32 v5, vcc, s81, v5
	v_addc_co_u32_e32 v6, vcc, v7, v6, vcc
	global_load_dwordx2 v[5:6], v[5:6], off
                                        ; implicit-def: $vgpr7
	s_waitcnt vmcnt(0)
	v_cmp_ngt_f32_e64 s[12:13], |v5|, |v6|
	s_and_saveexec_b64 s[14:15], s[12:13]
	s_xor_b64 s[12:13], exec, s[14:15]
	s_cbranch_execz .LBB64_70
; %bb.69:
	v_div_scale_f32 v7, s[14:15], v6, v6, v5
	v_div_scale_f32 v8, vcc, v5, v6, v5
	v_rcp_f32_e32 v10, v7
	v_fma_f32 v11, -v7, v10, 1.0
	v_fmac_f32_e32 v10, v11, v10
	v_mul_f32_e32 v11, v8, v10
	v_fma_f32 v12, -v7, v11, v8
	v_fmac_f32_e32 v11, v12, v10
	v_fma_f32 v7, -v7, v11, v8
	v_div_fmas_f32 v7, v7, v10, v11
	v_div_fixup_f32 v7, v7, v6, v5
	v_fmac_f32_e32 v6, v5, v7
	v_div_scale_f32 v5, s[14:15], v6, v6, 1.0
	v_div_scale_f32 v8, vcc, 1.0, v6, 1.0
	v_rcp_f32_e32 v10, v5
	v_fma_f32 v11, -v5, v10, 1.0
	v_fmac_f32_e32 v10, v11, v10
	v_mul_f32_e32 v11, v8, v10
	v_fma_f32 v12, -v5, v11, v8
	v_fmac_f32_e32 v11, v12, v10
	v_fma_f32 v5, -v5, v11, v8
	v_div_fmas_f32 v5, v5, v10, v11
	v_div_fixup_f32 v5, v5, v6, 1.0
	v_mul_f32_e32 v7, v7, v5
	v_xor_b32_e32 v8, 0x80000000, v5
                                        ; implicit-def: $vgpr5_vgpr6
.LBB64_70:
	s_andn2_saveexec_b64 s[12:13], s[12:13]
	s_cbranch_execz .LBB64_72
; %bb.71:
	v_div_scale_f32 v7, s[14:15], v5, v5, v6
	v_div_scale_f32 v8, vcc, v6, v5, v6
	v_rcp_f32_e32 v10, v7
	v_fma_f32 v11, -v7, v10, 1.0
	v_fmac_f32_e32 v10, v11, v10
	v_mul_f32_e32 v11, v8, v10
	v_fma_f32 v12, -v7, v11, v8
	v_fmac_f32_e32 v11, v12, v10
	v_fma_f32 v7, -v7, v11, v8
	v_div_fmas_f32 v7, v7, v10, v11
	v_div_fixup_f32 v8, v7, v5, v6
	v_fmac_f32_e32 v5, v6, v8
	v_div_scale_f32 v6, s[14:15], v5, v5, 1.0
	v_div_scale_f32 v7, vcc, 1.0, v5, 1.0
	v_rcp_f32_e32 v10, v6
	v_fma_f32 v11, -v6, v10, 1.0
	v_fmac_f32_e32 v10, v11, v10
	v_mul_f32_e32 v11, v7, v10
	v_fma_f32 v12, -v6, v11, v7
	v_fmac_f32_e32 v11, v12, v10
	v_fma_f32 v6, -v6, v11, v7
	v_div_fmas_f32 v6, v6, v10, v11
	v_div_fixup_f32 v7, v6, v5, 1.0
	v_mul_f32_e64 v8, v8, -v7
.LBB64_72:
	s_or_b64 exec, exec, s[12:13]
	v_lshlrev_b32_e32 v5, 3, v9
	ds_write_b64 v5, v[7:8]
.LBB64_73:
	s_or_b64 exec, exec, s[10:11]
                                        ; implicit-def: $vgpr5_vgpr6
                                        ; implicit-def: $vgpr9
.LBB64_74:
	s_andn2_saveexec_b64 s[6:7], s[6:7]
	s_cbranch_execz .LBB64_76
; %bb.75:
	v_lshlrev_b64 v[5:6], 3, v[5:6]
	v_mov_b32_e32 v7, s82
	v_add_co_u32_e32 v5, vcc, s81, v5
	v_addc_co_u32_e32 v6, vcc, v7, v6, vcc
	global_load_dwordx2 v[5:6], v[5:6], off
	v_lshlrev_b32_e32 v7, 3, v9
	s_waitcnt vmcnt(0)
	v_xor_b32_e32 v5, 0x80000000, v5
	v_xor_b32_e32 v6, 0x80000000, v6
	ds_write_b64 v7, v[5:6]
.LBB64_76:
	s_or_b64 exec, exec, s[6:7]
	s_mov_b64 s[10:11], 0
.LBB64_77:
	s_and_b64 vcc, exec, s[10:11]
	s_cbranch_vccz .LBB64_135
; %bb.78:
	v_mad_u64_u32 v[5:6], s[6:7], s24, v2, v[3:4]
	v_cmp_le_u32_e32 vcc, v2, v0
	v_cmp_gt_i32_e64 s[6:7], s80, v0
	v_mad_u64_u32 v[6:7], s[10:11], s25, v2, v[6:7]
	v_max_i32_e32 v7, v2, v0
	v_cmp_le_i32_e64 s[10:11], s80, v7
	s_or_b64 s[10:11], s[10:11], vcc
	s_and_saveexec_b64 s[12:13], s[10:11]
	s_xor_b64 s[10:11], exec, s[12:13]
	s_cbranch_execz .LBB64_90
; %bb.79:
	v_cmp_ne_u32_e32 vcc, v0, v2
	s_xor_b64 s[12:13], s[6:7], -1
	s_or_b64 s[12:13], s[12:13], vcc
	s_and_saveexec_b64 s[14:15], s[12:13]
	s_xor_b64 s[12:13], exec, s[14:15]
	s_cbranch_execz .LBB64_83
; %bb.80:
	v_or_b32_e32 v5, v2, v0
	v_cmp_gt_u32_e32 vcc, 64, v5
	s_and_saveexec_b64 s[14:15], vcc
; %bb.81:
	v_mov_b32_e32 v5, 0
	v_lshlrev_b32_e32 v7, 3, v1
	v_mov_b32_e32 v6, v5
	ds_write_b64 v7, v[5:6]
; %bb.82:
	s_or_b64 exec, exec, s[14:15]
                                        ; implicit-def: $vgpr5_vgpr6
.LBB64_83:
	s_andn2_saveexec_b64 s[12:13], s[12:13]
	s_cbranch_execz .LBB64_89
; %bb.84:
	v_lshlrev_b64 v[5:6], 3, v[5:6]
	v_mov_b32_e32 v7, s82
	v_add_co_u32_e32 v5, vcc, s81, v5
	v_addc_co_u32_e32 v6, vcc, v7, v6, vcc
	global_load_dwordx2 v[5:6], v[5:6], off
                                        ; implicit-def: $vgpr7
	s_waitcnt vmcnt(0)
	v_cmp_ngt_f32_e64 s[14:15], |v5|, |v6|
	s_and_saveexec_b64 s[16:17], s[14:15]
	s_xor_b64 s[14:15], exec, s[16:17]
	s_cbranch_execz .LBB64_86
; %bb.85:
	v_div_scale_f32 v7, s[16:17], v6, v6, v5
	v_div_scale_f32 v8, vcc, v5, v6, v5
	v_rcp_f32_e32 v9, v7
	v_fma_f32 v10, -v7, v9, 1.0
	v_fmac_f32_e32 v9, v10, v9
	v_mul_f32_e32 v10, v8, v9
	v_fma_f32 v11, -v7, v10, v8
	v_fmac_f32_e32 v10, v11, v9
	v_fma_f32 v7, -v7, v10, v8
	v_div_fmas_f32 v7, v7, v9, v10
	v_div_fixup_f32 v7, v7, v6, v5
	v_fmac_f32_e32 v6, v5, v7
	v_div_scale_f32 v5, s[16:17], v6, v6, 1.0
	v_div_scale_f32 v8, vcc, 1.0, v6, 1.0
	v_rcp_f32_e32 v9, v5
	v_fma_f32 v10, -v5, v9, 1.0
	v_fmac_f32_e32 v9, v10, v9
	v_mul_f32_e32 v10, v8, v9
	v_fma_f32 v11, -v5, v10, v8
	v_fmac_f32_e32 v10, v11, v9
	v_fma_f32 v5, -v5, v10, v8
	v_div_fmas_f32 v5, v5, v9, v10
	v_div_fixup_f32 v5, v5, v6, 1.0
	v_mul_f32_e32 v7, v7, v5
	v_xor_b32_e32 v8, 0x80000000, v5
                                        ; implicit-def: $vgpr5_vgpr6
.LBB64_86:
	s_andn2_saveexec_b64 s[14:15], s[14:15]
	s_cbranch_execz .LBB64_88
; %bb.87:
	v_div_scale_f32 v7, s[16:17], v5, v5, v6
	v_div_scale_f32 v8, vcc, v6, v5, v6
	v_rcp_f32_e32 v9, v7
	v_fma_f32 v10, -v7, v9, 1.0
	v_fmac_f32_e32 v9, v10, v9
	v_mul_f32_e32 v10, v8, v9
	v_fma_f32 v11, -v7, v10, v8
	v_fmac_f32_e32 v10, v11, v9
	v_fma_f32 v7, -v7, v10, v8
	v_div_fmas_f32 v7, v7, v9, v10
	v_div_fixup_f32 v8, v7, v5, v6
	v_fmac_f32_e32 v5, v6, v8
	v_div_scale_f32 v6, s[16:17], v5, v5, 1.0
	v_div_scale_f32 v7, vcc, 1.0, v5, 1.0
	v_rcp_f32_e32 v9, v6
	v_fma_f32 v10, -v6, v9, 1.0
	v_fmac_f32_e32 v9, v10, v9
	v_mul_f32_e32 v10, v7, v9
	v_fma_f32 v11, -v6, v10, v7
	v_fmac_f32_e32 v10, v11, v9
	v_fma_f32 v6, -v6, v10, v7
	v_div_fmas_f32 v6, v6, v9, v10
	v_div_fixup_f32 v7, v6, v5, 1.0
	v_mul_f32_e64 v8, v8, -v7
.LBB64_88:
	s_or_b64 exec, exec, s[14:15]
	v_lshlrev_b32_e32 v5, 3, v1
	ds_write_b64 v5, v[7:8]
.LBB64_89:
	s_or_b64 exec, exec, s[12:13]
                                        ; implicit-def: $vgpr5_vgpr6
.LBB64_90:
	s_andn2_saveexec_b64 s[10:11], s[10:11]
	s_cbranch_execz .LBB64_92
; %bb.91:
	v_lshlrev_b64 v[5:6], 3, v[5:6]
	v_mov_b32_e32 v7, s82
	v_add_co_u32_e32 v5, vcc, s81, v5
	v_addc_co_u32_e32 v6, vcc, v7, v6, vcc
	global_load_dwordx2 v[5:6], v[5:6], off
	v_lshlrev_b32_e32 v7, 3, v1
	s_waitcnt vmcnt(0)
	v_xor_b32_e32 v5, 0x80000000, v5
	v_xor_b32_e32 v6, 0x80000000, v6
	ds_write_b64 v7, v[5:6]
.LBB64_92:
	s_or_b64 exec, exec, s[10:11]
	v_add_u32_e32 v7, 16, v2
	v_mad_u64_u32 v[5:6], s[10:11], s24, v7, v[3:4]
	v_cmp_gt_u32_e32 vcc, v7, v0
	v_lshl_add_u32 v9, v7, 6, v0
	v_mad_u64_u32 v[10:11], s[10:11], s25, v7, v[6:7]
	v_cmp_gt_i32_e64 s[10:11], s80, v7
	s_and_b64 s[10:11], vcc, s[10:11]
	s_and_b64 s[10:11], s[6:7], s[10:11]
	v_mov_b32_e32 v6, v10
	s_xor_b64 s[10:11], s[10:11], -1
	s_and_saveexec_b64 s[12:13], s[10:11]
	s_xor_b64 s[10:11], exec, s[12:13]
	s_cbranch_execz .LBB64_104
; %bb.93:
	v_cmp_ne_u32_e32 vcc, v0, v7
	s_xor_b64 s[12:13], s[6:7], -1
	s_or_b64 s[12:13], s[12:13], vcc
	s_and_saveexec_b64 s[14:15], s[12:13]
	s_xor_b64 s[12:13], exec, s[14:15]
	s_cbranch_execz .LBB64_97
; %bb.94:
	v_or_b32_e32 v5, v7, v0
	v_cmp_gt_u32_e32 vcc, 64, v5
	s_and_saveexec_b64 s[14:15], vcc
; %bb.95:
	v_mov_b32_e32 v5, 0
	v_lshlrev_b32_e32 v7, 3, v9
	v_mov_b32_e32 v6, v5
	ds_write_b64 v7, v[5:6]
; %bb.96:
	s_or_b64 exec, exec, s[14:15]
                                        ; implicit-def: $vgpr9
                                        ; implicit-def: $vgpr5_vgpr6
.LBB64_97:
	s_andn2_saveexec_b64 s[12:13], s[12:13]
	s_cbranch_execz .LBB64_103
; %bb.98:
	v_lshlrev_b64 v[5:6], 3, v[5:6]
	v_mov_b32_e32 v7, s82
	v_add_co_u32_e32 v5, vcc, s81, v5
	v_addc_co_u32_e32 v6, vcc, v7, v6, vcc
	global_load_dwordx2 v[5:6], v[5:6], off
                                        ; implicit-def: $vgpr7
	s_waitcnt vmcnt(0)
	v_cmp_ngt_f32_e64 s[14:15], |v5|, |v6|
	s_and_saveexec_b64 s[16:17], s[14:15]
	s_xor_b64 s[14:15], exec, s[16:17]
	s_cbranch_execz .LBB64_100
; %bb.99:
	v_div_scale_f32 v7, s[16:17], v6, v6, v5
	v_div_scale_f32 v8, vcc, v5, v6, v5
	v_rcp_f32_e32 v10, v7
	v_fma_f32 v11, -v7, v10, 1.0
	v_fmac_f32_e32 v10, v11, v10
	v_mul_f32_e32 v11, v8, v10
	v_fma_f32 v12, -v7, v11, v8
	v_fmac_f32_e32 v11, v12, v10
	v_fma_f32 v7, -v7, v11, v8
	v_div_fmas_f32 v7, v7, v10, v11
	v_div_fixup_f32 v7, v7, v6, v5
	v_fmac_f32_e32 v6, v5, v7
	v_div_scale_f32 v5, s[16:17], v6, v6, 1.0
	v_div_scale_f32 v8, vcc, 1.0, v6, 1.0
	v_rcp_f32_e32 v10, v5
	v_fma_f32 v11, -v5, v10, 1.0
	v_fmac_f32_e32 v10, v11, v10
	v_mul_f32_e32 v11, v8, v10
	v_fma_f32 v12, -v5, v11, v8
	v_fmac_f32_e32 v11, v12, v10
	v_fma_f32 v5, -v5, v11, v8
	v_div_fmas_f32 v5, v5, v10, v11
	v_div_fixup_f32 v5, v5, v6, 1.0
	v_mul_f32_e32 v7, v7, v5
	v_xor_b32_e32 v8, 0x80000000, v5
                                        ; implicit-def: $vgpr5_vgpr6
.LBB64_100:
	s_andn2_saveexec_b64 s[14:15], s[14:15]
	s_cbranch_execz .LBB64_102
; %bb.101:
	v_div_scale_f32 v7, s[16:17], v5, v5, v6
	v_div_scale_f32 v8, vcc, v6, v5, v6
	v_rcp_f32_e32 v10, v7
	v_fma_f32 v11, -v7, v10, 1.0
	v_fmac_f32_e32 v10, v11, v10
	v_mul_f32_e32 v11, v8, v10
	v_fma_f32 v12, -v7, v11, v8
	v_fmac_f32_e32 v11, v12, v10
	v_fma_f32 v7, -v7, v11, v8
	v_div_fmas_f32 v7, v7, v10, v11
	v_div_fixup_f32 v8, v7, v5, v6
	v_fmac_f32_e32 v5, v6, v8
	v_div_scale_f32 v6, s[16:17], v5, v5, 1.0
	v_div_scale_f32 v7, vcc, 1.0, v5, 1.0
	v_rcp_f32_e32 v10, v6
	v_fma_f32 v11, -v6, v10, 1.0
	v_fmac_f32_e32 v10, v11, v10
	v_mul_f32_e32 v11, v7, v10
	v_fma_f32 v12, -v6, v11, v7
	v_fmac_f32_e32 v11, v12, v10
	v_fma_f32 v6, -v6, v11, v7
	v_div_fmas_f32 v6, v6, v10, v11
	v_div_fixup_f32 v7, v6, v5, 1.0
	v_mul_f32_e64 v8, v8, -v7
.LBB64_102:
	s_or_b64 exec, exec, s[14:15]
	v_lshlrev_b32_e32 v5, 3, v9
	ds_write_b64 v5, v[7:8]
.LBB64_103:
	s_or_b64 exec, exec, s[12:13]
                                        ; implicit-def: $vgpr5_vgpr6
                                        ; implicit-def: $vgpr9
.LBB64_104:
	s_andn2_saveexec_b64 s[10:11], s[10:11]
	s_cbranch_execz .LBB64_106
; %bb.105:
	v_lshlrev_b64 v[5:6], 3, v[5:6]
	v_mov_b32_e32 v7, s82
	v_add_co_u32_e32 v5, vcc, s81, v5
	v_addc_co_u32_e32 v6, vcc, v7, v6, vcc
	global_load_dwordx2 v[5:6], v[5:6], off
	v_lshlrev_b32_e32 v7, 3, v9
	s_waitcnt vmcnt(0)
	v_xor_b32_e32 v5, 0x80000000, v5
	v_xor_b32_e32 v6, 0x80000000, v6
	ds_write_b64 v7, v[5:6]
.LBB64_106:
	s_or_b64 exec, exec, s[10:11]
	v_add_u32_e32 v7, 32, v2
	v_mad_u64_u32 v[5:6], s[10:11], s24, v7, v[3:4]
	v_cmp_gt_u32_e32 vcc, v7, v0
	v_lshl_add_u32 v9, v7, 6, v0
	v_mad_u64_u32 v[10:11], s[10:11], s25, v7, v[6:7]
	v_cmp_gt_i32_e64 s[10:11], s80, v7
	s_and_b64 s[10:11], vcc, s[10:11]
	s_and_b64 s[10:11], s[6:7], s[10:11]
	v_mov_b32_e32 v6, v10
	s_xor_b64 s[10:11], s[10:11], -1
	s_and_saveexec_b64 s[12:13], s[10:11]
	s_xor_b64 s[10:11], exec, s[12:13]
	s_cbranch_execz .LBB64_118
; %bb.107:
	v_cmp_ne_u32_e32 vcc, v0, v7
	s_xor_b64 s[12:13], s[6:7], -1
	s_or_b64 s[12:13], s[12:13], vcc
	s_and_saveexec_b64 s[14:15], s[12:13]
	s_xor_b64 s[12:13], exec, s[14:15]
	s_cbranch_execz .LBB64_111
; %bb.108:
	v_or_b32_e32 v5, v7, v0
	v_cmp_gt_u32_e32 vcc, 64, v5
	s_and_saveexec_b64 s[14:15], vcc
; %bb.109:
	v_mov_b32_e32 v5, 0
	v_lshlrev_b32_e32 v7, 3, v9
	v_mov_b32_e32 v6, v5
	ds_write_b64 v7, v[5:6]
; %bb.110:
	s_or_b64 exec, exec, s[14:15]
                                        ; implicit-def: $vgpr9
                                        ; implicit-def: $vgpr5_vgpr6
.LBB64_111:
	s_andn2_saveexec_b64 s[12:13], s[12:13]
	s_cbranch_execz .LBB64_117
; %bb.112:
	v_lshlrev_b64 v[5:6], 3, v[5:6]
	v_mov_b32_e32 v7, s82
	v_add_co_u32_e32 v5, vcc, s81, v5
	v_addc_co_u32_e32 v6, vcc, v7, v6, vcc
	global_load_dwordx2 v[5:6], v[5:6], off
                                        ; implicit-def: $vgpr7
	s_waitcnt vmcnt(0)
	v_cmp_ngt_f32_e64 s[14:15], |v5|, |v6|
	s_and_saveexec_b64 s[16:17], s[14:15]
	s_xor_b64 s[14:15], exec, s[16:17]
	s_cbranch_execz .LBB64_114
; %bb.113:
	v_div_scale_f32 v7, s[16:17], v6, v6, v5
	v_div_scale_f32 v8, vcc, v5, v6, v5
	v_rcp_f32_e32 v10, v7
	v_fma_f32 v11, -v7, v10, 1.0
	v_fmac_f32_e32 v10, v11, v10
	v_mul_f32_e32 v11, v8, v10
	v_fma_f32 v12, -v7, v11, v8
	v_fmac_f32_e32 v11, v12, v10
	v_fma_f32 v7, -v7, v11, v8
	v_div_fmas_f32 v7, v7, v10, v11
	v_div_fixup_f32 v7, v7, v6, v5
	v_fmac_f32_e32 v6, v5, v7
	v_div_scale_f32 v5, s[16:17], v6, v6, 1.0
	v_div_scale_f32 v8, vcc, 1.0, v6, 1.0
	v_rcp_f32_e32 v10, v5
	v_fma_f32 v11, -v5, v10, 1.0
	v_fmac_f32_e32 v10, v11, v10
	v_mul_f32_e32 v11, v8, v10
	v_fma_f32 v12, -v5, v11, v8
	v_fmac_f32_e32 v11, v12, v10
	v_fma_f32 v5, -v5, v11, v8
	v_div_fmas_f32 v5, v5, v10, v11
	v_div_fixup_f32 v5, v5, v6, 1.0
	v_mul_f32_e32 v7, v7, v5
	v_xor_b32_e32 v8, 0x80000000, v5
                                        ; implicit-def: $vgpr5_vgpr6
.LBB64_114:
	s_andn2_saveexec_b64 s[14:15], s[14:15]
	s_cbranch_execz .LBB64_116
; %bb.115:
	v_div_scale_f32 v7, s[16:17], v5, v5, v6
	v_div_scale_f32 v8, vcc, v6, v5, v6
	v_rcp_f32_e32 v10, v7
	v_fma_f32 v11, -v7, v10, 1.0
	v_fmac_f32_e32 v10, v11, v10
	v_mul_f32_e32 v11, v8, v10
	v_fma_f32 v12, -v7, v11, v8
	v_fmac_f32_e32 v11, v12, v10
	v_fma_f32 v7, -v7, v11, v8
	v_div_fmas_f32 v7, v7, v10, v11
	v_div_fixup_f32 v8, v7, v5, v6
	v_fmac_f32_e32 v5, v6, v8
	v_div_scale_f32 v6, s[16:17], v5, v5, 1.0
	v_div_scale_f32 v7, vcc, 1.0, v5, 1.0
	v_rcp_f32_e32 v10, v6
	v_fma_f32 v11, -v6, v10, 1.0
	v_fmac_f32_e32 v10, v11, v10
	v_mul_f32_e32 v11, v7, v10
	v_fma_f32 v12, -v6, v11, v7
	v_fmac_f32_e32 v11, v12, v10
	v_fma_f32 v6, -v6, v11, v7
	v_div_fmas_f32 v6, v6, v10, v11
	v_div_fixup_f32 v7, v6, v5, 1.0
	v_mul_f32_e64 v8, v8, -v7
.LBB64_116:
	s_or_b64 exec, exec, s[14:15]
	v_lshlrev_b32_e32 v5, 3, v9
	ds_write_b64 v5, v[7:8]
.LBB64_117:
	s_or_b64 exec, exec, s[12:13]
                                        ; implicit-def: $vgpr5_vgpr6
                                        ; implicit-def: $vgpr9
.LBB64_118:
	s_andn2_saveexec_b64 s[10:11], s[10:11]
	s_cbranch_execz .LBB64_120
; %bb.119:
	v_lshlrev_b64 v[5:6], 3, v[5:6]
	v_mov_b32_e32 v7, s82
	v_add_co_u32_e32 v5, vcc, s81, v5
	v_addc_co_u32_e32 v6, vcc, v7, v6, vcc
	global_load_dwordx2 v[5:6], v[5:6], off
	v_lshlrev_b32_e32 v7, 3, v9
	s_waitcnt vmcnt(0)
	v_xor_b32_e32 v5, 0x80000000, v5
	v_xor_b32_e32 v6, 0x80000000, v6
	ds_write_b64 v7, v[5:6]
.LBB64_120:
	s_or_b64 exec, exec, s[10:11]
	v_add_u32_e32 v5, 48, v2
	v_mad_u64_u32 v[3:4], s[10:11], s24, v5, v[3:4]
	v_cmp_gt_u32_e32 vcc, v5, v0
	v_lshl_add_u32 v7, v5, 6, v0
	v_mad_u64_u32 v[8:9], s[10:11], s25, v5, v[4:5]
	v_cmp_gt_i32_e64 s[10:11], s80, v5
	s_and_b64 s[10:11], vcc, s[10:11]
	s_and_b64 s[10:11], s[6:7], s[10:11]
	v_mov_b32_e32 v4, v8
	s_xor_b64 s[10:11], s[10:11], -1
	s_and_saveexec_b64 s[12:13], s[10:11]
	s_xor_b64 s[10:11], exec, s[12:13]
	s_cbranch_execz .LBB64_132
; %bb.121:
	v_cmp_ne_u32_e32 vcc, v0, v5
	s_xor_b64 s[6:7], s[6:7], -1
	s_or_b64 s[6:7], s[6:7], vcc
	s_and_saveexec_b64 s[12:13], s[6:7]
	s_xor_b64 s[6:7], exec, s[12:13]
	s_cbranch_execz .LBB64_125
; %bb.122:
	v_or_b32_e32 v3, v5, v0
	v_cmp_gt_u32_e32 vcc, 64, v3
	s_and_saveexec_b64 s[12:13], vcc
; %bb.123:
	v_mov_b32_e32 v3, 0
	v_lshlrev_b32_e32 v5, 3, v7
	v_mov_b32_e32 v4, v3
	ds_write_b64 v5, v[3:4]
; %bb.124:
	s_or_b64 exec, exec, s[12:13]
                                        ; implicit-def: $vgpr7
                                        ; implicit-def: $vgpr3_vgpr4
.LBB64_125:
	s_andn2_saveexec_b64 s[6:7], s[6:7]
	s_cbranch_execz .LBB64_131
; %bb.126:
	v_lshlrev_b64 v[3:4], 3, v[3:4]
	v_mov_b32_e32 v5, s82
	v_add_co_u32_e32 v3, vcc, s81, v3
	v_addc_co_u32_e32 v4, vcc, v5, v4, vcc
	global_load_dwordx2 v[3:4], v[3:4], off
                                        ; implicit-def: $vgpr5
	s_waitcnt vmcnt(0)
	v_cmp_ngt_f32_e64 s[12:13], |v3|, |v4|
	s_and_saveexec_b64 s[14:15], s[12:13]
	s_xor_b64 s[12:13], exec, s[14:15]
	s_cbranch_execz .LBB64_128
; %bb.127:
	v_div_scale_f32 v5, s[14:15], v4, v4, v3
	v_div_scale_f32 v6, vcc, v3, v4, v3
	v_rcp_f32_e32 v8, v5
	v_fma_f32 v9, -v5, v8, 1.0
	v_fmac_f32_e32 v8, v9, v8
	v_mul_f32_e32 v9, v6, v8
	v_fma_f32 v10, -v5, v9, v6
	v_fmac_f32_e32 v9, v10, v8
	v_fma_f32 v5, -v5, v9, v6
	v_div_fmas_f32 v5, v5, v8, v9
	v_div_fixup_f32 v5, v5, v4, v3
	v_fmac_f32_e32 v4, v3, v5
	v_div_scale_f32 v3, s[14:15], v4, v4, 1.0
	v_div_scale_f32 v6, vcc, 1.0, v4, 1.0
	v_rcp_f32_e32 v8, v3
	v_fma_f32 v9, -v3, v8, 1.0
	v_fmac_f32_e32 v8, v9, v8
	v_mul_f32_e32 v9, v6, v8
	v_fma_f32 v10, -v3, v9, v6
	v_fmac_f32_e32 v9, v10, v8
	v_fma_f32 v3, -v3, v9, v6
	v_div_fmas_f32 v3, v3, v8, v9
	v_div_fixup_f32 v3, v3, v4, 1.0
	v_mul_f32_e32 v5, v5, v3
	v_xor_b32_e32 v6, 0x80000000, v3
                                        ; implicit-def: $vgpr3_vgpr4
.LBB64_128:
	s_andn2_saveexec_b64 s[12:13], s[12:13]
	s_cbranch_execz .LBB64_130
; %bb.129:
	v_div_scale_f32 v5, s[14:15], v3, v3, v4
	v_div_scale_f32 v6, vcc, v4, v3, v4
	v_rcp_f32_e32 v8, v5
	v_fma_f32 v9, -v5, v8, 1.0
	v_fmac_f32_e32 v8, v9, v8
	v_mul_f32_e32 v9, v6, v8
	v_fma_f32 v10, -v5, v9, v6
	v_fmac_f32_e32 v9, v10, v8
	v_fma_f32 v5, -v5, v9, v6
	v_div_fmas_f32 v5, v5, v8, v9
	v_div_fixup_f32 v6, v5, v3, v4
	v_fmac_f32_e32 v3, v4, v6
	v_div_scale_f32 v4, s[14:15], v3, v3, 1.0
	v_div_scale_f32 v5, vcc, 1.0, v3, 1.0
	v_rcp_f32_e32 v8, v4
	v_fma_f32 v9, -v4, v8, 1.0
	v_fmac_f32_e32 v8, v9, v8
	v_mul_f32_e32 v9, v5, v8
	v_fma_f32 v10, -v4, v9, v5
	v_fmac_f32_e32 v9, v10, v8
	v_fma_f32 v4, -v4, v9, v5
	v_div_fmas_f32 v4, v4, v8, v9
	v_div_fixup_f32 v5, v4, v3, 1.0
	v_mul_f32_e64 v6, v6, -v5
.LBB64_130:
	s_or_b64 exec, exec, s[12:13]
	v_lshlrev_b32_e32 v3, 3, v7
	ds_write_b64 v3, v[5:6]
.LBB64_131:
	s_or_b64 exec, exec, s[6:7]
                                        ; implicit-def: $vgpr3_vgpr4
                                        ; implicit-def: $vgpr7
.LBB64_132:
	s_andn2_saveexec_b64 s[6:7], s[10:11]
	s_cbranch_execz .LBB64_134
; %bb.133:
	v_lshlrev_b64 v[3:4], 3, v[3:4]
	v_mov_b32_e32 v5, s82
	v_add_co_u32_e32 v3, vcc, s81, v3
	v_addc_co_u32_e32 v4, vcc, v5, v4, vcc
	global_load_dwordx2 v[3:4], v[3:4], off
	v_lshlrev_b32_e32 v5, 3, v7
	s_waitcnt vmcnt(0)
	v_xor_b32_e32 v3, 0x80000000, v3
	v_xor_b32_e32 v4, 0x80000000, v4
	ds_write_b64 v5, v[3:4]
.LBB64_134:
	s_or_b64 exec, exec, s[6:7]
.LBB64_135:
	s_cmp_lt_i32 s8, 5
	s_cselect_b64 s[6:7], -1, 0
	s_or_b64 s[26:27], s[6:7], s[22:23]
	s_and_b64 vcc, exec, s[26:27]
	s_waitcnt vmcnt(0) lgkmcnt(0)
	s_barrier
	s_cbranch_vccnz .LBB64_995
; %bb.136:
	v_or_b32_e32 v3, v0, v2
	v_cmp_eq_u32_e32 vcc, 0, v3
	s_and_saveexec_b64 s[6:7], vcc
	s_cbranch_execz .LBB64_138
; %bb.137:
	s_movk_i32 s10, 0x1f0
	v_mov_b32_e32 v9, 0
	v_add_u32_e64 v3, s10, 0
	ds_read_b64 v[7:8], v9 offset:32760
	ds_read2st64_b64 v[3:6], v3 offset0:62 offset1:63
	s_waitcnt lgkmcnt(0)
	v_mul_f32_e32 v11, v7, v4
	v_mul_f32_e32 v10, v8, v4
	v_fmac_f32_e32 v11, v8, v3
	v_fma_f32 v4, v7, v3, -v10
	v_mul_f32_e32 v3, v11, v6
	v_fma_f32 v3, v4, v5, -v3
	v_mul_f32_e32 v4, v4, v6
	v_fmac_f32_e32 v4, v11, v5
	ds_write_b64 v9, v[3:4] offset:32752
.LBB64_138:
	s_or_b64 exec, exec, s[6:7]
	v_lshlrev_b32_e32 v3, 6, v2
	v_add_u32_e32 v8, v3, v0
	v_and_b32_e32 v4, v3, v0
	v_xor_b32_e32 v3, v3, v0
	v_lshrrev_b16_e32 v3, 1, v3
	v_add_u16_e32 v7, v4, v3
	v_and_b32_e32 v5, 1, v0
	v_sub_u32_e32 v6, 1, v7
	v_cmp_lt_u32_e64 s[10:11], 3, v8
	v_cmp_gt_u32_e64 s[6:7], 4, v8
	v_mov_b32_e32 v3, 0
	v_mov_b32_e32 v4, 0
	s_waitcnt lgkmcnt(0)
	s_barrier
	buffer_wbinvl1_vol
	s_and_saveexec_b64 s[14:15], s[6:7]
	s_cbranch_execz .LBB64_142
; %bb.139:
	v_lshlrev_b32_e32 v3, 3, v5
	v_lshlrev_b32_e32 v9, 9, v6
	ds_read_b64 v[3:4], v3 offset:32224
	ds_read_b64 v[9:10], v9 offset:32240
	v_cmp_gt_u32_e64 s[12:13], 2, v8
	s_waitcnt lgkmcnt(0)
	v_mul_f32_e32 v11, v10, v4
	v_mul_f32_e32 v4, v9, v4
	v_fma_f32 v9, v9, v3, -v11
	v_fmac_f32_e32 v4, v10, v3
	v_add_f32_e32 v3, 0, v9
	v_add_f32_e32 v4, 0, v4
	s_and_saveexec_b64 s[16:17], s[12:13]
	s_cbranch_execz .LBB64_141
; %bb.140:
	v_lshlrev_b32_e32 v9, 3, v0
	v_mov_b32_e32 v11, 0
	ds_read_b64 v[9:10], v9 offset:32736
	ds_read_b64 v[11:12], v11 offset:32760
	s_waitcnt lgkmcnt(0)
	v_mul_f32_e32 v13, v12, v10
	v_mul_f32_e32 v10, v11, v10
	v_fma_f32 v11, v11, v9, -v13
	v_fmac_f32_e32 v10, v12, v9
	v_add_f32_e32 v3, v3, v11
	v_add_f32_e32 v4, v4, v10
.LBB64_141:
	s_or_b64 exec, exec, s[16:17]
.LBB64_142:
	s_or_b64 exec, exec, s[14:15]
	v_mov_b32_e32 v9, 0x8000
	v_cmp_ne_u32_e64 s[12:13], 0, v5
	s_xor_b64 s[14:15], s[10:11], -1
	v_lshl_add_u32 v7, v7, 3, v9
	s_and_b64 s[36:37], s[12:13], s[14:15]
	s_and_saveexec_b64 s[10:11], s[36:37]
	s_cbranch_execz .LBB64_144
; %bb.143:
	v_mov_b32_e32 v9, 0
	ds_read_b64 v[9:10], v9 offset:31720
	s_waitcnt lgkmcnt(0)
	v_mul_f32_e32 v11, v4, v10
	v_mul_f32_e32 v12, v3, v10
	v_fma_f32 v3, v3, v9, -v11
	v_fmac_f32_e32 v12, v4, v9
	v_xor_b32_e32 v9, 0x80000000, v3
	v_xor_b32_e32 v10, 0x80000000, v12
	v_mov_b32_e32 v4, v12
	ds_write_b64 v7, v[9:10]
.LBB64_144:
	s_or_b64 exec, exec, s[10:11]
	v_cmp_eq_u32_e64 s[10:11], 0, v5
	s_and_b64 s[34:35], s[10:11], s[14:15]
	s_waitcnt lgkmcnt(0)
	s_barrier
	s_and_saveexec_b64 s[10:11], s[34:35]
	s_cbranch_execz .LBB64_146
; %bb.145:
	v_mov_b32_e32 v9, 0
	ds_read_b64 v[9:10], v9 offset:31712
	ds_read_b64 v[11:12], v7
	s_waitcnt lgkmcnt(0)
	v_mul_f32_e32 v13, v12, v10
	v_mul_f32_e32 v10, v11, v10
	v_fma_f32 v11, v11, v9, -v13
	v_fmac_f32_e32 v10, v12, v9
	v_sub_f32_e32 v3, v3, v11
	v_sub_f32_e32 v4, v4, v10
.LBB64_146:
	s_or_b64 exec, exec, s[10:11]
	s_barrier
	s_and_saveexec_b64 s[10:11], s[34:35]
	s_cbranch_execz .LBB64_148
; %bb.147:
	v_mov_b32_e32 v9, 0
	ds_read_b64 v[9:10], v9 offset:31200
	s_waitcnt lgkmcnt(0)
	v_mul_f32_e32 v11, v4, v10
	v_mul_f32_e32 v12, v3, v10
	v_fma_f32 v3, v3, v9, -v11
	v_fmac_f32_e32 v12, v4, v9
	v_xor_b32_e32 v9, 0x80000000, v3
	v_xor_b32_e32 v10, 0x80000000, v12
	v_mov_b32_e32 v4, v12
	ds_write_b64 v7, v[9:10]
.LBB64_148:
	s_or_b64 exec, exec, s[10:11]
	s_waitcnt lgkmcnt(0)
	s_barrier
	s_barrier
	s_and_saveexec_b64 s[10:11], s[6:7]
; %bb.149:
	v_lshlrev_b32_e32 v9, 3, v5
	v_lshl_or_b32 v9, v6, 9, v9
	ds_write_b64 v9, v[3:4] offset:32224
; %bb.150:
	s_or_b64 exec, exec, s[10:11]
	s_waitcnt lgkmcnt(0)
	s_barrier
	s_barrier
	s_and_saveexec_b64 s[10:11], vcc
	s_cbranch_execz .LBB64_152
; %bb.151:
	s_movk_i32 s12, 0x1e0
	v_mov_b32_e32 v13, 0
	v_add_u32_e64 v9, s12, 0
	ds_read_b64 v[3:4], v13 offset:31720
	ds_read2st64_b64 v[9:12], v9 offset0:60 offset1:61
	s_waitcnt lgkmcnt(0)
	v_mul_f32_e32 v14, v4, v10
	v_mul_f32_e32 v10, v3, v10
	v_fma_f32 v14, v3, v9, -v14
	v_fmac_f32_e32 v10, v4, v9
	v_mul_f32_e32 v3, v10, v12
	v_mul_f32_e32 v4, v14, v12
	v_fma_f32 v3, v14, v11, -v3
	v_fmac_f32_e32 v4, v10, v11
	ds_write_b64 v13, v[3:4] offset:31712
.LBB64_152:
	s_or_b64 exec, exec, s[10:11]
	v_lshrrev_b32_e32 v11, 2, v8
	v_and_b32_e32 v9, 3, v0
	v_sub_u32_e32 v10, 3, v11
	v_cmp_lt_u32_e64 s[10:11], 15, v8
	v_cmp_gt_u32_e64 s[18:19], 16, v8
	v_mov_b32_e32 v4, 0
	v_mov_b32_e32 v3, 0
	s_waitcnt lgkmcnt(0)
	s_barrier
	buffer_wbinvl1_vol
	s_and_saveexec_b64 s[14:15], s[18:19]
	s_cbranch_execz .LBB64_158
; %bb.153:
	v_lshlrev_b32_e32 v12, 3, v9
	v_lshlrev_b32_e32 v13, 9, v10
	ds_read_b64 v[3:4], v12 offset:31168
	ds_read_b64 v[14:15], v13 offset:31200
	v_cmp_gt_u32_e64 s[12:13], 12, v8
	s_waitcnt lgkmcnt(0)
	v_mul_f32_e32 v16, v15, v4
	v_mul_f32_e32 v4, v14, v4
	v_fma_f32 v14, v14, v3, -v16
	v_fmac_f32_e32 v4, v15, v3
	v_add_f32_e32 v3, 0, v14
	v_add_f32_e32 v4, 0, v4
	s_and_saveexec_b64 s[16:17], s[12:13]
	s_cbranch_execnz .LBB64_1054
; %bb.154:
	s_or_b64 exec, exec, s[16:17]
	v_cmp_gt_u32_e64 s[12:13], 8, v8
	s_and_saveexec_b64 s[16:17], s[12:13]
	s_cbranch_execnz .LBB64_1055
.LBB64_155:
	s_or_b64 exec, exec, s[16:17]
	v_cmp_gt_u32_e64 s[12:13], 4, v8
	s_and_saveexec_b64 s[16:17], s[12:13]
	s_cbranch_execz .LBB64_157
.LBB64_156:
	v_lshlrev_b32_e32 v12, 3, v0
	v_mov_b32_e32 v14, 0
	ds_read_b64 v[12:13], v12 offset:32704
	ds_read_b64 v[14:15], v14 offset:32760
	s_waitcnt lgkmcnt(0)
	v_mul_f32_e32 v16, v15, v13
	v_mul_f32_e32 v13, v14, v13
	v_fma_f32 v14, v14, v12, -v16
	v_fmac_f32_e32 v13, v15, v12
	v_add_f32_e32 v3, v3, v14
	v_add_f32_e32 v4, v4, v13
.LBB64_157:
	s_or_b64 exec, exec, s[16:17]
.LBB64_158:
	s_or_b64 exec, exec, s[14:15]
	v_mov_b32_e32 v12, 0x8000
	v_cmp_eq_u32_e64 s[12:13], 3, v9
	s_xor_b64 s[14:15], s[10:11], -1
	v_lshl_add_u32 v11, v11, 3, v12
	s_and_b64 s[40:41], s[12:13], s[14:15]
	s_and_saveexec_b64 s[10:11], s[40:41]
	s_cbranch_execz .LBB64_160
; %bb.159:
	v_mov_b32_e32 v12, 0
	ds_read_b64 v[12:13], v12 offset:30680
	s_waitcnt lgkmcnt(0)
	v_mul_f32_e32 v14, v4, v13
	v_mul_f32_e32 v15, v3, v13
	v_fma_f32 v3, v3, v12, -v14
	v_fmac_f32_e32 v15, v4, v12
	v_xor_b32_e32 v12, 0x80000000, v3
	v_xor_b32_e32 v13, 0x80000000, v15
	v_mov_b32_e32 v4, v15
	ds_write_b64 v11, v[12:13]
.LBB64_160:
	s_or_b64 exec, exec, s[10:11]
	v_cmp_ne_u32_e64 s[10:11], 3, v9
	s_and_b64 s[42:43], s[10:11], s[14:15]
	s_waitcnt lgkmcnt(0)
	s_barrier
	s_and_saveexec_b64 s[10:11], s[42:43]
	s_cbranch_execz .LBB64_162
; %bb.161:
	v_lshlrev_b32_e32 v12, 3, v9
	ds_read_b64 v[12:13], v12 offset:30656
	ds_read_b64 v[14:15], v11
	s_waitcnt lgkmcnt(0)
	v_mul_f32_e32 v16, v15, v13
	v_mul_f32_e32 v13, v14, v13
	v_fma_f32 v14, v14, v12, -v16
	v_fmac_f32_e32 v13, v15, v12
	v_sub_f32_e32 v3, v3, v14
	v_sub_f32_e32 v4, v4, v13
.LBB64_162:
	s_or_b64 exec, exec, s[10:11]
	v_cmp_eq_u32_e64 s[10:11], 2, v9
	s_and_b64 s[44:45], s[10:11], s[14:15]
	s_barrier
	s_and_saveexec_b64 s[10:11], s[44:45]
	s_cbranch_execz .LBB64_164
; %bb.163:
	v_mov_b32_e32 v12, 0
	ds_read_b64 v[12:13], v12 offset:30160
	s_waitcnt lgkmcnt(0)
	v_mul_f32_e32 v14, v4, v13
	v_mul_f32_e32 v15, v3, v13
	v_fma_f32 v3, v3, v12, -v14
	v_fmac_f32_e32 v15, v4, v12
	v_xor_b32_e32 v12, 0x80000000, v3
	v_xor_b32_e32 v13, 0x80000000, v15
	v_mov_b32_e32 v4, v15
	ds_write_b64 v11, v[12:13]
.LBB64_164:
	s_or_b64 exec, exec, s[10:11]
	v_cmp_gt_u32_e64 s[10:11], 2, v9
	s_and_b64 s[46:47], s[10:11], s[14:15]
	s_waitcnt lgkmcnt(0)
	s_barrier
	s_and_saveexec_b64 s[10:11], s[46:47]
	s_cbranch_execz .LBB64_166
; %bb.165:
	v_lshlrev_b32_e32 v12, 3, v9
	ds_read_b64 v[12:13], v12 offset:30144
	ds_read_b64 v[14:15], v11
	s_waitcnt lgkmcnt(0)
	v_mul_f32_e32 v16, v15, v13
	v_mul_f32_e32 v13, v14, v13
	v_fma_f32 v14, v14, v12, -v16
	v_fmac_f32_e32 v13, v15, v12
	v_sub_f32_e32 v3, v3, v14
	v_sub_f32_e32 v4, v4, v13
.LBB64_166:
	s_or_b64 exec, exec, s[10:11]
	v_cmp_eq_u32_e64 s[10:11], 1, v9
	s_and_b64 s[48:49], s[10:11], s[14:15]
	s_barrier
	s_and_saveexec_b64 s[10:11], s[48:49]
	s_cbranch_execz .LBB64_168
; %bb.167:
	v_mov_b32_e32 v12, 0
	ds_read_b64 v[12:13], v12 offset:29640
	s_waitcnt lgkmcnt(0)
	v_mul_f32_e32 v14, v4, v13
	v_mul_f32_e32 v15, v3, v13
	v_fma_f32 v3, v3, v12, -v14
	v_fmac_f32_e32 v15, v4, v12
	v_xor_b32_e32 v12, 0x80000000, v3
	v_xor_b32_e32 v13, 0x80000000, v15
	v_mov_b32_e32 v4, v15
	ds_write_b64 v11, v[12:13]
.LBB64_168:
	s_or_b64 exec, exec, s[10:11]
	v_cmp_eq_u32_e64 s[10:11], 0, v9
	s_and_b64 s[38:39], s[10:11], s[14:15]
	s_waitcnt lgkmcnt(0)
	s_barrier
	s_and_saveexec_b64 s[10:11], s[38:39]
	s_cbranch_execz .LBB64_170
; %bb.169:
	v_mov_b32_e32 v12, 0
	ds_read_b64 v[12:13], v12 offset:29632
	ds_read_b64 v[14:15], v11
	s_waitcnt lgkmcnt(0)
	v_mul_f32_e32 v16, v15, v13
	v_mul_f32_e32 v13, v14, v13
	v_fma_f32 v14, v14, v12, -v16
	v_fmac_f32_e32 v13, v15, v12
	v_sub_f32_e32 v3, v3, v14
	v_sub_f32_e32 v4, v4, v13
.LBB64_170:
	s_or_b64 exec, exec, s[10:11]
	s_barrier
	s_and_saveexec_b64 s[10:11], s[38:39]
	s_cbranch_execz .LBB64_172
; %bb.171:
	v_mov_b32_e32 v12, 0
	ds_read_b64 v[12:13], v12 offset:29120
	s_waitcnt lgkmcnt(0)
	v_mul_f32_e32 v14, v4, v13
	v_mul_f32_e32 v15, v3, v13
	v_fma_f32 v3, v3, v12, -v14
	v_fmac_f32_e32 v15, v4, v12
	v_xor_b32_e32 v12, 0x80000000, v3
	v_xor_b32_e32 v13, 0x80000000, v15
	v_mov_b32_e32 v4, v15
	ds_write_b64 v11, v[12:13]
.LBB64_172:
	s_or_b64 exec, exec, s[10:11]
	s_waitcnt lgkmcnt(0)
	s_barrier
	s_barrier
	s_and_saveexec_b64 s[10:11], s[18:19]
; %bb.173:
	v_lshlrev_b32_e32 v12, 3, v9
	v_lshl_or_b32 v12, v10, 9, v12
	ds_write_b64 v12, v[3:4] offset:31168
; %bb.174:
	s_or_b64 exec, exec, s[10:11]
	s_waitcnt lgkmcnt(0)
	s_barrier
	s_barrier
	s_and_saveexec_b64 s[10:11], vcc
	s_cbranch_execz .LBB64_176
; %bb.175:
	s_movk_i32 s12, 0x1d0
	v_mov_b32_e32 v16, 0
	v_add_u32_e64 v12, s12, 0
	ds_read_b64 v[3:4], v16 offset:30680
	ds_read2st64_b64 v[12:15], v12 offset0:58 offset1:59
	s_waitcnt lgkmcnt(0)
	v_mul_f32_e32 v17, v4, v13
	v_mul_f32_e32 v13, v3, v13
	v_fma_f32 v17, v3, v12, -v17
	v_fmac_f32_e32 v13, v4, v12
	v_mul_f32_e32 v3, v13, v15
	v_mul_f32_e32 v4, v17, v15
	v_fma_f32 v3, v17, v14, -v3
	v_fmac_f32_e32 v4, v13, v14
	ds_write_b64 v16, v[3:4] offset:30672
.LBB64_176:
	s_or_b64 exec, exec, s[10:11]
	v_mov_b32_e32 v3, 0
	v_mov_b32_e32 v4, 0
	s_waitcnt lgkmcnt(0)
	s_barrier
	buffer_wbinvl1_vol
	s_and_saveexec_b64 s[12:13], s[6:7]
	s_cbranch_execz .LBB64_180
; %bb.177:
	v_lshlrev_b32_e32 v3, 3, v5
	v_lshlrev_b32_e32 v12, 9, v6
	ds_read_b64 v[3:4], v3 offset:30144
	ds_read_b64 v[12:13], v12 offset:30160
	v_cmp_gt_u32_e64 s[10:11], 2, v8
	s_waitcnt lgkmcnt(0)
	v_mul_f32_e32 v14, v13, v4
	v_mul_f32_e32 v4, v12, v4
	v_fma_f32 v12, v12, v3, -v14
	v_fmac_f32_e32 v4, v13, v3
	v_add_f32_e32 v3, 0, v12
	v_add_f32_e32 v4, 0, v4
	s_and_saveexec_b64 s[14:15], s[10:11]
	s_cbranch_execz .LBB64_179
; %bb.178:
	v_lshlrev_b32_e32 v12, 3, v0
	v_mov_b32_e32 v14, 0
	ds_read_b64 v[12:13], v12 offset:30656
	ds_read_b64 v[14:15], v14 offset:30680
	s_waitcnt lgkmcnt(0)
	v_mul_f32_e32 v16, v15, v13
	v_mul_f32_e32 v13, v14, v13
	v_fma_f32 v14, v14, v12, -v16
	v_fmac_f32_e32 v13, v15, v12
	v_add_f32_e32 v3, v3, v14
	v_add_f32_e32 v4, v4, v13
.LBB64_179:
	s_or_b64 exec, exec, s[14:15]
.LBB64_180:
	s_or_b64 exec, exec, s[12:13]
	s_and_saveexec_b64 s[10:11], s[36:37]
	s_cbranch_execz .LBB64_182
; %bb.181:
	v_mov_b32_e32 v12, 0
	ds_read_b64 v[12:13], v12 offset:29640
	s_waitcnt lgkmcnt(0)
	v_mul_f32_e32 v14, v4, v13
	v_mul_f32_e32 v15, v3, v13
	v_fma_f32 v3, v3, v12, -v14
	v_fmac_f32_e32 v15, v4, v12
	v_xor_b32_e32 v12, 0x80000000, v3
	v_xor_b32_e32 v13, 0x80000000, v15
	v_mov_b32_e32 v4, v15
	ds_write_b64 v7, v[12:13]
.LBB64_182:
	s_or_b64 exec, exec, s[10:11]
	s_waitcnt lgkmcnt(0)
	s_barrier
	s_and_saveexec_b64 s[10:11], s[34:35]
	s_cbranch_execz .LBB64_184
; %bb.183:
	v_mov_b32_e32 v12, 0
	ds_read_b64 v[12:13], v12 offset:29632
	ds_read_b64 v[14:15], v7
	s_waitcnt lgkmcnt(0)
	v_mul_f32_e32 v16, v15, v13
	v_mul_f32_e32 v13, v14, v13
	v_fma_f32 v14, v14, v12, -v16
	v_fmac_f32_e32 v13, v15, v12
	v_sub_f32_e32 v3, v3, v14
	v_sub_f32_e32 v4, v4, v13
.LBB64_184:
	s_or_b64 exec, exec, s[10:11]
	s_barrier
	s_and_saveexec_b64 s[10:11], s[34:35]
	s_cbranch_execz .LBB64_186
; %bb.185:
	v_mov_b32_e32 v12, 0
	ds_read_b64 v[12:13], v12 offset:29120
	s_waitcnt lgkmcnt(0)
	v_mul_f32_e32 v14, v4, v13
	v_mul_f32_e32 v15, v3, v13
	v_fma_f32 v3, v3, v12, -v14
	v_fmac_f32_e32 v15, v4, v12
	v_xor_b32_e32 v12, 0x80000000, v3
	v_xor_b32_e32 v13, 0x80000000, v15
	v_mov_b32_e32 v4, v15
	ds_write_b64 v7, v[12:13]
.LBB64_186:
	s_or_b64 exec, exec, s[10:11]
	s_waitcnt lgkmcnt(0)
	s_barrier
	s_barrier
	s_and_saveexec_b64 s[10:11], s[6:7]
; %bb.187:
	v_lshlrev_b32_e32 v12, 3, v5
	v_lshl_or_b32 v12, v6, 9, v12
	ds_write_b64 v12, v[3:4] offset:30144
; %bb.188:
	s_or_b64 exec, exec, s[10:11]
	s_waitcnt lgkmcnt(0)
	s_barrier
	s_barrier
	s_and_saveexec_b64 s[10:11], vcc
	s_cbranch_execz .LBB64_190
; %bb.189:
	s_movk_i32 s12, 0x1c0
	v_mov_b32_e32 v16, 0
	v_add_u32_e64 v12, s12, 0
	ds_read_b64 v[3:4], v16 offset:29640
	ds_read2st64_b64 v[12:15], v12 offset0:56 offset1:57
	s_waitcnt lgkmcnt(0)
	v_mul_f32_e32 v17, v4, v13
	v_mul_f32_e32 v13, v3, v13
	v_fma_f32 v17, v3, v12, -v17
	v_fmac_f32_e32 v13, v4, v12
	v_mul_f32_e32 v3, v13, v15
	v_mul_f32_e32 v4, v17, v15
	v_fma_f32 v3, v17, v14, -v3
	v_fmac_f32_e32 v4, v13, v14
	ds_write_b64 v16, v[3:4] offset:29632
.LBB64_190:
	s_or_b64 exec, exec, s[10:11]
	v_lshrrev_b32_e32 v14, 3, v8
	v_and_b32_e32 v12, 7, v0
	v_sub_u32_e32 v13, 7, v14
	v_cmp_lt_u32_e64 s[12:13], 63, v8
	v_cmp_gt_u32_e64 s[10:11], 64, v8
	v_mov_b32_e32 v4, 0
	v_mov_b32_e32 v3, 0
	s_waitcnt lgkmcnt(0)
	s_barrier
	buffer_wbinvl1_vol
	s_and_saveexec_b64 s[16:17], s[10:11]
	s_cbranch_execz .LBB64_200
; %bb.191:
	v_lshlrev_b32_e32 v15, 3, v12
	v_lshlrev_b32_e32 v16, 9, v13
	ds_read_b64 v[3:4], v15 offset:29056
	ds_read_b64 v[17:18], v16 offset:29120
	v_cmp_gt_u32_e64 s[14:15], 56, v8
	s_waitcnt lgkmcnt(0)
	v_mul_f32_e32 v19, v18, v4
	v_mul_f32_e32 v4, v17, v4
	v_fma_f32 v17, v17, v3, -v19
	v_fmac_f32_e32 v4, v18, v3
	v_add_f32_e32 v3, 0, v17
	v_add_f32_e32 v4, 0, v4
	s_and_saveexec_b64 s[20:21], s[14:15]
	s_cbranch_execnz .LBB64_1056
; %bb.192:
	s_or_b64 exec, exec, s[20:21]
	v_cmp_gt_u32_e64 s[14:15], 48, v8
	s_and_saveexec_b64 s[20:21], s[14:15]
	s_cbranch_execnz .LBB64_1057
.LBB64_193:
	s_or_b64 exec, exec, s[20:21]
	v_cmp_gt_u32_e64 s[14:15], 40, v8
	s_and_saveexec_b64 s[20:21], s[14:15]
	s_cbranch_execnz .LBB64_1058
.LBB64_194:
	s_or_b64 exec, exec, s[20:21]
	v_cmp_gt_u32_e64 s[14:15], 32, v8
	s_and_saveexec_b64 s[20:21], s[14:15]
	s_cbranch_execnz .LBB64_1059
.LBB64_195:
	s_or_b64 exec, exec, s[20:21]
	v_cmp_gt_u32_e64 s[14:15], 24, v8
	s_and_saveexec_b64 s[20:21], s[14:15]
	s_cbranch_execnz .LBB64_1060
.LBB64_196:
	s_or_b64 exec, exec, s[20:21]
	s_and_saveexec_b64 s[14:15], s[18:19]
	s_cbranch_execnz .LBB64_1061
.LBB64_197:
	s_or_b64 exec, exec, s[14:15]
	v_cmp_gt_u32_e64 s[14:15], 8, v8
	s_and_saveexec_b64 s[20:21], s[14:15]
	s_cbranch_execz .LBB64_199
.LBB64_198:
	v_lshlrev_b32_e32 v15, 3, v0
	v_mov_b32_e32 v17, 0
	ds_read_b64 v[15:16], v15 offset:32640
	ds_read_b64 v[17:18], v17 offset:32760
	s_waitcnt lgkmcnt(0)
	v_mul_f32_e32 v19, v18, v16
	v_mul_f32_e32 v16, v17, v16
	v_fma_f32 v17, v17, v15, -v19
	v_fmac_f32_e32 v16, v18, v15
	v_add_f32_e32 v3, v3, v17
	v_add_f32_e32 v4, v4, v16
.LBB64_199:
	s_or_b64 exec, exec, s[20:21]
.LBB64_200:
                                        ; implicit-def: $vgpr30 : SGPR spill to VGPR lane
	v_writelane_b32 v30, s52, 0
	s_or_b64 exec, exec, s[16:17]
	v_mov_b32_e32 v15, 0x8000
	v_cmp_eq_u32_e64 s[14:15], 7, v12
	s_xor_b64 s[16:17], s[12:13], -1
	v_lshl_add_u32 v14, v14, 3, v15
	s_and_b64 s[52:53], s[14:15], s[16:17]
	s_and_saveexec_b64 s[12:13], s[52:53]
	s_cbranch_execz .LBB64_202
; %bb.201:
	v_mov_b32_e32 v15, 0
	ds_read_b64 v[15:16], v15 offset:28600
	s_waitcnt lgkmcnt(0)
	v_mul_f32_e32 v17, v4, v16
	v_mul_f32_e32 v18, v3, v16
	v_fma_f32 v3, v3, v15, -v17
	v_fmac_f32_e32 v18, v4, v15
	v_xor_b32_e32 v15, 0x80000000, v3
	v_xor_b32_e32 v16, 0x80000000, v18
	v_mov_b32_e32 v4, v18
	ds_write_b64 v14, v[15:16]
.LBB64_202:
	s_or_b64 exec, exec, s[12:13]
	v_cmp_ne_u32_e64 s[12:13], 7, v12
	s_and_b64 s[54:55], s[12:13], s[16:17]
	s_waitcnt lgkmcnt(0)
	s_barrier
	s_and_saveexec_b64 s[12:13], s[54:55]
	s_cbranch_execz .LBB64_204
; %bb.203:
	v_lshlrev_b32_e32 v15, 3, v12
	ds_read_b64 v[15:16], v15 offset:28544
	ds_read_b64 v[17:18], v14
	s_waitcnt lgkmcnt(0)
	v_mul_f32_e32 v19, v18, v16
	v_mul_f32_e32 v16, v17, v16
	v_fma_f32 v17, v17, v15, -v19
	v_fmac_f32_e32 v16, v18, v15
	v_sub_f32_e32 v3, v3, v17
	v_sub_f32_e32 v4, v4, v16
.LBB64_204:
	s_or_b64 exec, exec, s[12:13]
	v_cmp_eq_u32_e64 s[12:13], 6, v12
	s_and_b64 s[56:57], s[12:13], s[16:17]
	s_barrier
	s_and_saveexec_b64 s[12:13], s[56:57]
	s_cbranch_execz .LBB64_206
; %bb.205:
	v_mov_b32_e32 v15, 0
	ds_read_b64 v[15:16], v15 offset:28080
	s_waitcnt lgkmcnt(0)
	v_mul_f32_e32 v17, v4, v16
	v_mul_f32_e32 v18, v3, v16
	v_fma_f32 v3, v3, v15, -v17
	v_fmac_f32_e32 v18, v4, v15
	v_xor_b32_e32 v15, 0x80000000, v3
	v_xor_b32_e32 v16, 0x80000000, v18
	v_mov_b32_e32 v4, v18
	ds_write_b64 v14, v[15:16]
.LBB64_206:
	s_or_b64 exec, exec, s[12:13]
	v_cmp_gt_u32_e64 s[12:13], 6, v12
	s_and_b64 s[58:59], s[12:13], s[16:17]
	s_waitcnt lgkmcnt(0)
	s_barrier
	s_and_saveexec_b64 s[12:13], s[58:59]
	s_cbranch_execz .LBB64_208
; %bb.207:
	v_lshlrev_b32_e32 v15, 3, v12
	ds_read_b64 v[15:16], v15 offset:28032
	ds_read_b64 v[17:18], v14
	s_waitcnt lgkmcnt(0)
	v_mul_f32_e32 v19, v18, v16
	v_mul_f32_e32 v16, v17, v16
	v_fma_f32 v17, v17, v15, -v19
	v_fmac_f32_e32 v16, v18, v15
	v_sub_f32_e32 v3, v3, v17
	v_sub_f32_e32 v4, v4, v16
.LBB64_208:
	s_or_b64 exec, exec, s[12:13]
	v_cmp_eq_u32_e64 s[12:13], 5, v12
	s_and_b64 s[60:61], s[12:13], s[16:17]
	s_barrier
	s_and_saveexec_b64 s[12:13], s[60:61]
	s_cbranch_execz .LBB64_210
; %bb.209:
	v_mov_b32_e32 v15, 0
	ds_read_b64 v[15:16], v15 offset:27560
	s_waitcnt lgkmcnt(0)
	v_mul_f32_e32 v17, v4, v16
	v_mul_f32_e32 v18, v3, v16
	v_fma_f32 v3, v3, v15, -v17
	v_fmac_f32_e32 v18, v4, v15
	v_xor_b32_e32 v15, 0x80000000, v3
	v_xor_b32_e32 v16, 0x80000000, v18
	v_mov_b32_e32 v4, v18
	ds_write_b64 v14, v[15:16]
.LBB64_210:
	s_or_b64 exec, exec, s[12:13]
	v_cmp_gt_u32_e64 s[12:13], 5, v12
	;; [unrolled: 38-line block ×5, first 2 shown]
	s_and_b64 s[74:75], s[12:13], s[16:17]
	s_waitcnt lgkmcnt(0)
	s_barrier
	s_and_saveexec_b64 s[12:13], s[74:75]
	s_cbranch_execz .LBB64_224
; %bb.223:
	v_lshlrev_b32_e32 v15, 3, v12
	ds_read_b64 v[15:16], v15 offset:25984
	ds_read_b64 v[17:18], v14
	s_waitcnt lgkmcnt(0)
	v_mul_f32_e32 v19, v18, v16
	v_mul_f32_e32 v16, v17, v16
	v_fma_f32 v17, v17, v15, -v19
	v_fmac_f32_e32 v16, v18, v15
	v_sub_f32_e32 v3, v3, v17
	v_sub_f32_e32 v4, v4, v16
.LBB64_224:
	s_or_b64 exec, exec, s[12:13]
	v_cmp_eq_u32_e64 s[12:13], 1, v12
	s_and_b64 s[76:77], s[12:13], s[16:17]
	s_barrier
	s_and_saveexec_b64 s[12:13], s[76:77]
	s_cbranch_execz .LBB64_226
; %bb.225:
	v_mov_b32_e32 v15, 0
	ds_read_b64 v[15:16], v15 offset:25480
	s_waitcnt lgkmcnt(0)
	v_mul_f32_e32 v17, v4, v16
	v_mul_f32_e32 v18, v3, v16
	v_fma_f32 v3, v3, v15, -v17
	v_fmac_f32_e32 v18, v4, v15
	v_xor_b32_e32 v15, 0x80000000, v3
	v_xor_b32_e32 v16, 0x80000000, v18
	v_mov_b32_e32 v4, v18
	ds_write_b64 v14, v[15:16]
.LBB64_226:
	s_or_b64 exec, exec, s[12:13]
	v_cmp_eq_u32_e64 s[12:13], 0, v12
	s_and_b64 s[50:51], s[12:13], s[16:17]
	s_waitcnt lgkmcnt(0)
	s_barrier
	s_and_saveexec_b64 s[12:13], s[50:51]
	s_cbranch_execz .LBB64_228
; %bb.227:
	v_mov_b32_e32 v15, 0
	ds_read_b64 v[15:16], v15 offset:25472
	ds_read_b64 v[17:18], v14
	s_waitcnt lgkmcnt(0)
	v_mul_f32_e32 v19, v18, v16
	v_mul_f32_e32 v16, v17, v16
	v_fma_f32 v17, v17, v15, -v19
	v_fmac_f32_e32 v16, v18, v15
	v_sub_f32_e32 v3, v3, v17
	v_sub_f32_e32 v4, v4, v16
.LBB64_228:
	s_or_b64 exec, exec, s[12:13]
	s_barrier
	s_and_saveexec_b64 s[12:13], s[50:51]
	s_cbranch_execz .LBB64_230
; %bb.229:
	v_mov_b32_e32 v15, 0
	ds_read_b64 v[15:16], v15 offset:24960
	s_waitcnt lgkmcnt(0)
	v_mul_f32_e32 v17, v4, v16
	v_mul_f32_e32 v18, v3, v16
	v_fma_f32 v3, v3, v15, -v17
	v_fmac_f32_e32 v18, v4, v15
	v_xor_b32_e32 v15, 0x80000000, v3
	v_xor_b32_e32 v16, 0x80000000, v18
	v_mov_b32_e32 v4, v18
	ds_write_b64 v14, v[15:16]
.LBB64_230:
	s_or_b64 exec, exec, s[12:13]
	s_waitcnt lgkmcnt(0)
	s_barrier
	s_barrier
	s_and_saveexec_b64 s[12:13], s[10:11]
; %bb.231:
	v_lshlrev_b32_e32 v15, 3, v12
	v_lshl_or_b32 v15, v13, 9, v15
	ds_write_b64 v15, v[3:4] offset:29056
; %bb.232:
	s_or_b64 exec, exec, s[12:13]
	s_waitcnt lgkmcnt(0)
	s_barrier
	s_barrier
	s_and_saveexec_b64 s[12:13], vcc
	s_cbranch_execz .LBB64_234
; %bb.233:
	s_movk_i32 s14, 0x1b0
	v_mov_b32_e32 v19, 0
	v_add_u32_e64 v15, s14, 0
	ds_read_b64 v[3:4], v19 offset:28600
	ds_read2st64_b64 v[15:18], v15 offset0:54 offset1:55
	s_waitcnt lgkmcnt(0)
	v_mul_f32_e32 v20, v4, v16
	v_mul_f32_e32 v16, v3, v16
	v_fma_f32 v20, v3, v15, -v20
	v_fmac_f32_e32 v16, v4, v15
	v_mul_f32_e32 v3, v16, v18
	v_mul_f32_e32 v4, v20, v18
	v_fma_f32 v3, v20, v17, -v3
	v_fmac_f32_e32 v4, v16, v17
	ds_write_b64 v19, v[3:4] offset:28592
.LBB64_234:
	s_or_b64 exec, exec, s[12:13]
	v_mov_b32_e32 v3, 0
	v_mov_b32_e32 v4, 0
	s_waitcnt lgkmcnt(0)
	s_barrier
	buffer_wbinvl1_vol
	s_and_saveexec_b64 s[14:15], s[6:7]
	s_cbranch_execz .LBB64_238
; %bb.235:
	v_lshlrev_b32_e32 v3, 3, v5
	v_lshlrev_b32_e32 v15, 9, v6
	ds_read_b64 v[3:4], v3 offset:28064
	ds_read_b64 v[15:16], v15 offset:28080
	v_cmp_gt_u32_e64 s[12:13], 2, v8
	s_waitcnt lgkmcnt(0)
	v_mul_f32_e32 v17, v16, v4
	v_mul_f32_e32 v4, v15, v4
	v_fma_f32 v15, v15, v3, -v17
	v_fmac_f32_e32 v4, v16, v3
	v_add_f32_e32 v3, 0, v15
	v_add_f32_e32 v4, 0, v4
	s_and_saveexec_b64 s[16:17], s[12:13]
	s_cbranch_execz .LBB64_237
; %bb.236:
	v_lshlrev_b32_e32 v15, 3, v0
	v_mov_b32_e32 v17, 0
	ds_read_b64 v[15:16], v15 offset:28576
	ds_read_b64 v[17:18], v17 offset:28600
	s_waitcnt lgkmcnt(0)
	v_mul_f32_e32 v19, v18, v16
	v_mul_f32_e32 v16, v17, v16
	v_fma_f32 v17, v17, v15, -v19
	v_fmac_f32_e32 v16, v18, v15
	v_add_f32_e32 v3, v3, v17
	v_add_f32_e32 v4, v4, v16
.LBB64_237:
	s_or_b64 exec, exec, s[16:17]
.LBB64_238:
	s_or_b64 exec, exec, s[14:15]
	s_and_saveexec_b64 s[12:13], s[36:37]
	s_cbranch_execz .LBB64_240
; %bb.239:
	v_mov_b32_e32 v15, 0
	ds_read_b64 v[15:16], v15 offset:27560
	s_waitcnt lgkmcnt(0)
	v_mul_f32_e32 v17, v4, v16
	v_mul_f32_e32 v18, v3, v16
	v_fma_f32 v3, v3, v15, -v17
	v_fmac_f32_e32 v18, v4, v15
	v_xor_b32_e32 v15, 0x80000000, v3
	v_xor_b32_e32 v16, 0x80000000, v18
	v_mov_b32_e32 v4, v18
	ds_write_b64 v7, v[15:16]
.LBB64_240:
	s_or_b64 exec, exec, s[12:13]
	s_waitcnt lgkmcnt(0)
	s_barrier
	s_and_saveexec_b64 s[12:13], s[34:35]
	s_cbranch_execz .LBB64_242
; %bb.241:
	v_mov_b32_e32 v15, 0
	ds_read_b64 v[15:16], v15 offset:27552
	ds_read_b64 v[17:18], v7
	s_waitcnt lgkmcnt(0)
	v_mul_f32_e32 v19, v18, v16
	v_mul_f32_e32 v16, v17, v16
	v_fma_f32 v17, v17, v15, -v19
	v_fmac_f32_e32 v16, v18, v15
	v_sub_f32_e32 v3, v3, v17
	v_sub_f32_e32 v4, v4, v16
.LBB64_242:
	s_or_b64 exec, exec, s[12:13]
	s_barrier
	s_and_saveexec_b64 s[12:13], s[34:35]
	s_cbranch_execz .LBB64_244
; %bb.243:
	v_mov_b32_e32 v15, 0
	ds_read_b64 v[15:16], v15 offset:27040
	s_waitcnt lgkmcnt(0)
	v_mul_f32_e32 v17, v4, v16
	v_mul_f32_e32 v18, v3, v16
	v_fma_f32 v3, v3, v15, -v17
	v_fmac_f32_e32 v18, v4, v15
	v_xor_b32_e32 v15, 0x80000000, v3
	v_xor_b32_e32 v16, 0x80000000, v18
	v_mov_b32_e32 v4, v18
	ds_write_b64 v7, v[15:16]
.LBB64_244:
	s_or_b64 exec, exec, s[12:13]
	s_waitcnt lgkmcnt(0)
	s_barrier
	s_barrier
	s_and_saveexec_b64 s[12:13], s[6:7]
; %bb.245:
	v_lshlrev_b32_e32 v15, 3, v5
	v_lshl_or_b32 v15, v6, 9, v15
	ds_write_b64 v15, v[3:4] offset:28064
; %bb.246:
	s_or_b64 exec, exec, s[12:13]
	s_waitcnt lgkmcnt(0)
	s_barrier
	s_barrier
	s_and_saveexec_b64 s[12:13], vcc
	s_cbranch_execz .LBB64_248
; %bb.247:
	s_movk_i32 s14, 0x1a0
	v_mov_b32_e32 v19, 0
	v_add_u32_e64 v15, s14, 0
	ds_read_b64 v[3:4], v19 offset:27560
	ds_read2st64_b64 v[15:18], v15 offset0:52 offset1:53
	s_waitcnt lgkmcnt(0)
	v_mul_f32_e32 v20, v4, v16
	v_mul_f32_e32 v16, v3, v16
	v_fma_f32 v20, v3, v15, -v20
	v_fmac_f32_e32 v16, v4, v15
	v_mul_f32_e32 v3, v16, v18
	v_mul_f32_e32 v4, v20, v18
	v_fma_f32 v3, v20, v17, -v3
	v_fmac_f32_e32 v4, v16, v17
	ds_write_b64 v19, v[3:4] offset:27552
.LBB64_248:
	s_or_b64 exec, exec, s[12:13]
	v_mov_b32_e32 v4, 0
	v_mov_b32_e32 v3, 0
	s_waitcnt lgkmcnt(0)
	s_barrier
	buffer_wbinvl1_vol
	s_and_saveexec_b64 s[14:15], s[18:19]
	s_cbranch_execz .LBB64_254
; %bb.249:
	v_lshlrev_b32_e32 v15, 3, v9
	v_lshlrev_b32_e32 v16, 9, v10
	ds_read_b64 v[3:4], v15 offset:27008
	ds_read_b64 v[17:18], v16 offset:27040
	v_cmp_gt_u32_e64 s[12:13], 12, v8
	s_waitcnt lgkmcnt(0)
	v_mul_f32_e32 v19, v18, v4
	v_mul_f32_e32 v4, v17, v4
	v_fma_f32 v17, v17, v3, -v19
	v_fmac_f32_e32 v4, v18, v3
	v_add_f32_e32 v3, 0, v17
	v_add_f32_e32 v4, 0, v4
	s_and_saveexec_b64 s[16:17], s[12:13]
	s_cbranch_execnz .LBB64_1062
; %bb.250:
	s_or_b64 exec, exec, s[16:17]
	v_cmp_gt_u32_e64 s[12:13], 8, v8
	s_and_saveexec_b64 s[16:17], s[12:13]
	s_cbranch_execnz .LBB64_1063
.LBB64_251:
	s_or_b64 exec, exec, s[16:17]
	v_cmp_gt_u32_e64 s[12:13], 4, v8
	s_and_saveexec_b64 s[16:17], s[12:13]
	s_cbranch_execz .LBB64_253
.LBB64_252:
	v_lshlrev_b32_e32 v15, 3, v0
	v_mov_b32_e32 v17, 0
	ds_read_b64 v[15:16], v15 offset:28544
	ds_read_b64 v[17:18], v17 offset:28600
	s_waitcnt lgkmcnt(0)
	v_mul_f32_e32 v19, v18, v16
	v_mul_f32_e32 v16, v17, v16
	v_fma_f32 v17, v17, v15, -v19
	v_fmac_f32_e32 v16, v18, v15
	v_add_f32_e32 v3, v3, v17
	v_add_f32_e32 v4, v4, v16
.LBB64_253:
	s_or_b64 exec, exec, s[16:17]
.LBB64_254:
	s_or_b64 exec, exec, s[14:15]
	s_and_saveexec_b64 s[12:13], s[40:41]
	s_cbranch_execz .LBB64_256
; %bb.255:
	v_mov_b32_e32 v15, 0
	ds_read_b64 v[15:16], v15 offset:26520
	s_waitcnt lgkmcnt(0)
	v_mul_f32_e32 v17, v4, v16
	v_mul_f32_e32 v18, v3, v16
	v_fma_f32 v3, v3, v15, -v17
	v_fmac_f32_e32 v18, v4, v15
	v_xor_b32_e32 v15, 0x80000000, v3
	v_xor_b32_e32 v16, 0x80000000, v18
	v_mov_b32_e32 v4, v18
	ds_write_b64 v11, v[15:16]
.LBB64_256:
	s_or_b64 exec, exec, s[12:13]
	s_waitcnt lgkmcnt(0)
	s_barrier
	s_and_saveexec_b64 s[12:13], s[42:43]
	s_cbranch_execz .LBB64_258
; %bb.257:
	v_lshlrev_b32_e32 v15, 3, v9
	ds_read_b64 v[15:16], v15 offset:26496
	ds_read_b64 v[17:18], v11
	s_waitcnt lgkmcnt(0)
	v_mul_f32_e32 v19, v18, v16
	v_mul_f32_e32 v16, v17, v16
	v_fma_f32 v17, v17, v15, -v19
	v_fmac_f32_e32 v16, v18, v15
	v_sub_f32_e32 v3, v3, v17
	v_sub_f32_e32 v4, v4, v16
.LBB64_258:
	s_or_b64 exec, exec, s[12:13]
	s_barrier
	s_and_saveexec_b64 s[12:13], s[44:45]
	s_cbranch_execz .LBB64_260
; %bb.259:
	v_mov_b32_e32 v15, 0
	ds_read_b64 v[15:16], v15 offset:26000
	s_waitcnt lgkmcnt(0)
	v_mul_f32_e32 v17, v4, v16
	v_mul_f32_e32 v18, v3, v16
	v_fma_f32 v3, v3, v15, -v17
	v_fmac_f32_e32 v18, v4, v15
	v_xor_b32_e32 v15, 0x80000000, v3
	v_xor_b32_e32 v16, 0x80000000, v18
	v_mov_b32_e32 v4, v18
	ds_write_b64 v11, v[15:16]
.LBB64_260:
	s_or_b64 exec, exec, s[12:13]
	s_waitcnt lgkmcnt(0)
	s_barrier
	s_and_saveexec_b64 s[12:13], s[46:47]
	s_cbranch_execz .LBB64_262
; %bb.261:
	v_lshlrev_b32_e32 v15, 3, v9
	ds_read_b64 v[15:16], v15 offset:25984
	ds_read_b64 v[17:18], v11
	s_waitcnt lgkmcnt(0)
	v_mul_f32_e32 v19, v18, v16
	v_mul_f32_e32 v16, v17, v16
	v_fma_f32 v17, v17, v15, -v19
	v_fmac_f32_e32 v16, v18, v15
	v_sub_f32_e32 v3, v3, v17
	v_sub_f32_e32 v4, v4, v16
.LBB64_262:
	s_or_b64 exec, exec, s[12:13]
	s_barrier
	s_and_saveexec_b64 s[12:13], s[48:49]
	s_cbranch_execz .LBB64_264
; %bb.263:
	v_mov_b32_e32 v15, 0
	ds_read_b64 v[15:16], v15 offset:25480
	s_waitcnt lgkmcnt(0)
	v_mul_f32_e32 v17, v4, v16
	v_mul_f32_e32 v18, v3, v16
	v_fma_f32 v3, v3, v15, -v17
	v_fmac_f32_e32 v18, v4, v15
	v_xor_b32_e32 v15, 0x80000000, v3
	v_xor_b32_e32 v16, 0x80000000, v18
	v_mov_b32_e32 v4, v18
	ds_write_b64 v11, v[15:16]
.LBB64_264:
	s_or_b64 exec, exec, s[12:13]
	s_waitcnt lgkmcnt(0)
	s_barrier
	s_and_saveexec_b64 s[12:13], s[38:39]
	s_cbranch_execz .LBB64_266
; %bb.265:
	v_mov_b32_e32 v15, 0
	ds_read_b64 v[15:16], v15 offset:25472
	ds_read_b64 v[17:18], v11
	s_waitcnt lgkmcnt(0)
	v_mul_f32_e32 v19, v18, v16
	v_mul_f32_e32 v16, v17, v16
	v_fma_f32 v17, v17, v15, -v19
	v_fmac_f32_e32 v16, v18, v15
	v_sub_f32_e32 v3, v3, v17
	v_sub_f32_e32 v4, v4, v16
.LBB64_266:
	s_or_b64 exec, exec, s[12:13]
	s_barrier
	s_and_saveexec_b64 s[12:13], s[38:39]
	s_cbranch_execz .LBB64_268
; %bb.267:
	v_mov_b32_e32 v15, 0
	ds_read_b64 v[15:16], v15 offset:24960
	s_waitcnt lgkmcnt(0)
	v_mul_f32_e32 v17, v4, v16
	v_mul_f32_e32 v18, v3, v16
	v_fma_f32 v3, v3, v15, -v17
	v_fmac_f32_e32 v18, v4, v15
	v_xor_b32_e32 v15, 0x80000000, v3
	v_xor_b32_e32 v16, 0x80000000, v18
	v_mov_b32_e32 v4, v18
	ds_write_b64 v11, v[15:16]
.LBB64_268:
	s_or_b64 exec, exec, s[12:13]
	s_waitcnt lgkmcnt(0)
	s_barrier
	s_barrier
	s_and_saveexec_b64 s[12:13], s[18:19]
; %bb.269:
	v_lshlrev_b32_e32 v15, 3, v9
	v_lshl_or_b32 v15, v10, 9, v15
	ds_write_b64 v15, v[3:4] offset:27008
; %bb.270:
	s_or_b64 exec, exec, s[12:13]
	s_waitcnt lgkmcnt(0)
	s_barrier
	s_barrier
	s_and_saveexec_b64 s[12:13], vcc
	s_cbranch_execz .LBB64_272
; %bb.271:
	s_movk_i32 s14, 0x190
	v_mov_b32_e32 v19, 0
	v_add_u32_e64 v15, s14, 0
	ds_read_b64 v[3:4], v19 offset:26520
	ds_read2st64_b64 v[15:18], v15 offset0:50 offset1:51
	s_waitcnt lgkmcnt(0)
	v_mul_f32_e32 v20, v4, v16
	v_mul_f32_e32 v16, v3, v16
	v_fma_f32 v20, v3, v15, -v20
	v_fmac_f32_e32 v16, v4, v15
	v_mul_f32_e32 v3, v16, v18
	v_mul_f32_e32 v4, v20, v18
	v_fma_f32 v3, v20, v17, -v3
	v_fmac_f32_e32 v4, v16, v17
	ds_write_b64 v19, v[3:4] offset:26512
.LBB64_272:
	s_or_b64 exec, exec, s[12:13]
	v_mov_b32_e32 v3, 0
	v_mov_b32_e32 v4, 0
	s_waitcnt lgkmcnt(0)
	s_barrier
	buffer_wbinvl1_vol
	s_and_saveexec_b64 s[14:15], s[6:7]
	s_cbranch_execz .LBB64_276
; %bb.273:
	v_lshlrev_b32_e32 v3, 3, v5
	v_lshlrev_b32_e32 v15, 9, v6
	ds_read_b64 v[3:4], v3 offset:25984
	ds_read_b64 v[15:16], v15 offset:26000
	v_cmp_gt_u32_e64 s[12:13], 2, v8
	s_waitcnt lgkmcnt(0)
	v_mul_f32_e32 v17, v16, v4
	v_mul_f32_e32 v4, v15, v4
	v_fma_f32 v15, v15, v3, -v17
	v_fmac_f32_e32 v4, v16, v3
	v_add_f32_e32 v3, 0, v15
	v_add_f32_e32 v4, 0, v4
	s_and_saveexec_b64 s[16:17], s[12:13]
	s_cbranch_execz .LBB64_275
; %bb.274:
	v_lshlrev_b32_e32 v15, 3, v0
	v_mov_b32_e32 v17, 0
	ds_read_b64 v[15:16], v15 offset:26496
	ds_read_b64 v[17:18], v17 offset:26520
	s_waitcnt lgkmcnt(0)
	v_mul_f32_e32 v19, v18, v16
	v_mul_f32_e32 v16, v17, v16
	v_fma_f32 v17, v17, v15, -v19
	v_fmac_f32_e32 v16, v18, v15
	v_add_f32_e32 v3, v3, v17
	v_add_f32_e32 v4, v4, v16
.LBB64_275:
	s_or_b64 exec, exec, s[16:17]
.LBB64_276:
	s_or_b64 exec, exec, s[14:15]
	s_and_saveexec_b64 s[12:13], s[36:37]
	s_cbranch_execz .LBB64_278
; %bb.277:
	v_mov_b32_e32 v15, 0
	ds_read_b64 v[15:16], v15 offset:25480
	s_waitcnt lgkmcnt(0)
	v_mul_f32_e32 v17, v4, v16
	v_mul_f32_e32 v18, v3, v16
	v_fma_f32 v3, v3, v15, -v17
	v_fmac_f32_e32 v18, v4, v15
	v_xor_b32_e32 v15, 0x80000000, v3
	v_xor_b32_e32 v16, 0x80000000, v18
	v_mov_b32_e32 v4, v18
	ds_write_b64 v7, v[15:16]
.LBB64_278:
	s_or_b64 exec, exec, s[12:13]
	s_waitcnt lgkmcnt(0)
	s_barrier
	s_and_saveexec_b64 s[12:13], s[34:35]
	s_cbranch_execz .LBB64_280
; %bb.279:
	v_mov_b32_e32 v15, 0
	ds_read_b64 v[15:16], v15 offset:25472
	ds_read_b64 v[17:18], v7
	s_waitcnt lgkmcnt(0)
	v_mul_f32_e32 v19, v18, v16
	v_mul_f32_e32 v16, v17, v16
	v_fma_f32 v17, v17, v15, -v19
	v_fmac_f32_e32 v16, v18, v15
	v_sub_f32_e32 v3, v3, v17
	v_sub_f32_e32 v4, v4, v16
.LBB64_280:
	s_or_b64 exec, exec, s[12:13]
	s_barrier
	s_and_saveexec_b64 s[12:13], s[34:35]
	s_cbranch_execz .LBB64_282
; %bb.281:
	v_mov_b32_e32 v15, 0
	ds_read_b64 v[15:16], v15 offset:24960
	s_waitcnt lgkmcnt(0)
	v_mul_f32_e32 v17, v4, v16
	v_mul_f32_e32 v18, v3, v16
	v_fma_f32 v3, v3, v15, -v17
	v_fmac_f32_e32 v18, v4, v15
	v_xor_b32_e32 v15, 0x80000000, v3
	v_xor_b32_e32 v16, 0x80000000, v18
	v_mov_b32_e32 v4, v18
	ds_write_b64 v7, v[15:16]
.LBB64_282:
	s_or_b64 exec, exec, s[12:13]
	s_waitcnt lgkmcnt(0)
	s_barrier
	s_barrier
	s_and_saveexec_b64 s[12:13], s[6:7]
; %bb.283:
	v_lshlrev_b32_e32 v15, 3, v5
	v_lshl_or_b32 v15, v6, 9, v15
	ds_write_b64 v15, v[3:4] offset:25984
; %bb.284:
	s_or_b64 exec, exec, s[12:13]
	s_waitcnt lgkmcnt(0)
	s_barrier
	s_barrier
	s_and_saveexec_b64 s[12:13], vcc
	s_cbranch_execz .LBB64_286
; %bb.285:
	s_movk_i32 s14, 0x180
	v_mov_b32_e32 v19, 0
	v_add_u32_e64 v15, s14, 0
	ds_read_b64 v[3:4], v19 offset:25480
	ds_read2st64_b64 v[15:18], v15 offset0:48 offset1:49
	s_waitcnt lgkmcnt(0)
	v_mul_f32_e32 v20, v4, v16
	v_mul_f32_e32 v16, v3, v16
	v_fma_f32 v20, v3, v15, -v20
	v_fmac_f32_e32 v16, v4, v15
	v_mul_f32_e32 v3, v16, v18
	v_mul_f32_e32 v4, v20, v18
	v_fma_f32 v3, v20, v17, -v3
	v_fmac_f32_e32 v4, v16, v17
	ds_write_b64 v19, v[3:4] offset:25472
.LBB64_286:
	s_or_b64 exec, exec, s[12:13]
	s_movk_i32 s12, 0xff
	v_lshrrev_b32_e32 v17, 4, v8
	v_cmp_lt_u32_e64 s[14:15], s12, v8
	s_movk_i32 s12, 0x100
	v_and_b32_e32 v15, 15, v0
	v_sub_u32_e32 v16, 15, v17
	v_cmp_gt_u32_e64 s[12:13], s12, v8
	v_mov_b32_e32 v4, 0
	v_mov_b32_e32 v3, 0
	s_waitcnt lgkmcnt(0)
	s_barrier
	buffer_wbinvl1_vol
	s_and_saveexec_b64 s[20:21], s[12:13]
	s_cbranch_execz .LBB64_314
; %bb.287:
	v_lshlrev_b32_e32 v18, 3, v15
	v_lshlrev_b32_e32 v19, 9, v16
	ds_read_b64 v[3:4], v18 offset:24832
	ds_read_b64 v[20:21], v19 offset:24960
	s_movk_i32 s16, 0xf0
	v_cmp_gt_u32_e64 s[16:17], s16, v8
	s_waitcnt lgkmcnt(0)
	v_mul_f32_e32 v22, v21, v4
	v_mul_f32_e32 v4, v20, v4
	v_fma_f32 v20, v20, v3, -v22
	v_fmac_f32_e32 v4, v21, v3
	v_add_f32_e32 v3, 0, v20
	v_add_f32_e32 v4, 0, v4
	s_and_saveexec_b64 s[78:79], s[16:17]
	s_cbranch_execz .LBB64_289
; %bb.288:
	ds_read_b64 v[20:21], v18 offset:25344
	ds_read_b64 v[22:23], v19 offset:24968
	s_waitcnt lgkmcnt(0)
	v_mul_f32_e32 v24, v23, v21
	v_mul_f32_e32 v21, v22, v21
	v_fma_f32 v22, v22, v20, -v24
	v_fmac_f32_e32 v21, v23, v20
	v_add_f32_e32 v3, v3, v22
	v_add_f32_e32 v4, v4, v21
.LBB64_289:
	s_or_b64 exec, exec, s[78:79]
	s_movk_i32 s16, 0xe0
	v_cmp_gt_u32_e64 s[16:17], s16, v8
	s_and_saveexec_b64 s[78:79], s[16:17]
	s_cbranch_execz .LBB64_291
; %bb.290:
	ds_read_b64 v[20:21], v18 offset:25856
	ds_read_b64 v[22:23], v19 offset:24976
	s_waitcnt lgkmcnt(0)
	v_mul_f32_e32 v24, v23, v21
	v_mul_f32_e32 v21, v22, v21
	v_fma_f32 v22, v22, v20, -v24
	v_fmac_f32_e32 v21, v23, v20
	v_add_f32_e32 v3, v3, v22
	v_add_f32_e32 v4, v4, v21
.LBB64_291:
	s_or_b64 exec, exec, s[78:79]
	s_movk_i32 s16, 0xd0
	v_cmp_gt_u32_e64 s[16:17], s16, v8
	;; [unrolled: 16-line block ×10, first 2 shown]
	s_and_saveexec_b64 s[78:79], s[16:17]
	s_cbranch_execnz .LBB64_1064
; %bb.308:
	s_or_b64 exec, exec, s[78:79]
	s_and_saveexec_b64 s[16:17], s[10:11]
	s_cbranch_execnz .LBB64_1065
.LBB64_309:
	s_or_b64 exec, exec, s[16:17]
	v_cmp_gt_u32_e64 s[16:17], 48, v8
	s_and_saveexec_b64 s[78:79], s[16:17]
	s_cbranch_execnz .LBB64_1066
.LBB64_310:
	s_or_b64 exec, exec, s[78:79]
	v_cmp_gt_u32_e64 s[16:17], 32, v8
	s_and_saveexec_b64 s[78:79], s[16:17]
	s_cbranch_execnz .LBB64_1067
.LBB64_311:
	s_or_b64 exec, exec, s[78:79]
	v_cmp_gt_u32_e64 s[16:17], 16, v8
	s_and_saveexec_b64 s[78:79], s[16:17]
	s_cbranch_execz .LBB64_313
.LBB64_312:
	v_lshlrev_b32_e32 v18, 3, v0
	v_mov_b32_e32 v20, 0
	ds_read_b64 v[18:19], v18 offset:32512
	ds_read_b64 v[20:21], v20 offset:32760
	s_waitcnt lgkmcnt(0)
	v_mul_f32_e32 v22, v21, v19
	v_mul_f32_e32 v19, v20, v19
	v_fma_f32 v20, v20, v18, -v22
	v_fmac_f32_e32 v19, v21, v18
	v_add_f32_e32 v3, v3, v20
	v_add_f32_e32 v4, v4, v19
.LBB64_313:
	s_or_b64 exec, exec, s[78:79]
.LBB64_314:
	s_or_b64 exec, exec, s[20:21]
	v_mov_b32_e32 v18, 0x8000
	v_lshl_add_u32 v17, v17, 3, v18
	v_cmp_eq_u32_e64 s[16:17], 15, v15
	s_xor_b64 s[20:21], s[14:15], -1
	s_and_b64 s[16:17], s[16:17], s[20:21]
	s_mov_b64 s[14:15], exec
	v_writelane_b32 v30, s16, 1
	v_writelane_b32 v30, s17, 2
	s_and_b64 s[16:17], s[14:15], s[16:17]
	s_mov_b64 exec, s[16:17]
	s_cbranch_execz .LBB64_316
; %bb.315:
	v_mov_b32_e32 v18, 0
	ds_read_b64 v[18:19], v18 offset:24440
	s_waitcnt lgkmcnt(0)
	v_mul_f32_e32 v20, v4, v19
	v_mul_f32_e32 v21, v3, v19
	v_fma_f32 v3, v3, v18, -v20
	v_fmac_f32_e32 v21, v4, v18
	v_xor_b32_e32 v18, 0x80000000, v3
	v_xor_b32_e32 v19, 0x80000000, v21
	v_mov_b32_e32 v4, v21
	ds_write_b64 v17, v[18:19]
.LBB64_316:
	s_or_b64 exec, exec, s[14:15]
	v_cmp_ne_u32_e64 s[14:15], 15, v15
	s_waitcnt lgkmcnt(0)
	s_barrier
	s_and_b64 s[16:17], s[14:15], s[20:21]
	s_mov_b64 s[14:15], exec
	v_writelane_b32 v30, s16, 3
	v_writelane_b32 v30, s17, 4
	s_and_b64 s[16:17], s[14:15], s[16:17]
	s_mov_b64 exec, s[16:17]
	s_cbranch_execz .LBB64_318
; %bb.317:
	v_lshlrev_b32_e32 v18, 3, v15
	ds_read_b64 v[18:19], v18 offset:24320
	ds_read_b64 v[20:21], v17
	s_waitcnt lgkmcnt(0)
	v_mul_f32_e32 v22, v21, v19
	v_mul_f32_e32 v19, v20, v19
	v_fma_f32 v20, v20, v18, -v22
	v_fmac_f32_e32 v19, v21, v18
	v_sub_f32_e32 v3, v3, v20
	v_sub_f32_e32 v4, v4, v19
.LBB64_318:
	s_or_b64 exec, exec, s[14:15]
	v_cmp_eq_u32_e64 s[14:15], 14, v15
	s_barrier
	s_and_b64 s[16:17], s[14:15], s[20:21]
	s_mov_b64 s[14:15], exec
	v_writelane_b32 v30, s16, 5
	v_writelane_b32 v30, s17, 6
	s_and_b64 s[16:17], s[14:15], s[16:17]
	s_mov_b64 exec, s[16:17]
	s_cbranch_execz .LBB64_320
; %bb.319:
	v_mov_b32_e32 v18, 0
	ds_read_b64 v[18:19], v18 offset:23920
	s_waitcnt lgkmcnt(0)
	v_mul_f32_e32 v20, v4, v19
	v_mul_f32_e32 v21, v3, v19
	v_fma_f32 v3, v3, v18, -v20
	v_fmac_f32_e32 v21, v4, v18
	v_xor_b32_e32 v18, 0x80000000, v3
	v_xor_b32_e32 v19, 0x80000000, v21
	v_mov_b32_e32 v4, v21
	ds_write_b64 v17, v[18:19]
.LBB64_320:
	s_or_b64 exec, exec, s[14:15]
	v_cmp_gt_u32_e64 s[14:15], 14, v15
	s_waitcnt lgkmcnt(0)
	s_barrier
	s_and_b64 s[16:17], s[14:15], s[20:21]
	s_mov_b64 s[14:15], exec
	v_writelane_b32 v30, s16, 7
	v_writelane_b32 v30, s17, 8
	s_and_b64 s[16:17], s[14:15], s[16:17]
	s_mov_b64 exec, s[16:17]
	s_cbranch_execz .LBB64_322
; %bb.321:
	v_lshlrev_b32_e32 v18, 3, v15
	ds_read_b64 v[18:19], v18 offset:23808
	ds_read_b64 v[20:21], v17
	s_waitcnt lgkmcnt(0)
	v_mul_f32_e32 v22, v21, v19
	v_mul_f32_e32 v19, v20, v19
	v_fma_f32 v20, v20, v18, -v22
	v_fmac_f32_e32 v19, v21, v18
	v_sub_f32_e32 v3, v3, v20
	v_sub_f32_e32 v4, v4, v19
.LBB64_322:
	s_or_b64 exec, exec, s[14:15]
	v_cmp_eq_u32_e64 s[14:15], 13, v15
	s_barrier
	s_and_b64 s[16:17], s[14:15], s[20:21]
	s_mov_b64 s[14:15], exec
	v_writelane_b32 v30, s16, 9
	v_writelane_b32 v30, s17, 10
	s_and_b64 s[16:17], s[14:15], s[16:17]
	s_mov_b64 exec, s[16:17]
	s_cbranch_execz .LBB64_324
; %bb.323:
	v_mov_b32_e32 v18, 0
	ds_read_b64 v[18:19], v18 offset:23400
	s_waitcnt lgkmcnt(0)
	v_mul_f32_e32 v20, v4, v19
	v_mul_f32_e32 v21, v3, v19
	v_fma_f32 v3, v3, v18, -v20
	v_fmac_f32_e32 v21, v4, v18
	v_xor_b32_e32 v18, 0x80000000, v3
	v_xor_b32_e32 v19, 0x80000000, v21
	v_mov_b32_e32 v4, v21
	ds_write_b64 v17, v[18:19]
.LBB64_324:
	s_or_b64 exec, exec, s[14:15]
	v_cmp_gt_u32_e64 s[14:15], 13, v15
	;; [unrolled: 46-line block ×11, first 2 shown]
	s_and_b64 s[78:79], s[14:15], s[20:21]
	s_waitcnt lgkmcnt(0)
	s_barrier
	s_and_saveexec_b64 s[14:15], s[78:79]
	s_cbranch_execz .LBB64_362
; %bb.361:
	v_lshlrev_b32_e32 v18, 3, v15
	ds_read_b64 v[18:19], v18 offset:18688
	ds_read_b64 v[20:21], v17
	s_waitcnt lgkmcnt(0)
	v_mul_f32_e32 v22, v21, v19
	v_mul_f32_e32 v19, v20, v19
	v_fma_f32 v20, v20, v18, -v22
	v_fmac_f32_e32 v19, v21, v18
	v_sub_f32_e32 v3, v3, v20
	v_sub_f32_e32 v4, v4, v19
.LBB64_362:
	s_or_b64 exec, exec, s[14:15]
	v_cmp_eq_u32_e64 s[14:15], 3, v15
	s_and_b64 s[84:85], s[14:15], s[20:21]
	s_barrier
	s_and_saveexec_b64 s[14:15], s[84:85]
	s_cbranch_execz .LBB64_364
; %bb.363:
	v_mov_b32_e32 v18, 0
	ds_read_b64 v[18:19], v18 offset:18200
	s_waitcnt lgkmcnt(0)
	v_mul_f32_e32 v20, v4, v19
	v_mul_f32_e32 v21, v3, v19
	v_fma_f32 v3, v3, v18, -v20
	v_fmac_f32_e32 v21, v4, v18
	v_xor_b32_e32 v18, 0x80000000, v3
	v_xor_b32_e32 v19, 0x80000000, v21
	v_mov_b32_e32 v4, v21
	ds_write_b64 v17, v[18:19]
.LBB64_364:
	s_or_b64 exec, exec, s[14:15]
	v_cmp_gt_u32_e64 s[14:15], 3, v15
	s_and_b64 s[86:87], s[14:15], s[20:21]
	s_waitcnt lgkmcnt(0)
	s_barrier
	s_and_saveexec_b64 s[14:15], s[86:87]
	s_cbranch_execz .LBB64_366
; %bb.365:
	v_lshlrev_b32_e32 v18, 3, v15
	ds_read_b64 v[18:19], v18 offset:18176
	ds_read_b64 v[20:21], v17
	s_waitcnt lgkmcnt(0)
	v_mul_f32_e32 v22, v21, v19
	v_mul_f32_e32 v19, v20, v19
	v_fma_f32 v20, v20, v18, -v22
	v_fmac_f32_e32 v19, v21, v18
	v_sub_f32_e32 v3, v3, v20
	v_sub_f32_e32 v4, v4, v19
.LBB64_366:
	s_or_b64 exec, exec, s[14:15]
	v_cmp_eq_u32_e64 s[14:15], 2, v15
	s_and_b64 s[88:89], s[14:15], s[20:21]
	s_barrier
	s_and_saveexec_b64 s[14:15], s[88:89]
	s_cbranch_execz .LBB64_368
; %bb.367:
	v_mov_b32_e32 v18, 0
	ds_read_b64 v[18:19], v18 offset:17680
	s_waitcnt lgkmcnt(0)
	v_mul_f32_e32 v20, v4, v19
	v_mul_f32_e32 v21, v3, v19
	v_fma_f32 v3, v3, v18, -v20
	v_fmac_f32_e32 v21, v4, v18
	v_xor_b32_e32 v18, 0x80000000, v3
	v_xor_b32_e32 v19, 0x80000000, v21
	v_mov_b32_e32 v4, v21
	ds_write_b64 v17, v[18:19]
.LBB64_368:
	s_or_b64 exec, exec, s[14:15]
	v_cmp_gt_u32_e64 s[14:15], 2, v15
	s_and_b64 s[90:91], s[14:15], s[20:21]
	s_waitcnt lgkmcnt(0)
	s_barrier
	s_and_saveexec_b64 s[14:15], s[90:91]
	s_cbranch_execz .LBB64_370
; %bb.369:
	v_lshlrev_b32_e32 v18, 3, v15
	ds_read_b64 v[18:19], v18 offset:17664
	ds_read_b64 v[20:21], v17
	s_waitcnt lgkmcnt(0)
	v_mul_f32_e32 v22, v21, v19
	v_mul_f32_e32 v19, v20, v19
	v_fma_f32 v20, v20, v18, -v22
	v_fmac_f32_e32 v19, v21, v18
	v_sub_f32_e32 v3, v3, v20
	v_sub_f32_e32 v4, v4, v19
.LBB64_370:
	s_or_b64 exec, exec, s[14:15]
	v_cmp_eq_u32_e64 s[14:15], 1, v15
	s_and_b64 s[92:93], s[14:15], s[20:21]
	s_barrier
	s_and_saveexec_b64 s[14:15], s[92:93]
	s_cbranch_execz .LBB64_372
; %bb.371:
	v_mov_b32_e32 v18, 0
	ds_read_b64 v[18:19], v18 offset:17160
	s_waitcnt lgkmcnt(0)
	v_mul_f32_e32 v20, v4, v19
	v_mul_f32_e32 v21, v3, v19
	v_fma_f32 v3, v3, v18, -v20
	v_fmac_f32_e32 v21, v4, v18
	v_xor_b32_e32 v18, 0x80000000, v3
	v_xor_b32_e32 v19, 0x80000000, v21
	v_mov_b32_e32 v4, v21
	ds_write_b64 v17, v[18:19]
.LBB64_372:
	s_or_b64 exec, exec, s[14:15]
	v_cmp_eq_u32_e64 s[14:15], 0, v15
	s_and_b64 s[96:97], s[14:15], s[20:21]
	s_waitcnt lgkmcnt(0)
	s_barrier
	s_and_saveexec_b64 s[14:15], s[96:97]
	s_cbranch_execz .LBB64_374
; %bb.373:
	v_mov_b32_e32 v18, 0
	ds_read_b64 v[18:19], v18 offset:17152
	ds_read_b64 v[20:21], v17
	s_waitcnt lgkmcnt(0)
	v_mul_f32_e32 v22, v21, v19
	v_mul_f32_e32 v19, v20, v19
	v_fma_f32 v20, v20, v18, -v22
	v_fmac_f32_e32 v19, v21, v18
	v_sub_f32_e32 v3, v3, v20
	v_sub_f32_e32 v4, v4, v19
.LBB64_374:
	s_or_b64 exec, exec, s[14:15]
	s_barrier
	s_and_saveexec_b64 s[14:15], s[96:97]
	s_cbranch_execz .LBB64_376
; %bb.375:
	v_mov_b32_e32 v18, 0
	ds_read_b64 v[18:19], v18 offset:16640
	s_waitcnt lgkmcnt(0)
	v_mul_f32_e32 v20, v4, v19
	v_mul_f32_e32 v21, v3, v19
	v_fma_f32 v3, v3, v18, -v20
	v_fmac_f32_e32 v21, v4, v18
	v_xor_b32_e32 v18, 0x80000000, v3
	v_xor_b32_e32 v19, 0x80000000, v21
	v_mov_b32_e32 v4, v21
	ds_write_b64 v17, v[18:19]
.LBB64_376:
	s_or_b64 exec, exec, s[14:15]
	s_waitcnt lgkmcnt(0)
	s_barrier
	s_barrier
	s_and_saveexec_b64 s[14:15], s[12:13]
; %bb.377:
	v_lshlrev_b32_e32 v18, 3, v15
	v_lshl_or_b32 v18, v16, 9, v18
	ds_write_b64 v18, v[3:4] offset:24832
; %bb.378:
	s_or_b64 exec, exec, s[14:15]
	s_waitcnt lgkmcnt(0)
	s_barrier
	s_barrier
	s_and_saveexec_b64 s[14:15], vcc
	s_cbranch_execz .LBB64_380
; %bb.379:
	s_movk_i32 s16, 0x170
	v_mov_b32_e32 v22, 0
	v_add_u32_e64 v18, s16, 0
	ds_read_b64 v[3:4], v22 offset:24440
	ds_read2st64_b64 v[18:21], v18 offset0:46 offset1:47
	s_waitcnt lgkmcnt(0)
	v_mul_f32_e32 v23, v4, v19
	v_mul_f32_e32 v19, v3, v19
	v_fma_f32 v23, v3, v18, -v23
	v_fmac_f32_e32 v19, v4, v18
	v_mul_f32_e32 v3, v19, v21
	v_mul_f32_e32 v4, v23, v21
	v_fma_f32 v3, v23, v20, -v3
	v_fmac_f32_e32 v4, v19, v20
	ds_write_b64 v22, v[3:4] offset:24432
.LBB64_380:
	s_or_b64 exec, exec, s[14:15]
	v_mov_b32_e32 v3, 0
	v_mov_b32_e32 v4, 0
	s_waitcnt lgkmcnt(0)
	s_barrier
	buffer_wbinvl1_vol
	s_and_saveexec_b64 s[16:17], s[6:7]
	s_cbranch_execz .LBB64_384
; %bb.381:
	v_lshlrev_b32_e32 v3, 3, v5
	v_lshlrev_b32_e32 v18, 9, v6
	ds_read_b64 v[3:4], v3 offset:23904
	ds_read_b64 v[18:19], v18 offset:23920
	v_cmp_gt_u32_e64 s[14:15], 2, v8
	s_waitcnt lgkmcnt(0)
	v_mul_f32_e32 v20, v19, v4
	v_mul_f32_e32 v4, v18, v4
	v_fma_f32 v18, v18, v3, -v20
	v_fmac_f32_e32 v4, v19, v3
	v_add_f32_e32 v3, 0, v18
	v_add_f32_e32 v4, 0, v4
	s_and_saveexec_b64 s[20:21], s[14:15]
	s_cbranch_execz .LBB64_383
; %bb.382:
	v_lshlrev_b32_e32 v18, 3, v0
	v_mov_b32_e32 v20, 0
	ds_read_b64 v[18:19], v18 offset:24416
	ds_read_b64 v[20:21], v20 offset:24440
	s_waitcnt lgkmcnt(0)
	v_mul_f32_e32 v22, v21, v19
	v_mul_f32_e32 v19, v20, v19
	v_fma_f32 v20, v20, v18, -v22
	v_fmac_f32_e32 v19, v21, v18
	v_add_f32_e32 v3, v3, v20
	v_add_f32_e32 v4, v4, v19
.LBB64_383:
	s_or_b64 exec, exec, s[20:21]
.LBB64_384:
	s_or_b64 exec, exec, s[16:17]
	s_and_saveexec_b64 s[14:15], s[36:37]
	s_cbranch_execz .LBB64_386
; %bb.385:
	v_mov_b32_e32 v18, 0
	ds_read_b64 v[18:19], v18 offset:23400
	s_waitcnt lgkmcnt(0)
	v_mul_f32_e32 v20, v4, v19
	v_mul_f32_e32 v21, v3, v19
	v_fma_f32 v3, v3, v18, -v20
	v_fmac_f32_e32 v21, v4, v18
	v_xor_b32_e32 v18, 0x80000000, v3
	v_xor_b32_e32 v19, 0x80000000, v21
	v_mov_b32_e32 v4, v21
	ds_write_b64 v7, v[18:19]
.LBB64_386:
	s_or_b64 exec, exec, s[14:15]
	s_waitcnt lgkmcnt(0)
	s_barrier
	s_and_saveexec_b64 s[14:15], s[34:35]
	s_cbranch_execz .LBB64_388
; %bb.387:
	v_mov_b32_e32 v18, 0
	ds_read_b64 v[18:19], v18 offset:23392
	ds_read_b64 v[20:21], v7
	s_waitcnt lgkmcnt(0)
	v_mul_f32_e32 v22, v21, v19
	v_mul_f32_e32 v19, v20, v19
	v_fma_f32 v20, v20, v18, -v22
	v_fmac_f32_e32 v19, v21, v18
	v_sub_f32_e32 v3, v3, v20
	v_sub_f32_e32 v4, v4, v19
.LBB64_388:
	s_or_b64 exec, exec, s[14:15]
	s_barrier
	s_and_saveexec_b64 s[14:15], s[34:35]
	s_cbranch_execz .LBB64_390
; %bb.389:
	v_mov_b32_e32 v18, 0
	ds_read_b64 v[18:19], v18 offset:22880
	s_waitcnt lgkmcnt(0)
	v_mul_f32_e32 v20, v4, v19
	v_mul_f32_e32 v21, v3, v19
	v_fma_f32 v3, v3, v18, -v20
	v_fmac_f32_e32 v21, v4, v18
	v_xor_b32_e32 v18, 0x80000000, v3
	v_xor_b32_e32 v19, 0x80000000, v21
	v_mov_b32_e32 v4, v21
	ds_write_b64 v7, v[18:19]
.LBB64_390:
	s_or_b64 exec, exec, s[14:15]
	s_waitcnt lgkmcnt(0)
	s_barrier
	s_barrier
	s_and_saveexec_b64 s[14:15], s[6:7]
; %bb.391:
	v_lshlrev_b32_e32 v18, 3, v5
	v_lshl_or_b32 v18, v6, 9, v18
	ds_write_b64 v18, v[3:4] offset:23904
; %bb.392:
	s_or_b64 exec, exec, s[14:15]
	s_waitcnt lgkmcnt(0)
	s_barrier
	s_barrier
	s_and_saveexec_b64 s[14:15], vcc
	s_cbranch_execz .LBB64_394
; %bb.393:
	s_movk_i32 s16, 0x160
	v_mov_b32_e32 v22, 0
	v_add_u32_e64 v18, s16, 0
	ds_read_b64 v[3:4], v22 offset:23400
	ds_read2st64_b64 v[18:21], v18 offset0:44 offset1:45
	s_waitcnt lgkmcnt(0)
	v_mul_f32_e32 v23, v4, v19
	v_mul_f32_e32 v19, v3, v19
	v_fma_f32 v23, v3, v18, -v23
	v_fmac_f32_e32 v19, v4, v18
	v_mul_f32_e32 v3, v19, v21
	v_mul_f32_e32 v4, v23, v21
	v_fma_f32 v3, v23, v20, -v3
	v_fmac_f32_e32 v4, v19, v20
	ds_write_b64 v22, v[3:4] offset:23392
.LBB64_394:
	s_or_b64 exec, exec, s[14:15]
	v_mov_b32_e32 v4, 0
	v_mov_b32_e32 v3, 0
	s_waitcnt lgkmcnt(0)
	s_barrier
	buffer_wbinvl1_vol
	s_and_saveexec_b64 s[16:17], s[18:19]
	s_cbranch_execz .LBB64_400
; %bb.395:
	v_lshlrev_b32_e32 v18, 3, v9
	v_lshlrev_b32_e32 v19, 9, v10
	ds_read_b64 v[3:4], v18 offset:22848
	ds_read_b64 v[20:21], v19 offset:22880
	v_cmp_gt_u32_e64 s[14:15], 12, v8
	s_waitcnt lgkmcnt(0)
	v_mul_f32_e32 v22, v21, v4
	v_mul_f32_e32 v4, v20, v4
	v_fma_f32 v20, v20, v3, -v22
	v_fmac_f32_e32 v4, v21, v3
	v_add_f32_e32 v3, 0, v20
	v_add_f32_e32 v4, 0, v4
	s_and_saveexec_b64 s[20:21], s[14:15]
	s_cbranch_execnz .LBB64_1068
; %bb.396:
	s_or_b64 exec, exec, s[20:21]
	v_cmp_gt_u32_e64 s[14:15], 8, v8
	s_and_saveexec_b64 s[20:21], s[14:15]
	s_cbranch_execnz .LBB64_1069
.LBB64_397:
	s_or_b64 exec, exec, s[20:21]
	v_cmp_gt_u32_e64 s[14:15], 4, v8
	s_and_saveexec_b64 s[20:21], s[14:15]
	s_cbranch_execz .LBB64_399
.LBB64_398:
	v_lshlrev_b32_e32 v18, 3, v0
	v_mov_b32_e32 v20, 0
	ds_read_b64 v[18:19], v18 offset:24384
	ds_read_b64 v[20:21], v20 offset:24440
	s_waitcnt lgkmcnt(0)
	v_mul_f32_e32 v22, v21, v19
	v_mul_f32_e32 v19, v20, v19
	v_fma_f32 v20, v20, v18, -v22
	v_fmac_f32_e32 v19, v21, v18
	v_add_f32_e32 v3, v3, v20
	v_add_f32_e32 v4, v4, v19
.LBB64_399:
	s_or_b64 exec, exec, s[20:21]
.LBB64_400:
	s_or_b64 exec, exec, s[16:17]
	s_and_saveexec_b64 s[14:15], s[40:41]
	s_cbranch_execz .LBB64_402
; %bb.401:
	v_mov_b32_e32 v18, 0
	ds_read_b64 v[18:19], v18 offset:22360
	s_waitcnt lgkmcnt(0)
	v_mul_f32_e32 v20, v4, v19
	v_mul_f32_e32 v21, v3, v19
	v_fma_f32 v3, v3, v18, -v20
	v_fmac_f32_e32 v21, v4, v18
	v_xor_b32_e32 v18, 0x80000000, v3
	v_xor_b32_e32 v19, 0x80000000, v21
	v_mov_b32_e32 v4, v21
	ds_write_b64 v11, v[18:19]
.LBB64_402:
	s_or_b64 exec, exec, s[14:15]
	s_waitcnt lgkmcnt(0)
	s_barrier
	s_and_saveexec_b64 s[14:15], s[42:43]
	s_cbranch_execz .LBB64_404
; %bb.403:
	v_lshlrev_b32_e32 v18, 3, v9
	ds_read_b64 v[18:19], v18 offset:22336
	ds_read_b64 v[20:21], v11
	s_waitcnt lgkmcnt(0)
	v_mul_f32_e32 v22, v21, v19
	v_mul_f32_e32 v19, v20, v19
	v_fma_f32 v20, v20, v18, -v22
	v_fmac_f32_e32 v19, v21, v18
	v_sub_f32_e32 v3, v3, v20
	v_sub_f32_e32 v4, v4, v19
.LBB64_404:
	s_or_b64 exec, exec, s[14:15]
	s_barrier
	s_and_saveexec_b64 s[14:15], s[44:45]
	s_cbranch_execz .LBB64_406
; %bb.405:
	v_mov_b32_e32 v18, 0
	ds_read_b64 v[18:19], v18 offset:21840
	s_waitcnt lgkmcnt(0)
	v_mul_f32_e32 v20, v4, v19
	v_mul_f32_e32 v21, v3, v19
	v_fma_f32 v3, v3, v18, -v20
	v_fmac_f32_e32 v21, v4, v18
	v_xor_b32_e32 v18, 0x80000000, v3
	v_xor_b32_e32 v19, 0x80000000, v21
	v_mov_b32_e32 v4, v21
	ds_write_b64 v11, v[18:19]
.LBB64_406:
	s_or_b64 exec, exec, s[14:15]
	s_waitcnt lgkmcnt(0)
	s_barrier
	s_and_saveexec_b64 s[14:15], s[46:47]
	s_cbranch_execz .LBB64_408
; %bb.407:
	v_lshlrev_b32_e32 v18, 3, v9
	ds_read_b64 v[18:19], v18 offset:21824
	ds_read_b64 v[20:21], v11
	s_waitcnt lgkmcnt(0)
	v_mul_f32_e32 v22, v21, v19
	v_mul_f32_e32 v19, v20, v19
	v_fma_f32 v20, v20, v18, -v22
	v_fmac_f32_e32 v19, v21, v18
	v_sub_f32_e32 v3, v3, v20
	v_sub_f32_e32 v4, v4, v19
.LBB64_408:
	s_or_b64 exec, exec, s[14:15]
	s_barrier
	s_and_saveexec_b64 s[14:15], s[48:49]
	s_cbranch_execz .LBB64_410
; %bb.409:
	v_mov_b32_e32 v18, 0
	ds_read_b64 v[18:19], v18 offset:21320
	s_waitcnt lgkmcnt(0)
	v_mul_f32_e32 v20, v4, v19
	v_mul_f32_e32 v21, v3, v19
	v_fma_f32 v3, v3, v18, -v20
	v_fmac_f32_e32 v21, v4, v18
	v_xor_b32_e32 v18, 0x80000000, v3
	v_xor_b32_e32 v19, 0x80000000, v21
	v_mov_b32_e32 v4, v21
	ds_write_b64 v11, v[18:19]
.LBB64_410:
	s_or_b64 exec, exec, s[14:15]
	s_waitcnt lgkmcnt(0)
	s_barrier
	s_and_saveexec_b64 s[14:15], s[38:39]
	s_cbranch_execz .LBB64_412
; %bb.411:
	v_mov_b32_e32 v18, 0
	ds_read_b64 v[18:19], v18 offset:21312
	ds_read_b64 v[20:21], v11
	s_waitcnt lgkmcnt(0)
	v_mul_f32_e32 v22, v21, v19
	v_mul_f32_e32 v19, v20, v19
	v_fma_f32 v20, v20, v18, -v22
	v_fmac_f32_e32 v19, v21, v18
	v_sub_f32_e32 v3, v3, v20
	v_sub_f32_e32 v4, v4, v19
.LBB64_412:
	s_or_b64 exec, exec, s[14:15]
	s_barrier
	s_and_saveexec_b64 s[14:15], s[38:39]
	s_cbranch_execz .LBB64_414
; %bb.413:
	v_mov_b32_e32 v18, 0
	ds_read_b64 v[18:19], v18 offset:20800
	s_waitcnt lgkmcnt(0)
	v_mul_f32_e32 v20, v4, v19
	v_mul_f32_e32 v21, v3, v19
	v_fma_f32 v3, v3, v18, -v20
	v_fmac_f32_e32 v21, v4, v18
	v_xor_b32_e32 v18, 0x80000000, v3
	v_xor_b32_e32 v19, 0x80000000, v21
	v_mov_b32_e32 v4, v21
	ds_write_b64 v11, v[18:19]
.LBB64_414:
	s_or_b64 exec, exec, s[14:15]
	s_waitcnt lgkmcnt(0)
	s_barrier
	s_barrier
	s_and_saveexec_b64 s[14:15], s[18:19]
; %bb.415:
	v_lshlrev_b32_e32 v18, 3, v9
	v_lshl_or_b32 v18, v10, 9, v18
	ds_write_b64 v18, v[3:4] offset:22848
; %bb.416:
	s_or_b64 exec, exec, s[14:15]
	s_waitcnt lgkmcnt(0)
	s_barrier
	s_barrier
	s_and_saveexec_b64 s[14:15], vcc
	s_cbranch_execz .LBB64_418
; %bb.417:
	s_movk_i32 s16, 0x150
	v_mov_b32_e32 v22, 0
	v_add_u32_e64 v18, s16, 0
	ds_read_b64 v[3:4], v22 offset:22360
	ds_read2st64_b64 v[18:21], v18 offset0:42 offset1:43
	s_waitcnt lgkmcnt(0)
	v_mul_f32_e32 v23, v4, v19
	v_mul_f32_e32 v19, v3, v19
	v_fma_f32 v23, v3, v18, -v23
	v_fmac_f32_e32 v19, v4, v18
	v_mul_f32_e32 v3, v19, v21
	v_mul_f32_e32 v4, v23, v21
	v_fma_f32 v3, v23, v20, -v3
	v_fmac_f32_e32 v4, v19, v20
	ds_write_b64 v22, v[3:4] offset:22352
.LBB64_418:
	s_or_b64 exec, exec, s[14:15]
	v_mov_b32_e32 v3, 0
	v_mov_b32_e32 v4, 0
	s_waitcnt lgkmcnt(0)
	s_barrier
	buffer_wbinvl1_vol
	s_and_saveexec_b64 s[16:17], s[6:7]
	s_cbranch_execz .LBB64_422
; %bb.419:
	v_lshlrev_b32_e32 v3, 3, v5
	v_lshlrev_b32_e32 v18, 9, v6
	ds_read_b64 v[3:4], v3 offset:21824
	ds_read_b64 v[18:19], v18 offset:21840
	v_cmp_gt_u32_e64 s[14:15], 2, v8
	s_waitcnt lgkmcnt(0)
	v_mul_f32_e32 v20, v19, v4
	v_mul_f32_e32 v4, v18, v4
	v_fma_f32 v18, v18, v3, -v20
	v_fmac_f32_e32 v4, v19, v3
	v_add_f32_e32 v3, 0, v18
	v_add_f32_e32 v4, 0, v4
	s_and_saveexec_b64 s[20:21], s[14:15]
	s_cbranch_execz .LBB64_421
; %bb.420:
	v_lshlrev_b32_e32 v18, 3, v0
	v_mov_b32_e32 v20, 0
	ds_read_b64 v[18:19], v18 offset:22336
	ds_read_b64 v[20:21], v20 offset:22360
	s_waitcnt lgkmcnt(0)
	v_mul_f32_e32 v22, v21, v19
	v_mul_f32_e32 v19, v20, v19
	v_fma_f32 v20, v20, v18, -v22
	v_fmac_f32_e32 v19, v21, v18
	v_add_f32_e32 v3, v3, v20
	v_add_f32_e32 v4, v4, v19
.LBB64_421:
	s_or_b64 exec, exec, s[20:21]
.LBB64_422:
	s_or_b64 exec, exec, s[16:17]
	s_and_saveexec_b64 s[14:15], s[36:37]
	s_cbranch_execz .LBB64_424
; %bb.423:
	v_mov_b32_e32 v18, 0
	ds_read_b64 v[18:19], v18 offset:21320
	s_waitcnt lgkmcnt(0)
	v_mul_f32_e32 v20, v4, v19
	v_mul_f32_e32 v21, v3, v19
	v_fma_f32 v3, v3, v18, -v20
	v_fmac_f32_e32 v21, v4, v18
	v_xor_b32_e32 v18, 0x80000000, v3
	v_xor_b32_e32 v19, 0x80000000, v21
	v_mov_b32_e32 v4, v21
	ds_write_b64 v7, v[18:19]
.LBB64_424:
	s_or_b64 exec, exec, s[14:15]
	s_waitcnt lgkmcnt(0)
	s_barrier
	s_and_saveexec_b64 s[14:15], s[34:35]
	s_cbranch_execz .LBB64_426
; %bb.425:
	v_mov_b32_e32 v18, 0
	ds_read_b64 v[18:19], v18 offset:21312
	ds_read_b64 v[20:21], v7
	s_waitcnt lgkmcnt(0)
	v_mul_f32_e32 v22, v21, v19
	v_mul_f32_e32 v19, v20, v19
	v_fma_f32 v20, v20, v18, -v22
	v_fmac_f32_e32 v19, v21, v18
	v_sub_f32_e32 v3, v3, v20
	v_sub_f32_e32 v4, v4, v19
.LBB64_426:
	s_or_b64 exec, exec, s[14:15]
	s_barrier
	s_and_saveexec_b64 s[14:15], s[34:35]
	s_cbranch_execz .LBB64_428
; %bb.427:
	v_mov_b32_e32 v18, 0
	ds_read_b64 v[18:19], v18 offset:20800
	s_waitcnt lgkmcnt(0)
	v_mul_f32_e32 v20, v4, v19
	v_mul_f32_e32 v21, v3, v19
	v_fma_f32 v3, v3, v18, -v20
	v_fmac_f32_e32 v21, v4, v18
	v_xor_b32_e32 v18, 0x80000000, v3
	v_xor_b32_e32 v19, 0x80000000, v21
	v_mov_b32_e32 v4, v21
	ds_write_b64 v7, v[18:19]
.LBB64_428:
	s_or_b64 exec, exec, s[14:15]
	s_waitcnt lgkmcnt(0)
	s_barrier
	s_barrier
	s_and_saveexec_b64 s[14:15], s[6:7]
; %bb.429:
	v_lshlrev_b32_e32 v18, 3, v5
	v_lshl_or_b32 v18, v6, 9, v18
	ds_write_b64 v18, v[3:4] offset:21824
; %bb.430:
	s_or_b64 exec, exec, s[14:15]
	s_waitcnt lgkmcnt(0)
	s_barrier
	s_barrier
	s_and_saveexec_b64 s[14:15], vcc
	s_cbranch_execz .LBB64_432
; %bb.431:
	s_movk_i32 s16, 0x140
	v_mov_b32_e32 v22, 0
	v_add_u32_e64 v18, s16, 0
	ds_read_b64 v[3:4], v22 offset:21320
	ds_read2st64_b64 v[18:21], v18 offset0:40 offset1:41
	s_waitcnt lgkmcnt(0)
	v_mul_f32_e32 v23, v4, v19
	v_mul_f32_e32 v19, v3, v19
	v_fma_f32 v23, v3, v18, -v23
	v_fmac_f32_e32 v19, v4, v18
	v_mul_f32_e32 v3, v19, v21
	v_mul_f32_e32 v4, v23, v21
	v_fma_f32 v3, v23, v20, -v3
	v_fmac_f32_e32 v4, v19, v20
	ds_write_b64 v22, v[3:4] offset:21312
.LBB64_432:
	s_or_b64 exec, exec, s[14:15]
	v_mov_b32_e32 v4, 0
	v_mov_b32_e32 v3, 0
	s_waitcnt lgkmcnt(0)
	s_barrier
	buffer_wbinvl1_vol
	s_and_saveexec_b64 s[16:17], s[10:11]
	s_cbranch_execz .LBB64_442
; %bb.433:
	v_lshlrev_b32_e32 v18, 3, v12
	v_lshlrev_b32_e32 v19, 9, v13
	ds_read_b64 v[3:4], v18 offset:20736
	ds_read_b64 v[20:21], v19 offset:20800
	v_cmp_gt_u32_e64 s[14:15], 56, v8
	s_waitcnt lgkmcnt(0)
	v_mul_f32_e32 v22, v21, v4
	v_mul_f32_e32 v4, v20, v4
	v_fma_f32 v20, v20, v3, -v22
	v_fmac_f32_e32 v4, v21, v3
	v_add_f32_e32 v3, 0, v20
	v_add_f32_e32 v4, 0, v4
	s_and_saveexec_b64 s[20:21], s[14:15]
	s_cbranch_execnz .LBB64_1070
; %bb.434:
	s_or_b64 exec, exec, s[20:21]
	v_cmp_gt_u32_e64 s[14:15], 48, v8
	s_and_saveexec_b64 s[20:21], s[14:15]
	s_cbranch_execnz .LBB64_1071
.LBB64_435:
	s_or_b64 exec, exec, s[20:21]
	v_cmp_gt_u32_e64 s[14:15], 40, v8
	s_and_saveexec_b64 s[20:21], s[14:15]
	s_cbranch_execnz .LBB64_1072
.LBB64_436:
	s_or_b64 exec, exec, s[20:21]
	v_cmp_gt_u32_e64 s[14:15], 32, v8
	s_and_saveexec_b64 s[20:21], s[14:15]
	s_cbranch_execnz .LBB64_1073
.LBB64_437:
	s_or_b64 exec, exec, s[20:21]
	v_cmp_gt_u32_e64 s[14:15], 24, v8
	s_and_saveexec_b64 s[20:21], s[14:15]
	s_cbranch_execnz .LBB64_1074
.LBB64_438:
	s_or_b64 exec, exec, s[20:21]
	s_and_saveexec_b64 s[14:15], s[18:19]
	s_cbranch_execnz .LBB64_1075
.LBB64_439:
	s_or_b64 exec, exec, s[14:15]
	v_cmp_gt_u32_e64 s[14:15], 8, v8
	s_and_saveexec_b64 s[20:21], s[14:15]
	s_cbranch_execz .LBB64_441
.LBB64_440:
	v_lshlrev_b32_e32 v18, 3, v0
	v_mov_b32_e32 v20, 0
	ds_read_b64 v[18:19], v18 offset:24320
	ds_read_b64 v[20:21], v20 offset:24440
	s_waitcnt lgkmcnt(0)
	v_mul_f32_e32 v22, v21, v19
	v_mul_f32_e32 v19, v20, v19
	v_fma_f32 v20, v20, v18, -v22
	v_fmac_f32_e32 v19, v21, v18
	v_add_f32_e32 v3, v3, v20
	v_add_f32_e32 v4, v4, v19
.LBB64_441:
	s_or_b64 exec, exec, s[20:21]
.LBB64_442:
	s_or_b64 exec, exec, s[16:17]
	s_and_saveexec_b64 s[14:15], s[52:53]
	s_cbranch_execz .LBB64_444
; %bb.443:
	v_mov_b32_e32 v18, 0
	ds_read_b64 v[18:19], v18 offset:20280
	s_waitcnt lgkmcnt(0)
	v_mul_f32_e32 v20, v4, v19
	v_mul_f32_e32 v21, v3, v19
	v_fma_f32 v3, v3, v18, -v20
	v_fmac_f32_e32 v21, v4, v18
	v_xor_b32_e32 v18, 0x80000000, v3
	v_xor_b32_e32 v19, 0x80000000, v21
	v_mov_b32_e32 v4, v21
	ds_write_b64 v14, v[18:19]
.LBB64_444:
	s_or_b64 exec, exec, s[14:15]
	s_waitcnt lgkmcnt(0)
	s_barrier
	s_and_saveexec_b64 s[14:15], s[54:55]
	s_cbranch_execz .LBB64_446
; %bb.445:
	v_lshlrev_b32_e32 v18, 3, v12
	ds_read_b64 v[18:19], v18 offset:20224
	ds_read_b64 v[20:21], v14
	s_waitcnt lgkmcnt(0)
	v_mul_f32_e32 v22, v21, v19
	v_mul_f32_e32 v19, v20, v19
	v_fma_f32 v20, v20, v18, -v22
	v_fmac_f32_e32 v19, v21, v18
	v_sub_f32_e32 v3, v3, v20
	v_sub_f32_e32 v4, v4, v19
.LBB64_446:
	s_or_b64 exec, exec, s[14:15]
	s_barrier
	s_and_saveexec_b64 s[14:15], s[56:57]
	s_cbranch_execz .LBB64_448
; %bb.447:
	v_mov_b32_e32 v18, 0
	ds_read_b64 v[18:19], v18 offset:19760
	s_waitcnt lgkmcnt(0)
	v_mul_f32_e32 v20, v4, v19
	v_mul_f32_e32 v21, v3, v19
	v_fma_f32 v3, v3, v18, -v20
	v_fmac_f32_e32 v21, v4, v18
	v_xor_b32_e32 v18, 0x80000000, v3
	v_xor_b32_e32 v19, 0x80000000, v21
	v_mov_b32_e32 v4, v21
	ds_write_b64 v14, v[18:19]
.LBB64_448:
	s_or_b64 exec, exec, s[14:15]
	s_waitcnt lgkmcnt(0)
	s_barrier
	s_and_saveexec_b64 s[14:15], s[58:59]
	s_cbranch_execz .LBB64_450
; %bb.449:
	v_lshlrev_b32_e32 v18, 3, v12
	ds_read_b64 v[18:19], v18 offset:19712
	ds_read_b64 v[20:21], v14
	s_waitcnt lgkmcnt(0)
	v_mul_f32_e32 v22, v21, v19
	v_mul_f32_e32 v19, v20, v19
	v_fma_f32 v20, v20, v18, -v22
	v_fmac_f32_e32 v19, v21, v18
	v_sub_f32_e32 v3, v3, v20
	v_sub_f32_e32 v4, v4, v19
.LBB64_450:
	s_or_b64 exec, exec, s[14:15]
	s_barrier
	;; [unrolled: 34-line block ×6, first 2 shown]
	s_and_saveexec_b64 s[14:15], s[76:77]
	s_cbranch_execz .LBB64_468
; %bb.467:
	v_mov_b32_e32 v18, 0
	ds_read_b64 v[18:19], v18 offset:17160
	s_waitcnt lgkmcnt(0)
	v_mul_f32_e32 v20, v4, v19
	v_mul_f32_e32 v21, v3, v19
	v_fma_f32 v3, v3, v18, -v20
	v_fmac_f32_e32 v21, v4, v18
	v_xor_b32_e32 v18, 0x80000000, v3
	v_xor_b32_e32 v19, 0x80000000, v21
	v_mov_b32_e32 v4, v21
	ds_write_b64 v14, v[18:19]
.LBB64_468:
	s_or_b64 exec, exec, s[14:15]
	s_waitcnt lgkmcnt(0)
	s_barrier
	s_and_saveexec_b64 s[14:15], s[50:51]
	s_cbranch_execz .LBB64_470
; %bb.469:
	v_mov_b32_e32 v18, 0
	ds_read_b64 v[18:19], v18 offset:17152
	ds_read_b64 v[20:21], v14
	s_waitcnt lgkmcnt(0)
	v_mul_f32_e32 v22, v21, v19
	v_mul_f32_e32 v19, v20, v19
	v_fma_f32 v20, v20, v18, -v22
	v_fmac_f32_e32 v19, v21, v18
	v_sub_f32_e32 v3, v3, v20
	v_sub_f32_e32 v4, v4, v19
.LBB64_470:
	s_or_b64 exec, exec, s[14:15]
	s_barrier
	s_and_saveexec_b64 s[14:15], s[50:51]
	s_cbranch_execz .LBB64_472
; %bb.471:
	v_mov_b32_e32 v18, 0
	ds_read_b64 v[18:19], v18 offset:16640
	s_waitcnt lgkmcnt(0)
	v_mul_f32_e32 v20, v4, v19
	v_mul_f32_e32 v21, v3, v19
	v_fma_f32 v3, v3, v18, -v20
	v_fmac_f32_e32 v21, v4, v18
	v_xor_b32_e32 v18, 0x80000000, v3
	v_xor_b32_e32 v19, 0x80000000, v21
	v_mov_b32_e32 v4, v21
	ds_write_b64 v14, v[18:19]
.LBB64_472:
	s_or_b64 exec, exec, s[14:15]
	s_waitcnt lgkmcnt(0)
	s_barrier
	s_barrier
	s_and_saveexec_b64 s[14:15], s[10:11]
; %bb.473:
	v_lshlrev_b32_e32 v18, 3, v12
	v_lshl_or_b32 v18, v13, 9, v18
	ds_write_b64 v18, v[3:4] offset:20736
; %bb.474:
	s_or_b64 exec, exec, s[14:15]
	s_waitcnt lgkmcnt(0)
	s_barrier
	s_barrier
	s_and_saveexec_b64 s[14:15], vcc
	s_cbranch_execz .LBB64_476
; %bb.475:
	s_movk_i32 s16, 0x130
	v_mov_b32_e32 v22, 0
	v_add_u32_e64 v18, s16, 0
	ds_read_b64 v[3:4], v22 offset:20280
	ds_read2st64_b64 v[18:21], v18 offset0:38 offset1:39
	s_waitcnt lgkmcnt(0)
	v_mul_f32_e32 v23, v4, v19
	v_mul_f32_e32 v19, v3, v19
	v_fma_f32 v23, v3, v18, -v23
	v_fmac_f32_e32 v19, v4, v18
	v_mul_f32_e32 v3, v19, v21
	v_mul_f32_e32 v4, v23, v21
	v_fma_f32 v3, v23, v20, -v3
	v_fmac_f32_e32 v4, v19, v20
	ds_write_b64 v22, v[3:4] offset:20272
.LBB64_476:
	s_or_b64 exec, exec, s[14:15]
	v_mov_b32_e32 v3, 0
	v_mov_b32_e32 v4, 0
	s_waitcnt lgkmcnt(0)
	s_barrier
	buffer_wbinvl1_vol
	s_and_saveexec_b64 s[16:17], s[6:7]
	s_cbranch_execz .LBB64_480
; %bb.477:
	v_lshlrev_b32_e32 v3, 3, v5
	v_lshlrev_b32_e32 v18, 9, v6
	ds_read_b64 v[3:4], v3 offset:19744
	ds_read_b64 v[18:19], v18 offset:19760
	v_cmp_gt_u32_e64 s[14:15], 2, v8
	s_waitcnt lgkmcnt(0)
	v_mul_f32_e32 v20, v19, v4
	v_mul_f32_e32 v4, v18, v4
	v_fma_f32 v18, v18, v3, -v20
	v_fmac_f32_e32 v4, v19, v3
	v_add_f32_e32 v3, 0, v18
	v_add_f32_e32 v4, 0, v4
	s_and_saveexec_b64 s[20:21], s[14:15]
	s_cbranch_execz .LBB64_479
; %bb.478:
	v_lshlrev_b32_e32 v18, 3, v0
	v_mov_b32_e32 v20, 0
	ds_read_b64 v[18:19], v18 offset:20256
	ds_read_b64 v[20:21], v20 offset:20280
	s_waitcnt lgkmcnt(0)
	v_mul_f32_e32 v22, v21, v19
	v_mul_f32_e32 v19, v20, v19
	v_fma_f32 v20, v20, v18, -v22
	v_fmac_f32_e32 v19, v21, v18
	v_add_f32_e32 v3, v3, v20
	v_add_f32_e32 v4, v4, v19
.LBB64_479:
	s_or_b64 exec, exec, s[20:21]
.LBB64_480:
	s_or_b64 exec, exec, s[16:17]
	s_and_saveexec_b64 s[14:15], s[36:37]
	s_cbranch_execz .LBB64_482
; %bb.481:
	v_mov_b32_e32 v18, 0
	ds_read_b64 v[18:19], v18 offset:19240
	s_waitcnt lgkmcnt(0)
	v_mul_f32_e32 v20, v4, v19
	v_mul_f32_e32 v21, v3, v19
	v_fma_f32 v3, v3, v18, -v20
	v_fmac_f32_e32 v21, v4, v18
	v_xor_b32_e32 v18, 0x80000000, v3
	v_xor_b32_e32 v19, 0x80000000, v21
	v_mov_b32_e32 v4, v21
	ds_write_b64 v7, v[18:19]
.LBB64_482:
	s_or_b64 exec, exec, s[14:15]
	s_waitcnt lgkmcnt(0)
	s_barrier
	s_and_saveexec_b64 s[14:15], s[34:35]
	s_cbranch_execz .LBB64_484
; %bb.483:
	v_mov_b32_e32 v18, 0
	ds_read_b64 v[18:19], v18 offset:19232
	ds_read_b64 v[20:21], v7
	s_waitcnt lgkmcnt(0)
	v_mul_f32_e32 v22, v21, v19
	v_mul_f32_e32 v19, v20, v19
	v_fma_f32 v20, v20, v18, -v22
	v_fmac_f32_e32 v19, v21, v18
	v_sub_f32_e32 v3, v3, v20
	v_sub_f32_e32 v4, v4, v19
.LBB64_484:
	s_or_b64 exec, exec, s[14:15]
	s_barrier
	s_and_saveexec_b64 s[14:15], s[34:35]
	s_cbranch_execz .LBB64_486
; %bb.485:
	v_mov_b32_e32 v18, 0
	ds_read_b64 v[18:19], v18 offset:18720
	s_waitcnt lgkmcnt(0)
	v_mul_f32_e32 v20, v4, v19
	v_mul_f32_e32 v21, v3, v19
	v_fma_f32 v3, v3, v18, -v20
	v_fmac_f32_e32 v21, v4, v18
	v_xor_b32_e32 v18, 0x80000000, v3
	v_xor_b32_e32 v19, 0x80000000, v21
	v_mov_b32_e32 v4, v21
	ds_write_b64 v7, v[18:19]
.LBB64_486:
	s_or_b64 exec, exec, s[14:15]
	s_waitcnt lgkmcnt(0)
	s_barrier
	s_barrier
	s_and_saveexec_b64 s[14:15], s[6:7]
; %bb.487:
	v_lshlrev_b32_e32 v18, 3, v5
	v_lshl_or_b32 v18, v6, 9, v18
	ds_write_b64 v18, v[3:4] offset:19744
; %bb.488:
	s_or_b64 exec, exec, s[14:15]
	s_waitcnt lgkmcnt(0)
	s_barrier
	s_barrier
	s_and_saveexec_b64 s[14:15], vcc
	s_cbranch_execz .LBB64_490
; %bb.489:
	s_movk_i32 s16, 0x120
	v_mov_b32_e32 v22, 0
	v_add_u32_e64 v18, s16, 0
	ds_read_b64 v[3:4], v22 offset:19240
	ds_read2st64_b64 v[18:21], v18 offset0:36 offset1:37
	s_waitcnt lgkmcnt(0)
	v_mul_f32_e32 v23, v4, v19
	v_mul_f32_e32 v19, v3, v19
	v_fma_f32 v23, v3, v18, -v23
	v_fmac_f32_e32 v19, v4, v18
	v_mul_f32_e32 v3, v19, v21
	v_mul_f32_e32 v4, v23, v21
	v_fma_f32 v3, v23, v20, -v3
	v_fmac_f32_e32 v4, v19, v20
	ds_write_b64 v22, v[3:4] offset:19232
.LBB64_490:
	s_or_b64 exec, exec, s[14:15]
	v_mov_b32_e32 v4, 0
	v_mov_b32_e32 v3, 0
	s_waitcnt lgkmcnt(0)
	s_barrier
	buffer_wbinvl1_vol
	s_and_saveexec_b64 s[16:17], s[18:19]
	s_cbranch_execz .LBB64_496
; %bb.491:
	v_lshlrev_b32_e32 v18, 3, v9
	v_lshlrev_b32_e32 v19, 9, v10
	ds_read_b64 v[3:4], v18 offset:18688
	ds_read_b64 v[20:21], v19 offset:18720
	v_cmp_gt_u32_e64 s[14:15], 12, v8
	s_waitcnt lgkmcnt(0)
	v_mul_f32_e32 v22, v21, v4
	v_mul_f32_e32 v4, v20, v4
	v_fma_f32 v20, v20, v3, -v22
	v_fmac_f32_e32 v4, v21, v3
	v_add_f32_e32 v3, 0, v20
	v_add_f32_e32 v4, 0, v4
	s_and_saveexec_b64 s[20:21], s[14:15]
	s_cbranch_execnz .LBB64_1076
; %bb.492:
	s_or_b64 exec, exec, s[20:21]
	v_cmp_gt_u32_e64 s[14:15], 8, v8
	s_and_saveexec_b64 s[20:21], s[14:15]
	s_cbranch_execnz .LBB64_1077
.LBB64_493:
	s_or_b64 exec, exec, s[20:21]
	v_cmp_gt_u32_e64 s[14:15], 4, v8
	s_and_saveexec_b64 s[20:21], s[14:15]
	s_cbranch_execz .LBB64_495
.LBB64_494:
	v_lshlrev_b32_e32 v18, 3, v0
	v_mov_b32_e32 v20, 0
	ds_read_b64 v[18:19], v18 offset:20224
	ds_read_b64 v[20:21], v20 offset:20280
	s_waitcnt lgkmcnt(0)
	v_mul_f32_e32 v22, v21, v19
	v_mul_f32_e32 v19, v20, v19
	v_fma_f32 v20, v20, v18, -v22
	v_fmac_f32_e32 v19, v21, v18
	v_add_f32_e32 v3, v3, v20
	v_add_f32_e32 v4, v4, v19
.LBB64_495:
	s_or_b64 exec, exec, s[20:21]
.LBB64_496:
	s_or_b64 exec, exec, s[16:17]
	s_and_saveexec_b64 s[14:15], s[40:41]
	s_cbranch_execz .LBB64_498
; %bb.497:
	v_mov_b32_e32 v18, 0
	ds_read_b64 v[18:19], v18 offset:18200
	s_waitcnt lgkmcnt(0)
	v_mul_f32_e32 v20, v4, v19
	v_mul_f32_e32 v21, v3, v19
	v_fma_f32 v3, v3, v18, -v20
	v_fmac_f32_e32 v21, v4, v18
	v_xor_b32_e32 v18, 0x80000000, v3
	v_xor_b32_e32 v19, 0x80000000, v21
	v_mov_b32_e32 v4, v21
	ds_write_b64 v11, v[18:19]
.LBB64_498:
	s_or_b64 exec, exec, s[14:15]
	s_waitcnt lgkmcnt(0)
	s_barrier
	s_and_saveexec_b64 s[14:15], s[42:43]
	s_cbranch_execz .LBB64_500
; %bb.499:
	v_lshlrev_b32_e32 v18, 3, v9
	ds_read_b64 v[18:19], v18 offset:18176
	ds_read_b64 v[20:21], v11
	s_waitcnt lgkmcnt(0)
	v_mul_f32_e32 v22, v21, v19
	v_mul_f32_e32 v19, v20, v19
	v_fma_f32 v20, v20, v18, -v22
	v_fmac_f32_e32 v19, v21, v18
	v_sub_f32_e32 v3, v3, v20
	v_sub_f32_e32 v4, v4, v19
.LBB64_500:
	s_or_b64 exec, exec, s[14:15]
	s_barrier
	s_and_saveexec_b64 s[14:15], s[44:45]
	s_cbranch_execz .LBB64_502
; %bb.501:
	v_mov_b32_e32 v18, 0
	ds_read_b64 v[18:19], v18 offset:17680
	s_waitcnt lgkmcnt(0)
	v_mul_f32_e32 v20, v4, v19
	v_mul_f32_e32 v21, v3, v19
	v_fma_f32 v3, v3, v18, -v20
	v_fmac_f32_e32 v21, v4, v18
	v_xor_b32_e32 v18, 0x80000000, v3
	v_xor_b32_e32 v19, 0x80000000, v21
	v_mov_b32_e32 v4, v21
	ds_write_b64 v11, v[18:19]
.LBB64_502:
	s_or_b64 exec, exec, s[14:15]
	s_waitcnt lgkmcnt(0)
	s_barrier
	s_and_saveexec_b64 s[14:15], s[46:47]
	s_cbranch_execz .LBB64_504
; %bb.503:
	v_lshlrev_b32_e32 v18, 3, v9
	ds_read_b64 v[18:19], v18 offset:17664
	ds_read_b64 v[20:21], v11
	s_waitcnt lgkmcnt(0)
	v_mul_f32_e32 v22, v21, v19
	v_mul_f32_e32 v19, v20, v19
	v_fma_f32 v20, v20, v18, -v22
	v_fmac_f32_e32 v19, v21, v18
	v_sub_f32_e32 v3, v3, v20
	v_sub_f32_e32 v4, v4, v19
.LBB64_504:
	s_or_b64 exec, exec, s[14:15]
	s_barrier
	s_and_saveexec_b64 s[14:15], s[48:49]
	s_cbranch_execz .LBB64_506
; %bb.505:
	v_mov_b32_e32 v18, 0
	ds_read_b64 v[18:19], v18 offset:17160
	s_waitcnt lgkmcnt(0)
	v_mul_f32_e32 v20, v4, v19
	v_mul_f32_e32 v21, v3, v19
	v_fma_f32 v3, v3, v18, -v20
	v_fmac_f32_e32 v21, v4, v18
	v_xor_b32_e32 v18, 0x80000000, v3
	v_xor_b32_e32 v19, 0x80000000, v21
	v_mov_b32_e32 v4, v21
	ds_write_b64 v11, v[18:19]
.LBB64_506:
	s_or_b64 exec, exec, s[14:15]
	s_waitcnt lgkmcnt(0)
	s_barrier
	s_and_saveexec_b64 s[14:15], s[38:39]
	s_cbranch_execz .LBB64_508
; %bb.507:
	v_mov_b32_e32 v18, 0
	ds_read_b64 v[18:19], v18 offset:17152
	ds_read_b64 v[20:21], v11
	s_waitcnt lgkmcnt(0)
	v_mul_f32_e32 v22, v21, v19
	v_mul_f32_e32 v19, v20, v19
	v_fma_f32 v20, v20, v18, -v22
	v_fmac_f32_e32 v19, v21, v18
	v_sub_f32_e32 v3, v3, v20
	v_sub_f32_e32 v4, v4, v19
.LBB64_508:
	s_or_b64 exec, exec, s[14:15]
	s_barrier
	s_and_saveexec_b64 s[14:15], s[38:39]
	s_cbranch_execz .LBB64_510
; %bb.509:
	v_mov_b32_e32 v18, 0
	ds_read_b64 v[18:19], v18 offset:16640
	s_waitcnt lgkmcnt(0)
	v_mul_f32_e32 v20, v4, v19
	v_mul_f32_e32 v21, v3, v19
	v_fma_f32 v3, v3, v18, -v20
	v_fmac_f32_e32 v21, v4, v18
	v_xor_b32_e32 v18, 0x80000000, v3
	v_xor_b32_e32 v19, 0x80000000, v21
	v_mov_b32_e32 v4, v21
	ds_write_b64 v11, v[18:19]
.LBB64_510:
	s_or_b64 exec, exec, s[14:15]
	s_waitcnt lgkmcnt(0)
	s_barrier
	s_barrier
	s_and_saveexec_b64 s[14:15], s[18:19]
; %bb.511:
	v_lshlrev_b32_e32 v18, 3, v9
	v_lshl_or_b32 v18, v10, 9, v18
	ds_write_b64 v18, v[3:4] offset:18688
; %bb.512:
	s_or_b64 exec, exec, s[14:15]
	s_waitcnt lgkmcnt(0)
	s_barrier
	s_barrier
	s_and_saveexec_b64 s[14:15], vcc
	s_cbranch_execz .LBB64_514
; %bb.513:
	s_movk_i32 s16, 0x110
	v_mov_b32_e32 v22, 0
	v_add_u32_e64 v18, s16, 0
	ds_read_b64 v[3:4], v22 offset:18200
	ds_read2st64_b64 v[18:21], v18 offset0:34 offset1:35
	s_waitcnt lgkmcnt(0)
	v_mul_f32_e32 v23, v4, v19
	v_mul_f32_e32 v19, v3, v19
	v_fma_f32 v23, v3, v18, -v23
	v_fmac_f32_e32 v19, v4, v18
	v_mul_f32_e32 v3, v19, v21
	v_mul_f32_e32 v4, v23, v21
	v_fma_f32 v3, v23, v20, -v3
	v_fmac_f32_e32 v4, v19, v20
	ds_write_b64 v22, v[3:4] offset:18192
.LBB64_514:
	s_or_b64 exec, exec, s[14:15]
	v_mov_b32_e32 v3, 0
	v_mov_b32_e32 v4, 0
	s_waitcnt lgkmcnt(0)
	s_barrier
	buffer_wbinvl1_vol
	s_and_saveexec_b64 s[16:17], s[6:7]
	s_cbranch_execz .LBB64_518
; %bb.515:
	v_lshlrev_b32_e32 v3, 3, v5
	v_lshlrev_b32_e32 v18, 9, v6
	ds_read_b64 v[3:4], v3 offset:17664
	ds_read_b64 v[18:19], v18 offset:17680
	v_cmp_gt_u32_e64 s[14:15], 2, v8
	s_waitcnt lgkmcnt(0)
	v_mul_f32_e32 v20, v19, v4
	v_mul_f32_e32 v4, v18, v4
	v_fma_f32 v18, v18, v3, -v20
	v_fmac_f32_e32 v4, v19, v3
	v_add_f32_e32 v3, 0, v18
	v_add_f32_e32 v4, 0, v4
	s_and_saveexec_b64 s[20:21], s[14:15]
	s_cbranch_execz .LBB64_517
; %bb.516:
	v_lshlrev_b32_e32 v18, 3, v0
	v_mov_b32_e32 v20, 0
	ds_read_b64 v[18:19], v18 offset:18176
	ds_read_b64 v[20:21], v20 offset:18200
	s_waitcnt lgkmcnt(0)
	v_mul_f32_e32 v22, v21, v19
	v_mul_f32_e32 v19, v20, v19
	v_fma_f32 v20, v20, v18, -v22
	v_fmac_f32_e32 v19, v21, v18
	v_add_f32_e32 v3, v3, v20
	v_add_f32_e32 v4, v4, v19
.LBB64_517:
	s_or_b64 exec, exec, s[20:21]
.LBB64_518:
	s_or_b64 exec, exec, s[16:17]
	s_and_saveexec_b64 s[14:15], s[36:37]
	s_cbranch_execz .LBB64_520
; %bb.519:
	v_mov_b32_e32 v18, 0
	ds_read_b64 v[18:19], v18 offset:17160
	s_waitcnt lgkmcnt(0)
	v_mul_f32_e32 v20, v4, v19
	v_mul_f32_e32 v21, v3, v19
	v_fma_f32 v3, v3, v18, -v20
	v_fmac_f32_e32 v21, v4, v18
	v_xor_b32_e32 v18, 0x80000000, v3
	v_xor_b32_e32 v19, 0x80000000, v21
	v_mov_b32_e32 v4, v21
	ds_write_b64 v7, v[18:19]
.LBB64_520:
	s_or_b64 exec, exec, s[14:15]
	s_waitcnt lgkmcnt(0)
	s_barrier
	s_and_saveexec_b64 s[14:15], s[34:35]
	s_cbranch_execz .LBB64_522
; %bb.521:
	v_mov_b32_e32 v18, 0
	ds_read_b64 v[18:19], v18 offset:17152
	ds_read_b64 v[20:21], v7
	s_waitcnt lgkmcnt(0)
	v_mul_f32_e32 v22, v21, v19
	v_mul_f32_e32 v19, v20, v19
	v_fma_f32 v20, v20, v18, -v22
	v_fmac_f32_e32 v19, v21, v18
	v_sub_f32_e32 v3, v3, v20
	v_sub_f32_e32 v4, v4, v19
.LBB64_522:
	s_or_b64 exec, exec, s[14:15]
	s_barrier
	s_and_saveexec_b64 s[14:15], s[34:35]
	s_cbranch_execz .LBB64_524
; %bb.523:
	v_mov_b32_e32 v18, 0
	ds_read_b64 v[18:19], v18 offset:16640
	s_waitcnt lgkmcnt(0)
	v_mul_f32_e32 v20, v4, v19
	v_mul_f32_e32 v21, v3, v19
	v_fma_f32 v3, v3, v18, -v20
	v_fmac_f32_e32 v21, v4, v18
	v_xor_b32_e32 v18, 0x80000000, v3
	v_xor_b32_e32 v19, 0x80000000, v21
	v_mov_b32_e32 v4, v21
	ds_write_b64 v7, v[18:19]
.LBB64_524:
	s_or_b64 exec, exec, s[14:15]
	s_waitcnt lgkmcnt(0)
	s_barrier
	s_barrier
	s_and_saveexec_b64 s[14:15], s[6:7]
; %bb.525:
	v_lshlrev_b32_e32 v18, 3, v5
	v_lshl_or_b32 v18, v6, 9, v18
	ds_write_b64 v18, v[3:4] offset:17664
; %bb.526:
	s_or_b64 exec, exec, s[14:15]
	s_waitcnt lgkmcnt(0)
	s_barrier
	s_barrier
	s_and_saveexec_b64 s[14:15], vcc
	s_cbranch_execz .LBB64_528
; %bb.527:
	s_movk_i32 s16, 0x100
	v_mov_b32_e32 v22, 0
	v_add_u32_e64 v18, s16, 0
	ds_read_b64 v[3:4], v22 offset:17160
	ds_read2st64_b64 v[18:21], v18 offset0:32 offset1:33
	s_waitcnt lgkmcnt(0)
	v_mul_f32_e32 v23, v4, v19
	v_mul_f32_e32 v19, v3, v19
	v_fma_f32 v23, v3, v18, -v23
	v_fmac_f32_e32 v19, v4, v18
	v_mul_f32_e32 v3, v19, v21
	v_mul_f32_e32 v4, v23, v21
	v_fma_f32 v3, v23, v20, -v3
	v_fmac_f32_e32 v4, v19, v20
	ds_write_b64 v22, v[3:4] offset:17152
.LBB64_528:
	s_or_b64 exec, exec, s[14:15]
	s_movk_i32 s14, 0x3ff
	v_lshrrev_b32_e32 v20, 5, v8
	v_cmp_lt_u32_e64 s[16:17], s14, v8
	s_movk_i32 s14, 0x400
	v_and_b32_e32 v18, 31, v0
	v_sub_u32_e32 v19, 31, v20
	v_cmp_gt_u32_e64 s[14:15], s14, v8
	v_mov_b32_e32 v4, 0
	v_mov_b32_e32 v3, 0
	s_waitcnt lgkmcnt(0)
	s_barrier
	buffer_wbinvl1_vol
	s_and_saveexec_b64 s[94:95], s[14:15]
	s_cbranch_execz .LBB64_590
; %bb.529:
	v_lshlrev_b32_e32 v21, 3, v18
	v_lshlrev_b32_e32 v22, 9, v19
	ds_read_b64 v[3:4], v21 offset:16384
	ds_read_b64 v[23:24], v22 offset:16640
	s_movk_i32 s20, 0x3e0
	v_cmp_gt_u32_e64 s[20:21], s20, v8
	s_waitcnt lgkmcnt(0)
	v_mul_f32_e32 v25, v24, v4
	v_mul_f32_e32 v4, v23, v4
	v_fma_f32 v23, v23, v3, -v25
	v_fmac_f32_e32 v4, v24, v3
	v_add_f32_e32 v3, 0, v23
	v_add_f32_e32 v4, 0, v4
	s_and_saveexec_b64 s[98:99], s[20:21]
	s_cbranch_execz .LBB64_531
; %bb.530:
	ds_read_b64 v[23:24], v21 offset:16896
	ds_read_b64 v[25:26], v22 offset:16648
	s_waitcnt lgkmcnt(0)
	v_mul_f32_e32 v27, v26, v24
	v_mul_f32_e32 v24, v25, v24
	v_fma_f32 v25, v25, v23, -v27
	v_fmac_f32_e32 v24, v26, v23
	v_add_f32_e32 v3, v3, v25
	v_add_f32_e32 v4, v4, v24
.LBB64_531:
	s_or_b64 exec, exec, s[98:99]
	s_movk_i32 s20, 0x3c0
	v_cmp_gt_u32_e64 s[20:21], s20, v8
	s_and_saveexec_b64 s[98:99], s[20:21]
	s_cbranch_execz .LBB64_533
; %bb.532:
	ds_read_b64 v[23:24], v21 offset:17408
	ds_read_b64 v[25:26], v22 offset:16656
	s_waitcnt lgkmcnt(0)
	v_mul_f32_e32 v27, v26, v24
	v_mul_f32_e32 v24, v25, v24
	v_fma_f32 v25, v25, v23, -v27
	v_fmac_f32_e32 v24, v26, v23
	v_add_f32_e32 v3, v3, v25
	v_add_f32_e32 v4, v4, v24
.LBB64_533:
	s_or_b64 exec, exec, s[98:99]
	s_movk_i32 s20, 0x3a0
	v_cmp_gt_u32_e64 s[20:21], s20, v8
	;; [unrolled: 16-line block ×22, first 2 shown]
	s_and_saveexec_b64 s[98:99], s[20:21]
	s_cbranch_execz .LBB64_575
; %bb.574:
	ds_read_b64 v[23:24], v21 offset:28160
	ds_read_b64 v[25:26], v22 offset:16824
	s_waitcnt lgkmcnt(0)
	v_mul_f32_e32 v27, v26, v24
	v_mul_f32_e32 v24, v25, v24
	v_fma_f32 v25, v25, v23, -v27
	v_fmac_f32_e32 v24, v26, v23
	v_add_f32_e32 v3, v3, v25
	v_add_f32_e32 v4, v4, v24
.LBB64_575:
	s_or_b64 exec, exec, s[98:99]
	s_and_saveexec_b64 s[20:21], s[12:13]
	s_cbranch_execz .LBB64_577
; %bb.576:
	ds_read_b64 v[23:24], v21 offset:28672
	ds_read_b64 v[25:26], v22 offset:16832
	s_waitcnt lgkmcnt(0)
	v_mul_f32_e32 v27, v26, v24
	v_mul_f32_e32 v24, v25, v24
	v_fma_f32 v25, v25, v23, -v27
	v_fmac_f32_e32 v24, v26, v23
	v_add_f32_e32 v3, v3, v25
	v_add_f32_e32 v4, v4, v24
.LBB64_577:
	s_or_b64 exec, exec, s[20:21]
	s_movk_i32 s20, 0xe0
	v_cmp_gt_u32_e64 s[20:21], s20, v8
	s_and_saveexec_b64 s[98:99], s[20:21]
	s_cbranch_execz .LBB64_579
; %bb.578:
	ds_read_b64 v[23:24], v21 offset:29184
	ds_read_b64 v[25:26], v22 offset:16840
	s_waitcnt lgkmcnt(0)
	v_mul_f32_e32 v27, v26, v24
	v_mul_f32_e32 v24, v25, v24
	v_fma_f32 v25, v25, v23, -v27
	v_fmac_f32_e32 v24, v26, v23
	v_add_f32_e32 v3, v3, v25
	v_add_f32_e32 v4, v4, v24
.LBB64_579:
	s_or_b64 exec, exec, s[98:99]
	s_movk_i32 s20, 0xc0
	v_cmp_gt_u32_e64 s[20:21], s20, v8
	;; [unrolled: 16-line block ×5, first 2 shown]
	s_and_saveexec_b64 s[98:99], s[20:21]
	s_cbranch_execnz .LBB64_1078
; %bb.586:
	s_or_b64 exec, exec, s[98:99]
	s_and_saveexec_b64 s[20:21], s[10:11]
	s_cbranch_execnz .LBB64_1079
.LBB64_587:
	s_or_b64 exec, exec, s[20:21]
	v_cmp_gt_u32_e64 s[20:21], 32, v8
	s_and_saveexec_b64 s[98:99], s[20:21]
	s_cbranch_execz .LBB64_589
.LBB64_588:
	ds_read_b64 v[23:24], v21 offset:32256
	ds_read_b64 v[21:22], v22 offset:16888
	s_waitcnt lgkmcnt(0)
	v_mul_f32_e32 v25, v22, v24
	v_mul_f32_e32 v24, v21, v24
	v_fma_f32 v21, v21, v23, -v25
	v_fmac_f32_e32 v24, v22, v23
	v_add_f32_e32 v3, v3, v21
	v_add_f32_e32 v4, v4, v24
.LBB64_589:
	s_or_b64 exec, exec, s[98:99]
.LBB64_590:
	s_or_b64 exec, exec, s[94:95]
	v_mov_b32_e32 v21, 0x8000
	s_movk_i32 s20, 0x208
	v_lshlrev_b32_e32 v22, 9, v18
	v_mov_b32_e32 v23, 0x3c00
	v_lshl_add_u32 v20, v20, 3, v21
	v_mul_u32_u24_e32 v21, 0x208, v18
	v_sub_u32_e32 v22, 0, v22
	v_mad_u32_u24 v23, v18, s20, v23
	s_mov_b32 s94, 31
	s_xor_b64 s[20:21], s[16:17], -1
	s_branch .LBB64_592
.LBB64_591:                             ;   in Loop: Header=BB64_592 Depth=1
	s_or_b64 exec, exec, s[16:17]
	s_add_i32 s94, s94, -2
	s_cmp_eq_u32 s95, 0
	v_add_u32_e32 v22, 0xfffffc00, v22
	s_barrier
	s_cbranch_scc1 .LBB64_600
.LBB64_592:                             ; =>This Inner Loop Header: Depth=1
	s_movk_i32 s16, 0xc200
	v_cmp_eq_u32_e64 s[16:17], s16, v22
	s_and_b64 s[98:99], s[20:21], s[16:17]
	s_and_saveexec_b64 s[16:17], s[98:99]
	s_cbranch_execz .LBB64_594
; %bb.593:                              ;   in Loop: Header=BB64_592 Depth=1
	ds_read_b64 v[24:25], v21
	s_waitcnt lgkmcnt(0)
	v_mul_f32_e32 v26, v4, v25
	v_mul_f32_e32 v27, v3, v25
	v_fma_f32 v3, v3, v24, -v26
	v_fmac_f32_e32 v27, v4, v24
	v_xor_b32_e32 v24, 0x80000000, v3
	v_xor_b32_e32 v25, 0x80000000, v27
	v_mov_b32_e32 v4, v27
	ds_write_b64 v20, v[24:25]
.LBB64_594:                             ;   in Loop: Header=BB64_592 Depth=1
	s_or_b64 exec, exec, s[16:17]
	v_cmp_gt_u32_e64 s[16:17], s94, v18
	s_and_b64 s[98:99], s[20:21], s[16:17]
	v_add_u32_e32 v24, v23, v22
	s_waitcnt lgkmcnt(0)
	s_barrier
	s_and_saveexec_b64 s[16:17], s[98:99]
	s_cbranch_execz .LBB64_596
; %bb.595:                              ;   in Loop: Header=BB64_592 Depth=1
	ds_read_b64 v[25:26], v24 offset:512
	ds_read_b64 v[27:28], v20
	s_waitcnt lgkmcnt(0)
	v_mul_f32_e32 v29, v28, v26
	v_mul_f32_e32 v26, v27, v26
	v_fma_f32 v27, v27, v25, -v29
	v_fmac_f32_e32 v26, v28, v25
	v_sub_f32_e32 v3, v3, v27
	v_sub_f32_e32 v4, v4, v26
.LBB64_596:                             ;   in Loop: Header=BB64_592 Depth=1
	s_or_b64 exec, exec, s[16:17]
	s_add_i32 s95, s94, -1
	v_cmp_eq_u32_e64 s[16:17], s95, v18
	s_and_b64 s[98:99], s[20:21], s[16:17]
	s_barrier
	s_and_saveexec_b64 s[16:17], s[98:99]
	s_cbranch_execz .LBB64_598
; %bb.597:                              ;   in Loop: Header=BB64_592 Depth=1
	ds_read_b64 v[25:26], v21
	s_waitcnt lgkmcnt(0)
	v_mul_f32_e32 v27, v4, v26
	v_mul_f32_e32 v28, v3, v26
	v_fma_f32 v3, v3, v25, -v27
	v_fmac_f32_e32 v28, v4, v25
	v_xor_b32_e32 v25, 0x80000000, v3
	v_xor_b32_e32 v26, 0x80000000, v28
	v_mov_b32_e32 v4, v28
	ds_write_b64 v20, v[25:26]
.LBB64_598:                             ;   in Loop: Header=BB64_592 Depth=1
	s_or_b64 exec, exec, s[16:17]
	v_cmp_gt_u32_e64 s[16:17], s95, v18
	s_and_b64 s[98:99], s[20:21], s[16:17]
	s_waitcnt lgkmcnt(0)
	s_barrier
	s_and_saveexec_b64 s[16:17], s[98:99]
	s_cbranch_execz .LBB64_591
; %bb.599:                              ;   in Loop: Header=BB64_592 Depth=1
	ds_read_b64 v[24:25], v24
	ds_read_b64 v[26:27], v20
	s_waitcnt lgkmcnt(0)
	v_mul_f32_e32 v28, v27, v25
	v_mul_f32_e32 v25, v26, v25
	v_fma_f32 v26, v26, v24, -v28
	v_fmac_f32_e32 v25, v27, v24
	v_sub_f32_e32 v3, v3, v26
	v_sub_f32_e32 v4, v4, v25
	s_branch .LBB64_591
.LBB64_600:
	s_and_saveexec_b64 s[16:17], s[14:15]
; %bb.601:
	v_lshlrev_b32_e32 v18, 3, v18
	v_lshl_or_b32 v18, v19, 9, v18
	ds_write_b64 v18, v[3:4] offset:16384
; %bb.602:
	s_or_b64 exec, exec, s[16:17]
	s_waitcnt lgkmcnt(0)
	s_barrier
	s_barrier
	s_and_saveexec_b64 s[14:15], vcc
	s_cbranch_execz .LBB64_604
; %bb.603:
	s_movk_i32 s16, 0xf0
	v_mov_b32_e32 v22, 0
	v_add_u32_e64 v18, s16, 0
	ds_read_b64 v[3:4], v22 offset:16120
	ds_read2st64_b64 v[18:21], v18 offset0:30 offset1:31
	s_waitcnt lgkmcnt(0)
	v_mul_f32_e32 v23, v4, v19
	v_mul_f32_e32 v19, v3, v19
	v_fma_f32 v23, v3, v18, -v23
	v_fmac_f32_e32 v19, v4, v18
	v_mul_f32_e32 v3, v19, v21
	v_mul_f32_e32 v4, v23, v21
	v_fma_f32 v3, v23, v20, -v3
	v_fmac_f32_e32 v4, v19, v20
	ds_write_b64 v22, v[3:4] offset:16112
.LBB64_604:
	s_or_b64 exec, exec, s[14:15]
	v_mov_b32_e32 v3, 0
	v_mov_b32_e32 v4, 0
	s_waitcnt lgkmcnt(0)
	s_barrier
	buffer_wbinvl1_vol
	s_and_saveexec_b64 s[16:17], s[6:7]
	s_cbranch_execz .LBB64_608
; %bb.605:
	v_lshlrev_b32_e32 v3, 3, v5
	v_lshlrev_b32_e32 v18, 9, v6
	ds_read_b64 v[3:4], v3 offset:15584
	ds_read_b64 v[18:19], v18 offset:15600
	v_cmp_gt_u32_e64 s[14:15], 2, v8
	s_waitcnt lgkmcnt(0)
	v_mul_f32_e32 v20, v19, v4
	v_mul_f32_e32 v4, v18, v4
	v_fma_f32 v18, v18, v3, -v20
	v_fmac_f32_e32 v4, v19, v3
	v_add_f32_e32 v3, 0, v18
	v_add_f32_e32 v4, 0, v4
	s_and_saveexec_b64 s[20:21], s[14:15]
	s_cbranch_execz .LBB64_607
; %bb.606:
	v_lshlrev_b32_e32 v18, 3, v0
	v_mov_b32_e32 v20, 0
	ds_read_b64 v[18:19], v18 offset:16096
	ds_read_b64 v[20:21], v20 offset:16120
	s_waitcnt lgkmcnt(0)
	v_mul_f32_e32 v22, v21, v19
	v_mul_f32_e32 v19, v20, v19
	v_fma_f32 v20, v20, v18, -v22
	v_fmac_f32_e32 v19, v21, v18
	v_add_f32_e32 v3, v3, v20
	v_add_f32_e32 v4, v4, v19
.LBB64_607:
	s_or_b64 exec, exec, s[20:21]
.LBB64_608:
	s_or_b64 exec, exec, s[16:17]
	s_and_saveexec_b64 s[14:15], s[36:37]
	s_cbranch_execz .LBB64_610
; %bb.609:
	v_mov_b32_e32 v18, 0
	ds_read_b64 v[18:19], v18 offset:15080
	s_waitcnt lgkmcnt(0)
	v_mul_f32_e32 v20, v4, v19
	v_mul_f32_e32 v21, v3, v19
	v_fma_f32 v3, v3, v18, -v20
	v_fmac_f32_e32 v21, v4, v18
	v_xor_b32_e32 v18, 0x80000000, v3
	v_xor_b32_e32 v19, 0x80000000, v21
	v_mov_b32_e32 v4, v21
	ds_write_b64 v7, v[18:19]
.LBB64_610:
	s_or_b64 exec, exec, s[14:15]
	s_waitcnt lgkmcnt(0)
	s_barrier
	s_and_saveexec_b64 s[14:15], s[34:35]
	s_cbranch_execz .LBB64_612
; %bb.611:
	v_mov_b32_e32 v18, 0
	ds_read_b64 v[18:19], v18 offset:15072
	ds_read_b64 v[20:21], v7
	s_waitcnt lgkmcnt(0)
	v_mul_f32_e32 v22, v21, v19
	v_mul_f32_e32 v19, v20, v19
	v_fma_f32 v20, v20, v18, -v22
	v_fmac_f32_e32 v19, v21, v18
	v_sub_f32_e32 v3, v3, v20
	v_sub_f32_e32 v4, v4, v19
.LBB64_612:
	s_or_b64 exec, exec, s[14:15]
	s_barrier
	s_and_saveexec_b64 s[14:15], s[34:35]
	s_cbranch_execz .LBB64_614
; %bb.613:
	v_mov_b32_e32 v18, 0
	ds_read_b64 v[18:19], v18 offset:14560
	s_waitcnt lgkmcnt(0)
	v_mul_f32_e32 v20, v4, v19
	v_mul_f32_e32 v21, v3, v19
	v_fma_f32 v3, v3, v18, -v20
	v_fmac_f32_e32 v21, v4, v18
	v_xor_b32_e32 v18, 0x80000000, v3
	v_xor_b32_e32 v19, 0x80000000, v21
	v_mov_b32_e32 v4, v21
	ds_write_b64 v7, v[18:19]
.LBB64_614:
	s_or_b64 exec, exec, s[14:15]
	s_waitcnt lgkmcnt(0)
	s_barrier
	s_barrier
	s_and_saveexec_b64 s[14:15], s[6:7]
; %bb.615:
	v_lshlrev_b32_e32 v18, 3, v5
	v_lshl_or_b32 v18, v6, 9, v18
	ds_write_b64 v18, v[3:4] offset:15584
; %bb.616:
	s_or_b64 exec, exec, s[14:15]
	s_waitcnt lgkmcnt(0)
	s_barrier
	s_barrier
	s_and_saveexec_b64 s[14:15], vcc
	s_cbranch_execz .LBB64_618
; %bb.617:
	s_movk_i32 s16, 0xe0
	v_mov_b32_e32 v22, 0
	v_add_u32_e64 v18, s16, 0
	ds_read_b64 v[3:4], v22 offset:15080
	ds_read2st64_b64 v[18:21], v18 offset0:28 offset1:29
	s_waitcnt lgkmcnt(0)
	v_mul_f32_e32 v23, v4, v19
	v_mul_f32_e32 v19, v3, v19
	v_fma_f32 v23, v3, v18, -v23
	v_fmac_f32_e32 v19, v4, v18
	v_mul_f32_e32 v3, v19, v21
	v_mul_f32_e32 v4, v23, v21
	v_fma_f32 v3, v23, v20, -v3
	v_fmac_f32_e32 v4, v19, v20
	ds_write_b64 v22, v[3:4] offset:15072
.LBB64_618:
	s_or_b64 exec, exec, s[14:15]
	v_mov_b32_e32 v4, 0
	v_mov_b32_e32 v3, 0
	s_waitcnt lgkmcnt(0)
	s_barrier
	buffer_wbinvl1_vol
	s_and_saveexec_b64 s[16:17], s[18:19]
	s_cbranch_execz .LBB64_624
; %bb.619:
	v_lshlrev_b32_e32 v18, 3, v9
	v_lshlrev_b32_e32 v19, 9, v10
	ds_read_b64 v[3:4], v18 offset:14528
	ds_read_b64 v[20:21], v19 offset:14560
	v_cmp_gt_u32_e64 s[14:15], 12, v8
	s_waitcnt lgkmcnt(0)
	v_mul_f32_e32 v22, v21, v4
	v_mul_f32_e32 v4, v20, v4
	v_fma_f32 v20, v20, v3, -v22
	v_fmac_f32_e32 v4, v21, v3
	v_add_f32_e32 v3, 0, v20
	v_add_f32_e32 v4, 0, v4
	s_and_saveexec_b64 s[20:21], s[14:15]
	s_cbranch_execnz .LBB64_1080
; %bb.620:
	s_or_b64 exec, exec, s[20:21]
	v_cmp_gt_u32_e64 s[14:15], 8, v8
	s_and_saveexec_b64 s[20:21], s[14:15]
	s_cbranch_execnz .LBB64_1081
.LBB64_621:
	s_or_b64 exec, exec, s[20:21]
	v_cmp_gt_u32_e64 s[14:15], 4, v8
	s_and_saveexec_b64 s[20:21], s[14:15]
	s_cbranch_execz .LBB64_623
.LBB64_622:
	v_lshlrev_b32_e32 v18, 3, v0
	v_mov_b32_e32 v20, 0
	ds_read_b64 v[18:19], v18 offset:16064
	ds_read_b64 v[20:21], v20 offset:16120
	s_waitcnt lgkmcnt(0)
	v_mul_f32_e32 v22, v21, v19
	v_mul_f32_e32 v19, v20, v19
	v_fma_f32 v20, v20, v18, -v22
	v_fmac_f32_e32 v19, v21, v18
	v_add_f32_e32 v3, v3, v20
	v_add_f32_e32 v4, v4, v19
.LBB64_623:
	s_or_b64 exec, exec, s[20:21]
.LBB64_624:
	s_or_b64 exec, exec, s[16:17]
	s_and_saveexec_b64 s[14:15], s[40:41]
	s_cbranch_execz .LBB64_626
; %bb.625:
	v_mov_b32_e32 v18, 0
	ds_read_b64 v[18:19], v18 offset:14040
	s_waitcnt lgkmcnt(0)
	v_mul_f32_e32 v20, v4, v19
	v_mul_f32_e32 v21, v3, v19
	v_fma_f32 v3, v3, v18, -v20
	v_fmac_f32_e32 v21, v4, v18
	v_xor_b32_e32 v18, 0x80000000, v3
	v_xor_b32_e32 v19, 0x80000000, v21
	v_mov_b32_e32 v4, v21
	ds_write_b64 v11, v[18:19]
.LBB64_626:
	s_or_b64 exec, exec, s[14:15]
	s_waitcnt lgkmcnt(0)
	s_barrier
	s_and_saveexec_b64 s[14:15], s[42:43]
	s_cbranch_execz .LBB64_628
; %bb.627:
	v_lshlrev_b32_e32 v18, 3, v9
	ds_read_b64 v[18:19], v18 offset:14016
	ds_read_b64 v[20:21], v11
	s_waitcnt lgkmcnt(0)
	v_mul_f32_e32 v22, v21, v19
	v_mul_f32_e32 v19, v20, v19
	v_fma_f32 v20, v20, v18, -v22
	v_fmac_f32_e32 v19, v21, v18
	v_sub_f32_e32 v3, v3, v20
	v_sub_f32_e32 v4, v4, v19
.LBB64_628:
	s_or_b64 exec, exec, s[14:15]
	s_barrier
	s_and_saveexec_b64 s[14:15], s[44:45]
	s_cbranch_execz .LBB64_630
; %bb.629:
	v_mov_b32_e32 v18, 0
	ds_read_b64 v[18:19], v18 offset:13520
	s_waitcnt lgkmcnt(0)
	v_mul_f32_e32 v20, v4, v19
	v_mul_f32_e32 v21, v3, v19
	v_fma_f32 v3, v3, v18, -v20
	v_fmac_f32_e32 v21, v4, v18
	v_xor_b32_e32 v18, 0x80000000, v3
	v_xor_b32_e32 v19, 0x80000000, v21
	v_mov_b32_e32 v4, v21
	ds_write_b64 v11, v[18:19]
.LBB64_630:
	s_or_b64 exec, exec, s[14:15]
	s_waitcnt lgkmcnt(0)
	s_barrier
	s_and_saveexec_b64 s[14:15], s[46:47]
	s_cbranch_execz .LBB64_632
; %bb.631:
	v_lshlrev_b32_e32 v18, 3, v9
	ds_read_b64 v[18:19], v18 offset:13504
	ds_read_b64 v[20:21], v11
	s_waitcnt lgkmcnt(0)
	v_mul_f32_e32 v22, v21, v19
	v_mul_f32_e32 v19, v20, v19
	v_fma_f32 v20, v20, v18, -v22
	v_fmac_f32_e32 v19, v21, v18
	v_sub_f32_e32 v3, v3, v20
	v_sub_f32_e32 v4, v4, v19
.LBB64_632:
	s_or_b64 exec, exec, s[14:15]
	s_barrier
	s_and_saveexec_b64 s[14:15], s[48:49]
	s_cbranch_execz .LBB64_634
; %bb.633:
	v_mov_b32_e32 v18, 0
	ds_read_b64 v[18:19], v18 offset:13000
	s_waitcnt lgkmcnt(0)
	v_mul_f32_e32 v20, v4, v19
	v_mul_f32_e32 v21, v3, v19
	v_fma_f32 v3, v3, v18, -v20
	v_fmac_f32_e32 v21, v4, v18
	v_xor_b32_e32 v18, 0x80000000, v3
	v_xor_b32_e32 v19, 0x80000000, v21
	v_mov_b32_e32 v4, v21
	ds_write_b64 v11, v[18:19]
.LBB64_634:
	s_or_b64 exec, exec, s[14:15]
	s_waitcnt lgkmcnt(0)
	s_barrier
	s_and_saveexec_b64 s[14:15], s[38:39]
	s_cbranch_execz .LBB64_636
; %bb.635:
	v_mov_b32_e32 v18, 0
	ds_read_b64 v[18:19], v18 offset:12992
	ds_read_b64 v[20:21], v11
	s_waitcnt lgkmcnt(0)
	v_mul_f32_e32 v22, v21, v19
	v_mul_f32_e32 v19, v20, v19
	v_fma_f32 v20, v20, v18, -v22
	v_fmac_f32_e32 v19, v21, v18
	v_sub_f32_e32 v3, v3, v20
	v_sub_f32_e32 v4, v4, v19
.LBB64_636:
	s_or_b64 exec, exec, s[14:15]
	s_barrier
	s_and_saveexec_b64 s[14:15], s[38:39]
	s_cbranch_execz .LBB64_638
; %bb.637:
	v_mov_b32_e32 v18, 0
	ds_read_b64 v[18:19], v18 offset:12480
	s_waitcnt lgkmcnt(0)
	v_mul_f32_e32 v20, v4, v19
	v_mul_f32_e32 v21, v3, v19
	v_fma_f32 v3, v3, v18, -v20
	v_fmac_f32_e32 v21, v4, v18
	v_xor_b32_e32 v18, 0x80000000, v3
	v_xor_b32_e32 v19, 0x80000000, v21
	v_mov_b32_e32 v4, v21
	ds_write_b64 v11, v[18:19]
.LBB64_638:
	s_or_b64 exec, exec, s[14:15]
	s_waitcnt lgkmcnt(0)
	s_barrier
	s_barrier
	s_and_saveexec_b64 s[14:15], s[18:19]
; %bb.639:
	v_lshlrev_b32_e32 v18, 3, v9
	v_lshl_or_b32 v18, v10, 9, v18
	ds_write_b64 v18, v[3:4] offset:14528
; %bb.640:
	s_or_b64 exec, exec, s[14:15]
	s_waitcnt lgkmcnt(0)
	s_barrier
	s_barrier
	s_and_saveexec_b64 s[14:15], vcc
	s_cbranch_execz .LBB64_642
; %bb.641:
	s_movk_i32 s16, 0xd0
	v_mov_b32_e32 v22, 0
	v_add_u32_e64 v18, s16, 0
	ds_read_b64 v[3:4], v22 offset:14040
	ds_read2st64_b64 v[18:21], v18 offset0:26 offset1:27
	s_waitcnt lgkmcnt(0)
	v_mul_f32_e32 v23, v4, v19
	v_mul_f32_e32 v19, v3, v19
	v_fma_f32 v23, v3, v18, -v23
	v_fmac_f32_e32 v19, v4, v18
	v_mul_f32_e32 v3, v19, v21
	v_mul_f32_e32 v4, v23, v21
	v_fma_f32 v3, v23, v20, -v3
	v_fmac_f32_e32 v4, v19, v20
	ds_write_b64 v22, v[3:4] offset:14032
.LBB64_642:
	s_or_b64 exec, exec, s[14:15]
	v_mov_b32_e32 v3, 0
	v_mov_b32_e32 v4, 0
	s_waitcnt lgkmcnt(0)
	s_barrier
	buffer_wbinvl1_vol
	s_and_saveexec_b64 s[16:17], s[6:7]
	s_cbranch_execz .LBB64_646
; %bb.643:
	v_lshlrev_b32_e32 v3, 3, v5
	v_lshlrev_b32_e32 v18, 9, v6
	ds_read_b64 v[3:4], v3 offset:13504
	ds_read_b64 v[18:19], v18 offset:13520
	v_cmp_gt_u32_e64 s[14:15], 2, v8
	s_waitcnt lgkmcnt(0)
	v_mul_f32_e32 v20, v19, v4
	v_mul_f32_e32 v4, v18, v4
	v_fma_f32 v18, v18, v3, -v20
	v_fmac_f32_e32 v4, v19, v3
	v_add_f32_e32 v3, 0, v18
	v_add_f32_e32 v4, 0, v4
	s_and_saveexec_b64 s[20:21], s[14:15]
	s_cbranch_execz .LBB64_645
; %bb.644:
	v_lshlrev_b32_e32 v18, 3, v0
	v_mov_b32_e32 v20, 0
	ds_read_b64 v[18:19], v18 offset:14016
	ds_read_b64 v[20:21], v20 offset:14040
	s_waitcnt lgkmcnt(0)
	v_mul_f32_e32 v22, v21, v19
	v_mul_f32_e32 v19, v20, v19
	v_fma_f32 v20, v20, v18, -v22
	v_fmac_f32_e32 v19, v21, v18
	v_add_f32_e32 v3, v3, v20
	v_add_f32_e32 v4, v4, v19
.LBB64_645:
	s_or_b64 exec, exec, s[20:21]
.LBB64_646:
	s_or_b64 exec, exec, s[16:17]
	s_and_saveexec_b64 s[14:15], s[36:37]
	s_cbranch_execz .LBB64_648
; %bb.647:
	v_mov_b32_e32 v18, 0
	ds_read_b64 v[18:19], v18 offset:13000
	s_waitcnt lgkmcnt(0)
	v_mul_f32_e32 v20, v4, v19
	v_mul_f32_e32 v21, v3, v19
	v_fma_f32 v3, v3, v18, -v20
	v_fmac_f32_e32 v21, v4, v18
	v_xor_b32_e32 v18, 0x80000000, v3
	v_xor_b32_e32 v19, 0x80000000, v21
	v_mov_b32_e32 v4, v21
	ds_write_b64 v7, v[18:19]
.LBB64_648:
	s_or_b64 exec, exec, s[14:15]
	s_waitcnt lgkmcnt(0)
	s_barrier
	s_and_saveexec_b64 s[14:15], s[34:35]
	s_cbranch_execz .LBB64_650
; %bb.649:
	v_mov_b32_e32 v18, 0
	ds_read_b64 v[18:19], v18 offset:12992
	ds_read_b64 v[20:21], v7
	s_waitcnt lgkmcnt(0)
	v_mul_f32_e32 v22, v21, v19
	v_mul_f32_e32 v19, v20, v19
	v_fma_f32 v20, v20, v18, -v22
	v_fmac_f32_e32 v19, v21, v18
	v_sub_f32_e32 v3, v3, v20
	v_sub_f32_e32 v4, v4, v19
.LBB64_650:
	s_or_b64 exec, exec, s[14:15]
	s_barrier
	s_and_saveexec_b64 s[14:15], s[34:35]
	s_cbranch_execz .LBB64_652
; %bb.651:
	v_mov_b32_e32 v18, 0
	ds_read_b64 v[18:19], v18 offset:12480
	s_waitcnt lgkmcnt(0)
	v_mul_f32_e32 v20, v4, v19
	v_mul_f32_e32 v21, v3, v19
	v_fma_f32 v3, v3, v18, -v20
	v_fmac_f32_e32 v21, v4, v18
	v_xor_b32_e32 v18, 0x80000000, v3
	v_xor_b32_e32 v19, 0x80000000, v21
	v_mov_b32_e32 v4, v21
	ds_write_b64 v7, v[18:19]
.LBB64_652:
	s_or_b64 exec, exec, s[14:15]
	s_waitcnt lgkmcnt(0)
	s_barrier
	s_barrier
	s_and_saveexec_b64 s[14:15], s[6:7]
; %bb.653:
	v_lshlrev_b32_e32 v18, 3, v5
	v_lshl_or_b32 v18, v6, 9, v18
	ds_write_b64 v18, v[3:4] offset:13504
; %bb.654:
	s_or_b64 exec, exec, s[14:15]
	s_waitcnt lgkmcnt(0)
	s_barrier
	s_barrier
	s_and_saveexec_b64 s[14:15], vcc
	s_cbranch_execz .LBB64_656
; %bb.655:
	s_movk_i32 s16, 0xc0
	v_mov_b32_e32 v22, 0
	v_add_u32_e64 v18, s16, 0
	ds_read_b64 v[3:4], v22 offset:13000
	ds_read2st64_b64 v[18:21], v18 offset0:24 offset1:25
	s_waitcnt lgkmcnt(0)
	v_mul_f32_e32 v23, v4, v19
	v_mul_f32_e32 v19, v3, v19
	v_fma_f32 v23, v3, v18, -v23
	v_fmac_f32_e32 v19, v4, v18
	v_mul_f32_e32 v3, v19, v21
	v_mul_f32_e32 v4, v23, v21
	v_fma_f32 v3, v23, v20, -v3
	v_fmac_f32_e32 v4, v19, v20
	ds_write_b64 v22, v[3:4] offset:12992
.LBB64_656:
	s_or_b64 exec, exec, s[14:15]
	v_mov_b32_e32 v4, 0
	v_mov_b32_e32 v3, 0
	s_waitcnt lgkmcnt(0)
	s_barrier
	buffer_wbinvl1_vol
	s_and_saveexec_b64 s[16:17], s[10:11]
	s_cbranch_execz .LBB64_666
; %bb.657:
	v_lshlrev_b32_e32 v18, 3, v12
	v_lshlrev_b32_e32 v19, 9, v13
	ds_read_b64 v[3:4], v18 offset:12416
	ds_read_b64 v[20:21], v19 offset:12480
	v_cmp_gt_u32_e64 s[14:15], 56, v8
	s_waitcnt lgkmcnt(0)
	v_mul_f32_e32 v22, v21, v4
	v_mul_f32_e32 v4, v20, v4
	v_fma_f32 v20, v20, v3, -v22
	v_fmac_f32_e32 v4, v21, v3
	v_add_f32_e32 v3, 0, v20
	v_add_f32_e32 v4, 0, v4
	s_and_saveexec_b64 s[20:21], s[14:15]
	s_cbranch_execnz .LBB64_1082
; %bb.658:
	s_or_b64 exec, exec, s[20:21]
	v_cmp_gt_u32_e64 s[14:15], 48, v8
	s_and_saveexec_b64 s[20:21], s[14:15]
	s_cbranch_execnz .LBB64_1083
.LBB64_659:
	s_or_b64 exec, exec, s[20:21]
	v_cmp_gt_u32_e64 s[14:15], 40, v8
	s_and_saveexec_b64 s[20:21], s[14:15]
	s_cbranch_execnz .LBB64_1084
.LBB64_660:
	s_or_b64 exec, exec, s[20:21]
	v_cmp_gt_u32_e64 s[14:15], 32, v8
	s_and_saveexec_b64 s[20:21], s[14:15]
	s_cbranch_execnz .LBB64_1085
.LBB64_661:
	s_or_b64 exec, exec, s[20:21]
	v_cmp_gt_u32_e64 s[14:15], 24, v8
	s_and_saveexec_b64 s[20:21], s[14:15]
	s_cbranch_execnz .LBB64_1086
.LBB64_662:
	s_or_b64 exec, exec, s[20:21]
	s_and_saveexec_b64 s[14:15], s[18:19]
	s_cbranch_execnz .LBB64_1087
.LBB64_663:
	s_or_b64 exec, exec, s[14:15]
	v_cmp_gt_u32_e64 s[14:15], 8, v8
	s_and_saveexec_b64 s[20:21], s[14:15]
	s_cbranch_execz .LBB64_665
.LBB64_664:
	v_lshlrev_b32_e32 v18, 3, v0
	v_mov_b32_e32 v20, 0
	ds_read_b64 v[18:19], v18 offset:16000
	ds_read_b64 v[20:21], v20 offset:16120
	s_waitcnt lgkmcnt(0)
	v_mul_f32_e32 v22, v21, v19
	v_mul_f32_e32 v19, v20, v19
	v_fma_f32 v20, v20, v18, -v22
	v_fmac_f32_e32 v19, v21, v18
	v_add_f32_e32 v3, v3, v20
	v_add_f32_e32 v4, v4, v19
.LBB64_665:
	s_or_b64 exec, exec, s[20:21]
.LBB64_666:
	s_or_b64 exec, exec, s[16:17]
	s_and_saveexec_b64 s[14:15], s[52:53]
	s_cbranch_execz .LBB64_668
; %bb.667:
	v_mov_b32_e32 v18, 0
	ds_read_b64 v[18:19], v18 offset:11960
	s_waitcnt lgkmcnt(0)
	v_mul_f32_e32 v20, v4, v19
	v_mul_f32_e32 v21, v3, v19
	v_fma_f32 v3, v3, v18, -v20
	v_fmac_f32_e32 v21, v4, v18
	v_xor_b32_e32 v18, 0x80000000, v3
	v_xor_b32_e32 v19, 0x80000000, v21
	v_mov_b32_e32 v4, v21
	ds_write_b64 v14, v[18:19]
.LBB64_668:
	s_or_b64 exec, exec, s[14:15]
	s_waitcnt lgkmcnt(0)
	s_barrier
	s_and_saveexec_b64 s[14:15], s[54:55]
	s_cbranch_execz .LBB64_670
; %bb.669:
	v_lshlrev_b32_e32 v18, 3, v12
	ds_read_b64 v[18:19], v18 offset:11904
	ds_read_b64 v[20:21], v14
	s_waitcnt lgkmcnt(0)
	v_mul_f32_e32 v22, v21, v19
	v_mul_f32_e32 v19, v20, v19
	v_fma_f32 v20, v20, v18, -v22
	v_fmac_f32_e32 v19, v21, v18
	v_sub_f32_e32 v3, v3, v20
	v_sub_f32_e32 v4, v4, v19
.LBB64_670:
	s_or_b64 exec, exec, s[14:15]
	s_barrier
	s_and_saveexec_b64 s[14:15], s[56:57]
	s_cbranch_execz .LBB64_672
; %bb.671:
	v_mov_b32_e32 v18, 0
	ds_read_b64 v[18:19], v18 offset:11440
	s_waitcnt lgkmcnt(0)
	v_mul_f32_e32 v20, v4, v19
	v_mul_f32_e32 v21, v3, v19
	v_fma_f32 v3, v3, v18, -v20
	v_fmac_f32_e32 v21, v4, v18
	v_xor_b32_e32 v18, 0x80000000, v3
	v_xor_b32_e32 v19, 0x80000000, v21
	v_mov_b32_e32 v4, v21
	ds_write_b64 v14, v[18:19]
.LBB64_672:
	s_or_b64 exec, exec, s[14:15]
	s_waitcnt lgkmcnt(0)
	s_barrier
	s_and_saveexec_b64 s[14:15], s[58:59]
	s_cbranch_execz .LBB64_674
; %bb.673:
	v_lshlrev_b32_e32 v18, 3, v12
	ds_read_b64 v[18:19], v18 offset:11392
	ds_read_b64 v[20:21], v14
	s_waitcnt lgkmcnt(0)
	v_mul_f32_e32 v22, v21, v19
	v_mul_f32_e32 v19, v20, v19
	v_fma_f32 v20, v20, v18, -v22
	v_fmac_f32_e32 v19, v21, v18
	v_sub_f32_e32 v3, v3, v20
	v_sub_f32_e32 v4, v4, v19
.LBB64_674:
	s_or_b64 exec, exec, s[14:15]
	s_barrier
	;; [unrolled: 34-line block ×6, first 2 shown]
	s_and_saveexec_b64 s[14:15], s[76:77]
	s_cbranch_execz .LBB64_692
; %bb.691:
	v_mov_b32_e32 v18, 0
	ds_read_b64 v[18:19], v18 offset:8840
	s_waitcnt lgkmcnt(0)
	v_mul_f32_e32 v20, v4, v19
	v_mul_f32_e32 v21, v3, v19
	v_fma_f32 v3, v3, v18, -v20
	v_fmac_f32_e32 v21, v4, v18
	v_xor_b32_e32 v18, 0x80000000, v3
	v_xor_b32_e32 v19, 0x80000000, v21
	v_mov_b32_e32 v4, v21
	ds_write_b64 v14, v[18:19]
.LBB64_692:
	s_or_b64 exec, exec, s[14:15]
	s_waitcnt lgkmcnt(0)
	s_barrier
	s_and_saveexec_b64 s[14:15], s[50:51]
	s_cbranch_execz .LBB64_694
; %bb.693:
	v_mov_b32_e32 v18, 0
	ds_read_b64 v[18:19], v18 offset:8832
	ds_read_b64 v[20:21], v14
	s_waitcnt lgkmcnt(0)
	v_mul_f32_e32 v22, v21, v19
	v_mul_f32_e32 v19, v20, v19
	v_fma_f32 v20, v20, v18, -v22
	v_fmac_f32_e32 v19, v21, v18
	v_sub_f32_e32 v3, v3, v20
	v_sub_f32_e32 v4, v4, v19
.LBB64_694:
	s_or_b64 exec, exec, s[14:15]
	s_barrier
	s_and_saveexec_b64 s[14:15], s[50:51]
	s_cbranch_execz .LBB64_696
; %bb.695:
	v_mov_b32_e32 v18, 0
	ds_read_b64 v[18:19], v18 offset:8320
	s_waitcnt lgkmcnt(0)
	v_mul_f32_e32 v20, v4, v19
	v_mul_f32_e32 v21, v3, v19
	v_fma_f32 v3, v3, v18, -v20
	v_fmac_f32_e32 v21, v4, v18
	v_xor_b32_e32 v18, 0x80000000, v3
	v_xor_b32_e32 v19, 0x80000000, v21
	v_mov_b32_e32 v4, v21
	ds_write_b64 v14, v[18:19]
.LBB64_696:
	s_or_b64 exec, exec, s[14:15]
	s_waitcnt lgkmcnt(0)
	s_barrier
	s_barrier
	s_and_saveexec_b64 s[14:15], s[10:11]
; %bb.697:
	v_lshlrev_b32_e32 v18, 3, v12
	v_lshl_or_b32 v18, v13, 9, v18
	ds_write_b64 v18, v[3:4] offset:12416
; %bb.698:
	s_or_b64 exec, exec, s[14:15]
	s_waitcnt lgkmcnt(0)
	s_barrier
	s_barrier
	s_and_saveexec_b64 s[14:15], vcc
	s_cbranch_execz .LBB64_700
; %bb.699:
	s_movk_i32 s16, 0xb0
	v_mov_b32_e32 v22, 0
	v_add_u32_e64 v18, s16, 0
	ds_read_b64 v[3:4], v22 offset:11960
	ds_read2st64_b64 v[18:21], v18 offset0:22 offset1:23
	s_waitcnt lgkmcnt(0)
	v_mul_f32_e32 v23, v4, v19
	v_mul_f32_e32 v19, v3, v19
	v_fma_f32 v23, v3, v18, -v23
	v_fmac_f32_e32 v19, v4, v18
	v_mul_f32_e32 v3, v19, v21
	v_mul_f32_e32 v4, v23, v21
	v_fma_f32 v3, v23, v20, -v3
	v_fmac_f32_e32 v4, v19, v20
	ds_write_b64 v22, v[3:4] offset:11952
.LBB64_700:
	s_or_b64 exec, exec, s[14:15]
	v_mov_b32_e32 v3, 0
	v_mov_b32_e32 v4, 0
	s_waitcnt lgkmcnt(0)
	s_barrier
	buffer_wbinvl1_vol
	s_and_saveexec_b64 s[16:17], s[6:7]
	s_cbranch_execz .LBB64_704
; %bb.701:
	v_lshlrev_b32_e32 v3, 3, v5
	v_lshlrev_b32_e32 v18, 9, v6
	ds_read_b64 v[3:4], v3 offset:11424
	ds_read_b64 v[18:19], v18 offset:11440
	v_cmp_gt_u32_e64 s[14:15], 2, v8
	s_waitcnt lgkmcnt(0)
	v_mul_f32_e32 v20, v19, v4
	v_mul_f32_e32 v4, v18, v4
	v_fma_f32 v18, v18, v3, -v20
	v_fmac_f32_e32 v4, v19, v3
	v_add_f32_e32 v3, 0, v18
	v_add_f32_e32 v4, 0, v4
	s_and_saveexec_b64 s[20:21], s[14:15]
	s_cbranch_execz .LBB64_703
; %bb.702:
	v_lshlrev_b32_e32 v18, 3, v0
	v_mov_b32_e32 v20, 0
	ds_read_b64 v[18:19], v18 offset:11936
	ds_read_b64 v[20:21], v20 offset:11960
	s_waitcnt lgkmcnt(0)
	v_mul_f32_e32 v22, v21, v19
	v_mul_f32_e32 v19, v20, v19
	v_fma_f32 v20, v20, v18, -v22
	v_fmac_f32_e32 v19, v21, v18
	v_add_f32_e32 v3, v3, v20
	v_add_f32_e32 v4, v4, v19
.LBB64_703:
	s_or_b64 exec, exec, s[20:21]
.LBB64_704:
	s_or_b64 exec, exec, s[16:17]
	s_and_saveexec_b64 s[14:15], s[36:37]
	s_cbranch_execz .LBB64_706
; %bb.705:
	v_mov_b32_e32 v18, 0
	ds_read_b64 v[18:19], v18 offset:10920
	s_waitcnt lgkmcnt(0)
	v_mul_f32_e32 v20, v4, v19
	v_mul_f32_e32 v21, v3, v19
	v_fma_f32 v3, v3, v18, -v20
	v_fmac_f32_e32 v21, v4, v18
	v_xor_b32_e32 v18, 0x80000000, v3
	v_xor_b32_e32 v19, 0x80000000, v21
	v_mov_b32_e32 v4, v21
	ds_write_b64 v7, v[18:19]
.LBB64_706:
	s_or_b64 exec, exec, s[14:15]
	s_waitcnt lgkmcnt(0)
	s_barrier
	s_and_saveexec_b64 s[14:15], s[34:35]
	s_cbranch_execz .LBB64_708
; %bb.707:
	v_mov_b32_e32 v18, 0
	ds_read_b64 v[18:19], v18 offset:10912
	ds_read_b64 v[20:21], v7
	s_waitcnt lgkmcnt(0)
	v_mul_f32_e32 v22, v21, v19
	v_mul_f32_e32 v19, v20, v19
	v_fma_f32 v20, v20, v18, -v22
	v_fmac_f32_e32 v19, v21, v18
	v_sub_f32_e32 v3, v3, v20
	v_sub_f32_e32 v4, v4, v19
.LBB64_708:
	s_or_b64 exec, exec, s[14:15]
	s_barrier
	s_and_saveexec_b64 s[14:15], s[34:35]
	s_cbranch_execz .LBB64_710
; %bb.709:
	v_mov_b32_e32 v18, 0
	ds_read_b64 v[18:19], v18 offset:10400
	s_waitcnt lgkmcnt(0)
	v_mul_f32_e32 v20, v4, v19
	v_mul_f32_e32 v21, v3, v19
	v_fma_f32 v3, v3, v18, -v20
	v_fmac_f32_e32 v21, v4, v18
	v_xor_b32_e32 v18, 0x80000000, v3
	v_xor_b32_e32 v19, 0x80000000, v21
	v_mov_b32_e32 v4, v21
	ds_write_b64 v7, v[18:19]
.LBB64_710:
	s_or_b64 exec, exec, s[14:15]
	s_waitcnt lgkmcnt(0)
	s_barrier
	s_barrier
	s_and_saveexec_b64 s[14:15], s[6:7]
; %bb.711:
	v_lshlrev_b32_e32 v18, 3, v5
	v_lshl_or_b32 v18, v6, 9, v18
	ds_write_b64 v18, v[3:4] offset:11424
; %bb.712:
	s_or_b64 exec, exec, s[14:15]
	s_waitcnt lgkmcnt(0)
	s_barrier
	s_barrier
	s_and_saveexec_b64 s[14:15], vcc
	s_cbranch_execz .LBB64_714
; %bb.713:
	s_movk_i32 s16, 0xa0
	v_mov_b32_e32 v22, 0
	v_add_u32_e64 v18, s16, 0
	ds_read_b64 v[3:4], v22 offset:10920
	ds_read2st64_b64 v[18:21], v18 offset0:20 offset1:21
	s_waitcnt lgkmcnt(0)
	v_mul_f32_e32 v23, v4, v19
	v_mul_f32_e32 v19, v3, v19
	v_fma_f32 v23, v3, v18, -v23
	v_fmac_f32_e32 v19, v4, v18
	v_mul_f32_e32 v3, v19, v21
	v_mul_f32_e32 v4, v23, v21
	v_fma_f32 v3, v23, v20, -v3
	v_fmac_f32_e32 v4, v19, v20
	ds_write_b64 v22, v[3:4] offset:10912
.LBB64_714:
	s_or_b64 exec, exec, s[14:15]
	v_mov_b32_e32 v4, 0
	v_mov_b32_e32 v3, 0
	s_waitcnt lgkmcnt(0)
	s_barrier
	buffer_wbinvl1_vol
	s_and_saveexec_b64 s[16:17], s[18:19]
	s_cbranch_execz .LBB64_720
; %bb.715:
	v_lshlrev_b32_e32 v18, 3, v9
	v_lshlrev_b32_e32 v19, 9, v10
	ds_read_b64 v[3:4], v18 offset:10368
	ds_read_b64 v[20:21], v19 offset:10400
	v_cmp_gt_u32_e64 s[14:15], 12, v8
	s_waitcnt lgkmcnt(0)
	v_mul_f32_e32 v22, v21, v4
	v_mul_f32_e32 v4, v20, v4
	v_fma_f32 v20, v20, v3, -v22
	v_fmac_f32_e32 v4, v21, v3
	v_add_f32_e32 v3, 0, v20
	v_add_f32_e32 v4, 0, v4
	s_and_saveexec_b64 s[20:21], s[14:15]
	s_cbranch_execnz .LBB64_1088
; %bb.716:
	s_or_b64 exec, exec, s[20:21]
	v_cmp_gt_u32_e64 s[14:15], 8, v8
	s_and_saveexec_b64 s[20:21], s[14:15]
	s_cbranch_execnz .LBB64_1089
.LBB64_717:
	s_or_b64 exec, exec, s[20:21]
	v_cmp_gt_u32_e64 s[14:15], 4, v8
	s_and_saveexec_b64 s[20:21], s[14:15]
	s_cbranch_execz .LBB64_719
.LBB64_718:
	v_lshlrev_b32_e32 v18, 3, v0
	v_mov_b32_e32 v20, 0
	ds_read_b64 v[18:19], v18 offset:11904
	ds_read_b64 v[20:21], v20 offset:11960
	s_waitcnt lgkmcnt(0)
	v_mul_f32_e32 v22, v21, v19
	v_mul_f32_e32 v19, v20, v19
	v_fma_f32 v20, v20, v18, -v22
	v_fmac_f32_e32 v19, v21, v18
	v_add_f32_e32 v3, v3, v20
	v_add_f32_e32 v4, v4, v19
.LBB64_719:
	s_or_b64 exec, exec, s[20:21]
.LBB64_720:
	s_or_b64 exec, exec, s[16:17]
	s_and_saveexec_b64 s[14:15], s[40:41]
	s_cbranch_execz .LBB64_722
; %bb.721:
	v_mov_b32_e32 v18, 0
	ds_read_b64 v[18:19], v18 offset:9880
	s_waitcnt lgkmcnt(0)
	v_mul_f32_e32 v20, v4, v19
	v_mul_f32_e32 v21, v3, v19
	v_fma_f32 v3, v3, v18, -v20
	v_fmac_f32_e32 v21, v4, v18
	v_xor_b32_e32 v18, 0x80000000, v3
	v_xor_b32_e32 v19, 0x80000000, v21
	v_mov_b32_e32 v4, v21
	ds_write_b64 v11, v[18:19]
.LBB64_722:
	s_or_b64 exec, exec, s[14:15]
	s_waitcnt lgkmcnt(0)
	s_barrier
	s_and_saveexec_b64 s[14:15], s[42:43]
	s_cbranch_execz .LBB64_724
; %bb.723:
	v_lshlrev_b32_e32 v18, 3, v9
	ds_read_b64 v[18:19], v18 offset:9856
	ds_read_b64 v[20:21], v11
	s_waitcnt lgkmcnt(0)
	v_mul_f32_e32 v22, v21, v19
	v_mul_f32_e32 v19, v20, v19
	v_fma_f32 v20, v20, v18, -v22
	v_fmac_f32_e32 v19, v21, v18
	v_sub_f32_e32 v3, v3, v20
	v_sub_f32_e32 v4, v4, v19
.LBB64_724:
	s_or_b64 exec, exec, s[14:15]
	s_barrier
	s_and_saveexec_b64 s[14:15], s[44:45]
	s_cbranch_execz .LBB64_726
; %bb.725:
	v_mov_b32_e32 v18, 0
	ds_read_b64 v[18:19], v18 offset:9360
	s_waitcnt lgkmcnt(0)
	v_mul_f32_e32 v20, v4, v19
	v_mul_f32_e32 v21, v3, v19
	v_fma_f32 v3, v3, v18, -v20
	v_fmac_f32_e32 v21, v4, v18
	v_xor_b32_e32 v18, 0x80000000, v3
	v_xor_b32_e32 v19, 0x80000000, v21
	v_mov_b32_e32 v4, v21
	ds_write_b64 v11, v[18:19]
.LBB64_726:
	s_or_b64 exec, exec, s[14:15]
	s_waitcnt lgkmcnt(0)
	s_barrier
	s_and_saveexec_b64 s[14:15], s[46:47]
	s_cbranch_execz .LBB64_728
; %bb.727:
	v_lshlrev_b32_e32 v18, 3, v9
	ds_read_b64 v[18:19], v18 offset:9344
	ds_read_b64 v[20:21], v11
	s_waitcnt lgkmcnt(0)
	v_mul_f32_e32 v22, v21, v19
	v_mul_f32_e32 v19, v20, v19
	v_fma_f32 v20, v20, v18, -v22
	v_fmac_f32_e32 v19, v21, v18
	v_sub_f32_e32 v3, v3, v20
	v_sub_f32_e32 v4, v4, v19
.LBB64_728:
	s_or_b64 exec, exec, s[14:15]
	s_barrier
	s_and_saveexec_b64 s[14:15], s[48:49]
	s_cbranch_execz .LBB64_730
; %bb.729:
	v_mov_b32_e32 v18, 0
	ds_read_b64 v[18:19], v18 offset:8840
	s_waitcnt lgkmcnt(0)
	v_mul_f32_e32 v20, v4, v19
	v_mul_f32_e32 v21, v3, v19
	v_fma_f32 v3, v3, v18, -v20
	v_fmac_f32_e32 v21, v4, v18
	v_xor_b32_e32 v18, 0x80000000, v3
	v_xor_b32_e32 v19, 0x80000000, v21
	v_mov_b32_e32 v4, v21
	ds_write_b64 v11, v[18:19]
.LBB64_730:
	s_or_b64 exec, exec, s[14:15]
	s_waitcnt lgkmcnt(0)
	s_barrier
	s_and_saveexec_b64 s[14:15], s[38:39]
	s_cbranch_execz .LBB64_732
; %bb.731:
	v_mov_b32_e32 v18, 0
	ds_read_b64 v[18:19], v18 offset:8832
	ds_read_b64 v[20:21], v11
	s_waitcnt lgkmcnt(0)
	v_mul_f32_e32 v22, v21, v19
	v_mul_f32_e32 v19, v20, v19
	v_fma_f32 v20, v20, v18, -v22
	v_fmac_f32_e32 v19, v21, v18
	v_sub_f32_e32 v3, v3, v20
	v_sub_f32_e32 v4, v4, v19
.LBB64_732:
	s_or_b64 exec, exec, s[14:15]
	s_barrier
	s_and_saveexec_b64 s[14:15], s[38:39]
	s_cbranch_execz .LBB64_734
; %bb.733:
	v_mov_b32_e32 v18, 0
	ds_read_b64 v[18:19], v18 offset:8320
	s_waitcnt lgkmcnt(0)
	v_mul_f32_e32 v20, v4, v19
	v_mul_f32_e32 v21, v3, v19
	v_fma_f32 v3, v3, v18, -v20
	v_fmac_f32_e32 v21, v4, v18
	v_xor_b32_e32 v18, 0x80000000, v3
	v_xor_b32_e32 v19, 0x80000000, v21
	v_mov_b32_e32 v4, v21
	ds_write_b64 v11, v[18:19]
.LBB64_734:
	s_or_b64 exec, exec, s[14:15]
	s_waitcnt lgkmcnt(0)
	s_barrier
	s_barrier
	s_and_saveexec_b64 s[14:15], s[18:19]
; %bb.735:
	v_lshlrev_b32_e32 v18, 3, v9
	v_lshl_or_b32 v18, v10, 9, v18
	ds_write_b64 v18, v[3:4] offset:10368
; %bb.736:
	s_or_b64 exec, exec, s[14:15]
	s_waitcnt lgkmcnt(0)
	s_barrier
	s_barrier
	s_and_saveexec_b64 s[14:15], vcc
	s_cbranch_execz .LBB64_738
; %bb.737:
	s_movk_i32 s16, 0x90
	v_mov_b32_e32 v22, 0
	v_add_u32_e64 v18, s16, 0
	ds_read_b64 v[3:4], v22 offset:9880
	ds_read2st64_b64 v[18:21], v18 offset0:18 offset1:19
	s_waitcnt lgkmcnt(0)
	v_mul_f32_e32 v23, v4, v19
	v_mul_f32_e32 v19, v3, v19
	v_fma_f32 v23, v3, v18, -v23
	v_fmac_f32_e32 v19, v4, v18
	v_mul_f32_e32 v3, v19, v21
	v_mul_f32_e32 v4, v23, v21
	v_fma_f32 v3, v23, v20, -v3
	v_fmac_f32_e32 v4, v19, v20
	ds_write_b64 v22, v[3:4] offset:9872
.LBB64_738:
	s_or_b64 exec, exec, s[14:15]
	v_mov_b32_e32 v3, 0
	v_mov_b32_e32 v4, 0
	s_waitcnt lgkmcnt(0)
	s_barrier
	buffer_wbinvl1_vol
	s_and_saveexec_b64 s[16:17], s[6:7]
	s_cbranch_execz .LBB64_742
; %bb.739:
	v_lshlrev_b32_e32 v3, 3, v5
	v_lshlrev_b32_e32 v18, 9, v6
	ds_read_b64 v[3:4], v3 offset:9344
	ds_read_b64 v[18:19], v18 offset:9360
	v_cmp_gt_u32_e64 s[14:15], 2, v8
	s_waitcnt lgkmcnt(0)
	v_mul_f32_e32 v20, v19, v4
	v_mul_f32_e32 v4, v18, v4
	v_fma_f32 v18, v18, v3, -v20
	v_fmac_f32_e32 v4, v19, v3
	v_add_f32_e32 v3, 0, v18
	v_add_f32_e32 v4, 0, v4
	s_and_saveexec_b64 s[20:21], s[14:15]
	s_cbranch_execz .LBB64_741
; %bb.740:
	v_lshlrev_b32_e32 v18, 3, v0
	v_mov_b32_e32 v20, 0
	ds_read_b64 v[18:19], v18 offset:9856
	ds_read_b64 v[20:21], v20 offset:9880
	s_waitcnt lgkmcnt(0)
	v_mul_f32_e32 v22, v21, v19
	v_mul_f32_e32 v19, v20, v19
	v_fma_f32 v20, v20, v18, -v22
	v_fmac_f32_e32 v19, v21, v18
	v_add_f32_e32 v3, v3, v20
	v_add_f32_e32 v4, v4, v19
.LBB64_741:
	s_or_b64 exec, exec, s[20:21]
.LBB64_742:
	s_or_b64 exec, exec, s[16:17]
	s_and_saveexec_b64 s[14:15], s[36:37]
	s_cbranch_execz .LBB64_744
; %bb.743:
	v_mov_b32_e32 v18, 0
	ds_read_b64 v[18:19], v18 offset:8840
	s_waitcnt lgkmcnt(0)
	v_mul_f32_e32 v20, v4, v19
	v_mul_f32_e32 v21, v3, v19
	v_fma_f32 v3, v3, v18, -v20
	v_fmac_f32_e32 v21, v4, v18
	v_xor_b32_e32 v18, 0x80000000, v3
	v_xor_b32_e32 v19, 0x80000000, v21
	v_mov_b32_e32 v4, v21
	ds_write_b64 v7, v[18:19]
.LBB64_744:
	s_or_b64 exec, exec, s[14:15]
	s_waitcnt lgkmcnt(0)
	s_barrier
	s_and_saveexec_b64 s[14:15], s[34:35]
	s_cbranch_execz .LBB64_746
; %bb.745:
	v_mov_b32_e32 v18, 0
	ds_read_b64 v[18:19], v18 offset:8832
	ds_read_b64 v[20:21], v7
	s_waitcnt lgkmcnt(0)
	v_mul_f32_e32 v22, v21, v19
	v_mul_f32_e32 v19, v20, v19
	v_fma_f32 v20, v20, v18, -v22
	v_fmac_f32_e32 v19, v21, v18
	v_sub_f32_e32 v3, v3, v20
	v_sub_f32_e32 v4, v4, v19
.LBB64_746:
	s_or_b64 exec, exec, s[14:15]
	s_barrier
	s_and_saveexec_b64 s[14:15], s[34:35]
	s_cbranch_execz .LBB64_748
; %bb.747:
	v_mov_b32_e32 v18, 0
	ds_read_b64 v[18:19], v18 offset:8320
	s_waitcnt lgkmcnt(0)
	v_mul_f32_e32 v20, v4, v19
	v_mul_f32_e32 v21, v3, v19
	v_fma_f32 v3, v3, v18, -v20
	v_fmac_f32_e32 v21, v4, v18
	v_xor_b32_e32 v18, 0x80000000, v3
	v_xor_b32_e32 v19, 0x80000000, v21
	v_mov_b32_e32 v4, v21
	ds_write_b64 v7, v[18:19]
.LBB64_748:
	s_or_b64 exec, exec, s[14:15]
	s_waitcnt lgkmcnt(0)
	s_barrier
	s_barrier
	s_and_saveexec_b64 s[14:15], s[6:7]
; %bb.749:
	v_lshlrev_b32_e32 v18, 3, v5
	v_lshl_or_b32 v18, v6, 9, v18
	ds_write_b64 v18, v[3:4] offset:9344
; %bb.750:
	s_or_b64 exec, exec, s[14:15]
	s_waitcnt lgkmcnt(0)
	s_barrier
	s_barrier
	s_and_saveexec_b64 s[14:15], vcc
	s_cbranch_execz .LBB64_752
; %bb.751:
	s_movk_i32 s16, 0x80
	v_mov_b32_e32 v22, 0
	v_add_u32_e64 v18, s16, 0
	ds_read_b64 v[3:4], v22 offset:8840
	ds_read2st64_b64 v[18:21], v18 offset0:16 offset1:17
	s_waitcnt lgkmcnt(0)
	v_mul_f32_e32 v23, v4, v19
	v_mul_f32_e32 v19, v3, v19
	v_fma_f32 v23, v3, v18, -v23
	v_fmac_f32_e32 v19, v4, v18
	v_mul_f32_e32 v3, v19, v21
	v_mul_f32_e32 v4, v23, v21
	v_fma_f32 v3, v23, v20, -v3
	v_fmac_f32_e32 v4, v19, v20
	ds_write_b64 v22, v[3:4] offset:8832
.LBB64_752:
	s_or_b64 exec, exec, s[14:15]
	v_mov_b32_e32 v4, 0
	v_mov_b32_e32 v3, 0
	s_waitcnt lgkmcnt(0)
	s_barrier
	buffer_wbinvl1_vol
	s_and_saveexec_b64 s[16:17], s[12:13]
	s_cbranch_execz .LBB64_780
; %bb.753:
	v_lshlrev_b32_e32 v18, 3, v15
	v_lshlrev_b32_e32 v19, 9, v16
	ds_read_b64 v[3:4], v18 offset:8192
	ds_read_b64 v[20:21], v19 offset:8320
	s_movk_i32 s14, 0xf0
	v_cmp_gt_u32_e64 s[14:15], s14, v8
	s_waitcnt lgkmcnt(0)
	v_mul_f32_e32 v22, v21, v4
	v_mul_f32_e32 v4, v20, v4
	v_fma_f32 v20, v20, v3, -v22
	v_fmac_f32_e32 v4, v21, v3
	v_add_f32_e32 v3, 0, v20
	v_add_f32_e32 v4, 0, v4
	s_and_saveexec_b64 s[20:21], s[14:15]
	s_cbranch_execz .LBB64_755
; %bb.754:
	ds_read_b64 v[20:21], v18 offset:8704
	ds_read_b64 v[22:23], v19 offset:8328
	s_waitcnt lgkmcnt(0)
	v_mul_f32_e32 v24, v23, v21
	v_mul_f32_e32 v21, v22, v21
	v_fma_f32 v22, v22, v20, -v24
	v_fmac_f32_e32 v21, v23, v20
	v_add_f32_e32 v3, v3, v22
	v_add_f32_e32 v4, v4, v21
.LBB64_755:
	s_or_b64 exec, exec, s[20:21]
	s_movk_i32 s14, 0xe0
	v_cmp_gt_u32_e64 s[14:15], s14, v8
	s_and_saveexec_b64 s[20:21], s[14:15]
	s_cbranch_execz .LBB64_757
; %bb.756:
	ds_read_b64 v[20:21], v18 offset:9216
	ds_read_b64 v[22:23], v19 offset:8336
	s_waitcnt lgkmcnt(0)
	v_mul_f32_e32 v24, v23, v21
	v_mul_f32_e32 v21, v22, v21
	v_fma_f32 v22, v22, v20, -v24
	v_fmac_f32_e32 v21, v23, v20
	v_add_f32_e32 v3, v3, v22
	v_add_f32_e32 v4, v4, v21
.LBB64_757:
	s_or_b64 exec, exec, s[20:21]
	s_movk_i32 s14, 0xd0
	v_cmp_gt_u32_e64 s[14:15], s14, v8
	;; [unrolled: 16-line block ×10, first 2 shown]
	s_and_saveexec_b64 s[20:21], s[14:15]
	s_cbranch_execnz .LBB64_1090
; %bb.774:
	s_or_b64 exec, exec, s[20:21]
	s_and_saveexec_b64 s[14:15], s[10:11]
	s_cbranch_execnz .LBB64_1091
.LBB64_775:
	s_or_b64 exec, exec, s[14:15]
	v_cmp_gt_u32_e64 s[14:15], 48, v8
	s_and_saveexec_b64 s[20:21], s[14:15]
	s_cbranch_execnz .LBB64_1092
.LBB64_776:
	s_or_b64 exec, exec, s[20:21]
	v_cmp_gt_u32_e64 s[14:15], 32, v8
	s_and_saveexec_b64 s[20:21], s[14:15]
	s_cbranch_execnz .LBB64_1093
.LBB64_777:
	s_or_b64 exec, exec, s[20:21]
	v_cmp_gt_u32_e64 s[14:15], 16, v8
	s_and_saveexec_b64 s[20:21], s[14:15]
	s_cbranch_execz .LBB64_779
.LBB64_778:
	v_lshlrev_b32_e32 v18, 3, v0
	v_mov_b32_e32 v20, 0
	ds_read_b64 v[18:19], v18 offset:15872
	ds_read_b64 v[20:21], v20 offset:16120
	s_waitcnt lgkmcnt(0)
	v_mul_f32_e32 v22, v21, v19
	v_mul_f32_e32 v19, v20, v19
	v_fma_f32 v20, v20, v18, -v22
	v_fmac_f32_e32 v19, v21, v18
	v_add_f32_e32 v3, v3, v20
	v_add_f32_e32 v4, v4, v19
.LBB64_779:
	s_or_b64 exec, exec, s[20:21]
.LBB64_780:
	s_or_b64 exec, exec, s[16:17]
	s_mov_b64 s[14:15], exec
	v_readlane_b32 s16, v30, 1
	v_readlane_b32 s17, v30, 2
	s_and_b64 s[16:17], s[14:15], s[16:17]
	s_mov_b64 exec, s[16:17]
	s_cbranch_execz .LBB64_782
; %bb.781:
	v_mov_b32_e32 v18, 0
	ds_read_b64 v[18:19], v18 offset:7800
	s_waitcnt lgkmcnt(0)
	v_mul_f32_e32 v20, v4, v19
	v_mul_f32_e32 v21, v3, v19
	v_fma_f32 v3, v3, v18, -v20
	v_fmac_f32_e32 v21, v4, v18
	v_xor_b32_e32 v18, 0x80000000, v3
	v_xor_b32_e32 v19, 0x80000000, v21
	v_mov_b32_e32 v4, v21
	ds_write_b64 v17, v[18:19]
.LBB64_782:
	s_or_b64 exec, exec, s[14:15]
	s_waitcnt lgkmcnt(0)
	s_barrier
	s_mov_b64 s[14:15], exec
	v_readlane_b32 s16, v30, 3
	v_readlane_b32 s17, v30, 4
	s_and_b64 s[16:17], s[14:15], s[16:17]
	s_mov_b64 exec, s[16:17]
	s_cbranch_execz .LBB64_784
; %bb.783:
	v_lshlrev_b32_e32 v18, 3, v15
	ds_read_b64 v[18:19], v18 offset:7680
	ds_read_b64 v[20:21], v17
	s_waitcnt lgkmcnt(0)
	v_mul_f32_e32 v22, v21, v19
	v_mul_f32_e32 v19, v20, v19
	v_fma_f32 v20, v20, v18, -v22
	v_fmac_f32_e32 v19, v21, v18
	v_sub_f32_e32 v3, v3, v20
	v_sub_f32_e32 v4, v4, v19
.LBB64_784:
	s_or_b64 exec, exec, s[14:15]
	s_barrier
	s_mov_b64 s[14:15], exec
	v_readlane_b32 s16, v30, 5
	v_readlane_b32 s17, v30, 6
	s_and_b64 s[16:17], s[14:15], s[16:17]
	s_mov_b64 exec, s[16:17]
	s_cbranch_execz .LBB64_786
; %bb.785:
	v_mov_b32_e32 v18, 0
	ds_read_b64 v[18:19], v18 offset:7280
	s_waitcnt lgkmcnt(0)
	v_mul_f32_e32 v20, v4, v19
	v_mul_f32_e32 v21, v3, v19
	v_fma_f32 v3, v3, v18, -v20
	v_fmac_f32_e32 v21, v4, v18
	v_xor_b32_e32 v18, 0x80000000, v3
	v_xor_b32_e32 v19, 0x80000000, v21
	v_mov_b32_e32 v4, v21
	ds_write_b64 v17, v[18:19]
.LBB64_786:
	s_or_b64 exec, exec, s[14:15]
	s_waitcnt lgkmcnt(0)
	s_barrier
	s_mov_b64 s[14:15], exec
	v_readlane_b32 s16, v30, 7
	v_readlane_b32 s17, v30, 8
	s_and_b64 s[16:17], s[14:15], s[16:17]
	s_mov_b64 exec, s[16:17]
	s_cbranch_execz .LBB64_788
; %bb.787:
	v_lshlrev_b32_e32 v18, 3, v15
	ds_read_b64 v[18:19], v18 offset:7168
	ds_read_b64 v[20:21], v17
	s_waitcnt lgkmcnt(0)
	v_mul_f32_e32 v22, v21, v19
	v_mul_f32_e32 v19, v20, v19
	v_fma_f32 v20, v20, v18, -v22
	v_fmac_f32_e32 v19, v21, v18
	v_sub_f32_e32 v3, v3, v20
	v_sub_f32_e32 v4, v4, v19
.LBB64_788:
	s_or_b64 exec, exec, s[14:15]
	s_barrier
	;; [unrolled: 42-line block ×11, first 2 shown]
	s_mov_b64 s[14:15], exec
	v_readlane_b32 s16, v30, 45
	v_readlane_b32 s17, v30, 46
	s_and_b64 s[16:17], s[14:15], s[16:17]
	s_mov_b64 exec, s[16:17]
	s_cbranch_execz .LBB64_826
; %bb.825:
	v_mov_b32_e32 v18, 0
	ds_read_b64 v[18:19], v18 offset:2080
	s_waitcnt lgkmcnt(0)
	v_mul_f32_e32 v20, v4, v19
	v_mul_f32_e32 v21, v3, v19
	v_fma_f32 v3, v3, v18, -v20
	v_fmac_f32_e32 v21, v4, v18
	v_xor_b32_e32 v18, 0x80000000, v3
	v_xor_b32_e32 v19, 0x80000000, v21
	v_mov_b32_e32 v4, v21
	ds_write_b64 v17, v[18:19]
.LBB64_826:
	s_or_b64 exec, exec, s[14:15]
	s_waitcnt lgkmcnt(0)
	s_barrier
	s_and_saveexec_b64 s[14:15], s[78:79]
	s_cbranch_execz .LBB64_828
; %bb.827:
	v_lshlrev_b32_e32 v18, 3, v15
	ds_read_b64 v[18:19], v18 offset:2048
	ds_read_b64 v[20:21], v17
	s_waitcnt lgkmcnt(0)
	v_mul_f32_e32 v22, v21, v19
	v_mul_f32_e32 v19, v20, v19
	v_fma_f32 v20, v20, v18, -v22
	v_fmac_f32_e32 v19, v21, v18
	v_sub_f32_e32 v3, v3, v20
	v_sub_f32_e32 v4, v4, v19
.LBB64_828:
	s_or_b64 exec, exec, s[14:15]
	s_barrier
	s_and_saveexec_b64 s[14:15], s[84:85]
	s_cbranch_execz .LBB64_830
; %bb.829:
	v_mov_b32_e32 v18, 0
	ds_read_b64 v[18:19], v18 offset:1560
	s_waitcnt lgkmcnt(0)
	v_mul_f32_e32 v20, v4, v19
	v_mul_f32_e32 v21, v3, v19
	v_fma_f32 v3, v3, v18, -v20
	v_fmac_f32_e32 v21, v4, v18
	v_xor_b32_e32 v18, 0x80000000, v3
	v_xor_b32_e32 v19, 0x80000000, v21
	v_mov_b32_e32 v4, v21
	ds_write_b64 v17, v[18:19]
.LBB64_830:
	s_or_b64 exec, exec, s[14:15]
	s_waitcnt lgkmcnt(0)
	s_barrier
	s_and_saveexec_b64 s[14:15], s[86:87]
	s_cbranch_execz .LBB64_832
; %bb.831:
	v_lshlrev_b32_e32 v18, 3, v15
	ds_read_b64 v[18:19], v18 offset:1536
	ds_read_b64 v[20:21], v17
	s_waitcnt lgkmcnt(0)
	v_mul_f32_e32 v22, v21, v19
	v_mul_f32_e32 v19, v20, v19
	v_fma_f32 v20, v20, v18, -v22
	v_fmac_f32_e32 v19, v21, v18
	v_sub_f32_e32 v3, v3, v20
	v_sub_f32_e32 v4, v4, v19
.LBB64_832:
	s_or_b64 exec, exec, s[14:15]
	s_barrier
	s_and_saveexec_b64 s[14:15], s[88:89]
	;; [unrolled: 34-line block ×3, first 2 shown]
	s_cbranch_execz .LBB64_838
; %bb.837:
	v_mov_b32_e32 v18, 0
	ds_read_b64 v[18:19], v18 offset:520
	s_waitcnt lgkmcnt(0)
	v_mul_f32_e32 v20, v4, v19
	v_mul_f32_e32 v21, v3, v19
	v_fma_f32 v3, v3, v18, -v20
	v_fmac_f32_e32 v21, v4, v18
	v_xor_b32_e32 v18, 0x80000000, v3
	v_xor_b32_e32 v19, 0x80000000, v21
	v_mov_b32_e32 v4, v21
	ds_write_b64 v17, v[18:19]
.LBB64_838:
	s_or_b64 exec, exec, s[14:15]
	s_waitcnt lgkmcnt(0)
	s_barrier
	s_and_saveexec_b64 s[14:15], s[96:97]
	s_cbranch_execz .LBB64_840
; %bb.839:
	v_mov_b32_e32 v18, 0
	ds_read_b64 v[18:19], v18 offset:512
	ds_read_b64 v[20:21], v17
	s_waitcnt lgkmcnt(0)
	v_mul_f32_e32 v22, v21, v19
	v_mul_f32_e32 v19, v20, v19
	v_fma_f32 v20, v20, v18, -v22
	v_fmac_f32_e32 v19, v21, v18
	v_sub_f32_e32 v3, v3, v20
	v_sub_f32_e32 v4, v4, v19
.LBB64_840:
	s_or_b64 exec, exec, s[14:15]
	s_barrier
	s_and_saveexec_b64 s[14:15], s[96:97]
	s_cbranch_execz .LBB64_842
; %bb.841:
	v_mov_b32_e32 v18, 0
	ds_read_b64 v[18:19], v18
	s_waitcnt lgkmcnt(0)
	v_mul_f32_e32 v20, v4, v19
	v_mul_f32_e32 v21, v3, v19
	v_fma_f32 v3, v3, v18, -v20
	v_fmac_f32_e32 v21, v4, v18
	v_xor_b32_e32 v18, 0x80000000, v3
	v_xor_b32_e32 v19, 0x80000000, v21
	v_mov_b32_e32 v4, v21
	ds_write_b64 v17, v[18:19]
.LBB64_842:
	s_or_b64 exec, exec, s[14:15]
	s_waitcnt lgkmcnt(0)
	s_barrier
	s_barrier
	s_and_saveexec_b64 s[14:15], s[12:13]
; %bb.843:
	v_lshlrev_b32_e32 v15, 3, v15
	v_lshl_or_b32 v15, v16, 9, v15
	ds_write_b64 v15, v[3:4] offset:8192
; %bb.844:
	s_or_b64 exec, exec, s[14:15]
	s_waitcnt lgkmcnt(0)
	s_barrier
	s_barrier
	s_and_saveexec_b64 s[12:13], vcc
	s_cbranch_execz .LBB64_846
; %bb.845:
	s_movk_i32 s14, 0x70
	v_mov_b32_e32 v19, 0
	v_add_u32_e64 v15, s14, 0
	ds_read_b64 v[3:4], v19 offset:7800
	ds_read2st64_b64 v[15:18], v15 offset0:14 offset1:15
	s_waitcnt lgkmcnt(0)
	v_mul_f32_e32 v20, v4, v16
	v_mul_f32_e32 v16, v3, v16
	v_fma_f32 v20, v3, v15, -v20
	v_fmac_f32_e32 v16, v4, v15
	v_mul_f32_e32 v3, v16, v18
	v_mul_f32_e32 v4, v20, v18
	v_fma_f32 v3, v20, v17, -v3
	v_fmac_f32_e32 v4, v16, v17
	ds_write_b64 v19, v[3:4] offset:7792
.LBB64_846:
	s_or_b64 exec, exec, s[12:13]
	v_mov_b32_e32 v3, 0
	v_mov_b32_e32 v4, 0
	s_waitcnt lgkmcnt(0)
	s_barrier
	buffer_wbinvl1_vol
	s_and_saveexec_b64 s[14:15], s[6:7]
	s_cbranch_execz .LBB64_850
; %bb.847:
	v_lshlrev_b32_e32 v3, 3, v5
	v_lshlrev_b32_e32 v15, 9, v6
	ds_read_b64 v[3:4], v3 offset:7264
	ds_read_b64 v[15:16], v15 offset:7280
	v_cmp_gt_u32_e64 s[12:13], 2, v8
	s_waitcnt lgkmcnt(0)
	v_mul_f32_e32 v17, v16, v4
	v_mul_f32_e32 v4, v15, v4
	v_fma_f32 v15, v15, v3, -v17
	v_fmac_f32_e32 v4, v16, v3
	v_add_f32_e32 v3, 0, v15
	v_add_f32_e32 v4, 0, v4
	s_and_saveexec_b64 s[16:17], s[12:13]
	s_cbranch_execz .LBB64_849
; %bb.848:
	v_lshlrev_b32_e32 v15, 3, v0
	v_mov_b32_e32 v17, 0
	ds_read_b64 v[15:16], v15 offset:7776
	ds_read_b64 v[17:18], v17 offset:7800
	s_waitcnt lgkmcnt(0)
	v_mul_f32_e32 v19, v18, v16
	v_mul_f32_e32 v16, v17, v16
	v_fma_f32 v17, v17, v15, -v19
	v_fmac_f32_e32 v16, v18, v15
	v_add_f32_e32 v3, v3, v17
	v_add_f32_e32 v4, v4, v16
.LBB64_849:
	s_or_b64 exec, exec, s[16:17]
.LBB64_850:
	s_or_b64 exec, exec, s[14:15]
	s_and_saveexec_b64 s[12:13], s[36:37]
	s_cbranch_execz .LBB64_852
; %bb.851:
	v_mov_b32_e32 v15, 0
	ds_read_b64 v[15:16], v15 offset:6760
	s_waitcnt lgkmcnt(0)
	v_mul_f32_e32 v17, v4, v16
	v_mul_f32_e32 v18, v3, v16
	v_fma_f32 v3, v3, v15, -v17
	v_fmac_f32_e32 v18, v4, v15
	v_xor_b32_e32 v15, 0x80000000, v3
	v_xor_b32_e32 v16, 0x80000000, v18
	v_mov_b32_e32 v4, v18
	ds_write_b64 v7, v[15:16]
.LBB64_852:
	s_or_b64 exec, exec, s[12:13]
	s_waitcnt lgkmcnt(0)
	s_barrier
	s_and_saveexec_b64 s[12:13], s[34:35]
	s_cbranch_execz .LBB64_854
; %bb.853:
	v_mov_b32_e32 v15, 0
	ds_read_b64 v[15:16], v15 offset:6752
	ds_read_b64 v[17:18], v7
	s_waitcnt lgkmcnt(0)
	v_mul_f32_e32 v19, v18, v16
	v_mul_f32_e32 v16, v17, v16
	v_fma_f32 v17, v17, v15, -v19
	v_fmac_f32_e32 v16, v18, v15
	v_sub_f32_e32 v3, v3, v17
	v_sub_f32_e32 v4, v4, v16
.LBB64_854:
	s_or_b64 exec, exec, s[12:13]
	s_barrier
	s_and_saveexec_b64 s[12:13], s[34:35]
	s_cbranch_execz .LBB64_856
; %bb.855:
	v_mov_b32_e32 v15, 0
	ds_read_b64 v[15:16], v15 offset:6240
	s_waitcnt lgkmcnt(0)
	v_mul_f32_e32 v17, v4, v16
	v_mul_f32_e32 v18, v3, v16
	v_fma_f32 v3, v3, v15, -v17
	v_fmac_f32_e32 v18, v4, v15
	v_xor_b32_e32 v15, 0x80000000, v3
	v_xor_b32_e32 v16, 0x80000000, v18
	v_mov_b32_e32 v4, v18
	ds_write_b64 v7, v[15:16]
.LBB64_856:
	s_or_b64 exec, exec, s[12:13]
	s_waitcnt lgkmcnt(0)
	s_barrier
	s_barrier
	s_and_saveexec_b64 s[12:13], s[6:7]
; %bb.857:
	v_lshlrev_b32_e32 v15, 3, v5
	v_lshl_or_b32 v15, v6, 9, v15
	ds_write_b64 v15, v[3:4] offset:7264
; %bb.858:
	s_or_b64 exec, exec, s[12:13]
	s_waitcnt lgkmcnt(0)
	s_barrier
	s_barrier
	s_and_saveexec_b64 s[12:13], vcc
	s_cbranch_execz .LBB64_860
; %bb.859:
	s_movk_i32 s14, 0x60
	v_mov_b32_e32 v19, 0
	v_add_u32_e64 v15, s14, 0
	ds_read_b64 v[3:4], v19 offset:6760
	ds_read2st64_b64 v[15:18], v15 offset0:12 offset1:13
	s_waitcnt lgkmcnt(0)
	v_mul_f32_e32 v20, v4, v16
	v_mul_f32_e32 v16, v3, v16
	v_fma_f32 v20, v3, v15, -v20
	v_fmac_f32_e32 v16, v4, v15
	v_mul_f32_e32 v3, v16, v18
	v_mul_f32_e32 v4, v20, v18
	v_fma_f32 v3, v20, v17, -v3
	v_fmac_f32_e32 v4, v16, v17
	ds_write_b64 v19, v[3:4] offset:6752
.LBB64_860:
	s_or_b64 exec, exec, s[12:13]
	v_mov_b32_e32 v4, 0
	v_mov_b32_e32 v3, 0
	s_waitcnt lgkmcnt(0)
	s_barrier
	buffer_wbinvl1_vol
	s_and_saveexec_b64 s[14:15], s[18:19]
	s_cbranch_execz .LBB64_866
; %bb.861:
	v_lshlrev_b32_e32 v15, 3, v9
	v_lshlrev_b32_e32 v16, 9, v10
	ds_read_b64 v[3:4], v15 offset:6208
	ds_read_b64 v[17:18], v16 offset:6240
	v_cmp_gt_u32_e64 s[12:13], 12, v8
	s_waitcnt lgkmcnt(0)
	v_mul_f32_e32 v19, v18, v4
	v_mul_f32_e32 v4, v17, v4
	v_fma_f32 v17, v17, v3, -v19
	v_fmac_f32_e32 v4, v18, v3
	v_add_f32_e32 v3, 0, v17
	v_add_f32_e32 v4, 0, v4
	s_and_saveexec_b64 s[16:17], s[12:13]
	s_cbranch_execnz .LBB64_1094
; %bb.862:
	s_or_b64 exec, exec, s[16:17]
	v_cmp_gt_u32_e64 s[12:13], 8, v8
	s_and_saveexec_b64 s[16:17], s[12:13]
	s_cbranch_execnz .LBB64_1095
.LBB64_863:
	s_or_b64 exec, exec, s[16:17]
	v_cmp_gt_u32_e64 s[12:13], 4, v8
	s_and_saveexec_b64 s[16:17], s[12:13]
	s_cbranch_execz .LBB64_865
.LBB64_864:
	v_lshlrev_b32_e32 v15, 3, v0
	v_mov_b32_e32 v17, 0
	ds_read_b64 v[15:16], v15 offset:7744
	ds_read_b64 v[17:18], v17 offset:7800
	s_waitcnt lgkmcnt(0)
	v_mul_f32_e32 v19, v18, v16
	v_mul_f32_e32 v16, v17, v16
	v_fma_f32 v17, v17, v15, -v19
	v_fmac_f32_e32 v16, v18, v15
	v_add_f32_e32 v3, v3, v17
	v_add_f32_e32 v4, v4, v16
.LBB64_865:
	s_or_b64 exec, exec, s[16:17]
.LBB64_866:
	s_or_b64 exec, exec, s[14:15]
	s_and_saveexec_b64 s[12:13], s[40:41]
	s_cbranch_execz .LBB64_868
; %bb.867:
	v_mov_b32_e32 v15, 0
	ds_read_b64 v[15:16], v15 offset:5720
	s_waitcnt lgkmcnt(0)
	v_mul_f32_e32 v17, v4, v16
	v_mul_f32_e32 v18, v3, v16
	v_fma_f32 v3, v3, v15, -v17
	v_fmac_f32_e32 v18, v4, v15
	v_xor_b32_e32 v15, 0x80000000, v3
	v_xor_b32_e32 v16, 0x80000000, v18
	v_mov_b32_e32 v4, v18
	ds_write_b64 v11, v[15:16]
.LBB64_868:
	s_or_b64 exec, exec, s[12:13]
	s_waitcnt lgkmcnt(0)
	s_barrier
	s_and_saveexec_b64 s[12:13], s[42:43]
	s_cbranch_execz .LBB64_870
; %bb.869:
	v_lshlrev_b32_e32 v15, 3, v9
	ds_read_b64 v[15:16], v15 offset:5696
	ds_read_b64 v[17:18], v11
	s_waitcnt lgkmcnt(0)
	v_mul_f32_e32 v19, v18, v16
	v_mul_f32_e32 v16, v17, v16
	v_fma_f32 v17, v17, v15, -v19
	v_fmac_f32_e32 v16, v18, v15
	v_sub_f32_e32 v3, v3, v17
	v_sub_f32_e32 v4, v4, v16
.LBB64_870:
	s_or_b64 exec, exec, s[12:13]
	s_barrier
	s_and_saveexec_b64 s[12:13], s[44:45]
	s_cbranch_execz .LBB64_872
; %bb.871:
	v_mov_b32_e32 v15, 0
	ds_read_b64 v[15:16], v15 offset:5200
	s_waitcnt lgkmcnt(0)
	v_mul_f32_e32 v17, v4, v16
	v_mul_f32_e32 v18, v3, v16
	v_fma_f32 v3, v3, v15, -v17
	v_fmac_f32_e32 v18, v4, v15
	v_xor_b32_e32 v15, 0x80000000, v3
	v_xor_b32_e32 v16, 0x80000000, v18
	v_mov_b32_e32 v4, v18
	ds_write_b64 v11, v[15:16]
.LBB64_872:
	s_or_b64 exec, exec, s[12:13]
	s_waitcnt lgkmcnt(0)
	s_barrier
	s_and_saveexec_b64 s[12:13], s[46:47]
	s_cbranch_execz .LBB64_874
; %bb.873:
	v_lshlrev_b32_e32 v15, 3, v9
	ds_read_b64 v[15:16], v15 offset:5184
	ds_read_b64 v[17:18], v11
	s_waitcnt lgkmcnt(0)
	v_mul_f32_e32 v19, v18, v16
	v_mul_f32_e32 v16, v17, v16
	v_fma_f32 v17, v17, v15, -v19
	v_fmac_f32_e32 v16, v18, v15
	v_sub_f32_e32 v3, v3, v17
	v_sub_f32_e32 v4, v4, v16
.LBB64_874:
	s_or_b64 exec, exec, s[12:13]
	s_barrier
	s_and_saveexec_b64 s[12:13], s[48:49]
	s_cbranch_execz .LBB64_876
; %bb.875:
	v_mov_b32_e32 v15, 0
	ds_read_b64 v[15:16], v15 offset:4680
	s_waitcnt lgkmcnt(0)
	v_mul_f32_e32 v17, v4, v16
	v_mul_f32_e32 v18, v3, v16
	v_fma_f32 v3, v3, v15, -v17
	v_fmac_f32_e32 v18, v4, v15
	v_xor_b32_e32 v15, 0x80000000, v3
	v_xor_b32_e32 v16, 0x80000000, v18
	v_mov_b32_e32 v4, v18
	ds_write_b64 v11, v[15:16]
.LBB64_876:
	s_or_b64 exec, exec, s[12:13]
	s_waitcnt lgkmcnt(0)
	s_barrier
	s_and_saveexec_b64 s[12:13], s[38:39]
	s_cbranch_execz .LBB64_878
; %bb.877:
	v_mov_b32_e32 v15, 0
	ds_read_b64 v[15:16], v15 offset:4672
	ds_read_b64 v[17:18], v11
	s_waitcnt lgkmcnt(0)
	v_mul_f32_e32 v19, v18, v16
	v_mul_f32_e32 v16, v17, v16
	v_fma_f32 v17, v17, v15, -v19
	v_fmac_f32_e32 v16, v18, v15
	v_sub_f32_e32 v3, v3, v17
	v_sub_f32_e32 v4, v4, v16
.LBB64_878:
	s_or_b64 exec, exec, s[12:13]
	s_barrier
	s_and_saveexec_b64 s[12:13], s[38:39]
	s_cbranch_execz .LBB64_880
; %bb.879:
	v_mov_b32_e32 v15, 0
	ds_read_b64 v[15:16], v15 offset:4160
	s_waitcnt lgkmcnt(0)
	v_mul_f32_e32 v17, v4, v16
	v_mul_f32_e32 v18, v3, v16
	v_fma_f32 v3, v3, v15, -v17
	v_fmac_f32_e32 v18, v4, v15
	v_xor_b32_e32 v15, 0x80000000, v3
	v_xor_b32_e32 v16, 0x80000000, v18
	v_mov_b32_e32 v4, v18
	ds_write_b64 v11, v[15:16]
.LBB64_880:
	s_or_b64 exec, exec, s[12:13]
	s_waitcnt lgkmcnt(0)
	s_barrier
	s_barrier
	s_and_saveexec_b64 s[12:13], s[18:19]
; %bb.881:
	v_lshlrev_b32_e32 v15, 3, v9
	v_lshl_or_b32 v15, v10, 9, v15
	ds_write_b64 v15, v[3:4] offset:6208
; %bb.882:
	s_or_b64 exec, exec, s[12:13]
	s_waitcnt lgkmcnt(0)
	s_barrier
	s_barrier
	s_and_saveexec_b64 s[12:13], vcc
	s_cbranch_execz .LBB64_884
; %bb.883:
	s_movk_i32 s14, 0x50
	v_mov_b32_e32 v19, 0
	v_add_u32_e64 v15, s14, 0
	ds_read_b64 v[3:4], v19 offset:5720
	ds_read2st64_b64 v[15:18], v15 offset0:10 offset1:11
	s_waitcnt lgkmcnt(0)
	v_mul_f32_e32 v20, v4, v16
	v_mul_f32_e32 v16, v3, v16
	v_fma_f32 v20, v3, v15, -v20
	v_fmac_f32_e32 v16, v4, v15
	v_mul_f32_e32 v3, v16, v18
	v_mul_f32_e32 v4, v20, v18
	v_fma_f32 v3, v20, v17, -v3
	v_fmac_f32_e32 v4, v16, v17
	ds_write_b64 v19, v[3:4] offset:5712
.LBB64_884:
	s_or_b64 exec, exec, s[12:13]
	v_mov_b32_e32 v3, 0
	v_mov_b32_e32 v4, 0
	s_waitcnt lgkmcnt(0)
	s_barrier
	buffer_wbinvl1_vol
	s_and_saveexec_b64 s[14:15], s[6:7]
	s_cbranch_execz .LBB64_888
; %bb.885:
	v_lshlrev_b32_e32 v3, 3, v5
	v_lshlrev_b32_e32 v15, 9, v6
	ds_read_b64 v[3:4], v3 offset:5184
	ds_read_b64 v[15:16], v15 offset:5200
	v_cmp_gt_u32_e64 s[12:13], 2, v8
	s_waitcnt lgkmcnt(0)
	v_mul_f32_e32 v17, v16, v4
	v_mul_f32_e32 v4, v15, v4
	v_fma_f32 v15, v15, v3, -v17
	v_fmac_f32_e32 v4, v16, v3
	v_add_f32_e32 v3, 0, v15
	v_add_f32_e32 v4, 0, v4
	s_and_saveexec_b64 s[16:17], s[12:13]
	s_cbranch_execz .LBB64_887
; %bb.886:
	v_lshlrev_b32_e32 v15, 3, v0
	v_mov_b32_e32 v17, 0
	ds_read_b64 v[15:16], v15 offset:5696
	ds_read_b64 v[17:18], v17 offset:5720
	s_waitcnt lgkmcnt(0)
	v_mul_f32_e32 v19, v18, v16
	v_mul_f32_e32 v16, v17, v16
	v_fma_f32 v17, v17, v15, -v19
	v_fmac_f32_e32 v16, v18, v15
	v_add_f32_e32 v3, v3, v17
	v_add_f32_e32 v4, v4, v16
.LBB64_887:
	s_or_b64 exec, exec, s[16:17]
.LBB64_888:
	s_or_b64 exec, exec, s[14:15]
	s_and_saveexec_b64 s[12:13], s[36:37]
	s_cbranch_execz .LBB64_890
; %bb.889:
	v_mov_b32_e32 v15, 0
	ds_read_b64 v[15:16], v15 offset:4680
	s_waitcnt lgkmcnt(0)
	v_mul_f32_e32 v17, v4, v16
	v_mul_f32_e32 v18, v3, v16
	v_fma_f32 v3, v3, v15, -v17
	v_fmac_f32_e32 v18, v4, v15
	v_xor_b32_e32 v15, 0x80000000, v3
	v_xor_b32_e32 v16, 0x80000000, v18
	v_mov_b32_e32 v4, v18
	ds_write_b64 v7, v[15:16]
.LBB64_890:
	s_or_b64 exec, exec, s[12:13]
	s_waitcnt lgkmcnt(0)
	s_barrier
	s_and_saveexec_b64 s[12:13], s[34:35]
	s_cbranch_execz .LBB64_892
; %bb.891:
	v_mov_b32_e32 v15, 0
	ds_read_b64 v[15:16], v15 offset:4672
	ds_read_b64 v[17:18], v7
	s_waitcnt lgkmcnt(0)
	v_mul_f32_e32 v19, v18, v16
	v_mul_f32_e32 v16, v17, v16
	v_fma_f32 v17, v17, v15, -v19
	v_fmac_f32_e32 v16, v18, v15
	v_sub_f32_e32 v3, v3, v17
	v_sub_f32_e32 v4, v4, v16
.LBB64_892:
	s_or_b64 exec, exec, s[12:13]
	s_barrier
	s_and_saveexec_b64 s[12:13], s[34:35]
	s_cbranch_execz .LBB64_894
; %bb.893:
	v_mov_b32_e32 v15, 0
	ds_read_b64 v[15:16], v15 offset:4160
	s_waitcnt lgkmcnt(0)
	v_mul_f32_e32 v17, v4, v16
	v_mul_f32_e32 v18, v3, v16
	v_fma_f32 v3, v3, v15, -v17
	v_fmac_f32_e32 v18, v4, v15
	v_xor_b32_e32 v15, 0x80000000, v3
	v_xor_b32_e32 v16, 0x80000000, v18
	v_mov_b32_e32 v4, v18
	ds_write_b64 v7, v[15:16]
.LBB64_894:
	s_or_b64 exec, exec, s[12:13]
	s_waitcnt lgkmcnt(0)
	s_barrier
	s_barrier
	s_and_saveexec_b64 s[12:13], s[6:7]
; %bb.895:
	v_lshlrev_b32_e32 v15, 3, v5
	v_lshl_or_b32 v15, v6, 9, v15
	ds_write_b64 v15, v[3:4] offset:5184
; %bb.896:
	s_or_b64 exec, exec, s[12:13]
	s_waitcnt lgkmcnt(0)
	s_barrier
	s_barrier
	s_and_saveexec_b64 s[12:13], vcc
	s_cbranch_execz .LBB64_898
; %bb.897:
	v_add_u32_e64 v3, 64, 0
	v_mov_b32_e32 v19, 0
	ds_read2st64_b64 v[15:18], v3 offset0:8 offset1:9
	ds_read_b64 v[3:4], v19 offset:4680
	s_waitcnt lgkmcnt(0)
	v_mul_f32_e32 v20, v4, v16
	v_mul_f32_e32 v16, v3, v16
	v_fma_f32 v20, v3, v15, -v20
	v_fmac_f32_e32 v16, v4, v15
	v_mul_f32_e32 v3, v16, v18
	v_mul_f32_e32 v4, v20, v18
	v_fma_f32 v3, v20, v17, -v3
	v_fmac_f32_e32 v4, v16, v17
	ds_write_b64 v19, v[3:4] offset:4672
.LBB64_898:
	s_or_b64 exec, exec, s[12:13]
	v_mov_b32_e32 v4, 0
	v_mov_b32_e32 v3, 0
	s_waitcnt lgkmcnt(0)
	s_barrier
	buffer_wbinvl1_vol
	s_and_saveexec_b64 s[14:15], s[10:11]
	s_cbranch_execz .LBB64_908
; %bb.899:
	v_lshlrev_b32_e32 v15, 3, v12
	v_lshlrev_b32_e32 v16, 9, v13
	ds_read_b64 v[3:4], v15 offset:4096
	ds_read_b64 v[17:18], v16 offset:4160
	v_cmp_gt_u32_e64 s[12:13], 56, v8
	s_waitcnt lgkmcnt(0)
	v_mul_f32_e32 v19, v18, v4
	v_mul_f32_e32 v4, v17, v4
	v_fma_f32 v17, v17, v3, -v19
	v_fmac_f32_e32 v4, v18, v3
	v_add_f32_e32 v3, 0, v17
	v_add_f32_e32 v4, 0, v4
	s_and_saveexec_b64 s[16:17], s[12:13]
	s_cbranch_execnz .LBB64_1096
; %bb.900:
	s_or_b64 exec, exec, s[16:17]
	v_cmp_gt_u32_e64 s[12:13], 48, v8
	s_and_saveexec_b64 s[16:17], s[12:13]
	s_cbranch_execnz .LBB64_1097
.LBB64_901:
	s_or_b64 exec, exec, s[16:17]
	v_cmp_gt_u32_e64 s[12:13], 40, v8
	s_and_saveexec_b64 s[16:17], s[12:13]
	s_cbranch_execnz .LBB64_1098
.LBB64_902:
	s_or_b64 exec, exec, s[16:17]
	v_cmp_gt_u32_e64 s[12:13], 32, v8
	s_and_saveexec_b64 s[16:17], s[12:13]
	s_cbranch_execnz .LBB64_1099
.LBB64_903:
	s_or_b64 exec, exec, s[16:17]
	v_cmp_gt_u32_e64 s[12:13], 24, v8
	s_and_saveexec_b64 s[16:17], s[12:13]
	s_cbranch_execnz .LBB64_1100
.LBB64_904:
	s_or_b64 exec, exec, s[16:17]
	s_and_saveexec_b64 s[12:13], s[18:19]
	s_cbranch_execnz .LBB64_1101
.LBB64_905:
	s_or_b64 exec, exec, s[12:13]
	v_cmp_gt_u32_e64 s[12:13], 8, v8
	s_and_saveexec_b64 s[16:17], s[12:13]
	s_cbranch_execz .LBB64_907
.LBB64_906:
	v_lshlrev_b32_e32 v15, 3, v0
	v_mov_b32_e32 v17, 0
	ds_read_b64 v[15:16], v15 offset:7680
	ds_read_b64 v[17:18], v17 offset:7800
	s_waitcnt lgkmcnt(0)
	v_mul_f32_e32 v19, v18, v16
	v_mul_f32_e32 v16, v17, v16
	v_fma_f32 v17, v17, v15, -v19
	v_fmac_f32_e32 v16, v18, v15
	v_add_f32_e32 v3, v3, v17
	v_add_f32_e32 v4, v4, v16
.LBB64_907:
	s_or_b64 exec, exec, s[16:17]
.LBB64_908:
	s_or_b64 exec, exec, s[14:15]
	s_and_saveexec_b64 s[12:13], s[52:53]
	s_cbranch_execz .LBB64_910
; %bb.909:
	v_mov_b32_e32 v15, 0
	ds_read_b64 v[15:16], v15 offset:3640
	s_waitcnt lgkmcnt(0)
	v_mul_f32_e32 v17, v4, v16
	v_mul_f32_e32 v18, v3, v16
	v_fma_f32 v3, v3, v15, -v17
	v_fmac_f32_e32 v18, v4, v15
	v_xor_b32_e32 v15, 0x80000000, v3
	v_xor_b32_e32 v16, 0x80000000, v18
	v_mov_b32_e32 v4, v18
	ds_write_b64 v14, v[15:16]
.LBB64_910:
	s_or_b64 exec, exec, s[12:13]
	s_waitcnt lgkmcnt(0)
	s_barrier
	s_and_saveexec_b64 s[12:13], s[54:55]
	v_readlane_b32 s52, v30, 0
	s_cbranch_execz .LBB64_912
; %bb.911:
	v_lshlrev_b32_e32 v15, 3, v12
	ds_read_b64 v[15:16], v15 offset:3584
	ds_read_b64 v[17:18], v14
	s_waitcnt lgkmcnt(0)
	v_mul_f32_e32 v19, v18, v16
	v_mul_f32_e32 v16, v17, v16
	v_fma_f32 v17, v17, v15, -v19
	v_fmac_f32_e32 v16, v18, v15
	v_sub_f32_e32 v3, v3, v17
	v_sub_f32_e32 v4, v4, v16
.LBB64_912:
	s_or_b64 exec, exec, s[12:13]
	s_barrier
	s_and_saveexec_b64 s[12:13], s[56:57]
	s_cbranch_execz .LBB64_914
; %bb.913:
	v_mov_b32_e32 v15, 0
	ds_read_b64 v[15:16], v15 offset:3120
	s_waitcnt lgkmcnt(0)
	v_mul_f32_e32 v17, v4, v16
	v_mul_f32_e32 v18, v3, v16
	v_fma_f32 v3, v3, v15, -v17
	v_fmac_f32_e32 v18, v4, v15
	v_xor_b32_e32 v15, 0x80000000, v3
	v_xor_b32_e32 v16, 0x80000000, v18
	v_mov_b32_e32 v4, v18
	ds_write_b64 v14, v[15:16]
.LBB64_914:
	s_or_b64 exec, exec, s[12:13]
	s_waitcnt lgkmcnt(0)
	s_barrier
	s_and_saveexec_b64 s[12:13], s[58:59]
	s_cbranch_execz .LBB64_916
; %bb.915:
	v_lshlrev_b32_e32 v15, 3, v12
	ds_read_b64 v[15:16], v15 offset:3072
	ds_read_b64 v[17:18], v14
	s_waitcnt lgkmcnt(0)
	v_mul_f32_e32 v19, v18, v16
	v_mul_f32_e32 v16, v17, v16
	v_fma_f32 v17, v17, v15, -v19
	v_fmac_f32_e32 v16, v18, v15
	v_sub_f32_e32 v3, v3, v17
	v_sub_f32_e32 v4, v4, v16
.LBB64_916:
	s_or_b64 exec, exec, s[12:13]
	s_barrier
	s_and_saveexec_b64 s[12:13], s[60:61]
	s_cbranch_execz .LBB64_918
; %bb.917:
	v_mov_b32_e32 v15, 0
	ds_read_b64 v[15:16], v15 offset:2600
	s_waitcnt lgkmcnt(0)
	v_mul_f32_e32 v17, v4, v16
	v_mul_f32_e32 v18, v3, v16
	v_fma_f32 v3, v3, v15, -v17
	v_fmac_f32_e32 v18, v4, v15
	v_xor_b32_e32 v15, 0x80000000, v3
	v_xor_b32_e32 v16, 0x80000000, v18
	v_mov_b32_e32 v4, v18
	ds_write_b64 v14, v[15:16]
.LBB64_918:
	s_or_b64 exec, exec, s[12:13]
	s_waitcnt lgkmcnt(0)
	s_barrier
	s_and_saveexec_b64 s[12:13], s[62:63]
	;; [unrolled: 34-line block ×6, first 2 shown]
	s_cbranch_execz .LBB64_936
; %bb.935:
	v_mov_b32_e32 v15, 0
	ds_read_b64 v[15:16], v15 offset:512
	ds_read_b64 v[17:18], v14
	s_waitcnt lgkmcnt(0)
	v_mul_f32_e32 v19, v18, v16
	v_mul_f32_e32 v16, v17, v16
	v_fma_f32 v17, v17, v15, -v19
	v_fmac_f32_e32 v16, v18, v15
	v_sub_f32_e32 v3, v3, v17
	v_sub_f32_e32 v4, v4, v16
.LBB64_936:
	s_or_b64 exec, exec, s[12:13]
	s_barrier
	s_and_saveexec_b64 s[12:13], s[50:51]
	s_cbranch_execz .LBB64_938
; %bb.937:
	v_mov_b32_e32 v15, 0
	ds_read_b64 v[15:16], v15
	s_waitcnt lgkmcnt(0)
	v_mul_f32_e32 v17, v4, v16
	v_mul_f32_e32 v18, v3, v16
	v_fma_f32 v3, v3, v15, -v17
	v_fmac_f32_e32 v18, v4, v15
	v_xor_b32_e32 v15, 0x80000000, v3
	v_xor_b32_e32 v16, 0x80000000, v18
	v_mov_b32_e32 v4, v18
	ds_write_b64 v14, v[15:16]
.LBB64_938:
	s_or_b64 exec, exec, s[12:13]
	s_waitcnt lgkmcnt(0)
	s_barrier
	s_barrier
	s_and_saveexec_b64 s[12:13], s[10:11]
; %bb.939:
	v_lshlrev_b32_e32 v12, 3, v12
	v_lshl_or_b32 v12, v13, 9, v12
	ds_write_b64 v12, v[3:4] offset:4096
; %bb.940:
	s_or_b64 exec, exec, s[12:13]
	s_waitcnt lgkmcnt(0)
	s_barrier
	s_barrier
	s_and_saveexec_b64 s[10:11], vcc
	s_cbranch_execz .LBB64_942
; %bb.941:
	v_add_u32_e64 v3, 48, 0
	v_mov_b32_e32 v16, 0
	ds_read2st64_b64 v[12:15], v3 offset0:6 offset1:7
	ds_read_b64 v[3:4], v16 offset:3640
	s_waitcnt lgkmcnt(0)
	v_mul_f32_e32 v17, v4, v13
	v_mul_f32_e32 v13, v3, v13
	v_fma_f32 v17, v3, v12, -v17
	v_fmac_f32_e32 v13, v4, v12
	v_mul_f32_e32 v3, v13, v15
	v_mul_f32_e32 v4, v17, v15
	v_fma_f32 v3, v17, v14, -v3
	v_fmac_f32_e32 v4, v13, v14
	ds_write_b64 v16, v[3:4] offset:3632
.LBB64_942:
	s_or_b64 exec, exec, s[10:11]
	v_mov_b32_e32 v3, 0
	v_mov_b32_e32 v4, 0
	s_waitcnt lgkmcnt(0)
	s_barrier
	buffer_wbinvl1_vol
	s_and_saveexec_b64 s[12:13], s[6:7]
	s_cbranch_execz .LBB64_946
; %bb.943:
	v_lshlrev_b32_e32 v3, 3, v5
	v_lshlrev_b32_e32 v12, 9, v6
	ds_read_b64 v[3:4], v3 offset:3104
	ds_read_b64 v[12:13], v12 offset:3120
	v_cmp_gt_u32_e64 s[10:11], 2, v8
	s_waitcnt lgkmcnt(0)
	v_mul_f32_e32 v14, v13, v4
	v_mul_f32_e32 v4, v12, v4
	v_fma_f32 v12, v12, v3, -v14
	v_fmac_f32_e32 v4, v13, v3
	v_add_f32_e32 v3, 0, v12
	v_add_f32_e32 v4, 0, v4
	s_and_saveexec_b64 s[14:15], s[10:11]
	s_cbranch_execz .LBB64_945
; %bb.944:
	v_lshlrev_b32_e32 v12, 3, v0
	v_mov_b32_e32 v14, 0
	ds_read_b64 v[12:13], v12 offset:3616
	ds_read_b64 v[14:15], v14 offset:3640
	s_waitcnt lgkmcnt(0)
	v_mul_f32_e32 v16, v15, v13
	v_mul_f32_e32 v13, v14, v13
	v_fma_f32 v14, v14, v12, -v16
	v_fmac_f32_e32 v13, v15, v12
	v_add_f32_e32 v3, v3, v14
	v_add_f32_e32 v4, v4, v13
.LBB64_945:
	s_or_b64 exec, exec, s[14:15]
.LBB64_946:
	s_or_b64 exec, exec, s[12:13]
	s_and_saveexec_b64 s[10:11], s[36:37]
	s_cbranch_execz .LBB64_948
; %bb.947:
	v_mov_b32_e32 v12, 0
	ds_read_b64 v[12:13], v12 offset:2600
	s_waitcnt lgkmcnt(0)
	v_mul_f32_e32 v14, v4, v13
	v_mul_f32_e32 v15, v3, v13
	v_fma_f32 v3, v3, v12, -v14
	v_fmac_f32_e32 v15, v4, v12
	v_xor_b32_e32 v12, 0x80000000, v3
	v_xor_b32_e32 v13, 0x80000000, v15
	v_mov_b32_e32 v4, v15
	ds_write_b64 v7, v[12:13]
.LBB64_948:
	s_or_b64 exec, exec, s[10:11]
	s_waitcnt lgkmcnt(0)
	s_barrier
	s_and_saveexec_b64 s[10:11], s[34:35]
	s_cbranch_execz .LBB64_950
; %bb.949:
	v_mov_b32_e32 v12, 0
	ds_read_b64 v[12:13], v12 offset:2592
	ds_read_b64 v[14:15], v7
	s_waitcnt lgkmcnt(0)
	v_mul_f32_e32 v16, v15, v13
	v_mul_f32_e32 v13, v14, v13
	v_fma_f32 v14, v14, v12, -v16
	v_fmac_f32_e32 v13, v15, v12
	v_sub_f32_e32 v3, v3, v14
	v_sub_f32_e32 v4, v4, v13
.LBB64_950:
	s_or_b64 exec, exec, s[10:11]
	s_barrier
	s_and_saveexec_b64 s[10:11], s[34:35]
	s_cbranch_execz .LBB64_952
; %bb.951:
	v_mov_b32_e32 v12, 0
	ds_read_b64 v[12:13], v12 offset:2080
	s_waitcnt lgkmcnt(0)
	v_mul_f32_e32 v14, v4, v13
	v_mul_f32_e32 v15, v3, v13
	v_fma_f32 v3, v3, v12, -v14
	v_fmac_f32_e32 v15, v4, v12
	v_xor_b32_e32 v12, 0x80000000, v3
	v_xor_b32_e32 v13, 0x80000000, v15
	v_mov_b32_e32 v4, v15
	ds_write_b64 v7, v[12:13]
.LBB64_952:
	s_or_b64 exec, exec, s[10:11]
	s_waitcnt lgkmcnt(0)
	s_barrier
	s_barrier
	s_and_saveexec_b64 s[10:11], s[6:7]
; %bb.953:
	v_lshlrev_b32_e32 v12, 3, v5
	v_lshl_or_b32 v12, v6, 9, v12
	ds_write_b64 v12, v[3:4] offset:3104
; %bb.954:
	s_or_b64 exec, exec, s[10:11]
	s_waitcnt lgkmcnt(0)
	s_barrier
	s_barrier
	s_and_saveexec_b64 s[10:11], vcc
	s_cbranch_execz .LBB64_956
; %bb.955:
	v_add_u32_e64 v3, 32, 0
	v_mov_b32_e32 v16, 0
	ds_read2st64_b64 v[12:15], v3 offset0:4 offset1:5
	ds_read_b64 v[3:4], v16 offset:2600
	s_waitcnt lgkmcnt(0)
	v_mul_f32_e32 v17, v4, v13
	v_mul_f32_e32 v13, v3, v13
	v_fma_f32 v17, v3, v12, -v17
	v_fmac_f32_e32 v13, v4, v12
	v_mul_f32_e32 v3, v13, v15
	v_mul_f32_e32 v4, v17, v15
	v_fma_f32 v3, v17, v14, -v3
	v_fmac_f32_e32 v4, v13, v14
	ds_write_b64 v16, v[3:4] offset:2592
.LBB64_956:
	s_or_b64 exec, exec, s[10:11]
	v_mov_b32_e32 v4, 0
	v_mov_b32_e32 v3, 0
	s_waitcnt lgkmcnt(0)
	s_barrier
	buffer_wbinvl1_vol
	s_and_saveexec_b64 s[12:13], s[18:19]
	s_cbranch_execz .LBB64_962
; %bb.957:
	v_lshlrev_b32_e32 v12, 3, v9
	v_lshlrev_b32_e32 v13, 9, v10
	ds_read_b64 v[3:4], v12 offset:2048
	ds_read_b64 v[14:15], v13 offset:2080
	v_cmp_gt_u32_e64 s[10:11], 12, v8
	s_waitcnt lgkmcnt(0)
	v_mul_f32_e32 v16, v15, v4
	v_mul_f32_e32 v4, v14, v4
	v_fma_f32 v14, v14, v3, -v16
	v_fmac_f32_e32 v4, v15, v3
	v_add_f32_e32 v3, 0, v14
	v_add_f32_e32 v4, 0, v4
	s_and_saveexec_b64 s[14:15], s[10:11]
	s_cbranch_execnz .LBB64_1102
; %bb.958:
	s_or_b64 exec, exec, s[14:15]
	v_cmp_gt_u32_e64 s[10:11], 8, v8
	s_and_saveexec_b64 s[14:15], s[10:11]
	s_cbranch_execnz .LBB64_1103
.LBB64_959:
	s_or_b64 exec, exec, s[14:15]
	v_cmp_gt_u32_e64 s[10:11], 4, v8
	s_and_saveexec_b64 s[14:15], s[10:11]
	s_cbranch_execz .LBB64_961
.LBB64_960:
	v_lshlrev_b32_e32 v12, 3, v0
	v_mov_b32_e32 v14, 0
	ds_read_b64 v[12:13], v12 offset:3584
	ds_read_b64 v[14:15], v14 offset:3640
	s_waitcnt lgkmcnt(0)
	v_mul_f32_e32 v16, v15, v13
	v_mul_f32_e32 v13, v14, v13
	v_fma_f32 v14, v14, v12, -v16
	v_fmac_f32_e32 v13, v15, v12
	v_add_f32_e32 v3, v3, v14
	v_add_f32_e32 v4, v4, v13
.LBB64_961:
	s_or_b64 exec, exec, s[14:15]
.LBB64_962:
	s_or_b64 exec, exec, s[12:13]
	s_and_saveexec_b64 s[10:11], s[40:41]
	s_cbranch_execz .LBB64_964
; %bb.963:
	v_mov_b32_e32 v12, 0
	ds_read_b64 v[12:13], v12 offset:1560
	s_waitcnt lgkmcnt(0)
	v_mul_f32_e32 v14, v4, v13
	v_mul_f32_e32 v15, v3, v13
	v_fma_f32 v3, v3, v12, -v14
	v_fmac_f32_e32 v15, v4, v12
	v_xor_b32_e32 v12, 0x80000000, v3
	v_xor_b32_e32 v13, 0x80000000, v15
	v_mov_b32_e32 v4, v15
	ds_write_b64 v11, v[12:13]
.LBB64_964:
	s_or_b64 exec, exec, s[10:11]
	s_waitcnt lgkmcnt(0)
	s_barrier
	s_and_saveexec_b64 s[10:11], s[42:43]
	s_load_dword s40, s[4:5], 0x6c
	s_cbranch_execz .LBB64_966
; %bb.965:
	v_lshlrev_b32_e32 v12, 3, v9
	ds_read_b64 v[12:13], v12 offset:1536
	ds_read_b64 v[14:15], v11
	s_waitcnt lgkmcnt(0)
	v_mul_f32_e32 v16, v15, v13
	v_mul_f32_e32 v13, v14, v13
	v_fma_f32 v14, v14, v12, -v16
	v_fmac_f32_e32 v13, v15, v12
	v_sub_f32_e32 v3, v3, v14
	v_sub_f32_e32 v4, v4, v13
.LBB64_966:
	s_or_b64 exec, exec, s[10:11]
	s_waitcnt lgkmcnt(0)
	s_barrier
	s_and_saveexec_b64 s[10:11], s[44:45]
	s_cbranch_execz .LBB64_968
; %bb.967:
	v_mov_b32_e32 v12, 0
	ds_read_b64 v[12:13], v12 offset:1040
	s_waitcnt lgkmcnt(0)
	v_mul_f32_e32 v14, v4, v13
	v_mul_f32_e32 v15, v3, v13
	v_fma_f32 v3, v3, v12, -v14
	v_fmac_f32_e32 v15, v4, v12
	v_xor_b32_e32 v12, 0x80000000, v3
	v_xor_b32_e32 v13, 0x80000000, v15
	v_mov_b32_e32 v4, v15
	ds_write_b64 v11, v[12:13]
.LBB64_968:
	s_or_b64 exec, exec, s[10:11]
	s_waitcnt lgkmcnt(0)
	s_barrier
	s_and_saveexec_b64 s[10:11], s[46:47]
	s_cbranch_execz .LBB64_970
; %bb.969:
	v_lshlrev_b32_e32 v12, 3, v9
	ds_read_b64 v[12:13], v12 offset:1024
	ds_read_b64 v[14:15], v11
	s_waitcnt lgkmcnt(0)
	v_mul_f32_e32 v16, v15, v13
	v_mul_f32_e32 v13, v14, v13
	v_fma_f32 v14, v14, v12, -v16
	v_fmac_f32_e32 v13, v15, v12
	v_sub_f32_e32 v3, v3, v14
	v_sub_f32_e32 v4, v4, v13
.LBB64_970:
	s_or_b64 exec, exec, s[10:11]
	s_barrier
	s_and_saveexec_b64 s[10:11], s[48:49]
	s_cbranch_execz .LBB64_972
; %bb.971:
	v_mov_b32_e32 v12, 0
	ds_read_b64 v[12:13], v12 offset:520
	s_waitcnt lgkmcnt(0)
	v_mul_f32_e32 v14, v4, v13
	v_mul_f32_e32 v15, v3, v13
	v_fma_f32 v3, v3, v12, -v14
	v_fmac_f32_e32 v15, v4, v12
	v_xor_b32_e32 v12, 0x80000000, v3
	v_xor_b32_e32 v13, 0x80000000, v15
	v_mov_b32_e32 v4, v15
	ds_write_b64 v11, v[12:13]
.LBB64_972:
	s_or_b64 exec, exec, s[10:11]
	s_waitcnt lgkmcnt(0)
	s_barrier
	s_and_saveexec_b64 s[10:11], s[38:39]
	s_cbranch_execz .LBB64_974
; %bb.973:
	v_mov_b32_e32 v12, 0
	ds_read_b64 v[12:13], v12 offset:512
	ds_read_b64 v[14:15], v11
	s_waitcnt lgkmcnt(0)
	v_mul_f32_e32 v16, v15, v13
	v_mul_f32_e32 v13, v14, v13
	v_fma_f32 v14, v14, v12, -v16
	v_fmac_f32_e32 v13, v15, v12
	v_sub_f32_e32 v3, v3, v14
	v_sub_f32_e32 v4, v4, v13
.LBB64_974:
	s_or_b64 exec, exec, s[10:11]
	s_barrier
	s_and_saveexec_b64 s[10:11], s[38:39]
	s_cbranch_execz .LBB64_976
; %bb.975:
	v_mov_b32_e32 v12, 0
	ds_read_b64 v[12:13], v12
	s_waitcnt lgkmcnt(0)
	v_mul_f32_e32 v14, v4, v13
	v_mul_f32_e32 v15, v3, v13
	v_fma_f32 v3, v3, v12, -v14
	v_fmac_f32_e32 v15, v4, v12
	v_xor_b32_e32 v12, 0x80000000, v3
	v_xor_b32_e32 v13, 0x80000000, v15
	v_mov_b32_e32 v4, v15
	ds_write_b64 v11, v[12:13]
.LBB64_976:
	s_or_b64 exec, exec, s[10:11]
	s_waitcnt lgkmcnt(0)
	s_barrier
	s_barrier
	s_and_saveexec_b64 s[10:11], s[18:19]
; %bb.977:
	v_lshlrev_b32_e32 v9, 3, v9
	v_lshl_or_b32 v9, v10, 9, v9
	ds_write_b64 v9, v[3:4] offset:2048
; %bb.978:
	s_or_b64 exec, exec, s[10:11]
	s_waitcnt lgkmcnt(0)
	s_barrier
	s_barrier
	s_and_saveexec_b64 s[10:11], vcc
	s_cbranch_execz .LBB64_980
; %bb.979:
	v_mov_b32_e32 v13, 0
	ds_read2_b64 v[9:12], v13 offset0:130 offset1:194
	ds_read_b64 v[3:4], v13 offset:1560
	s_waitcnt lgkmcnt(0)
	v_mul_f32_e32 v14, v4, v10
	v_mul_f32_e32 v10, v3, v10
	v_fma_f32 v3, v3, v9, -v14
	v_fmac_f32_e32 v10, v4, v9
	v_mul_f32_e32 v9, v10, v12
	v_mul_f32_e32 v4, v3, v12
	v_fma_f32 v3, v3, v11, -v9
	v_fmac_f32_e32 v4, v10, v11
	ds_write_b64 v13, v[3:4] offset:1552
.LBB64_980:
	s_or_b64 exec, exec, s[10:11]
	v_mov_b32_e32 v3, 0
	v_mov_b32_e32 v4, 0
	s_waitcnt lgkmcnt(0)
	s_barrier
	buffer_wbinvl1_vol
	s_and_saveexec_b64 s[12:13], s[6:7]
	s_cbranch_execz .LBB64_984
; %bb.981:
	v_lshlrev_b32_e32 v3, 3, v5
	v_lshlrev_b32_e32 v9, 9, v6
	ds_read_b64 v[3:4], v3 offset:1024
	ds_read_b64 v[9:10], v9 offset:1040
	v_cmp_gt_u32_e64 s[10:11], 2, v8
	s_waitcnt lgkmcnt(0)
	v_mul_f32_e32 v11, v10, v4
	v_mul_f32_e32 v4, v9, v4
	v_fma_f32 v9, v9, v3, -v11
	v_fmac_f32_e32 v4, v10, v3
	v_add_f32_e32 v3, 0, v9
	v_add_f32_e32 v4, 0, v4
	s_and_saveexec_b64 s[14:15], s[10:11]
	s_cbranch_execz .LBB64_983
; %bb.982:
	v_lshlrev_b32_e32 v8, 3, v0
	v_mov_b32_e32 v10, 0
	ds_read_b64 v[8:9], v8 offset:1536
	ds_read_b64 v[10:11], v10 offset:1560
	s_waitcnt lgkmcnt(0)
	v_mul_f32_e32 v12, v11, v9
	v_mul_f32_e32 v9, v10, v9
	v_fma_f32 v10, v10, v8, -v12
	v_fmac_f32_e32 v9, v11, v8
	v_add_f32_e32 v3, v3, v10
	v_add_f32_e32 v4, v4, v9
.LBB64_983:
	s_or_b64 exec, exec, s[14:15]
.LBB64_984:
	s_or_b64 exec, exec, s[12:13]
	s_and_saveexec_b64 s[10:11], s[36:37]
	s_cbranch_execz .LBB64_986
; %bb.985:
	v_mov_b32_e32 v8, 0
	ds_read_b64 v[8:9], v8 offset:520
	s_waitcnt lgkmcnt(0)
	v_mul_f32_e32 v10, v4, v9
	v_mul_f32_e32 v11, v3, v9
	v_fma_f32 v3, v3, v8, -v10
	v_fmac_f32_e32 v11, v4, v8
	v_xor_b32_e32 v8, 0x80000000, v3
	v_xor_b32_e32 v9, 0x80000000, v11
	v_mov_b32_e32 v4, v11
	ds_write_b64 v7, v[8:9]
.LBB64_986:
	s_or_b64 exec, exec, s[10:11]
	s_waitcnt lgkmcnt(0)
	s_barrier
	s_and_saveexec_b64 s[10:11], s[34:35]
	s_cbranch_execz .LBB64_988
; %bb.987:
	v_mov_b32_e32 v8, 0
	ds_read_b64 v[8:9], v8 offset:512
	ds_read_b64 v[10:11], v7
	s_waitcnt lgkmcnt(0)
	v_mul_f32_e32 v12, v11, v9
	v_mul_f32_e32 v9, v10, v9
	v_fma_f32 v10, v10, v8, -v12
	v_fmac_f32_e32 v9, v11, v8
	v_sub_f32_e32 v3, v3, v10
	v_sub_f32_e32 v4, v4, v9
.LBB64_988:
	s_or_b64 exec, exec, s[10:11]
	s_barrier
	s_and_saveexec_b64 s[10:11], s[34:35]
	s_cbranch_execz .LBB64_990
; %bb.989:
	v_mov_b32_e32 v8, 0
	ds_read_b64 v[8:9], v8
	s_waitcnt lgkmcnt(0)
	v_mul_f32_e32 v10, v4, v9
	v_mul_f32_e32 v11, v3, v9
	v_fma_f32 v3, v3, v8, -v10
	v_fmac_f32_e32 v11, v4, v8
	v_xor_b32_e32 v8, 0x80000000, v3
	v_xor_b32_e32 v9, 0x80000000, v11
	v_mov_b32_e32 v4, v11
	ds_write_b64 v7, v[8:9]
.LBB64_990:
	s_or_b64 exec, exec, s[10:11]
	s_waitcnt lgkmcnt(0)
	s_barrier
	s_barrier
	s_and_saveexec_b64 s[10:11], s[6:7]
; %bb.991:
	v_lshlrev_b32_e32 v5, 3, v5
	v_lshl_or_b32 v5, v6, 9, v5
	ds_write_b64 v5, v[3:4] offset:1024
; %bb.992:
	s_or_b64 exec, exec, s[10:11]
	s_waitcnt lgkmcnt(0)
	s_barrier
	s_barrier
	s_and_saveexec_b64 s[6:7], vcc
	s_cbranch_execz .LBB64_994
; %bb.993:
	v_mov_b32_e32 v9, 0
	ds_read2st64_b64 v[3:6], v9 offset1:1
	ds_read_b64 v[7:8], v9 offset:520
	s_waitcnt lgkmcnt(0)
	v_mul_f32_e32 v10, v8, v4
	v_mul_f32_e32 v11, v7, v4
	v_fma_f32 v7, v7, v3, -v10
	v_fmac_f32_e32 v11, v8, v3
	v_mul_f32_e32 v3, v11, v6
	v_mul_f32_e32 v4, v7, v6
	v_fma_f32 v3, v7, v5, -v3
	v_fmac_f32_e32 v4, v11, v5
	ds_write_b64 v9, v[3:4] offset:512
.LBB64_994:
	s_or_b64 exec, exec, s[6:7]
.LBB64_995:
	s_load_dwordx8 s[12:19], s[4:5], 0x30
	s_load_dwordx2 s[20:21], s[4:5], 0x50
	v_cmp_le_i32_e32 vcc, s80, v0
	v_mov_b32_e32 v3, 0
	v_add_u32_e32 v5, s33, v0
	s_waitcnt lgkmcnt(0)
	s_mul_i32 s7, s19, s28
	s_mul_hi_u32 s10, s18, s28
	s_mul_i32 s6, s18, s28
	s_add_i32 s7, s10, s7
	s_lshl_b64 s[6:7], s[6:7], 3
	s_add_u32 s10, s12, s6
	s_addc_u32 s11, s13, s7
	s_lshl_b64 s[6:7], s[14:15], 3
	s_add_u32 s44, s10, s6
	s_addc_u32 s45, s11, s7
	s_and_b64 s[18:19], vcc, s[22:23]
	v_cmp_eq_u32_e64 s[6:7], 0, v2
	s_xor_b64 s[10:11], s[18:19], -1
	s_and_b64 s[12:13], s[6:7], s[10:11]
	v_mov_b32_e32 v4, 0
	s_barrier
	s_and_saveexec_b64 s[10:11], s[12:13]
	s_cbranch_execz .LBB64_997
; %bb.996:
	v_ashrrev_i32_e32 v6, 31, v5
	v_mul_lo_u32 v7, s17, v5
	v_mad_u64_u32 v[3:4], s[12:13], s16, v5, 0
	v_mul_lo_u32 v6, s16, v6
	s_load_dwordx2 s[12:13], s[4:5], 0x28
	v_add3_u32 v4, v4, v6, v7
	v_lshlrev_b64 v[3:4], 3, v[3:4]
	v_mov_b32_e32 v6, s45
	v_add_co_u32_e32 v3, vcc, s44, v3
	v_addc_co_u32_e32 v4, vcc, v6, v4, vcc
	global_load_dwordx2 v[6:7], v[3:4], off
	s_waitcnt vmcnt(0) lgkmcnt(0)
	v_mul_f32_e32 v3, s12, v6
	v_mul_f32_e32 v4, s12, v7
	v_fma_f32 v3, s13, v7, -v3
	v_fma_f32 v4, v6, -s13, -v4
.LBB64_997:
	s_or_b64 exec, exec, s[10:11]
	s_and_b32 s4, 0xffff, s40
	v_mad_u32_u24 v8, v2, s4, v0
	s_cmp_lt_i32 s8, 1
	v_cmp_eq_u32_e64 s[4:5], 0, v8
	s_cbranch_scc1 .LBB64_1016
; %bb.998:
	s_lshl_b64 s[10:11], s[28:29], 2
	v_ashrrev_i32_e32 v6, 31, v5
	s_add_u32 s36, s20, s10
	s_addc_u32 s37, s21, s11
	v_cmp_gt_i32_e64 s[10:11], s30, v5
	v_lshlrev_b64 v[5:6], 3, v[5:6]
	v_mov_b32_e32 v7, 0xa000
	s_mov_b64 s[34:35], src_private_base
	v_lshl_add_u32 v9, v8, 3, v7
	v_lshl_or_b32 v10, v2, 3, v7
	v_mov_b32_e32 v7, s82
	v_add_co_u32_e32 v11, vcc, s81, v5
	s_mul_i32 s14, s25, 0x180
	s_mul_hi_u32 s15, s24, 0x180
	s_mov_b32 s34, 0
	v_cmp_gt_u32_e64 s[12:13], 64, v8
	s_add_i32 s83, s83, 1
	v_addc_co_u32_e32 v12, vcc, v7, v6, vcc
	s_lshl_b64 s[38:39], s[24:25], 7
	s_lshl_b64 s[40:41], s[24:25], 8
	s_add_i32 s46, s15, s14
	s_mul_i32 s47, s24, 0x180
	v_mov_b32_e32 v15, -1
	v_mov_b32_e32 v5, 0
	v_mov_b32_e32 v13, 0
	;; [unrolled: 1-line block ×5, first 2 shown]
	s_branch .LBB64_1000
.LBB64_999:                             ;   in Loop: Header=BB64_1000 Depth=1
	s_or_b64 exec, exec, s[42:43]
	s_add_i32 s34, s34, 1
	s_cmp_eq_u32 s34, s8
	s_cbranch_scc1 .LBB64_1016
.LBB64_1000:                            ; =>This Loop Header: Depth=1
                                        ;     Child Loop BB64_1002 Depth 2
	v_cmp_gt_i32_e32 vcc, s34, v15
	s_and_b64 s[42:43], s[4:5], vcc
	s_and_saveexec_b64 s[14:15], s[42:43]
	s_cbranch_execz .LBB64_1003
; %bb.1001:                             ;   in Loop: Header=BB64_1000 Depth=1
	global_load_dword v15, v5, s[36:37]
	s_waitcnt vmcnt(0)
	v_cmp_le_i32_e32 vcc, s34, v15
	s_cbranch_vccnz .LBB64_1003
.LBB64_1002:                            ;   Parent Loop BB64_1000 Depth=1
                                        ; =>  This Inner Loop Header: Depth=2
	buffer_wbinvl1_vol
	global_load_dword v15, v5, s[36:37]
	s_waitcnt vmcnt(0)
	v_cmp_gt_i32_e32 vcc, s34, v15
	s_cbranch_vccnz .LBB64_1002
.LBB64_1003:                            ;   in Loop: Header=BB64_1000 Depth=1
	s_or_b64 exec, exec, s[14:15]
	s_sub_i32 s48, s9, s34
	s_lshl_b32 s49, s48, 6
	buffer_wbinvl1_vol
	s_barrier
	s_and_saveexec_b64 s[14:15], s[12:13]
	s_cbranch_execz .LBB64_1008
; %bb.1004:                             ;   in Loop: Header=BB64_1000 Depth=1
	s_ashr_i32 s42, s49, 31
	v_mov_b32_e32 v7, s42
	v_or_b32_e32 v6, s49, v8
	v_cmp_le_i64_e32 vcc, s[30:31], v[6:7]
	s_and_saveexec_b64 s[42:43], vcc
	s_xor_b64 s[42:43], exec, s[42:43]
; %bb.1005:                             ;   in Loop: Header=BB64_1000 Depth=1
	v_mov_b32_e32 v6, v5
	ds_write_b64 v9, v[5:6]
                                        ; implicit-def: $vgpr6_vgpr7
; %bb.1006:                             ;   in Loop: Header=BB64_1000 Depth=1
	s_andn2_saveexec_b64 s[42:43], s[42:43]
	s_cbranch_execz .LBB64_1008
; %bb.1007:                             ;   in Loop: Header=BB64_1000 Depth=1
	v_mul_lo_u32 v18, v7, s16
	v_mul_lo_u32 v19, v6, s17
	v_mad_u64_u32 v[6:7], s[42:43], v6, s16, 0
	v_add3_u32 v7, v7, v19, v18
	v_lshlrev_b64 v[6:7], 3, v[6:7]
	v_mov_b32_e32 v18, s45
	v_add_co_u32_e32 v6, vcc, s44, v6
	v_addc_co_u32_e32 v7, vcc, v18, v7, vcc
	global_load_dwordx2 v[6:7], v[6:7], off
	s_waitcnt vmcnt(0)
	ds_write_b64 v9, v[6:7]
.LBB64_1008:                            ;   in Loop: Header=BB64_1000 Depth=1
	s_or_b64 exec, exec, s[14:15]
	v_add_u32_e32 v6, s49, v2
	v_ashrrev_i32_e32 v7, 31, v6
	v_mul_lo_u32 v20, s25, v6
	v_mad_u64_u32 v[18:19], s[14:15], s24, v6, 0
	v_mul_lo_u32 v7, s24, v7
	s_cmp_eq_u32 s48, s83
	s_cselect_b64 vcc, -1, 0
	s_waitcnt lgkmcnt(0)
	v_add3_u32 v19, v19, v7, v20
	v_lshlrev_b64 v[18:19], 3, v[18:19]
	s_barrier
	v_add_co_u32_e64 v7, s[14:15], v11, v18
	v_addc_co_u32_e64 v18, s[14:15], v12, v19, s[14:15]
	v_cmp_gt_i32_e64 s[14:15], s30, v6
	s_and_b64 s[42:43], s[10:11], s[14:15]
	s_and_saveexec_b64 s[14:15], s[42:43]
	s_cbranch_execz .LBB64_1010
; %bb.1009:                             ;   in Loop: Header=BB64_1000 Depth=1
	v_mov_b32_e32 v19, s35
	v_cndmask_b32_e32 v20, v18, v19, vcc
	v_cndmask_b32_e32 v19, v7, v13, vcc
	flat_load_dwordx2 v[19:20], v[19:20]
	ds_read_b64 v[21:22], v10
	s_waitcnt vmcnt(0) lgkmcnt(0)
	v_mul_f32_e32 v23, v22, v20
	v_mul_f32_e32 v20, v21, v20
	v_fma_f32 v21, v21, v19, -v23
	v_fmac_f32_e32 v20, v22, v19
	v_add_f32_e32 v3, v3, v21
	v_add_f32_e32 v4, v4, v20
.LBB64_1010:                            ;   in Loop: Header=BB64_1000 Depth=1
	s_or_b64 exec, exec, s[14:15]
	v_add_u32_e32 v19, 16, v6
	v_cmp_gt_i32_e64 s[14:15], s30, v19
	s_and_b64 s[14:15], s[10:11], s[14:15]
	s_and_saveexec_b64 s[42:43], s[14:15]
	s_cbranch_execz .LBB64_1012
; %bb.1011:                             ;   in Loop: Header=BB64_1000 Depth=1
	v_mov_b32_e32 v19, s39
	v_add_co_u32_e64 v21, s[14:15], s38, v7
	v_addc_co_u32_e64 v19, s[14:15], v18, v19, s[14:15]
	v_mov_b32_e32 v20, s35
	v_cndmask_b32_e32 v20, v19, v20, vcc
	v_cndmask_b32_e32 v19, v21, v14, vcc
	flat_load_dwordx2 v[19:20], v[19:20]
	ds_read_b64 v[21:22], v10 offset:128
	s_waitcnt vmcnt(0) lgkmcnt(0)
	v_mul_f32_e32 v23, v22, v20
	v_mul_f32_e32 v20, v21, v20
	v_fma_f32 v21, v21, v19, -v23
	v_fmac_f32_e32 v20, v22, v19
	v_add_f32_e32 v3, v3, v21
	v_add_f32_e32 v4, v4, v20
.LBB64_1012:                            ;   in Loop: Header=BB64_1000 Depth=1
	s_or_b64 exec, exec, s[42:43]
	v_add_u32_e32 v19, 32, v6
	v_cmp_gt_i32_e64 s[14:15], s30, v19
	s_and_b64 s[14:15], s[10:11], s[14:15]
	s_and_saveexec_b64 s[42:43], s[14:15]
	s_cbranch_execz .LBB64_1014
; %bb.1013:                             ;   in Loop: Header=BB64_1000 Depth=1
	v_mov_b32_e32 v19, s41
	v_add_co_u32_e64 v21, s[14:15], s40, v7
	v_addc_co_u32_e64 v19, s[14:15], v18, v19, s[14:15]
	v_mov_b32_e32 v20, s35
	v_cndmask_b32_e32 v20, v19, v20, vcc
	v_cndmask_b32_e32 v19, v21, v16, vcc
	flat_load_dwordx2 v[19:20], v[19:20]
	ds_read_b64 v[21:22], v10 offset:256
	s_waitcnt vmcnt(0) lgkmcnt(0)
	v_mul_f32_e32 v23, v22, v20
	v_mul_f32_e32 v20, v21, v20
	v_fma_f32 v21, v21, v19, -v23
	v_fmac_f32_e32 v20, v22, v19
	v_add_f32_e32 v3, v3, v21
	v_add_f32_e32 v4, v4, v20
.LBB64_1014:                            ;   in Loop: Header=BB64_1000 Depth=1
	s_or_b64 exec, exec, s[42:43]
	v_add_u32_e32 v6, 48, v6
	v_cmp_gt_i32_e64 s[14:15], s30, v6
	s_and_b64 s[14:15], s[10:11], s[14:15]
	s_and_saveexec_b64 s[42:43], s[14:15]
	s_cbranch_execz .LBB64_999
; %bb.1015:                             ;   in Loop: Header=BB64_1000 Depth=1
	v_mov_b32_e32 v6, s46
	v_add_co_u32_e64 v19, s[14:15], s47, v7
	v_addc_co_u32_e64 v6, s[14:15], v18, v6, s[14:15]
	v_mov_b32_e32 v7, s35
	v_cndmask_b32_e32 v7, v6, v7, vcc
	v_cndmask_b32_e32 v6, v19, v17, vcc
	flat_load_dwordx2 v[6:7], v[6:7]
	ds_read_b64 v[18:19], v10 offset:384
	s_waitcnt vmcnt(0) lgkmcnt(0)
	v_mul_f32_e32 v20, v19, v7
	v_mul_f32_e32 v7, v18, v7
	v_fma_f32 v18, v18, v6, -v20
	v_fmac_f32_e32 v7, v19, v6
	v_add_f32_e32 v3, v3, v18
	v_add_f32_e32 v4, v4, v7
	s_branch .LBB64_999
.LBB64_1016:
	s_xor_b64 s[4:5], s[22:23], -1
	s_xor_b64 s[8:9], s[26:27], -1
	v_lshlrev_b32_e32 v1, 3, v1
	ds_write_b64 v1, v[3:4] offset:32768
	s_waitcnt lgkmcnt(0)
	s_barrier
	s_and_saveexec_b64 s[10:11], s[6:7]
	s_cbranch_execz .LBB64_1018
; %bb.1017:
	v_lshlrev_b32_e32 v7, 3, v0
	ds_read2st64_b64 v[9:12], v7 offset0:65 offset1:66
	ds_read2st64_b64 v[13:16], v7 offset0:67 offset1:68
	ds_read_b64 v[17:18], v7 offset:40448
	s_waitcnt lgkmcnt(2)
	v_add_f32_e32 v3, v3, v9
	v_add_f32_e32 v4, v4, v10
	;; [unrolled: 1-line block ×4, first 2 shown]
	ds_read2st64_b64 v[3:6], v7 offset0:69 offset1:70
	s_waitcnt lgkmcnt(2)
	v_add_f32_e32 v9, v9, v13
	v_add_f32_e32 v10, v10, v14
	;; [unrolled: 1-line block ×4, first 2 shown]
	s_waitcnt lgkmcnt(0)
	v_add_f32_e32 v3, v9, v3
	ds_read2st64_b64 v[9:12], v7 offset0:71 offset1:72
	v_add_f32_e32 v4, v13, v4
	v_add_f32_e32 v13, v3, v5
	;; [unrolled: 1-line block ×3, first 2 shown]
	ds_read2st64_b64 v[3:6], v7 offset0:73 offset1:74
	s_waitcnt lgkmcnt(1)
	v_add_f32_e32 v9, v13, v9
	v_add_f32_e32 v10, v14, v10
	;; [unrolled: 1-line block ×4, first 2 shown]
	s_waitcnt lgkmcnt(0)
	v_add_f32_e32 v3, v9, v3
	ds_read2st64_b64 v[9:12], v7 offset0:75 offset1:76
	v_add_f32_e32 v4, v13, v4
	v_add_f32_e32 v13, v3, v5
	;; [unrolled: 1-line block ×3, first 2 shown]
	ds_read2st64_b64 v[3:6], v7 offset0:77 offset1:78
	s_waitcnt lgkmcnt(1)
	v_add_f32_e32 v7, v13, v9
	v_add_f32_e32 v9, v14, v10
	;; [unrolled: 1-line block ×4, first 2 shown]
	s_waitcnt lgkmcnt(0)
	v_add_f32_e32 v3, v7, v3
	v_add_f32_e32 v4, v9, v4
	;; [unrolled: 1-line block ×6, first 2 shown]
	v_cndmask_b32_e64 v3, -v3, 0, s[18:19]
	v_cndmask_b32_e64 v4, -v4, 0, s[18:19]
.LBB64_1018:
	s_or_b64 exec, exec, s[10:11]
	s_andn2_b64 vcc, exec, s[8:9]
	s_cbranch_vccnz .LBB64_1031
; %bb.1019:
	v_mov_b32_e32 v5, 0xa000
	v_lshl_or_b32 v7, v2, 3, v5
	s_and_saveexec_b64 s[8:9], s[6:7]
; %bb.1020:
	v_lshl_add_u32 v5, v0, 3, v7
	ds_write_b64 v5, v[3:4]
; %bb.1021:
	s_or_b64 exec, exec, s[8:9]
	v_cmp_le_u32_e32 vcc, v0, v2
	v_mov_b32_e32 v5, 0
	v_mov_b32_e32 v6, 0
	s_waitcnt lgkmcnt(0)
	s_barrier
	s_and_saveexec_b64 s[8:9], vcc
	s_cbranch_execz .LBB64_1023
; %bb.1022:
	ds_read_b64 v[5:6], v1
	ds_read_b64 v[9:10], v7
	s_waitcnt lgkmcnt(0)
	v_mul_f32_e32 v11, v10, v6
	v_mul_f32_e32 v6, v9, v6
	v_fma_f32 v9, v9, v5, -v11
	v_fmac_f32_e32 v6, v10, v5
	v_add_f32_e32 v5, 0, v9
	v_add_f32_e32 v6, 0, v6
.LBB64_1023:
	s_or_b64 exec, exec, s[8:9]
	v_add_u32_e32 v9, 16, v2
	v_cmp_le_u32_e32 vcc, v0, v9
	s_and_saveexec_b64 s[8:9], vcc
	s_cbranch_execz .LBB64_1025
; %bb.1024:
	ds_read_b64 v[9:10], v1 offset:8192
	ds_read_b64 v[11:12], v7 offset:128
	s_waitcnt lgkmcnt(0)
	v_mul_f32_e32 v13, v12, v10
	v_mul_f32_e32 v10, v11, v10
	v_fma_f32 v11, v11, v9, -v13
	v_fmac_f32_e32 v10, v12, v9
	v_add_f32_e32 v5, v5, v11
	v_add_f32_e32 v6, v6, v10
.LBB64_1025:
	s_or_b64 exec, exec, s[8:9]
	v_add_u32_e32 v9, 32, v2
	v_cmp_le_u32_e32 vcc, v0, v9
	s_and_saveexec_b64 s[8:9], vcc
	s_cbranch_execz .LBB64_1027
; %bb.1026:
	ds_read_b64 v[9:10], v1 offset:16384
	ds_read_b64 v[11:12], v7 offset:256
	s_waitcnt lgkmcnt(0)
	v_mul_f32_e32 v13, v12, v10
	v_mul_f32_e32 v10, v11, v10
	v_fma_f32 v11, v11, v9, -v13
	v_fmac_f32_e32 v10, v12, v9
	v_add_f32_e32 v5, v5, v11
	v_add_f32_e32 v6, v6, v10
.LBB64_1027:
	s_or_b64 exec, exec, s[8:9]
	v_add_u32_e32 v2, 48, v2
	v_add_u32_e32 v9, 0x8000, v1
	v_cmp_le_u32_e32 vcc, v0, v2
	s_and_saveexec_b64 s[8:9], vcc
	s_cbranch_execz .LBB64_1029
; %bb.1028:
	ds_read_b64 v[1:2], v1 offset:24576
	ds_read_b64 v[10:11], v7 offset:384
	s_waitcnt lgkmcnt(0)
	v_mul_f32_e32 v7, v11, v2
	v_mul_f32_e32 v2, v10, v2
	v_fma_f32 v7, v10, v1, -v7
	v_fmac_f32_e32 v2, v11, v1
	v_add_f32_e32 v5, v5, v7
	v_add_f32_e32 v6, v6, v2
.LBB64_1029:
	s_or_b64 exec, exec, s[8:9]
	s_mov_b64 s[10:11], 0
	s_mov_b64 s[8:9], 0
	ds_write_b64 v9, v[5:6]
	s_waitcnt lgkmcnt(0)
	s_barrier
                                        ; implicit-def: $vgpr1
                                        ; implicit-def: $vgpr2
	s_and_saveexec_b64 s[12:13], s[6:7]
	s_cbranch_execz .LBB64_1050
; %bb.1030:
	v_lshlrev_b32_e32 v1, 3, v0
	ds_read2st64_b64 v[9:12], v1 offset0:65 offset1:66
	ds_read2st64_b64 v[13:16], v1 offset0:67 offset1:68
	ds_read_b64 v[17:18], v1 offset:40448
	s_mov_b64 s[8:9], exec
	s_waitcnt lgkmcnt(2)
	v_add_f32_e32 v2, v5, v9
	v_add_f32_e32 v5, v6, v10
	v_add_f32_e32 v2, v2, v11
	v_add_f32_e32 v5, v5, v12
	ds_read2st64_b64 v[9:12], v1 offset0:69 offset1:70
	s_waitcnt lgkmcnt(2)
	v_add_f32_e32 v2, v2, v13
	v_add_f32_e32 v5, v5, v14
	v_add_f32_e32 v2, v2, v15
	v_add_f32_e32 v5, v5, v16
	ds_read2st64_b64 v[13:16], v1 offset0:71 offset1:72
	;; [unrolled: 6-line block ×5, first 2 shown]
	s_waitcnt lgkmcnt(1)
	v_add_f32_e32 v1, v2, v13
	v_add_f32_e32 v2, v5, v14
	;; [unrolled: 1-line block ×4, first 2 shown]
	s_waitcnt lgkmcnt(0)
	v_add_f32_e32 v1, v1, v9
	v_add_f32_e32 v2, v2, v10
	;; [unrolled: 1-line block ×6, first 2 shown]
	s_or_b64 exec, exec, s[12:13]
	s_and_b64 vcc, exec, s[10:11]
	s_cbranch_vccnz .LBB64_1032
	s_branch .LBB64_1051
.LBB64_1031:
	s_mov_b64 s[8:9], 0
                                        ; implicit-def: $vgpr1
                                        ; implicit-def: $vgpr2
	s_cbranch_execz .LBB64_1051
.LBB64_1032:
	s_movk_i32 s10, 0x208
	v_lshlrev_b32_e32 v2, 9, v0
	v_mov_b32_e32 v5, 0x7c00
	v_mul_u32_u24_e32 v1, 0x208, v0
	v_sub_u32_e32 v2, 0, v2
	v_mad_u32_u24 v5, v0, s10, v5
	s_mov_b32 s12, 63
	s_movk_i32 s13, 0x8200
	v_mov_b32_e32 v6, 0
	s_branch .LBB64_1034
.LBB64_1033:                            ;   in Loop: Header=BB64_1034 Depth=1
	s_or_b64 exec, exec, s[10:11]
	s_add_i32 s12, s12, -2
	s_cmp_lg_u32 s14, 0
	v_add_u32_e32 v2, 0xfffffc00, v2
	s_barrier
	s_cbranch_scc0 .LBB64_1042
.LBB64_1034:                            ; =>This Inner Loop Header: Depth=1
	v_cmp_eq_u32_e32 vcc, s13, v2
	s_and_b64 s[14:15], s[6:7], vcc
	s_and_saveexec_b64 s[10:11], s[14:15]
	s_cbranch_execz .LBB64_1036
; %bb.1035:                             ;   in Loop: Header=BB64_1034 Depth=1
	ds_read_b64 v[9:10], v1
	s_waitcnt lgkmcnt(0)
	v_mul_f32_e32 v7, v4, v10
	v_mul_f32_e32 v11, v3, v10
	v_fma_f32 v10, v3, v9, -v7
	v_fmac_f32_e32 v11, v4, v9
	v_mov_b32_e32 v3, v10
	v_mov_b32_e32 v4, v11
	ds_write_b64 v6, v[10:11] offset:41472
.LBB64_1036:                            ;   in Loop: Header=BB64_1034 Depth=1
	s_or_b64 exec, exec, s[10:11]
	v_cmp_gt_u32_e32 vcc, s12, v0
	s_and_b64 s[14:15], s[6:7], vcc
	v_add_u32_e32 v7, v5, v2
	s_waitcnt lgkmcnt(0)
	s_barrier
	s_and_saveexec_b64 s[10:11], s[14:15]
	s_cbranch_execz .LBB64_1038
; %bb.1037:                             ;   in Loop: Header=BB64_1034 Depth=1
	ds_read_b64 v[9:10], v7 offset:512
	ds_read_b64 v[11:12], v6 offset:41472
	s_waitcnt lgkmcnt(0)
	v_mul_f32_e32 v13, v12, v10
	v_mul_f32_e32 v10, v11, v10
	v_fma_f32 v11, v11, v9, -v13
	v_fmac_f32_e32 v10, v12, v9
	v_add_f32_e32 v3, v3, v11
	v_add_f32_e32 v4, v4, v10
.LBB64_1038:                            ;   in Loop: Header=BB64_1034 Depth=1
	s_or_b64 exec, exec, s[10:11]
	s_add_i32 s14, s12, -1
	v_cmp_eq_u32_e32 vcc, s14, v0
	s_and_b64 s[18:19], s[6:7], vcc
	s_barrier
	s_and_saveexec_b64 s[10:11], s[18:19]
	s_cbranch_execz .LBB64_1040
; %bb.1039:                             ;   in Loop: Header=BB64_1034 Depth=1
	ds_read_b64 v[9:10], v1
	s_waitcnt lgkmcnt(0)
	v_mul_f32_e32 v12, v4, v10
	v_mul_f32_e32 v11, v3, v10
	v_fma_f32 v10, v3, v9, -v12
	v_fmac_f32_e32 v11, v4, v9
	v_mov_b32_e32 v3, v10
	v_mov_b32_e32 v4, v11
	ds_write_b64 v6, v[10:11] offset:41472
.LBB64_1040:                            ;   in Loop: Header=BB64_1034 Depth=1
	s_or_b64 exec, exec, s[10:11]
	v_cmp_gt_u32_e32 vcc, s14, v0
	s_and_b64 s[18:19], s[6:7], vcc
	s_waitcnt lgkmcnt(0)
	s_barrier
	s_and_saveexec_b64 s[10:11], s[18:19]
	s_cbranch_execz .LBB64_1033
; %bb.1041:                             ;   in Loop: Header=BB64_1034 Depth=1
	ds_read_b64 v[9:10], v7
	ds_read_b64 v[11:12], v6 offset:41472
	s_waitcnt lgkmcnt(0)
	v_mul_f32_e32 v7, v12, v10
	v_mul_f32_e32 v10, v11, v10
	v_fma_f32 v7, v11, v9, -v7
	v_fmac_f32_e32 v10, v12, v9
	v_add_f32_e32 v3, v3, v7
	v_add_f32_e32 v4, v4, v10
	s_branch .LBB64_1033
.LBB64_1042:
	s_mov_b64 s[10:11], -1
	s_and_b64 vcc, exec, s[4:5]
	s_cbranch_vccnz .LBB64_1052
; %bb.1043:
	s_andn2_b64 vcc, exec, s[10:11]
	s_cbranch_vccz .LBB64_1053
.LBB64_1044:
	s_and_saveexec_b64 s[4:5], s[8:9]
	s_cbranch_execz .LBB64_1046
.LBB64_1045:
	v_mov_b32_e32 v0, s52
	v_add_co_u32_e32 v1, vcc, s33, v8
	v_addc_co_u32_e32 v0, vcc, 0, v0, vcc
	v_mul_lo_u32 v2, v0, s16
	v_mul_lo_u32 v5, v1, s17
	v_mad_u64_u32 v[0:1], s[6:7], v1, s16, 0
	v_add3_u32 v1, v1, v5, v2
	v_lshlrev_b64 v[0:1], 3, v[0:1]
	v_mov_b32_e32 v2, s45
	v_add_co_u32_e32 v0, vcc, s44, v0
	v_addc_co_u32_e32 v1, vcc, v2, v1, vcc
	global_store_dwordx2 v[0:1], v[3:4], off
.LBB64_1046:
	s_or_b64 exec, exec, s[4:5]
	v_cmp_eq_u32_e32 vcc, 0, v8
	s_waitcnt vmcnt(0)
	buffer_wbinvl1_vol
	s_barrier
	s_and_saveexec_b64 s[4:5], vcc
	s_cbranch_execz .LBB64_1048
; %bb.1047:
	s_lshl_b64 s[6:7], s[28:29], 2
	s_add_u32 s6, s20, s6
	s_addc_u32 s7, s21, s7
	v_mov_b32_e32 v0, 0
	global_load_dword v1, v0, s[6:7]
	s_waitcnt vmcnt(0)
	v_add_u32_e32 v1, 1, v1
	global_store_dword v0, v1, s[6:7]
.LBB64_1048:
	s_or_b64 exec, exec, s[4:5]
	s_waitcnt vmcnt(0)
	buffer_wbinvl1_vol
	s_endpgm
.LBB64_1049:
                                        ; implicit-def: $sgpr33
	s_cbranch_execnz .LBB64_18
	s_branch .LBB64_19
.LBB64_1050:
	s_or_b64 exec, exec, s[12:13]
	s_and_b64 vcc, exec, s[10:11]
	s_cbranch_vccnz .LBB64_1032
.LBB64_1051:
	v_mov_b32_e32 v4, v1
	v_mov_b32_e32 v3, v2
	s_and_saveexec_b64 s[4:5], s[8:9]
	s_cbranch_execnz .LBB64_1045
	s_branch .LBB64_1046
.LBB64_1052:
	s_andn2_b64 s[4:5], s[8:9], exec
	s_and_b64 s[8:9], s[6:7], exec
	s_or_b64 s[8:9], s[4:5], s[8:9]
	s_cbranch_execnz .LBB64_1044
.LBB64_1053:
	v_cmp_gt_i32_e32 vcc, s80, v0
	s_and_b64 s[4:5], s[6:7], vcc
	s_andn2_b64 s[6:7], s[8:9], exec
	s_and_b64 s[4:5], s[4:5], exec
	s_or_b64 s[8:9], s[6:7], s[4:5]
	s_and_saveexec_b64 s[4:5], s[8:9]
	s_cbranch_execnz .LBB64_1045
	s_branch .LBB64_1046
.LBB64_1054:
	ds_read_b64 v[14:15], v12 offset:31680
	ds_read_b64 v[16:17], v13 offset:31208
	s_waitcnt lgkmcnt(0)
	v_mul_f32_e32 v18, v17, v15
	v_mul_f32_e32 v15, v16, v15
	v_fma_f32 v16, v16, v14, -v18
	v_fmac_f32_e32 v15, v17, v14
	v_add_f32_e32 v3, v3, v16
	v_add_f32_e32 v4, v4, v15
	s_or_b64 exec, exec, s[16:17]
	v_cmp_gt_u32_e64 s[12:13], 8, v8
	s_and_saveexec_b64 s[16:17], s[12:13]
	s_cbranch_execz .LBB64_155
.LBB64_1055:
	ds_read_b64 v[14:15], v12 offset:32192
	ds_read_b64 v[12:13], v13 offset:31216
	s_waitcnt lgkmcnt(0)
	v_mul_f32_e32 v16, v13, v15
	v_mul_f32_e32 v15, v12, v15
	v_fma_f32 v12, v12, v14, -v16
	v_fmac_f32_e32 v15, v13, v14
	v_add_f32_e32 v3, v3, v12
	v_add_f32_e32 v4, v4, v15
	s_or_b64 exec, exec, s[16:17]
	v_cmp_gt_u32_e64 s[12:13], 4, v8
	s_and_saveexec_b64 s[16:17], s[12:13]
	s_cbranch_execnz .LBB64_156
	s_branch .LBB64_157
.LBB64_1056:
	ds_read_b64 v[17:18], v15 offset:29568
	ds_read_b64 v[19:20], v16 offset:29128
	s_waitcnt lgkmcnt(0)
	v_mul_f32_e32 v21, v20, v18
	v_mul_f32_e32 v18, v19, v18
	v_fma_f32 v19, v19, v17, -v21
	v_fmac_f32_e32 v18, v20, v17
	v_add_f32_e32 v3, v3, v19
	v_add_f32_e32 v4, v4, v18
	s_or_b64 exec, exec, s[20:21]
	v_cmp_gt_u32_e64 s[14:15], 48, v8
	s_and_saveexec_b64 s[20:21], s[14:15]
	s_cbranch_execz .LBB64_193
.LBB64_1057:
	ds_read_b64 v[17:18], v15 offset:30080
	ds_read_b64 v[19:20], v16 offset:29136
	s_waitcnt lgkmcnt(0)
	v_mul_f32_e32 v21, v20, v18
	v_mul_f32_e32 v18, v19, v18
	v_fma_f32 v19, v19, v17, -v21
	v_fmac_f32_e32 v18, v20, v17
	v_add_f32_e32 v3, v3, v19
	v_add_f32_e32 v4, v4, v18
	s_or_b64 exec, exec, s[20:21]
	v_cmp_gt_u32_e64 s[14:15], 40, v8
	s_and_saveexec_b64 s[20:21], s[14:15]
	s_cbranch_execz .LBB64_194
.LBB64_1058:
	ds_read_b64 v[17:18], v15 offset:30592
	ds_read_b64 v[19:20], v16 offset:29144
	s_waitcnt lgkmcnt(0)
	v_mul_f32_e32 v21, v20, v18
	v_mul_f32_e32 v18, v19, v18
	v_fma_f32 v19, v19, v17, -v21
	v_fmac_f32_e32 v18, v20, v17
	v_add_f32_e32 v3, v3, v19
	v_add_f32_e32 v4, v4, v18
	s_or_b64 exec, exec, s[20:21]
	v_cmp_gt_u32_e64 s[14:15], 32, v8
	s_and_saveexec_b64 s[20:21], s[14:15]
	s_cbranch_execz .LBB64_195
.LBB64_1059:
	ds_read_b64 v[17:18], v15 offset:31104
	ds_read_b64 v[19:20], v16 offset:29152
	s_waitcnt lgkmcnt(0)
	v_mul_f32_e32 v21, v20, v18
	v_mul_f32_e32 v18, v19, v18
	v_fma_f32 v19, v19, v17, -v21
	v_fmac_f32_e32 v18, v20, v17
	v_add_f32_e32 v3, v3, v19
	v_add_f32_e32 v4, v4, v18
	s_or_b64 exec, exec, s[20:21]
	v_cmp_gt_u32_e64 s[14:15], 24, v8
	s_and_saveexec_b64 s[20:21], s[14:15]
	s_cbranch_execz .LBB64_196
.LBB64_1060:
	ds_read_b64 v[17:18], v15 offset:31616
	ds_read_b64 v[19:20], v16 offset:29160
	s_waitcnt lgkmcnt(0)
	v_mul_f32_e32 v21, v20, v18
	v_mul_f32_e32 v18, v19, v18
	v_fma_f32 v19, v19, v17, -v21
	v_fmac_f32_e32 v18, v20, v17
	v_add_f32_e32 v3, v3, v19
	v_add_f32_e32 v4, v4, v18
	s_or_b64 exec, exec, s[20:21]
	s_and_saveexec_b64 s[14:15], s[18:19]
	s_cbranch_execz .LBB64_197
.LBB64_1061:
	ds_read_b64 v[17:18], v15 offset:32128
	ds_read_b64 v[15:16], v16 offset:29168
	s_waitcnt lgkmcnt(0)
	v_mul_f32_e32 v19, v16, v18
	v_mul_f32_e32 v18, v15, v18
	v_fma_f32 v15, v15, v17, -v19
	v_fmac_f32_e32 v18, v16, v17
	v_add_f32_e32 v3, v3, v15
	v_add_f32_e32 v4, v4, v18
	s_or_b64 exec, exec, s[14:15]
	v_cmp_gt_u32_e64 s[14:15], 8, v8
	s_and_saveexec_b64 s[20:21], s[14:15]
	s_cbranch_execnz .LBB64_198
	s_branch .LBB64_199
.LBB64_1062:
	ds_read_b64 v[17:18], v15 offset:27520
	ds_read_b64 v[19:20], v16 offset:27048
	s_waitcnt lgkmcnt(0)
	v_mul_f32_e32 v21, v20, v18
	v_mul_f32_e32 v18, v19, v18
	v_fma_f32 v19, v19, v17, -v21
	v_fmac_f32_e32 v18, v20, v17
	v_add_f32_e32 v3, v3, v19
	v_add_f32_e32 v4, v4, v18
	s_or_b64 exec, exec, s[16:17]
	v_cmp_gt_u32_e64 s[12:13], 8, v8
	s_and_saveexec_b64 s[16:17], s[12:13]
	s_cbranch_execz .LBB64_251
.LBB64_1063:
	ds_read_b64 v[17:18], v15 offset:28032
	ds_read_b64 v[15:16], v16 offset:27056
	s_waitcnt lgkmcnt(0)
	v_mul_f32_e32 v19, v16, v18
	v_mul_f32_e32 v18, v15, v18
	v_fma_f32 v15, v15, v17, -v19
	v_fmac_f32_e32 v18, v16, v17
	v_add_f32_e32 v3, v3, v15
	v_add_f32_e32 v4, v4, v18
	s_or_b64 exec, exec, s[16:17]
	v_cmp_gt_u32_e64 s[12:13], 4, v8
	s_and_saveexec_b64 s[16:17], s[12:13]
	s_cbranch_execnz .LBB64_252
	s_branch .LBB64_253
.LBB64_1064:
	ds_read_b64 v[20:21], v18 offset:30464
	ds_read_b64 v[22:23], v19 offset:25048
	s_waitcnt lgkmcnt(0)
	v_mul_f32_e32 v24, v23, v21
	v_mul_f32_e32 v21, v22, v21
	v_fma_f32 v22, v22, v20, -v24
	v_fmac_f32_e32 v21, v23, v20
	v_add_f32_e32 v3, v3, v22
	v_add_f32_e32 v4, v4, v21
	s_or_b64 exec, exec, s[78:79]
	s_and_saveexec_b64 s[16:17], s[10:11]
	s_cbranch_execz .LBB64_309
.LBB64_1065:
	ds_read_b64 v[20:21], v18 offset:30976
	ds_read_b64 v[22:23], v19 offset:25056
	s_waitcnt lgkmcnt(0)
	v_mul_f32_e32 v24, v23, v21
	v_mul_f32_e32 v21, v22, v21
	v_fma_f32 v22, v22, v20, -v24
	v_fmac_f32_e32 v21, v23, v20
	v_add_f32_e32 v3, v3, v22
	v_add_f32_e32 v4, v4, v21
	s_or_b64 exec, exec, s[16:17]
	v_cmp_gt_u32_e64 s[16:17], 48, v8
	s_and_saveexec_b64 s[78:79], s[16:17]
	s_cbranch_execz .LBB64_310
.LBB64_1066:
	ds_read_b64 v[20:21], v18 offset:31488
	ds_read_b64 v[22:23], v19 offset:25064
	s_waitcnt lgkmcnt(0)
	v_mul_f32_e32 v24, v23, v21
	v_mul_f32_e32 v21, v22, v21
	v_fma_f32 v22, v22, v20, -v24
	v_fmac_f32_e32 v21, v23, v20
	v_add_f32_e32 v3, v3, v22
	v_add_f32_e32 v4, v4, v21
	s_or_b64 exec, exec, s[78:79]
	v_cmp_gt_u32_e64 s[16:17], 32, v8
	s_and_saveexec_b64 s[78:79], s[16:17]
	s_cbranch_execz .LBB64_311
.LBB64_1067:
	ds_read_b64 v[20:21], v18 offset:32000
	ds_read_b64 v[18:19], v19 offset:25072
	s_waitcnt lgkmcnt(0)
	v_mul_f32_e32 v22, v19, v21
	v_mul_f32_e32 v21, v18, v21
	v_fma_f32 v18, v18, v20, -v22
	v_fmac_f32_e32 v21, v19, v20
	v_add_f32_e32 v3, v3, v18
	v_add_f32_e32 v4, v4, v21
	s_or_b64 exec, exec, s[78:79]
	v_cmp_gt_u32_e64 s[16:17], 16, v8
	s_and_saveexec_b64 s[78:79], s[16:17]
	s_cbranch_execnz .LBB64_312
	s_branch .LBB64_313
.LBB64_1068:
	ds_read_b64 v[20:21], v18 offset:23360
	ds_read_b64 v[22:23], v19 offset:22888
	s_waitcnt lgkmcnt(0)
	v_mul_f32_e32 v24, v23, v21
	v_mul_f32_e32 v21, v22, v21
	v_fma_f32 v22, v22, v20, -v24
	v_fmac_f32_e32 v21, v23, v20
	v_add_f32_e32 v3, v3, v22
	v_add_f32_e32 v4, v4, v21
	s_or_b64 exec, exec, s[20:21]
	v_cmp_gt_u32_e64 s[14:15], 8, v8
	s_and_saveexec_b64 s[20:21], s[14:15]
	s_cbranch_execz .LBB64_397
.LBB64_1069:
	ds_read_b64 v[20:21], v18 offset:23872
	ds_read_b64 v[18:19], v19 offset:22896
	s_waitcnt lgkmcnt(0)
	v_mul_f32_e32 v22, v19, v21
	v_mul_f32_e32 v21, v18, v21
	v_fma_f32 v18, v18, v20, -v22
	v_fmac_f32_e32 v21, v19, v20
	v_add_f32_e32 v3, v3, v18
	v_add_f32_e32 v4, v4, v21
	s_or_b64 exec, exec, s[20:21]
	v_cmp_gt_u32_e64 s[14:15], 4, v8
	s_and_saveexec_b64 s[20:21], s[14:15]
	s_cbranch_execnz .LBB64_398
	s_branch .LBB64_399
.LBB64_1070:
	ds_read_b64 v[20:21], v18 offset:21248
	ds_read_b64 v[22:23], v19 offset:20808
	s_waitcnt lgkmcnt(0)
	v_mul_f32_e32 v24, v23, v21
	v_mul_f32_e32 v21, v22, v21
	v_fma_f32 v22, v22, v20, -v24
	v_fmac_f32_e32 v21, v23, v20
	v_add_f32_e32 v3, v3, v22
	v_add_f32_e32 v4, v4, v21
	s_or_b64 exec, exec, s[20:21]
	v_cmp_gt_u32_e64 s[14:15], 48, v8
	s_and_saveexec_b64 s[20:21], s[14:15]
	s_cbranch_execz .LBB64_435
.LBB64_1071:
	ds_read_b64 v[20:21], v18 offset:21760
	ds_read_b64 v[22:23], v19 offset:20816
	s_waitcnt lgkmcnt(0)
	v_mul_f32_e32 v24, v23, v21
	v_mul_f32_e32 v21, v22, v21
	v_fma_f32 v22, v22, v20, -v24
	v_fmac_f32_e32 v21, v23, v20
	v_add_f32_e32 v3, v3, v22
	v_add_f32_e32 v4, v4, v21
	s_or_b64 exec, exec, s[20:21]
	v_cmp_gt_u32_e64 s[14:15], 40, v8
	s_and_saveexec_b64 s[20:21], s[14:15]
	s_cbranch_execz .LBB64_436
.LBB64_1072:
	ds_read_b64 v[20:21], v18 offset:22272
	ds_read_b64 v[22:23], v19 offset:20824
	s_waitcnt lgkmcnt(0)
	v_mul_f32_e32 v24, v23, v21
	v_mul_f32_e32 v21, v22, v21
	v_fma_f32 v22, v22, v20, -v24
	v_fmac_f32_e32 v21, v23, v20
	v_add_f32_e32 v3, v3, v22
	v_add_f32_e32 v4, v4, v21
	s_or_b64 exec, exec, s[20:21]
	v_cmp_gt_u32_e64 s[14:15], 32, v8
	s_and_saveexec_b64 s[20:21], s[14:15]
	s_cbranch_execz .LBB64_437
.LBB64_1073:
	ds_read_b64 v[20:21], v18 offset:22784
	ds_read_b64 v[22:23], v19 offset:20832
	s_waitcnt lgkmcnt(0)
	v_mul_f32_e32 v24, v23, v21
	v_mul_f32_e32 v21, v22, v21
	v_fma_f32 v22, v22, v20, -v24
	v_fmac_f32_e32 v21, v23, v20
	v_add_f32_e32 v3, v3, v22
	v_add_f32_e32 v4, v4, v21
	s_or_b64 exec, exec, s[20:21]
	v_cmp_gt_u32_e64 s[14:15], 24, v8
	s_and_saveexec_b64 s[20:21], s[14:15]
	s_cbranch_execz .LBB64_438
.LBB64_1074:
	ds_read_b64 v[20:21], v18 offset:23296
	ds_read_b64 v[22:23], v19 offset:20840
	s_waitcnt lgkmcnt(0)
	v_mul_f32_e32 v24, v23, v21
	v_mul_f32_e32 v21, v22, v21
	v_fma_f32 v22, v22, v20, -v24
	v_fmac_f32_e32 v21, v23, v20
	v_add_f32_e32 v3, v3, v22
	v_add_f32_e32 v4, v4, v21
	s_or_b64 exec, exec, s[20:21]
	s_and_saveexec_b64 s[14:15], s[18:19]
	s_cbranch_execz .LBB64_439
.LBB64_1075:
	ds_read_b64 v[20:21], v18 offset:23808
	ds_read_b64 v[18:19], v19 offset:20848
	s_waitcnt lgkmcnt(0)
	v_mul_f32_e32 v22, v19, v21
	v_mul_f32_e32 v21, v18, v21
	v_fma_f32 v18, v18, v20, -v22
	v_fmac_f32_e32 v21, v19, v20
	v_add_f32_e32 v3, v3, v18
	v_add_f32_e32 v4, v4, v21
	s_or_b64 exec, exec, s[14:15]
	v_cmp_gt_u32_e64 s[14:15], 8, v8
	s_and_saveexec_b64 s[20:21], s[14:15]
	s_cbranch_execnz .LBB64_440
	s_branch .LBB64_441
.LBB64_1076:
	ds_read_b64 v[20:21], v18 offset:19200
	ds_read_b64 v[22:23], v19 offset:18728
	s_waitcnt lgkmcnt(0)
	v_mul_f32_e32 v24, v23, v21
	v_mul_f32_e32 v21, v22, v21
	v_fma_f32 v22, v22, v20, -v24
	v_fmac_f32_e32 v21, v23, v20
	v_add_f32_e32 v3, v3, v22
	v_add_f32_e32 v4, v4, v21
	s_or_b64 exec, exec, s[20:21]
	v_cmp_gt_u32_e64 s[14:15], 8, v8
	s_and_saveexec_b64 s[20:21], s[14:15]
	s_cbranch_execz .LBB64_493
.LBB64_1077:
	ds_read_b64 v[20:21], v18 offset:19712
	ds_read_b64 v[18:19], v19 offset:18736
	s_waitcnt lgkmcnt(0)
	v_mul_f32_e32 v22, v19, v21
	v_mul_f32_e32 v21, v18, v21
	v_fma_f32 v18, v18, v20, -v22
	v_fmac_f32_e32 v21, v19, v20
	v_add_f32_e32 v3, v3, v18
	v_add_f32_e32 v4, v4, v21
	s_or_b64 exec, exec, s[20:21]
	v_cmp_gt_u32_e64 s[14:15], 4, v8
	s_and_saveexec_b64 s[20:21], s[14:15]
	s_cbranch_execnz .LBB64_494
	s_branch .LBB64_495
.LBB64_1078:
	ds_read_b64 v[23:24], v21 offset:31232
	ds_read_b64 v[25:26], v22 offset:16872
	s_waitcnt lgkmcnt(0)
	v_mul_f32_e32 v27, v26, v24
	v_mul_f32_e32 v24, v25, v24
	v_fma_f32 v25, v25, v23, -v27
	v_fmac_f32_e32 v24, v26, v23
	v_add_f32_e32 v3, v3, v25
	v_add_f32_e32 v4, v4, v24
	s_or_b64 exec, exec, s[98:99]
	s_and_saveexec_b64 s[20:21], s[10:11]
	s_cbranch_execz .LBB64_587
.LBB64_1079:
	ds_read_b64 v[23:24], v21 offset:31744
	ds_read_b64 v[25:26], v22 offset:16880
	s_waitcnt lgkmcnt(0)
	v_mul_f32_e32 v27, v26, v24
	v_mul_f32_e32 v24, v25, v24
	v_fma_f32 v25, v25, v23, -v27
	v_fmac_f32_e32 v24, v26, v23
	v_add_f32_e32 v3, v3, v25
	v_add_f32_e32 v4, v4, v24
	s_or_b64 exec, exec, s[20:21]
	v_cmp_gt_u32_e64 s[20:21], 32, v8
	s_and_saveexec_b64 s[98:99], s[20:21]
	s_cbranch_execnz .LBB64_588
	s_branch .LBB64_589
.LBB64_1080:
	ds_read_b64 v[20:21], v18 offset:15040
	ds_read_b64 v[22:23], v19 offset:14568
	s_waitcnt lgkmcnt(0)
	v_mul_f32_e32 v24, v23, v21
	v_mul_f32_e32 v21, v22, v21
	v_fma_f32 v22, v22, v20, -v24
	v_fmac_f32_e32 v21, v23, v20
	v_add_f32_e32 v3, v3, v22
	v_add_f32_e32 v4, v4, v21
	s_or_b64 exec, exec, s[20:21]
	v_cmp_gt_u32_e64 s[14:15], 8, v8
	s_and_saveexec_b64 s[20:21], s[14:15]
	s_cbranch_execz .LBB64_621
.LBB64_1081:
	ds_read_b64 v[20:21], v18 offset:15552
	ds_read_b64 v[18:19], v19 offset:14576
	s_waitcnt lgkmcnt(0)
	v_mul_f32_e32 v22, v19, v21
	v_mul_f32_e32 v21, v18, v21
	v_fma_f32 v18, v18, v20, -v22
	v_fmac_f32_e32 v21, v19, v20
	v_add_f32_e32 v3, v3, v18
	v_add_f32_e32 v4, v4, v21
	s_or_b64 exec, exec, s[20:21]
	v_cmp_gt_u32_e64 s[14:15], 4, v8
	s_and_saveexec_b64 s[20:21], s[14:15]
	s_cbranch_execnz .LBB64_622
	s_branch .LBB64_623
.LBB64_1082:
	ds_read_b64 v[20:21], v18 offset:12928
	ds_read_b64 v[22:23], v19 offset:12488
	s_waitcnt lgkmcnt(0)
	v_mul_f32_e32 v24, v23, v21
	v_mul_f32_e32 v21, v22, v21
	v_fma_f32 v22, v22, v20, -v24
	v_fmac_f32_e32 v21, v23, v20
	v_add_f32_e32 v3, v3, v22
	v_add_f32_e32 v4, v4, v21
	s_or_b64 exec, exec, s[20:21]
	v_cmp_gt_u32_e64 s[14:15], 48, v8
	s_and_saveexec_b64 s[20:21], s[14:15]
	s_cbranch_execz .LBB64_659
.LBB64_1083:
	ds_read_b64 v[20:21], v18 offset:13440
	ds_read_b64 v[22:23], v19 offset:12496
	s_waitcnt lgkmcnt(0)
	v_mul_f32_e32 v24, v23, v21
	v_mul_f32_e32 v21, v22, v21
	v_fma_f32 v22, v22, v20, -v24
	v_fmac_f32_e32 v21, v23, v20
	v_add_f32_e32 v3, v3, v22
	v_add_f32_e32 v4, v4, v21
	s_or_b64 exec, exec, s[20:21]
	v_cmp_gt_u32_e64 s[14:15], 40, v8
	s_and_saveexec_b64 s[20:21], s[14:15]
	s_cbranch_execz .LBB64_660
.LBB64_1084:
	ds_read_b64 v[20:21], v18 offset:13952
	ds_read_b64 v[22:23], v19 offset:12504
	s_waitcnt lgkmcnt(0)
	v_mul_f32_e32 v24, v23, v21
	v_mul_f32_e32 v21, v22, v21
	v_fma_f32 v22, v22, v20, -v24
	v_fmac_f32_e32 v21, v23, v20
	v_add_f32_e32 v3, v3, v22
	v_add_f32_e32 v4, v4, v21
	s_or_b64 exec, exec, s[20:21]
	v_cmp_gt_u32_e64 s[14:15], 32, v8
	s_and_saveexec_b64 s[20:21], s[14:15]
	s_cbranch_execz .LBB64_661
.LBB64_1085:
	ds_read_b64 v[20:21], v18 offset:14464
	ds_read_b64 v[22:23], v19 offset:12512
	s_waitcnt lgkmcnt(0)
	v_mul_f32_e32 v24, v23, v21
	v_mul_f32_e32 v21, v22, v21
	v_fma_f32 v22, v22, v20, -v24
	v_fmac_f32_e32 v21, v23, v20
	v_add_f32_e32 v3, v3, v22
	v_add_f32_e32 v4, v4, v21
	s_or_b64 exec, exec, s[20:21]
	v_cmp_gt_u32_e64 s[14:15], 24, v8
	s_and_saveexec_b64 s[20:21], s[14:15]
	s_cbranch_execz .LBB64_662
.LBB64_1086:
	ds_read_b64 v[20:21], v18 offset:14976
	ds_read_b64 v[22:23], v19 offset:12520
	s_waitcnt lgkmcnt(0)
	v_mul_f32_e32 v24, v23, v21
	v_mul_f32_e32 v21, v22, v21
	v_fma_f32 v22, v22, v20, -v24
	v_fmac_f32_e32 v21, v23, v20
	v_add_f32_e32 v3, v3, v22
	v_add_f32_e32 v4, v4, v21
	s_or_b64 exec, exec, s[20:21]
	s_and_saveexec_b64 s[14:15], s[18:19]
	s_cbranch_execz .LBB64_663
.LBB64_1087:
	ds_read_b64 v[20:21], v18 offset:15488
	ds_read_b64 v[18:19], v19 offset:12528
	s_waitcnt lgkmcnt(0)
	v_mul_f32_e32 v22, v19, v21
	v_mul_f32_e32 v21, v18, v21
	v_fma_f32 v18, v18, v20, -v22
	v_fmac_f32_e32 v21, v19, v20
	v_add_f32_e32 v3, v3, v18
	v_add_f32_e32 v4, v4, v21
	s_or_b64 exec, exec, s[14:15]
	v_cmp_gt_u32_e64 s[14:15], 8, v8
	s_and_saveexec_b64 s[20:21], s[14:15]
	s_cbranch_execnz .LBB64_664
	s_branch .LBB64_665
.LBB64_1088:
	ds_read_b64 v[20:21], v18 offset:10880
	ds_read_b64 v[22:23], v19 offset:10408
	s_waitcnt lgkmcnt(0)
	v_mul_f32_e32 v24, v23, v21
	v_mul_f32_e32 v21, v22, v21
	v_fma_f32 v22, v22, v20, -v24
	v_fmac_f32_e32 v21, v23, v20
	v_add_f32_e32 v3, v3, v22
	v_add_f32_e32 v4, v4, v21
	s_or_b64 exec, exec, s[20:21]
	v_cmp_gt_u32_e64 s[14:15], 8, v8
	s_and_saveexec_b64 s[20:21], s[14:15]
	s_cbranch_execz .LBB64_717
.LBB64_1089:
	ds_read_b64 v[20:21], v18 offset:11392
	ds_read_b64 v[18:19], v19 offset:10416
	s_waitcnt lgkmcnt(0)
	v_mul_f32_e32 v22, v19, v21
	v_mul_f32_e32 v21, v18, v21
	v_fma_f32 v18, v18, v20, -v22
	v_fmac_f32_e32 v21, v19, v20
	v_add_f32_e32 v3, v3, v18
	v_add_f32_e32 v4, v4, v21
	s_or_b64 exec, exec, s[20:21]
	v_cmp_gt_u32_e64 s[14:15], 4, v8
	s_and_saveexec_b64 s[20:21], s[14:15]
	s_cbranch_execnz .LBB64_718
	s_branch .LBB64_719
.LBB64_1090:
	ds_read_b64 v[20:21], v18 offset:13824
	ds_read_b64 v[22:23], v19 offset:8408
	s_waitcnt lgkmcnt(0)
	v_mul_f32_e32 v24, v23, v21
	v_mul_f32_e32 v21, v22, v21
	v_fma_f32 v22, v22, v20, -v24
	v_fmac_f32_e32 v21, v23, v20
	v_add_f32_e32 v3, v3, v22
	v_add_f32_e32 v4, v4, v21
	s_or_b64 exec, exec, s[20:21]
	s_and_saveexec_b64 s[14:15], s[10:11]
	s_cbranch_execz .LBB64_775
.LBB64_1091:
	ds_read_b64 v[20:21], v18 offset:14336
	ds_read_b64 v[22:23], v19 offset:8416
	s_waitcnt lgkmcnt(0)
	v_mul_f32_e32 v24, v23, v21
	v_mul_f32_e32 v21, v22, v21
	v_fma_f32 v22, v22, v20, -v24
	v_fmac_f32_e32 v21, v23, v20
	v_add_f32_e32 v3, v3, v22
	v_add_f32_e32 v4, v4, v21
	s_or_b64 exec, exec, s[14:15]
	v_cmp_gt_u32_e64 s[14:15], 48, v8
	s_and_saveexec_b64 s[20:21], s[14:15]
	s_cbranch_execz .LBB64_776
.LBB64_1092:
	ds_read_b64 v[20:21], v18 offset:14848
	ds_read_b64 v[22:23], v19 offset:8424
	s_waitcnt lgkmcnt(0)
	v_mul_f32_e32 v24, v23, v21
	v_mul_f32_e32 v21, v22, v21
	v_fma_f32 v22, v22, v20, -v24
	v_fmac_f32_e32 v21, v23, v20
	v_add_f32_e32 v3, v3, v22
	v_add_f32_e32 v4, v4, v21
	s_or_b64 exec, exec, s[20:21]
	v_cmp_gt_u32_e64 s[14:15], 32, v8
	s_and_saveexec_b64 s[20:21], s[14:15]
	s_cbranch_execz .LBB64_777
.LBB64_1093:
	ds_read_b64 v[20:21], v18 offset:15360
	ds_read_b64 v[18:19], v19 offset:8432
	s_waitcnt lgkmcnt(0)
	v_mul_f32_e32 v22, v19, v21
	v_mul_f32_e32 v21, v18, v21
	v_fma_f32 v18, v18, v20, -v22
	v_fmac_f32_e32 v21, v19, v20
	v_add_f32_e32 v3, v3, v18
	v_add_f32_e32 v4, v4, v21
	s_or_b64 exec, exec, s[20:21]
	v_cmp_gt_u32_e64 s[14:15], 16, v8
	s_and_saveexec_b64 s[20:21], s[14:15]
	s_cbranch_execnz .LBB64_778
	s_branch .LBB64_779
.LBB64_1094:
	ds_read_b64 v[17:18], v15 offset:6720
	ds_read_b64 v[19:20], v16 offset:6248
	s_waitcnt lgkmcnt(0)
	v_mul_f32_e32 v21, v20, v18
	v_mul_f32_e32 v18, v19, v18
	v_fma_f32 v19, v19, v17, -v21
	v_fmac_f32_e32 v18, v20, v17
	v_add_f32_e32 v3, v3, v19
	v_add_f32_e32 v4, v4, v18
	s_or_b64 exec, exec, s[16:17]
	v_cmp_gt_u32_e64 s[12:13], 8, v8
	s_and_saveexec_b64 s[16:17], s[12:13]
	s_cbranch_execz .LBB64_863
.LBB64_1095:
	ds_read_b64 v[17:18], v15 offset:7232
	ds_read_b64 v[15:16], v16 offset:6256
	s_waitcnt lgkmcnt(0)
	v_mul_f32_e32 v19, v16, v18
	v_mul_f32_e32 v18, v15, v18
	v_fma_f32 v15, v15, v17, -v19
	v_fmac_f32_e32 v18, v16, v17
	v_add_f32_e32 v3, v3, v15
	v_add_f32_e32 v4, v4, v18
	s_or_b64 exec, exec, s[16:17]
	v_cmp_gt_u32_e64 s[12:13], 4, v8
	s_and_saveexec_b64 s[16:17], s[12:13]
	s_cbranch_execnz .LBB64_864
	s_branch .LBB64_865
.LBB64_1096:
	ds_read_b64 v[17:18], v15 offset:4608
	ds_read_b64 v[19:20], v16 offset:4168
	s_waitcnt lgkmcnt(0)
	v_mul_f32_e32 v21, v20, v18
	v_mul_f32_e32 v18, v19, v18
	v_fma_f32 v19, v19, v17, -v21
	v_fmac_f32_e32 v18, v20, v17
	v_add_f32_e32 v3, v3, v19
	v_add_f32_e32 v4, v4, v18
	s_or_b64 exec, exec, s[16:17]
	v_cmp_gt_u32_e64 s[12:13], 48, v8
	s_and_saveexec_b64 s[16:17], s[12:13]
	s_cbranch_execz .LBB64_901
.LBB64_1097:
	ds_read_b64 v[17:18], v15 offset:5120
	ds_read_b64 v[19:20], v16 offset:4176
	s_waitcnt lgkmcnt(0)
	v_mul_f32_e32 v21, v20, v18
	v_mul_f32_e32 v18, v19, v18
	v_fma_f32 v19, v19, v17, -v21
	v_fmac_f32_e32 v18, v20, v17
	v_add_f32_e32 v3, v3, v19
	v_add_f32_e32 v4, v4, v18
	s_or_b64 exec, exec, s[16:17]
	v_cmp_gt_u32_e64 s[12:13], 40, v8
	s_and_saveexec_b64 s[16:17], s[12:13]
	s_cbranch_execz .LBB64_902
.LBB64_1098:
	ds_read_b64 v[17:18], v15 offset:5632
	ds_read_b64 v[19:20], v16 offset:4184
	s_waitcnt lgkmcnt(0)
	v_mul_f32_e32 v21, v20, v18
	v_mul_f32_e32 v18, v19, v18
	v_fma_f32 v19, v19, v17, -v21
	v_fmac_f32_e32 v18, v20, v17
	v_add_f32_e32 v3, v3, v19
	v_add_f32_e32 v4, v4, v18
	s_or_b64 exec, exec, s[16:17]
	v_cmp_gt_u32_e64 s[12:13], 32, v8
	s_and_saveexec_b64 s[16:17], s[12:13]
	s_cbranch_execz .LBB64_903
.LBB64_1099:
	ds_read_b64 v[17:18], v15 offset:6144
	ds_read_b64 v[19:20], v16 offset:4192
	s_waitcnt lgkmcnt(0)
	v_mul_f32_e32 v21, v20, v18
	v_mul_f32_e32 v18, v19, v18
	v_fma_f32 v19, v19, v17, -v21
	v_fmac_f32_e32 v18, v20, v17
	v_add_f32_e32 v3, v3, v19
	v_add_f32_e32 v4, v4, v18
	s_or_b64 exec, exec, s[16:17]
	v_cmp_gt_u32_e64 s[12:13], 24, v8
	s_and_saveexec_b64 s[16:17], s[12:13]
	s_cbranch_execz .LBB64_904
.LBB64_1100:
	ds_read_b64 v[17:18], v15 offset:6656
	ds_read_b64 v[19:20], v16 offset:4200
	s_waitcnt lgkmcnt(0)
	v_mul_f32_e32 v21, v20, v18
	v_mul_f32_e32 v18, v19, v18
	v_fma_f32 v19, v19, v17, -v21
	v_fmac_f32_e32 v18, v20, v17
	v_add_f32_e32 v3, v3, v19
	v_add_f32_e32 v4, v4, v18
	s_or_b64 exec, exec, s[16:17]
	s_and_saveexec_b64 s[12:13], s[18:19]
	s_cbranch_execz .LBB64_905
.LBB64_1101:
	ds_read_b64 v[17:18], v15 offset:7168
	ds_read_b64 v[15:16], v16 offset:4208
	s_waitcnt lgkmcnt(0)
	v_mul_f32_e32 v19, v16, v18
	v_mul_f32_e32 v18, v15, v18
	v_fma_f32 v15, v15, v17, -v19
	v_fmac_f32_e32 v18, v16, v17
	v_add_f32_e32 v3, v3, v15
	v_add_f32_e32 v4, v4, v18
	s_or_b64 exec, exec, s[12:13]
	v_cmp_gt_u32_e64 s[12:13], 8, v8
	s_and_saveexec_b64 s[16:17], s[12:13]
	s_cbranch_execnz .LBB64_906
	s_branch .LBB64_907
.LBB64_1102:
	ds_read_b64 v[14:15], v12 offset:2560
	ds_read_b64 v[16:17], v13 offset:2088
	s_waitcnt lgkmcnt(0)
	v_mul_f32_e32 v18, v17, v15
	v_mul_f32_e32 v15, v16, v15
	v_fma_f32 v16, v16, v14, -v18
	v_fmac_f32_e32 v15, v17, v14
	v_add_f32_e32 v3, v3, v16
	v_add_f32_e32 v4, v4, v15
	s_or_b64 exec, exec, s[14:15]
	v_cmp_gt_u32_e64 s[10:11], 8, v8
	s_and_saveexec_b64 s[14:15], s[10:11]
	s_cbranch_execz .LBB64_959
.LBB64_1103:
	ds_read_b64 v[14:15], v12 offset:3072
	ds_read_b64 v[12:13], v13 offset:2096
	s_waitcnt lgkmcnt(0)
	v_mul_f32_e32 v16, v13, v15
	v_mul_f32_e32 v15, v12, v15
	v_fma_f32 v12, v12, v14, -v16
	v_fmac_f32_e32 v15, v13, v14
	v_add_f32_e32 v3, v3, v12
	v_add_f32_e32 v4, v4, v15
	s_or_b64 exec, exec, s[14:15]
	v_cmp_gt_u32_e64 s[10:11], 4, v8
	s_and_saveexec_b64 s[14:15], s[10:11]
	s_cbranch_execnz .LBB64_960
	s_branch .LBB64_961
	.section	.rodata,"a",@progbits
	.p2align	6, 0x0
	.amdhsa_kernel _ZL19rocblas_trsv_deviceILi64ELi16ELb0ELb0ELb0ELb0E19rocblas_complex_numIfES1_PKS1_PS1_EviT7_lllT6_T8_lllPii
		.amdhsa_group_segment_fixed_size 41480
		.amdhsa_private_segment_fixed_size 48
		.amdhsa_kernarg_size 352
		.amdhsa_user_sgpr_count 8
		.amdhsa_user_sgpr_private_segment_buffer 1
		.amdhsa_user_sgpr_dispatch_ptr 0
		.amdhsa_user_sgpr_queue_ptr 0
		.amdhsa_user_sgpr_kernarg_segment_ptr 1
		.amdhsa_user_sgpr_dispatch_id 0
		.amdhsa_user_sgpr_flat_scratch_init 1
		.amdhsa_user_sgpr_private_segment_size 0
		.amdhsa_uses_dynamic_stack 0
		.amdhsa_system_sgpr_private_segment_wavefront_offset 1
		.amdhsa_system_sgpr_workgroup_id_x 1
		.amdhsa_system_sgpr_workgroup_id_y 0
		.amdhsa_system_sgpr_workgroup_id_z 1
		.amdhsa_system_sgpr_workgroup_info 0
		.amdhsa_system_vgpr_workitem_id 1
		.amdhsa_next_free_vgpr 49
		.amdhsa_next_free_sgpr 100
		.amdhsa_reserve_vcc 1
		.amdhsa_reserve_flat_scratch 1
		.amdhsa_float_round_mode_32 0
		.amdhsa_float_round_mode_16_64 0
		.amdhsa_float_denorm_mode_32 3
		.amdhsa_float_denorm_mode_16_64 3
		.amdhsa_dx10_clamp 1
		.amdhsa_ieee_mode 1
		.amdhsa_fp16_overflow 0
		.amdhsa_exception_fp_ieee_invalid_op 0
		.amdhsa_exception_fp_denorm_src 0
		.amdhsa_exception_fp_ieee_div_zero 0
		.amdhsa_exception_fp_ieee_overflow 0
		.amdhsa_exception_fp_ieee_underflow 0
		.amdhsa_exception_fp_ieee_inexact 0
		.amdhsa_exception_int_div_zero 0
	.end_amdhsa_kernel
	.section	.text._ZL19rocblas_trsv_deviceILi64ELi16ELb0ELb0ELb0ELb0E19rocblas_complex_numIfES1_PKS1_PS1_EviT7_lllT6_T8_lllPii,"axG",@progbits,_ZL19rocblas_trsv_deviceILi64ELi16ELb0ELb0ELb0ELb0E19rocblas_complex_numIfES1_PKS1_PS1_EviT7_lllT6_T8_lllPii,comdat
.Lfunc_end64:
	.size	_ZL19rocblas_trsv_deviceILi64ELi16ELb0ELb0ELb0ELb0E19rocblas_complex_numIfES1_PKS1_PS1_EviT7_lllT6_T8_lllPii, .Lfunc_end64-_ZL19rocblas_trsv_deviceILi64ELi16ELb0ELb0ELb0ELb0E19rocblas_complex_numIfES1_PKS1_PS1_EviT7_lllT6_T8_lllPii
                                        ; -- End function
	.set _ZL19rocblas_trsv_deviceILi64ELi16ELb0ELb0ELb0ELb0E19rocblas_complex_numIfES1_PKS1_PS1_EviT7_lllT6_T8_lllPii.num_vgpr, 31
	.set _ZL19rocblas_trsv_deviceILi64ELi16ELb0ELb0ELb0ELb0E19rocblas_complex_numIfES1_PKS1_PS1_EviT7_lllT6_T8_lllPii.num_agpr, 0
	.set _ZL19rocblas_trsv_deviceILi64ELi16ELb0ELb0ELb0ELb0E19rocblas_complex_numIfES1_PKS1_PS1_EviT7_lllT6_T8_lllPii.numbered_sgpr, 100
	.set _ZL19rocblas_trsv_deviceILi64ELi16ELb0ELb0ELb0ELb0E19rocblas_complex_numIfES1_PKS1_PS1_EviT7_lllT6_T8_lllPii.num_named_barrier, 0
	.set _ZL19rocblas_trsv_deviceILi64ELi16ELb0ELb0ELb0ELb0E19rocblas_complex_numIfES1_PKS1_PS1_EviT7_lllT6_T8_lllPii.private_seg_size, 48
	.set _ZL19rocblas_trsv_deviceILi64ELi16ELb0ELb0ELb0ELb0E19rocblas_complex_numIfES1_PKS1_PS1_EviT7_lllT6_T8_lllPii.uses_vcc, 1
	.set _ZL19rocblas_trsv_deviceILi64ELi16ELb0ELb0ELb0ELb0E19rocblas_complex_numIfES1_PKS1_PS1_EviT7_lllT6_T8_lllPii.uses_flat_scratch, 1
	.set _ZL19rocblas_trsv_deviceILi64ELi16ELb0ELb0ELb0ELb0E19rocblas_complex_numIfES1_PKS1_PS1_EviT7_lllT6_T8_lllPii.has_dyn_sized_stack, 0
	.set _ZL19rocblas_trsv_deviceILi64ELi16ELb0ELb0ELb0ELb0E19rocblas_complex_numIfES1_PKS1_PS1_EviT7_lllT6_T8_lllPii.has_recursion, 0
	.set _ZL19rocblas_trsv_deviceILi64ELi16ELb0ELb0ELb0ELb0E19rocblas_complex_numIfES1_PKS1_PS1_EviT7_lllT6_T8_lllPii.has_indirect_call, 0
	.section	.AMDGPU.csdata,"",@progbits
; Kernel info:
; codeLenInByte = 45472
; TotalNumSgprs: 106
; NumVgprs: 31
; ScratchSize: 48
; MemoryBound: 1
; FloatMode: 240
; IeeeMode: 1
; LDSByteSize: 41480 bytes/workgroup (compile time only)
; SGPRBlocks: 13
; VGPRBlocks: 12
; NumSGPRsForWavesPerEU: 106
; NumVGPRsForWavesPerEU: 49
; Occupancy: 4
; WaveLimiterHint : 0
; COMPUTE_PGM_RSRC2:SCRATCH_EN: 1
; COMPUTE_PGM_RSRC2:USER_SGPR: 8
; COMPUTE_PGM_RSRC2:TRAP_HANDLER: 0
; COMPUTE_PGM_RSRC2:TGID_X_EN: 1
; COMPUTE_PGM_RSRC2:TGID_Y_EN: 0
; COMPUTE_PGM_RSRC2:TGID_Z_EN: 1
; COMPUTE_PGM_RSRC2:TIDIG_COMP_CNT: 1
	.section	.text._ZL19rocblas_trsv_deviceILi64ELi16ELb0ELb1ELb0ELb0E19rocblas_complex_numIfES1_PKS1_PS1_EviT7_lllT6_T8_lllPii,"axG",@progbits,_ZL19rocblas_trsv_deviceILi64ELi16ELb0ELb1ELb0ELb0E19rocblas_complex_numIfES1_PKS1_PS1_EviT7_lllT6_T8_lllPii,comdat
	.globl	_ZL19rocblas_trsv_deviceILi64ELi16ELb0ELb1ELb0ELb0E19rocblas_complex_numIfES1_PKS1_PS1_EviT7_lllT6_T8_lllPii ; -- Begin function _ZL19rocblas_trsv_deviceILi64ELi16ELb0ELb1ELb0ELb0E19rocblas_complex_numIfES1_PKS1_PS1_EviT7_lllT6_T8_lllPii
	.p2align	8
	.type	_ZL19rocblas_trsv_deviceILi64ELi16ELb0ELb1ELb0ELb0E19rocblas_complex_numIfES1_PKS1_PS1_EviT7_lllT6_T8_lllPii,@function
_ZL19rocblas_trsv_deviceILi64ELi16ELb0ELb1ELb0ELb0E19rocblas_complex_numIfES1_PKS1_PS1_EviT7_lllT6_T8_lllPii: ; @_ZL19rocblas_trsv_deviceILi64ELi16ELb0ELb1ELb0ELb0E19rocblas_complex_numIfES1_PKS1_PS1_EviT7_lllT6_T8_lllPii
; %bb.0:
	s_mov_b32 s34, s9
	s_load_dwordx8 s[24:31], s[4:5], 0x8
	s_load_dword s9, s[4:5], 0x0
	s_add_u32 flat_scratch_lo, s6, s10
	s_addc_u32 flat_scratch_hi, s7, 0
	s_add_u32 s0, s0, s10
	s_waitcnt lgkmcnt(0)
	s_mul_i32 s6, s31, s34
	s_mul_hi_u32 s7, s30, s34
	s_addc_u32 s1, s1, 0
	s_add_i32 s7, s7, s6
	s_mul_i32 s6, s30, s34
	s_lshl_b64 s[6:7], s[6:7], 3
	s_add_u32 s10, s24, s6
	s_addc_u32 s11, s25, s7
	s_load_dwordx2 s[24:25], s[4:5], 0x28
	s_load_dword s87, s[4:5], 0x6c
	s_lshl_b64 s[6:7], s[26:27], 3
	s_add_u32 s31, s10, s6
	s_mov_b32 s35, 0
	s_addc_u32 s86, s11, s7
	v_mov_b32_e32 v2, v1
	s_cmp_eq_u32 s8, 0
	s_mov_b32 s33, s35
	s_cbranch_scc1 .LBB65_18
; %bb.1:
	s_lshl_b32 s33, s8, 6
	v_add_u32_e32 v1, s33, v0
	v_ashrrev_i32_e32 v3, 31, v1
	v_mul_lo_u32 v7, s28, v3
	v_mul_lo_u32 v8, s29, v1
	v_mad_u64_u32 v[3:4], s[6:7], s28, v1, 0
	v_add_u32_e32 v5, s33, v2
	v_subrev_u32_e32 v5, 64, v5
	v_add3_u32 v4, v4, v7, v8
	v_lshlrev_b64 v[3:4], 3, v[3:4]
	v_ashrrev_i32_e32 v6, 31, v5
	v_mov_b32_e32 v7, s86
	v_add_co_u32_e64 v8, s[6:7], s31, v3
	v_addc_co_u32_e64 v7, s[6:7], v7, v4, s[6:7]
	v_lshlrev_b64 v[3:4], 3, v[5:6]
	v_cmp_gt_i32_e32 vcc, s9, v1
	v_add_co_u32_e64 v3, s[6:7], v8, v3
	v_addc_co_u32_e64 v4, s[6:7], v7, v4, s[6:7]
	v_max_i32_e32 v1, v5, v1
	v_cmp_le_i32_e64 s[6:7], s9, v1
	s_waitcnt lgkmcnt(0)
	s_barrier
	s_and_saveexec_b64 s[10:11], s[6:7]
	s_xor_b64 s[6:7], exec, s[10:11]
	s_cbranch_execz .LBB65_3
; %bb.2:
	v_mov_b32_e32 v1, 0
	buffer_store_dword v1, off, s[0:3], 0
	buffer_store_dword v1, off, s[0:3], 0 offset:4
.LBB65_3:
	s_andn2_saveexec_b64 s[6:7], s[6:7]
	s_cbranch_execz .LBB65_5
; %bb.4:
	global_load_dwordx2 v[6:7], v[3:4], off
	s_waitcnt vmcnt(0)
	buffer_store_dword v7, off, s[0:3], 0 offset:4
	buffer_store_dword v6, off, s[0:3], 0
.LBB65_5:
	s_or_b64 exec, exec, s[6:7]
	v_add_u32_e32 v1, 16, v5
	v_cmp_le_i32_e64 s[6:7], s9, v1
	s_xor_b64 s[10:11], vcc, -1
	s_or_b64 s[6:7], s[6:7], s[10:11]
	s_waitcnt vmcnt(0)
	s_barrier
	s_and_saveexec_b64 s[12:13], s[6:7]
	s_xor_b64 s[6:7], exec, s[12:13]
	s_cbranch_execz .LBB65_7
; %bb.6:
	v_mov_b32_e32 v1, 0
	buffer_store_dword v1, off, s[0:3], 0 offset:8
	buffer_store_dword v1, off, s[0:3], 0 offset:12
.LBB65_7:
	s_andn2_saveexec_b64 s[6:7], s[6:7]
	s_cbranch_execz .LBB65_9
; %bb.8:
	global_load_dwordx2 v[6:7], v[3:4], off offset:128
	s_waitcnt vmcnt(0)
	buffer_store_dword v7, off, s[0:3], 0 offset:12
	buffer_store_dword v6, off, s[0:3], 0 offset:8
.LBB65_9:
	s_or_b64 exec, exec, s[6:7]
	v_add_u32_e32 v1, 32, v5
	v_cmp_le_i32_e32 vcc, s9, v1
	s_or_b64 s[6:7], vcc, s[10:11]
	s_waitcnt vmcnt(0)
	s_barrier
	s_and_saveexec_b64 s[12:13], s[6:7]
	s_xor_b64 s[6:7], exec, s[12:13]
	s_cbranch_execz .LBB65_11
; %bb.10:
	v_mov_b32_e32 v1, 0
	buffer_store_dword v1, off, s[0:3], 0 offset:16
	buffer_store_dword v1, off, s[0:3], 0 offset:20
.LBB65_11:
	s_andn2_saveexec_b64 s[6:7], s[6:7]
	s_cbranch_execz .LBB65_13
; %bb.12:
	global_load_dwordx2 v[6:7], v[3:4], off offset:256
	s_waitcnt vmcnt(0)
	buffer_store_dword v7, off, s[0:3], 0 offset:20
	buffer_store_dword v6, off, s[0:3], 0 offset:16
.LBB65_13:
	s_or_b64 exec, exec, s[6:7]
	v_add_u32_e32 v1, 48, v5
	v_cmp_le_i32_e32 vcc, s9, v1
	s_or_b64 s[6:7], vcc, s[10:11]
	s_waitcnt vmcnt(0)
	s_barrier
	s_and_saveexec_b64 s[10:11], s[6:7]
	s_xor_b64 s[6:7], exec, s[10:11]
	s_cbranch_execz .LBB65_15
; %bb.14:
	v_mov_b32_e32 v1, 0
	buffer_store_dword v1, off, s[0:3], 0 offset:24
	buffer_store_dword v1, off, s[0:3], 0 offset:28
                                        ; implicit-def: $vgpr3_vgpr4
.LBB65_15:
	s_andn2_saveexec_b64 s[6:7], s[6:7]
	s_cbranch_execz .LBB65_17
; %bb.16:
	global_load_dwordx2 v[3:4], v[3:4], off offset:384
	s_waitcnt vmcnt(0)
	buffer_store_dword v4, off, s[0:3], 0 offset:28
	buffer_store_dword v3, off, s[0:3], 0 offset:24
.LBB65_17:
	s_or_b64 exec, exec, s[6:7]
.LBB65_18:
	s_ashr_i32 s6, s9, 31
	s_lshr_b32 s6, s6, 26
	s_add_i32 s6, s9, s6
	s_andn2_b32 s6, s6, 63
	s_sub_i32 s30, s9, s6
	s_add_i32 s6, s9, -1
	s_ashr_i32 s7, s6, 31
	s_lshr_b32 s7, s7, 26
	s_add_i32 s6, s6, s7
	s_ashr_i32 s6, s6, 6
	s_cmp_eq_u32 s6, s8
	s_cselect_b64 s[6:7], -1, 0
	s_cmp_lg_u32 s30, 0
	s_cselect_b64 s[10:11], -1, 0
	s_and_b64 s[26:27], s[10:11], s[6:7]
	s_cmp_lt_i32 s8, 5
	s_cselect_b64 s[12:13], -1, 0
	s_or_b64 s[6:7], s[12:13], s[26:27]
	s_ashr_i32 s44, s33, 31
	s_add_u32 s14, s28, 1
	v_mov_b32_e32 v1, 0
	v_mov_b32_e32 v3, s33
	v_mad_u64_u32 v[3:4], s[10:11], s14, v3, v[0:1]
	s_addc_u32 s15, s29, 0
	s_mul_i32 s10, s14, s44
	s_mul_i32 s15, s15, s33
	v_lshlrev_b32_e32 v9, 6, v0
	s_add_i32 s10, s10, s15
	s_mov_b64 s[16:17], -1
	v_add_u32_e32 v4, s10, v4
	s_and_b64 vcc, exec, s[26:27]
	v_add_u32_e32 v10, v2, v9
	v_cmp_le_u32_e64 s[10:11], v2, v0
	v_lshl_add_u32 v1, v2, 6, v0
	s_cbranch_vccnz .LBB65_76
; %bb.19:
	v_mad_u64_u32 v[5:6], s[14:15], s28, v2, v[3:4]
	v_cndmask_b32_e64 v11, v1, v10, s[12:13]
	v_mad_u64_u32 v[6:7], s[14:15], s29, v2, v[6:7]
	s_and_saveexec_b64 s[12:13], s[10:11]
	s_xor_b64 s[10:11], exec, s[12:13]
	s_cbranch_execz .LBB65_31
; %bb.20:
	v_cmp_ne_u32_e32 vcc, v0, v2
	s_and_saveexec_b64 s[12:13], vcc
	s_xor_b64 s[12:13], exec, s[12:13]
	s_cbranch_execz .LBB65_24
; %bb.21:
	v_or_b32_e32 v5, v2, v0
	v_cmp_gt_u32_e32 vcc, 64, v5
	s_and_saveexec_b64 s[14:15], vcc
; %bb.22:
	v_mov_b32_e32 v5, 0
	v_lshlrev_b32_e32 v7, 3, v11
	v_mov_b32_e32 v6, v5
	ds_write_b64 v7, v[5:6]
; %bb.23:
	s_or_b64 exec, exec, s[14:15]
                                        ; implicit-def: $vgpr11
                                        ; implicit-def: $vgpr5_vgpr6
.LBB65_24:
	s_andn2_saveexec_b64 s[12:13], s[12:13]
	s_cbranch_execz .LBB65_30
; %bb.25:
	v_lshlrev_b64 v[5:6], 3, v[5:6]
	v_mov_b32_e32 v7, s86
	v_add_co_u32_e32 v5, vcc, s31, v5
	v_addc_co_u32_e32 v6, vcc, v7, v6, vcc
	global_load_dwordx2 v[5:6], v[5:6], off
                                        ; implicit-def: $vgpr7
	s_waitcnt vmcnt(0)
	v_cmp_ngt_f32_e64 s[14:15], |v5|, |v6|
	s_and_saveexec_b64 s[16:17], s[14:15]
	s_xor_b64 s[14:15], exec, s[16:17]
	s_cbranch_execz .LBB65_27
; %bb.26:
	v_div_scale_f32 v7, s[16:17], v6, v6, v5
	v_div_scale_f32 v8, vcc, v5, v6, v5
	v_rcp_f32_e32 v12, v7
	v_fma_f32 v13, -v7, v12, 1.0
	v_fmac_f32_e32 v12, v13, v12
	v_mul_f32_e32 v13, v8, v12
	v_fma_f32 v14, -v7, v13, v8
	v_fmac_f32_e32 v13, v14, v12
	v_fma_f32 v7, -v7, v13, v8
	v_div_fmas_f32 v7, v7, v12, v13
	v_div_fixup_f32 v7, v7, v6, v5
	v_fmac_f32_e32 v6, v5, v7
	v_div_scale_f32 v5, s[16:17], v6, v6, 1.0
	v_div_scale_f32 v8, vcc, 1.0, v6, 1.0
	v_rcp_f32_e32 v12, v5
	v_fma_f32 v13, -v5, v12, 1.0
	v_fmac_f32_e32 v12, v13, v12
	v_mul_f32_e32 v13, v8, v12
	v_fma_f32 v14, -v5, v13, v8
	v_fmac_f32_e32 v13, v14, v12
	v_fma_f32 v5, -v5, v13, v8
	v_div_fmas_f32 v5, v5, v12, v13
	v_div_fixup_f32 v5, v5, v6, 1.0
	v_mul_f32_e32 v7, v7, v5
	v_xor_b32_e32 v8, 0x80000000, v5
                                        ; implicit-def: $vgpr5_vgpr6
.LBB65_27:
	s_andn2_saveexec_b64 s[14:15], s[14:15]
	s_cbranch_execz .LBB65_29
; %bb.28:
	v_div_scale_f32 v7, s[16:17], v5, v5, v6
	v_div_scale_f32 v8, vcc, v6, v5, v6
	v_rcp_f32_e32 v12, v7
	v_fma_f32 v13, -v7, v12, 1.0
	v_fmac_f32_e32 v12, v13, v12
	v_mul_f32_e32 v13, v8, v12
	v_fma_f32 v14, -v7, v13, v8
	v_fmac_f32_e32 v13, v14, v12
	v_fma_f32 v7, -v7, v13, v8
	v_div_fmas_f32 v7, v7, v12, v13
	v_div_fixup_f32 v8, v7, v5, v6
	v_fmac_f32_e32 v5, v6, v8
	v_div_scale_f32 v6, s[16:17], v5, v5, 1.0
	v_div_scale_f32 v7, vcc, 1.0, v5, 1.0
	v_rcp_f32_e32 v12, v6
	v_fma_f32 v13, -v6, v12, 1.0
	v_fmac_f32_e32 v12, v13, v12
	v_mul_f32_e32 v13, v7, v12
	v_fma_f32 v14, -v6, v13, v7
	v_fmac_f32_e32 v13, v14, v12
	v_fma_f32 v6, -v6, v13, v7
	v_div_fmas_f32 v6, v6, v12, v13
	v_div_fixup_f32 v7, v6, v5, 1.0
	v_mul_f32_e64 v8, v8, -v7
.LBB65_29:
	s_or_b64 exec, exec, s[14:15]
	v_lshlrev_b32_e32 v5, 3, v11
	ds_write_b64 v5, v[7:8]
.LBB65_30:
	s_or_b64 exec, exec, s[12:13]
                                        ; implicit-def: $vgpr5_vgpr6
                                        ; implicit-def: $vgpr11
.LBB65_31:
	s_andn2_saveexec_b64 s[10:11], s[10:11]
	s_cbranch_execz .LBB65_33
; %bb.32:
	v_lshlrev_b64 v[5:6], 3, v[5:6]
	v_mov_b32_e32 v7, s86
	v_add_co_u32_e32 v5, vcc, s31, v5
	v_addc_co_u32_e32 v6, vcc, v7, v6, vcc
	global_load_dwordx2 v[5:6], v[5:6], off
	v_lshlrev_b32_e32 v7, 3, v11
	s_waitcnt vmcnt(0)
	v_xor_b32_e32 v5, 0x80000000, v5
	v_xor_b32_e32 v6, 0x80000000, v6
	ds_write_b64 v7, v[5:6]
.LBB65_33:
	s_or_b64 exec, exec, s[10:11]
	v_add_u32_e32 v7, 16, v2
	v_mad_u64_u32 v[5:6], s[10:11], s28, v7, v[3:4]
	v_lshl_add_u32 v8, v7, 6, v0
	v_cmp_le_u32_e32 vcc, v7, v0
	v_mad_u64_u32 v[12:13], s[10:11], s29, v7, v[6:7]
	v_add_u32_e32 v6, v7, v9
	v_cndmask_b32_e64 v11, v8, v6, s[6:7]
	v_mov_b32_e32 v6, v12
	s_and_saveexec_b64 s[10:11], vcc
	s_xor_b64 s[10:11], exec, s[10:11]
	s_cbranch_execz .LBB65_45
; %bb.34:
	v_cmp_ne_u32_e32 vcc, v0, v7
	s_and_saveexec_b64 s[12:13], vcc
	s_xor_b64 s[12:13], exec, s[12:13]
	s_cbranch_execz .LBB65_38
; %bb.35:
	v_or_b32_e32 v5, v7, v0
	v_cmp_gt_u32_e32 vcc, 64, v5
	s_and_saveexec_b64 s[14:15], vcc
; %bb.36:
	v_mov_b32_e32 v5, 0
	v_lshlrev_b32_e32 v7, 3, v11
	v_mov_b32_e32 v6, v5
	ds_write_b64 v7, v[5:6]
; %bb.37:
	s_or_b64 exec, exec, s[14:15]
                                        ; implicit-def: $vgpr11
                                        ; implicit-def: $vgpr5_vgpr6
.LBB65_38:
	s_andn2_saveexec_b64 s[12:13], s[12:13]
	s_cbranch_execz .LBB65_44
; %bb.39:
	v_lshlrev_b64 v[5:6], 3, v[5:6]
	v_mov_b32_e32 v7, s86
	v_add_co_u32_e32 v5, vcc, s31, v5
	v_addc_co_u32_e32 v6, vcc, v7, v6, vcc
	global_load_dwordx2 v[5:6], v[5:6], off
                                        ; implicit-def: $vgpr7
	s_waitcnt vmcnt(0)
	v_cmp_ngt_f32_e64 s[14:15], |v5|, |v6|
	s_and_saveexec_b64 s[16:17], s[14:15]
	s_xor_b64 s[14:15], exec, s[16:17]
	s_cbranch_execz .LBB65_41
; %bb.40:
	v_div_scale_f32 v7, s[16:17], v6, v6, v5
	v_div_scale_f32 v8, vcc, v5, v6, v5
	v_rcp_f32_e32 v12, v7
	v_fma_f32 v13, -v7, v12, 1.0
	v_fmac_f32_e32 v12, v13, v12
	v_mul_f32_e32 v13, v8, v12
	v_fma_f32 v14, -v7, v13, v8
	v_fmac_f32_e32 v13, v14, v12
	v_fma_f32 v7, -v7, v13, v8
	v_div_fmas_f32 v7, v7, v12, v13
	v_div_fixup_f32 v7, v7, v6, v5
	v_fmac_f32_e32 v6, v5, v7
	v_div_scale_f32 v5, s[16:17], v6, v6, 1.0
	v_div_scale_f32 v8, vcc, 1.0, v6, 1.0
	v_rcp_f32_e32 v12, v5
	v_fma_f32 v13, -v5, v12, 1.0
	v_fmac_f32_e32 v12, v13, v12
	v_mul_f32_e32 v13, v8, v12
	v_fma_f32 v14, -v5, v13, v8
	v_fmac_f32_e32 v13, v14, v12
	v_fma_f32 v5, -v5, v13, v8
	v_div_fmas_f32 v5, v5, v12, v13
	v_div_fixup_f32 v5, v5, v6, 1.0
	v_mul_f32_e32 v7, v7, v5
	v_xor_b32_e32 v8, 0x80000000, v5
                                        ; implicit-def: $vgpr5_vgpr6
.LBB65_41:
	s_andn2_saveexec_b64 s[14:15], s[14:15]
	s_cbranch_execz .LBB65_43
; %bb.42:
	v_div_scale_f32 v7, s[16:17], v5, v5, v6
	v_div_scale_f32 v8, vcc, v6, v5, v6
	v_rcp_f32_e32 v12, v7
	v_fma_f32 v13, -v7, v12, 1.0
	v_fmac_f32_e32 v12, v13, v12
	v_mul_f32_e32 v13, v8, v12
	v_fma_f32 v14, -v7, v13, v8
	v_fmac_f32_e32 v13, v14, v12
	v_fma_f32 v7, -v7, v13, v8
	v_div_fmas_f32 v7, v7, v12, v13
	v_div_fixup_f32 v8, v7, v5, v6
	v_fmac_f32_e32 v5, v6, v8
	v_div_scale_f32 v6, s[16:17], v5, v5, 1.0
	v_div_scale_f32 v7, vcc, 1.0, v5, 1.0
	v_rcp_f32_e32 v12, v6
	v_fma_f32 v13, -v6, v12, 1.0
	v_fmac_f32_e32 v12, v13, v12
	v_mul_f32_e32 v13, v7, v12
	v_fma_f32 v14, -v6, v13, v7
	v_fmac_f32_e32 v13, v14, v12
	v_fma_f32 v6, -v6, v13, v7
	v_div_fmas_f32 v6, v6, v12, v13
	v_div_fixup_f32 v7, v6, v5, 1.0
	v_mul_f32_e64 v8, v8, -v7
.LBB65_43:
	s_or_b64 exec, exec, s[14:15]
	v_lshlrev_b32_e32 v5, 3, v11
	ds_write_b64 v5, v[7:8]
.LBB65_44:
	s_or_b64 exec, exec, s[12:13]
                                        ; implicit-def: $vgpr5_vgpr6
                                        ; implicit-def: $vgpr11
.LBB65_45:
	s_andn2_saveexec_b64 s[10:11], s[10:11]
	s_cbranch_execz .LBB65_47
; %bb.46:
	v_lshlrev_b64 v[5:6], 3, v[5:6]
	v_mov_b32_e32 v7, s86
	v_add_co_u32_e32 v5, vcc, s31, v5
	v_addc_co_u32_e32 v6, vcc, v7, v6, vcc
	global_load_dwordx2 v[5:6], v[5:6], off
	v_lshlrev_b32_e32 v7, 3, v11
	s_waitcnt vmcnt(0)
	v_xor_b32_e32 v5, 0x80000000, v5
	v_xor_b32_e32 v6, 0x80000000, v6
	ds_write_b64 v7, v[5:6]
.LBB65_47:
	s_or_b64 exec, exec, s[10:11]
	v_add_u32_e32 v7, 32, v2
	v_mad_u64_u32 v[5:6], s[10:11], s28, v7, v[3:4]
	v_lshl_add_u32 v8, v7, 6, v0
	v_cmp_le_u32_e32 vcc, v7, v0
	v_mad_u64_u32 v[12:13], s[10:11], s29, v7, v[6:7]
	v_add_u32_e32 v6, v7, v9
	v_cndmask_b32_e64 v11, v8, v6, s[6:7]
	v_mov_b32_e32 v6, v12
	s_and_saveexec_b64 s[10:11], vcc
	s_xor_b64 s[10:11], exec, s[10:11]
	s_cbranch_execz .LBB65_59
; %bb.48:
	v_cmp_ne_u32_e32 vcc, v0, v7
	s_and_saveexec_b64 s[12:13], vcc
	s_xor_b64 s[12:13], exec, s[12:13]
	s_cbranch_execz .LBB65_52
; %bb.49:
	v_or_b32_e32 v5, v7, v0
	v_cmp_gt_u32_e32 vcc, 64, v5
	s_and_saveexec_b64 s[14:15], vcc
; %bb.50:
	v_mov_b32_e32 v5, 0
	v_lshlrev_b32_e32 v7, 3, v11
	v_mov_b32_e32 v6, v5
	ds_write_b64 v7, v[5:6]
; %bb.51:
	s_or_b64 exec, exec, s[14:15]
                                        ; implicit-def: $vgpr11
                                        ; implicit-def: $vgpr5_vgpr6
.LBB65_52:
	s_andn2_saveexec_b64 s[12:13], s[12:13]
	s_cbranch_execz .LBB65_58
; %bb.53:
	v_lshlrev_b64 v[5:6], 3, v[5:6]
	v_mov_b32_e32 v7, s86
	v_add_co_u32_e32 v5, vcc, s31, v5
	v_addc_co_u32_e32 v6, vcc, v7, v6, vcc
	global_load_dwordx2 v[5:6], v[5:6], off
                                        ; implicit-def: $vgpr7
	s_waitcnt vmcnt(0)
	v_cmp_ngt_f32_e64 s[14:15], |v5|, |v6|
	s_and_saveexec_b64 s[16:17], s[14:15]
	s_xor_b64 s[14:15], exec, s[16:17]
	s_cbranch_execz .LBB65_55
; %bb.54:
	v_div_scale_f32 v7, s[16:17], v6, v6, v5
	v_div_scale_f32 v8, vcc, v5, v6, v5
	v_rcp_f32_e32 v12, v7
	v_fma_f32 v13, -v7, v12, 1.0
	v_fmac_f32_e32 v12, v13, v12
	v_mul_f32_e32 v13, v8, v12
	v_fma_f32 v14, -v7, v13, v8
	v_fmac_f32_e32 v13, v14, v12
	v_fma_f32 v7, -v7, v13, v8
	v_div_fmas_f32 v7, v7, v12, v13
	v_div_fixup_f32 v7, v7, v6, v5
	v_fmac_f32_e32 v6, v5, v7
	v_div_scale_f32 v5, s[16:17], v6, v6, 1.0
	v_div_scale_f32 v8, vcc, 1.0, v6, 1.0
	v_rcp_f32_e32 v12, v5
	v_fma_f32 v13, -v5, v12, 1.0
	v_fmac_f32_e32 v12, v13, v12
	v_mul_f32_e32 v13, v8, v12
	v_fma_f32 v14, -v5, v13, v8
	v_fmac_f32_e32 v13, v14, v12
	v_fma_f32 v5, -v5, v13, v8
	v_div_fmas_f32 v5, v5, v12, v13
	v_div_fixup_f32 v5, v5, v6, 1.0
	v_mul_f32_e32 v7, v7, v5
	v_xor_b32_e32 v8, 0x80000000, v5
                                        ; implicit-def: $vgpr5_vgpr6
.LBB65_55:
	s_andn2_saveexec_b64 s[14:15], s[14:15]
	s_cbranch_execz .LBB65_57
; %bb.56:
	v_div_scale_f32 v7, s[16:17], v5, v5, v6
	v_div_scale_f32 v8, vcc, v6, v5, v6
	v_rcp_f32_e32 v12, v7
	v_fma_f32 v13, -v7, v12, 1.0
	v_fmac_f32_e32 v12, v13, v12
	v_mul_f32_e32 v13, v8, v12
	v_fma_f32 v14, -v7, v13, v8
	v_fmac_f32_e32 v13, v14, v12
	v_fma_f32 v7, -v7, v13, v8
	v_div_fmas_f32 v7, v7, v12, v13
	v_div_fixup_f32 v8, v7, v5, v6
	v_fmac_f32_e32 v5, v6, v8
	v_div_scale_f32 v6, s[16:17], v5, v5, 1.0
	v_div_scale_f32 v7, vcc, 1.0, v5, 1.0
	v_rcp_f32_e32 v12, v6
	v_fma_f32 v13, -v6, v12, 1.0
	v_fmac_f32_e32 v12, v13, v12
	v_mul_f32_e32 v13, v7, v12
	v_fma_f32 v14, -v6, v13, v7
	v_fmac_f32_e32 v13, v14, v12
	v_fma_f32 v6, -v6, v13, v7
	v_div_fmas_f32 v6, v6, v12, v13
	v_div_fixup_f32 v7, v6, v5, 1.0
	v_mul_f32_e64 v8, v8, -v7
.LBB65_57:
	s_or_b64 exec, exec, s[14:15]
	v_lshlrev_b32_e32 v5, 3, v11
	ds_write_b64 v5, v[7:8]
.LBB65_58:
	s_or_b64 exec, exec, s[12:13]
                                        ; implicit-def: $vgpr5_vgpr6
                                        ; implicit-def: $vgpr11
.LBB65_59:
	s_andn2_saveexec_b64 s[10:11], s[10:11]
	s_cbranch_execz .LBB65_61
; %bb.60:
	v_lshlrev_b64 v[5:6], 3, v[5:6]
	v_mov_b32_e32 v7, s86
	v_add_co_u32_e32 v5, vcc, s31, v5
	v_addc_co_u32_e32 v6, vcc, v7, v6, vcc
	global_load_dwordx2 v[5:6], v[5:6], off
	v_lshlrev_b32_e32 v7, 3, v11
	s_waitcnt vmcnt(0)
	v_xor_b32_e32 v5, 0x80000000, v5
	v_xor_b32_e32 v6, 0x80000000, v6
	ds_write_b64 v7, v[5:6]
.LBB65_61:
	s_or_b64 exec, exec, s[10:11]
	v_add_u32_e32 v7, 48, v2
	v_mad_u64_u32 v[5:6], s[10:11], s28, v7, v[3:4]
	v_lshl_add_u32 v8, v7, 6, v0
	v_cmp_le_u32_e32 vcc, v7, v0
	v_mad_u64_u32 v[12:13], s[10:11], s29, v7, v[6:7]
	v_add_u32_e32 v6, v7, v9
	v_cndmask_b32_e64 v11, v8, v6, s[6:7]
	v_mov_b32_e32 v6, v12
	s_and_saveexec_b64 s[10:11], vcc
	s_xor_b64 s[10:11], exec, s[10:11]
	s_cbranch_execz .LBB65_73
; %bb.62:
	v_cmp_ne_u32_e32 vcc, v0, v7
	s_and_saveexec_b64 s[12:13], vcc
	s_xor_b64 s[12:13], exec, s[12:13]
	s_cbranch_execz .LBB65_66
; %bb.63:
	v_or_b32_e32 v5, v7, v0
	v_cmp_gt_u32_e32 vcc, 64, v5
	s_and_saveexec_b64 s[14:15], vcc
; %bb.64:
	v_mov_b32_e32 v5, 0
	v_lshlrev_b32_e32 v7, 3, v11
	v_mov_b32_e32 v6, v5
	ds_write_b64 v7, v[5:6]
; %bb.65:
	s_or_b64 exec, exec, s[14:15]
                                        ; implicit-def: $vgpr11
                                        ; implicit-def: $vgpr5_vgpr6
.LBB65_66:
	s_andn2_saveexec_b64 s[12:13], s[12:13]
	s_cbranch_execz .LBB65_72
; %bb.67:
	v_lshlrev_b64 v[5:6], 3, v[5:6]
	v_mov_b32_e32 v7, s86
	v_add_co_u32_e32 v5, vcc, s31, v5
	v_addc_co_u32_e32 v6, vcc, v7, v6, vcc
	global_load_dwordx2 v[5:6], v[5:6], off
                                        ; implicit-def: $vgpr7
	s_waitcnt vmcnt(0)
	v_cmp_ngt_f32_e64 s[14:15], |v5|, |v6|
	s_and_saveexec_b64 s[16:17], s[14:15]
	s_xor_b64 s[14:15], exec, s[16:17]
	s_cbranch_execz .LBB65_69
; %bb.68:
	v_div_scale_f32 v7, s[16:17], v6, v6, v5
	v_div_scale_f32 v8, vcc, v5, v6, v5
	v_rcp_f32_e32 v12, v7
	v_fma_f32 v13, -v7, v12, 1.0
	v_fmac_f32_e32 v12, v13, v12
	v_mul_f32_e32 v13, v8, v12
	v_fma_f32 v14, -v7, v13, v8
	v_fmac_f32_e32 v13, v14, v12
	v_fma_f32 v7, -v7, v13, v8
	v_div_fmas_f32 v7, v7, v12, v13
	v_div_fixup_f32 v7, v7, v6, v5
	v_fmac_f32_e32 v6, v5, v7
	v_div_scale_f32 v5, s[16:17], v6, v6, 1.0
	v_div_scale_f32 v8, vcc, 1.0, v6, 1.0
	v_rcp_f32_e32 v12, v5
	v_fma_f32 v13, -v5, v12, 1.0
	v_fmac_f32_e32 v12, v13, v12
	v_mul_f32_e32 v13, v8, v12
	v_fma_f32 v14, -v5, v13, v8
	v_fmac_f32_e32 v13, v14, v12
	v_fma_f32 v5, -v5, v13, v8
	v_div_fmas_f32 v5, v5, v12, v13
	v_div_fixup_f32 v5, v5, v6, 1.0
	v_mul_f32_e32 v7, v7, v5
	v_xor_b32_e32 v8, 0x80000000, v5
                                        ; implicit-def: $vgpr5_vgpr6
.LBB65_69:
	s_andn2_saveexec_b64 s[14:15], s[14:15]
	s_cbranch_execz .LBB65_71
; %bb.70:
	v_div_scale_f32 v7, s[16:17], v5, v5, v6
	v_div_scale_f32 v8, vcc, v6, v5, v6
	v_rcp_f32_e32 v12, v7
	v_fma_f32 v13, -v7, v12, 1.0
	v_fmac_f32_e32 v12, v13, v12
	v_mul_f32_e32 v13, v8, v12
	v_fma_f32 v14, -v7, v13, v8
	v_fmac_f32_e32 v13, v14, v12
	v_fma_f32 v7, -v7, v13, v8
	v_div_fmas_f32 v7, v7, v12, v13
	v_div_fixup_f32 v8, v7, v5, v6
	v_fmac_f32_e32 v5, v6, v8
	v_div_scale_f32 v6, s[16:17], v5, v5, 1.0
	v_div_scale_f32 v7, vcc, 1.0, v5, 1.0
	v_rcp_f32_e32 v12, v6
	v_fma_f32 v13, -v6, v12, 1.0
	v_fmac_f32_e32 v12, v13, v12
	v_mul_f32_e32 v13, v7, v12
	v_fma_f32 v14, -v6, v13, v7
	v_fmac_f32_e32 v13, v14, v12
	v_fma_f32 v6, -v6, v13, v7
	v_div_fmas_f32 v6, v6, v12, v13
	v_div_fixup_f32 v7, v6, v5, 1.0
	v_mul_f32_e64 v8, v8, -v7
.LBB65_71:
	s_or_b64 exec, exec, s[14:15]
	v_lshlrev_b32_e32 v5, 3, v11
	ds_write_b64 v5, v[7:8]
.LBB65_72:
	s_or_b64 exec, exec, s[12:13]
                                        ; implicit-def: $vgpr5_vgpr6
                                        ; implicit-def: $vgpr11
.LBB65_73:
	s_andn2_saveexec_b64 s[10:11], s[10:11]
	s_cbranch_execz .LBB65_75
; %bb.74:
	v_lshlrev_b64 v[5:6], 3, v[5:6]
	v_mov_b32_e32 v7, s86
	v_add_co_u32_e32 v5, vcc, s31, v5
	v_addc_co_u32_e32 v6, vcc, v7, v6, vcc
	global_load_dwordx2 v[5:6], v[5:6], off
	v_lshlrev_b32_e32 v7, 3, v11
	s_waitcnt vmcnt(0)
	v_xor_b32_e32 v5, 0x80000000, v5
	v_xor_b32_e32 v6, 0x80000000, v6
	ds_write_b64 v7, v[5:6]
.LBB65_75:
	s_or_b64 exec, exec, s[10:11]
	s_mov_b64 s[16:17], 0
.LBB65_76:
	s_xor_b64 s[14:15], s[6:7], -1
	s_and_b64 vcc, exec, s[16:17]
	s_cbranch_vccz .LBB65_134
; %bb.77:
	v_mad_u64_u32 v[5:6], s[10:11], s28, v2, v[3:4]
	v_cmp_le_u32_e32 vcc, v2, v0
	v_cmp_gt_i32_e64 s[10:11], s30, v0
	v_mad_u64_u32 v[6:7], s[12:13], s29, v2, v[6:7]
	v_max_i32_e32 v7, v2, v0
	v_cmp_le_i32_e64 s[12:13], s30, v7
	s_or_b64 s[12:13], s[12:13], vcc
	s_and_saveexec_b64 s[16:17], s[12:13]
	s_xor_b64 s[12:13], exec, s[16:17]
	s_cbranch_execz .LBB65_89
; %bb.78:
	v_cmp_ne_u32_e32 vcc, v0, v2
	s_xor_b64 s[16:17], s[10:11], -1
	s_or_b64 s[16:17], s[16:17], vcc
	s_and_saveexec_b64 s[18:19], s[16:17]
	s_xor_b64 s[16:17], exec, s[18:19]
	s_cbranch_execz .LBB65_82
; %bb.79:
	v_or_b32_e32 v5, v2, v0
	v_cmp_gt_u32_e32 vcc, 64, v5
	s_and_saveexec_b64 s[18:19], vcc
; %bb.80:
	v_mov_b32_e32 v5, 0
	v_lshlrev_b32_e32 v7, 3, v10
	v_mov_b32_e32 v6, v5
	ds_write_b64 v7, v[5:6]
; %bb.81:
	s_or_b64 exec, exec, s[18:19]
                                        ; implicit-def: $vgpr10
                                        ; implicit-def: $vgpr5_vgpr6
.LBB65_82:
	s_andn2_saveexec_b64 s[16:17], s[16:17]
	s_cbranch_execz .LBB65_88
; %bb.83:
	v_lshlrev_b64 v[5:6], 3, v[5:6]
	v_mov_b32_e32 v7, s86
	v_add_co_u32_e32 v5, vcc, s31, v5
	v_addc_co_u32_e32 v6, vcc, v7, v6, vcc
	global_load_dwordx2 v[5:6], v[5:6], off
                                        ; implicit-def: $vgpr7
	s_waitcnt vmcnt(0)
	v_cmp_ngt_f32_e64 s[18:19], |v5|, |v6|
	s_and_saveexec_b64 s[20:21], s[18:19]
	s_xor_b64 s[18:19], exec, s[20:21]
	s_cbranch_execz .LBB65_85
; %bb.84:
	v_div_scale_f32 v7, s[20:21], v6, v6, v5
	v_div_scale_f32 v8, vcc, v5, v6, v5
	v_rcp_f32_e32 v11, v7
	v_fma_f32 v12, -v7, v11, 1.0
	v_fmac_f32_e32 v11, v12, v11
	v_mul_f32_e32 v12, v8, v11
	v_fma_f32 v13, -v7, v12, v8
	v_fmac_f32_e32 v12, v13, v11
	v_fma_f32 v7, -v7, v12, v8
	v_div_fmas_f32 v7, v7, v11, v12
	v_div_fixup_f32 v7, v7, v6, v5
	v_fmac_f32_e32 v6, v5, v7
	v_div_scale_f32 v5, s[20:21], v6, v6, 1.0
	v_div_scale_f32 v8, vcc, 1.0, v6, 1.0
	v_rcp_f32_e32 v11, v5
	v_fma_f32 v12, -v5, v11, 1.0
	v_fmac_f32_e32 v11, v12, v11
	v_mul_f32_e32 v12, v8, v11
	v_fma_f32 v13, -v5, v12, v8
	v_fmac_f32_e32 v12, v13, v11
	v_fma_f32 v5, -v5, v12, v8
	v_div_fmas_f32 v5, v5, v11, v12
	v_div_fixup_f32 v5, v5, v6, 1.0
	v_mul_f32_e32 v7, v7, v5
	v_xor_b32_e32 v8, 0x80000000, v5
                                        ; implicit-def: $vgpr5_vgpr6
.LBB65_85:
	s_andn2_saveexec_b64 s[18:19], s[18:19]
	s_cbranch_execz .LBB65_87
; %bb.86:
	v_div_scale_f32 v7, s[20:21], v5, v5, v6
	v_div_scale_f32 v8, vcc, v6, v5, v6
	v_rcp_f32_e32 v11, v7
	v_fma_f32 v12, -v7, v11, 1.0
	v_fmac_f32_e32 v11, v12, v11
	v_mul_f32_e32 v12, v8, v11
	v_fma_f32 v13, -v7, v12, v8
	v_fmac_f32_e32 v12, v13, v11
	v_fma_f32 v7, -v7, v12, v8
	v_div_fmas_f32 v7, v7, v11, v12
	v_div_fixup_f32 v8, v7, v5, v6
	v_fmac_f32_e32 v5, v6, v8
	v_div_scale_f32 v6, s[20:21], v5, v5, 1.0
	v_div_scale_f32 v7, vcc, 1.0, v5, 1.0
	v_rcp_f32_e32 v11, v6
	v_fma_f32 v12, -v6, v11, 1.0
	v_fmac_f32_e32 v11, v12, v11
	v_mul_f32_e32 v12, v7, v11
	v_fma_f32 v13, -v6, v12, v7
	v_fmac_f32_e32 v12, v13, v11
	v_fma_f32 v6, -v6, v12, v7
	v_div_fmas_f32 v6, v6, v11, v12
	v_div_fixup_f32 v7, v6, v5, 1.0
	v_mul_f32_e64 v8, v8, -v7
.LBB65_87:
	s_or_b64 exec, exec, s[18:19]
	v_lshlrev_b32_e32 v5, 3, v10
	ds_write_b64 v5, v[7:8]
.LBB65_88:
	s_or_b64 exec, exec, s[16:17]
                                        ; implicit-def: $vgpr5_vgpr6
                                        ; implicit-def: $vgpr10
.LBB65_89:
	s_andn2_saveexec_b64 s[12:13], s[12:13]
	s_cbranch_execz .LBB65_91
; %bb.90:
	v_lshlrev_b64 v[5:6], 3, v[5:6]
	v_mov_b32_e32 v7, s86
	v_add_co_u32_e32 v5, vcc, s31, v5
	v_addc_co_u32_e32 v6, vcc, v7, v6, vcc
	global_load_dwordx2 v[5:6], v[5:6], off
	v_lshlrev_b32_e32 v7, 3, v10
	s_waitcnt vmcnt(0)
	v_xor_b32_e32 v5, 0x80000000, v5
	v_xor_b32_e32 v6, 0x80000000, v6
	ds_write_b64 v7, v[5:6]
.LBB65_91:
	s_or_b64 exec, exec, s[12:13]
	v_add_u32_e32 v7, 16, v2
	v_mad_u64_u32 v[5:6], s[12:13], s28, v7, v[3:4]
	v_cmp_gt_u32_e32 vcc, v7, v0
	v_add_u32_e32 v8, v7, v9
	v_mad_u64_u32 v[11:12], s[12:13], s29, v7, v[6:7]
	v_cmp_gt_i32_e64 s[12:13], s30, v7
	s_and_b64 s[12:13], vcc, s[12:13]
	v_lshl_add_u32 v6, v7, 6, v0
	s_and_b64 s[12:13], s[10:11], s[12:13]
	v_cndmask_b32_e64 v10, v6, v8, s[6:7]
	v_mov_b32_e32 v6, v11
	s_xor_b64 s[12:13], s[12:13], -1
	s_and_saveexec_b64 s[16:17], s[12:13]
	s_xor_b64 s[12:13], exec, s[16:17]
	s_cbranch_execz .LBB65_103
; %bb.92:
	v_cmp_ne_u32_e32 vcc, v0, v7
	s_xor_b64 s[16:17], s[10:11], -1
	s_or_b64 s[16:17], s[16:17], vcc
	s_and_saveexec_b64 s[18:19], s[16:17]
	s_xor_b64 s[16:17], exec, s[18:19]
	s_cbranch_execz .LBB65_96
; %bb.93:
	v_or_b32_e32 v5, v7, v0
	v_cmp_gt_u32_e32 vcc, 64, v5
	s_and_saveexec_b64 s[18:19], vcc
; %bb.94:
	v_mov_b32_e32 v5, 0
	v_lshlrev_b32_e32 v7, 3, v10
	v_mov_b32_e32 v6, v5
	ds_write_b64 v7, v[5:6]
; %bb.95:
	s_or_b64 exec, exec, s[18:19]
                                        ; implicit-def: $vgpr10
                                        ; implicit-def: $vgpr5_vgpr6
.LBB65_96:
	s_andn2_saveexec_b64 s[16:17], s[16:17]
	s_cbranch_execz .LBB65_102
; %bb.97:
	v_lshlrev_b64 v[5:6], 3, v[5:6]
	v_mov_b32_e32 v7, s86
	v_add_co_u32_e32 v5, vcc, s31, v5
	v_addc_co_u32_e32 v6, vcc, v7, v6, vcc
	global_load_dwordx2 v[5:6], v[5:6], off
                                        ; implicit-def: $vgpr7
	s_waitcnt vmcnt(0)
	v_cmp_ngt_f32_e64 s[18:19], |v5|, |v6|
	s_and_saveexec_b64 s[20:21], s[18:19]
	s_xor_b64 s[18:19], exec, s[20:21]
	s_cbranch_execz .LBB65_99
; %bb.98:
	v_div_scale_f32 v7, s[20:21], v6, v6, v5
	v_div_scale_f32 v8, vcc, v5, v6, v5
	v_rcp_f32_e32 v11, v7
	v_fma_f32 v12, -v7, v11, 1.0
	v_fmac_f32_e32 v11, v12, v11
	v_mul_f32_e32 v12, v8, v11
	v_fma_f32 v13, -v7, v12, v8
	v_fmac_f32_e32 v12, v13, v11
	v_fma_f32 v7, -v7, v12, v8
	v_div_fmas_f32 v7, v7, v11, v12
	v_div_fixup_f32 v7, v7, v6, v5
	v_fmac_f32_e32 v6, v5, v7
	v_div_scale_f32 v5, s[20:21], v6, v6, 1.0
	v_div_scale_f32 v8, vcc, 1.0, v6, 1.0
	v_rcp_f32_e32 v11, v5
	v_fma_f32 v12, -v5, v11, 1.0
	v_fmac_f32_e32 v11, v12, v11
	v_mul_f32_e32 v12, v8, v11
	v_fma_f32 v13, -v5, v12, v8
	v_fmac_f32_e32 v12, v13, v11
	v_fma_f32 v5, -v5, v12, v8
	v_div_fmas_f32 v5, v5, v11, v12
	v_div_fixup_f32 v5, v5, v6, 1.0
	v_mul_f32_e32 v7, v7, v5
	v_xor_b32_e32 v8, 0x80000000, v5
                                        ; implicit-def: $vgpr5_vgpr6
.LBB65_99:
	s_andn2_saveexec_b64 s[18:19], s[18:19]
	s_cbranch_execz .LBB65_101
; %bb.100:
	v_div_scale_f32 v7, s[20:21], v5, v5, v6
	v_div_scale_f32 v8, vcc, v6, v5, v6
	v_rcp_f32_e32 v11, v7
	v_fma_f32 v12, -v7, v11, 1.0
	v_fmac_f32_e32 v11, v12, v11
	v_mul_f32_e32 v12, v8, v11
	v_fma_f32 v13, -v7, v12, v8
	v_fmac_f32_e32 v12, v13, v11
	v_fma_f32 v7, -v7, v12, v8
	v_div_fmas_f32 v7, v7, v11, v12
	v_div_fixup_f32 v8, v7, v5, v6
	v_fmac_f32_e32 v5, v6, v8
	v_div_scale_f32 v6, s[20:21], v5, v5, 1.0
	v_div_scale_f32 v7, vcc, 1.0, v5, 1.0
	v_rcp_f32_e32 v11, v6
	v_fma_f32 v12, -v6, v11, 1.0
	v_fmac_f32_e32 v11, v12, v11
	v_mul_f32_e32 v12, v7, v11
	v_fma_f32 v13, -v6, v12, v7
	v_fmac_f32_e32 v12, v13, v11
	v_fma_f32 v6, -v6, v12, v7
	v_div_fmas_f32 v6, v6, v11, v12
	v_div_fixup_f32 v7, v6, v5, 1.0
	v_mul_f32_e64 v8, v8, -v7
.LBB65_101:
	s_or_b64 exec, exec, s[18:19]
	v_lshlrev_b32_e32 v5, 3, v10
	ds_write_b64 v5, v[7:8]
.LBB65_102:
	s_or_b64 exec, exec, s[16:17]
                                        ; implicit-def: $vgpr5_vgpr6
                                        ; implicit-def: $vgpr10
.LBB65_103:
	s_andn2_saveexec_b64 s[12:13], s[12:13]
	s_cbranch_execz .LBB65_105
; %bb.104:
	v_lshlrev_b64 v[5:6], 3, v[5:6]
	v_mov_b32_e32 v7, s86
	v_add_co_u32_e32 v5, vcc, s31, v5
	v_addc_co_u32_e32 v6, vcc, v7, v6, vcc
	global_load_dwordx2 v[5:6], v[5:6], off
	v_lshlrev_b32_e32 v7, 3, v10
	s_waitcnt vmcnt(0)
	v_xor_b32_e32 v5, 0x80000000, v5
	v_xor_b32_e32 v6, 0x80000000, v6
	ds_write_b64 v7, v[5:6]
.LBB65_105:
	s_or_b64 exec, exec, s[12:13]
	v_add_u32_e32 v7, 32, v2
	v_mad_u64_u32 v[5:6], s[12:13], s28, v7, v[3:4]
	v_cmp_gt_u32_e32 vcc, v7, v0
	v_add_u32_e32 v8, v7, v9
	v_mad_u64_u32 v[11:12], s[12:13], s29, v7, v[6:7]
	v_cmp_gt_i32_e64 s[12:13], s30, v7
	s_and_b64 s[12:13], vcc, s[12:13]
	v_lshl_add_u32 v6, v7, 6, v0
	s_and_b64 s[12:13], s[10:11], s[12:13]
	v_cndmask_b32_e64 v10, v6, v8, s[6:7]
	v_mov_b32_e32 v6, v11
	s_xor_b64 s[12:13], s[12:13], -1
	s_and_saveexec_b64 s[16:17], s[12:13]
	s_xor_b64 s[12:13], exec, s[16:17]
	s_cbranch_execz .LBB65_117
; %bb.106:
	v_cmp_ne_u32_e32 vcc, v0, v7
	s_xor_b64 s[16:17], s[10:11], -1
	s_or_b64 s[16:17], s[16:17], vcc
	s_and_saveexec_b64 s[18:19], s[16:17]
	s_xor_b64 s[16:17], exec, s[18:19]
	s_cbranch_execz .LBB65_110
; %bb.107:
	v_or_b32_e32 v5, v7, v0
	v_cmp_gt_u32_e32 vcc, 64, v5
	s_and_saveexec_b64 s[18:19], vcc
; %bb.108:
	v_mov_b32_e32 v5, 0
	v_lshlrev_b32_e32 v7, 3, v10
	v_mov_b32_e32 v6, v5
	ds_write_b64 v7, v[5:6]
; %bb.109:
	s_or_b64 exec, exec, s[18:19]
                                        ; implicit-def: $vgpr10
                                        ; implicit-def: $vgpr5_vgpr6
.LBB65_110:
	s_andn2_saveexec_b64 s[16:17], s[16:17]
	s_cbranch_execz .LBB65_116
; %bb.111:
	v_lshlrev_b64 v[5:6], 3, v[5:6]
	v_mov_b32_e32 v7, s86
	v_add_co_u32_e32 v5, vcc, s31, v5
	v_addc_co_u32_e32 v6, vcc, v7, v6, vcc
	global_load_dwordx2 v[5:6], v[5:6], off
                                        ; implicit-def: $vgpr7
	s_waitcnt vmcnt(0)
	v_cmp_ngt_f32_e64 s[18:19], |v5|, |v6|
	s_and_saveexec_b64 s[20:21], s[18:19]
	s_xor_b64 s[18:19], exec, s[20:21]
	s_cbranch_execz .LBB65_113
; %bb.112:
	v_div_scale_f32 v7, s[20:21], v6, v6, v5
	v_div_scale_f32 v8, vcc, v5, v6, v5
	v_rcp_f32_e32 v11, v7
	v_fma_f32 v12, -v7, v11, 1.0
	v_fmac_f32_e32 v11, v12, v11
	v_mul_f32_e32 v12, v8, v11
	v_fma_f32 v13, -v7, v12, v8
	v_fmac_f32_e32 v12, v13, v11
	v_fma_f32 v7, -v7, v12, v8
	v_div_fmas_f32 v7, v7, v11, v12
	v_div_fixup_f32 v7, v7, v6, v5
	v_fmac_f32_e32 v6, v5, v7
	v_div_scale_f32 v5, s[20:21], v6, v6, 1.0
	v_div_scale_f32 v8, vcc, 1.0, v6, 1.0
	v_rcp_f32_e32 v11, v5
	v_fma_f32 v12, -v5, v11, 1.0
	v_fmac_f32_e32 v11, v12, v11
	v_mul_f32_e32 v12, v8, v11
	v_fma_f32 v13, -v5, v12, v8
	v_fmac_f32_e32 v12, v13, v11
	v_fma_f32 v5, -v5, v12, v8
	v_div_fmas_f32 v5, v5, v11, v12
	v_div_fixup_f32 v5, v5, v6, 1.0
	v_mul_f32_e32 v7, v7, v5
	v_xor_b32_e32 v8, 0x80000000, v5
                                        ; implicit-def: $vgpr5_vgpr6
.LBB65_113:
	s_andn2_saveexec_b64 s[18:19], s[18:19]
	s_cbranch_execz .LBB65_115
; %bb.114:
	v_div_scale_f32 v7, s[20:21], v5, v5, v6
	v_div_scale_f32 v8, vcc, v6, v5, v6
	v_rcp_f32_e32 v11, v7
	v_fma_f32 v12, -v7, v11, 1.0
	v_fmac_f32_e32 v11, v12, v11
	v_mul_f32_e32 v12, v8, v11
	v_fma_f32 v13, -v7, v12, v8
	v_fmac_f32_e32 v12, v13, v11
	v_fma_f32 v7, -v7, v12, v8
	v_div_fmas_f32 v7, v7, v11, v12
	v_div_fixup_f32 v8, v7, v5, v6
	v_fmac_f32_e32 v5, v6, v8
	v_div_scale_f32 v6, s[20:21], v5, v5, 1.0
	v_div_scale_f32 v7, vcc, 1.0, v5, 1.0
	v_rcp_f32_e32 v11, v6
	v_fma_f32 v12, -v6, v11, 1.0
	v_fmac_f32_e32 v11, v12, v11
	v_mul_f32_e32 v12, v7, v11
	v_fma_f32 v13, -v6, v12, v7
	v_fmac_f32_e32 v12, v13, v11
	v_fma_f32 v6, -v6, v12, v7
	v_div_fmas_f32 v6, v6, v11, v12
	v_div_fixup_f32 v7, v6, v5, 1.0
	v_mul_f32_e64 v8, v8, -v7
.LBB65_115:
	s_or_b64 exec, exec, s[18:19]
	v_lshlrev_b32_e32 v5, 3, v10
	ds_write_b64 v5, v[7:8]
.LBB65_116:
	s_or_b64 exec, exec, s[16:17]
                                        ; implicit-def: $vgpr5_vgpr6
                                        ; implicit-def: $vgpr10
.LBB65_117:
	s_andn2_saveexec_b64 s[12:13], s[12:13]
	s_cbranch_execz .LBB65_119
; %bb.118:
	v_lshlrev_b64 v[5:6], 3, v[5:6]
	v_mov_b32_e32 v7, s86
	v_add_co_u32_e32 v5, vcc, s31, v5
	v_addc_co_u32_e32 v6, vcc, v7, v6, vcc
	global_load_dwordx2 v[5:6], v[5:6], off
	v_lshlrev_b32_e32 v7, 3, v10
	s_waitcnt vmcnt(0)
	v_xor_b32_e32 v5, 0x80000000, v5
	v_xor_b32_e32 v6, 0x80000000, v6
	ds_write_b64 v7, v[5:6]
.LBB65_119:
	s_or_b64 exec, exec, s[12:13]
	v_add_u32_e32 v5, 48, v2
	v_mad_u64_u32 v[3:4], s[12:13], s28, v5, v[3:4]
	v_add_u32_e32 v8, v5, v9
	v_cmp_gt_u32_e32 vcc, v5, v0
	v_mad_u64_u32 v[6:7], s[12:13], s29, v5, v[4:5]
	v_lshl_add_u32 v4, v5, 6, v0
	v_cndmask_b32_e64 v7, v4, v8, s[6:7]
	v_cmp_gt_i32_e64 s[6:7], s30, v5
	s_and_b64 s[6:7], vcc, s[6:7]
	s_and_b64 s[6:7], s[10:11], s[6:7]
	v_mov_b32_e32 v4, v6
	s_xor_b64 s[6:7], s[6:7], -1
	s_and_saveexec_b64 s[12:13], s[6:7]
	s_xor_b64 s[6:7], exec, s[12:13]
	s_cbranch_execz .LBB65_131
; %bb.120:
	v_cmp_ne_u32_e32 vcc, v0, v5
	s_xor_b64 s[10:11], s[10:11], -1
	s_or_b64 s[10:11], s[10:11], vcc
	s_and_saveexec_b64 s[12:13], s[10:11]
	s_xor_b64 s[10:11], exec, s[12:13]
	s_cbranch_execz .LBB65_124
; %bb.121:
	v_or_b32_e32 v3, v5, v0
	v_cmp_gt_u32_e32 vcc, 64, v3
	s_and_saveexec_b64 s[12:13], vcc
; %bb.122:
	v_mov_b32_e32 v3, 0
	v_lshlrev_b32_e32 v5, 3, v7
	v_mov_b32_e32 v4, v3
	ds_write_b64 v5, v[3:4]
; %bb.123:
	s_or_b64 exec, exec, s[12:13]
                                        ; implicit-def: $vgpr7
                                        ; implicit-def: $vgpr3_vgpr4
.LBB65_124:
	s_andn2_saveexec_b64 s[10:11], s[10:11]
	s_cbranch_execz .LBB65_130
; %bb.125:
	v_lshlrev_b64 v[3:4], 3, v[3:4]
	v_mov_b32_e32 v5, s86
	v_add_co_u32_e32 v3, vcc, s31, v3
	v_addc_co_u32_e32 v4, vcc, v5, v4, vcc
	global_load_dwordx2 v[3:4], v[3:4], off
                                        ; implicit-def: $vgpr5
	s_waitcnt vmcnt(0)
	v_cmp_ngt_f32_e64 s[12:13], |v3|, |v4|
	s_and_saveexec_b64 s[16:17], s[12:13]
	s_xor_b64 s[12:13], exec, s[16:17]
	s_cbranch_execz .LBB65_127
; %bb.126:
	v_div_scale_f32 v5, s[16:17], v4, v4, v3
	v_div_scale_f32 v6, vcc, v3, v4, v3
	v_rcp_f32_e32 v8, v5
	v_fma_f32 v9, -v5, v8, 1.0
	v_fmac_f32_e32 v8, v9, v8
	v_mul_f32_e32 v9, v6, v8
	v_fma_f32 v10, -v5, v9, v6
	v_fmac_f32_e32 v9, v10, v8
	v_fma_f32 v5, -v5, v9, v6
	v_div_fmas_f32 v5, v5, v8, v9
	v_div_fixup_f32 v5, v5, v4, v3
	v_fmac_f32_e32 v4, v3, v5
	v_div_scale_f32 v3, s[16:17], v4, v4, 1.0
	v_div_scale_f32 v6, vcc, 1.0, v4, 1.0
	v_rcp_f32_e32 v8, v3
	v_fma_f32 v9, -v3, v8, 1.0
	v_fmac_f32_e32 v8, v9, v8
	v_mul_f32_e32 v9, v6, v8
	v_fma_f32 v10, -v3, v9, v6
	v_fmac_f32_e32 v9, v10, v8
	v_fma_f32 v3, -v3, v9, v6
	v_div_fmas_f32 v3, v3, v8, v9
	v_div_fixup_f32 v3, v3, v4, 1.0
	v_mul_f32_e32 v5, v5, v3
	v_xor_b32_e32 v6, 0x80000000, v3
                                        ; implicit-def: $vgpr3_vgpr4
.LBB65_127:
	s_andn2_saveexec_b64 s[12:13], s[12:13]
	s_cbranch_execz .LBB65_129
; %bb.128:
	v_div_scale_f32 v5, s[16:17], v3, v3, v4
	v_div_scale_f32 v6, vcc, v4, v3, v4
	v_rcp_f32_e32 v8, v5
	v_fma_f32 v9, -v5, v8, 1.0
	v_fmac_f32_e32 v8, v9, v8
	v_mul_f32_e32 v9, v6, v8
	v_fma_f32 v10, -v5, v9, v6
	v_fmac_f32_e32 v9, v10, v8
	v_fma_f32 v5, -v5, v9, v6
	v_div_fmas_f32 v5, v5, v8, v9
	v_div_fixup_f32 v6, v5, v3, v4
	v_fmac_f32_e32 v3, v4, v6
	v_div_scale_f32 v4, s[16:17], v3, v3, 1.0
	v_div_scale_f32 v5, vcc, 1.0, v3, 1.0
	v_rcp_f32_e32 v8, v4
	v_fma_f32 v9, -v4, v8, 1.0
	v_fmac_f32_e32 v8, v9, v8
	v_mul_f32_e32 v9, v5, v8
	v_fma_f32 v10, -v4, v9, v5
	v_fmac_f32_e32 v9, v10, v8
	v_fma_f32 v4, -v4, v9, v5
	v_div_fmas_f32 v4, v4, v8, v9
	v_div_fixup_f32 v5, v4, v3, 1.0
	v_mul_f32_e64 v6, v6, -v5
.LBB65_129:
	s_or_b64 exec, exec, s[12:13]
	v_lshlrev_b32_e32 v3, 3, v7
	ds_write_b64 v3, v[5:6]
.LBB65_130:
	s_or_b64 exec, exec, s[10:11]
                                        ; implicit-def: $vgpr3_vgpr4
                                        ; implicit-def: $vgpr7
.LBB65_131:
	s_andn2_saveexec_b64 s[6:7], s[6:7]
	s_cbranch_execz .LBB65_133
; %bb.132:
	v_lshlrev_b64 v[3:4], 3, v[3:4]
	v_mov_b32_e32 v5, s86
	v_add_co_u32_e32 v3, vcc, s31, v3
	v_addc_co_u32_e32 v4, vcc, v5, v4, vcc
	global_load_dwordx2 v[3:4], v[3:4], off
	v_lshlrev_b32_e32 v5, 3, v7
	s_waitcnt vmcnt(0)
	v_xor_b32_e32 v3, 0x80000000, v3
	v_xor_b32_e32 v4, 0x80000000, v4
	ds_write_b64 v5, v[3:4]
.LBB65_133:
	s_or_b64 exec, exec, s[6:7]
.LBB65_134:
	v_cndmask_b32_e64 v3, 0, 1, s[14:15]
	v_cmp_ne_u32_e64 s[58:59], 1, v3
	s_andn2_b64 vcc, exec, s[14:15]
	s_waitcnt vmcnt(0) lgkmcnt(0)
	s_barrier
	s_cbranch_vccnz .LBB65_1056
; %bb.135:
	v_or_b32_e32 v3, v0, v2
	v_cmp_eq_u32_e32 vcc, 0, v3
	s_and_saveexec_b64 s[6:7], vcc
	s_cbranch_execz .LBB65_137
; %bb.136:
	s_movk_i32 s10, 0x1f0
	v_mov_b32_e32 v3, 0
	v_add_u32_e64 v4, s10, 0
	ds_read_b64 v[7:8], v3 offset:32760
	ds_read2st64_b64 v[3:6], v4 offset0:62 offset1:63
	s_movk_i32 s10, 0x7800
	s_waitcnt lgkmcnt(0)
	v_mul_f32_e32 v10, v7, v4
	v_mul_f32_e32 v9, v8, v4
	v_fmac_f32_e32 v10, v8, v3
	v_fma_f32 v4, v7, v3, -v9
	v_mul_f32_e32 v3, v10, v6
	v_fma_f32 v3, v4, v5, -v3
	v_mul_f32_e32 v4, v4, v6
	v_fmac_f32_e32 v4, v10, v5
	v_add_u32_e64 v5, s10, 0
	ds_write2_b64 v5, v[3:4], v[3:4] offset0:191 offset1:254
.LBB65_137:
	s_or_b64 exec, exec, s[6:7]
	v_lshlrev_b32_e32 v3, 6, v2
	v_add_u32_e32 v8, v3, v0
	v_and_b32_e32 v4, v3, v0
	v_xor_b32_e32 v3, v3, v0
	v_lshrrev_b16_e32 v3, 1, v3
	v_add_u16_e32 v7, v4, v3
	v_and_b32_e32 v5, 1, v0
	v_sub_u32_e32 v6, 1, v7
	v_cmp_lt_u32_e64 s[10:11], 3, v8
	v_cmp_gt_u32_e64 s[22:23], 4, v8
	v_mov_b32_e32 v3, 0
	v_mov_b32_e32 v4, 0
	s_waitcnt lgkmcnt(0)
	s_barrier
	buffer_wbinvl1_vol
	s_and_saveexec_b64 s[6:7], s[22:23]
	s_cbranch_execz .LBB65_141
; %bb.138:
	v_lshlrev_b32_e32 v3, 3, v5
	v_lshlrev_b32_e32 v9, 9, v6
	ds_read_b64 v[3:4], v3 offset:32224
	ds_read_b64 v[9:10], v9 offset:32240
	v_cmp_gt_u32_e64 s[12:13], 2, v8
	s_waitcnt lgkmcnt(0)
	v_mul_f32_e32 v11, v10, v4
	v_mul_f32_e32 v4, v9, v4
	v_fma_f32 v9, v9, v3, -v11
	v_fmac_f32_e32 v4, v10, v3
	v_add_f32_e32 v3, 0, v9
	v_add_f32_e32 v4, 0, v4
	s_and_saveexec_b64 s[14:15], s[12:13]
	s_cbranch_execz .LBB65_140
; %bb.139:
	v_lshlrev_b32_e32 v9, 3, v0
	v_mov_b32_e32 v11, 0
	ds_read_b64 v[9:10], v9 offset:32736
	ds_read_b64 v[11:12], v11 offset:32760
	s_waitcnt lgkmcnt(0)
	v_mul_f32_e32 v13, v12, v10
	v_mul_f32_e32 v10, v11, v10
	v_fma_f32 v11, v11, v9, -v13
	v_fmac_f32_e32 v10, v12, v9
	v_add_f32_e32 v3, v3, v11
	v_add_f32_e32 v4, v4, v10
.LBB65_140:
	s_or_b64 exec, exec, s[14:15]
.LBB65_141:
	s_or_b64 exec, exec, s[6:7]
	v_mov_b32_e32 v9, 0x8000
	v_cmp_ne_u32_e64 s[12:13], 0, v5
	s_xor_b64 s[6:7], s[10:11], -1
	v_lshl_add_u32 v7, v7, 3, v9
	s_and_b64 s[38:39], s[12:13], s[6:7]
	s_and_saveexec_b64 s[10:11], s[38:39]
	s_cbranch_execz .LBB65_143
; %bb.142:
	v_mov_b32_e32 v9, 0
	ds_read_b64 v[9:10], v9 offset:31720
	s_waitcnt lgkmcnt(0)
	v_mul_f32_e32 v11, v4, v10
	v_mul_f32_e32 v12, v3, v10
	v_fma_f32 v3, v3, v9, -v11
	v_fmac_f32_e32 v12, v4, v9
	v_xor_b32_e32 v9, 0x80000000, v3
	v_xor_b32_e32 v10, 0x80000000, v12
	v_mov_b32_e32 v4, v12
	ds_write_b64 v7, v[9:10]
.LBB65_143:
	s_or_b64 exec, exec, s[10:11]
	v_cmp_eq_u32_e64 s[10:11], 0, v5
	s_and_b64 s[36:37], s[10:11], s[6:7]
	s_waitcnt lgkmcnt(0)
	s_barrier
	s_and_saveexec_b64 s[6:7], s[36:37]
	s_cbranch_execz .LBB65_145
; %bb.144:
	v_mov_b32_e32 v9, 0
	ds_read_b64 v[9:10], v9 offset:31712
	ds_read_b64 v[11:12], v7
	s_waitcnt lgkmcnt(0)
	v_mul_f32_e32 v13, v12, v10
	v_mul_f32_e32 v10, v11, v10
	v_fma_f32 v11, v11, v9, -v13
	v_fmac_f32_e32 v10, v12, v9
	v_sub_f32_e32 v3, v3, v11
	v_sub_f32_e32 v4, v4, v10
.LBB65_145:
	s_or_b64 exec, exec, s[6:7]
	s_barrier
	s_and_saveexec_b64 s[6:7], s[36:37]
	s_cbranch_execz .LBB65_147
; %bb.146:
	v_mov_b32_e32 v9, 0
	ds_read_b64 v[9:10], v9 offset:31200
	s_waitcnt lgkmcnt(0)
	v_mul_f32_e32 v11, v4, v10
	v_mul_f32_e32 v12, v3, v10
	v_fma_f32 v3, v3, v9, -v11
	v_fmac_f32_e32 v12, v4, v9
	v_xor_b32_e32 v9, 0x80000000, v3
	v_xor_b32_e32 v10, 0x80000000, v12
	v_mov_b32_e32 v4, v12
	ds_write_b64 v7, v[9:10]
.LBB65_147:
	s_or_b64 exec, exec, s[6:7]
	s_waitcnt lgkmcnt(0)
	s_barrier
	s_barrier
	s_and_saveexec_b64 s[6:7], s[22:23]
; %bb.148:
	v_lshlrev_b32_e32 v9, 3, v5
	v_lshl_or_b32 v9, v6, 9, v9
	ds_write_b64 v9, v[3:4] offset:32224
; %bb.149:
	s_or_b64 exec, exec, s[6:7]
	v_cmp_eq_u32_e64 s[16:17], 0, v2
	v_cmp_gt_u32_e64 s[10:11], 2, v0
	s_and_b64 s[40:41], s[16:17], s[10:11]
	s_waitcnt lgkmcnt(0)
	s_barrier
	s_barrier
	s_and_saveexec_b64 s[6:7], s[40:41]
	s_cbranch_execz .LBB65_151
; %bb.150:
	v_lshlrev_b32_e32 v9, 3, v0
	s_movk_i32 s10, 0x1f8
	v_mad_u32_u24 v10, v0, s10, v9
	ds_read_b64 v[3:4], v10 offset:32224
	s_waitcnt lgkmcnt(0)
	ds_write_b64 v9, v[3:4] offset:31216
	ds_read_b64 v[3:4], v10 offset:32232
	s_waitcnt lgkmcnt(0)
	ds_write_b64 v9, v[3:4] offset:31728
.LBB65_151:
	s_or_b64 exec, exec, s[6:7]
	s_waitcnt lgkmcnt(0)
	s_barrier
	s_and_saveexec_b64 s[6:7], vcc
	s_cbranch_execz .LBB65_153
; %bb.152:
	s_movk_i32 s10, 0x1e0
	v_mov_b32_e32 v3, 0
	v_add_u32_e64 v9, s10, 0
	ds_read_b64 v[3:4], v3 offset:31720
	ds_read2st64_b64 v[9:12], v9 offset0:60 offset1:61
	s_movk_i32 s10, 0x7800
	s_waitcnt lgkmcnt(0)
	v_mul_f32_e32 v13, v4, v10
	v_mul_f32_e32 v10, v3, v10
	v_fma_f32 v13, v3, v9, -v13
	v_fmac_f32_e32 v10, v4, v9
	v_mul_f32_e32 v3, v10, v12
	v_mul_f32_e32 v4, v13, v12
	v_fma_f32 v3, v13, v11, -v3
	v_fmac_f32_e32 v4, v10, v11
	v_add_u32_e64 v9, s10, 0
	ds_write2_b64 v9, v[3:4], v[3:4] offset0:61 offset1:124
.LBB65_153:
	s_or_b64 exec, exec, s[6:7]
	v_lshrrev_b32_e32 v11, 2, v8
	v_and_b32_e32 v9, 3, v0
	v_sub_u32_e32 v10, 3, v11
	v_cmp_lt_u32_e64 s[12:13], 15, v8
	v_cmp_gt_u32_e64 s[10:11], 16, v8
	v_mov_b32_e32 v4, 0
	v_mov_b32_e32 v3, 0
	s_waitcnt lgkmcnt(0)
	s_barrier
	buffer_wbinvl1_vol
	s_and_saveexec_b64 s[6:7], s[10:11]
	s_cbranch_execz .LBB65_159
; %bb.154:
	v_lshlrev_b32_e32 v12, 3, v9
	v_lshlrev_b32_e32 v13, 9, v10
	ds_read_b64 v[3:4], v12 offset:31168
	ds_read_b64 v[14:15], v13 offset:31200
	v_cmp_gt_u32_e64 s[14:15], 12, v8
	s_waitcnt lgkmcnt(0)
	v_mul_f32_e32 v16, v15, v4
	v_mul_f32_e32 v4, v14, v4
	v_fma_f32 v14, v14, v3, -v16
	v_fmac_f32_e32 v4, v15, v3
	v_add_f32_e32 v3, 0, v14
	v_add_f32_e32 v4, 0, v4
	s_and_saveexec_b64 s[18:19], s[14:15]
	s_cbranch_execnz .LBB65_1116
; %bb.155:
	s_or_b64 exec, exec, s[18:19]
	v_cmp_gt_u32_e64 s[14:15], 8, v8
	s_and_saveexec_b64 s[18:19], s[14:15]
	s_cbranch_execnz .LBB65_1117
.LBB65_156:
	s_or_b64 exec, exec, s[18:19]
	v_cmp_gt_u32_e64 s[14:15], 4, v8
	s_and_saveexec_b64 s[18:19], s[14:15]
	s_cbranch_execz .LBB65_158
.LBB65_157:
	v_lshlrev_b32_e32 v12, 3, v0
	v_mov_b32_e32 v14, 0
	ds_read_b64 v[12:13], v12 offset:32704
	ds_read_b64 v[14:15], v14 offset:32760
	s_waitcnt lgkmcnt(0)
	v_mul_f32_e32 v16, v15, v13
	v_mul_f32_e32 v13, v14, v13
	v_fma_f32 v14, v14, v12, -v16
	v_fmac_f32_e32 v13, v15, v12
	v_add_f32_e32 v3, v3, v14
	v_add_f32_e32 v4, v4, v13
.LBB65_158:
	s_or_b64 exec, exec, s[18:19]
.LBB65_159:
                                        ; implicit-def: $vgpr30 : SGPR spill to VGPR lane
	v_writelane_b32 v30, s44, 0
	s_or_b64 exec, exec, s[6:7]
	v_mov_b32_e32 v12, 0x8000
	v_cmp_eq_u32_e64 s[14:15], 3, v9
	s_xor_b64 s[6:7], s[12:13], -1
	v_lshl_add_u32 v11, v11, 3, v12
	s_and_b64 s[44:45], s[14:15], s[6:7]
	s_and_saveexec_b64 s[12:13], s[44:45]
	s_cbranch_execz .LBB65_161
; %bb.160:
	v_mov_b32_e32 v12, 0
	ds_read_b64 v[12:13], v12 offset:30680
	s_waitcnt lgkmcnt(0)
	v_mul_f32_e32 v14, v4, v13
	v_mul_f32_e32 v15, v3, v13
	v_fma_f32 v3, v3, v12, -v14
	v_fmac_f32_e32 v15, v4, v12
	v_xor_b32_e32 v12, 0x80000000, v3
	v_xor_b32_e32 v13, 0x80000000, v15
	v_mov_b32_e32 v4, v15
	ds_write_b64 v11, v[12:13]
.LBB65_161:
	s_or_b64 exec, exec, s[12:13]
	v_cmp_ne_u32_e64 s[12:13], 3, v9
	s_and_b64 s[46:47], s[12:13], s[6:7]
	s_waitcnt lgkmcnt(0)
	s_barrier
	s_and_saveexec_b64 s[12:13], s[46:47]
	s_cbranch_execz .LBB65_163
; %bb.162:
	v_lshlrev_b32_e32 v12, 3, v9
	ds_read_b64 v[12:13], v12 offset:30656
	ds_read_b64 v[14:15], v11
	s_waitcnt lgkmcnt(0)
	v_mul_f32_e32 v16, v15, v13
	v_mul_f32_e32 v13, v14, v13
	v_fma_f32 v14, v14, v12, -v16
	v_fmac_f32_e32 v13, v15, v12
	v_sub_f32_e32 v3, v3, v14
	v_sub_f32_e32 v4, v4, v13
.LBB65_163:
	s_or_b64 exec, exec, s[12:13]
	v_cmp_eq_u32_e64 s[12:13], 2, v9
	s_and_b64 s[48:49], s[12:13], s[6:7]
	s_barrier
	s_and_saveexec_b64 s[12:13], s[48:49]
	s_cbranch_execz .LBB65_165
; %bb.164:
	v_mov_b32_e32 v12, 0
	ds_read_b64 v[12:13], v12 offset:30160
	s_waitcnt lgkmcnt(0)
	v_mul_f32_e32 v14, v4, v13
	v_mul_f32_e32 v15, v3, v13
	v_fma_f32 v3, v3, v12, -v14
	v_fmac_f32_e32 v15, v4, v12
	v_xor_b32_e32 v12, 0x80000000, v3
	v_xor_b32_e32 v13, 0x80000000, v15
	v_mov_b32_e32 v4, v15
	ds_write_b64 v11, v[12:13]
.LBB65_165:
	s_or_b64 exec, exec, s[12:13]
	v_cmp_gt_u32_e64 s[12:13], 2, v9
	s_and_b64 s[50:51], s[12:13], s[6:7]
	s_waitcnt lgkmcnt(0)
	s_barrier
	s_and_saveexec_b64 s[12:13], s[50:51]
	s_cbranch_execz .LBB65_167
; %bb.166:
	v_lshlrev_b32_e32 v12, 3, v9
	ds_read_b64 v[12:13], v12 offset:30144
	ds_read_b64 v[14:15], v11
	s_waitcnt lgkmcnt(0)
	v_mul_f32_e32 v16, v15, v13
	v_mul_f32_e32 v13, v14, v13
	v_fma_f32 v14, v14, v12, -v16
	v_fmac_f32_e32 v13, v15, v12
	v_sub_f32_e32 v3, v3, v14
	v_sub_f32_e32 v4, v4, v13
.LBB65_167:
	s_or_b64 exec, exec, s[12:13]
	v_cmp_eq_u32_e64 s[12:13], 1, v9
	s_and_b64 s[52:53], s[12:13], s[6:7]
	s_barrier
	s_and_saveexec_b64 s[12:13], s[52:53]
	s_cbranch_execz .LBB65_169
; %bb.168:
	v_mov_b32_e32 v12, 0
	ds_read_b64 v[12:13], v12 offset:29640
	s_waitcnt lgkmcnt(0)
	v_mul_f32_e32 v14, v4, v13
	v_mul_f32_e32 v15, v3, v13
	v_fma_f32 v3, v3, v12, -v14
	v_fmac_f32_e32 v15, v4, v12
	v_xor_b32_e32 v12, 0x80000000, v3
	v_xor_b32_e32 v13, 0x80000000, v15
	v_mov_b32_e32 v4, v15
	ds_write_b64 v11, v[12:13]
.LBB65_169:
	s_or_b64 exec, exec, s[12:13]
	v_cmp_eq_u32_e64 s[12:13], 0, v9
	s_and_b64 s[42:43], s[12:13], s[6:7]
	s_waitcnt lgkmcnt(0)
	s_barrier
	s_and_saveexec_b64 s[6:7], s[42:43]
	s_cbranch_execz .LBB65_171
; %bb.170:
	v_mov_b32_e32 v12, 0
	ds_read_b64 v[12:13], v12 offset:29632
	ds_read_b64 v[14:15], v11
	s_waitcnt lgkmcnt(0)
	v_mul_f32_e32 v16, v15, v13
	v_mul_f32_e32 v13, v14, v13
	v_fma_f32 v14, v14, v12, -v16
	v_fmac_f32_e32 v13, v15, v12
	v_sub_f32_e32 v3, v3, v14
	v_sub_f32_e32 v4, v4, v13
.LBB65_171:
	s_or_b64 exec, exec, s[6:7]
	s_barrier
	s_and_saveexec_b64 s[6:7], s[42:43]
	s_cbranch_execz .LBB65_173
; %bb.172:
	v_mov_b32_e32 v12, 0
	ds_read_b64 v[12:13], v12 offset:29120
	s_waitcnt lgkmcnt(0)
	v_mul_f32_e32 v14, v4, v13
	v_mul_f32_e32 v15, v3, v13
	v_fma_f32 v3, v3, v12, -v14
	v_fmac_f32_e32 v15, v4, v12
	v_xor_b32_e32 v12, 0x80000000, v3
	v_xor_b32_e32 v13, 0x80000000, v15
	v_mov_b32_e32 v4, v15
	ds_write_b64 v11, v[12:13]
.LBB65_173:
	s_or_b64 exec, exec, s[6:7]
	s_waitcnt lgkmcnt(0)
	s_barrier
	s_barrier
	s_and_saveexec_b64 s[6:7], s[10:11]
; %bb.174:
	v_lshlrev_b32_e32 v12, 3, v9
	v_lshl_or_b32 v12, v10, 9, v12
	ds_write_b64 v12, v[3:4] offset:31168
; %bb.175:
	s_or_b64 exec, exec, s[6:7]
	v_cmp_gt_u32_e64 s[12:13], 4, v0
	s_and_b64 s[54:55], s[16:17], s[12:13]
	s_waitcnt lgkmcnt(0)
	s_barrier
	s_barrier
	s_and_saveexec_b64 s[6:7], s[54:55]
	s_cbranch_execz .LBB65_177
; %bb.176:
	v_lshlrev_b32_e32 v12, 9, v0
	ds_read_b64 v[3:4], v12 offset:31168
	s_movk_i32 s12, 0xfe08
	v_mad_i32_i24 v13, v0, s12, v12
	s_waitcnt lgkmcnt(0)
	ds_write_b64 v13, v[3:4] offset:29152
	ds_read_b64 v[3:4], v12 offset:31176
	s_waitcnt lgkmcnt(0)
	ds_write_b64 v13, v[3:4] offset:29664
	ds_read_b64 v[3:4], v12 offset:31184
	;; [unrolled: 3-line block ×3, first 2 shown]
	s_waitcnt lgkmcnt(0)
	ds_write_b64 v13, v[3:4] offset:30688
.LBB65_177:
	s_or_b64 exec, exec, s[6:7]
	s_waitcnt lgkmcnt(0)
	s_barrier
	s_and_saveexec_b64 s[6:7], vcc
	s_cbranch_execz .LBB65_179
; %bb.178:
	s_movk_i32 s12, 0x1d0
	v_mov_b32_e32 v3, 0
	v_add_u32_e64 v12, s12, 0
	ds_read_b64 v[3:4], v3 offset:30680
	ds_read2st64_b64 v[12:15], v12 offset0:58 offset1:59
	s_movk_i32 s12, 0x7000
	s_waitcnt lgkmcnt(0)
	v_mul_f32_e32 v16, v4, v13
	v_mul_f32_e32 v13, v3, v13
	v_fma_f32 v16, v3, v12, -v16
	v_fmac_f32_e32 v13, v4, v12
	v_mul_f32_e32 v3, v13, v15
	v_mul_f32_e32 v4, v16, v15
	v_fma_f32 v3, v16, v14, -v3
	v_fmac_f32_e32 v4, v13, v14
	v_add_u32_e64 v12, s12, 0
	ds_write2_b64 v12, v[3:4], v[3:4] offset0:187 offset1:250
.LBB65_179:
	s_or_b64 exec, exec, s[6:7]
	v_mov_b32_e32 v3, 0
	v_mov_b32_e32 v4, 0
	s_waitcnt lgkmcnt(0)
	s_barrier
	buffer_wbinvl1_vol
	s_and_saveexec_b64 s[6:7], s[22:23]
	s_cbranch_execz .LBB65_183
; %bb.180:
	v_lshlrev_b32_e32 v3, 3, v5
	v_lshlrev_b32_e32 v12, 9, v6
	ds_read_b64 v[3:4], v3 offset:30144
	ds_read_b64 v[12:13], v12 offset:30160
	v_cmp_gt_u32_e64 s[12:13], 2, v8
	s_waitcnt lgkmcnt(0)
	v_mul_f32_e32 v14, v13, v4
	v_mul_f32_e32 v4, v12, v4
	v_fma_f32 v12, v12, v3, -v14
	v_fmac_f32_e32 v4, v13, v3
	v_add_f32_e32 v3, 0, v12
	v_add_f32_e32 v4, 0, v4
	s_and_saveexec_b64 s[14:15], s[12:13]
	s_cbranch_execz .LBB65_182
; %bb.181:
	v_lshlrev_b32_e32 v12, 3, v0
	v_mov_b32_e32 v14, 0
	ds_read_b64 v[12:13], v12 offset:30656
	ds_read_b64 v[14:15], v14 offset:30680
	s_waitcnt lgkmcnt(0)
	v_mul_f32_e32 v16, v15, v13
	v_mul_f32_e32 v13, v14, v13
	v_fma_f32 v14, v14, v12, -v16
	v_fmac_f32_e32 v13, v15, v12
	v_add_f32_e32 v3, v3, v14
	v_add_f32_e32 v4, v4, v13
.LBB65_182:
	s_or_b64 exec, exec, s[14:15]
.LBB65_183:
	s_or_b64 exec, exec, s[6:7]
	s_and_saveexec_b64 s[6:7], s[38:39]
	s_cbranch_execz .LBB65_185
; %bb.184:
	v_mov_b32_e32 v12, 0
	ds_read_b64 v[12:13], v12 offset:29640
	s_waitcnt lgkmcnt(0)
	v_mul_f32_e32 v14, v4, v13
	v_mul_f32_e32 v15, v3, v13
	v_fma_f32 v3, v3, v12, -v14
	v_fmac_f32_e32 v15, v4, v12
	v_xor_b32_e32 v12, 0x80000000, v3
	v_xor_b32_e32 v13, 0x80000000, v15
	v_mov_b32_e32 v4, v15
	ds_write_b64 v7, v[12:13]
.LBB65_185:
	s_or_b64 exec, exec, s[6:7]
	s_waitcnt lgkmcnt(0)
	s_barrier
	s_and_saveexec_b64 s[6:7], s[36:37]
	s_cbranch_execz .LBB65_187
; %bb.186:
	v_mov_b32_e32 v12, 0
	ds_read_b64 v[12:13], v12 offset:29632
	ds_read_b64 v[14:15], v7
	s_waitcnt lgkmcnt(0)
	v_mul_f32_e32 v16, v15, v13
	v_mul_f32_e32 v13, v14, v13
	v_fma_f32 v14, v14, v12, -v16
	v_fmac_f32_e32 v13, v15, v12
	v_sub_f32_e32 v3, v3, v14
	v_sub_f32_e32 v4, v4, v13
.LBB65_187:
	s_or_b64 exec, exec, s[6:7]
	s_barrier
	s_and_saveexec_b64 s[6:7], s[36:37]
	s_cbranch_execz .LBB65_189
; %bb.188:
	v_mov_b32_e32 v12, 0
	ds_read_b64 v[12:13], v12 offset:29120
	s_waitcnt lgkmcnt(0)
	v_mul_f32_e32 v14, v4, v13
	v_mul_f32_e32 v15, v3, v13
	v_fma_f32 v3, v3, v12, -v14
	v_fmac_f32_e32 v15, v4, v12
	v_xor_b32_e32 v12, 0x80000000, v3
	v_xor_b32_e32 v13, 0x80000000, v15
	v_mov_b32_e32 v4, v15
	ds_write_b64 v7, v[12:13]
.LBB65_189:
	s_or_b64 exec, exec, s[6:7]
	s_waitcnt lgkmcnt(0)
	s_barrier
	s_barrier
	s_and_saveexec_b64 s[6:7], s[22:23]
; %bb.190:
	v_lshlrev_b32_e32 v12, 3, v5
	v_lshl_or_b32 v12, v6, 9, v12
	ds_write_b64 v12, v[3:4] offset:30144
; %bb.191:
	s_or_b64 exec, exec, s[6:7]
	s_waitcnt lgkmcnt(0)
	s_barrier
	s_barrier
	s_and_saveexec_b64 s[6:7], s[40:41]
	s_cbranch_execz .LBB65_193
; %bb.192:
	v_lshlrev_b32_e32 v12, 3, v0
	s_movk_i32 s12, 0x1f8
	v_mad_u32_u24 v13, v0, s12, v12
	ds_read_b64 v[3:4], v13 offset:30144
	s_waitcnt lgkmcnt(0)
	ds_write_b64 v12, v[3:4] offset:29136
	ds_read_b64 v[3:4], v13 offset:30152
	s_waitcnt lgkmcnt(0)
	ds_write_b64 v12, v[3:4] offset:29648
.LBB65_193:
	s_or_b64 exec, exec, s[6:7]
	s_waitcnt lgkmcnt(0)
	s_barrier
	s_and_saveexec_b64 s[6:7], vcc
	s_cbranch_execz .LBB65_195
; %bb.194:
	s_movk_i32 s12, 0x1c0
	v_mov_b32_e32 v3, 0
	v_add_u32_e64 v12, s12, 0
	ds_read_b64 v[3:4], v3 offset:29640
	ds_read2st64_b64 v[12:15], v12 offset0:56 offset1:57
	s_movk_i32 s12, 0x7000
	s_waitcnt lgkmcnt(0)
	v_mul_f32_e32 v16, v4, v13
	v_mul_f32_e32 v13, v3, v13
	v_fma_f32 v16, v3, v12, -v16
	v_fmac_f32_e32 v13, v4, v12
	v_mul_f32_e32 v3, v13, v15
	v_mul_f32_e32 v4, v16, v15
	v_fma_f32 v3, v16, v14, -v3
	v_fmac_f32_e32 v4, v13, v14
	v_add_u32_e64 v12, s12, 0
	ds_write2_b64 v12, v[3:4], v[3:4] offset0:57 offset1:120
.LBB65_195:
	s_or_b64 exec, exec, s[6:7]
	v_lshrrev_b32_e32 v14, 3, v8
	v_and_b32_e32 v12, 7, v0
	v_sub_u32_e32 v13, 7, v14
	v_cmp_lt_u32_e64 s[14:15], 63, v8
	v_cmp_gt_u32_e64 s[12:13], 64, v8
	v_mov_b32_e32 v4, 0
	v_mov_b32_e32 v3, 0
	s_waitcnt lgkmcnt(0)
	s_barrier
	buffer_wbinvl1_vol
	s_and_saveexec_b64 s[6:7], s[12:13]
	s_cbranch_execz .LBB65_205
; %bb.196:
	v_lshlrev_b32_e32 v15, 3, v12
	v_lshlrev_b32_e32 v16, 9, v13
	ds_read_b64 v[3:4], v15 offset:29056
	ds_read_b64 v[17:18], v16 offset:29120
	v_cmp_gt_u32_e64 s[18:19], 56, v8
	s_waitcnt lgkmcnt(0)
	v_mul_f32_e32 v19, v18, v4
	v_mul_f32_e32 v4, v17, v4
	v_fma_f32 v17, v17, v3, -v19
	v_fmac_f32_e32 v4, v18, v3
	v_add_f32_e32 v3, 0, v17
	v_add_f32_e32 v4, 0, v4
	s_and_saveexec_b64 s[20:21], s[18:19]
	s_cbranch_execnz .LBB65_1118
; %bb.197:
	s_or_b64 exec, exec, s[20:21]
	v_cmp_gt_u32_e64 s[18:19], 48, v8
	s_and_saveexec_b64 s[20:21], s[18:19]
	s_cbranch_execnz .LBB65_1119
.LBB65_198:
	s_or_b64 exec, exec, s[20:21]
	v_cmp_gt_u32_e64 s[18:19], 40, v8
	s_and_saveexec_b64 s[20:21], s[18:19]
	s_cbranch_execnz .LBB65_1120
.LBB65_199:
	s_or_b64 exec, exec, s[20:21]
	v_cmp_gt_u32_e64 s[18:19], 32, v8
	s_and_saveexec_b64 s[20:21], s[18:19]
	s_cbranch_execnz .LBB65_1121
.LBB65_200:
	s_or_b64 exec, exec, s[20:21]
	v_cmp_gt_u32_e64 s[18:19], 24, v8
	s_and_saveexec_b64 s[20:21], s[18:19]
	s_cbranch_execnz .LBB65_1122
.LBB65_201:
	s_or_b64 exec, exec, s[20:21]
	s_and_saveexec_b64 s[18:19], s[10:11]
	s_cbranch_execnz .LBB65_1123
.LBB65_202:
	s_or_b64 exec, exec, s[18:19]
	v_cmp_gt_u32_e64 s[18:19], 8, v8
	s_and_saveexec_b64 s[20:21], s[18:19]
	s_cbranch_execz .LBB65_204
.LBB65_203:
	v_lshlrev_b32_e32 v15, 3, v0
	v_mov_b32_e32 v17, 0
	ds_read_b64 v[15:16], v15 offset:32640
	ds_read_b64 v[17:18], v17 offset:32760
	s_waitcnt lgkmcnt(0)
	v_mul_f32_e32 v19, v18, v16
	v_mul_f32_e32 v16, v17, v16
	v_fma_f32 v17, v17, v15, -v19
	v_fmac_f32_e32 v16, v18, v15
	v_add_f32_e32 v3, v3, v17
	v_add_f32_e32 v4, v4, v16
.LBB65_204:
	s_or_b64 exec, exec, s[20:21]
.LBB65_205:
	v_writelane_b32 v30, s58, 1
	v_writelane_b32 v30, s59, 2
	s_or_b64 exec, exec, s[6:7]
	v_mov_b32_e32 v15, 0x8000
	v_cmp_eq_u32_e64 s[18:19], 7, v12
	s_xor_b64 s[6:7], s[14:15], -1
	v_lshl_add_u32 v14, v14, 3, v15
	s_and_b64 s[58:59], s[18:19], s[6:7]
	s_and_saveexec_b64 s[14:15], s[58:59]
	s_cbranch_execz .LBB65_207
; %bb.206:
	v_mov_b32_e32 v15, 0
	ds_read_b64 v[15:16], v15 offset:28600
	s_waitcnt lgkmcnt(0)
	v_mul_f32_e32 v17, v4, v16
	v_mul_f32_e32 v18, v3, v16
	v_fma_f32 v3, v3, v15, -v17
	v_fmac_f32_e32 v18, v4, v15
	v_xor_b32_e32 v15, 0x80000000, v3
	v_xor_b32_e32 v16, 0x80000000, v18
	v_mov_b32_e32 v4, v18
	ds_write_b64 v14, v[15:16]
.LBB65_207:
	s_or_b64 exec, exec, s[14:15]
	v_cmp_ne_u32_e64 s[14:15], 7, v12
	s_and_b64 s[60:61], s[14:15], s[6:7]
	s_waitcnt lgkmcnt(0)
	s_barrier
	s_and_saveexec_b64 s[14:15], s[60:61]
	s_cbranch_execz .LBB65_209
; %bb.208:
	v_lshlrev_b32_e32 v15, 3, v12
	ds_read_b64 v[15:16], v15 offset:28544
	ds_read_b64 v[17:18], v14
	s_waitcnt lgkmcnt(0)
	v_mul_f32_e32 v19, v18, v16
	v_mul_f32_e32 v16, v17, v16
	v_fma_f32 v17, v17, v15, -v19
	v_fmac_f32_e32 v16, v18, v15
	v_sub_f32_e32 v3, v3, v17
	v_sub_f32_e32 v4, v4, v16
.LBB65_209:
	s_or_b64 exec, exec, s[14:15]
	v_cmp_eq_u32_e64 s[14:15], 6, v12
	s_and_b64 s[62:63], s[14:15], s[6:7]
	s_barrier
	s_and_saveexec_b64 s[14:15], s[62:63]
	s_cbranch_execz .LBB65_211
; %bb.210:
	v_mov_b32_e32 v15, 0
	ds_read_b64 v[15:16], v15 offset:28080
	s_waitcnt lgkmcnt(0)
	v_mul_f32_e32 v17, v4, v16
	v_mul_f32_e32 v18, v3, v16
	v_fma_f32 v3, v3, v15, -v17
	v_fmac_f32_e32 v18, v4, v15
	v_xor_b32_e32 v15, 0x80000000, v3
	v_xor_b32_e32 v16, 0x80000000, v18
	v_mov_b32_e32 v4, v18
	ds_write_b64 v14, v[15:16]
.LBB65_211:
	s_or_b64 exec, exec, s[14:15]
	v_cmp_gt_u32_e64 s[14:15], 6, v12
	s_and_b64 s[64:65], s[14:15], s[6:7]
	s_waitcnt lgkmcnt(0)
	s_barrier
	s_and_saveexec_b64 s[14:15], s[64:65]
	s_cbranch_execz .LBB65_213
; %bb.212:
	v_lshlrev_b32_e32 v15, 3, v12
	ds_read_b64 v[15:16], v15 offset:28032
	ds_read_b64 v[17:18], v14
	s_waitcnt lgkmcnt(0)
	v_mul_f32_e32 v19, v18, v16
	v_mul_f32_e32 v16, v17, v16
	v_fma_f32 v17, v17, v15, -v19
	v_fmac_f32_e32 v16, v18, v15
	v_sub_f32_e32 v3, v3, v17
	v_sub_f32_e32 v4, v4, v16
.LBB65_213:
	s_or_b64 exec, exec, s[14:15]
	v_cmp_eq_u32_e64 s[14:15], 5, v12
	s_and_b64 s[66:67], s[14:15], s[6:7]
	s_barrier
	s_and_saveexec_b64 s[14:15], s[66:67]
	s_cbranch_execz .LBB65_215
; %bb.214:
	v_mov_b32_e32 v15, 0
	ds_read_b64 v[15:16], v15 offset:27560
	s_waitcnt lgkmcnt(0)
	v_mul_f32_e32 v17, v4, v16
	v_mul_f32_e32 v18, v3, v16
	v_fma_f32 v3, v3, v15, -v17
	v_fmac_f32_e32 v18, v4, v15
	v_xor_b32_e32 v15, 0x80000000, v3
	v_xor_b32_e32 v16, 0x80000000, v18
	v_mov_b32_e32 v4, v18
	ds_write_b64 v14, v[15:16]
.LBB65_215:
	s_or_b64 exec, exec, s[14:15]
	v_cmp_gt_u32_e64 s[14:15], 5, v12
	;; [unrolled: 38-line block ×5, first 2 shown]
	s_and_b64 s[80:81], s[14:15], s[6:7]
	s_waitcnt lgkmcnt(0)
	s_barrier
	s_and_saveexec_b64 s[14:15], s[80:81]
	s_cbranch_execz .LBB65_229
; %bb.228:
	v_lshlrev_b32_e32 v15, 3, v12
	ds_read_b64 v[15:16], v15 offset:25984
	ds_read_b64 v[17:18], v14
	s_waitcnt lgkmcnt(0)
	v_mul_f32_e32 v19, v18, v16
	v_mul_f32_e32 v16, v17, v16
	v_fma_f32 v17, v17, v15, -v19
	v_fmac_f32_e32 v16, v18, v15
	v_sub_f32_e32 v3, v3, v17
	v_sub_f32_e32 v4, v4, v16
.LBB65_229:
	s_or_b64 exec, exec, s[14:15]
	v_cmp_eq_u32_e64 s[14:15], 1, v12
	s_and_b64 s[82:83], s[14:15], s[6:7]
	s_barrier
	s_and_saveexec_b64 s[14:15], s[82:83]
	s_cbranch_execz .LBB65_231
; %bb.230:
	v_mov_b32_e32 v15, 0
	ds_read_b64 v[15:16], v15 offset:25480
	s_waitcnt lgkmcnt(0)
	v_mul_f32_e32 v17, v4, v16
	v_mul_f32_e32 v18, v3, v16
	v_fma_f32 v3, v3, v15, -v17
	v_fmac_f32_e32 v18, v4, v15
	v_xor_b32_e32 v15, 0x80000000, v3
	v_xor_b32_e32 v16, 0x80000000, v18
	v_mov_b32_e32 v4, v18
	ds_write_b64 v14, v[15:16]
.LBB65_231:
	s_or_b64 exec, exec, s[14:15]
	v_cmp_eq_u32_e64 s[14:15], 0, v12
	s_and_b64 s[56:57], s[14:15], s[6:7]
	s_waitcnt lgkmcnt(0)
	s_barrier
	s_and_saveexec_b64 s[6:7], s[56:57]
	s_cbranch_execz .LBB65_233
; %bb.232:
	v_mov_b32_e32 v15, 0
	ds_read_b64 v[15:16], v15 offset:25472
	ds_read_b64 v[17:18], v14
	s_waitcnt lgkmcnt(0)
	v_mul_f32_e32 v19, v18, v16
	v_mul_f32_e32 v16, v17, v16
	v_fma_f32 v17, v17, v15, -v19
	v_fmac_f32_e32 v16, v18, v15
	v_sub_f32_e32 v3, v3, v17
	v_sub_f32_e32 v4, v4, v16
.LBB65_233:
	s_or_b64 exec, exec, s[6:7]
	s_barrier
	s_and_saveexec_b64 s[6:7], s[56:57]
	s_cbranch_execz .LBB65_235
; %bb.234:
	v_mov_b32_e32 v15, 0
	ds_read_b64 v[15:16], v15 offset:24960
	s_waitcnt lgkmcnt(0)
	v_mul_f32_e32 v17, v4, v16
	v_mul_f32_e32 v18, v3, v16
	v_fma_f32 v3, v3, v15, -v17
	v_fmac_f32_e32 v18, v4, v15
	v_xor_b32_e32 v15, 0x80000000, v3
	v_xor_b32_e32 v16, 0x80000000, v18
	v_mov_b32_e32 v4, v18
	ds_write_b64 v14, v[15:16]
.LBB65_235:
	s_or_b64 exec, exec, s[6:7]
	s_waitcnt lgkmcnt(0)
	s_barrier
	s_barrier
	s_and_saveexec_b64 s[6:7], s[12:13]
; %bb.236:
	v_lshlrev_b32_e32 v15, 3, v12
	v_lshl_or_b32 v15, v13, 9, v15
	ds_write_b64 v15, v[3:4] offset:29056
; %bb.237:
	s_or_b64 exec, exec, s[6:7]
	v_cmp_gt_u32_e64 s[14:15], 8, v0
	s_and_b64 s[84:85], s[16:17], s[14:15]
	s_waitcnt lgkmcnt(0)
	s_barrier
	s_barrier
	s_and_saveexec_b64 s[6:7], s[84:85]
	s_cbranch_execz .LBB65_239
; %bb.238:
	v_lshlrev_b32_e32 v15, 9, v0
	ds_read_b64 v[3:4], v15 offset:29056
	s_movk_i32 s14, 0xfe08
	v_mad_i32_i24 v16, v0, s14, v15
	s_waitcnt lgkmcnt(0)
	ds_write_b64 v16, v[3:4] offset:25024
	ds_read_b64 v[3:4], v15 offset:29064
	s_waitcnt lgkmcnt(0)
	ds_write_b64 v16, v[3:4] offset:25536
	ds_read_b64 v[3:4], v15 offset:29072
	;; [unrolled: 3-line block ×7, first 2 shown]
	s_waitcnt lgkmcnt(0)
	ds_write_b64 v16, v[3:4] offset:28608
.LBB65_239:
	s_or_b64 exec, exec, s[6:7]
	s_waitcnt lgkmcnt(0)
	s_barrier
	s_and_saveexec_b64 s[6:7], vcc
	s_cbranch_execz .LBB65_241
; %bb.240:
	s_movk_i32 s14, 0x1b0
	v_mov_b32_e32 v3, 0
	v_add_u32_e64 v15, s14, 0
	ds_read_b64 v[3:4], v3 offset:28600
	ds_read2st64_b64 v[15:18], v15 offset0:54 offset1:55
	s_movk_i32 s14, 0x6800
	s_waitcnt lgkmcnt(0)
	v_mul_f32_e32 v19, v4, v16
	v_mul_f32_e32 v16, v3, v16
	v_fma_f32 v19, v3, v15, -v19
	v_fmac_f32_e32 v16, v4, v15
	v_mul_f32_e32 v3, v16, v18
	v_mul_f32_e32 v4, v19, v18
	v_fma_f32 v3, v19, v17, -v3
	v_fmac_f32_e32 v4, v16, v17
	v_add_u32_e64 v15, s14, 0
	ds_write2_b64 v15, v[3:4], v[3:4] offset0:183 offset1:246
.LBB65_241:
	s_or_b64 exec, exec, s[6:7]
	v_mov_b32_e32 v3, 0
	v_mov_b32_e32 v4, 0
	s_waitcnt lgkmcnt(0)
	s_barrier
	buffer_wbinvl1_vol
	s_and_saveexec_b64 s[6:7], s[22:23]
	s_cbranch_execz .LBB65_245
; %bb.242:
	v_lshlrev_b32_e32 v3, 3, v5
	v_lshlrev_b32_e32 v15, 9, v6
	ds_read_b64 v[3:4], v3 offset:28064
	ds_read_b64 v[15:16], v15 offset:28080
	v_cmp_gt_u32_e64 s[14:15], 2, v8
	s_waitcnt lgkmcnt(0)
	v_mul_f32_e32 v17, v16, v4
	v_mul_f32_e32 v4, v15, v4
	v_fma_f32 v15, v15, v3, -v17
	v_fmac_f32_e32 v4, v16, v3
	v_add_f32_e32 v3, 0, v15
	v_add_f32_e32 v4, 0, v4
	s_and_saveexec_b64 s[18:19], s[14:15]
	s_cbranch_execz .LBB65_244
; %bb.243:
	v_lshlrev_b32_e32 v15, 3, v0
	v_mov_b32_e32 v17, 0
	ds_read_b64 v[15:16], v15 offset:28576
	ds_read_b64 v[17:18], v17 offset:28600
	s_waitcnt lgkmcnt(0)
	v_mul_f32_e32 v19, v18, v16
	v_mul_f32_e32 v16, v17, v16
	v_fma_f32 v17, v17, v15, -v19
	v_fmac_f32_e32 v16, v18, v15
	v_add_f32_e32 v3, v3, v17
	v_add_f32_e32 v4, v4, v16
.LBB65_244:
	s_or_b64 exec, exec, s[18:19]
.LBB65_245:
	s_or_b64 exec, exec, s[6:7]
	s_and_saveexec_b64 s[6:7], s[38:39]
	s_cbranch_execz .LBB65_247
; %bb.246:
	v_mov_b32_e32 v15, 0
	ds_read_b64 v[15:16], v15 offset:27560
	s_waitcnt lgkmcnt(0)
	v_mul_f32_e32 v17, v4, v16
	v_mul_f32_e32 v18, v3, v16
	v_fma_f32 v3, v3, v15, -v17
	v_fmac_f32_e32 v18, v4, v15
	v_xor_b32_e32 v15, 0x80000000, v3
	v_xor_b32_e32 v16, 0x80000000, v18
	v_mov_b32_e32 v4, v18
	ds_write_b64 v7, v[15:16]
.LBB65_247:
	s_or_b64 exec, exec, s[6:7]
	s_waitcnt lgkmcnt(0)
	s_barrier
	s_and_saveexec_b64 s[6:7], s[36:37]
	s_cbranch_execz .LBB65_249
; %bb.248:
	v_mov_b32_e32 v15, 0
	ds_read_b64 v[15:16], v15 offset:27552
	ds_read_b64 v[17:18], v7
	s_waitcnt lgkmcnt(0)
	v_mul_f32_e32 v19, v18, v16
	v_mul_f32_e32 v16, v17, v16
	v_fma_f32 v17, v17, v15, -v19
	v_fmac_f32_e32 v16, v18, v15
	v_sub_f32_e32 v3, v3, v17
	v_sub_f32_e32 v4, v4, v16
.LBB65_249:
	s_or_b64 exec, exec, s[6:7]
	s_barrier
	s_and_saveexec_b64 s[6:7], s[36:37]
	s_cbranch_execz .LBB65_251
; %bb.250:
	v_mov_b32_e32 v15, 0
	ds_read_b64 v[15:16], v15 offset:27040
	s_waitcnt lgkmcnt(0)
	v_mul_f32_e32 v17, v4, v16
	v_mul_f32_e32 v18, v3, v16
	v_fma_f32 v3, v3, v15, -v17
	v_fmac_f32_e32 v18, v4, v15
	v_xor_b32_e32 v15, 0x80000000, v3
	v_xor_b32_e32 v16, 0x80000000, v18
	v_mov_b32_e32 v4, v18
	ds_write_b64 v7, v[15:16]
.LBB65_251:
	s_or_b64 exec, exec, s[6:7]
	s_waitcnt lgkmcnt(0)
	s_barrier
	s_barrier
	s_and_saveexec_b64 s[6:7], s[22:23]
; %bb.252:
	v_lshlrev_b32_e32 v15, 3, v5
	v_lshl_or_b32 v15, v6, 9, v15
	ds_write_b64 v15, v[3:4] offset:28064
; %bb.253:
	s_or_b64 exec, exec, s[6:7]
	s_waitcnt lgkmcnt(0)
	s_barrier
	s_barrier
	s_and_saveexec_b64 s[6:7], s[40:41]
	s_cbranch_execz .LBB65_255
; %bb.254:
	v_lshlrev_b32_e32 v15, 3, v0
	s_movk_i32 s14, 0x1f8
	v_mad_u32_u24 v16, v0, s14, v15
	ds_read_b64 v[3:4], v16 offset:28064
	s_waitcnt lgkmcnt(0)
	ds_write_b64 v15, v[3:4] offset:27056
	ds_read_b64 v[3:4], v16 offset:28072
	s_waitcnt lgkmcnt(0)
	ds_write_b64 v15, v[3:4] offset:27568
.LBB65_255:
	s_or_b64 exec, exec, s[6:7]
	s_waitcnt lgkmcnt(0)
	s_barrier
	s_and_saveexec_b64 s[6:7], vcc
	s_cbranch_execz .LBB65_257
; %bb.256:
	s_movk_i32 s14, 0x1a0
	v_mov_b32_e32 v3, 0
	v_add_u32_e64 v15, s14, 0
	ds_read_b64 v[3:4], v3 offset:27560
	ds_read2st64_b64 v[15:18], v15 offset0:52 offset1:53
	s_movk_i32 s14, 0x6800
	s_waitcnt lgkmcnt(0)
	v_mul_f32_e32 v19, v4, v16
	v_mul_f32_e32 v16, v3, v16
	v_fma_f32 v19, v3, v15, -v19
	v_fmac_f32_e32 v16, v4, v15
	v_mul_f32_e32 v3, v16, v18
	v_mul_f32_e32 v4, v19, v18
	v_fma_f32 v3, v19, v17, -v3
	v_fmac_f32_e32 v4, v16, v17
	v_add_u32_e64 v15, s14, 0
	ds_write2_b64 v15, v[3:4], v[3:4] offset0:53 offset1:116
.LBB65_257:
	s_or_b64 exec, exec, s[6:7]
	v_mov_b32_e32 v4, 0
	v_mov_b32_e32 v3, 0
	s_waitcnt lgkmcnt(0)
	s_barrier
	buffer_wbinvl1_vol
	s_and_saveexec_b64 s[6:7], s[10:11]
	s_cbranch_execz .LBB65_263
; %bb.258:
	v_lshlrev_b32_e32 v15, 3, v9
	v_lshlrev_b32_e32 v16, 9, v10
	ds_read_b64 v[3:4], v15 offset:27008
	ds_read_b64 v[17:18], v16 offset:27040
	v_cmp_gt_u32_e64 s[14:15], 12, v8
	s_waitcnt lgkmcnt(0)
	v_mul_f32_e32 v19, v18, v4
	v_mul_f32_e32 v4, v17, v4
	v_fma_f32 v17, v17, v3, -v19
	v_fmac_f32_e32 v4, v18, v3
	v_add_f32_e32 v3, 0, v17
	v_add_f32_e32 v4, 0, v4
	s_and_saveexec_b64 s[18:19], s[14:15]
	s_cbranch_execnz .LBB65_1124
; %bb.259:
	s_or_b64 exec, exec, s[18:19]
	v_cmp_gt_u32_e64 s[14:15], 8, v8
	s_and_saveexec_b64 s[18:19], s[14:15]
	s_cbranch_execnz .LBB65_1125
.LBB65_260:
	s_or_b64 exec, exec, s[18:19]
	v_cmp_gt_u32_e64 s[14:15], 4, v8
	s_and_saveexec_b64 s[18:19], s[14:15]
	s_cbranch_execz .LBB65_262
.LBB65_261:
	v_lshlrev_b32_e32 v15, 3, v0
	v_mov_b32_e32 v17, 0
	ds_read_b64 v[15:16], v15 offset:28544
	ds_read_b64 v[17:18], v17 offset:28600
	s_waitcnt lgkmcnt(0)
	v_mul_f32_e32 v19, v18, v16
	v_mul_f32_e32 v16, v17, v16
	v_fma_f32 v17, v17, v15, -v19
	v_fmac_f32_e32 v16, v18, v15
	v_add_f32_e32 v3, v3, v17
	v_add_f32_e32 v4, v4, v16
.LBB65_262:
	s_or_b64 exec, exec, s[18:19]
.LBB65_263:
	s_or_b64 exec, exec, s[6:7]
	s_and_saveexec_b64 s[6:7], s[44:45]
	s_cbranch_execz .LBB65_265
; %bb.264:
	v_mov_b32_e32 v15, 0
	ds_read_b64 v[15:16], v15 offset:26520
	s_waitcnt lgkmcnt(0)
	v_mul_f32_e32 v17, v4, v16
	v_mul_f32_e32 v18, v3, v16
	v_fma_f32 v3, v3, v15, -v17
	v_fmac_f32_e32 v18, v4, v15
	v_xor_b32_e32 v15, 0x80000000, v3
	v_xor_b32_e32 v16, 0x80000000, v18
	v_mov_b32_e32 v4, v18
	ds_write_b64 v11, v[15:16]
.LBB65_265:
	s_or_b64 exec, exec, s[6:7]
	s_waitcnt lgkmcnt(0)
	s_barrier
	s_and_saveexec_b64 s[6:7], s[46:47]
	s_cbranch_execz .LBB65_267
; %bb.266:
	v_lshlrev_b32_e32 v15, 3, v9
	ds_read_b64 v[15:16], v15 offset:26496
	ds_read_b64 v[17:18], v11
	s_waitcnt lgkmcnt(0)
	v_mul_f32_e32 v19, v18, v16
	v_mul_f32_e32 v16, v17, v16
	v_fma_f32 v17, v17, v15, -v19
	v_fmac_f32_e32 v16, v18, v15
	v_sub_f32_e32 v3, v3, v17
	v_sub_f32_e32 v4, v4, v16
.LBB65_267:
	s_or_b64 exec, exec, s[6:7]
	s_barrier
	s_and_saveexec_b64 s[6:7], s[48:49]
	s_cbranch_execz .LBB65_269
; %bb.268:
	v_mov_b32_e32 v15, 0
	ds_read_b64 v[15:16], v15 offset:26000
	s_waitcnt lgkmcnt(0)
	v_mul_f32_e32 v17, v4, v16
	v_mul_f32_e32 v18, v3, v16
	v_fma_f32 v3, v3, v15, -v17
	v_fmac_f32_e32 v18, v4, v15
	v_xor_b32_e32 v15, 0x80000000, v3
	v_xor_b32_e32 v16, 0x80000000, v18
	v_mov_b32_e32 v4, v18
	ds_write_b64 v11, v[15:16]
.LBB65_269:
	s_or_b64 exec, exec, s[6:7]
	s_waitcnt lgkmcnt(0)
	s_barrier
	s_and_saveexec_b64 s[6:7], s[50:51]
	s_cbranch_execz .LBB65_271
; %bb.270:
	v_lshlrev_b32_e32 v15, 3, v9
	ds_read_b64 v[15:16], v15 offset:25984
	ds_read_b64 v[17:18], v11
	s_waitcnt lgkmcnt(0)
	v_mul_f32_e32 v19, v18, v16
	v_mul_f32_e32 v16, v17, v16
	v_fma_f32 v17, v17, v15, -v19
	v_fmac_f32_e32 v16, v18, v15
	v_sub_f32_e32 v3, v3, v17
	v_sub_f32_e32 v4, v4, v16
.LBB65_271:
	s_or_b64 exec, exec, s[6:7]
	s_barrier
	s_and_saveexec_b64 s[6:7], s[52:53]
	s_cbranch_execz .LBB65_273
; %bb.272:
	v_mov_b32_e32 v15, 0
	ds_read_b64 v[15:16], v15 offset:25480
	s_waitcnt lgkmcnt(0)
	v_mul_f32_e32 v17, v4, v16
	v_mul_f32_e32 v18, v3, v16
	v_fma_f32 v3, v3, v15, -v17
	v_fmac_f32_e32 v18, v4, v15
	v_xor_b32_e32 v15, 0x80000000, v3
	v_xor_b32_e32 v16, 0x80000000, v18
	v_mov_b32_e32 v4, v18
	ds_write_b64 v11, v[15:16]
.LBB65_273:
	s_or_b64 exec, exec, s[6:7]
	s_waitcnt lgkmcnt(0)
	s_barrier
	s_and_saveexec_b64 s[6:7], s[42:43]
	s_cbranch_execz .LBB65_275
; %bb.274:
	v_mov_b32_e32 v15, 0
	ds_read_b64 v[15:16], v15 offset:25472
	ds_read_b64 v[17:18], v11
	s_waitcnt lgkmcnt(0)
	v_mul_f32_e32 v19, v18, v16
	v_mul_f32_e32 v16, v17, v16
	v_fma_f32 v17, v17, v15, -v19
	v_fmac_f32_e32 v16, v18, v15
	v_sub_f32_e32 v3, v3, v17
	v_sub_f32_e32 v4, v4, v16
.LBB65_275:
	s_or_b64 exec, exec, s[6:7]
	s_barrier
	s_and_saveexec_b64 s[6:7], s[42:43]
	s_cbranch_execz .LBB65_277
; %bb.276:
	v_mov_b32_e32 v15, 0
	ds_read_b64 v[15:16], v15 offset:24960
	s_waitcnt lgkmcnt(0)
	v_mul_f32_e32 v17, v4, v16
	v_mul_f32_e32 v18, v3, v16
	v_fma_f32 v3, v3, v15, -v17
	v_fmac_f32_e32 v18, v4, v15
	v_xor_b32_e32 v15, 0x80000000, v3
	v_xor_b32_e32 v16, 0x80000000, v18
	v_mov_b32_e32 v4, v18
	ds_write_b64 v11, v[15:16]
.LBB65_277:
	s_or_b64 exec, exec, s[6:7]
	s_waitcnt lgkmcnt(0)
	s_barrier
	s_barrier
	s_and_saveexec_b64 s[6:7], s[10:11]
; %bb.278:
	v_lshlrev_b32_e32 v15, 3, v9
	v_lshl_or_b32 v15, v10, 9, v15
	ds_write_b64 v15, v[3:4] offset:27008
; %bb.279:
	s_or_b64 exec, exec, s[6:7]
	s_waitcnt lgkmcnt(0)
	s_barrier
	s_barrier
	s_and_saveexec_b64 s[6:7], s[54:55]
	s_cbranch_execz .LBB65_281
; %bb.280:
	v_lshlrev_b32_e32 v15, 9, v0
	ds_read_b64 v[3:4], v15 offset:27008
	s_movk_i32 s14, 0xfe08
	v_mad_i32_i24 v16, v0, s14, v15
	s_waitcnt lgkmcnt(0)
	ds_write_b64 v16, v[3:4] offset:24992
	ds_read_b64 v[3:4], v15 offset:27016
	s_waitcnt lgkmcnt(0)
	ds_write_b64 v16, v[3:4] offset:25504
	ds_read_b64 v[3:4], v15 offset:27024
	;; [unrolled: 3-line block ×3, first 2 shown]
	s_waitcnt lgkmcnt(0)
	ds_write_b64 v16, v[3:4] offset:26528
.LBB65_281:
	s_or_b64 exec, exec, s[6:7]
	s_waitcnt lgkmcnt(0)
	s_barrier
	s_and_saveexec_b64 s[6:7], vcc
	s_cbranch_execz .LBB65_283
; %bb.282:
	s_movk_i32 s14, 0x190
	v_mov_b32_e32 v3, 0
	v_add_u32_e64 v15, s14, 0
	ds_read_b64 v[3:4], v3 offset:26520
	ds_read2st64_b64 v[15:18], v15 offset0:50 offset1:51
	s_movk_i32 s14, 0x6000
	s_waitcnt lgkmcnt(0)
	v_mul_f32_e32 v19, v4, v16
	v_mul_f32_e32 v16, v3, v16
	v_fma_f32 v19, v3, v15, -v19
	v_fmac_f32_e32 v16, v4, v15
	v_mul_f32_e32 v3, v16, v18
	v_mul_f32_e32 v4, v19, v18
	v_fma_f32 v3, v19, v17, -v3
	v_fmac_f32_e32 v4, v16, v17
	v_add_u32_e64 v15, s14, 0
	ds_write2_b64 v15, v[3:4], v[3:4] offset0:179 offset1:242
.LBB65_283:
	s_or_b64 exec, exec, s[6:7]
	v_mov_b32_e32 v3, 0
	v_mov_b32_e32 v4, 0
	s_waitcnt lgkmcnt(0)
	s_barrier
	buffer_wbinvl1_vol
	s_and_saveexec_b64 s[6:7], s[22:23]
	s_cbranch_execz .LBB65_287
; %bb.284:
	v_lshlrev_b32_e32 v3, 3, v5
	v_lshlrev_b32_e32 v15, 9, v6
	ds_read_b64 v[3:4], v3 offset:25984
	ds_read_b64 v[15:16], v15 offset:26000
	v_cmp_gt_u32_e64 s[14:15], 2, v8
	s_waitcnt lgkmcnt(0)
	v_mul_f32_e32 v17, v16, v4
	v_mul_f32_e32 v4, v15, v4
	v_fma_f32 v15, v15, v3, -v17
	v_fmac_f32_e32 v4, v16, v3
	v_add_f32_e32 v3, 0, v15
	v_add_f32_e32 v4, 0, v4
	s_and_saveexec_b64 s[18:19], s[14:15]
	s_cbranch_execz .LBB65_286
; %bb.285:
	v_lshlrev_b32_e32 v15, 3, v0
	v_mov_b32_e32 v17, 0
	ds_read_b64 v[15:16], v15 offset:26496
	ds_read_b64 v[17:18], v17 offset:26520
	s_waitcnt lgkmcnt(0)
	v_mul_f32_e32 v19, v18, v16
	v_mul_f32_e32 v16, v17, v16
	v_fma_f32 v17, v17, v15, -v19
	v_fmac_f32_e32 v16, v18, v15
	v_add_f32_e32 v3, v3, v17
	v_add_f32_e32 v4, v4, v16
.LBB65_286:
	s_or_b64 exec, exec, s[18:19]
.LBB65_287:
	s_or_b64 exec, exec, s[6:7]
	s_and_saveexec_b64 s[6:7], s[38:39]
	s_cbranch_execz .LBB65_289
; %bb.288:
	v_mov_b32_e32 v15, 0
	ds_read_b64 v[15:16], v15 offset:25480
	s_waitcnt lgkmcnt(0)
	v_mul_f32_e32 v17, v4, v16
	v_mul_f32_e32 v18, v3, v16
	v_fma_f32 v3, v3, v15, -v17
	v_fmac_f32_e32 v18, v4, v15
	v_xor_b32_e32 v15, 0x80000000, v3
	v_xor_b32_e32 v16, 0x80000000, v18
	v_mov_b32_e32 v4, v18
	ds_write_b64 v7, v[15:16]
.LBB65_289:
	s_or_b64 exec, exec, s[6:7]
	s_waitcnt lgkmcnt(0)
	s_barrier
	s_and_saveexec_b64 s[6:7], s[36:37]
	s_cbranch_execz .LBB65_291
; %bb.290:
	v_mov_b32_e32 v15, 0
	ds_read_b64 v[15:16], v15 offset:25472
	ds_read_b64 v[17:18], v7
	s_waitcnt lgkmcnt(0)
	v_mul_f32_e32 v19, v18, v16
	v_mul_f32_e32 v16, v17, v16
	v_fma_f32 v17, v17, v15, -v19
	v_fmac_f32_e32 v16, v18, v15
	v_sub_f32_e32 v3, v3, v17
	v_sub_f32_e32 v4, v4, v16
.LBB65_291:
	s_or_b64 exec, exec, s[6:7]
	s_barrier
	s_and_saveexec_b64 s[6:7], s[36:37]
	s_cbranch_execz .LBB65_293
; %bb.292:
	v_mov_b32_e32 v15, 0
	ds_read_b64 v[15:16], v15 offset:24960
	s_waitcnt lgkmcnt(0)
	v_mul_f32_e32 v17, v4, v16
	v_mul_f32_e32 v18, v3, v16
	v_fma_f32 v3, v3, v15, -v17
	v_fmac_f32_e32 v18, v4, v15
	v_xor_b32_e32 v15, 0x80000000, v3
	v_xor_b32_e32 v16, 0x80000000, v18
	v_mov_b32_e32 v4, v18
	ds_write_b64 v7, v[15:16]
.LBB65_293:
	s_or_b64 exec, exec, s[6:7]
	s_waitcnt lgkmcnt(0)
	s_barrier
	s_barrier
	s_and_saveexec_b64 s[6:7], s[22:23]
; %bb.294:
	v_lshlrev_b32_e32 v15, 3, v5
	v_lshl_or_b32 v15, v6, 9, v15
	ds_write_b64 v15, v[3:4] offset:25984
; %bb.295:
	s_or_b64 exec, exec, s[6:7]
	s_waitcnt lgkmcnt(0)
	s_barrier
	s_barrier
	s_and_saveexec_b64 s[6:7], s[40:41]
	s_cbranch_execz .LBB65_297
; %bb.296:
	v_lshlrev_b32_e32 v15, 3, v0
	s_movk_i32 s14, 0x1f8
	v_mad_u32_u24 v16, v0, s14, v15
	ds_read_b64 v[3:4], v16 offset:25984
	s_waitcnt lgkmcnt(0)
	ds_write_b64 v15, v[3:4] offset:24976
	ds_read_b64 v[3:4], v16 offset:25992
	s_waitcnt lgkmcnt(0)
	ds_write_b64 v15, v[3:4] offset:25488
.LBB65_297:
	s_or_b64 exec, exec, s[6:7]
	s_waitcnt lgkmcnt(0)
	s_barrier
	s_and_saveexec_b64 s[6:7], vcc
	s_cbranch_execz .LBB65_299
; %bb.298:
	s_movk_i32 s14, 0x180
	v_mov_b32_e32 v3, 0
	v_add_u32_e64 v15, s14, 0
	ds_read_b64 v[3:4], v3 offset:25480
	ds_read2st64_b64 v[15:18], v15 offset0:48 offset1:49
	s_movk_i32 s14, 0x6000
	s_waitcnt lgkmcnt(0)
	v_mul_f32_e32 v19, v4, v16
	v_mul_f32_e32 v16, v3, v16
	v_fma_f32 v19, v3, v15, -v19
	v_fmac_f32_e32 v16, v4, v15
	v_mul_f32_e32 v3, v16, v18
	v_mul_f32_e32 v4, v19, v18
	v_fma_f32 v3, v19, v17, -v3
	v_fmac_f32_e32 v4, v16, v17
	v_add_u32_e64 v15, s14, 0
	ds_write2_b64 v15, v[3:4], v[3:4] offset0:49 offset1:112
.LBB65_299:
	s_or_b64 exec, exec, s[6:7]
	s_movk_i32 s6, 0xff
	v_lshrrev_b32_e32 v17, 4, v8
	v_cmp_lt_u32_e64 s[18:19], s6, v8
	s_movk_i32 s6, 0x100
	v_and_b32_e32 v15, 15, v0
	v_sub_u32_e32 v16, 15, v17
	v_cmp_gt_u32_e64 s[14:15], s6, v8
	v_mov_b32_e32 v4, 0
	v_mov_b32_e32 v3, 0
	s_waitcnt lgkmcnt(0)
	s_barrier
	buffer_wbinvl1_vol
	s_and_saveexec_b64 s[6:7], s[14:15]
	s_cbranch_execz .LBB65_327
; %bb.300:
	v_lshlrev_b32_e32 v18, 3, v15
	v_lshlrev_b32_e32 v19, 9, v16
	ds_read_b64 v[3:4], v18 offset:24832
	ds_read_b64 v[20:21], v19 offset:24960
	s_movk_i32 s20, 0xf0
	v_cmp_gt_u32_e64 s[20:21], s20, v8
	s_waitcnt lgkmcnt(0)
	v_mul_f32_e32 v22, v21, v4
	v_mul_f32_e32 v4, v20, v4
	v_fma_f32 v20, v20, v3, -v22
	v_fmac_f32_e32 v4, v21, v3
	v_add_f32_e32 v3, 0, v20
	v_add_f32_e32 v4, 0, v4
	s_and_saveexec_b64 s[24:25], s[20:21]
	s_cbranch_execz .LBB65_302
; %bb.301:
	ds_read_b64 v[20:21], v18 offset:25344
	ds_read_b64 v[22:23], v19 offset:24968
	s_waitcnt lgkmcnt(0)
	v_mul_f32_e32 v24, v23, v21
	v_mul_f32_e32 v21, v22, v21
	v_fma_f32 v22, v22, v20, -v24
	v_fmac_f32_e32 v21, v23, v20
	v_add_f32_e32 v3, v3, v22
	v_add_f32_e32 v4, v4, v21
.LBB65_302:
	s_or_b64 exec, exec, s[24:25]
	s_movk_i32 s20, 0xe0
	v_cmp_gt_u32_e64 s[20:21], s20, v8
	s_and_saveexec_b64 s[24:25], s[20:21]
	s_cbranch_execz .LBB65_304
; %bb.303:
	ds_read_b64 v[20:21], v18 offset:25856
	ds_read_b64 v[22:23], v19 offset:24976
	s_waitcnt lgkmcnt(0)
	v_mul_f32_e32 v24, v23, v21
	v_mul_f32_e32 v21, v22, v21
	v_fma_f32 v22, v22, v20, -v24
	v_fmac_f32_e32 v21, v23, v20
	v_add_f32_e32 v3, v3, v22
	v_add_f32_e32 v4, v4, v21
.LBB65_304:
	s_or_b64 exec, exec, s[24:25]
	s_movk_i32 s20, 0xd0
	v_cmp_gt_u32_e64 s[20:21], s20, v8
	;; [unrolled: 16-line block ×10, first 2 shown]
	s_and_saveexec_b64 s[24:25], s[20:21]
	s_cbranch_execnz .LBB65_1126
; %bb.321:
	s_or_b64 exec, exec, s[24:25]
	s_and_saveexec_b64 s[20:21], s[12:13]
	s_cbranch_execnz .LBB65_1127
.LBB65_322:
	s_or_b64 exec, exec, s[20:21]
	v_cmp_gt_u32_e64 s[20:21], 48, v8
	s_and_saveexec_b64 s[24:25], s[20:21]
	s_cbranch_execnz .LBB65_1128
.LBB65_323:
	s_or_b64 exec, exec, s[24:25]
	v_cmp_gt_u32_e64 s[20:21], 32, v8
	s_and_saveexec_b64 s[24:25], s[20:21]
	s_cbranch_execnz .LBB65_1129
.LBB65_324:
	s_or_b64 exec, exec, s[24:25]
	v_cmp_gt_u32_e64 s[20:21], 16, v8
	s_and_saveexec_b64 s[24:25], s[20:21]
	s_cbranch_execz .LBB65_326
.LBB65_325:
	v_lshlrev_b32_e32 v18, 3, v0
	v_mov_b32_e32 v20, 0
	ds_read_b64 v[18:19], v18 offset:32512
	ds_read_b64 v[20:21], v20 offset:32760
	s_waitcnt lgkmcnt(0)
	v_mul_f32_e32 v22, v21, v19
	v_mul_f32_e32 v19, v20, v19
	v_fma_f32 v20, v20, v18, -v22
	v_fmac_f32_e32 v19, v21, v18
	v_add_f32_e32 v3, v3, v20
	v_add_f32_e32 v4, v4, v19
.LBB65_326:
	s_or_b64 exec, exec, s[24:25]
.LBB65_327:
	s_or_b64 exec, exec, s[6:7]
	v_mov_b32_e32 v18, 0x8000
	v_lshl_add_u32 v17, v17, 3, v18
	v_cmp_eq_u32_e64 s[20:21], 15, v15
	s_xor_b64 s[24:25], s[18:19], -1
	s_and_b64 s[18:19], s[20:21], s[24:25]
	s_mov_b64 s[6:7], exec
	v_writelane_b32 v30, s18, 3
	v_writelane_b32 v30, s19, 4
	s_and_b64 s[18:19], s[6:7], s[18:19]
	s_mov_b64 exec, s[18:19]
	s_cbranch_execz .LBB65_329
; %bb.328:
	v_mov_b32_e32 v18, 0
	ds_read_b64 v[18:19], v18 offset:24440
	s_waitcnt lgkmcnt(0)
	v_mul_f32_e32 v20, v4, v19
	v_mul_f32_e32 v21, v3, v19
	v_fma_f32 v3, v3, v18, -v20
	v_fmac_f32_e32 v21, v4, v18
	v_xor_b32_e32 v18, 0x80000000, v3
	v_xor_b32_e32 v19, 0x80000000, v21
	v_mov_b32_e32 v4, v21
	ds_write_b64 v17, v[18:19]
.LBB65_329:
	s_or_b64 exec, exec, s[6:7]
	v_cmp_ne_u32_e64 s[18:19], 15, v15
	s_waitcnt lgkmcnt(0)
	s_barrier
	s_and_b64 s[18:19], s[18:19], s[24:25]
	s_mov_b64 s[6:7], exec
	v_writelane_b32 v30, s18, 5
	v_writelane_b32 v30, s19, 6
	s_and_b64 s[18:19], s[6:7], s[18:19]
	s_mov_b64 exec, s[18:19]
	s_cbranch_execz .LBB65_331
; %bb.330:
	v_lshlrev_b32_e32 v18, 3, v15
	ds_read_b64 v[18:19], v18 offset:24320
	ds_read_b64 v[20:21], v17
	s_waitcnt lgkmcnt(0)
	v_mul_f32_e32 v22, v21, v19
	v_mul_f32_e32 v19, v20, v19
	v_fma_f32 v20, v20, v18, -v22
	v_fmac_f32_e32 v19, v21, v18
	v_sub_f32_e32 v3, v3, v20
	v_sub_f32_e32 v4, v4, v19
.LBB65_331:
	s_or_b64 exec, exec, s[6:7]
	v_cmp_eq_u32_e64 s[18:19], 14, v15
	s_barrier
	s_and_b64 s[18:19], s[18:19], s[24:25]
	s_mov_b64 s[6:7], exec
	v_writelane_b32 v30, s18, 7
	v_writelane_b32 v30, s19, 8
	s_and_b64 s[18:19], s[6:7], s[18:19]
	s_mov_b64 exec, s[18:19]
	s_cbranch_execz .LBB65_333
; %bb.332:
	v_mov_b32_e32 v18, 0
	ds_read_b64 v[18:19], v18 offset:23920
	s_waitcnt lgkmcnt(0)
	v_mul_f32_e32 v20, v4, v19
	v_mul_f32_e32 v21, v3, v19
	v_fma_f32 v3, v3, v18, -v20
	v_fmac_f32_e32 v21, v4, v18
	v_xor_b32_e32 v18, 0x80000000, v3
	v_xor_b32_e32 v19, 0x80000000, v21
	v_mov_b32_e32 v4, v21
	ds_write_b64 v17, v[18:19]
.LBB65_333:
	s_or_b64 exec, exec, s[6:7]
	v_cmp_gt_u32_e64 s[18:19], 14, v15
	s_waitcnt lgkmcnt(0)
	s_barrier
	s_and_b64 s[18:19], s[18:19], s[24:25]
	s_mov_b64 s[6:7], exec
	v_writelane_b32 v30, s18, 9
	v_writelane_b32 v30, s19, 10
	s_and_b64 s[18:19], s[6:7], s[18:19]
	s_mov_b64 exec, s[18:19]
	s_cbranch_execz .LBB65_335
; %bb.334:
	v_lshlrev_b32_e32 v18, 3, v15
	ds_read_b64 v[18:19], v18 offset:23808
	ds_read_b64 v[20:21], v17
	s_waitcnt lgkmcnt(0)
	v_mul_f32_e32 v22, v21, v19
	v_mul_f32_e32 v19, v20, v19
	v_fma_f32 v20, v20, v18, -v22
	v_fmac_f32_e32 v19, v21, v18
	v_sub_f32_e32 v3, v3, v20
	v_sub_f32_e32 v4, v4, v19
.LBB65_335:
	s_or_b64 exec, exec, s[6:7]
	v_cmp_eq_u32_e64 s[18:19], 13, v15
	s_barrier
	s_and_b64 s[18:19], s[18:19], s[24:25]
	s_mov_b64 s[6:7], exec
	v_writelane_b32 v30, s18, 11
	v_writelane_b32 v30, s19, 12
	s_and_b64 s[18:19], s[6:7], s[18:19]
	s_mov_b64 exec, s[18:19]
	s_cbranch_execz .LBB65_337
; %bb.336:
	v_mov_b32_e32 v18, 0
	ds_read_b64 v[18:19], v18 offset:23400
	s_waitcnt lgkmcnt(0)
	v_mul_f32_e32 v20, v4, v19
	v_mul_f32_e32 v21, v3, v19
	v_fma_f32 v3, v3, v18, -v20
	v_fmac_f32_e32 v21, v4, v18
	v_xor_b32_e32 v18, 0x80000000, v3
	v_xor_b32_e32 v19, 0x80000000, v21
	v_mov_b32_e32 v4, v21
	ds_write_b64 v17, v[18:19]
.LBB65_337:
	s_or_b64 exec, exec, s[6:7]
	v_cmp_gt_u32_e64 s[18:19], 13, v15
	s_waitcnt lgkmcnt(0)
	s_barrier
	s_and_b64 s[18:19], s[18:19], s[24:25]
	s_mov_b64 s[6:7], exec
	v_writelane_b32 v30, s18, 13
	v_writelane_b32 v30, s19, 14
	s_and_b64 s[18:19], s[6:7], s[18:19]
	s_mov_b64 exec, s[18:19]
	s_cbranch_execz .LBB65_339
; %bb.338:
	v_lshlrev_b32_e32 v18, 3, v15
	ds_read_b64 v[18:19], v18 offset:23296
	ds_read_b64 v[20:21], v17
	s_waitcnt lgkmcnt(0)
	v_mul_f32_e32 v22, v21, v19
	v_mul_f32_e32 v19, v20, v19
	v_fma_f32 v20, v20, v18, -v22
	v_fmac_f32_e32 v19, v21, v18
	v_sub_f32_e32 v3, v3, v20
	v_sub_f32_e32 v4, v4, v19
.LBB65_339:
	s_or_b64 exec, exec, s[6:7]
	v_cmp_eq_u32_e64 s[18:19], 12, v15
	s_barrier
	s_and_b64 s[18:19], s[18:19], s[24:25]
	s_mov_b64 s[6:7], exec
	v_writelane_b32 v30, s18, 15
	v_writelane_b32 v30, s19, 16
	s_and_b64 s[18:19], s[6:7], s[18:19]
	s_mov_b64 exec, s[18:19]
	s_cbranch_execz .LBB65_341
; %bb.340:
	v_mov_b32_e32 v18, 0
	ds_read_b64 v[18:19], v18 offset:22880
	s_waitcnt lgkmcnt(0)
	v_mul_f32_e32 v20, v4, v19
	v_mul_f32_e32 v21, v3, v19
	v_fma_f32 v3, v3, v18, -v20
	v_fmac_f32_e32 v21, v4, v18
	v_xor_b32_e32 v18, 0x80000000, v3
	v_xor_b32_e32 v19, 0x80000000, v21
	v_mov_b32_e32 v4, v21
	ds_write_b64 v17, v[18:19]
.LBB65_341:
	s_or_b64 exec, exec, s[6:7]
	v_cmp_gt_u32_e64 s[18:19], 12, v15
	s_waitcnt lgkmcnt(0)
	s_barrier
	s_and_b64 s[18:19], s[18:19], s[24:25]
	s_mov_b64 s[6:7], exec
	v_writelane_b32 v30, s18, 17
	v_writelane_b32 v30, s19, 18
	s_and_b64 s[18:19], s[6:7], s[18:19]
	s_mov_b64 exec, s[18:19]
	s_cbranch_execz .LBB65_343
; %bb.342:
	v_lshlrev_b32_e32 v18, 3, v15
	ds_read_b64 v[18:19], v18 offset:22784
	ds_read_b64 v[20:21], v17
	s_waitcnt lgkmcnt(0)
	v_mul_f32_e32 v22, v21, v19
	v_mul_f32_e32 v19, v20, v19
	v_fma_f32 v20, v20, v18, -v22
	v_fmac_f32_e32 v19, v21, v18
	v_sub_f32_e32 v3, v3, v20
	v_sub_f32_e32 v4, v4, v19
.LBB65_343:
	s_or_b64 exec, exec, s[6:7]
	v_cmp_eq_u32_e64 s[18:19], 11, v15
	s_barrier
	s_and_b64 s[18:19], s[18:19], s[24:25]
	s_mov_b64 s[6:7], exec
	v_writelane_b32 v30, s18, 19
	v_writelane_b32 v30, s19, 20
	s_and_b64 s[18:19], s[6:7], s[18:19]
	s_mov_b64 exec, s[18:19]
	s_cbranch_execz .LBB65_345
; %bb.344:
	v_mov_b32_e32 v18, 0
	ds_read_b64 v[18:19], v18 offset:22360
	s_waitcnt lgkmcnt(0)
	v_mul_f32_e32 v20, v4, v19
	v_mul_f32_e32 v21, v3, v19
	v_fma_f32 v3, v3, v18, -v20
	v_fmac_f32_e32 v21, v4, v18
	v_xor_b32_e32 v18, 0x80000000, v3
	v_xor_b32_e32 v19, 0x80000000, v21
	v_mov_b32_e32 v4, v21
	ds_write_b64 v17, v[18:19]
.LBB65_345:
	s_or_b64 exec, exec, s[6:7]
	v_cmp_gt_u32_e64 s[18:19], 11, v15
	s_waitcnt lgkmcnt(0)
	s_barrier
	s_and_b64 s[18:19], s[18:19], s[24:25]
	s_mov_b64 s[6:7], exec
	v_writelane_b32 v30, s18, 21
	v_writelane_b32 v30, s19, 22
	s_and_b64 s[18:19], s[6:7], s[18:19]
	s_mov_b64 exec, s[18:19]
	s_cbranch_execz .LBB65_347
; %bb.346:
	v_lshlrev_b32_e32 v18, 3, v15
	ds_read_b64 v[18:19], v18 offset:22272
	ds_read_b64 v[20:21], v17
	s_waitcnt lgkmcnt(0)
	v_mul_f32_e32 v22, v21, v19
	v_mul_f32_e32 v19, v20, v19
	v_fma_f32 v20, v20, v18, -v22
	v_fmac_f32_e32 v19, v21, v18
	v_sub_f32_e32 v3, v3, v20
	v_sub_f32_e32 v4, v4, v19
.LBB65_347:
	s_or_b64 exec, exec, s[6:7]
	v_cmp_eq_u32_e64 s[18:19], 10, v15
	s_barrier
	s_and_b64 s[18:19], s[18:19], s[24:25]
	s_mov_b64 s[6:7], exec
	v_writelane_b32 v30, s18, 23
	v_writelane_b32 v30, s19, 24
	s_and_b64 s[18:19], s[6:7], s[18:19]
	s_mov_b64 exec, s[18:19]
	s_cbranch_execz .LBB65_349
; %bb.348:
	v_mov_b32_e32 v18, 0
	ds_read_b64 v[18:19], v18 offset:21840
	s_waitcnt lgkmcnt(0)
	v_mul_f32_e32 v20, v4, v19
	v_mul_f32_e32 v21, v3, v19
	v_fma_f32 v3, v3, v18, -v20
	v_fmac_f32_e32 v21, v4, v18
	v_xor_b32_e32 v18, 0x80000000, v3
	v_xor_b32_e32 v19, 0x80000000, v21
	v_mov_b32_e32 v4, v21
	ds_write_b64 v17, v[18:19]
.LBB65_349:
	s_or_b64 exec, exec, s[6:7]
	v_cmp_gt_u32_e64 s[18:19], 10, v15
	s_waitcnt lgkmcnt(0)
	s_barrier
	s_and_b64 s[18:19], s[18:19], s[24:25]
	s_mov_b64 s[6:7], exec
	v_writelane_b32 v30, s18, 25
	v_writelane_b32 v30, s19, 26
	s_and_b64 s[18:19], s[6:7], s[18:19]
	s_mov_b64 exec, s[18:19]
	s_cbranch_execz .LBB65_351
; %bb.350:
	v_lshlrev_b32_e32 v18, 3, v15
	ds_read_b64 v[18:19], v18 offset:21760
	ds_read_b64 v[20:21], v17
	s_waitcnt lgkmcnt(0)
	v_mul_f32_e32 v22, v21, v19
	v_mul_f32_e32 v19, v20, v19
	v_fma_f32 v20, v20, v18, -v22
	v_fmac_f32_e32 v19, v21, v18
	v_sub_f32_e32 v3, v3, v20
	v_sub_f32_e32 v4, v4, v19
.LBB65_351:
	s_or_b64 exec, exec, s[6:7]
	v_cmp_eq_u32_e64 s[18:19], 9, v15
	s_barrier
	s_and_b64 s[18:19], s[18:19], s[24:25]
	s_mov_b64 s[6:7], exec
	v_writelane_b32 v30, s18, 27
	v_writelane_b32 v30, s19, 28
	s_and_b64 s[18:19], s[6:7], s[18:19]
	s_mov_b64 exec, s[18:19]
	s_cbranch_execz .LBB65_353
; %bb.352:
	v_mov_b32_e32 v18, 0
	ds_read_b64 v[18:19], v18 offset:21320
	s_waitcnt lgkmcnt(0)
	v_mul_f32_e32 v20, v4, v19
	v_mul_f32_e32 v21, v3, v19
	v_fma_f32 v3, v3, v18, -v20
	v_fmac_f32_e32 v21, v4, v18
	v_xor_b32_e32 v18, 0x80000000, v3
	v_xor_b32_e32 v19, 0x80000000, v21
	v_mov_b32_e32 v4, v21
	ds_write_b64 v17, v[18:19]
.LBB65_353:
	s_or_b64 exec, exec, s[6:7]
	v_cmp_gt_u32_e64 s[18:19], 9, v15
	s_waitcnt lgkmcnt(0)
	s_barrier
	s_and_b64 s[18:19], s[18:19], s[24:25]
	s_mov_b64 s[6:7], exec
	v_writelane_b32 v30, s18, 29
	v_writelane_b32 v30, s19, 30
	s_and_b64 s[18:19], s[6:7], s[18:19]
	s_mov_b64 exec, s[18:19]
	s_cbranch_execz .LBB65_355
; %bb.354:
	v_lshlrev_b32_e32 v18, 3, v15
	ds_read_b64 v[18:19], v18 offset:21248
	ds_read_b64 v[20:21], v17
	s_waitcnt lgkmcnt(0)
	v_mul_f32_e32 v22, v21, v19
	v_mul_f32_e32 v19, v20, v19
	v_fma_f32 v20, v20, v18, -v22
	v_fmac_f32_e32 v19, v21, v18
	v_sub_f32_e32 v3, v3, v20
	v_sub_f32_e32 v4, v4, v19
.LBB65_355:
	s_or_b64 exec, exec, s[6:7]
	v_cmp_eq_u32_e64 s[18:19], 8, v15
	s_barrier
	s_and_b64 s[18:19], s[18:19], s[24:25]
	s_mov_b64 s[6:7], exec
	v_writelane_b32 v30, s18, 31
	v_writelane_b32 v30, s19, 32
	s_and_b64 s[18:19], s[6:7], s[18:19]
	s_mov_b64 exec, s[18:19]
	s_cbranch_execz .LBB65_357
; %bb.356:
	v_mov_b32_e32 v18, 0
	ds_read_b64 v[18:19], v18 offset:20800
	s_waitcnt lgkmcnt(0)
	v_mul_f32_e32 v20, v4, v19
	v_mul_f32_e32 v21, v3, v19
	v_fma_f32 v3, v3, v18, -v20
	v_fmac_f32_e32 v21, v4, v18
	v_xor_b32_e32 v18, 0x80000000, v3
	v_xor_b32_e32 v19, 0x80000000, v21
	v_mov_b32_e32 v4, v21
	ds_write_b64 v17, v[18:19]
.LBB65_357:
	s_or_b64 exec, exec, s[6:7]
	v_cmp_gt_u32_e64 s[18:19], 8, v15
	s_waitcnt lgkmcnt(0)
	s_barrier
	s_and_b64 s[18:19], s[18:19], s[24:25]
	s_mov_b64 s[6:7], exec
	v_writelane_b32 v30, s18, 33
	v_writelane_b32 v30, s19, 34
	s_and_b64 s[18:19], s[6:7], s[18:19]
	s_mov_b64 exec, s[18:19]
	s_cbranch_execz .LBB65_359
; %bb.358:
	v_lshlrev_b32_e32 v18, 3, v15
	ds_read_b64 v[18:19], v18 offset:20736
	ds_read_b64 v[20:21], v17
	s_waitcnt lgkmcnt(0)
	v_mul_f32_e32 v22, v21, v19
	v_mul_f32_e32 v19, v20, v19
	v_fma_f32 v20, v20, v18, -v22
	v_fmac_f32_e32 v19, v21, v18
	v_sub_f32_e32 v3, v3, v20
	v_sub_f32_e32 v4, v4, v19
.LBB65_359:
	s_or_b64 exec, exec, s[6:7]
	v_cmp_eq_u32_e64 s[18:19], 7, v15
	s_barrier
	s_and_b64 s[18:19], s[18:19], s[24:25]
	s_mov_b64 s[6:7], exec
	v_writelane_b32 v30, s18, 35
	v_writelane_b32 v30, s19, 36
	s_and_b64 s[18:19], s[6:7], s[18:19]
	s_mov_b64 exec, s[18:19]
	s_cbranch_execz .LBB65_361
; %bb.360:
	v_mov_b32_e32 v18, 0
	ds_read_b64 v[18:19], v18 offset:20280
	s_waitcnt lgkmcnt(0)
	v_mul_f32_e32 v20, v4, v19
	v_mul_f32_e32 v21, v3, v19
	v_fma_f32 v3, v3, v18, -v20
	v_fmac_f32_e32 v21, v4, v18
	v_xor_b32_e32 v18, 0x80000000, v3
	v_xor_b32_e32 v19, 0x80000000, v21
	v_mov_b32_e32 v4, v21
	ds_write_b64 v17, v[18:19]
.LBB65_361:
	s_or_b64 exec, exec, s[6:7]
	v_cmp_gt_u32_e64 s[18:19], 7, v15
	s_waitcnt lgkmcnt(0)
	s_barrier
	s_and_b64 s[18:19], s[18:19], s[24:25]
	s_mov_b64 s[6:7], exec
	v_writelane_b32 v30, s18, 37
	v_writelane_b32 v30, s19, 38
	s_and_b64 s[18:19], s[6:7], s[18:19]
	s_mov_b64 exec, s[18:19]
	s_cbranch_execz .LBB65_363
; %bb.362:
	v_lshlrev_b32_e32 v18, 3, v15
	ds_read_b64 v[18:19], v18 offset:20224
	ds_read_b64 v[20:21], v17
	s_waitcnt lgkmcnt(0)
	v_mul_f32_e32 v22, v21, v19
	v_mul_f32_e32 v19, v20, v19
	v_fma_f32 v20, v20, v18, -v22
	v_fmac_f32_e32 v19, v21, v18
	v_sub_f32_e32 v3, v3, v20
	v_sub_f32_e32 v4, v4, v19
.LBB65_363:
	s_or_b64 exec, exec, s[6:7]
	v_cmp_eq_u32_e64 s[18:19], 6, v15
	s_barrier
	s_and_b64 s[18:19], s[18:19], s[24:25]
	s_mov_b64 s[6:7], exec
	v_writelane_b32 v30, s18, 39
	v_writelane_b32 v30, s19, 40
	s_and_b64 s[18:19], s[6:7], s[18:19]
	s_mov_b64 exec, s[18:19]
	s_cbranch_execz .LBB65_365
; %bb.364:
	v_mov_b32_e32 v18, 0
	ds_read_b64 v[18:19], v18 offset:19760
	s_waitcnt lgkmcnt(0)
	v_mul_f32_e32 v20, v4, v19
	v_mul_f32_e32 v21, v3, v19
	v_fma_f32 v3, v3, v18, -v20
	v_fmac_f32_e32 v21, v4, v18
	v_xor_b32_e32 v18, 0x80000000, v3
	v_xor_b32_e32 v19, 0x80000000, v21
	v_mov_b32_e32 v4, v21
	ds_write_b64 v17, v[18:19]
.LBB65_365:
	s_or_b64 exec, exec, s[6:7]
	v_cmp_gt_u32_e64 s[18:19], 6, v15
	s_waitcnt lgkmcnt(0)
	s_barrier
	s_and_b64 s[18:19], s[18:19], s[24:25]
	s_mov_b64 s[6:7], exec
	v_writelane_b32 v30, s18, 41
	v_writelane_b32 v30, s19, 42
	s_and_b64 s[18:19], s[6:7], s[18:19]
	s_mov_b64 exec, s[18:19]
	s_cbranch_execz .LBB65_367
; %bb.366:
	v_lshlrev_b32_e32 v18, 3, v15
	ds_read_b64 v[18:19], v18 offset:19712
	ds_read_b64 v[20:21], v17
	s_waitcnt lgkmcnt(0)
	v_mul_f32_e32 v22, v21, v19
	v_mul_f32_e32 v19, v20, v19
	v_fma_f32 v20, v20, v18, -v22
	v_fmac_f32_e32 v19, v21, v18
	v_sub_f32_e32 v3, v3, v20
	v_sub_f32_e32 v4, v4, v19
.LBB65_367:
	s_or_b64 exec, exec, s[6:7]
	v_cmp_eq_u32_e64 s[18:19], 5, v15
	s_barrier
	s_and_b64 s[18:19], s[18:19], s[24:25]
	s_mov_b64 s[6:7], exec
	v_writelane_b32 v30, s18, 43
	v_writelane_b32 v30, s19, 44
	s_and_b64 s[18:19], s[6:7], s[18:19]
	s_mov_b64 exec, s[18:19]
	s_cbranch_execz .LBB65_369
; %bb.368:
	v_mov_b32_e32 v18, 0
	ds_read_b64 v[18:19], v18 offset:19240
	s_waitcnt lgkmcnt(0)
	v_mul_f32_e32 v20, v4, v19
	v_mul_f32_e32 v21, v3, v19
	v_fma_f32 v3, v3, v18, -v20
	v_fmac_f32_e32 v21, v4, v18
	v_xor_b32_e32 v18, 0x80000000, v3
	v_xor_b32_e32 v19, 0x80000000, v21
	v_mov_b32_e32 v4, v21
	ds_write_b64 v17, v[18:19]
.LBB65_369:
	s_or_b64 exec, exec, s[6:7]
	v_cmp_gt_u32_e64 s[18:19], 5, v15
	s_waitcnt lgkmcnt(0)
	s_barrier
	s_and_b64 s[18:19], s[18:19], s[24:25]
	s_mov_b64 s[6:7], exec
	v_writelane_b32 v30, s18, 45
	v_writelane_b32 v30, s19, 46
	s_and_b64 s[18:19], s[6:7], s[18:19]
	s_mov_b64 exec, s[18:19]
	s_cbranch_execz .LBB65_371
; %bb.370:
	v_lshlrev_b32_e32 v18, 3, v15
	ds_read_b64 v[18:19], v18 offset:19200
	ds_read_b64 v[20:21], v17
	s_waitcnt lgkmcnt(0)
	v_mul_f32_e32 v22, v21, v19
	v_mul_f32_e32 v19, v20, v19
	v_fma_f32 v20, v20, v18, -v22
	v_fmac_f32_e32 v19, v21, v18
	v_sub_f32_e32 v3, v3, v20
	v_sub_f32_e32 v4, v4, v19
.LBB65_371:
	s_or_b64 exec, exec, s[6:7]
	v_cmp_eq_u32_e64 s[18:19], 4, v15
	s_barrier
	s_and_b64 s[18:19], s[18:19], s[24:25]
	s_mov_b64 s[6:7], exec
	v_writelane_b32 v30, s18, 47
	v_writelane_b32 v30, s19, 48
	s_and_b64 s[18:19], s[6:7], s[18:19]
	s_mov_b64 exec, s[18:19]
	s_cbranch_execz .LBB65_373
; %bb.372:
	v_mov_b32_e32 v18, 0
	ds_read_b64 v[18:19], v18 offset:18720
	s_waitcnt lgkmcnt(0)
	v_mul_f32_e32 v20, v4, v19
	v_mul_f32_e32 v21, v3, v19
	v_fma_f32 v3, v3, v18, -v20
	v_fmac_f32_e32 v21, v4, v18
	v_xor_b32_e32 v18, 0x80000000, v3
	v_xor_b32_e32 v19, 0x80000000, v21
	v_mov_b32_e32 v4, v21
	ds_write_b64 v17, v[18:19]
.LBB65_373:
	s_or_b64 exec, exec, s[6:7]
	v_cmp_gt_u32_e64 s[18:19], 4, v15
	s_waitcnt lgkmcnt(0)
	s_barrier
	s_and_b64 s[18:19], s[18:19], s[24:25]
	s_mov_b64 s[6:7], exec
	v_writelane_b32 v30, s18, 49
	v_writelane_b32 v30, s19, 50
	s_and_b64 s[18:19], s[6:7], s[18:19]
	s_mov_b64 exec, s[18:19]
	s_cbranch_execz .LBB65_375
; %bb.374:
	v_lshlrev_b32_e32 v18, 3, v15
	ds_read_b64 v[18:19], v18 offset:18688
	ds_read_b64 v[20:21], v17
	s_waitcnt lgkmcnt(0)
	v_mul_f32_e32 v22, v21, v19
	v_mul_f32_e32 v19, v20, v19
	v_fma_f32 v20, v20, v18, -v22
	v_fmac_f32_e32 v19, v21, v18
	v_sub_f32_e32 v3, v3, v20
	v_sub_f32_e32 v4, v4, v19
.LBB65_375:
	s_or_b64 exec, exec, s[6:7]
	v_cmp_eq_u32_e64 s[18:19], 3, v15
	s_and_b64 s[6:7], s[18:19], s[24:25]
	s_barrier
	s_and_saveexec_b64 s[18:19], s[6:7]
	s_cbranch_execz .LBB65_377
; %bb.376:
	v_mov_b32_e32 v18, 0
	ds_read_b64 v[18:19], v18 offset:18200
	s_waitcnt lgkmcnt(0)
	v_mul_f32_e32 v20, v4, v19
	v_mul_f32_e32 v21, v3, v19
	v_fma_f32 v3, v3, v18, -v20
	v_fmac_f32_e32 v21, v4, v18
	v_xor_b32_e32 v18, 0x80000000, v3
	v_xor_b32_e32 v19, 0x80000000, v21
	v_mov_b32_e32 v4, v21
	ds_write_b64 v17, v[18:19]
.LBB65_377:
	s_or_b64 exec, exec, s[18:19]
	v_cmp_gt_u32_e64 s[18:19], 3, v15
	s_waitcnt lgkmcnt(0)
	s_barrier
	s_and_b64 s[20:21], s[18:19], s[24:25]
	s_mov_b64 s[18:19], exec
	v_writelane_b32 v30, s20, 51
	v_writelane_b32 v30, s21, 52
	s_and_b64 s[20:21], s[18:19], s[20:21]
	s_mov_b64 exec, s[20:21]
	s_cbranch_execz .LBB65_379
; %bb.378:
	v_lshlrev_b32_e32 v18, 3, v15
	ds_read_b64 v[18:19], v18 offset:18176
	ds_read_b64 v[20:21], v17
	s_waitcnt lgkmcnt(0)
	v_mul_f32_e32 v22, v21, v19
	v_mul_f32_e32 v19, v20, v19
	v_fma_f32 v20, v20, v18, -v22
	v_fmac_f32_e32 v19, v21, v18
	v_sub_f32_e32 v3, v3, v20
	v_sub_f32_e32 v4, v4, v19
.LBB65_379:
	s_or_b64 exec, exec, s[18:19]
	v_cmp_eq_u32_e64 s[18:19], 2, v15
	s_barrier
	s_and_b64 s[20:21], s[18:19], s[24:25]
	s_mov_b64 s[18:19], exec
	v_writelane_b32 v30, s20, 53
	v_writelane_b32 v30, s21, 54
	s_and_b64 s[20:21], s[18:19], s[20:21]
	s_mov_b64 exec, s[20:21]
	s_cbranch_execz .LBB65_381
; %bb.380:
	v_mov_b32_e32 v18, 0
	ds_read_b64 v[18:19], v18 offset:17680
	s_waitcnt lgkmcnt(0)
	v_mul_f32_e32 v20, v4, v19
	v_mul_f32_e32 v21, v3, v19
	v_fma_f32 v3, v3, v18, -v20
	v_fmac_f32_e32 v21, v4, v18
	v_xor_b32_e32 v18, 0x80000000, v3
	v_xor_b32_e32 v19, 0x80000000, v21
	v_mov_b32_e32 v4, v21
	ds_write_b64 v17, v[18:19]
.LBB65_381:
	s_or_b64 exec, exec, s[18:19]
	v_cmp_gt_u32_e64 s[18:19], 2, v15
	s_and_b64 s[88:89], s[18:19], s[24:25]
	s_waitcnt lgkmcnt(0)
	s_barrier
	s_and_saveexec_b64 s[18:19], s[88:89]
	s_cbranch_execz .LBB65_383
; %bb.382:
	v_lshlrev_b32_e32 v18, 3, v15
	ds_read_b64 v[18:19], v18 offset:17664
	ds_read_b64 v[20:21], v17
	s_waitcnt lgkmcnt(0)
	v_mul_f32_e32 v22, v21, v19
	v_mul_f32_e32 v19, v20, v19
	v_fma_f32 v20, v20, v18, -v22
	v_fmac_f32_e32 v19, v21, v18
	v_sub_f32_e32 v3, v3, v20
	v_sub_f32_e32 v4, v4, v19
.LBB65_383:
	s_or_b64 exec, exec, s[18:19]
	v_cmp_eq_u32_e64 s[18:19], 1, v15
	s_and_b64 s[92:93], s[18:19], s[24:25]
	s_barrier
	s_and_saveexec_b64 s[18:19], s[92:93]
	s_cbranch_execz .LBB65_385
; %bb.384:
	v_mov_b32_e32 v18, 0
	ds_read_b64 v[18:19], v18 offset:17160
	s_waitcnt lgkmcnt(0)
	v_mul_f32_e32 v20, v4, v19
	v_mul_f32_e32 v21, v3, v19
	v_fma_f32 v3, v3, v18, -v20
	v_fmac_f32_e32 v21, v4, v18
	v_xor_b32_e32 v18, 0x80000000, v3
	v_xor_b32_e32 v19, 0x80000000, v21
	v_mov_b32_e32 v4, v21
	ds_write_b64 v17, v[18:19]
.LBB65_385:
	s_or_b64 exec, exec, s[18:19]
	v_cmp_eq_u32_e64 s[18:19], 0, v15
	s_and_b64 s[90:91], s[18:19], s[24:25]
	s_waitcnt lgkmcnt(0)
	s_barrier
	s_and_saveexec_b64 s[18:19], s[90:91]
	s_cbranch_execz .LBB65_387
; %bb.386:
	v_mov_b32_e32 v18, 0
	ds_read_b64 v[18:19], v18 offset:17152
	ds_read_b64 v[20:21], v17
	s_waitcnt lgkmcnt(0)
	v_mul_f32_e32 v22, v21, v19
	v_mul_f32_e32 v19, v20, v19
	v_fma_f32 v20, v20, v18, -v22
	v_fmac_f32_e32 v19, v21, v18
	v_sub_f32_e32 v3, v3, v20
	v_sub_f32_e32 v4, v4, v19
.LBB65_387:
	s_or_b64 exec, exec, s[18:19]
	s_barrier
	s_and_saveexec_b64 s[18:19], s[90:91]
	s_cbranch_execz .LBB65_389
; %bb.388:
	v_mov_b32_e32 v18, 0
	ds_read_b64 v[18:19], v18 offset:16640
	s_waitcnt lgkmcnt(0)
	v_mul_f32_e32 v20, v4, v19
	v_mul_f32_e32 v21, v3, v19
	v_fma_f32 v3, v3, v18, -v20
	v_fmac_f32_e32 v21, v4, v18
	v_xor_b32_e32 v18, 0x80000000, v3
	v_xor_b32_e32 v19, 0x80000000, v21
	v_mov_b32_e32 v4, v21
	ds_write_b64 v17, v[18:19]
.LBB65_389:
	s_or_b64 exec, exec, s[18:19]
	s_waitcnt lgkmcnt(0)
	s_barrier
	s_barrier
	s_and_saveexec_b64 s[18:19], s[14:15]
; %bb.390:
	v_lshlrev_b32_e32 v18, 3, v15
	v_lshl_or_b32 v18, v16, 9, v18
	ds_write_b64 v18, v[3:4] offset:24832
; %bb.391:
	s_or_b64 exec, exec, s[18:19]
	v_cmp_gt_u32_e64 s[18:19], 16, v0
	s_and_b64 s[94:95], s[16:17], s[18:19]
	s_waitcnt lgkmcnt(0)
	s_barrier
	s_barrier
	s_and_saveexec_b64 s[18:19], s[94:95]
	s_cbranch_execz .LBB65_393
; %bb.392:
	v_lshlrev_b32_e32 v18, 9, v0
	ds_read_b64 v[3:4], v18 offset:24832
	s_movk_i32 s20, 0xfe08
	v_mad_i32_i24 v19, v0, s20, v18
	s_waitcnt lgkmcnt(0)
	ds_write_b64 v19, v[3:4] offset:16768
	ds_read_b64 v[3:4], v18 offset:24840
	s_waitcnt lgkmcnt(0)
	ds_write_b64 v19, v[3:4] offset:17280
	ds_read_b64 v[3:4], v18 offset:24848
	;; [unrolled: 3-line block ×15, first 2 shown]
	s_waitcnt lgkmcnt(0)
	ds_write_b64 v19, v[3:4] offset:24448
.LBB65_393:
	s_or_b64 exec, exec, s[18:19]
	s_waitcnt lgkmcnt(0)
	s_barrier
	s_and_saveexec_b64 s[18:19], vcc
	s_cbranch_execz .LBB65_395
; %bb.394:
	s_movk_i32 s20, 0x170
	v_mov_b32_e32 v3, 0
	v_add_u32_e64 v18, s20, 0
	ds_read_b64 v[3:4], v3 offset:24440
	ds_read2st64_b64 v[18:21], v18 offset0:46 offset1:47
	s_movk_i32 s20, 0x5800
	s_waitcnt lgkmcnt(0)
	v_mul_f32_e32 v22, v4, v19
	v_mul_f32_e32 v19, v3, v19
	v_fma_f32 v22, v3, v18, -v22
	v_fmac_f32_e32 v19, v4, v18
	v_mul_f32_e32 v3, v19, v21
	v_mul_f32_e32 v4, v22, v21
	v_fma_f32 v3, v22, v20, -v3
	v_fmac_f32_e32 v4, v19, v20
	v_add_u32_e64 v18, s20, 0
	ds_write2_b64 v18, v[3:4], v[3:4] offset0:175 offset1:238
.LBB65_395:
	s_or_b64 exec, exec, s[18:19]
	v_mov_b32_e32 v3, 0
	v_mov_b32_e32 v4, 0
	s_waitcnt lgkmcnt(0)
	s_barrier
	buffer_wbinvl1_vol
	s_and_saveexec_b64 s[20:21], s[22:23]
	s_cbranch_execz .LBB65_399
; %bb.396:
	v_lshlrev_b32_e32 v3, 3, v5
	v_lshlrev_b32_e32 v18, 9, v6
	ds_read_b64 v[3:4], v3 offset:23904
	ds_read_b64 v[18:19], v18 offset:23920
	v_cmp_gt_u32_e64 s[18:19], 2, v8
	s_waitcnt lgkmcnt(0)
	v_mul_f32_e32 v20, v19, v4
	v_mul_f32_e32 v4, v18, v4
	v_fma_f32 v18, v18, v3, -v20
	v_fmac_f32_e32 v4, v19, v3
	v_add_f32_e32 v3, 0, v18
	v_add_f32_e32 v4, 0, v4
	s_and_saveexec_b64 s[24:25], s[18:19]
	s_cbranch_execz .LBB65_398
; %bb.397:
	v_lshlrev_b32_e32 v18, 3, v0
	v_mov_b32_e32 v20, 0
	ds_read_b64 v[18:19], v18 offset:24416
	ds_read_b64 v[20:21], v20 offset:24440
	s_waitcnt lgkmcnt(0)
	v_mul_f32_e32 v22, v21, v19
	v_mul_f32_e32 v19, v20, v19
	v_fma_f32 v20, v20, v18, -v22
	v_fmac_f32_e32 v19, v21, v18
	v_add_f32_e32 v3, v3, v20
	v_add_f32_e32 v4, v4, v19
.LBB65_398:
	s_or_b64 exec, exec, s[24:25]
.LBB65_399:
	s_or_b64 exec, exec, s[20:21]
	s_and_saveexec_b64 s[18:19], s[38:39]
	s_cbranch_execz .LBB65_401
; %bb.400:
	v_mov_b32_e32 v18, 0
	ds_read_b64 v[18:19], v18 offset:23400
	s_waitcnt lgkmcnt(0)
	v_mul_f32_e32 v20, v4, v19
	v_mul_f32_e32 v21, v3, v19
	v_fma_f32 v3, v3, v18, -v20
	v_fmac_f32_e32 v21, v4, v18
	v_xor_b32_e32 v18, 0x80000000, v3
	v_xor_b32_e32 v19, 0x80000000, v21
	v_mov_b32_e32 v4, v21
	ds_write_b64 v7, v[18:19]
.LBB65_401:
	s_or_b64 exec, exec, s[18:19]
	s_waitcnt lgkmcnt(0)
	s_barrier
	s_and_saveexec_b64 s[18:19], s[36:37]
	s_cbranch_execz .LBB65_403
; %bb.402:
	v_mov_b32_e32 v18, 0
	ds_read_b64 v[18:19], v18 offset:23392
	ds_read_b64 v[20:21], v7
	s_waitcnt lgkmcnt(0)
	v_mul_f32_e32 v22, v21, v19
	v_mul_f32_e32 v19, v20, v19
	v_fma_f32 v20, v20, v18, -v22
	v_fmac_f32_e32 v19, v21, v18
	v_sub_f32_e32 v3, v3, v20
	v_sub_f32_e32 v4, v4, v19
.LBB65_403:
	s_or_b64 exec, exec, s[18:19]
	s_barrier
	s_and_saveexec_b64 s[18:19], s[36:37]
	s_cbranch_execz .LBB65_405
; %bb.404:
	v_mov_b32_e32 v18, 0
	ds_read_b64 v[18:19], v18 offset:22880
	s_waitcnt lgkmcnt(0)
	v_mul_f32_e32 v20, v4, v19
	v_mul_f32_e32 v21, v3, v19
	v_fma_f32 v3, v3, v18, -v20
	v_fmac_f32_e32 v21, v4, v18
	v_xor_b32_e32 v18, 0x80000000, v3
	v_xor_b32_e32 v19, 0x80000000, v21
	v_mov_b32_e32 v4, v21
	ds_write_b64 v7, v[18:19]
.LBB65_405:
	s_or_b64 exec, exec, s[18:19]
	s_waitcnt lgkmcnt(0)
	s_barrier
	s_barrier
	s_and_saveexec_b64 s[18:19], s[22:23]
; %bb.406:
	v_lshlrev_b32_e32 v18, 3, v5
	v_lshl_or_b32 v18, v6, 9, v18
	ds_write_b64 v18, v[3:4] offset:23904
; %bb.407:
	s_or_b64 exec, exec, s[18:19]
	s_waitcnt lgkmcnt(0)
	s_barrier
	s_barrier
	s_and_saveexec_b64 s[18:19], s[40:41]
	s_cbranch_execz .LBB65_409
; %bb.408:
	v_lshlrev_b32_e32 v18, 3, v0
	s_movk_i32 s20, 0x1f8
	v_mad_u32_u24 v19, v0, s20, v18
	ds_read_b64 v[3:4], v19 offset:23904
	s_waitcnt lgkmcnt(0)
	ds_write_b64 v18, v[3:4] offset:22896
	ds_read_b64 v[3:4], v19 offset:23912
	s_waitcnt lgkmcnt(0)
	ds_write_b64 v18, v[3:4] offset:23408
.LBB65_409:
	s_or_b64 exec, exec, s[18:19]
	s_waitcnt lgkmcnt(0)
	s_barrier
	s_and_saveexec_b64 s[18:19], vcc
	s_cbranch_execz .LBB65_411
; %bb.410:
	s_movk_i32 s20, 0x160
	v_mov_b32_e32 v3, 0
	v_add_u32_e64 v18, s20, 0
	ds_read_b64 v[3:4], v3 offset:23400
	ds_read2st64_b64 v[18:21], v18 offset0:44 offset1:45
	s_movk_i32 s20, 0x5800
	s_waitcnt lgkmcnt(0)
	v_mul_f32_e32 v22, v4, v19
	v_mul_f32_e32 v19, v3, v19
	v_fma_f32 v22, v3, v18, -v22
	v_fmac_f32_e32 v19, v4, v18
	v_mul_f32_e32 v3, v19, v21
	v_mul_f32_e32 v4, v22, v21
	v_fma_f32 v3, v22, v20, -v3
	v_fmac_f32_e32 v4, v19, v20
	v_add_u32_e64 v18, s20, 0
	ds_write2_b64 v18, v[3:4], v[3:4] offset0:45 offset1:108
.LBB65_411:
	s_or_b64 exec, exec, s[18:19]
	v_mov_b32_e32 v4, 0
	v_mov_b32_e32 v3, 0
	s_waitcnt lgkmcnt(0)
	s_barrier
	buffer_wbinvl1_vol
	s_and_saveexec_b64 s[20:21], s[10:11]
	s_cbranch_execz .LBB65_417
; %bb.412:
	v_lshlrev_b32_e32 v18, 3, v9
	v_lshlrev_b32_e32 v19, 9, v10
	ds_read_b64 v[3:4], v18 offset:22848
	ds_read_b64 v[20:21], v19 offset:22880
	v_cmp_gt_u32_e64 s[18:19], 12, v8
	s_waitcnt lgkmcnt(0)
	v_mul_f32_e32 v22, v21, v4
	v_mul_f32_e32 v4, v20, v4
	v_fma_f32 v20, v20, v3, -v22
	v_fmac_f32_e32 v4, v21, v3
	v_add_f32_e32 v3, 0, v20
	v_add_f32_e32 v4, 0, v4
	s_and_saveexec_b64 s[24:25], s[18:19]
	s_cbranch_execnz .LBB65_1130
; %bb.413:
	s_or_b64 exec, exec, s[24:25]
	v_cmp_gt_u32_e64 s[18:19], 8, v8
	s_and_saveexec_b64 s[24:25], s[18:19]
	s_cbranch_execnz .LBB65_1131
.LBB65_414:
	s_or_b64 exec, exec, s[24:25]
	v_cmp_gt_u32_e64 s[18:19], 4, v8
	s_and_saveexec_b64 s[24:25], s[18:19]
	s_cbranch_execz .LBB65_416
.LBB65_415:
	v_lshlrev_b32_e32 v18, 3, v0
	v_mov_b32_e32 v20, 0
	ds_read_b64 v[18:19], v18 offset:24384
	ds_read_b64 v[20:21], v20 offset:24440
	s_waitcnt lgkmcnt(0)
	v_mul_f32_e32 v22, v21, v19
	v_mul_f32_e32 v19, v20, v19
	v_fma_f32 v20, v20, v18, -v22
	v_fmac_f32_e32 v19, v21, v18
	v_add_f32_e32 v3, v3, v20
	v_add_f32_e32 v4, v4, v19
.LBB65_416:
	s_or_b64 exec, exec, s[24:25]
.LBB65_417:
	s_or_b64 exec, exec, s[20:21]
	s_and_saveexec_b64 s[18:19], s[44:45]
	s_cbranch_execz .LBB65_419
; %bb.418:
	v_mov_b32_e32 v18, 0
	ds_read_b64 v[18:19], v18 offset:22360
	s_waitcnt lgkmcnt(0)
	v_mul_f32_e32 v20, v4, v19
	v_mul_f32_e32 v21, v3, v19
	v_fma_f32 v3, v3, v18, -v20
	v_fmac_f32_e32 v21, v4, v18
	v_xor_b32_e32 v18, 0x80000000, v3
	v_xor_b32_e32 v19, 0x80000000, v21
	v_mov_b32_e32 v4, v21
	ds_write_b64 v11, v[18:19]
.LBB65_419:
	s_or_b64 exec, exec, s[18:19]
	s_waitcnt lgkmcnt(0)
	s_barrier
	s_and_saveexec_b64 s[18:19], s[46:47]
	s_cbranch_execz .LBB65_421
; %bb.420:
	v_lshlrev_b32_e32 v18, 3, v9
	ds_read_b64 v[18:19], v18 offset:22336
	ds_read_b64 v[20:21], v11
	s_waitcnt lgkmcnt(0)
	v_mul_f32_e32 v22, v21, v19
	v_mul_f32_e32 v19, v20, v19
	v_fma_f32 v20, v20, v18, -v22
	v_fmac_f32_e32 v19, v21, v18
	v_sub_f32_e32 v3, v3, v20
	v_sub_f32_e32 v4, v4, v19
.LBB65_421:
	s_or_b64 exec, exec, s[18:19]
	s_barrier
	s_and_saveexec_b64 s[18:19], s[48:49]
	s_cbranch_execz .LBB65_423
; %bb.422:
	v_mov_b32_e32 v18, 0
	ds_read_b64 v[18:19], v18 offset:21840
	s_waitcnt lgkmcnt(0)
	v_mul_f32_e32 v20, v4, v19
	v_mul_f32_e32 v21, v3, v19
	v_fma_f32 v3, v3, v18, -v20
	v_fmac_f32_e32 v21, v4, v18
	v_xor_b32_e32 v18, 0x80000000, v3
	v_xor_b32_e32 v19, 0x80000000, v21
	v_mov_b32_e32 v4, v21
	ds_write_b64 v11, v[18:19]
.LBB65_423:
	s_or_b64 exec, exec, s[18:19]
	s_waitcnt lgkmcnt(0)
	s_barrier
	s_and_saveexec_b64 s[18:19], s[50:51]
	s_cbranch_execz .LBB65_425
; %bb.424:
	v_lshlrev_b32_e32 v18, 3, v9
	ds_read_b64 v[18:19], v18 offset:21824
	ds_read_b64 v[20:21], v11
	s_waitcnt lgkmcnt(0)
	v_mul_f32_e32 v22, v21, v19
	v_mul_f32_e32 v19, v20, v19
	v_fma_f32 v20, v20, v18, -v22
	v_fmac_f32_e32 v19, v21, v18
	v_sub_f32_e32 v3, v3, v20
	v_sub_f32_e32 v4, v4, v19
.LBB65_425:
	s_or_b64 exec, exec, s[18:19]
	s_barrier
	s_and_saveexec_b64 s[18:19], s[52:53]
	s_cbranch_execz .LBB65_427
; %bb.426:
	v_mov_b32_e32 v18, 0
	ds_read_b64 v[18:19], v18 offset:21320
	s_waitcnt lgkmcnt(0)
	v_mul_f32_e32 v20, v4, v19
	v_mul_f32_e32 v21, v3, v19
	v_fma_f32 v3, v3, v18, -v20
	v_fmac_f32_e32 v21, v4, v18
	v_xor_b32_e32 v18, 0x80000000, v3
	v_xor_b32_e32 v19, 0x80000000, v21
	v_mov_b32_e32 v4, v21
	ds_write_b64 v11, v[18:19]
.LBB65_427:
	s_or_b64 exec, exec, s[18:19]
	s_waitcnt lgkmcnt(0)
	s_barrier
	s_and_saveexec_b64 s[18:19], s[42:43]
	s_cbranch_execz .LBB65_429
; %bb.428:
	v_mov_b32_e32 v18, 0
	ds_read_b64 v[18:19], v18 offset:21312
	ds_read_b64 v[20:21], v11
	s_waitcnt lgkmcnt(0)
	v_mul_f32_e32 v22, v21, v19
	v_mul_f32_e32 v19, v20, v19
	v_fma_f32 v20, v20, v18, -v22
	v_fmac_f32_e32 v19, v21, v18
	v_sub_f32_e32 v3, v3, v20
	v_sub_f32_e32 v4, v4, v19
.LBB65_429:
	s_or_b64 exec, exec, s[18:19]
	s_barrier
	s_and_saveexec_b64 s[18:19], s[42:43]
	s_cbranch_execz .LBB65_431
; %bb.430:
	v_mov_b32_e32 v18, 0
	ds_read_b64 v[18:19], v18 offset:20800
	s_waitcnt lgkmcnt(0)
	v_mul_f32_e32 v20, v4, v19
	v_mul_f32_e32 v21, v3, v19
	v_fma_f32 v3, v3, v18, -v20
	v_fmac_f32_e32 v21, v4, v18
	v_xor_b32_e32 v18, 0x80000000, v3
	v_xor_b32_e32 v19, 0x80000000, v21
	v_mov_b32_e32 v4, v21
	ds_write_b64 v11, v[18:19]
.LBB65_431:
	s_or_b64 exec, exec, s[18:19]
	s_waitcnt lgkmcnt(0)
	s_barrier
	s_barrier
	s_and_saveexec_b64 s[18:19], s[10:11]
; %bb.432:
	v_lshlrev_b32_e32 v18, 3, v9
	v_lshl_or_b32 v18, v10, 9, v18
	ds_write_b64 v18, v[3:4] offset:22848
; %bb.433:
	s_or_b64 exec, exec, s[18:19]
	s_waitcnt lgkmcnt(0)
	s_barrier
	s_barrier
	s_and_saveexec_b64 s[18:19], s[54:55]
	s_cbranch_execz .LBB65_435
; %bb.434:
	v_lshlrev_b32_e32 v18, 9, v0
	ds_read_b64 v[3:4], v18 offset:22848
	s_movk_i32 s20, 0xfe08
	v_mad_i32_i24 v19, v0, s20, v18
	s_waitcnt lgkmcnt(0)
	ds_write_b64 v19, v[3:4] offset:20832
	ds_read_b64 v[3:4], v18 offset:22856
	s_waitcnt lgkmcnt(0)
	ds_write_b64 v19, v[3:4] offset:21344
	ds_read_b64 v[3:4], v18 offset:22864
	;; [unrolled: 3-line block ×3, first 2 shown]
	s_waitcnt lgkmcnt(0)
	ds_write_b64 v19, v[3:4] offset:22368
.LBB65_435:
	s_or_b64 exec, exec, s[18:19]
	s_waitcnt lgkmcnt(0)
	s_barrier
	s_and_saveexec_b64 s[18:19], vcc
	s_cbranch_execz .LBB65_437
; %bb.436:
	s_movk_i32 s20, 0x150
	v_mov_b32_e32 v3, 0
	v_add_u32_e64 v18, s20, 0
	ds_read_b64 v[3:4], v3 offset:22360
	ds_read2st64_b64 v[18:21], v18 offset0:42 offset1:43
	s_movk_i32 s20, 0x5000
	s_waitcnt lgkmcnt(0)
	v_mul_f32_e32 v22, v4, v19
	v_mul_f32_e32 v19, v3, v19
	v_fma_f32 v22, v3, v18, -v22
	v_fmac_f32_e32 v19, v4, v18
	v_mul_f32_e32 v3, v19, v21
	v_mul_f32_e32 v4, v22, v21
	v_fma_f32 v3, v22, v20, -v3
	v_fmac_f32_e32 v4, v19, v20
	v_add_u32_e64 v18, s20, 0
	ds_write2_b64 v18, v[3:4], v[3:4] offset0:171 offset1:234
.LBB65_437:
	s_or_b64 exec, exec, s[18:19]
	v_mov_b32_e32 v3, 0
	v_mov_b32_e32 v4, 0
	s_waitcnt lgkmcnt(0)
	s_barrier
	buffer_wbinvl1_vol
	s_and_saveexec_b64 s[20:21], s[22:23]
	s_cbranch_execz .LBB65_441
; %bb.438:
	v_lshlrev_b32_e32 v3, 3, v5
	v_lshlrev_b32_e32 v18, 9, v6
	ds_read_b64 v[3:4], v3 offset:21824
	ds_read_b64 v[18:19], v18 offset:21840
	v_cmp_gt_u32_e64 s[18:19], 2, v8
	s_waitcnt lgkmcnt(0)
	v_mul_f32_e32 v20, v19, v4
	v_mul_f32_e32 v4, v18, v4
	v_fma_f32 v18, v18, v3, -v20
	v_fmac_f32_e32 v4, v19, v3
	v_add_f32_e32 v3, 0, v18
	v_add_f32_e32 v4, 0, v4
	s_and_saveexec_b64 s[24:25], s[18:19]
	s_cbranch_execz .LBB65_440
; %bb.439:
	v_lshlrev_b32_e32 v18, 3, v0
	v_mov_b32_e32 v20, 0
	ds_read_b64 v[18:19], v18 offset:22336
	ds_read_b64 v[20:21], v20 offset:22360
	s_waitcnt lgkmcnt(0)
	v_mul_f32_e32 v22, v21, v19
	v_mul_f32_e32 v19, v20, v19
	v_fma_f32 v20, v20, v18, -v22
	v_fmac_f32_e32 v19, v21, v18
	v_add_f32_e32 v3, v3, v20
	v_add_f32_e32 v4, v4, v19
.LBB65_440:
	s_or_b64 exec, exec, s[24:25]
.LBB65_441:
	s_or_b64 exec, exec, s[20:21]
	s_and_saveexec_b64 s[18:19], s[38:39]
	s_cbranch_execz .LBB65_443
; %bb.442:
	v_mov_b32_e32 v18, 0
	ds_read_b64 v[18:19], v18 offset:21320
	s_waitcnt lgkmcnt(0)
	v_mul_f32_e32 v20, v4, v19
	v_mul_f32_e32 v21, v3, v19
	v_fma_f32 v3, v3, v18, -v20
	v_fmac_f32_e32 v21, v4, v18
	v_xor_b32_e32 v18, 0x80000000, v3
	v_xor_b32_e32 v19, 0x80000000, v21
	v_mov_b32_e32 v4, v21
	ds_write_b64 v7, v[18:19]
.LBB65_443:
	s_or_b64 exec, exec, s[18:19]
	s_waitcnt lgkmcnt(0)
	s_barrier
	s_and_saveexec_b64 s[18:19], s[36:37]
	s_cbranch_execz .LBB65_445
; %bb.444:
	v_mov_b32_e32 v18, 0
	ds_read_b64 v[18:19], v18 offset:21312
	ds_read_b64 v[20:21], v7
	s_waitcnt lgkmcnt(0)
	v_mul_f32_e32 v22, v21, v19
	v_mul_f32_e32 v19, v20, v19
	v_fma_f32 v20, v20, v18, -v22
	v_fmac_f32_e32 v19, v21, v18
	v_sub_f32_e32 v3, v3, v20
	v_sub_f32_e32 v4, v4, v19
.LBB65_445:
	s_or_b64 exec, exec, s[18:19]
	s_barrier
	s_and_saveexec_b64 s[18:19], s[36:37]
	s_cbranch_execz .LBB65_447
; %bb.446:
	v_mov_b32_e32 v18, 0
	ds_read_b64 v[18:19], v18 offset:20800
	s_waitcnt lgkmcnt(0)
	v_mul_f32_e32 v20, v4, v19
	v_mul_f32_e32 v21, v3, v19
	v_fma_f32 v3, v3, v18, -v20
	v_fmac_f32_e32 v21, v4, v18
	v_xor_b32_e32 v18, 0x80000000, v3
	v_xor_b32_e32 v19, 0x80000000, v21
	v_mov_b32_e32 v4, v21
	ds_write_b64 v7, v[18:19]
.LBB65_447:
	s_or_b64 exec, exec, s[18:19]
	s_waitcnt lgkmcnt(0)
	s_barrier
	s_barrier
	s_and_saveexec_b64 s[18:19], s[22:23]
; %bb.448:
	v_lshlrev_b32_e32 v18, 3, v5
	v_lshl_or_b32 v18, v6, 9, v18
	ds_write_b64 v18, v[3:4] offset:21824
; %bb.449:
	s_or_b64 exec, exec, s[18:19]
	s_waitcnt lgkmcnt(0)
	s_barrier
	s_barrier
	s_and_saveexec_b64 s[18:19], s[40:41]
	s_cbranch_execz .LBB65_451
; %bb.450:
	v_lshlrev_b32_e32 v18, 3, v0
	s_movk_i32 s20, 0x1f8
	v_mad_u32_u24 v19, v0, s20, v18
	ds_read_b64 v[3:4], v19 offset:21824
	s_waitcnt lgkmcnt(0)
	ds_write_b64 v18, v[3:4] offset:20816
	ds_read_b64 v[3:4], v19 offset:21832
	s_waitcnt lgkmcnt(0)
	ds_write_b64 v18, v[3:4] offset:21328
.LBB65_451:
	s_or_b64 exec, exec, s[18:19]
	s_waitcnt lgkmcnt(0)
	s_barrier
	s_and_saveexec_b64 s[18:19], vcc
	s_cbranch_execz .LBB65_453
; %bb.452:
	s_movk_i32 s20, 0x140
	v_mov_b32_e32 v3, 0
	v_add_u32_e64 v18, s20, 0
	ds_read_b64 v[3:4], v3 offset:21320
	ds_read2st64_b64 v[18:21], v18 offset0:40 offset1:41
	s_movk_i32 s20, 0x5000
	s_waitcnt lgkmcnt(0)
	v_mul_f32_e32 v22, v4, v19
	v_mul_f32_e32 v19, v3, v19
	v_fma_f32 v22, v3, v18, -v22
	v_fmac_f32_e32 v19, v4, v18
	v_mul_f32_e32 v3, v19, v21
	v_mul_f32_e32 v4, v22, v21
	v_fma_f32 v3, v22, v20, -v3
	v_fmac_f32_e32 v4, v19, v20
	v_add_u32_e64 v18, s20, 0
	ds_write2_b64 v18, v[3:4], v[3:4] offset0:41 offset1:104
.LBB65_453:
	s_or_b64 exec, exec, s[18:19]
	v_mov_b32_e32 v4, 0
	v_mov_b32_e32 v3, 0
	s_waitcnt lgkmcnt(0)
	s_barrier
	buffer_wbinvl1_vol
	s_and_saveexec_b64 s[20:21], s[12:13]
	s_cbranch_execz .LBB65_463
; %bb.454:
	v_lshlrev_b32_e32 v18, 3, v12
	v_lshlrev_b32_e32 v19, 9, v13
	ds_read_b64 v[3:4], v18 offset:20736
	ds_read_b64 v[20:21], v19 offset:20800
	v_cmp_gt_u32_e64 s[18:19], 56, v8
	s_waitcnt lgkmcnt(0)
	v_mul_f32_e32 v22, v21, v4
	v_mul_f32_e32 v4, v20, v4
	v_fma_f32 v20, v20, v3, -v22
	v_fmac_f32_e32 v4, v21, v3
	v_add_f32_e32 v3, 0, v20
	v_add_f32_e32 v4, 0, v4
	s_and_saveexec_b64 s[24:25], s[18:19]
	s_cbranch_execnz .LBB65_1132
; %bb.455:
	s_or_b64 exec, exec, s[24:25]
	v_cmp_gt_u32_e64 s[18:19], 48, v8
	s_and_saveexec_b64 s[24:25], s[18:19]
	s_cbranch_execnz .LBB65_1133
.LBB65_456:
	s_or_b64 exec, exec, s[24:25]
	v_cmp_gt_u32_e64 s[18:19], 40, v8
	s_and_saveexec_b64 s[24:25], s[18:19]
	s_cbranch_execnz .LBB65_1134
.LBB65_457:
	s_or_b64 exec, exec, s[24:25]
	v_cmp_gt_u32_e64 s[18:19], 32, v8
	s_and_saveexec_b64 s[24:25], s[18:19]
	s_cbranch_execnz .LBB65_1135
.LBB65_458:
	s_or_b64 exec, exec, s[24:25]
	v_cmp_gt_u32_e64 s[18:19], 24, v8
	s_and_saveexec_b64 s[24:25], s[18:19]
	s_cbranch_execnz .LBB65_1136
.LBB65_459:
	s_or_b64 exec, exec, s[24:25]
	s_and_saveexec_b64 s[18:19], s[10:11]
	s_cbranch_execnz .LBB65_1137
.LBB65_460:
	s_or_b64 exec, exec, s[18:19]
	v_cmp_gt_u32_e64 s[18:19], 8, v8
	s_and_saveexec_b64 s[24:25], s[18:19]
	s_cbranch_execz .LBB65_462
.LBB65_461:
	v_lshlrev_b32_e32 v18, 3, v0
	v_mov_b32_e32 v20, 0
	ds_read_b64 v[18:19], v18 offset:24320
	ds_read_b64 v[20:21], v20 offset:24440
	s_waitcnt lgkmcnt(0)
	v_mul_f32_e32 v22, v21, v19
	v_mul_f32_e32 v19, v20, v19
	v_fma_f32 v20, v20, v18, -v22
	v_fmac_f32_e32 v19, v21, v18
	v_add_f32_e32 v3, v3, v20
	v_add_f32_e32 v4, v4, v19
.LBB65_462:
	s_or_b64 exec, exec, s[24:25]
.LBB65_463:
	s_or_b64 exec, exec, s[20:21]
	s_and_saveexec_b64 s[18:19], s[58:59]
	s_cbranch_execz .LBB65_465
; %bb.464:
	v_mov_b32_e32 v18, 0
	ds_read_b64 v[18:19], v18 offset:20280
	s_waitcnt lgkmcnt(0)
	v_mul_f32_e32 v20, v4, v19
	v_mul_f32_e32 v21, v3, v19
	v_fma_f32 v3, v3, v18, -v20
	v_fmac_f32_e32 v21, v4, v18
	v_xor_b32_e32 v18, 0x80000000, v3
	v_xor_b32_e32 v19, 0x80000000, v21
	v_mov_b32_e32 v4, v21
	ds_write_b64 v14, v[18:19]
.LBB65_465:
	s_or_b64 exec, exec, s[18:19]
	s_waitcnt lgkmcnt(0)
	s_barrier
	s_and_saveexec_b64 s[18:19], s[60:61]
	s_cbranch_execz .LBB65_467
; %bb.466:
	v_lshlrev_b32_e32 v18, 3, v12
	ds_read_b64 v[18:19], v18 offset:20224
	ds_read_b64 v[20:21], v14
	s_waitcnt lgkmcnt(0)
	v_mul_f32_e32 v22, v21, v19
	v_mul_f32_e32 v19, v20, v19
	v_fma_f32 v20, v20, v18, -v22
	v_fmac_f32_e32 v19, v21, v18
	v_sub_f32_e32 v3, v3, v20
	v_sub_f32_e32 v4, v4, v19
.LBB65_467:
	s_or_b64 exec, exec, s[18:19]
	s_barrier
	s_and_saveexec_b64 s[18:19], s[62:63]
	s_cbranch_execz .LBB65_469
; %bb.468:
	v_mov_b32_e32 v18, 0
	ds_read_b64 v[18:19], v18 offset:19760
	s_waitcnt lgkmcnt(0)
	v_mul_f32_e32 v20, v4, v19
	v_mul_f32_e32 v21, v3, v19
	v_fma_f32 v3, v3, v18, -v20
	v_fmac_f32_e32 v21, v4, v18
	v_xor_b32_e32 v18, 0x80000000, v3
	v_xor_b32_e32 v19, 0x80000000, v21
	v_mov_b32_e32 v4, v21
	ds_write_b64 v14, v[18:19]
.LBB65_469:
	s_or_b64 exec, exec, s[18:19]
	s_waitcnt lgkmcnt(0)
	s_barrier
	s_and_saveexec_b64 s[18:19], s[64:65]
	s_cbranch_execz .LBB65_471
; %bb.470:
	v_lshlrev_b32_e32 v18, 3, v12
	ds_read_b64 v[18:19], v18 offset:19712
	ds_read_b64 v[20:21], v14
	s_waitcnt lgkmcnt(0)
	v_mul_f32_e32 v22, v21, v19
	v_mul_f32_e32 v19, v20, v19
	v_fma_f32 v20, v20, v18, -v22
	v_fmac_f32_e32 v19, v21, v18
	v_sub_f32_e32 v3, v3, v20
	v_sub_f32_e32 v4, v4, v19
.LBB65_471:
	s_or_b64 exec, exec, s[18:19]
	s_barrier
	;; [unrolled: 34-line block ×6, first 2 shown]
	s_and_saveexec_b64 s[18:19], s[82:83]
	s_cbranch_execz .LBB65_489
; %bb.488:
	v_mov_b32_e32 v18, 0
	ds_read_b64 v[18:19], v18 offset:17160
	s_waitcnt lgkmcnt(0)
	v_mul_f32_e32 v20, v4, v19
	v_mul_f32_e32 v21, v3, v19
	v_fma_f32 v3, v3, v18, -v20
	v_fmac_f32_e32 v21, v4, v18
	v_xor_b32_e32 v18, 0x80000000, v3
	v_xor_b32_e32 v19, 0x80000000, v21
	v_mov_b32_e32 v4, v21
	ds_write_b64 v14, v[18:19]
.LBB65_489:
	s_or_b64 exec, exec, s[18:19]
	s_waitcnt lgkmcnt(0)
	s_barrier
	s_and_saveexec_b64 s[18:19], s[56:57]
	s_cbranch_execz .LBB65_491
; %bb.490:
	v_mov_b32_e32 v18, 0
	ds_read_b64 v[18:19], v18 offset:17152
	ds_read_b64 v[20:21], v14
	s_waitcnt lgkmcnt(0)
	v_mul_f32_e32 v22, v21, v19
	v_mul_f32_e32 v19, v20, v19
	v_fma_f32 v20, v20, v18, -v22
	v_fmac_f32_e32 v19, v21, v18
	v_sub_f32_e32 v3, v3, v20
	v_sub_f32_e32 v4, v4, v19
.LBB65_491:
	s_or_b64 exec, exec, s[18:19]
	s_barrier
	s_and_saveexec_b64 s[18:19], s[56:57]
	s_cbranch_execz .LBB65_493
; %bb.492:
	v_mov_b32_e32 v18, 0
	ds_read_b64 v[18:19], v18 offset:16640
	s_waitcnt lgkmcnt(0)
	v_mul_f32_e32 v20, v4, v19
	v_mul_f32_e32 v21, v3, v19
	v_fma_f32 v3, v3, v18, -v20
	v_fmac_f32_e32 v21, v4, v18
	v_xor_b32_e32 v18, 0x80000000, v3
	v_xor_b32_e32 v19, 0x80000000, v21
	v_mov_b32_e32 v4, v21
	ds_write_b64 v14, v[18:19]
.LBB65_493:
	s_or_b64 exec, exec, s[18:19]
	s_waitcnt lgkmcnt(0)
	s_barrier
	s_barrier
	s_and_saveexec_b64 s[18:19], s[12:13]
; %bb.494:
	v_lshlrev_b32_e32 v18, 3, v12
	v_lshl_or_b32 v18, v13, 9, v18
	ds_write_b64 v18, v[3:4] offset:20736
; %bb.495:
	s_or_b64 exec, exec, s[18:19]
	s_waitcnt lgkmcnt(0)
	s_barrier
	s_barrier
	s_and_saveexec_b64 s[18:19], s[84:85]
	s_cbranch_execz .LBB65_497
; %bb.496:
	v_lshlrev_b32_e32 v18, 9, v0
	ds_read_b64 v[3:4], v18 offset:20736
	s_movk_i32 s20, 0xfe08
	v_mad_i32_i24 v19, v0, s20, v18
	s_waitcnt lgkmcnt(0)
	ds_write_b64 v19, v[3:4] offset:16704
	ds_read_b64 v[3:4], v18 offset:20744
	s_waitcnt lgkmcnt(0)
	ds_write_b64 v19, v[3:4] offset:17216
	ds_read_b64 v[3:4], v18 offset:20752
	;; [unrolled: 3-line block ×7, first 2 shown]
	s_waitcnt lgkmcnt(0)
	ds_write_b64 v19, v[3:4] offset:20288
.LBB65_497:
	s_or_b64 exec, exec, s[18:19]
	s_waitcnt lgkmcnt(0)
	s_barrier
	s_and_saveexec_b64 s[18:19], vcc
	s_cbranch_execz .LBB65_499
; %bb.498:
	s_movk_i32 s20, 0x130
	v_mov_b32_e32 v3, 0
	v_add_u32_e64 v18, s20, 0
	ds_read_b64 v[3:4], v3 offset:20280
	ds_read2st64_b64 v[18:21], v18 offset0:38 offset1:39
	s_movk_i32 s20, 0x4800
	s_waitcnt lgkmcnt(0)
	v_mul_f32_e32 v22, v4, v19
	v_mul_f32_e32 v19, v3, v19
	v_fma_f32 v22, v3, v18, -v22
	v_fmac_f32_e32 v19, v4, v18
	v_mul_f32_e32 v3, v19, v21
	v_mul_f32_e32 v4, v22, v21
	v_fma_f32 v3, v22, v20, -v3
	v_fmac_f32_e32 v4, v19, v20
	v_add_u32_e64 v18, s20, 0
	ds_write2_b64 v18, v[3:4], v[3:4] offset0:167 offset1:230
.LBB65_499:
	s_or_b64 exec, exec, s[18:19]
	v_mov_b32_e32 v3, 0
	v_mov_b32_e32 v4, 0
	s_waitcnt lgkmcnt(0)
	s_barrier
	buffer_wbinvl1_vol
	s_and_saveexec_b64 s[20:21], s[22:23]
	s_cbranch_execz .LBB65_503
; %bb.500:
	v_lshlrev_b32_e32 v3, 3, v5
	v_lshlrev_b32_e32 v18, 9, v6
	ds_read_b64 v[3:4], v3 offset:19744
	ds_read_b64 v[18:19], v18 offset:19760
	v_cmp_gt_u32_e64 s[18:19], 2, v8
	s_waitcnt lgkmcnt(0)
	v_mul_f32_e32 v20, v19, v4
	v_mul_f32_e32 v4, v18, v4
	v_fma_f32 v18, v18, v3, -v20
	v_fmac_f32_e32 v4, v19, v3
	v_add_f32_e32 v3, 0, v18
	v_add_f32_e32 v4, 0, v4
	s_and_saveexec_b64 s[24:25], s[18:19]
	s_cbranch_execz .LBB65_502
; %bb.501:
	v_lshlrev_b32_e32 v18, 3, v0
	v_mov_b32_e32 v20, 0
	ds_read_b64 v[18:19], v18 offset:20256
	ds_read_b64 v[20:21], v20 offset:20280
	s_waitcnt lgkmcnt(0)
	v_mul_f32_e32 v22, v21, v19
	v_mul_f32_e32 v19, v20, v19
	v_fma_f32 v20, v20, v18, -v22
	v_fmac_f32_e32 v19, v21, v18
	v_add_f32_e32 v3, v3, v20
	v_add_f32_e32 v4, v4, v19
.LBB65_502:
	s_or_b64 exec, exec, s[24:25]
.LBB65_503:
	s_or_b64 exec, exec, s[20:21]
	s_and_saveexec_b64 s[18:19], s[38:39]
	s_cbranch_execz .LBB65_505
; %bb.504:
	v_mov_b32_e32 v18, 0
	ds_read_b64 v[18:19], v18 offset:19240
	s_waitcnt lgkmcnt(0)
	v_mul_f32_e32 v20, v4, v19
	v_mul_f32_e32 v21, v3, v19
	v_fma_f32 v3, v3, v18, -v20
	v_fmac_f32_e32 v21, v4, v18
	v_xor_b32_e32 v18, 0x80000000, v3
	v_xor_b32_e32 v19, 0x80000000, v21
	v_mov_b32_e32 v4, v21
	ds_write_b64 v7, v[18:19]
.LBB65_505:
	s_or_b64 exec, exec, s[18:19]
	s_waitcnt lgkmcnt(0)
	s_barrier
	s_and_saveexec_b64 s[18:19], s[36:37]
	s_cbranch_execz .LBB65_507
; %bb.506:
	v_mov_b32_e32 v18, 0
	ds_read_b64 v[18:19], v18 offset:19232
	ds_read_b64 v[20:21], v7
	s_waitcnt lgkmcnt(0)
	v_mul_f32_e32 v22, v21, v19
	v_mul_f32_e32 v19, v20, v19
	v_fma_f32 v20, v20, v18, -v22
	v_fmac_f32_e32 v19, v21, v18
	v_sub_f32_e32 v3, v3, v20
	v_sub_f32_e32 v4, v4, v19
.LBB65_507:
	s_or_b64 exec, exec, s[18:19]
	s_barrier
	s_and_saveexec_b64 s[18:19], s[36:37]
	s_cbranch_execz .LBB65_509
; %bb.508:
	v_mov_b32_e32 v18, 0
	ds_read_b64 v[18:19], v18 offset:18720
	s_waitcnt lgkmcnt(0)
	v_mul_f32_e32 v20, v4, v19
	v_mul_f32_e32 v21, v3, v19
	v_fma_f32 v3, v3, v18, -v20
	v_fmac_f32_e32 v21, v4, v18
	v_xor_b32_e32 v18, 0x80000000, v3
	v_xor_b32_e32 v19, 0x80000000, v21
	v_mov_b32_e32 v4, v21
	ds_write_b64 v7, v[18:19]
.LBB65_509:
	s_or_b64 exec, exec, s[18:19]
	s_waitcnt lgkmcnt(0)
	s_barrier
	s_barrier
	s_and_saveexec_b64 s[18:19], s[22:23]
; %bb.510:
	v_lshlrev_b32_e32 v18, 3, v5
	v_lshl_or_b32 v18, v6, 9, v18
	ds_write_b64 v18, v[3:4] offset:19744
; %bb.511:
	s_or_b64 exec, exec, s[18:19]
	s_waitcnt lgkmcnt(0)
	s_barrier
	s_barrier
	s_and_saveexec_b64 s[18:19], s[40:41]
	s_cbranch_execz .LBB65_513
; %bb.512:
	v_lshlrev_b32_e32 v18, 3, v0
	s_movk_i32 s20, 0x1f8
	v_mad_u32_u24 v19, v0, s20, v18
	ds_read_b64 v[3:4], v19 offset:19744
	s_waitcnt lgkmcnt(0)
	ds_write_b64 v18, v[3:4] offset:18736
	ds_read_b64 v[3:4], v19 offset:19752
	s_waitcnt lgkmcnt(0)
	ds_write_b64 v18, v[3:4] offset:19248
.LBB65_513:
	s_or_b64 exec, exec, s[18:19]
	s_waitcnt lgkmcnt(0)
	s_barrier
	s_and_saveexec_b64 s[18:19], vcc
	s_cbranch_execz .LBB65_515
; %bb.514:
	s_movk_i32 s20, 0x120
	v_mov_b32_e32 v3, 0
	v_add_u32_e64 v18, s20, 0
	ds_read_b64 v[3:4], v3 offset:19240
	ds_read2st64_b64 v[18:21], v18 offset0:36 offset1:37
	s_movk_i32 s20, 0x4800
	s_waitcnt lgkmcnt(0)
	v_mul_f32_e32 v22, v4, v19
	v_mul_f32_e32 v19, v3, v19
	v_fma_f32 v22, v3, v18, -v22
	v_fmac_f32_e32 v19, v4, v18
	v_mul_f32_e32 v3, v19, v21
	v_mul_f32_e32 v4, v22, v21
	v_fma_f32 v3, v22, v20, -v3
	v_fmac_f32_e32 v4, v19, v20
	v_add_u32_e64 v18, s20, 0
	ds_write2_b64 v18, v[3:4], v[3:4] offset0:37 offset1:100
.LBB65_515:
	s_or_b64 exec, exec, s[18:19]
	v_mov_b32_e32 v4, 0
	v_mov_b32_e32 v3, 0
	s_waitcnt lgkmcnt(0)
	s_barrier
	buffer_wbinvl1_vol
	s_and_saveexec_b64 s[20:21], s[10:11]
	s_cbranch_execz .LBB65_521
; %bb.516:
	v_lshlrev_b32_e32 v18, 3, v9
	v_lshlrev_b32_e32 v19, 9, v10
	ds_read_b64 v[3:4], v18 offset:18688
	ds_read_b64 v[20:21], v19 offset:18720
	v_cmp_gt_u32_e64 s[18:19], 12, v8
	s_waitcnt lgkmcnt(0)
	v_mul_f32_e32 v22, v21, v4
	v_mul_f32_e32 v4, v20, v4
	v_fma_f32 v20, v20, v3, -v22
	v_fmac_f32_e32 v4, v21, v3
	v_add_f32_e32 v3, 0, v20
	v_add_f32_e32 v4, 0, v4
	s_and_saveexec_b64 s[24:25], s[18:19]
	s_cbranch_execnz .LBB65_1138
; %bb.517:
	s_or_b64 exec, exec, s[24:25]
	v_cmp_gt_u32_e64 s[18:19], 8, v8
	s_and_saveexec_b64 s[24:25], s[18:19]
	s_cbranch_execnz .LBB65_1139
.LBB65_518:
	s_or_b64 exec, exec, s[24:25]
	v_cmp_gt_u32_e64 s[18:19], 4, v8
	s_and_saveexec_b64 s[24:25], s[18:19]
	s_cbranch_execz .LBB65_520
.LBB65_519:
	v_lshlrev_b32_e32 v18, 3, v0
	v_mov_b32_e32 v20, 0
	ds_read_b64 v[18:19], v18 offset:20224
	ds_read_b64 v[20:21], v20 offset:20280
	s_waitcnt lgkmcnt(0)
	v_mul_f32_e32 v22, v21, v19
	v_mul_f32_e32 v19, v20, v19
	v_fma_f32 v20, v20, v18, -v22
	v_fmac_f32_e32 v19, v21, v18
	v_add_f32_e32 v3, v3, v20
	v_add_f32_e32 v4, v4, v19
.LBB65_520:
	s_or_b64 exec, exec, s[24:25]
.LBB65_521:
	s_or_b64 exec, exec, s[20:21]
	s_and_saveexec_b64 s[18:19], s[44:45]
	s_cbranch_execz .LBB65_523
; %bb.522:
	v_mov_b32_e32 v18, 0
	ds_read_b64 v[18:19], v18 offset:18200
	s_waitcnt lgkmcnt(0)
	v_mul_f32_e32 v20, v4, v19
	v_mul_f32_e32 v21, v3, v19
	v_fma_f32 v3, v3, v18, -v20
	v_fmac_f32_e32 v21, v4, v18
	v_xor_b32_e32 v18, 0x80000000, v3
	v_xor_b32_e32 v19, 0x80000000, v21
	v_mov_b32_e32 v4, v21
	ds_write_b64 v11, v[18:19]
.LBB65_523:
	s_or_b64 exec, exec, s[18:19]
	s_waitcnt lgkmcnt(0)
	s_barrier
	s_and_saveexec_b64 s[18:19], s[46:47]
	s_cbranch_execz .LBB65_525
; %bb.524:
	v_lshlrev_b32_e32 v18, 3, v9
	ds_read_b64 v[18:19], v18 offset:18176
	ds_read_b64 v[20:21], v11
	s_waitcnt lgkmcnt(0)
	v_mul_f32_e32 v22, v21, v19
	v_mul_f32_e32 v19, v20, v19
	v_fma_f32 v20, v20, v18, -v22
	v_fmac_f32_e32 v19, v21, v18
	v_sub_f32_e32 v3, v3, v20
	v_sub_f32_e32 v4, v4, v19
.LBB65_525:
	s_or_b64 exec, exec, s[18:19]
	s_barrier
	s_and_saveexec_b64 s[18:19], s[48:49]
	s_cbranch_execz .LBB65_527
; %bb.526:
	v_mov_b32_e32 v18, 0
	ds_read_b64 v[18:19], v18 offset:17680
	s_waitcnt lgkmcnt(0)
	v_mul_f32_e32 v20, v4, v19
	v_mul_f32_e32 v21, v3, v19
	v_fma_f32 v3, v3, v18, -v20
	v_fmac_f32_e32 v21, v4, v18
	v_xor_b32_e32 v18, 0x80000000, v3
	v_xor_b32_e32 v19, 0x80000000, v21
	v_mov_b32_e32 v4, v21
	ds_write_b64 v11, v[18:19]
.LBB65_527:
	s_or_b64 exec, exec, s[18:19]
	s_waitcnt lgkmcnt(0)
	s_barrier
	s_and_saveexec_b64 s[18:19], s[50:51]
	s_cbranch_execz .LBB65_529
; %bb.528:
	v_lshlrev_b32_e32 v18, 3, v9
	ds_read_b64 v[18:19], v18 offset:17664
	ds_read_b64 v[20:21], v11
	s_waitcnt lgkmcnt(0)
	v_mul_f32_e32 v22, v21, v19
	v_mul_f32_e32 v19, v20, v19
	v_fma_f32 v20, v20, v18, -v22
	v_fmac_f32_e32 v19, v21, v18
	v_sub_f32_e32 v3, v3, v20
	v_sub_f32_e32 v4, v4, v19
.LBB65_529:
	s_or_b64 exec, exec, s[18:19]
	s_barrier
	s_and_saveexec_b64 s[18:19], s[52:53]
	s_cbranch_execz .LBB65_531
; %bb.530:
	v_mov_b32_e32 v18, 0
	ds_read_b64 v[18:19], v18 offset:17160
	s_waitcnt lgkmcnt(0)
	v_mul_f32_e32 v20, v4, v19
	v_mul_f32_e32 v21, v3, v19
	v_fma_f32 v3, v3, v18, -v20
	v_fmac_f32_e32 v21, v4, v18
	v_xor_b32_e32 v18, 0x80000000, v3
	v_xor_b32_e32 v19, 0x80000000, v21
	v_mov_b32_e32 v4, v21
	ds_write_b64 v11, v[18:19]
.LBB65_531:
	s_or_b64 exec, exec, s[18:19]
	s_waitcnt lgkmcnt(0)
	s_barrier
	s_and_saveexec_b64 s[18:19], s[42:43]
	s_cbranch_execz .LBB65_533
; %bb.532:
	v_mov_b32_e32 v18, 0
	ds_read_b64 v[18:19], v18 offset:17152
	ds_read_b64 v[20:21], v11
	s_waitcnt lgkmcnt(0)
	v_mul_f32_e32 v22, v21, v19
	v_mul_f32_e32 v19, v20, v19
	v_fma_f32 v20, v20, v18, -v22
	v_fmac_f32_e32 v19, v21, v18
	v_sub_f32_e32 v3, v3, v20
	v_sub_f32_e32 v4, v4, v19
.LBB65_533:
	s_or_b64 exec, exec, s[18:19]
	s_barrier
	s_and_saveexec_b64 s[18:19], s[42:43]
	s_cbranch_execz .LBB65_535
; %bb.534:
	v_mov_b32_e32 v18, 0
	ds_read_b64 v[18:19], v18 offset:16640
	s_waitcnt lgkmcnt(0)
	v_mul_f32_e32 v20, v4, v19
	v_mul_f32_e32 v21, v3, v19
	v_fma_f32 v3, v3, v18, -v20
	v_fmac_f32_e32 v21, v4, v18
	v_xor_b32_e32 v18, 0x80000000, v3
	v_xor_b32_e32 v19, 0x80000000, v21
	v_mov_b32_e32 v4, v21
	ds_write_b64 v11, v[18:19]
.LBB65_535:
	s_or_b64 exec, exec, s[18:19]
	s_waitcnt lgkmcnt(0)
	s_barrier
	s_barrier
	s_and_saveexec_b64 s[18:19], s[10:11]
; %bb.536:
	v_lshlrev_b32_e32 v18, 3, v9
	v_lshl_or_b32 v18, v10, 9, v18
	ds_write_b64 v18, v[3:4] offset:18688
; %bb.537:
	s_or_b64 exec, exec, s[18:19]
	s_waitcnt lgkmcnt(0)
	s_barrier
	s_barrier
	s_and_saveexec_b64 s[18:19], s[54:55]
	s_cbranch_execz .LBB65_539
; %bb.538:
	v_lshlrev_b32_e32 v18, 9, v0
	ds_read_b64 v[3:4], v18 offset:18688
	s_movk_i32 s20, 0xfe08
	v_mad_i32_i24 v19, v0, s20, v18
	s_waitcnt lgkmcnt(0)
	ds_write_b64 v19, v[3:4] offset:16672
	ds_read_b64 v[3:4], v18 offset:18696
	s_waitcnt lgkmcnt(0)
	ds_write_b64 v19, v[3:4] offset:17184
	ds_read_b64 v[3:4], v18 offset:18704
	;; [unrolled: 3-line block ×3, first 2 shown]
	s_waitcnt lgkmcnt(0)
	ds_write_b64 v19, v[3:4] offset:18208
.LBB65_539:
	s_or_b64 exec, exec, s[18:19]
	s_waitcnt lgkmcnt(0)
	s_barrier
	s_and_saveexec_b64 s[18:19], vcc
	s_cbranch_execz .LBB65_541
; %bb.540:
	s_movk_i32 s20, 0x110
	v_mov_b32_e32 v3, 0
	v_add_u32_e64 v18, s20, 0
	ds_read_b64 v[3:4], v3 offset:18200
	ds_read2st64_b64 v[18:21], v18 offset0:34 offset1:35
	s_movk_i32 s20, 0x4000
	s_waitcnt lgkmcnt(0)
	v_mul_f32_e32 v22, v4, v19
	v_mul_f32_e32 v19, v3, v19
	v_fma_f32 v22, v3, v18, -v22
	v_fmac_f32_e32 v19, v4, v18
	v_mul_f32_e32 v3, v19, v21
	v_mul_f32_e32 v4, v22, v21
	v_fma_f32 v3, v22, v20, -v3
	v_fmac_f32_e32 v4, v19, v20
	v_add_u32_e64 v18, s20, 0
	ds_write2_b64 v18, v[3:4], v[3:4] offset0:163 offset1:226
.LBB65_541:
	s_or_b64 exec, exec, s[18:19]
	v_mov_b32_e32 v3, 0
	v_mov_b32_e32 v4, 0
	s_waitcnt lgkmcnt(0)
	s_barrier
	buffer_wbinvl1_vol
	s_and_saveexec_b64 s[20:21], s[22:23]
	s_cbranch_execz .LBB65_545
; %bb.542:
	v_lshlrev_b32_e32 v3, 3, v5
	v_lshlrev_b32_e32 v18, 9, v6
	ds_read_b64 v[3:4], v3 offset:17664
	ds_read_b64 v[18:19], v18 offset:17680
	v_cmp_gt_u32_e64 s[18:19], 2, v8
	s_waitcnt lgkmcnt(0)
	v_mul_f32_e32 v20, v19, v4
	v_mul_f32_e32 v4, v18, v4
	v_fma_f32 v18, v18, v3, -v20
	v_fmac_f32_e32 v4, v19, v3
	v_add_f32_e32 v3, 0, v18
	v_add_f32_e32 v4, 0, v4
	s_and_saveexec_b64 s[24:25], s[18:19]
	s_cbranch_execz .LBB65_544
; %bb.543:
	v_lshlrev_b32_e32 v18, 3, v0
	v_mov_b32_e32 v20, 0
	ds_read_b64 v[18:19], v18 offset:18176
	ds_read_b64 v[20:21], v20 offset:18200
	s_waitcnt lgkmcnt(0)
	v_mul_f32_e32 v22, v21, v19
	v_mul_f32_e32 v19, v20, v19
	v_fma_f32 v20, v20, v18, -v22
	v_fmac_f32_e32 v19, v21, v18
	v_add_f32_e32 v3, v3, v20
	v_add_f32_e32 v4, v4, v19
.LBB65_544:
	s_or_b64 exec, exec, s[24:25]
.LBB65_545:
	s_or_b64 exec, exec, s[20:21]
	s_and_saveexec_b64 s[18:19], s[38:39]
	s_cbranch_execz .LBB65_547
; %bb.546:
	v_mov_b32_e32 v18, 0
	ds_read_b64 v[18:19], v18 offset:17160
	s_waitcnt lgkmcnt(0)
	v_mul_f32_e32 v20, v4, v19
	v_mul_f32_e32 v21, v3, v19
	v_fma_f32 v3, v3, v18, -v20
	v_fmac_f32_e32 v21, v4, v18
	v_xor_b32_e32 v18, 0x80000000, v3
	v_xor_b32_e32 v19, 0x80000000, v21
	v_mov_b32_e32 v4, v21
	ds_write_b64 v7, v[18:19]
.LBB65_547:
	s_or_b64 exec, exec, s[18:19]
	s_waitcnt lgkmcnt(0)
	s_barrier
	s_and_saveexec_b64 s[18:19], s[36:37]
	s_cbranch_execz .LBB65_549
; %bb.548:
	v_mov_b32_e32 v18, 0
	ds_read_b64 v[18:19], v18 offset:17152
	ds_read_b64 v[20:21], v7
	s_waitcnt lgkmcnt(0)
	v_mul_f32_e32 v22, v21, v19
	v_mul_f32_e32 v19, v20, v19
	v_fma_f32 v20, v20, v18, -v22
	v_fmac_f32_e32 v19, v21, v18
	v_sub_f32_e32 v3, v3, v20
	v_sub_f32_e32 v4, v4, v19
.LBB65_549:
	s_or_b64 exec, exec, s[18:19]
	s_barrier
	s_and_saveexec_b64 s[18:19], s[36:37]
	s_cbranch_execz .LBB65_551
; %bb.550:
	v_mov_b32_e32 v18, 0
	ds_read_b64 v[18:19], v18 offset:16640
	s_waitcnt lgkmcnt(0)
	v_mul_f32_e32 v20, v4, v19
	v_mul_f32_e32 v21, v3, v19
	v_fma_f32 v3, v3, v18, -v20
	v_fmac_f32_e32 v21, v4, v18
	v_xor_b32_e32 v18, 0x80000000, v3
	v_xor_b32_e32 v19, 0x80000000, v21
	v_mov_b32_e32 v4, v21
	ds_write_b64 v7, v[18:19]
.LBB65_551:
	s_or_b64 exec, exec, s[18:19]
	s_waitcnt lgkmcnt(0)
	s_barrier
	s_barrier
	s_and_saveexec_b64 s[18:19], s[22:23]
; %bb.552:
	v_lshlrev_b32_e32 v18, 3, v5
	v_lshl_or_b32 v18, v6, 9, v18
	ds_write_b64 v18, v[3:4] offset:17664
; %bb.553:
	s_or_b64 exec, exec, s[18:19]
	s_waitcnt lgkmcnt(0)
	s_barrier
	s_barrier
	s_and_saveexec_b64 s[18:19], s[40:41]
	s_cbranch_execz .LBB65_555
; %bb.554:
	v_lshlrev_b32_e32 v18, 3, v0
	s_movk_i32 s20, 0x1f8
	v_mad_u32_u24 v19, v0, s20, v18
	ds_read_b64 v[3:4], v19 offset:17664
	s_waitcnt lgkmcnt(0)
	ds_write_b64 v18, v[3:4] offset:16656
	ds_read_b64 v[3:4], v19 offset:17672
	s_waitcnt lgkmcnt(0)
	ds_write_b64 v18, v[3:4] offset:17168
.LBB65_555:
	s_or_b64 exec, exec, s[18:19]
	s_waitcnt lgkmcnt(0)
	s_barrier
	s_and_saveexec_b64 s[18:19], vcc
	s_cbranch_execz .LBB65_557
; %bb.556:
	s_movk_i32 s20, 0x100
	v_mov_b32_e32 v3, 0
	v_add_u32_e64 v18, s20, 0
	ds_read_b64 v[3:4], v3 offset:17160
	ds_read2st64_b64 v[18:21], v18 offset0:32 offset1:33
	s_movk_i32 s20, 0x4000
	s_waitcnt lgkmcnt(0)
	v_mul_f32_e32 v22, v4, v19
	v_mul_f32_e32 v19, v3, v19
	v_fma_f32 v22, v3, v18, -v22
	v_fmac_f32_e32 v19, v4, v18
	v_mul_f32_e32 v3, v19, v21
	v_mul_f32_e32 v4, v22, v21
	v_fma_f32 v3, v22, v20, -v3
	v_fmac_f32_e32 v4, v19, v20
	v_add_u32_e64 v18, s20, 0
	ds_write2_b64 v18, v[3:4], v[3:4] offset0:33 offset1:96
.LBB65_557:
	s_or_b64 exec, exec, s[18:19]
	s_movk_i32 s18, 0x3ff
	v_lshrrev_b32_e32 v20, 5, v8
	v_cmp_lt_u32_e64 s[20:21], s18, v8
	s_movk_i32 s18, 0x400
	v_and_b32_e32 v18, 31, v0
	v_sub_u32_e32 v19, 31, v20
	v_cmp_gt_u32_e64 s[18:19], s18, v8
	v_mov_b32_e32 v4, 0
	v_mov_b32_e32 v3, 0
	s_waitcnt lgkmcnt(0)
	s_barrier
	buffer_wbinvl1_vol
	s_and_saveexec_b64 s[96:97], s[18:19]
	s_cbranch_execz .LBB65_619
; %bb.558:
	v_lshlrev_b32_e32 v21, 3, v18
	v_lshlrev_b32_e32 v22, 9, v19
	ds_read_b64 v[3:4], v21 offset:16384
	ds_read_b64 v[23:24], v22 offset:16640
	s_movk_i32 s24, 0x3e0
	v_cmp_gt_u32_e64 s[24:25], s24, v8
	s_waitcnt lgkmcnt(0)
	v_mul_f32_e32 v25, v24, v4
	v_mul_f32_e32 v4, v23, v4
	v_fma_f32 v23, v23, v3, -v25
	v_fmac_f32_e32 v4, v24, v3
	v_add_f32_e32 v3, 0, v23
	v_add_f32_e32 v4, 0, v4
	s_and_saveexec_b64 s[98:99], s[24:25]
	s_cbranch_execz .LBB65_560
; %bb.559:
	ds_read_b64 v[23:24], v21 offset:16896
	ds_read_b64 v[25:26], v22 offset:16648
	s_waitcnt lgkmcnt(0)
	v_mul_f32_e32 v27, v26, v24
	v_mul_f32_e32 v24, v25, v24
	v_fma_f32 v25, v25, v23, -v27
	v_fmac_f32_e32 v24, v26, v23
	v_add_f32_e32 v3, v3, v25
	v_add_f32_e32 v4, v4, v24
.LBB65_560:
	s_or_b64 exec, exec, s[98:99]
	s_movk_i32 s24, 0x3c0
	v_cmp_gt_u32_e64 s[24:25], s24, v8
	s_and_saveexec_b64 s[98:99], s[24:25]
	s_cbranch_execz .LBB65_562
; %bb.561:
	ds_read_b64 v[23:24], v21 offset:17408
	ds_read_b64 v[25:26], v22 offset:16656
	s_waitcnt lgkmcnt(0)
	v_mul_f32_e32 v27, v26, v24
	v_mul_f32_e32 v24, v25, v24
	v_fma_f32 v25, v25, v23, -v27
	v_fmac_f32_e32 v24, v26, v23
	v_add_f32_e32 v3, v3, v25
	v_add_f32_e32 v4, v4, v24
.LBB65_562:
	s_or_b64 exec, exec, s[98:99]
	s_movk_i32 s24, 0x3a0
	v_cmp_gt_u32_e64 s[24:25], s24, v8
	;; [unrolled: 16-line block ×22, first 2 shown]
	s_and_saveexec_b64 s[98:99], s[24:25]
	s_cbranch_execz .LBB65_604
; %bb.603:
	ds_read_b64 v[23:24], v21 offset:28160
	ds_read_b64 v[25:26], v22 offset:16824
	s_waitcnt lgkmcnt(0)
	v_mul_f32_e32 v27, v26, v24
	v_mul_f32_e32 v24, v25, v24
	v_fma_f32 v25, v25, v23, -v27
	v_fmac_f32_e32 v24, v26, v23
	v_add_f32_e32 v3, v3, v25
	v_add_f32_e32 v4, v4, v24
.LBB65_604:
	s_or_b64 exec, exec, s[98:99]
	s_and_saveexec_b64 s[24:25], s[14:15]
	s_cbranch_execz .LBB65_606
; %bb.605:
	ds_read_b64 v[23:24], v21 offset:28672
	ds_read_b64 v[25:26], v22 offset:16832
	s_waitcnt lgkmcnt(0)
	v_mul_f32_e32 v27, v26, v24
	v_mul_f32_e32 v24, v25, v24
	v_fma_f32 v25, v25, v23, -v27
	v_fmac_f32_e32 v24, v26, v23
	v_add_f32_e32 v3, v3, v25
	v_add_f32_e32 v4, v4, v24
.LBB65_606:
	s_or_b64 exec, exec, s[24:25]
	s_movk_i32 s24, 0xe0
	v_cmp_gt_u32_e64 s[24:25], s24, v8
	s_and_saveexec_b64 s[98:99], s[24:25]
	s_cbranch_execz .LBB65_608
; %bb.607:
	ds_read_b64 v[23:24], v21 offset:29184
	ds_read_b64 v[25:26], v22 offset:16840
	s_waitcnt lgkmcnt(0)
	v_mul_f32_e32 v27, v26, v24
	v_mul_f32_e32 v24, v25, v24
	v_fma_f32 v25, v25, v23, -v27
	v_fmac_f32_e32 v24, v26, v23
	v_add_f32_e32 v3, v3, v25
	v_add_f32_e32 v4, v4, v24
.LBB65_608:
	s_or_b64 exec, exec, s[98:99]
	s_movk_i32 s24, 0xc0
	v_cmp_gt_u32_e64 s[24:25], s24, v8
	;; [unrolled: 16-line block ×5, first 2 shown]
	s_and_saveexec_b64 s[98:99], s[24:25]
	s_cbranch_execnz .LBB65_1140
; %bb.615:
	s_or_b64 exec, exec, s[98:99]
	s_and_saveexec_b64 s[24:25], s[12:13]
	s_cbranch_execnz .LBB65_1141
.LBB65_616:
	s_or_b64 exec, exec, s[24:25]
	v_cmp_gt_u32_e64 s[24:25], 32, v8
	s_and_saveexec_b64 s[98:99], s[24:25]
	s_cbranch_execz .LBB65_618
.LBB65_617:
	ds_read_b64 v[23:24], v21 offset:32256
	ds_read_b64 v[21:22], v22 offset:16888
	s_waitcnt lgkmcnt(0)
	v_mul_f32_e32 v25, v22, v24
	v_mul_f32_e32 v24, v21, v24
	v_fma_f32 v21, v21, v23, -v25
	v_fmac_f32_e32 v24, v22, v23
	v_add_f32_e32 v3, v3, v21
	v_add_f32_e32 v4, v4, v24
.LBB65_618:
	s_or_b64 exec, exec, s[98:99]
.LBB65_619:
	s_or_b64 exec, exec, s[96:97]
	v_mov_b32_e32 v21, 0x8000
	s_movk_i32 s24, 0x208
	v_lshlrev_b32_e32 v22, 9, v18
	v_mov_b32_e32 v23, 0x3c00
	v_lshl_add_u32 v20, v20, 3, v21
	v_mul_u32_u24_e32 v21, 0x208, v18
	v_sub_u32_e32 v22, 0, v22
	v_mad_u32_u24 v23, v18, s24, v23
	s_mov_b32 s96, 31
	s_xor_b64 s[24:25], s[20:21], -1
	s_branch .LBB65_621
.LBB65_620:                             ;   in Loop: Header=BB65_621 Depth=1
	s_or_b64 exec, exec, s[20:21]
	s_add_i32 s96, s96, -2
	s_cmp_eq_u32 s97, 0
	v_add_u32_e32 v22, 0xfffffc00, v22
	s_barrier
	s_cbranch_scc1 .LBB65_629
.LBB65_621:                             ; =>This Inner Loop Header: Depth=1
	s_movk_i32 s20, 0xc200
	v_cmp_eq_u32_e64 s[20:21], s20, v22
	s_and_b64 s[98:99], s[24:25], s[20:21]
	s_and_saveexec_b64 s[20:21], s[98:99]
	s_cbranch_execz .LBB65_623
; %bb.622:                              ;   in Loop: Header=BB65_621 Depth=1
	ds_read_b64 v[24:25], v21
	s_waitcnt lgkmcnt(0)
	v_mul_f32_e32 v26, v4, v25
	v_mul_f32_e32 v27, v3, v25
	v_fma_f32 v3, v3, v24, -v26
	v_fmac_f32_e32 v27, v4, v24
	v_xor_b32_e32 v24, 0x80000000, v3
	v_xor_b32_e32 v25, 0x80000000, v27
	v_mov_b32_e32 v4, v27
	ds_write_b64 v20, v[24:25]
.LBB65_623:                             ;   in Loop: Header=BB65_621 Depth=1
	s_or_b64 exec, exec, s[20:21]
	v_cmp_gt_u32_e64 s[20:21], s96, v18
	s_and_b64 s[98:99], s[24:25], s[20:21]
	v_add_u32_e32 v24, v23, v22
	s_waitcnt lgkmcnt(0)
	s_barrier
	s_and_saveexec_b64 s[20:21], s[98:99]
	s_cbranch_execz .LBB65_625
; %bb.624:                              ;   in Loop: Header=BB65_621 Depth=1
	ds_read_b64 v[25:26], v24 offset:512
	ds_read_b64 v[27:28], v20
	s_waitcnt lgkmcnt(0)
	v_mul_f32_e32 v29, v28, v26
	v_mul_f32_e32 v26, v27, v26
	v_fma_f32 v27, v27, v25, -v29
	v_fmac_f32_e32 v26, v28, v25
	v_sub_f32_e32 v3, v3, v27
	v_sub_f32_e32 v4, v4, v26
.LBB65_625:                             ;   in Loop: Header=BB65_621 Depth=1
	s_or_b64 exec, exec, s[20:21]
	s_add_i32 s97, s96, -1
	v_cmp_eq_u32_e64 s[20:21], s97, v18
	s_and_b64 s[98:99], s[24:25], s[20:21]
	s_barrier
	s_and_saveexec_b64 s[20:21], s[98:99]
	s_cbranch_execz .LBB65_627
; %bb.626:                              ;   in Loop: Header=BB65_621 Depth=1
	ds_read_b64 v[25:26], v21
	s_waitcnt lgkmcnt(0)
	v_mul_f32_e32 v27, v4, v26
	v_mul_f32_e32 v28, v3, v26
	v_fma_f32 v3, v3, v25, -v27
	v_fmac_f32_e32 v28, v4, v25
	v_xor_b32_e32 v25, 0x80000000, v3
	v_xor_b32_e32 v26, 0x80000000, v28
	v_mov_b32_e32 v4, v28
	ds_write_b64 v20, v[25:26]
.LBB65_627:                             ;   in Loop: Header=BB65_621 Depth=1
	s_or_b64 exec, exec, s[20:21]
	v_cmp_gt_u32_e64 s[20:21], s97, v18
	s_and_b64 s[98:99], s[24:25], s[20:21]
	s_waitcnt lgkmcnt(0)
	s_barrier
	s_and_saveexec_b64 s[20:21], s[98:99]
	s_cbranch_execz .LBB65_620
; %bb.628:                              ;   in Loop: Header=BB65_621 Depth=1
	ds_read_b64 v[24:25], v24
	ds_read_b64 v[26:27], v20
	s_waitcnt lgkmcnt(0)
	v_mul_f32_e32 v28, v27, v25
	v_mul_f32_e32 v25, v26, v25
	v_fma_f32 v26, v26, v24, -v28
	v_fmac_f32_e32 v25, v27, v24
	v_sub_f32_e32 v3, v3, v26
	v_sub_f32_e32 v4, v4, v25
	s_branch .LBB65_620
.LBB65_629:
	s_and_saveexec_b64 s[20:21], s[18:19]
; %bb.630:
	v_lshlrev_b32_e32 v18, 3, v18
	v_lshl_or_b32 v18, v19, 9, v18
	ds_write_b64 v18, v[3:4] offset:16384
; %bb.631:
	s_or_b64 exec, exec, s[20:21]
	v_cmp_gt_u32_e64 s[18:19], 32, v0
	s_and_b64 s[18:19], s[16:17], s[18:19]
	s_waitcnt lgkmcnt(0)
	s_barrier
	s_barrier
	s_and_saveexec_b64 s[16:17], s[18:19]
	s_cbranch_execz .LBB65_633
; %bb.632:
	v_lshlrev_b32_e32 v18, 9, v0
	ds_read_b64 v[3:4], v18 offset:16384
	s_movk_i32 s18, 0xfe08
	v_mad_i32_i24 v19, v0, s18, v18
	s_waitcnt lgkmcnt(0)
	ds_write_b64 v19, v[3:4] offset:256
	ds_read_b64 v[3:4], v18 offset:16392
	s_waitcnt lgkmcnt(0)
	ds_write_b64 v19, v[3:4] offset:768
	ds_read_b64 v[3:4], v18 offset:16400
	;; [unrolled: 3-line block ×31, first 2 shown]
	s_waitcnt lgkmcnt(0)
	ds_write_b64 v19, v[3:4] offset:16128
.LBB65_633:
	s_or_b64 exec, exec, s[16:17]
	s_waitcnt lgkmcnt(0)
	s_barrier
	s_and_saveexec_b64 s[16:17], vcc
	s_cbranch_execz .LBB65_635
; %bb.634:
	s_movk_i32 s18, 0xf0
	v_mov_b32_e32 v3, 0
	v_add_u32_e64 v18, s18, 0
	ds_read_b64 v[3:4], v3 offset:16120
	ds_read2st64_b64 v[18:21], v18 offset0:30 offset1:31
	s_movk_i32 s18, 0x3800
	s_waitcnt lgkmcnt(0)
	v_mul_f32_e32 v22, v4, v19
	v_mul_f32_e32 v19, v3, v19
	v_fma_f32 v22, v3, v18, -v22
	v_fmac_f32_e32 v19, v4, v18
	v_mul_f32_e32 v3, v19, v21
	v_mul_f32_e32 v4, v22, v21
	v_fma_f32 v3, v22, v20, -v3
	v_fmac_f32_e32 v4, v19, v20
	v_add_u32_e64 v18, s18, 0
	ds_write2_b64 v18, v[3:4], v[3:4] offset0:159 offset1:222
.LBB65_635:
	s_or_b64 exec, exec, s[16:17]
	v_mov_b32_e32 v3, 0
	v_mov_b32_e32 v4, 0
	s_waitcnt lgkmcnt(0)
	s_barrier
	buffer_wbinvl1_vol
	s_and_saveexec_b64 s[18:19], s[22:23]
	s_cbranch_execz .LBB65_639
; %bb.636:
	v_lshlrev_b32_e32 v3, 3, v5
	v_lshlrev_b32_e32 v18, 9, v6
	ds_read_b64 v[3:4], v3 offset:15584
	ds_read_b64 v[18:19], v18 offset:15600
	v_cmp_gt_u32_e64 s[16:17], 2, v8
	s_waitcnt lgkmcnt(0)
	v_mul_f32_e32 v20, v19, v4
	v_mul_f32_e32 v4, v18, v4
	v_fma_f32 v18, v18, v3, -v20
	v_fmac_f32_e32 v4, v19, v3
	v_add_f32_e32 v3, 0, v18
	v_add_f32_e32 v4, 0, v4
	s_and_saveexec_b64 s[20:21], s[16:17]
	s_cbranch_execz .LBB65_638
; %bb.637:
	v_lshlrev_b32_e32 v18, 3, v0
	v_mov_b32_e32 v20, 0
	ds_read_b64 v[18:19], v18 offset:16096
	ds_read_b64 v[20:21], v20 offset:16120
	s_waitcnt lgkmcnt(0)
	v_mul_f32_e32 v22, v21, v19
	v_mul_f32_e32 v19, v20, v19
	v_fma_f32 v20, v20, v18, -v22
	v_fmac_f32_e32 v19, v21, v18
	v_add_f32_e32 v3, v3, v20
	v_add_f32_e32 v4, v4, v19
.LBB65_638:
	s_or_b64 exec, exec, s[20:21]
.LBB65_639:
	s_or_b64 exec, exec, s[18:19]
	s_and_saveexec_b64 s[16:17], s[38:39]
	s_cbranch_execz .LBB65_641
; %bb.640:
	v_mov_b32_e32 v18, 0
	ds_read_b64 v[18:19], v18 offset:15080
	s_waitcnt lgkmcnt(0)
	v_mul_f32_e32 v20, v4, v19
	v_mul_f32_e32 v21, v3, v19
	v_fma_f32 v3, v3, v18, -v20
	v_fmac_f32_e32 v21, v4, v18
	v_xor_b32_e32 v18, 0x80000000, v3
	v_xor_b32_e32 v19, 0x80000000, v21
	v_mov_b32_e32 v4, v21
	ds_write_b64 v7, v[18:19]
.LBB65_641:
	s_or_b64 exec, exec, s[16:17]
	s_waitcnt lgkmcnt(0)
	s_barrier
	s_and_saveexec_b64 s[16:17], s[36:37]
	s_cbranch_execz .LBB65_643
; %bb.642:
	v_mov_b32_e32 v18, 0
	ds_read_b64 v[18:19], v18 offset:15072
	ds_read_b64 v[20:21], v7
	s_waitcnt lgkmcnt(0)
	v_mul_f32_e32 v22, v21, v19
	v_mul_f32_e32 v19, v20, v19
	v_fma_f32 v20, v20, v18, -v22
	v_fmac_f32_e32 v19, v21, v18
	v_sub_f32_e32 v3, v3, v20
	v_sub_f32_e32 v4, v4, v19
.LBB65_643:
	s_or_b64 exec, exec, s[16:17]
	s_barrier
	s_and_saveexec_b64 s[16:17], s[36:37]
	s_cbranch_execz .LBB65_645
; %bb.644:
	v_mov_b32_e32 v18, 0
	ds_read_b64 v[18:19], v18 offset:14560
	s_waitcnt lgkmcnt(0)
	v_mul_f32_e32 v20, v4, v19
	v_mul_f32_e32 v21, v3, v19
	v_fma_f32 v3, v3, v18, -v20
	v_fmac_f32_e32 v21, v4, v18
	v_xor_b32_e32 v18, 0x80000000, v3
	v_xor_b32_e32 v19, 0x80000000, v21
	v_mov_b32_e32 v4, v21
	ds_write_b64 v7, v[18:19]
.LBB65_645:
	s_or_b64 exec, exec, s[16:17]
	s_waitcnt lgkmcnt(0)
	s_barrier
	s_barrier
	s_and_saveexec_b64 s[16:17], s[22:23]
; %bb.646:
	v_lshlrev_b32_e32 v18, 3, v5
	v_lshl_or_b32 v18, v6, 9, v18
	ds_write_b64 v18, v[3:4] offset:15584
; %bb.647:
	s_or_b64 exec, exec, s[16:17]
	s_waitcnt lgkmcnt(0)
	s_barrier
	s_barrier
	s_and_saveexec_b64 s[16:17], s[40:41]
	s_cbranch_execz .LBB65_649
; %bb.648:
	v_lshlrev_b32_e32 v18, 3, v0
	s_movk_i32 s18, 0x1f8
	v_mad_u32_u24 v19, v0, s18, v18
	ds_read_b64 v[3:4], v19 offset:15584
	s_waitcnt lgkmcnt(0)
	ds_write_b64 v18, v[3:4] offset:14576
	ds_read_b64 v[3:4], v19 offset:15592
	s_waitcnt lgkmcnt(0)
	ds_write_b64 v18, v[3:4] offset:15088
.LBB65_649:
	s_or_b64 exec, exec, s[16:17]
	s_waitcnt lgkmcnt(0)
	s_barrier
	s_and_saveexec_b64 s[16:17], vcc
	s_cbranch_execz .LBB65_651
; %bb.650:
	s_movk_i32 s18, 0xe0
	v_mov_b32_e32 v3, 0
	v_add_u32_e64 v18, s18, 0
	ds_read_b64 v[3:4], v3 offset:15080
	ds_read2st64_b64 v[18:21], v18 offset0:28 offset1:29
	s_movk_i32 s18, 0x3800
	s_waitcnt lgkmcnt(0)
	v_mul_f32_e32 v22, v4, v19
	v_mul_f32_e32 v19, v3, v19
	v_fma_f32 v22, v3, v18, -v22
	v_fmac_f32_e32 v19, v4, v18
	v_mul_f32_e32 v3, v19, v21
	v_mul_f32_e32 v4, v22, v21
	v_fma_f32 v3, v22, v20, -v3
	v_fmac_f32_e32 v4, v19, v20
	v_add_u32_e64 v18, s18, 0
	ds_write2_b64 v18, v[3:4], v[3:4] offset0:29 offset1:92
.LBB65_651:
	s_or_b64 exec, exec, s[16:17]
	v_mov_b32_e32 v4, 0
	v_mov_b32_e32 v3, 0
	s_waitcnt lgkmcnt(0)
	s_barrier
	buffer_wbinvl1_vol
	s_and_saveexec_b64 s[18:19], s[10:11]
	s_cbranch_execz .LBB65_657
; %bb.652:
	v_lshlrev_b32_e32 v18, 3, v9
	v_lshlrev_b32_e32 v19, 9, v10
	ds_read_b64 v[3:4], v18 offset:14528
	ds_read_b64 v[20:21], v19 offset:14560
	v_cmp_gt_u32_e64 s[16:17], 12, v8
	s_waitcnt lgkmcnt(0)
	v_mul_f32_e32 v22, v21, v4
	v_mul_f32_e32 v4, v20, v4
	v_fma_f32 v20, v20, v3, -v22
	v_fmac_f32_e32 v4, v21, v3
	v_add_f32_e32 v3, 0, v20
	v_add_f32_e32 v4, 0, v4
	s_and_saveexec_b64 s[20:21], s[16:17]
	s_cbranch_execnz .LBB65_1142
; %bb.653:
	s_or_b64 exec, exec, s[20:21]
	v_cmp_gt_u32_e64 s[16:17], 8, v8
	s_and_saveexec_b64 s[20:21], s[16:17]
	s_cbranch_execnz .LBB65_1143
.LBB65_654:
	s_or_b64 exec, exec, s[20:21]
	v_cmp_gt_u32_e64 s[16:17], 4, v8
	s_and_saveexec_b64 s[20:21], s[16:17]
	s_cbranch_execz .LBB65_656
.LBB65_655:
	v_lshlrev_b32_e32 v18, 3, v0
	v_mov_b32_e32 v20, 0
	ds_read_b64 v[18:19], v18 offset:16064
	ds_read_b64 v[20:21], v20 offset:16120
	s_waitcnt lgkmcnt(0)
	v_mul_f32_e32 v22, v21, v19
	v_mul_f32_e32 v19, v20, v19
	v_fma_f32 v20, v20, v18, -v22
	v_fmac_f32_e32 v19, v21, v18
	v_add_f32_e32 v3, v3, v20
	v_add_f32_e32 v4, v4, v19
.LBB65_656:
	s_or_b64 exec, exec, s[20:21]
.LBB65_657:
	s_or_b64 exec, exec, s[18:19]
	s_and_saveexec_b64 s[16:17], s[44:45]
	s_cbranch_execz .LBB65_659
; %bb.658:
	v_mov_b32_e32 v18, 0
	ds_read_b64 v[18:19], v18 offset:14040
	s_waitcnt lgkmcnt(0)
	v_mul_f32_e32 v20, v4, v19
	v_mul_f32_e32 v21, v3, v19
	v_fma_f32 v3, v3, v18, -v20
	v_fmac_f32_e32 v21, v4, v18
	v_xor_b32_e32 v18, 0x80000000, v3
	v_xor_b32_e32 v19, 0x80000000, v21
	v_mov_b32_e32 v4, v21
	ds_write_b64 v11, v[18:19]
.LBB65_659:
	s_or_b64 exec, exec, s[16:17]
	s_waitcnt lgkmcnt(0)
	s_barrier
	s_and_saveexec_b64 s[16:17], s[46:47]
	s_cbranch_execz .LBB65_661
; %bb.660:
	v_lshlrev_b32_e32 v18, 3, v9
	ds_read_b64 v[18:19], v18 offset:14016
	ds_read_b64 v[20:21], v11
	s_waitcnt lgkmcnt(0)
	v_mul_f32_e32 v22, v21, v19
	v_mul_f32_e32 v19, v20, v19
	v_fma_f32 v20, v20, v18, -v22
	v_fmac_f32_e32 v19, v21, v18
	v_sub_f32_e32 v3, v3, v20
	v_sub_f32_e32 v4, v4, v19
.LBB65_661:
	s_or_b64 exec, exec, s[16:17]
	s_barrier
	s_and_saveexec_b64 s[16:17], s[48:49]
	s_cbranch_execz .LBB65_663
; %bb.662:
	v_mov_b32_e32 v18, 0
	ds_read_b64 v[18:19], v18 offset:13520
	s_waitcnt lgkmcnt(0)
	v_mul_f32_e32 v20, v4, v19
	v_mul_f32_e32 v21, v3, v19
	v_fma_f32 v3, v3, v18, -v20
	v_fmac_f32_e32 v21, v4, v18
	v_xor_b32_e32 v18, 0x80000000, v3
	v_xor_b32_e32 v19, 0x80000000, v21
	v_mov_b32_e32 v4, v21
	ds_write_b64 v11, v[18:19]
.LBB65_663:
	s_or_b64 exec, exec, s[16:17]
	s_waitcnt lgkmcnt(0)
	s_barrier
	s_and_saveexec_b64 s[16:17], s[50:51]
	s_cbranch_execz .LBB65_665
; %bb.664:
	v_lshlrev_b32_e32 v18, 3, v9
	ds_read_b64 v[18:19], v18 offset:13504
	ds_read_b64 v[20:21], v11
	s_waitcnt lgkmcnt(0)
	v_mul_f32_e32 v22, v21, v19
	v_mul_f32_e32 v19, v20, v19
	v_fma_f32 v20, v20, v18, -v22
	v_fmac_f32_e32 v19, v21, v18
	v_sub_f32_e32 v3, v3, v20
	v_sub_f32_e32 v4, v4, v19
.LBB65_665:
	s_or_b64 exec, exec, s[16:17]
	s_barrier
	s_and_saveexec_b64 s[16:17], s[52:53]
	s_cbranch_execz .LBB65_667
; %bb.666:
	v_mov_b32_e32 v18, 0
	ds_read_b64 v[18:19], v18 offset:13000
	s_waitcnt lgkmcnt(0)
	v_mul_f32_e32 v20, v4, v19
	v_mul_f32_e32 v21, v3, v19
	v_fma_f32 v3, v3, v18, -v20
	v_fmac_f32_e32 v21, v4, v18
	v_xor_b32_e32 v18, 0x80000000, v3
	v_xor_b32_e32 v19, 0x80000000, v21
	v_mov_b32_e32 v4, v21
	ds_write_b64 v11, v[18:19]
.LBB65_667:
	s_or_b64 exec, exec, s[16:17]
	s_waitcnt lgkmcnt(0)
	s_barrier
	s_and_saveexec_b64 s[16:17], s[42:43]
	s_cbranch_execz .LBB65_669
; %bb.668:
	v_mov_b32_e32 v18, 0
	ds_read_b64 v[18:19], v18 offset:12992
	ds_read_b64 v[20:21], v11
	s_waitcnt lgkmcnt(0)
	v_mul_f32_e32 v22, v21, v19
	v_mul_f32_e32 v19, v20, v19
	v_fma_f32 v20, v20, v18, -v22
	v_fmac_f32_e32 v19, v21, v18
	v_sub_f32_e32 v3, v3, v20
	v_sub_f32_e32 v4, v4, v19
.LBB65_669:
	s_or_b64 exec, exec, s[16:17]
	s_barrier
	s_and_saveexec_b64 s[16:17], s[42:43]
	s_cbranch_execz .LBB65_671
; %bb.670:
	v_mov_b32_e32 v18, 0
	ds_read_b64 v[18:19], v18 offset:12480
	s_waitcnt lgkmcnt(0)
	v_mul_f32_e32 v20, v4, v19
	v_mul_f32_e32 v21, v3, v19
	v_fma_f32 v3, v3, v18, -v20
	v_fmac_f32_e32 v21, v4, v18
	v_xor_b32_e32 v18, 0x80000000, v3
	v_xor_b32_e32 v19, 0x80000000, v21
	v_mov_b32_e32 v4, v21
	ds_write_b64 v11, v[18:19]
.LBB65_671:
	s_or_b64 exec, exec, s[16:17]
	s_waitcnt lgkmcnt(0)
	s_barrier
	s_barrier
	s_and_saveexec_b64 s[16:17], s[10:11]
; %bb.672:
	v_lshlrev_b32_e32 v18, 3, v9
	v_lshl_or_b32 v18, v10, 9, v18
	ds_write_b64 v18, v[3:4] offset:14528
; %bb.673:
	s_or_b64 exec, exec, s[16:17]
	s_waitcnt lgkmcnt(0)
	s_barrier
	s_barrier
	s_and_saveexec_b64 s[16:17], s[54:55]
	s_cbranch_execz .LBB65_675
; %bb.674:
	v_lshlrev_b32_e32 v18, 9, v0
	ds_read_b64 v[3:4], v18 offset:14528
	s_movk_i32 s18, 0xfe08
	v_mad_i32_i24 v19, v0, s18, v18
	s_waitcnt lgkmcnt(0)
	ds_write_b64 v19, v[3:4] offset:12512
	ds_read_b64 v[3:4], v18 offset:14536
	s_waitcnt lgkmcnt(0)
	ds_write_b64 v19, v[3:4] offset:13024
	ds_read_b64 v[3:4], v18 offset:14544
	;; [unrolled: 3-line block ×3, first 2 shown]
	s_waitcnt lgkmcnt(0)
	ds_write_b64 v19, v[3:4] offset:14048
.LBB65_675:
	s_or_b64 exec, exec, s[16:17]
	s_waitcnt lgkmcnt(0)
	s_barrier
	s_and_saveexec_b64 s[16:17], vcc
	s_cbranch_execz .LBB65_677
; %bb.676:
	s_movk_i32 s18, 0xd0
	v_mov_b32_e32 v3, 0
	v_add_u32_e64 v18, s18, 0
	ds_read_b64 v[3:4], v3 offset:14040
	ds_read2st64_b64 v[18:21], v18 offset0:26 offset1:27
	s_movk_i32 s18, 0x3000
	s_waitcnt lgkmcnt(0)
	v_mul_f32_e32 v22, v4, v19
	v_mul_f32_e32 v19, v3, v19
	v_fma_f32 v22, v3, v18, -v22
	v_fmac_f32_e32 v19, v4, v18
	v_mul_f32_e32 v3, v19, v21
	v_mul_f32_e32 v4, v22, v21
	v_fma_f32 v3, v22, v20, -v3
	v_fmac_f32_e32 v4, v19, v20
	v_add_u32_e64 v18, s18, 0
	ds_write2_b64 v18, v[3:4], v[3:4] offset0:155 offset1:218
.LBB65_677:
	s_or_b64 exec, exec, s[16:17]
	v_mov_b32_e32 v3, 0
	v_mov_b32_e32 v4, 0
	s_waitcnt lgkmcnt(0)
	s_barrier
	buffer_wbinvl1_vol
	s_and_saveexec_b64 s[18:19], s[22:23]
	s_cbranch_execz .LBB65_681
; %bb.678:
	v_lshlrev_b32_e32 v3, 3, v5
	v_lshlrev_b32_e32 v18, 9, v6
	ds_read_b64 v[3:4], v3 offset:13504
	ds_read_b64 v[18:19], v18 offset:13520
	v_cmp_gt_u32_e64 s[16:17], 2, v8
	s_waitcnt lgkmcnt(0)
	v_mul_f32_e32 v20, v19, v4
	v_mul_f32_e32 v4, v18, v4
	v_fma_f32 v18, v18, v3, -v20
	v_fmac_f32_e32 v4, v19, v3
	v_add_f32_e32 v3, 0, v18
	v_add_f32_e32 v4, 0, v4
	s_and_saveexec_b64 s[20:21], s[16:17]
	s_cbranch_execz .LBB65_680
; %bb.679:
	v_lshlrev_b32_e32 v18, 3, v0
	v_mov_b32_e32 v20, 0
	ds_read_b64 v[18:19], v18 offset:14016
	ds_read_b64 v[20:21], v20 offset:14040
	s_waitcnt lgkmcnt(0)
	v_mul_f32_e32 v22, v21, v19
	v_mul_f32_e32 v19, v20, v19
	v_fma_f32 v20, v20, v18, -v22
	v_fmac_f32_e32 v19, v21, v18
	v_add_f32_e32 v3, v3, v20
	v_add_f32_e32 v4, v4, v19
.LBB65_680:
	s_or_b64 exec, exec, s[20:21]
.LBB65_681:
	s_or_b64 exec, exec, s[18:19]
	s_and_saveexec_b64 s[16:17], s[38:39]
	s_cbranch_execz .LBB65_683
; %bb.682:
	v_mov_b32_e32 v18, 0
	ds_read_b64 v[18:19], v18 offset:13000
	s_waitcnt lgkmcnt(0)
	v_mul_f32_e32 v20, v4, v19
	v_mul_f32_e32 v21, v3, v19
	v_fma_f32 v3, v3, v18, -v20
	v_fmac_f32_e32 v21, v4, v18
	v_xor_b32_e32 v18, 0x80000000, v3
	v_xor_b32_e32 v19, 0x80000000, v21
	v_mov_b32_e32 v4, v21
	ds_write_b64 v7, v[18:19]
.LBB65_683:
	s_or_b64 exec, exec, s[16:17]
	s_waitcnt lgkmcnt(0)
	s_barrier
	s_and_saveexec_b64 s[16:17], s[36:37]
	s_cbranch_execz .LBB65_685
; %bb.684:
	v_mov_b32_e32 v18, 0
	ds_read_b64 v[18:19], v18 offset:12992
	ds_read_b64 v[20:21], v7
	s_waitcnt lgkmcnt(0)
	v_mul_f32_e32 v22, v21, v19
	v_mul_f32_e32 v19, v20, v19
	v_fma_f32 v20, v20, v18, -v22
	v_fmac_f32_e32 v19, v21, v18
	v_sub_f32_e32 v3, v3, v20
	v_sub_f32_e32 v4, v4, v19
.LBB65_685:
	s_or_b64 exec, exec, s[16:17]
	s_barrier
	s_and_saveexec_b64 s[16:17], s[36:37]
	s_cbranch_execz .LBB65_687
; %bb.686:
	v_mov_b32_e32 v18, 0
	ds_read_b64 v[18:19], v18 offset:12480
	s_waitcnt lgkmcnt(0)
	v_mul_f32_e32 v20, v4, v19
	v_mul_f32_e32 v21, v3, v19
	v_fma_f32 v3, v3, v18, -v20
	v_fmac_f32_e32 v21, v4, v18
	v_xor_b32_e32 v18, 0x80000000, v3
	v_xor_b32_e32 v19, 0x80000000, v21
	v_mov_b32_e32 v4, v21
	ds_write_b64 v7, v[18:19]
.LBB65_687:
	s_or_b64 exec, exec, s[16:17]
	s_waitcnt lgkmcnt(0)
	s_barrier
	s_barrier
	s_and_saveexec_b64 s[16:17], s[22:23]
; %bb.688:
	v_lshlrev_b32_e32 v18, 3, v5
	v_lshl_or_b32 v18, v6, 9, v18
	ds_write_b64 v18, v[3:4] offset:13504
; %bb.689:
	s_or_b64 exec, exec, s[16:17]
	s_waitcnt lgkmcnt(0)
	s_barrier
	s_barrier
	s_and_saveexec_b64 s[16:17], s[40:41]
	s_cbranch_execz .LBB65_691
; %bb.690:
	v_lshlrev_b32_e32 v18, 3, v0
	s_movk_i32 s18, 0x1f8
	v_mad_u32_u24 v19, v0, s18, v18
	ds_read_b64 v[3:4], v19 offset:13504
	s_waitcnt lgkmcnt(0)
	ds_write_b64 v18, v[3:4] offset:12496
	ds_read_b64 v[3:4], v19 offset:13512
	s_waitcnt lgkmcnt(0)
	ds_write_b64 v18, v[3:4] offset:13008
.LBB65_691:
	s_or_b64 exec, exec, s[16:17]
	s_waitcnt lgkmcnt(0)
	s_barrier
	s_and_saveexec_b64 s[16:17], vcc
	s_cbranch_execz .LBB65_693
; %bb.692:
	s_movk_i32 s18, 0xc0
	v_mov_b32_e32 v3, 0
	v_add_u32_e64 v18, s18, 0
	ds_read_b64 v[3:4], v3 offset:13000
	ds_read2st64_b64 v[18:21], v18 offset0:24 offset1:25
	s_movk_i32 s18, 0x3000
	s_waitcnt lgkmcnt(0)
	v_mul_f32_e32 v22, v4, v19
	v_mul_f32_e32 v19, v3, v19
	v_fma_f32 v22, v3, v18, -v22
	v_fmac_f32_e32 v19, v4, v18
	v_mul_f32_e32 v3, v19, v21
	v_mul_f32_e32 v4, v22, v21
	v_fma_f32 v3, v22, v20, -v3
	v_fmac_f32_e32 v4, v19, v20
	v_add_u32_e64 v18, s18, 0
	ds_write2_b64 v18, v[3:4], v[3:4] offset0:25 offset1:88
.LBB65_693:
	s_or_b64 exec, exec, s[16:17]
	v_mov_b32_e32 v4, 0
	v_mov_b32_e32 v3, 0
	s_waitcnt lgkmcnt(0)
	s_barrier
	buffer_wbinvl1_vol
	s_and_saveexec_b64 s[18:19], s[12:13]
	s_cbranch_execz .LBB65_703
; %bb.694:
	v_lshlrev_b32_e32 v18, 3, v12
	v_lshlrev_b32_e32 v19, 9, v13
	ds_read_b64 v[3:4], v18 offset:12416
	ds_read_b64 v[20:21], v19 offset:12480
	v_cmp_gt_u32_e64 s[16:17], 56, v8
	s_waitcnt lgkmcnt(0)
	v_mul_f32_e32 v22, v21, v4
	v_mul_f32_e32 v4, v20, v4
	v_fma_f32 v20, v20, v3, -v22
	v_fmac_f32_e32 v4, v21, v3
	v_add_f32_e32 v3, 0, v20
	v_add_f32_e32 v4, 0, v4
	s_and_saveexec_b64 s[20:21], s[16:17]
	s_cbranch_execnz .LBB65_1144
; %bb.695:
	s_or_b64 exec, exec, s[20:21]
	v_cmp_gt_u32_e64 s[16:17], 48, v8
	s_and_saveexec_b64 s[20:21], s[16:17]
	s_cbranch_execnz .LBB65_1145
.LBB65_696:
	s_or_b64 exec, exec, s[20:21]
	v_cmp_gt_u32_e64 s[16:17], 40, v8
	s_and_saveexec_b64 s[20:21], s[16:17]
	s_cbranch_execnz .LBB65_1146
.LBB65_697:
	s_or_b64 exec, exec, s[20:21]
	v_cmp_gt_u32_e64 s[16:17], 32, v8
	s_and_saveexec_b64 s[20:21], s[16:17]
	s_cbranch_execnz .LBB65_1147
.LBB65_698:
	s_or_b64 exec, exec, s[20:21]
	v_cmp_gt_u32_e64 s[16:17], 24, v8
	s_and_saveexec_b64 s[20:21], s[16:17]
	s_cbranch_execnz .LBB65_1148
.LBB65_699:
	s_or_b64 exec, exec, s[20:21]
	s_and_saveexec_b64 s[16:17], s[10:11]
	s_cbranch_execnz .LBB65_1149
.LBB65_700:
	s_or_b64 exec, exec, s[16:17]
	v_cmp_gt_u32_e64 s[16:17], 8, v8
	s_and_saveexec_b64 s[20:21], s[16:17]
	s_cbranch_execz .LBB65_702
.LBB65_701:
	v_lshlrev_b32_e32 v18, 3, v0
	v_mov_b32_e32 v20, 0
	ds_read_b64 v[18:19], v18 offset:16000
	ds_read_b64 v[20:21], v20 offset:16120
	s_waitcnt lgkmcnt(0)
	v_mul_f32_e32 v22, v21, v19
	v_mul_f32_e32 v19, v20, v19
	v_fma_f32 v20, v20, v18, -v22
	v_fmac_f32_e32 v19, v21, v18
	v_add_f32_e32 v3, v3, v20
	v_add_f32_e32 v4, v4, v19
.LBB65_702:
	s_or_b64 exec, exec, s[20:21]
.LBB65_703:
	s_or_b64 exec, exec, s[18:19]
	s_and_saveexec_b64 s[16:17], s[58:59]
	s_cbranch_execz .LBB65_705
; %bb.704:
	v_mov_b32_e32 v18, 0
	ds_read_b64 v[18:19], v18 offset:11960
	s_waitcnt lgkmcnt(0)
	v_mul_f32_e32 v20, v4, v19
	v_mul_f32_e32 v21, v3, v19
	v_fma_f32 v3, v3, v18, -v20
	v_fmac_f32_e32 v21, v4, v18
	v_xor_b32_e32 v18, 0x80000000, v3
	v_xor_b32_e32 v19, 0x80000000, v21
	v_mov_b32_e32 v4, v21
	ds_write_b64 v14, v[18:19]
.LBB65_705:
	s_or_b64 exec, exec, s[16:17]
	s_waitcnt lgkmcnt(0)
	s_barrier
	s_and_saveexec_b64 s[16:17], s[60:61]
	s_cbranch_execz .LBB65_707
; %bb.706:
	v_lshlrev_b32_e32 v18, 3, v12
	ds_read_b64 v[18:19], v18 offset:11904
	ds_read_b64 v[20:21], v14
	s_waitcnt lgkmcnt(0)
	v_mul_f32_e32 v22, v21, v19
	v_mul_f32_e32 v19, v20, v19
	v_fma_f32 v20, v20, v18, -v22
	v_fmac_f32_e32 v19, v21, v18
	v_sub_f32_e32 v3, v3, v20
	v_sub_f32_e32 v4, v4, v19
.LBB65_707:
	s_or_b64 exec, exec, s[16:17]
	s_barrier
	s_and_saveexec_b64 s[16:17], s[62:63]
	s_cbranch_execz .LBB65_709
; %bb.708:
	v_mov_b32_e32 v18, 0
	ds_read_b64 v[18:19], v18 offset:11440
	s_waitcnt lgkmcnt(0)
	v_mul_f32_e32 v20, v4, v19
	v_mul_f32_e32 v21, v3, v19
	v_fma_f32 v3, v3, v18, -v20
	v_fmac_f32_e32 v21, v4, v18
	v_xor_b32_e32 v18, 0x80000000, v3
	v_xor_b32_e32 v19, 0x80000000, v21
	v_mov_b32_e32 v4, v21
	ds_write_b64 v14, v[18:19]
.LBB65_709:
	s_or_b64 exec, exec, s[16:17]
	s_waitcnt lgkmcnt(0)
	s_barrier
	s_and_saveexec_b64 s[16:17], s[64:65]
	s_cbranch_execz .LBB65_711
; %bb.710:
	v_lshlrev_b32_e32 v18, 3, v12
	ds_read_b64 v[18:19], v18 offset:11392
	ds_read_b64 v[20:21], v14
	s_waitcnt lgkmcnt(0)
	v_mul_f32_e32 v22, v21, v19
	v_mul_f32_e32 v19, v20, v19
	v_fma_f32 v20, v20, v18, -v22
	v_fmac_f32_e32 v19, v21, v18
	v_sub_f32_e32 v3, v3, v20
	v_sub_f32_e32 v4, v4, v19
.LBB65_711:
	s_or_b64 exec, exec, s[16:17]
	s_barrier
	;; [unrolled: 34-line block ×6, first 2 shown]
	s_and_saveexec_b64 s[16:17], s[82:83]
	s_cbranch_execz .LBB65_729
; %bb.728:
	v_mov_b32_e32 v18, 0
	ds_read_b64 v[18:19], v18 offset:8840
	s_waitcnt lgkmcnt(0)
	v_mul_f32_e32 v20, v4, v19
	v_mul_f32_e32 v21, v3, v19
	v_fma_f32 v3, v3, v18, -v20
	v_fmac_f32_e32 v21, v4, v18
	v_xor_b32_e32 v18, 0x80000000, v3
	v_xor_b32_e32 v19, 0x80000000, v21
	v_mov_b32_e32 v4, v21
	ds_write_b64 v14, v[18:19]
.LBB65_729:
	s_or_b64 exec, exec, s[16:17]
	s_waitcnt lgkmcnt(0)
	s_barrier
	s_and_saveexec_b64 s[16:17], s[56:57]
	s_cbranch_execz .LBB65_731
; %bb.730:
	v_mov_b32_e32 v18, 0
	ds_read_b64 v[18:19], v18 offset:8832
	ds_read_b64 v[20:21], v14
	s_waitcnt lgkmcnt(0)
	v_mul_f32_e32 v22, v21, v19
	v_mul_f32_e32 v19, v20, v19
	v_fma_f32 v20, v20, v18, -v22
	v_fmac_f32_e32 v19, v21, v18
	v_sub_f32_e32 v3, v3, v20
	v_sub_f32_e32 v4, v4, v19
.LBB65_731:
	s_or_b64 exec, exec, s[16:17]
	s_barrier
	s_and_saveexec_b64 s[16:17], s[56:57]
	s_cbranch_execz .LBB65_733
; %bb.732:
	v_mov_b32_e32 v18, 0
	ds_read_b64 v[18:19], v18 offset:8320
	s_waitcnt lgkmcnt(0)
	v_mul_f32_e32 v20, v4, v19
	v_mul_f32_e32 v21, v3, v19
	v_fma_f32 v3, v3, v18, -v20
	v_fmac_f32_e32 v21, v4, v18
	v_xor_b32_e32 v18, 0x80000000, v3
	v_xor_b32_e32 v19, 0x80000000, v21
	v_mov_b32_e32 v4, v21
	ds_write_b64 v14, v[18:19]
.LBB65_733:
	s_or_b64 exec, exec, s[16:17]
	s_waitcnt lgkmcnt(0)
	s_barrier
	s_barrier
	s_and_saveexec_b64 s[16:17], s[12:13]
; %bb.734:
	v_lshlrev_b32_e32 v18, 3, v12
	v_lshl_or_b32 v18, v13, 9, v18
	ds_write_b64 v18, v[3:4] offset:12416
; %bb.735:
	s_or_b64 exec, exec, s[16:17]
	s_waitcnt lgkmcnt(0)
	s_barrier
	s_barrier
	s_and_saveexec_b64 s[16:17], s[84:85]
	s_cbranch_execz .LBB65_737
; %bb.736:
	v_lshlrev_b32_e32 v18, 9, v0
	ds_read_b64 v[3:4], v18 offset:12416
	s_movk_i32 s18, 0xfe08
	v_mad_i32_i24 v19, v0, s18, v18
	s_waitcnt lgkmcnt(0)
	ds_write_b64 v19, v[3:4] offset:8384
	ds_read_b64 v[3:4], v18 offset:12424
	s_waitcnt lgkmcnt(0)
	ds_write_b64 v19, v[3:4] offset:8896
	ds_read_b64 v[3:4], v18 offset:12432
	;; [unrolled: 3-line block ×7, first 2 shown]
	s_waitcnt lgkmcnt(0)
	ds_write_b64 v19, v[3:4] offset:11968
.LBB65_737:
	s_or_b64 exec, exec, s[16:17]
	s_waitcnt lgkmcnt(0)
	s_barrier
	s_and_saveexec_b64 s[16:17], vcc
	s_cbranch_execz .LBB65_739
; %bb.738:
	s_movk_i32 s18, 0xb0
	v_mov_b32_e32 v3, 0
	v_add_u32_e64 v18, s18, 0
	ds_read_b64 v[3:4], v3 offset:11960
	ds_read2st64_b64 v[18:21], v18 offset0:22 offset1:23
	s_movk_i32 s18, 0x2800
	s_waitcnt lgkmcnt(0)
	v_mul_f32_e32 v22, v4, v19
	v_mul_f32_e32 v19, v3, v19
	v_fma_f32 v22, v3, v18, -v22
	v_fmac_f32_e32 v19, v4, v18
	v_mul_f32_e32 v3, v19, v21
	v_mul_f32_e32 v4, v22, v21
	v_fma_f32 v3, v22, v20, -v3
	v_fmac_f32_e32 v4, v19, v20
	v_add_u32_e64 v18, s18, 0
	ds_write2_b64 v18, v[3:4], v[3:4] offset0:151 offset1:214
.LBB65_739:
	s_or_b64 exec, exec, s[16:17]
	v_mov_b32_e32 v3, 0
	v_mov_b32_e32 v4, 0
	s_waitcnt lgkmcnt(0)
	s_barrier
	buffer_wbinvl1_vol
	s_and_saveexec_b64 s[18:19], s[22:23]
	s_cbranch_execz .LBB65_743
; %bb.740:
	v_lshlrev_b32_e32 v3, 3, v5
	v_lshlrev_b32_e32 v18, 9, v6
	ds_read_b64 v[3:4], v3 offset:11424
	ds_read_b64 v[18:19], v18 offset:11440
	v_cmp_gt_u32_e64 s[16:17], 2, v8
	s_waitcnt lgkmcnt(0)
	v_mul_f32_e32 v20, v19, v4
	v_mul_f32_e32 v4, v18, v4
	v_fma_f32 v18, v18, v3, -v20
	v_fmac_f32_e32 v4, v19, v3
	v_add_f32_e32 v3, 0, v18
	v_add_f32_e32 v4, 0, v4
	s_and_saveexec_b64 s[20:21], s[16:17]
	s_cbranch_execz .LBB65_742
; %bb.741:
	v_lshlrev_b32_e32 v18, 3, v0
	v_mov_b32_e32 v20, 0
	ds_read_b64 v[18:19], v18 offset:11936
	ds_read_b64 v[20:21], v20 offset:11960
	s_waitcnt lgkmcnt(0)
	v_mul_f32_e32 v22, v21, v19
	v_mul_f32_e32 v19, v20, v19
	v_fma_f32 v20, v20, v18, -v22
	v_fmac_f32_e32 v19, v21, v18
	v_add_f32_e32 v3, v3, v20
	v_add_f32_e32 v4, v4, v19
.LBB65_742:
	s_or_b64 exec, exec, s[20:21]
.LBB65_743:
	s_or_b64 exec, exec, s[18:19]
	s_and_saveexec_b64 s[16:17], s[38:39]
	s_cbranch_execz .LBB65_745
; %bb.744:
	v_mov_b32_e32 v18, 0
	ds_read_b64 v[18:19], v18 offset:10920
	s_waitcnt lgkmcnt(0)
	v_mul_f32_e32 v20, v4, v19
	v_mul_f32_e32 v21, v3, v19
	v_fma_f32 v3, v3, v18, -v20
	v_fmac_f32_e32 v21, v4, v18
	v_xor_b32_e32 v18, 0x80000000, v3
	v_xor_b32_e32 v19, 0x80000000, v21
	v_mov_b32_e32 v4, v21
	ds_write_b64 v7, v[18:19]
.LBB65_745:
	s_or_b64 exec, exec, s[16:17]
	s_waitcnt lgkmcnt(0)
	s_barrier
	s_and_saveexec_b64 s[16:17], s[36:37]
	s_cbranch_execz .LBB65_747
; %bb.746:
	v_mov_b32_e32 v18, 0
	ds_read_b64 v[18:19], v18 offset:10912
	ds_read_b64 v[20:21], v7
	s_waitcnt lgkmcnt(0)
	v_mul_f32_e32 v22, v21, v19
	v_mul_f32_e32 v19, v20, v19
	v_fma_f32 v20, v20, v18, -v22
	v_fmac_f32_e32 v19, v21, v18
	v_sub_f32_e32 v3, v3, v20
	v_sub_f32_e32 v4, v4, v19
.LBB65_747:
	s_or_b64 exec, exec, s[16:17]
	s_barrier
	s_and_saveexec_b64 s[16:17], s[36:37]
	s_cbranch_execz .LBB65_749
; %bb.748:
	v_mov_b32_e32 v18, 0
	ds_read_b64 v[18:19], v18 offset:10400
	s_waitcnt lgkmcnt(0)
	v_mul_f32_e32 v20, v4, v19
	v_mul_f32_e32 v21, v3, v19
	v_fma_f32 v3, v3, v18, -v20
	v_fmac_f32_e32 v21, v4, v18
	v_xor_b32_e32 v18, 0x80000000, v3
	v_xor_b32_e32 v19, 0x80000000, v21
	v_mov_b32_e32 v4, v21
	ds_write_b64 v7, v[18:19]
.LBB65_749:
	s_or_b64 exec, exec, s[16:17]
	s_waitcnt lgkmcnt(0)
	s_barrier
	s_barrier
	s_and_saveexec_b64 s[16:17], s[22:23]
; %bb.750:
	v_lshlrev_b32_e32 v18, 3, v5
	v_lshl_or_b32 v18, v6, 9, v18
	ds_write_b64 v18, v[3:4] offset:11424
; %bb.751:
	s_or_b64 exec, exec, s[16:17]
	s_waitcnt lgkmcnt(0)
	s_barrier
	s_barrier
	s_and_saveexec_b64 s[16:17], s[40:41]
	s_cbranch_execz .LBB65_753
; %bb.752:
	v_lshlrev_b32_e32 v18, 3, v0
	s_movk_i32 s18, 0x1f8
	v_mad_u32_u24 v19, v0, s18, v18
	ds_read_b64 v[3:4], v19 offset:11424
	s_waitcnt lgkmcnt(0)
	ds_write_b64 v18, v[3:4] offset:10416
	ds_read_b64 v[3:4], v19 offset:11432
	s_waitcnt lgkmcnt(0)
	ds_write_b64 v18, v[3:4] offset:10928
.LBB65_753:
	s_or_b64 exec, exec, s[16:17]
	s_waitcnt lgkmcnt(0)
	s_barrier
	s_and_saveexec_b64 s[16:17], vcc
	s_cbranch_execz .LBB65_755
; %bb.754:
	s_movk_i32 s18, 0xa0
	v_mov_b32_e32 v3, 0
	v_add_u32_e64 v18, s18, 0
	ds_read_b64 v[3:4], v3 offset:10920
	ds_read2st64_b64 v[18:21], v18 offset0:20 offset1:21
	s_movk_i32 s18, 0x2800
	s_waitcnt lgkmcnt(0)
	v_mul_f32_e32 v22, v4, v19
	v_mul_f32_e32 v19, v3, v19
	v_fma_f32 v22, v3, v18, -v22
	v_fmac_f32_e32 v19, v4, v18
	v_mul_f32_e32 v3, v19, v21
	v_mul_f32_e32 v4, v22, v21
	v_fma_f32 v3, v22, v20, -v3
	v_fmac_f32_e32 v4, v19, v20
	v_add_u32_e64 v18, s18, 0
	ds_write2_b64 v18, v[3:4], v[3:4] offset0:21 offset1:84
.LBB65_755:
	s_or_b64 exec, exec, s[16:17]
	v_mov_b32_e32 v4, 0
	v_mov_b32_e32 v3, 0
	s_waitcnt lgkmcnt(0)
	s_barrier
	buffer_wbinvl1_vol
	s_and_saveexec_b64 s[18:19], s[10:11]
	s_cbranch_execz .LBB65_761
; %bb.756:
	v_lshlrev_b32_e32 v18, 3, v9
	v_lshlrev_b32_e32 v19, 9, v10
	ds_read_b64 v[3:4], v18 offset:10368
	ds_read_b64 v[20:21], v19 offset:10400
	v_cmp_gt_u32_e64 s[16:17], 12, v8
	s_waitcnt lgkmcnt(0)
	v_mul_f32_e32 v22, v21, v4
	v_mul_f32_e32 v4, v20, v4
	v_fma_f32 v20, v20, v3, -v22
	v_fmac_f32_e32 v4, v21, v3
	v_add_f32_e32 v3, 0, v20
	v_add_f32_e32 v4, 0, v4
	s_and_saveexec_b64 s[20:21], s[16:17]
	s_cbranch_execnz .LBB65_1150
; %bb.757:
	s_or_b64 exec, exec, s[20:21]
	v_cmp_gt_u32_e64 s[16:17], 8, v8
	s_and_saveexec_b64 s[20:21], s[16:17]
	s_cbranch_execnz .LBB65_1151
.LBB65_758:
	s_or_b64 exec, exec, s[20:21]
	v_cmp_gt_u32_e64 s[16:17], 4, v8
	s_and_saveexec_b64 s[20:21], s[16:17]
	s_cbranch_execz .LBB65_760
.LBB65_759:
	v_lshlrev_b32_e32 v18, 3, v0
	v_mov_b32_e32 v20, 0
	ds_read_b64 v[18:19], v18 offset:11904
	ds_read_b64 v[20:21], v20 offset:11960
	s_waitcnt lgkmcnt(0)
	v_mul_f32_e32 v22, v21, v19
	v_mul_f32_e32 v19, v20, v19
	v_fma_f32 v20, v20, v18, -v22
	v_fmac_f32_e32 v19, v21, v18
	v_add_f32_e32 v3, v3, v20
	v_add_f32_e32 v4, v4, v19
.LBB65_760:
	s_or_b64 exec, exec, s[20:21]
.LBB65_761:
	s_or_b64 exec, exec, s[18:19]
	s_and_saveexec_b64 s[16:17], s[44:45]
	s_cbranch_execz .LBB65_763
; %bb.762:
	v_mov_b32_e32 v18, 0
	ds_read_b64 v[18:19], v18 offset:9880
	s_waitcnt lgkmcnt(0)
	v_mul_f32_e32 v20, v4, v19
	v_mul_f32_e32 v21, v3, v19
	v_fma_f32 v3, v3, v18, -v20
	v_fmac_f32_e32 v21, v4, v18
	v_xor_b32_e32 v18, 0x80000000, v3
	v_xor_b32_e32 v19, 0x80000000, v21
	v_mov_b32_e32 v4, v21
	ds_write_b64 v11, v[18:19]
.LBB65_763:
	s_or_b64 exec, exec, s[16:17]
	s_waitcnt lgkmcnt(0)
	s_barrier
	s_and_saveexec_b64 s[16:17], s[46:47]
	s_cbranch_execz .LBB65_765
; %bb.764:
	v_lshlrev_b32_e32 v18, 3, v9
	ds_read_b64 v[18:19], v18 offset:9856
	ds_read_b64 v[20:21], v11
	s_waitcnt lgkmcnt(0)
	v_mul_f32_e32 v22, v21, v19
	v_mul_f32_e32 v19, v20, v19
	v_fma_f32 v20, v20, v18, -v22
	v_fmac_f32_e32 v19, v21, v18
	v_sub_f32_e32 v3, v3, v20
	v_sub_f32_e32 v4, v4, v19
.LBB65_765:
	s_or_b64 exec, exec, s[16:17]
	s_barrier
	s_and_saveexec_b64 s[16:17], s[48:49]
	s_cbranch_execz .LBB65_767
; %bb.766:
	v_mov_b32_e32 v18, 0
	ds_read_b64 v[18:19], v18 offset:9360
	s_waitcnt lgkmcnt(0)
	v_mul_f32_e32 v20, v4, v19
	v_mul_f32_e32 v21, v3, v19
	v_fma_f32 v3, v3, v18, -v20
	v_fmac_f32_e32 v21, v4, v18
	v_xor_b32_e32 v18, 0x80000000, v3
	v_xor_b32_e32 v19, 0x80000000, v21
	v_mov_b32_e32 v4, v21
	ds_write_b64 v11, v[18:19]
.LBB65_767:
	s_or_b64 exec, exec, s[16:17]
	s_waitcnt lgkmcnt(0)
	s_barrier
	s_and_saveexec_b64 s[16:17], s[50:51]
	s_cbranch_execz .LBB65_769
; %bb.768:
	v_lshlrev_b32_e32 v18, 3, v9
	ds_read_b64 v[18:19], v18 offset:9344
	ds_read_b64 v[20:21], v11
	s_waitcnt lgkmcnt(0)
	v_mul_f32_e32 v22, v21, v19
	v_mul_f32_e32 v19, v20, v19
	v_fma_f32 v20, v20, v18, -v22
	v_fmac_f32_e32 v19, v21, v18
	v_sub_f32_e32 v3, v3, v20
	v_sub_f32_e32 v4, v4, v19
.LBB65_769:
	s_or_b64 exec, exec, s[16:17]
	s_barrier
	s_and_saveexec_b64 s[16:17], s[52:53]
	s_cbranch_execz .LBB65_771
; %bb.770:
	v_mov_b32_e32 v18, 0
	ds_read_b64 v[18:19], v18 offset:8840
	s_waitcnt lgkmcnt(0)
	v_mul_f32_e32 v20, v4, v19
	v_mul_f32_e32 v21, v3, v19
	v_fma_f32 v3, v3, v18, -v20
	v_fmac_f32_e32 v21, v4, v18
	v_xor_b32_e32 v18, 0x80000000, v3
	v_xor_b32_e32 v19, 0x80000000, v21
	v_mov_b32_e32 v4, v21
	ds_write_b64 v11, v[18:19]
.LBB65_771:
	s_or_b64 exec, exec, s[16:17]
	s_waitcnt lgkmcnt(0)
	s_barrier
	s_and_saveexec_b64 s[16:17], s[42:43]
	s_cbranch_execz .LBB65_773
; %bb.772:
	v_mov_b32_e32 v18, 0
	ds_read_b64 v[18:19], v18 offset:8832
	ds_read_b64 v[20:21], v11
	s_waitcnt lgkmcnt(0)
	v_mul_f32_e32 v22, v21, v19
	v_mul_f32_e32 v19, v20, v19
	v_fma_f32 v20, v20, v18, -v22
	v_fmac_f32_e32 v19, v21, v18
	v_sub_f32_e32 v3, v3, v20
	v_sub_f32_e32 v4, v4, v19
.LBB65_773:
	s_or_b64 exec, exec, s[16:17]
	s_barrier
	s_and_saveexec_b64 s[16:17], s[42:43]
	s_cbranch_execz .LBB65_775
; %bb.774:
	v_mov_b32_e32 v18, 0
	ds_read_b64 v[18:19], v18 offset:8320
	s_waitcnt lgkmcnt(0)
	v_mul_f32_e32 v20, v4, v19
	v_mul_f32_e32 v21, v3, v19
	v_fma_f32 v3, v3, v18, -v20
	v_fmac_f32_e32 v21, v4, v18
	v_xor_b32_e32 v18, 0x80000000, v3
	v_xor_b32_e32 v19, 0x80000000, v21
	v_mov_b32_e32 v4, v21
	ds_write_b64 v11, v[18:19]
.LBB65_775:
	s_or_b64 exec, exec, s[16:17]
	s_waitcnt lgkmcnt(0)
	s_barrier
	s_barrier
	s_and_saveexec_b64 s[16:17], s[10:11]
; %bb.776:
	v_lshlrev_b32_e32 v18, 3, v9
	v_lshl_or_b32 v18, v10, 9, v18
	ds_write_b64 v18, v[3:4] offset:10368
; %bb.777:
	s_or_b64 exec, exec, s[16:17]
	s_waitcnt lgkmcnt(0)
	s_barrier
	s_barrier
	s_and_saveexec_b64 s[16:17], s[54:55]
	s_cbranch_execz .LBB65_779
; %bb.778:
	v_lshlrev_b32_e32 v18, 9, v0
	ds_read_b64 v[3:4], v18 offset:10368
	s_movk_i32 s18, 0xfe08
	v_mad_i32_i24 v19, v0, s18, v18
	s_waitcnt lgkmcnt(0)
	ds_write_b64 v19, v[3:4] offset:8352
	ds_read_b64 v[3:4], v18 offset:10376
	s_waitcnt lgkmcnt(0)
	ds_write_b64 v19, v[3:4] offset:8864
	ds_read_b64 v[3:4], v18 offset:10384
	;; [unrolled: 3-line block ×3, first 2 shown]
	s_waitcnt lgkmcnt(0)
	ds_write_b64 v19, v[3:4] offset:9888
.LBB65_779:
	s_or_b64 exec, exec, s[16:17]
	s_waitcnt lgkmcnt(0)
	s_barrier
	s_and_saveexec_b64 s[16:17], vcc
	s_cbranch_execz .LBB65_781
; %bb.780:
	s_movk_i32 s18, 0x90
	v_mov_b32_e32 v3, 0
	v_add_u32_e64 v18, s18, 0
	ds_read_b64 v[3:4], v3 offset:9880
	ds_read2st64_b64 v[18:21], v18 offset0:18 offset1:19
	s_movk_i32 s18, 0x2000
	s_waitcnt lgkmcnt(0)
	v_mul_f32_e32 v22, v4, v19
	v_mul_f32_e32 v19, v3, v19
	v_fma_f32 v22, v3, v18, -v22
	v_fmac_f32_e32 v19, v4, v18
	v_mul_f32_e32 v3, v19, v21
	v_mul_f32_e32 v4, v22, v21
	v_fma_f32 v3, v22, v20, -v3
	v_fmac_f32_e32 v4, v19, v20
	v_add_u32_e64 v18, s18, 0
	ds_write2_b64 v18, v[3:4], v[3:4] offset0:147 offset1:210
.LBB65_781:
	s_or_b64 exec, exec, s[16:17]
	v_mov_b32_e32 v3, 0
	v_mov_b32_e32 v4, 0
	s_waitcnt lgkmcnt(0)
	s_barrier
	buffer_wbinvl1_vol
	s_and_saveexec_b64 s[18:19], s[22:23]
	s_cbranch_execz .LBB65_785
; %bb.782:
	v_lshlrev_b32_e32 v3, 3, v5
	v_lshlrev_b32_e32 v18, 9, v6
	ds_read_b64 v[3:4], v3 offset:9344
	ds_read_b64 v[18:19], v18 offset:9360
	v_cmp_gt_u32_e64 s[16:17], 2, v8
	s_waitcnt lgkmcnt(0)
	v_mul_f32_e32 v20, v19, v4
	v_mul_f32_e32 v4, v18, v4
	v_fma_f32 v18, v18, v3, -v20
	v_fmac_f32_e32 v4, v19, v3
	v_add_f32_e32 v3, 0, v18
	v_add_f32_e32 v4, 0, v4
	s_and_saveexec_b64 s[20:21], s[16:17]
	s_cbranch_execz .LBB65_784
; %bb.783:
	v_lshlrev_b32_e32 v18, 3, v0
	v_mov_b32_e32 v20, 0
	ds_read_b64 v[18:19], v18 offset:9856
	ds_read_b64 v[20:21], v20 offset:9880
	s_waitcnt lgkmcnt(0)
	v_mul_f32_e32 v22, v21, v19
	v_mul_f32_e32 v19, v20, v19
	v_fma_f32 v20, v20, v18, -v22
	v_fmac_f32_e32 v19, v21, v18
	v_add_f32_e32 v3, v3, v20
	v_add_f32_e32 v4, v4, v19
.LBB65_784:
	s_or_b64 exec, exec, s[20:21]
.LBB65_785:
	s_or_b64 exec, exec, s[18:19]
	s_and_saveexec_b64 s[16:17], s[38:39]
	s_cbranch_execz .LBB65_787
; %bb.786:
	v_mov_b32_e32 v18, 0
	ds_read_b64 v[18:19], v18 offset:8840
	s_waitcnt lgkmcnt(0)
	v_mul_f32_e32 v20, v4, v19
	v_mul_f32_e32 v21, v3, v19
	v_fma_f32 v3, v3, v18, -v20
	v_fmac_f32_e32 v21, v4, v18
	v_xor_b32_e32 v18, 0x80000000, v3
	v_xor_b32_e32 v19, 0x80000000, v21
	v_mov_b32_e32 v4, v21
	ds_write_b64 v7, v[18:19]
.LBB65_787:
	s_or_b64 exec, exec, s[16:17]
	s_waitcnt lgkmcnt(0)
	s_barrier
	s_and_saveexec_b64 s[16:17], s[36:37]
	s_cbranch_execz .LBB65_789
; %bb.788:
	v_mov_b32_e32 v18, 0
	ds_read_b64 v[18:19], v18 offset:8832
	ds_read_b64 v[20:21], v7
	s_waitcnt lgkmcnt(0)
	v_mul_f32_e32 v22, v21, v19
	v_mul_f32_e32 v19, v20, v19
	v_fma_f32 v20, v20, v18, -v22
	v_fmac_f32_e32 v19, v21, v18
	v_sub_f32_e32 v3, v3, v20
	v_sub_f32_e32 v4, v4, v19
.LBB65_789:
	s_or_b64 exec, exec, s[16:17]
	s_barrier
	s_and_saveexec_b64 s[16:17], s[36:37]
	s_cbranch_execz .LBB65_791
; %bb.790:
	v_mov_b32_e32 v18, 0
	ds_read_b64 v[18:19], v18 offset:8320
	s_waitcnt lgkmcnt(0)
	v_mul_f32_e32 v20, v4, v19
	v_mul_f32_e32 v21, v3, v19
	v_fma_f32 v3, v3, v18, -v20
	v_fmac_f32_e32 v21, v4, v18
	v_xor_b32_e32 v18, 0x80000000, v3
	v_xor_b32_e32 v19, 0x80000000, v21
	v_mov_b32_e32 v4, v21
	ds_write_b64 v7, v[18:19]
.LBB65_791:
	s_or_b64 exec, exec, s[16:17]
	s_waitcnt lgkmcnt(0)
	s_barrier
	s_barrier
	s_and_saveexec_b64 s[16:17], s[22:23]
; %bb.792:
	v_lshlrev_b32_e32 v18, 3, v5
	v_lshl_or_b32 v18, v6, 9, v18
	ds_write_b64 v18, v[3:4] offset:9344
; %bb.793:
	s_or_b64 exec, exec, s[16:17]
	s_waitcnt lgkmcnt(0)
	s_barrier
	s_barrier
	s_and_saveexec_b64 s[16:17], s[40:41]
	s_cbranch_execz .LBB65_795
; %bb.794:
	v_lshlrev_b32_e32 v18, 3, v0
	s_movk_i32 s18, 0x1f8
	v_mad_u32_u24 v19, v0, s18, v18
	ds_read_b64 v[3:4], v19 offset:9344
	s_waitcnt lgkmcnt(0)
	ds_write_b64 v18, v[3:4] offset:8336
	ds_read_b64 v[3:4], v19 offset:9352
	s_waitcnt lgkmcnt(0)
	ds_write_b64 v18, v[3:4] offset:8848
.LBB65_795:
	s_or_b64 exec, exec, s[16:17]
	s_waitcnt lgkmcnt(0)
	s_barrier
	s_and_saveexec_b64 s[16:17], vcc
	s_cbranch_execz .LBB65_797
; %bb.796:
	s_movk_i32 s18, 0x80
	v_mov_b32_e32 v3, 0
	v_add_u32_e64 v18, s18, 0
	ds_read_b64 v[3:4], v3 offset:8840
	ds_read2st64_b64 v[18:21], v18 offset0:16 offset1:17
	s_movk_i32 s18, 0x2000
	s_waitcnt lgkmcnt(0)
	v_mul_f32_e32 v22, v4, v19
	v_mul_f32_e32 v19, v3, v19
	v_fma_f32 v22, v3, v18, -v22
	v_fmac_f32_e32 v19, v4, v18
	v_mul_f32_e32 v3, v19, v21
	v_mul_f32_e32 v4, v22, v21
	v_fma_f32 v3, v22, v20, -v3
	v_fmac_f32_e32 v4, v19, v20
	v_add_u32_e64 v18, s18, 0
	ds_write2_b64 v18, v[3:4], v[3:4] offset0:17 offset1:80
.LBB65_797:
	s_or_b64 exec, exec, s[16:17]
	v_mov_b32_e32 v4, 0
	v_mov_b32_e32 v3, 0
	s_waitcnt lgkmcnt(0)
	s_barrier
	buffer_wbinvl1_vol
	s_and_saveexec_b64 s[18:19], s[14:15]
	s_cbranch_execz .LBB65_825
; %bb.798:
	v_lshlrev_b32_e32 v18, 3, v15
	v_lshlrev_b32_e32 v19, 9, v16
	ds_read_b64 v[3:4], v18 offset:8192
	ds_read_b64 v[20:21], v19 offset:8320
	s_movk_i32 s16, 0xf0
	v_cmp_gt_u32_e64 s[16:17], s16, v8
	s_waitcnt lgkmcnt(0)
	v_mul_f32_e32 v22, v21, v4
	v_mul_f32_e32 v4, v20, v4
	v_fma_f32 v20, v20, v3, -v22
	v_fmac_f32_e32 v4, v21, v3
	v_add_f32_e32 v3, 0, v20
	v_add_f32_e32 v4, 0, v4
	s_and_saveexec_b64 s[20:21], s[16:17]
	s_cbranch_execz .LBB65_800
; %bb.799:
	ds_read_b64 v[20:21], v18 offset:8704
	ds_read_b64 v[22:23], v19 offset:8328
	s_waitcnt lgkmcnt(0)
	v_mul_f32_e32 v24, v23, v21
	v_mul_f32_e32 v21, v22, v21
	v_fma_f32 v22, v22, v20, -v24
	v_fmac_f32_e32 v21, v23, v20
	v_add_f32_e32 v3, v3, v22
	v_add_f32_e32 v4, v4, v21
.LBB65_800:
	s_or_b64 exec, exec, s[20:21]
	s_movk_i32 s16, 0xe0
	v_cmp_gt_u32_e64 s[16:17], s16, v8
	s_and_saveexec_b64 s[20:21], s[16:17]
	s_cbranch_execz .LBB65_802
; %bb.801:
	ds_read_b64 v[20:21], v18 offset:9216
	ds_read_b64 v[22:23], v19 offset:8336
	s_waitcnt lgkmcnt(0)
	v_mul_f32_e32 v24, v23, v21
	v_mul_f32_e32 v21, v22, v21
	v_fma_f32 v22, v22, v20, -v24
	v_fmac_f32_e32 v21, v23, v20
	v_add_f32_e32 v3, v3, v22
	v_add_f32_e32 v4, v4, v21
.LBB65_802:
	s_or_b64 exec, exec, s[20:21]
	s_movk_i32 s16, 0xd0
	v_cmp_gt_u32_e64 s[16:17], s16, v8
	;; [unrolled: 16-line block ×10, first 2 shown]
	s_and_saveexec_b64 s[20:21], s[16:17]
	s_cbranch_execnz .LBB65_1152
; %bb.819:
	s_or_b64 exec, exec, s[20:21]
	s_and_saveexec_b64 s[16:17], s[12:13]
	s_cbranch_execnz .LBB65_1153
.LBB65_820:
	s_or_b64 exec, exec, s[16:17]
	v_cmp_gt_u32_e64 s[16:17], 48, v8
	s_and_saveexec_b64 s[20:21], s[16:17]
	s_cbranch_execnz .LBB65_1154
.LBB65_821:
	s_or_b64 exec, exec, s[20:21]
	v_cmp_gt_u32_e64 s[16:17], 32, v8
	s_and_saveexec_b64 s[20:21], s[16:17]
	s_cbranch_execnz .LBB65_1155
.LBB65_822:
	s_or_b64 exec, exec, s[20:21]
	v_cmp_gt_u32_e64 s[16:17], 16, v8
	s_and_saveexec_b64 s[20:21], s[16:17]
	s_cbranch_execz .LBB65_824
.LBB65_823:
	v_lshlrev_b32_e32 v18, 3, v0
	v_mov_b32_e32 v20, 0
	ds_read_b64 v[18:19], v18 offset:15872
	ds_read_b64 v[20:21], v20 offset:16120
	s_waitcnt lgkmcnt(0)
	v_mul_f32_e32 v22, v21, v19
	v_mul_f32_e32 v19, v20, v19
	v_fma_f32 v20, v20, v18, -v22
	v_fmac_f32_e32 v19, v21, v18
	v_add_f32_e32 v3, v3, v20
	v_add_f32_e32 v4, v4, v19
.LBB65_824:
	s_or_b64 exec, exec, s[20:21]
.LBB65_825:
	s_or_b64 exec, exec, s[18:19]
	s_mov_b64 s[16:17], exec
	v_readlane_b32 s18, v30, 3
	v_readlane_b32 s19, v30, 4
	s_and_b64 s[18:19], s[16:17], s[18:19]
	s_mov_b64 exec, s[18:19]
	s_cbranch_execz .LBB65_827
; %bb.826:
	v_mov_b32_e32 v18, 0
	ds_read_b64 v[18:19], v18 offset:7800
	s_waitcnt lgkmcnt(0)
	v_mul_f32_e32 v20, v4, v19
	v_mul_f32_e32 v21, v3, v19
	v_fma_f32 v3, v3, v18, -v20
	v_fmac_f32_e32 v21, v4, v18
	v_xor_b32_e32 v18, 0x80000000, v3
	v_xor_b32_e32 v19, 0x80000000, v21
	v_mov_b32_e32 v4, v21
	ds_write_b64 v17, v[18:19]
.LBB65_827:
	s_or_b64 exec, exec, s[16:17]
	s_waitcnt lgkmcnt(0)
	s_barrier
	s_mov_b64 s[16:17], exec
	v_readlane_b32 s18, v30, 5
	v_readlane_b32 s19, v30, 6
	s_and_b64 s[18:19], s[16:17], s[18:19]
	s_mov_b64 exec, s[18:19]
	s_cbranch_execz .LBB65_829
; %bb.828:
	v_lshlrev_b32_e32 v18, 3, v15
	ds_read_b64 v[18:19], v18 offset:7680
	ds_read_b64 v[20:21], v17
	s_waitcnt lgkmcnt(0)
	v_mul_f32_e32 v22, v21, v19
	v_mul_f32_e32 v19, v20, v19
	v_fma_f32 v20, v20, v18, -v22
	v_fmac_f32_e32 v19, v21, v18
	v_sub_f32_e32 v3, v3, v20
	v_sub_f32_e32 v4, v4, v19
.LBB65_829:
	s_or_b64 exec, exec, s[16:17]
	s_barrier
	s_mov_b64 s[16:17], exec
	v_readlane_b32 s18, v30, 7
	v_readlane_b32 s19, v30, 8
	s_and_b64 s[18:19], s[16:17], s[18:19]
	s_mov_b64 exec, s[18:19]
	s_cbranch_execz .LBB65_831
; %bb.830:
	v_mov_b32_e32 v18, 0
	ds_read_b64 v[18:19], v18 offset:7280
	s_waitcnt lgkmcnt(0)
	v_mul_f32_e32 v20, v4, v19
	v_mul_f32_e32 v21, v3, v19
	v_fma_f32 v3, v3, v18, -v20
	v_fmac_f32_e32 v21, v4, v18
	v_xor_b32_e32 v18, 0x80000000, v3
	v_xor_b32_e32 v19, 0x80000000, v21
	v_mov_b32_e32 v4, v21
	ds_write_b64 v17, v[18:19]
.LBB65_831:
	s_or_b64 exec, exec, s[16:17]
	s_waitcnt lgkmcnt(0)
	s_barrier
	s_mov_b64 s[16:17], exec
	v_readlane_b32 s18, v30, 9
	v_readlane_b32 s19, v30, 10
	s_and_b64 s[18:19], s[16:17], s[18:19]
	s_mov_b64 exec, s[18:19]
	s_cbranch_execz .LBB65_833
; %bb.832:
	v_lshlrev_b32_e32 v18, 3, v15
	ds_read_b64 v[18:19], v18 offset:7168
	ds_read_b64 v[20:21], v17
	s_waitcnt lgkmcnt(0)
	v_mul_f32_e32 v22, v21, v19
	v_mul_f32_e32 v19, v20, v19
	v_fma_f32 v20, v20, v18, -v22
	v_fmac_f32_e32 v19, v21, v18
	v_sub_f32_e32 v3, v3, v20
	v_sub_f32_e32 v4, v4, v19
.LBB65_833:
	s_or_b64 exec, exec, s[16:17]
	s_barrier
	;; [unrolled: 42-line block ×12, first 2 shown]
	s_and_saveexec_b64 s[16:17], s[6:7]
	s_cbranch_execz .LBB65_875
; %bb.874:
	v_mov_b32_e32 v18, 0
	ds_read_b64 v[18:19], v18 offset:1560
	s_waitcnt lgkmcnt(0)
	v_mul_f32_e32 v20, v4, v19
	v_mul_f32_e32 v21, v3, v19
	v_fma_f32 v3, v3, v18, -v20
	v_fmac_f32_e32 v21, v4, v18
	v_xor_b32_e32 v18, 0x80000000, v3
	v_xor_b32_e32 v19, 0x80000000, v21
	v_mov_b32_e32 v4, v21
	ds_write_b64 v17, v[18:19]
.LBB65_875:
	s_or_b64 exec, exec, s[16:17]
	s_waitcnt lgkmcnt(0)
	s_barrier
	s_mov_b64 s[6:7], exec
	v_readlane_b32 s16, v30, 51
	v_readlane_b32 s17, v30, 52
	s_and_b64 s[16:17], s[6:7], s[16:17]
	s_mov_b64 exec, s[16:17]
	s_cbranch_execz .LBB65_877
; %bb.876:
	v_lshlrev_b32_e32 v18, 3, v15
	ds_read_b64 v[18:19], v18 offset:1536
	ds_read_b64 v[20:21], v17
	s_waitcnt lgkmcnt(0)
	v_mul_f32_e32 v22, v21, v19
	v_mul_f32_e32 v19, v20, v19
	v_fma_f32 v20, v20, v18, -v22
	v_fmac_f32_e32 v19, v21, v18
	v_sub_f32_e32 v3, v3, v20
	v_sub_f32_e32 v4, v4, v19
.LBB65_877:
	s_or_b64 exec, exec, s[6:7]
	s_barrier
	s_mov_b64 s[6:7], exec
	v_readlane_b32 s16, v30, 53
	v_readlane_b32 s17, v30, 54
	s_and_b64 s[16:17], s[6:7], s[16:17]
	s_mov_b64 exec, s[16:17]
	s_cbranch_execz .LBB65_879
; %bb.878:
	v_mov_b32_e32 v18, 0
	ds_read_b64 v[18:19], v18 offset:1040
	s_waitcnt lgkmcnt(0)
	v_mul_f32_e32 v20, v4, v19
	v_mul_f32_e32 v21, v3, v19
	v_fma_f32 v3, v3, v18, -v20
	v_fmac_f32_e32 v21, v4, v18
	v_xor_b32_e32 v18, 0x80000000, v3
	v_xor_b32_e32 v19, 0x80000000, v21
	v_mov_b32_e32 v4, v21
	ds_write_b64 v17, v[18:19]
.LBB65_879:
	s_or_b64 exec, exec, s[6:7]
	s_waitcnt lgkmcnt(0)
	s_barrier
	s_and_saveexec_b64 s[6:7], s[88:89]
	s_cbranch_execz .LBB65_881
; %bb.880:
	v_lshlrev_b32_e32 v18, 3, v15
	ds_read_b64 v[18:19], v18 offset:1024
	ds_read_b64 v[20:21], v17
	s_waitcnt lgkmcnt(0)
	v_mul_f32_e32 v22, v21, v19
	v_mul_f32_e32 v19, v20, v19
	v_fma_f32 v20, v20, v18, -v22
	v_fmac_f32_e32 v19, v21, v18
	v_sub_f32_e32 v3, v3, v20
	v_sub_f32_e32 v4, v4, v19
.LBB65_881:
	s_or_b64 exec, exec, s[6:7]
	s_barrier
	s_and_saveexec_b64 s[6:7], s[92:93]
	s_cbranch_execz .LBB65_883
; %bb.882:
	v_mov_b32_e32 v18, 0
	ds_read_b64 v[18:19], v18 offset:520
	s_waitcnt lgkmcnt(0)
	v_mul_f32_e32 v20, v4, v19
	v_mul_f32_e32 v21, v3, v19
	v_fma_f32 v3, v3, v18, -v20
	v_fmac_f32_e32 v21, v4, v18
	v_xor_b32_e32 v18, 0x80000000, v3
	v_xor_b32_e32 v19, 0x80000000, v21
	v_mov_b32_e32 v4, v21
	ds_write_b64 v17, v[18:19]
.LBB65_883:
	s_or_b64 exec, exec, s[6:7]
	s_waitcnt lgkmcnt(0)
	s_barrier
	s_and_saveexec_b64 s[6:7], s[90:91]
	s_cbranch_execz .LBB65_885
; %bb.884:
	v_mov_b32_e32 v18, 0
	ds_read_b64 v[18:19], v18 offset:512
	ds_read_b64 v[20:21], v17
	s_waitcnt lgkmcnt(0)
	v_mul_f32_e32 v22, v21, v19
	v_mul_f32_e32 v19, v20, v19
	v_fma_f32 v20, v20, v18, -v22
	v_fmac_f32_e32 v19, v21, v18
	v_sub_f32_e32 v3, v3, v20
	v_sub_f32_e32 v4, v4, v19
.LBB65_885:
	s_or_b64 exec, exec, s[6:7]
	s_barrier
	s_and_saveexec_b64 s[6:7], s[90:91]
	s_cbranch_execz .LBB65_887
; %bb.886:
	v_mov_b32_e32 v18, 0
	ds_read_b64 v[18:19], v18
	s_waitcnt lgkmcnt(0)
	v_mul_f32_e32 v20, v4, v19
	v_mul_f32_e32 v21, v3, v19
	v_fma_f32 v3, v3, v18, -v20
	v_fmac_f32_e32 v21, v4, v18
	v_xor_b32_e32 v18, 0x80000000, v3
	v_xor_b32_e32 v19, 0x80000000, v21
	v_mov_b32_e32 v4, v21
	ds_write_b64 v17, v[18:19]
.LBB65_887:
	s_or_b64 exec, exec, s[6:7]
	s_waitcnt lgkmcnt(0)
	s_barrier
	s_barrier
	s_and_saveexec_b64 s[6:7], s[14:15]
; %bb.888:
	v_lshlrev_b32_e32 v15, 3, v15
	v_lshl_or_b32 v15, v16, 9, v15
	ds_write_b64 v15, v[3:4] offset:8192
; %bb.889:
	s_or_b64 exec, exec, s[6:7]
	s_waitcnt lgkmcnt(0)
	s_barrier
	s_barrier
	s_and_saveexec_b64 s[6:7], s[94:95]
	s_cbranch_execz .LBB65_891
; %bb.890:
	v_lshlrev_b32_e32 v15, 9, v0
	ds_read_b64 v[3:4], v15 offset:8192
	s_movk_i32 s14, 0xfe08
	v_mad_i32_i24 v16, v0, s14, v15
	s_waitcnt lgkmcnt(0)
	ds_write_b64 v16, v[3:4] offset:128
	ds_read_b64 v[3:4], v15 offset:8200
	s_waitcnt lgkmcnt(0)
	ds_write_b64 v16, v[3:4] offset:640
	ds_read_b64 v[3:4], v15 offset:8208
	;; [unrolled: 3-line block ×15, first 2 shown]
	s_waitcnt lgkmcnt(0)
	ds_write_b64 v16, v[3:4] offset:7808
.LBB65_891:
	s_or_b64 exec, exec, s[6:7]
	s_waitcnt lgkmcnt(0)
	s_barrier
	s_and_saveexec_b64 s[6:7], vcc
	s_cbranch_execz .LBB65_893
; %bb.892:
	s_movk_i32 s14, 0x70
	v_mov_b32_e32 v3, 0
	v_add_u32_e64 v15, s14, 0
	ds_read_b64 v[3:4], v3 offset:7800
	ds_read2st64_b64 v[15:18], v15 offset0:14 offset1:15
	s_movk_i32 s14, 0x1800
	s_waitcnt lgkmcnt(0)
	v_mul_f32_e32 v19, v4, v16
	v_mul_f32_e32 v16, v3, v16
	v_fma_f32 v19, v3, v15, -v19
	v_fmac_f32_e32 v16, v4, v15
	v_mul_f32_e32 v3, v16, v18
	v_mul_f32_e32 v4, v19, v18
	v_fma_f32 v3, v19, v17, -v3
	v_fmac_f32_e32 v4, v16, v17
	v_add_u32_e64 v15, s14, 0
	ds_write2_b64 v15, v[3:4], v[3:4] offset0:143 offset1:206
.LBB65_893:
	s_or_b64 exec, exec, s[6:7]
	v_mov_b32_e32 v3, 0
	v_mov_b32_e32 v4, 0
	s_waitcnt lgkmcnt(0)
	s_barrier
	buffer_wbinvl1_vol
	s_and_saveexec_b64 s[6:7], s[22:23]
	s_cbranch_execz .LBB65_897
; %bb.894:
	v_lshlrev_b32_e32 v3, 3, v5
	v_lshlrev_b32_e32 v15, 9, v6
	ds_read_b64 v[3:4], v3 offset:7264
	ds_read_b64 v[15:16], v15 offset:7280
	v_cmp_gt_u32_e64 s[14:15], 2, v8
	s_waitcnt lgkmcnt(0)
	v_mul_f32_e32 v17, v16, v4
	v_mul_f32_e32 v4, v15, v4
	v_fma_f32 v15, v15, v3, -v17
	v_fmac_f32_e32 v4, v16, v3
	v_add_f32_e32 v3, 0, v15
	v_add_f32_e32 v4, 0, v4
	s_and_saveexec_b64 s[16:17], s[14:15]
	s_cbranch_execz .LBB65_896
; %bb.895:
	v_lshlrev_b32_e32 v15, 3, v0
	v_mov_b32_e32 v17, 0
	ds_read_b64 v[15:16], v15 offset:7776
	ds_read_b64 v[17:18], v17 offset:7800
	s_waitcnt lgkmcnt(0)
	v_mul_f32_e32 v19, v18, v16
	v_mul_f32_e32 v16, v17, v16
	v_fma_f32 v17, v17, v15, -v19
	v_fmac_f32_e32 v16, v18, v15
	v_add_f32_e32 v3, v3, v17
	v_add_f32_e32 v4, v4, v16
.LBB65_896:
	s_or_b64 exec, exec, s[16:17]
.LBB65_897:
	s_or_b64 exec, exec, s[6:7]
	s_and_saveexec_b64 s[6:7], s[38:39]
	s_cbranch_execz .LBB65_899
; %bb.898:
	v_mov_b32_e32 v15, 0
	ds_read_b64 v[15:16], v15 offset:6760
	s_waitcnt lgkmcnt(0)
	v_mul_f32_e32 v17, v4, v16
	v_mul_f32_e32 v18, v3, v16
	v_fma_f32 v3, v3, v15, -v17
	v_fmac_f32_e32 v18, v4, v15
	v_xor_b32_e32 v15, 0x80000000, v3
	v_xor_b32_e32 v16, 0x80000000, v18
	v_mov_b32_e32 v4, v18
	ds_write_b64 v7, v[15:16]
.LBB65_899:
	s_or_b64 exec, exec, s[6:7]
	s_waitcnt lgkmcnt(0)
	s_barrier
	s_and_saveexec_b64 s[6:7], s[36:37]
	s_cbranch_execz .LBB65_901
; %bb.900:
	v_mov_b32_e32 v15, 0
	ds_read_b64 v[15:16], v15 offset:6752
	ds_read_b64 v[17:18], v7
	s_waitcnt lgkmcnt(0)
	v_mul_f32_e32 v19, v18, v16
	v_mul_f32_e32 v16, v17, v16
	v_fma_f32 v17, v17, v15, -v19
	v_fmac_f32_e32 v16, v18, v15
	v_sub_f32_e32 v3, v3, v17
	v_sub_f32_e32 v4, v4, v16
.LBB65_901:
	s_or_b64 exec, exec, s[6:7]
	s_barrier
	s_and_saveexec_b64 s[6:7], s[36:37]
	s_cbranch_execz .LBB65_903
; %bb.902:
	v_mov_b32_e32 v15, 0
	ds_read_b64 v[15:16], v15 offset:6240
	s_waitcnt lgkmcnt(0)
	v_mul_f32_e32 v17, v4, v16
	v_mul_f32_e32 v18, v3, v16
	v_fma_f32 v3, v3, v15, -v17
	v_fmac_f32_e32 v18, v4, v15
	v_xor_b32_e32 v15, 0x80000000, v3
	v_xor_b32_e32 v16, 0x80000000, v18
	v_mov_b32_e32 v4, v18
	ds_write_b64 v7, v[15:16]
.LBB65_903:
	s_or_b64 exec, exec, s[6:7]
	s_waitcnt lgkmcnt(0)
	s_barrier
	s_barrier
	s_and_saveexec_b64 s[6:7], s[22:23]
; %bb.904:
	v_lshlrev_b32_e32 v15, 3, v5
	v_lshl_or_b32 v15, v6, 9, v15
	ds_write_b64 v15, v[3:4] offset:7264
; %bb.905:
	s_or_b64 exec, exec, s[6:7]
	s_waitcnt lgkmcnt(0)
	s_barrier
	s_barrier
	s_and_saveexec_b64 s[6:7], s[40:41]
	s_cbranch_execz .LBB65_907
; %bb.906:
	v_lshlrev_b32_e32 v15, 3, v0
	s_movk_i32 s14, 0x1f8
	v_mad_u32_u24 v16, v0, s14, v15
	ds_read_b64 v[3:4], v16 offset:7264
	s_waitcnt lgkmcnt(0)
	ds_write_b64 v15, v[3:4] offset:6256
	ds_read_b64 v[3:4], v16 offset:7272
	s_waitcnt lgkmcnt(0)
	ds_write_b64 v15, v[3:4] offset:6768
.LBB65_907:
	s_or_b64 exec, exec, s[6:7]
	s_waitcnt lgkmcnt(0)
	s_barrier
	s_and_saveexec_b64 s[6:7], vcc
	s_cbranch_execz .LBB65_909
; %bb.908:
	s_movk_i32 s14, 0x60
	v_mov_b32_e32 v3, 0
	v_add_u32_e64 v15, s14, 0
	ds_read_b64 v[3:4], v3 offset:6760
	ds_read2st64_b64 v[15:18], v15 offset0:12 offset1:13
	s_movk_i32 s14, 0x1800
	s_waitcnt lgkmcnt(0)
	v_mul_f32_e32 v19, v4, v16
	v_mul_f32_e32 v16, v3, v16
	v_fma_f32 v19, v3, v15, -v19
	v_fmac_f32_e32 v16, v4, v15
	v_mul_f32_e32 v3, v16, v18
	v_mul_f32_e32 v4, v19, v18
	v_fma_f32 v3, v19, v17, -v3
	v_fmac_f32_e32 v4, v16, v17
	v_add_u32_e64 v15, s14, 0
	ds_write2_b64 v15, v[3:4], v[3:4] offset0:13 offset1:76
.LBB65_909:
	s_or_b64 exec, exec, s[6:7]
	v_mov_b32_e32 v4, 0
	v_mov_b32_e32 v3, 0
	s_waitcnt lgkmcnt(0)
	s_barrier
	buffer_wbinvl1_vol
	s_and_saveexec_b64 s[6:7], s[10:11]
	s_cbranch_execz .LBB65_915
; %bb.910:
	v_lshlrev_b32_e32 v15, 3, v9
	v_lshlrev_b32_e32 v16, 9, v10
	ds_read_b64 v[3:4], v15 offset:6208
	ds_read_b64 v[17:18], v16 offset:6240
	v_cmp_gt_u32_e64 s[14:15], 12, v8
	s_waitcnt lgkmcnt(0)
	v_mul_f32_e32 v19, v18, v4
	v_mul_f32_e32 v4, v17, v4
	v_fma_f32 v17, v17, v3, -v19
	v_fmac_f32_e32 v4, v18, v3
	v_add_f32_e32 v3, 0, v17
	v_add_f32_e32 v4, 0, v4
	s_and_saveexec_b64 s[16:17], s[14:15]
	s_cbranch_execnz .LBB65_1156
; %bb.911:
	s_or_b64 exec, exec, s[16:17]
	v_cmp_gt_u32_e64 s[14:15], 8, v8
	s_and_saveexec_b64 s[16:17], s[14:15]
	s_cbranch_execnz .LBB65_1157
.LBB65_912:
	s_or_b64 exec, exec, s[16:17]
	v_cmp_gt_u32_e64 s[14:15], 4, v8
	s_and_saveexec_b64 s[16:17], s[14:15]
	s_cbranch_execz .LBB65_914
.LBB65_913:
	v_lshlrev_b32_e32 v15, 3, v0
	v_mov_b32_e32 v17, 0
	ds_read_b64 v[15:16], v15 offset:7744
	ds_read_b64 v[17:18], v17 offset:7800
	s_waitcnt lgkmcnt(0)
	v_mul_f32_e32 v19, v18, v16
	v_mul_f32_e32 v16, v17, v16
	v_fma_f32 v17, v17, v15, -v19
	v_fmac_f32_e32 v16, v18, v15
	v_add_f32_e32 v3, v3, v17
	v_add_f32_e32 v4, v4, v16
.LBB65_914:
	s_or_b64 exec, exec, s[16:17]
.LBB65_915:
	s_or_b64 exec, exec, s[6:7]
	s_and_saveexec_b64 s[6:7], s[44:45]
	s_cbranch_execz .LBB65_917
; %bb.916:
	v_mov_b32_e32 v15, 0
	ds_read_b64 v[15:16], v15 offset:5720
	s_waitcnt lgkmcnt(0)
	v_mul_f32_e32 v17, v4, v16
	v_mul_f32_e32 v18, v3, v16
	v_fma_f32 v3, v3, v15, -v17
	v_fmac_f32_e32 v18, v4, v15
	v_xor_b32_e32 v15, 0x80000000, v3
	v_xor_b32_e32 v16, 0x80000000, v18
	v_mov_b32_e32 v4, v18
	ds_write_b64 v11, v[15:16]
.LBB65_917:
	s_or_b64 exec, exec, s[6:7]
	s_waitcnt lgkmcnt(0)
	s_barrier
	s_and_saveexec_b64 s[6:7], s[46:47]
	s_cbranch_execz .LBB65_919
; %bb.918:
	v_lshlrev_b32_e32 v15, 3, v9
	ds_read_b64 v[15:16], v15 offset:5696
	ds_read_b64 v[17:18], v11
	s_waitcnt lgkmcnt(0)
	v_mul_f32_e32 v19, v18, v16
	v_mul_f32_e32 v16, v17, v16
	v_fma_f32 v17, v17, v15, -v19
	v_fmac_f32_e32 v16, v18, v15
	v_sub_f32_e32 v3, v3, v17
	v_sub_f32_e32 v4, v4, v16
.LBB65_919:
	s_or_b64 exec, exec, s[6:7]
	s_barrier
	s_and_saveexec_b64 s[6:7], s[48:49]
	s_cbranch_execz .LBB65_921
; %bb.920:
	v_mov_b32_e32 v15, 0
	ds_read_b64 v[15:16], v15 offset:5200
	s_waitcnt lgkmcnt(0)
	v_mul_f32_e32 v17, v4, v16
	v_mul_f32_e32 v18, v3, v16
	v_fma_f32 v3, v3, v15, -v17
	v_fmac_f32_e32 v18, v4, v15
	v_xor_b32_e32 v15, 0x80000000, v3
	v_xor_b32_e32 v16, 0x80000000, v18
	v_mov_b32_e32 v4, v18
	ds_write_b64 v11, v[15:16]
.LBB65_921:
	s_or_b64 exec, exec, s[6:7]
	s_waitcnt lgkmcnt(0)
	s_barrier
	s_and_saveexec_b64 s[6:7], s[50:51]
	s_cbranch_execz .LBB65_923
; %bb.922:
	v_lshlrev_b32_e32 v15, 3, v9
	ds_read_b64 v[15:16], v15 offset:5184
	ds_read_b64 v[17:18], v11
	s_waitcnt lgkmcnt(0)
	v_mul_f32_e32 v19, v18, v16
	v_mul_f32_e32 v16, v17, v16
	v_fma_f32 v17, v17, v15, -v19
	v_fmac_f32_e32 v16, v18, v15
	v_sub_f32_e32 v3, v3, v17
	v_sub_f32_e32 v4, v4, v16
.LBB65_923:
	s_or_b64 exec, exec, s[6:7]
	s_barrier
	s_and_saveexec_b64 s[6:7], s[52:53]
	s_cbranch_execz .LBB65_925
; %bb.924:
	v_mov_b32_e32 v15, 0
	ds_read_b64 v[15:16], v15 offset:4680
	s_waitcnt lgkmcnt(0)
	v_mul_f32_e32 v17, v4, v16
	v_mul_f32_e32 v18, v3, v16
	v_fma_f32 v3, v3, v15, -v17
	v_fmac_f32_e32 v18, v4, v15
	v_xor_b32_e32 v15, 0x80000000, v3
	v_xor_b32_e32 v16, 0x80000000, v18
	v_mov_b32_e32 v4, v18
	ds_write_b64 v11, v[15:16]
.LBB65_925:
	s_or_b64 exec, exec, s[6:7]
	s_waitcnt lgkmcnt(0)
	s_barrier
	s_and_saveexec_b64 s[6:7], s[42:43]
	s_cbranch_execz .LBB65_927
; %bb.926:
	v_mov_b32_e32 v15, 0
	ds_read_b64 v[15:16], v15 offset:4672
	ds_read_b64 v[17:18], v11
	s_waitcnt lgkmcnt(0)
	v_mul_f32_e32 v19, v18, v16
	v_mul_f32_e32 v16, v17, v16
	v_fma_f32 v17, v17, v15, -v19
	v_fmac_f32_e32 v16, v18, v15
	v_sub_f32_e32 v3, v3, v17
	v_sub_f32_e32 v4, v4, v16
.LBB65_927:
	s_or_b64 exec, exec, s[6:7]
	s_barrier
	s_and_saveexec_b64 s[6:7], s[42:43]
	s_cbranch_execz .LBB65_929
; %bb.928:
	v_mov_b32_e32 v15, 0
	ds_read_b64 v[15:16], v15 offset:4160
	s_waitcnt lgkmcnt(0)
	v_mul_f32_e32 v17, v4, v16
	v_mul_f32_e32 v18, v3, v16
	v_fma_f32 v3, v3, v15, -v17
	v_fmac_f32_e32 v18, v4, v15
	v_xor_b32_e32 v15, 0x80000000, v3
	v_xor_b32_e32 v16, 0x80000000, v18
	v_mov_b32_e32 v4, v18
	ds_write_b64 v11, v[15:16]
.LBB65_929:
	s_or_b64 exec, exec, s[6:7]
	s_waitcnt lgkmcnt(0)
	s_barrier
	s_barrier
	s_and_saveexec_b64 s[6:7], s[10:11]
; %bb.930:
	v_lshlrev_b32_e32 v15, 3, v9
	v_lshl_or_b32 v15, v10, 9, v15
	ds_write_b64 v15, v[3:4] offset:6208
; %bb.931:
	s_or_b64 exec, exec, s[6:7]
	s_waitcnt lgkmcnt(0)
	s_barrier
	s_barrier
	s_and_saveexec_b64 s[6:7], s[54:55]
	s_cbranch_execz .LBB65_933
; %bb.932:
	v_lshlrev_b32_e32 v15, 9, v0
	ds_read_b64 v[3:4], v15 offset:6208
	s_movk_i32 s14, 0xfe08
	v_mad_i32_i24 v16, v0, s14, v15
	s_waitcnt lgkmcnt(0)
	ds_write_b64 v16, v[3:4] offset:4192
	ds_read_b64 v[3:4], v15 offset:6216
	s_waitcnt lgkmcnt(0)
	ds_write_b64 v16, v[3:4] offset:4704
	ds_read_b64 v[3:4], v15 offset:6224
	;; [unrolled: 3-line block ×3, first 2 shown]
	s_waitcnt lgkmcnt(0)
	ds_write_b64 v16, v[3:4] offset:5728
.LBB65_933:
	s_or_b64 exec, exec, s[6:7]
	s_waitcnt lgkmcnt(0)
	s_barrier
	s_and_saveexec_b64 s[6:7], vcc
	s_cbranch_execz .LBB65_935
; %bb.934:
	s_movk_i32 s14, 0x50
	v_mov_b32_e32 v3, 0
	v_add_u32_e64 v15, s14, 0
	ds_read_b64 v[3:4], v3 offset:5720
	ds_read2st64_b64 v[15:18], v15 offset0:10 offset1:11
	s_movk_i32 s14, 0x1000
	s_waitcnt lgkmcnt(0)
	v_mul_f32_e32 v19, v4, v16
	v_mul_f32_e32 v16, v3, v16
	v_fma_f32 v19, v3, v15, -v19
	v_fmac_f32_e32 v16, v4, v15
	v_mul_f32_e32 v3, v16, v18
	v_mul_f32_e32 v4, v19, v18
	v_fma_f32 v3, v19, v17, -v3
	v_fmac_f32_e32 v4, v16, v17
	v_add_u32_e64 v15, s14, 0
	ds_write2_b64 v15, v[3:4], v[3:4] offset0:139 offset1:202
.LBB65_935:
	s_or_b64 exec, exec, s[6:7]
	v_mov_b32_e32 v3, 0
	v_mov_b32_e32 v4, 0
	s_waitcnt lgkmcnt(0)
	s_barrier
	buffer_wbinvl1_vol
	s_and_saveexec_b64 s[6:7], s[22:23]
	s_cbranch_execz .LBB65_939
; %bb.936:
	v_lshlrev_b32_e32 v3, 3, v5
	v_lshlrev_b32_e32 v15, 9, v6
	ds_read_b64 v[3:4], v3 offset:5184
	ds_read_b64 v[15:16], v15 offset:5200
	v_cmp_gt_u32_e64 s[14:15], 2, v8
	s_waitcnt lgkmcnt(0)
	v_mul_f32_e32 v17, v16, v4
	v_mul_f32_e32 v4, v15, v4
	v_fma_f32 v15, v15, v3, -v17
	v_fmac_f32_e32 v4, v16, v3
	v_add_f32_e32 v3, 0, v15
	v_add_f32_e32 v4, 0, v4
	s_and_saveexec_b64 s[16:17], s[14:15]
	s_cbranch_execz .LBB65_938
; %bb.937:
	v_lshlrev_b32_e32 v15, 3, v0
	v_mov_b32_e32 v17, 0
	ds_read_b64 v[15:16], v15 offset:5696
	ds_read_b64 v[17:18], v17 offset:5720
	s_waitcnt lgkmcnt(0)
	v_mul_f32_e32 v19, v18, v16
	v_mul_f32_e32 v16, v17, v16
	v_fma_f32 v17, v17, v15, -v19
	v_fmac_f32_e32 v16, v18, v15
	v_add_f32_e32 v3, v3, v17
	v_add_f32_e32 v4, v4, v16
.LBB65_938:
	s_or_b64 exec, exec, s[16:17]
.LBB65_939:
	s_or_b64 exec, exec, s[6:7]
	s_and_saveexec_b64 s[6:7], s[38:39]
	s_cbranch_execz .LBB65_941
; %bb.940:
	v_mov_b32_e32 v15, 0
	ds_read_b64 v[15:16], v15 offset:4680
	s_waitcnt lgkmcnt(0)
	v_mul_f32_e32 v17, v4, v16
	v_mul_f32_e32 v18, v3, v16
	v_fma_f32 v3, v3, v15, -v17
	v_fmac_f32_e32 v18, v4, v15
	v_xor_b32_e32 v15, 0x80000000, v3
	v_xor_b32_e32 v16, 0x80000000, v18
	v_mov_b32_e32 v4, v18
	ds_write_b64 v7, v[15:16]
.LBB65_941:
	s_or_b64 exec, exec, s[6:7]
	s_waitcnt lgkmcnt(0)
	s_barrier
	s_and_saveexec_b64 s[6:7], s[36:37]
	s_cbranch_execz .LBB65_943
; %bb.942:
	v_mov_b32_e32 v15, 0
	ds_read_b64 v[15:16], v15 offset:4672
	ds_read_b64 v[17:18], v7
	s_waitcnt lgkmcnt(0)
	v_mul_f32_e32 v19, v18, v16
	v_mul_f32_e32 v16, v17, v16
	v_fma_f32 v17, v17, v15, -v19
	v_fmac_f32_e32 v16, v18, v15
	v_sub_f32_e32 v3, v3, v17
	v_sub_f32_e32 v4, v4, v16
.LBB65_943:
	s_or_b64 exec, exec, s[6:7]
	s_barrier
	s_and_saveexec_b64 s[6:7], s[36:37]
	s_cbranch_execz .LBB65_945
; %bb.944:
	v_mov_b32_e32 v15, 0
	ds_read_b64 v[15:16], v15 offset:4160
	s_waitcnt lgkmcnt(0)
	v_mul_f32_e32 v17, v4, v16
	v_mul_f32_e32 v18, v3, v16
	v_fma_f32 v3, v3, v15, -v17
	v_fmac_f32_e32 v18, v4, v15
	v_xor_b32_e32 v15, 0x80000000, v3
	v_xor_b32_e32 v16, 0x80000000, v18
	v_mov_b32_e32 v4, v18
	ds_write_b64 v7, v[15:16]
.LBB65_945:
	s_or_b64 exec, exec, s[6:7]
	s_waitcnt lgkmcnt(0)
	s_barrier
	s_barrier
	s_and_saveexec_b64 s[6:7], s[22:23]
; %bb.946:
	v_lshlrev_b32_e32 v15, 3, v5
	v_lshl_or_b32 v15, v6, 9, v15
	ds_write_b64 v15, v[3:4] offset:5184
; %bb.947:
	s_or_b64 exec, exec, s[6:7]
	s_waitcnt lgkmcnt(0)
	s_barrier
	s_barrier
	s_and_saveexec_b64 s[6:7], s[40:41]
	s_cbranch_execz .LBB65_949
; %bb.948:
	v_lshlrev_b32_e32 v15, 3, v0
	s_movk_i32 s14, 0x1f8
	v_mad_u32_u24 v16, v0, s14, v15
	ds_read_b64 v[3:4], v16 offset:5184
	s_waitcnt lgkmcnt(0)
	ds_write_b64 v15, v[3:4] offset:4176
	ds_read_b64 v[3:4], v16 offset:5192
	s_waitcnt lgkmcnt(0)
	ds_write_b64 v15, v[3:4] offset:4688
.LBB65_949:
	s_or_b64 exec, exec, s[6:7]
	s_waitcnt lgkmcnt(0)
	s_barrier
	s_and_saveexec_b64 s[6:7], vcc
	s_cbranch_execz .LBB65_951
; %bb.950:
	v_mov_b32_e32 v3, 0
	v_add_u32_e64 v4, 64, 0
	ds_read2st64_b64 v[15:18], v4 offset0:8 offset1:9
	ds_read_b64 v[3:4], v3 offset:4680
	s_movk_i32 s14, 0x1000
	s_waitcnt lgkmcnt(0)
	v_mul_f32_e32 v19, v4, v16
	v_mul_f32_e32 v16, v3, v16
	v_fma_f32 v19, v3, v15, -v19
	v_fmac_f32_e32 v16, v4, v15
	v_mul_f32_e32 v3, v16, v18
	v_mul_f32_e32 v4, v19, v18
	v_fma_f32 v3, v19, v17, -v3
	v_fmac_f32_e32 v4, v16, v17
	v_add_u32_e64 v15, s14, 0
	ds_write2_b64 v15, v[3:4], v[3:4] offset0:9 offset1:72
.LBB65_951:
	s_or_b64 exec, exec, s[6:7]
	v_mov_b32_e32 v4, 0
	v_mov_b32_e32 v3, 0
	s_waitcnt lgkmcnt(0)
	s_barrier
	buffer_wbinvl1_vol
	s_and_saveexec_b64 s[6:7], s[12:13]
	s_cbranch_execz .LBB65_961
; %bb.952:
	v_lshlrev_b32_e32 v15, 3, v12
	v_lshlrev_b32_e32 v16, 9, v13
	ds_read_b64 v[3:4], v15 offset:4096
	ds_read_b64 v[17:18], v16 offset:4160
	v_cmp_gt_u32_e64 s[14:15], 56, v8
	s_waitcnt lgkmcnt(0)
	v_mul_f32_e32 v19, v18, v4
	v_mul_f32_e32 v4, v17, v4
	v_fma_f32 v17, v17, v3, -v19
	v_fmac_f32_e32 v4, v18, v3
	v_add_f32_e32 v3, 0, v17
	v_add_f32_e32 v4, 0, v4
	s_and_saveexec_b64 s[16:17], s[14:15]
	s_cbranch_execnz .LBB65_1158
; %bb.953:
	s_or_b64 exec, exec, s[16:17]
	v_cmp_gt_u32_e64 s[14:15], 48, v8
	s_and_saveexec_b64 s[16:17], s[14:15]
	s_cbranch_execnz .LBB65_1159
.LBB65_954:
	s_or_b64 exec, exec, s[16:17]
	v_cmp_gt_u32_e64 s[14:15], 40, v8
	s_and_saveexec_b64 s[16:17], s[14:15]
	s_cbranch_execnz .LBB65_1160
.LBB65_955:
	s_or_b64 exec, exec, s[16:17]
	v_cmp_gt_u32_e64 s[14:15], 32, v8
	s_and_saveexec_b64 s[16:17], s[14:15]
	s_cbranch_execnz .LBB65_1161
.LBB65_956:
	s_or_b64 exec, exec, s[16:17]
	v_cmp_gt_u32_e64 s[14:15], 24, v8
	s_and_saveexec_b64 s[16:17], s[14:15]
	s_cbranch_execnz .LBB65_1162
.LBB65_957:
	s_or_b64 exec, exec, s[16:17]
	s_and_saveexec_b64 s[14:15], s[10:11]
	s_cbranch_execnz .LBB65_1163
.LBB65_958:
	s_or_b64 exec, exec, s[14:15]
	v_cmp_gt_u32_e64 s[14:15], 8, v8
	s_and_saveexec_b64 s[16:17], s[14:15]
	s_cbranch_execz .LBB65_960
.LBB65_959:
	v_lshlrev_b32_e32 v15, 3, v0
	v_mov_b32_e32 v17, 0
	ds_read_b64 v[15:16], v15 offset:7680
	ds_read_b64 v[17:18], v17 offset:7800
	s_waitcnt lgkmcnt(0)
	v_mul_f32_e32 v19, v18, v16
	v_mul_f32_e32 v16, v17, v16
	v_fma_f32 v17, v17, v15, -v19
	v_fmac_f32_e32 v16, v18, v15
	v_add_f32_e32 v3, v3, v17
	v_add_f32_e32 v4, v4, v16
.LBB65_960:
	s_or_b64 exec, exec, s[16:17]
.LBB65_961:
	s_or_b64 exec, exec, s[6:7]
	s_and_saveexec_b64 s[6:7], s[58:59]
	s_cbranch_execz .LBB65_963
; %bb.962:
	v_mov_b32_e32 v15, 0
	ds_read_b64 v[15:16], v15 offset:3640
	s_waitcnt lgkmcnt(0)
	v_mul_f32_e32 v17, v4, v16
	v_mul_f32_e32 v18, v3, v16
	v_fma_f32 v3, v3, v15, -v17
	v_fmac_f32_e32 v18, v4, v15
	v_xor_b32_e32 v15, 0x80000000, v3
	v_xor_b32_e32 v16, 0x80000000, v18
	v_mov_b32_e32 v4, v18
	ds_write_b64 v14, v[15:16]
.LBB65_963:
	s_or_b64 exec, exec, s[6:7]
	s_waitcnt lgkmcnt(0)
	s_barrier
	s_and_saveexec_b64 s[6:7], s[60:61]
	s_load_dwordx2 s[24:25], s[4:5], 0x28
	v_readlane_b32 s58, v30, 1
	v_readlane_b32 s59, v30, 2
	s_cbranch_execz .LBB65_965
; %bb.964:
	v_lshlrev_b32_e32 v15, 3, v12
	ds_read_b64 v[15:16], v15 offset:3584
	ds_read_b64 v[17:18], v14
	s_waitcnt lgkmcnt(0)
	v_mul_f32_e32 v19, v18, v16
	v_mul_f32_e32 v16, v17, v16
	v_fma_f32 v17, v17, v15, -v19
	v_fmac_f32_e32 v16, v18, v15
	v_sub_f32_e32 v3, v3, v17
	v_sub_f32_e32 v4, v4, v16
.LBB65_965:
	s_or_b64 exec, exec, s[6:7]
	s_waitcnt lgkmcnt(0)
	s_barrier
	s_and_saveexec_b64 s[6:7], s[62:63]
	s_cbranch_execz .LBB65_967
; %bb.966:
	v_mov_b32_e32 v15, 0
	ds_read_b64 v[15:16], v15 offset:3120
	s_waitcnt lgkmcnt(0)
	v_mul_f32_e32 v17, v4, v16
	v_mul_f32_e32 v18, v3, v16
	v_fma_f32 v3, v3, v15, -v17
	v_fmac_f32_e32 v18, v4, v15
	v_xor_b32_e32 v15, 0x80000000, v3
	v_xor_b32_e32 v16, 0x80000000, v18
	v_mov_b32_e32 v4, v18
	ds_write_b64 v14, v[15:16]
.LBB65_967:
	s_or_b64 exec, exec, s[6:7]
	s_waitcnt lgkmcnt(0)
	s_barrier
	s_and_saveexec_b64 s[6:7], s[64:65]
	s_cbranch_execz .LBB65_969
; %bb.968:
	v_lshlrev_b32_e32 v15, 3, v12
	ds_read_b64 v[15:16], v15 offset:3072
	ds_read_b64 v[17:18], v14
	s_waitcnt lgkmcnt(0)
	v_mul_f32_e32 v19, v18, v16
	v_mul_f32_e32 v16, v17, v16
	v_fma_f32 v17, v17, v15, -v19
	v_fmac_f32_e32 v16, v18, v15
	v_sub_f32_e32 v3, v3, v17
	v_sub_f32_e32 v4, v4, v16
.LBB65_969:
	s_or_b64 exec, exec, s[6:7]
	s_barrier
	s_and_saveexec_b64 s[6:7], s[66:67]
	s_cbranch_execz .LBB65_971
; %bb.970:
	v_mov_b32_e32 v15, 0
	ds_read_b64 v[15:16], v15 offset:2600
	s_waitcnt lgkmcnt(0)
	v_mul_f32_e32 v17, v4, v16
	v_mul_f32_e32 v18, v3, v16
	v_fma_f32 v3, v3, v15, -v17
	v_fmac_f32_e32 v18, v4, v15
	v_xor_b32_e32 v15, 0x80000000, v3
	v_xor_b32_e32 v16, 0x80000000, v18
	v_mov_b32_e32 v4, v18
	ds_write_b64 v14, v[15:16]
.LBB65_971:
	s_or_b64 exec, exec, s[6:7]
	s_waitcnt lgkmcnt(0)
	s_barrier
	s_and_saveexec_b64 s[6:7], s[68:69]
	s_cbranch_execz .LBB65_973
; %bb.972:
	v_lshlrev_b32_e32 v15, 3, v12
	ds_read_b64 v[15:16], v15 offset:2560
	ds_read_b64 v[17:18], v14
	s_waitcnt lgkmcnt(0)
	v_mul_f32_e32 v19, v18, v16
	v_mul_f32_e32 v16, v17, v16
	v_fma_f32 v17, v17, v15, -v19
	v_fmac_f32_e32 v16, v18, v15
	v_sub_f32_e32 v3, v3, v17
	v_sub_f32_e32 v4, v4, v16
.LBB65_973:
	s_or_b64 exec, exec, s[6:7]
	;; [unrolled: 34-line block ×5, first 2 shown]
	s_barrier
	s_and_saveexec_b64 s[6:7], s[82:83]
	s_cbranch_execz .LBB65_987
; %bb.986:
	v_mov_b32_e32 v15, 0
	ds_read_b64 v[15:16], v15 offset:520
	s_waitcnt lgkmcnt(0)
	v_mul_f32_e32 v17, v4, v16
	v_mul_f32_e32 v18, v3, v16
	v_fma_f32 v3, v3, v15, -v17
	v_fmac_f32_e32 v18, v4, v15
	v_xor_b32_e32 v15, 0x80000000, v3
	v_xor_b32_e32 v16, 0x80000000, v18
	v_mov_b32_e32 v4, v18
	ds_write_b64 v14, v[15:16]
.LBB65_987:
	s_or_b64 exec, exec, s[6:7]
	s_waitcnt lgkmcnt(0)
	s_barrier
	s_and_saveexec_b64 s[6:7], s[56:57]
	s_cbranch_execz .LBB65_989
; %bb.988:
	v_mov_b32_e32 v15, 0
	ds_read_b64 v[15:16], v15 offset:512
	ds_read_b64 v[17:18], v14
	s_waitcnt lgkmcnt(0)
	v_mul_f32_e32 v19, v18, v16
	v_mul_f32_e32 v16, v17, v16
	v_fma_f32 v17, v17, v15, -v19
	v_fmac_f32_e32 v16, v18, v15
	v_sub_f32_e32 v3, v3, v17
	v_sub_f32_e32 v4, v4, v16
.LBB65_989:
	s_or_b64 exec, exec, s[6:7]
	s_barrier
	s_and_saveexec_b64 s[6:7], s[56:57]
	s_cbranch_execz .LBB65_991
; %bb.990:
	v_mov_b32_e32 v15, 0
	ds_read_b64 v[15:16], v15
	s_waitcnt lgkmcnt(0)
	v_mul_f32_e32 v17, v4, v16
	v_mul_f32_e32 v18, v3, v16
	v_fma_f32 v3, v3, v15, -v17
	v_fmac_f32_e32 v18, v4, v15
	v_xor_b32_e32 v15, 0x80000000, v3
	v_xor_b32_e32 v16, 0x80000000, v18
	v_mov_b32_e32 v4, v18
	ds_write_b64 v14, v[15:16]
.LBB65_991:
	s_or_b64 exec, exec, s[6:7]
	s_waitcnt lgkmcnt(0)
	s_barrier
	s_barrier
	s_and_saveexec_b64 s[6:7], s[12:13]
; %bb.992:
	v_lshlrev_b32_e32 v12, 3, v12
	v_lshl_or_b32 v12, v13, 9, v12
	ds_write_b64 v12, v[3:4] offset:4096
; %bb.993:
	s_or_b64 exec, exec, s[6:7]
	s_waitcnt lgkmcnt(0)
	s_barrier
	s_barrier
	s_and_saveexec_b64 s[6:7], s[84:85]
	s_cbranch_execz .LBB65_995
; %bb.994:
	v_lshlrev_b32_e32 v12, 9, v0
	ds_read_b64 v[3:4], v12 offset:4096
	s_movk_i32 s12, 0xfe08
	v_mad_i32_i24 v13, v0, s12, v12
	s_waitcnt lgkmcnt(0)
	ds_write_b64 v13, v[3:4] offset:64
	ds_read_b64 v[3:4], v12 offset:4104
	s_waitcnt lgkmcnt(0)
	ds_write_b64 v13, v[3:4] offset:576
	ds_read_b64 v[3:4], v12 offset:4112
	;; [unrolled: 3-line block ×7, first 2 shown]
	s_waitcnt lgkmcnt(0)
	ds_write_b64 v13, v[3:4] offset:3648
.LBB65_995:
	s_or_b64 exec, exec, s[6:7]
	s_waitcnt lgkmcnt(0)
	s_barrier
	s_and_saveexec_b64 s[6:7], vcc
	s_cbranch_execz .LBB65_997
; %bb.996:
	v_mov_b32_e32 v3, 0
	v_add_u32_e64 v4, 48, 0
	ds_read2st64_b64 v[12:15], v4 offset0:6 offset1:7
	ds_read_b64 v[3:4], v3 offset:3640
	s_movk_i32 s12, 0x800
	s_waitcnt lgkmcnt(0)
	v_mul_f32_e32 v16, v4, v13
	v_mul_f32_e32 v13, v3, v13
	v_fma_f32 v16, v3, v12, -v16
	v_fmac_f32_e32 v13, v4, v12
	v_mul_f32_e32 v3, v13, v15
	v_mul_f32_e32 v4, v16, v15
	v_fma_f32 v3, v16, v14, -v3
	v_fmac_f32_e32 v4, v13, v14
	v_add_u32_e64 v12, s12, 0
	ds_write2_b64 v12, v[3:4], v[3:4] offset0:135 offset1:198
.LBB65_997:
	s_or_b64 exec, exec, s[6:7]
	v_mov_b32_e32 v3, 0
	v_mov_b32_e32 v4, 0
	s_waitcnt lgkmcnt(0)
	s_barrier
	buffer_wbinvl1_vol
	s_and_saveexec_b64 s[6:7], s[22:23]
	s_cbranch_execz .LBB65_1001
; %bb.998:
	v_lshlrev_b32_e32 v3, 3, v5
	v_lshlrev_b32_e32 v12, 9, v6
	ds_read_b64 v[3:4], v3 offset:3104
	ds_read_b64 v[12:13], v12 offset:3120
	v_cmp_gt_u32_e64 s[12:13], 2, v8
	s_waitcnt lgkmcnt(0)
	v_mul_f32_e32 v14, v13, v4
	v_mul_f32_e32 v4, v12, v4
	v_fma_f32 v12, v12, v3, -v14
	v_fmac_f32_e32 v4, v13, v3
	v_add_f32_e32 v3, 0, v12
	v_add_f32_e32 v4, 0, v4
	s_and_saveexec_b64 s[14:15], s[12:13]
	s_cbranch_execz .LBB65_1000
; %bb.999:
	v_lshlrev_b32_e32 v12, 3, v0
	v_mov_b32_e32 v14, 0
	ds_read_b64 v[12:13], v12 offset:3616
	ds_read_b64 v[14:15], v14 offset:3640
	s_waitcnt lgkmcnt(0)
	v_mul_f32_e32 v16, v15, v13
	v_mul_f32_e32 v13, v14, v13
	v_fma_f32 v14, v14, v12, -v16
	v_fmac_f32_e32 v13, v15, v12
	v_add_f32_e32 v3, v3, v14
	v_add_f32_e32 v4, v4, v13
.LBB65_1000:
	s_or_b64 exec, exec, s[14:15]
.LBB65_1001:
	s_or_b64 exec, exec, s[6:7]
	s_and_saveexec_b64 s[6:7], s[38:39]
	s_cbranch_execz .LBB65_1003
; %bb.1002:
	v_mov_b32_e32 v12, 0
	ds_read_b64 v[12:13], v12 offset:2600
	s_waitcnt lgkmcnt(0)
	v_mul_f32_e32 v14, v4, v13
	v_mul_f32_e32 v15, v3, v13
	v_fma_f32 v3, v3, v12, -v14
	v_fmac_f32_e32 v15, v4, v12
	v_xor_b32_e32 v12, 0x80000000, v3
	v_xor_b32_e32 v13, 0x80000000, v15
	v_mov_b32_e32 v4, v15
	ds_write_b64 v7, v[12:13]
.LBB65_1003:
	s_or_b64 exec, exec, s[6:7]
	s_waitcnt lgkmcnt(0)
	s_barrier
	s_and_saveexec_b64 s[6:7], s[36:37]
	s_cbranch_execz .LBB65_1005
; %bb.1004:
	v_mov_b32_e32 v12, 0
	ds_read_b64 v[12:13], v12 offset:2592
	ds_read_b64 v[14:15], v7
	s_waitcnt lgkmcnt(0)
	v_mul_f32_e32 v16, v15, v13
	v_mul_f32_e32 v13, v14, v13
	v_fma_f32 v14, v14, v12, -v16
	v_fmac_f32_e32 v13, v15, v12
	v_sub_f32_e32 v3, v3, v14
	v_sub_f32_e32 v4, v4, v13
.LBB65_1005:
	s_or_b64 exec, exec, s[6:7]
	s_barrier
	s_and_saveexec_b64 s[6:7], s[36:37]
	s_cbranch_execz .LBB65_1007
; %bb.1006:
	v_mov_b32_e32 v12, 0
	ds_read_b64 v[12:13], v12 offset:2080
	s_waitcnt lgkmcnt(0)
	v_mul_f32_e32 v14, v4, v13
	v_mul_f32_e32 v15, v3, v13
	v_fma_f32 v3, v3, v12, -v14
	v_fmac_f32_e32 v15, v4, v12
	v_xor_b32_e32 v12, 0x80000000, v3
	v_xor_b32_e32 v13, 0x80000000, v15
	v_mov_b32_e32 v4, v15
	ds_write_b64 v7, v[12:13]
.LBB65_1007:
	s_or_b64 exec, exec, s[6:7]
	s_waitcnt lgkmcnt(0)
	s_barrier
	s_barrier
	s_and_saveexec_b64 s[6:7], s[22:23]
; %bb.1008:
	v_lshlrev_b32_e32 v12, 3, v5
	v_lshl_or_b32 v12, v6, 9, v12
	ds_write_b64 v12, v[3:4] offset:3104
; %bb.1009:
	s_or_b64 exec, exec, s[6:7]
	s_waitcnt lgkmcnt(0)
	s_barrier
	s_barrier
	s_and_saveexec_b64 s[6:7], s[40:41]
	s_cbranch_execz .LBB65_1011
; %bb.1010:
	v_lshlrev_b32_e32 v12, 3, v0
	s_movk_i32 s12, 0x1f8
	v_mad_u32_u24 v13, v0, s12, v12
	ds_read_b64 v[3:4], v13 offset:3104
	s_waitcnt lgkmcnt(0)
	ds_write_b64 v12, v[3:4] offset:2096
	ds_read_b64 v[3:4], v13 offset:3112
	s_waitcnt lgkmcnt(0)
	ds_write_b64 v12, v[3:4] offset:2608
.LBB65_1011:
	s_or_b64 exec, exec, s[6:7]
	s_waitcnt lgkmcnt(0)
	s_barrier
	s_and_saveexec_b64 s[6:7], vcc
	s_cbranch_execz .LBB65_1013
; %bb.1012:
	v_mov_b32_e32 v3, 0
	v_add_u32_e64 v4, 32, 0
	ds_read2st64_b64 v[12:15], v4 offset0:4 offset1:5
	ds_read_b64 v[3:4], v3 offset:2600
	s_movk_i32 s12, 0x800
	s_waitcnt lgkmcnt(0)
	v_mul_f32_e32 v16, v4, v13
	v_mul_f32_e32 v13, v3, v13
	v_fma_f32 v16, v3, v12, -v16
	v_fmac_f32_e32 v13, v4, v12
	v_mul_f32_e32 v3, v13, v15
	v_mul_f32_e32 v4, v16, v15
	v_fma_f32 v3, v16, v14, -v3
	v_fmac_f32_e32 v4, v13, v14
	v_add_u32_e64 v12, s12, 0
	ds_write2_b64 v12, v[3:4], v[3:4] offset0:5 offset1:68
.LBB65_1013:
	s_or_b64 exec, exec, s[6:7]
	v_mov_b32_e32 v4, 0
	v_mov_b32_e32 v3, 0
	s_waitcnt lgkmcnt(0)
	s_barrier
	buffer_wbinvl1_vol
	s_and_saveexec_b64 s[6:7], s[10:11]
	s_cbranch_execz .LBB65_1019
; %bb.1014:
	v_lshlrev_b32_e32 v12, 3, v9
	v_lshlrev_b32_e32 v13, 9, v10
	ds_read_b64 v[3:4], v12 offset:2048
	ds_read_b64 v[14:15], v13 offset:2080
	v_cmp_gt_u32_e64 s[12:13], 12, v8
	s_waitcnt lgkmcnt(0)
	v_mul_f32_e32 v16, v15, v4
	v_mul_f32_e32 v4, v14, v4
	v_fma_f32 v14, v14, v3, -v16
	v_fmac_f32_e32 v4, v15, v3
	v_add_f32_e32 v3, 0, v14
	v_add_f32_e32 v4, 0, v4
	s_and_saveexec_b64 s[14:15], s[12:13]
	s_cbranch_execnz .LBB65_1164
; %bb.1015:
	s_or_b64 exec, exec, s[14:15]
	v_cmp_gt_u32_e64 s[12:13], 8, v8
	s_and_saveexec_b64 s[14:15], s[12:13]
	s_cbranch_execnz .LBB65_1165
.LBB65_1016:
	s_or_b64 exec, exec, s[14:15]
	v_cmp_gt_u32_e64 s[12:13], 4, v8
	s_and_saveexec_b64 s[14:15], s[12:13]
	s_cbranch_execz .LBB65_1018
.LBB65_1017:
	v_lshlrev_b32_e32 v12, 3, v0
	v_mov_b32_e32 v14, 0
	ds_read_b64 v[12:13], v12 offset:3584
	ds_read_b64 v[14:15], v14 offset:3640
	s_waitcnt lgkmcnt(0)
	v_mul_f32_e32 v16, v15, v13
	v_mul_f32_e32 v13, v14, v13
	v_fma_f32 v14, v14, v12, -v16
	v_fmac_f32_e32 v13, v15, v12
	v_add_f32_e32 v3, v3, v14
	v_add_f32_e32 v4, v4, v13
.LBB65_1018:
	s_or_b64 exec, exec, s[14:15]
.LBB65_1019:
	s_or_b64 exec, exec, s[6:7]
	s_and_saveexec_b64 s[6:7], s[44:45]
	s_cbranch_execz .LBB65_1021
; %bb.1020:
	v_mov_b32_e32 v12, 0
	ds_read_b64 v[12:13], v12 offset:1560
	s_waitcnt lgkmcnt(0)
	v_mul_f32_e32 v14, v4, v13
	v_mul_f32_e32 v15, v3, v13
	v_fma_f32 v3, v3, v12, -v14
	v_fmac_f32_e32 v15, v4, v12
	v_xor_b32_e32 v12, 0x80000000, v3
	v_xor_b32_e32 v13, 0x80000000, v15
	v_mov_b32_e32 v4, v15
	ds_write_b64 v11, v[12:13]
.LBB65_1021:
	s_or_b64 exec, exec, s[6:7]
	s_waitcnt lgkmcnt(0)
	s_barrier
	s_and_saveexec_b64 s[6:7], s[46:47]
	v_readlane_b32 s44, v30, 0
	s_cbranch_execz .LBB65_1023
; %bb.1022:
	v_lshlrev_b32_e32 v12, 3, v9
	ds_read_b64 v[12:13], v12 offset:1536
	ds_read_b64 v[14:15], v11
	s_waitcnt lgkmcnt(0)
	v_mul_f32_e32 v16, v15, v13
	v_mul_f32_e32 v13, v14, v13
	v_fma_f32 v14, v14, v12, -v16
	v_fmac_f32_e32 v13, v15, v12
	v_sub_f32_e32 v3, v3, v14
	v_sub_f32_e32 v4, v4, v13
.LBB65_1023:
	s_or_b64 exec, exec, s[6:7]
	s_barrier
	s_and_saveexec_b64 s[6:7], s[48:49]
	s_cbranch_execz .LBB65_1025
; %bb.1024:
	v_mov_b32_e32 v12, 0
	ds_read_b64 v[12:13], v12 offset:1040
	s_waitcnt lgkmcnt(0)
	v_mul_f32_e32 v14, v4, v13
	v_mul_f32_e32 v15, v3, v13
	v_fma_f32 v3, v3, v12, -v14
	v_fmac_f32_e32 v15, v4, v12
	v_xor_b32_e32 v12, 0x80000000, v3
	v_xor_b32_e32 v13, 0x80000000, v15
	v_mov_b32_e32 v4, v15
	ds_write_b64 v11, v[12:13]
.LBB65_1025:
	s_or_b64 exec, exec, s[6:7]
	s_waitcnt lgkmcnt(0)
	s_barrier
	s_and_saveexec_b64 s[6:7], s[50:51]
	s_cbranch_execz .LBB65_1027
; %bb.1026:
	v_lshlrev_b32_e32 v12, 3, v9
	ds_read_b64 v[12:13], v12 offset:1024
	ds_read_b64 v[14:15], v11
	s_waitcnt lgkmcnt(0)
	v_mul_f32_e32 v16, v15, v13
	v_mul_f32_e32 v13, v14, v13
	v_fma_f32 v14, v14, v12, -v16
	v_fmac_f32_e32 v13, v15, v12
	v_sub_f32_e32 v3, v3, v14
	v_sub_f32_e32 v4, v4, v13
.LBB65_1027:
	s_or_b64 exec, exec, s[6:7]
	s_barrier
	s_and_saveexec_b64 s[6:7], s[52:53]
	s_cbranch_execz .LBB65_1029
; %bb.1028:
	v_mov_b32_e32 v12, 0
	ds_read_b64 v[12:13], v12 offset:520
	s_waitcnt lgkmcnt(0)
	v_mul_f32_e32 v14, v4, v13
	v_mul_f32_e32 v15, v3, v13
	v_fma_f32 v3, v3, v12, -v14
	v_fmac_f32_e32 v15, v4, v12
	v_xor_b32_e32 v12, 0x80000000, v3
	v_xor_b32_e32 v13, 0x80000000, v15
	v_mov_b32_e32 v4, v15
	ds_write_b64 v11, v[12:13]
.LBB65_1029:
	s_or_b64 exec, exec, s[6:7]
	s_waitcnt lgkmcnt(0)
	s_barrier
	s_and_saveexec_b64 s[6:7], s[42:43]
	s_cbranch_execz .LBB65_1031
; %bb.1030:
	v_mov_b32_e32 v12, 0
	ds_read_b64 v[12:13], v12 offset:512
	ds_read_b64 v[14:15], v11
	s_waitcnt lgkmcnt(0)
	v_mul_f32_e32 v16, v15, v13
	v_mul_f32_e32 v13, v14, v13
	v_fma_f32 v14, v14, v12, -v16
	v_fmac_f32_e32 v13, v15, v12
	v_sub_f32_e32 v3, v3, v14
	v_sub_f32_e32 v4, v4, v13
.LBB65_1031:
	s_or_b64 exec, exec, s[6:7]
	s_barrier
	s_and_saveexec_b64 s[6:7], s[42:43]
	s_cbranch_execz .LBB65_1033
; %bb.1032:
	v_mov_b32_e32 v12, 0
	ds_read_b64 v[12:13], v12
	s_waitcnt lgkmcnt(0)
	v_mul_f32_e32 v14, v4, v13
	v_mul_f32_e32 v15, v3, v13
	v_fma_f32 v3, v3, v12, -v14
	v_fmac_f32_e32 v15, v4, v12
	v_xor_b32_e32 v12, 0x80000000, v3
	v_xor_b32_e32 v13, 0x80000000, v15
	v_mov_b32_e32 v4, v15
	ds_write_b64 v11, v[12:13]
.LBB65_1033:
	s_or_b64 exec, exec, s[6:7]
	s_waitcnt lgkmcnt(0)
	s_barrier
	s_barrier
	s_and_saveexec_b64 s[6:7], s[10:11]
; %bb.1034:
	v_lshlrev_b32_e32 v9, 3, v9
	v_lshl_or_b32 v9, v10, 9, v9
	ds_write_b64 v9, v[3:4] offset:2048
; %bb.1035:
	s_or_b64 exec, exec, s[6:7]
	s_waitcnt lgkmcnt(0)
	s_barrier
	s_barrier
	s_and_saveexec_b64 s[6:7], s[54:55]
	s_cbranch_execz .LBB65_1037
; %bb.1036:
	v_lshlrev_b32_e32 v9, 9, v0
	ds_read_b64 v[3:4], v9 offset:2048
	s_movk_i32 s10, 0xfe08
	v_mad_i32_i24 v10, v0, s10, v9
	s_waitcnt lgkmcnt(0)
	ds_write_b64 v10, v[3:4] offset:32
	ds_read_b64 v[3:4], v9 offset:2056
	s_waitcnt lgkmcnt(0)
	ds_write_b64 v10, v[3:4] offset:544
	ds_read_b64 v[3:4], v9 offset:2064
	;; [unrolled: 3-line block ×3, first 2 shown]
	s_waitcnt lgkmcnt(0)
	ds_write_b64 v10, v[3:4] offset:1568
.LBB65_1037:
	s_or_b64 exec, exec, s[6:7]
	s_waitcnt lgkmcnt(0)
	s_barrier
	s_and_saveexec_b64 s[6:7], vcc
	s_cbranch_execz .LBB65_1039
; %bb.1038:
	v_mov_b32_e32 v13, 0
	ds_read2_b64 v[9:12], v13 offset0:130 offset1:194
	ds_read_b64 v[3:4], v13 offset:1560
	s_waitcnt lgkmcnt(0)
	v_mul_f32_e32 v14, v4, v10
	v_mul_f32_e32 v10, v3, v10
	v_fma_f32 v3, v3, v9, -v14
	v_fmac_f32_e32 v10, v4, v9
	v_mul_f32_e32 v9, v10, v12
	v_mul_f32_e32 v4, v3, v12
	v_fma_f32 v3, v3, v11, -v9
	v_fmac_f32_e32 v4, v10, v11
	ds_write2_b64 v13, v[3:4], v[3:4] offset0:131 offset1:194
.LBB65_1039:
	s_or_b64 exec, exec, s[6:7]
	v_mov_b32_e32 v3, 0
	v_mov_b32_e32 v4, 0
	s_waitcnt lgkmcnt(0)
	s_barrier
	buffer_wbinvl1_vol
	s_and_saveexec_b64 s[6:7], s[22:23]
	s_cbranch_execz .LBB65_1043
; %bb.1040:
	v_lshlrev_b32_e32 v3, 3, v5
	v_lshlrev_b32_e32 v9, 9, v6
	ds_read_b64 v[3:4], v3 offset:1024
	ds_read_b64 v[9:10], v9 offset:1040
	v_cmp_gt_u32_e64 s[10:11], 2, v8
	s_waitcnt lgkmcnt(0)
	v_mul_f32_e32 v11, v10, v4
	v_mul_f32_e32 v4, v9, v4
	v_fma_f32 v9, v9, v3, -v11
	v_fmac_f32_e32 v4, v10, v3
	v_add_f32_e32 v3, 0, v9
	v_add_f32_e32 v4, 0, v4
	s_and_saveexec_b64 s[12:13], s[10:11]
	s_cbranch_execz .LBB65_1042
; %bb.1041:
	v_lshlrev_b32_e32 v8, 3, v0
	v_mov_b32_e32 v10, 0
	ds_read_b64 v[8:9], v8 offset:1536
	ds_read_b64 v[10:11], v10 offset:1560
	s_waitcnt lgkmcnt(0)
	v_mul_f32_e32 v12, v11, v9
	v_mul_f32_e32 v9, v10, v9
	v_fma_f32 v10, v10, v8, -v12
	v_fmac_f32_e32 v9, v11, v8
	v_add_f32_e32 v3, v3, v10
	v_add_f32_e32 v4, v4, v9
.LBB65_1042:
	s_or_b64 exec, exec, s[12:13]
.LBB65_1043:
	s_or_b64 exec, exec, s[6:7]
	s_and_saveexec_b64 s[6:7], s[38:39]
	s_cbranch_execz .LBB65_1045
; %bb.1044:
	v_mov_b32_e32 v8, 0
	ds_read_b64 v[8:9], v8 offset:520
	s_waitcnt lgkmcnt(0)
	v_mul_f32_e32 v10, v4, v9
	v_mul_f32_e32 v11, v3, v9
	v_fma_f32 v3, v3, v8, -v10
	v_fmac_f32_e32 v11, v4, v8
	v_xor_b32_e32 v8, 0x80000000, v3
	v_xor_b32_e32 v9, 0x80000000, v11
	v_mov_b32_e32 v4, v11
	ds_write_b64 v7, v[8:9]
.LBB65_1045:
	s_or_b64 exec, exec, s[6:7]
	s_waitcnt lgkmcnt(0)
	s_barrier
	s_and_saveexec_b64 s[6:7], s[36:37]
	s_cbranch_execz .LBB65_1047
; %bb.1046:
	v_mov_b32_e32 v8, 0
	ds_read_b64 v[8:9], v8 offset:512
	ds_read_b64 v[10:11], v7
	s_waitcnt lgkmcnt(0)
	v_mul_f32_e32 v12, v11, v9
	v_mul_f32_e32 v9, v10, v9
	v_fma_f32 v10, v10, v8, -v12
	v_fmac_f32_e32 v9, v11, v8
	v_sub_f32_e32 v3, v3, v10
	v_sub_f32_e32 v4, v4, v9
.LBB65_1047:
	s_or_b64 exec, exec, s[6:7]
	s_barrier
	s_and_saveexec_b64 s[6:7], s[36:37]
	s_cbranch_execz .LBB65_1049
; %bb.1048:
	v_mov_b32_e32 v8, 0
	ds_read_b64 v[8:9], v8
	s_waitcnt lgkmcnt(0)
	v_mul_f32_e32 v10, v4, v9
	v_mul_f32_e32 v11, v3, v9
	v_fma_f32 v3, v3, v8, -v10
	v_fmac_f32_e32 v11, v4, v8
	v_xor_b32_e32 v8, 0x80000000, v3
	v_xor_b32_e32 v9, 0x80000000, v11
	v_mov_b32_e32 v4, v11
	ds_write_b64 v7, v[8:9]
.LBB65_1049:
	s_or_b64 exec, exec, s[6:7]
	s_waitcnt lgkmcnt(0)
	s_barrier
	s_barrier
	s_and_saveexec_b64 s[6:7], s[22:23]
; %bb.1050:
	v_lshlrev_b32_e32 v5, 3, v5
	v_lshl_or_b32 v5, v6, 9, v5
	ds_write_b64 v5, v[3:4] offset:1024
; %bb.1051:
	s_or_b64 exec, exec, s[6:7]
	s_waitcnt lgkmcnt(0)
	s_barrier
	s_barrier
	s_and_saveexec_b64 s[6:7], s[40:41]
	s_cbranch_execz .LBB65_1053
; %bb.1052:
	v_lshlrev_b32_e32 v5, 3, v0
	s_movk_i32 s10, 0x1f8
	v_mad_u32_u24 v6, v0, s10, v5
	ds_read_b64 v[3:4], v6 offset:1024
	s_waitcnt lgkmcnt(0)
	ds_write_b64 v5, v[3:4] offset:16
	ds_read_b64 v[3:4], v6 offset:1032
	s_waitcnt lgkmcnt(0)
	ds_write_b64 v5, v[3:4] offset:528
.LBB65_1053:
	s_or_b64 exec, exec, s[6:7]
	s_waitcnt lgkmcnt(0)
	s_barrier
	s_and_saveexec_b64 s[6:7], vcc
	s_cbranch_execz .LBB65_1055
; %bb.1054:
	v_mov_b32_e32 v9, 0
	ds_read2st64_b64 v[3:6], v9 offset1:1
	ds_read_b64 v[7:8], v9 offset:520
	s_waitcnt lgkmcnt(0)
	v_mul_f32_e32 v10, v8, v4
	v_mul_f32_e32 v11, v7, v4
	v_fma_f32 v7, v7, v3, -v10
	v_fmac_f32_e32 v11, v8, v3
	v_mul_f32_e32 v3, v11, v6
	v_mul_f32_e32 v4, v7, v6
	v_fma_f32 v3, v7, v5, -v3
	v_fmac_f32_e32 v4, v11, v5
	ds_write2_b64 v9, v[3:4], v[3:4] offset0:1 offset1:64
.LBB65_1055:
	s_or_b64 exec, exec, s[6:7]
.LBB65_1056:
	s_load_dwordx8 s[16:23], s[4:5], 0x30
	s_load_dwordx2 s[6:7], s[4:5], 0x50
	v_cmp_le_i32_e32 vcc, s30, v0
	v_mov_b32_e32 v3, 0
	v_add_u32_e32 v5, s33, v0
	s_waitcnt lgkmcnt(0)
	s_mul_i32 s5, s23, s34
	s_mul_hi_u32 s10, s22, s34
	s_mul_i32 s4, s22, s34
	s_add_i32 s5, s10, s5
	s_lshl_b64 s[4:5], s[4:5], 3
	s_add_u32 s10, s16, s4
	s_addc_u32 s11, s17, s5
	s_lshl_b64 s[4:5], s[18:19], 3
	s_add_u32 s36, s10, s4
	s_addc_u32 s37, s11, s5
	s_and_b64 s[18:19], vcc, s[26:27]
	v_cmp_eq_u32_e64 s[4:5], 0, v2
	s_xor_b64 s[10:11], s[18:19], -1
	s_and_b64 s[12:13], s[4:5], s[10:11]
	v_mov_b32_e32 v4, 0
	s_barrier
	s_and_saveexec_b64 s[10:11], s[12:13]
	s_cbranch_execz .LBB65_1058
; %bb.1057:
	v_ashrrev_i32_e32 v6, 31, v5
	v_mul_lo_u32 v7, s21, v5
	v_mad_u64_u32 v[3:4], s[12:13], s20, v5, 0
	v_mul_lo_u32 v6, s20, v6
	v_add3_u32 v4, v4, v6, v7
	v_lshlrev_b64 v[3:4], 3, v[3:4]
	v_mov_b32_e32 v6, s37
	v_add_co_u32_e32 v3, vcc, s36, v3
	v_addc_co_u32_e32 v4, vcc, v6, v4, vcc
	global_load_dwordx2 v[6:7], v[3:4], off
	s_waitcnt vmcnt(0)
	v_mul_f32_e32 v3, s24, v6
	v_mul_f32_e32 v4, s24, v7
	v_fma_f32 v3, s25, v7, -v3
	v_fma_f32 v4, v6, -s25, -v4
.LBB65_1058:
	s_or_b64 exec, exec, s[10:11]
	s_and_b32 s10, 0xffff, s87
	v_mad_u32_u24 v7, v2, s10, v0
	s_cmp_lt_i32 s8, 1
	v_cmp_eq_u32_e64 s[16:17], 0, v7
	s_cbranch_scc1 .LBB65_1077
; %bb.1059:
	v_mad_u64_u32 v[10:11], s[10:11], s28, v5, 0
	v_cmp_gt_i32_e64 s[12:13], s9, v5
	s_mov_b64 s[22:23], src_private_base
	v_mov_b32_e32 v6, v11
	v_mad_u64_u32 v[8:9], s[10:11], s29, v5, v[6:7]
	v_mov_b32_e32 v6, 0xa000
	v_lshl_or_b32 v9, v2, 3, v6
	v_mov_b32_e32 v11, v8
	v_lshl_add_u32 v8, v7, 3, v6
	v_lshlrev_b64 v[5:6], 3, v[10:11]
	s_lshl_b64 s[10:11], s[34:35], 2
	s_add_u32 s24, s6, s10
	v_mov_b32_e32 v11, s86
	v_add_co_u32_e32 v10, vcc, s31, v5
	s_mov_b32 s22, 0
	s_addc_u32 s25, s7, s11
	v_cmp_gt_u32_e64 s[10:11], 64, v7
	s_add_i32 s38, s8, -1
	v_addc_co_u32_e32 v11, vcc, v11, v6, vcc
	v_mov_b32_e32 v14, -1
	v_mov_b32_e32 v6, 0
	v_mov_b32_e32 v12, 0
	;; [unrolled: 1-line block ×5, first 2 shown]
	s_branch .LBB65_1061
.LBB65_1060:                            ;   in Loop: Header=BB65_1061 Depth=1
	s_or_b64 exec, exec, s[28:29]
	s_add_i32 s22, s22, 1
	s_cmp_eq_u32 s22, s8
	s_cbranch_scc1 .LBB65_1077
.LBB65_1061:                            ; =>This Loop Header: Depth=1
                                        ;     Child Loop BB65_1063 Depth 2
	v_cmp_gt_i32_e32 vcc, s22, v14
	s_and_b64 s[28:29], s[16:17], vcc
	s_and_saveexec_b64 s[14:15], s[28:29]
	s_cbranch_execz .LBB65_1064
; %bb.1062:                             ;   in Loop: Header=BB65_1061 Depth=1
	global_load_dword v14, v6, s[24:25]
	s_waitcnt vmcnt(0)
	v_cmp_le_i32_e32 vcc, s22, v14
	s_cbranch_vccnz .LBB65_1064
.LBB65_1063:                            ;   Parent Loop BB65_1061 Depth=1
                                        ; =>  This Inner Loop Header: Depth=2
	buffer_wbinvl1_vol
	global_load_dword v14, v6, s[24:25]
	s_waitcnt vmcnt(0)
	v_cmp_gt_i32_e32 vcc, s22, v14
	s_cbranch_vccnz .LBB65_1063
.LBB65_1064:                            ;   in Loop: Header=BB65_1061 Depth=1
	s_or_b64 exec, exec, s[14:15]
	s_lshl_b32 s31, s22, 6
	buffer_wbinvl1_vol
	s_barrier
	s_and_saveexec_b64 s[14:15], s[10:11]
	s_cbranch_execz .LBB65_1069
; %bb.1065:                             ;   in Loop: Header=BB65_1061 Depth=1
	v_or_b32_e32 v5, s31, v7
	v_cmp_le_i32_e32 vcc, s9, v5
	s_and_saveexec_b64 s[28:29], vcc
	s_xor_b64 s[28:29], exec, s[28:29]
; %bb.1066:                             ;   in Loop: Header=BB65_1061 Depth=1
	v_mov_b32_e32 v5, v6
	ds_write_b64 v8, v[5:6]
                                        ; implicit-def: $vgpr5
; %bb.1067:                             ;   in Loop: Header=BB65_1061 Depth=1
	s_andn2_saveexec_b64 s[28:29], s[28:29]
	s_cbranch_execz .LBB65_1069
; %bb.1068:                             ;   in Loop: Header=BB65_1061 Depth=1
	v_mad_u64_u32 v[17:18], s[28:29], s20, v5, 0
	v_mad_u64_u32 v[18:19], s[28:29], s21, v5, v[18:19]
	v_mov_b32_e32 v5, s37
	v_lshlrev_b64 v[17:18], 3, v[17:18]
	v_add_co_u32_e32 v17, vcc, s36, v17
	v_addc_co_u32_e32 v18, vcc, v5, v18, vcc
	global_load_dwordx2 v[17:18], v[17:18], off
	s_waitcnt vmcnt(0)
	ds_write_b64 v8, v[17:18]
.LBB65_1069:                            ;   in Loop: Header=BB65_1061 Depth=1
	s_or_b64 exec, exec, s[14:15]
	v_add_u32_e32 v5, s31, v2
	v_lshlrev_b64 v[18:19], 3, v[5:6]
	s_cmp_eq_u32 s22, s38
	v_add_co_u32_e32 v18, vcc, v10, v18
	v_addc_co_u32_e32 v17, vcc, v11, v19, vcc
	v_cmp_gt_i32_e32 vcc, s9, v5
	s_cselect_b64 s[14:15], -1, 0
	s_and_b64 s[40:41], vcc, s[12:13]
	s_waitcnt lgkmcnt(0)
	s_barrier
	s_and_saveexec_b64 s[28:29], s[40:41]
	s_cbranch_execz .LBB65_1071
; %bb.1070:                             ;   in Loop: Header=BB65_1061 Depth=1
	v_mov_b32_e32 v19, s23
	v_cndmask_b32_e64 v20, v17, v19, s[14:15]
	v_cndmask_b32_e64 v19, v18, v12, s[14:15]
	flat_load_dwordx2 v[19:20], v[19:20]
	ds_read_b64 v[21:22], v9
	s_waitcnt vmcnt(0) lgkmcnt(0)
	v_mul_f32_e32 v23, v22, v20
	v_mul_f32_e32 v20, v21, v20
	v_fma_f32 v21, v21, v19, -v23
	v_fmac_f32_e32 v20, v22, v19
	v_add_f32_e32 v3, v3, v21
	v_add_f32_e32 v4, v4, v20
.LBB65_1071:                            ;   in Loop: Header=BB65_1061 Depth=1
	s_or_b64 exec, exec, s[28:29]
	v_add_u32_e32 v19, 16, v5
	v_cmp_gt_i32_e32 vcc, s9, v19
	s_and_b64 s[40:41], vcc, s[12:13]
	s_and_saveexec_b64 s[28:29], s[40:41]
	s_cbranch_execz .LBB65_1073
; %bb.1072:                             ;   in Loop: Header=BB65_1061 Depth=1
	v_add_co_u32_e32 v19, vcc, 0x80, v18
	v_addc_co_u32_e32 v20, vcc, 0, v17, vcc
	v_mov_b32_e32 v21, s23
	v_cndmask_b32_e64 v20, v20, v21, s[14:15]
	v_cndmask_b32_e64 v19, v19, v13, s[14:15]
	flat_load_dwordx2 v[19:20], v[19:20]
	ds_read_b64 v[21:22], v9 offset:128
	s_waitcnt vmcnt(0) lgkmcnt(0)
	v_mul_f32_e32 v23, v22, v20
	v_mul_f32_e32 v20, v21, v20
	v_fma_f32 v21, v21, v19, -v23
	v_fmac_f32_e32 v20, v22, v19
	v_add_f32_e32 v3, v3, v21
	v_add_f32_e32 v4, v4, v20
.LBB65_1073:                            ;   in Loop: Header=BB65_1061 Depth=1
	s_or_b64 exec, exec, s[28:29]
	v_add_u32_e32 v19, 32, v5
	v_cmp_gt_i32_e32 vcc, s9, v19
	s_and_b64 s[40:41], vcc, s[12:13]
	s_and_saveexec_b64 s[28:29], s[40:41]
	s_cbranch_execz .LBB65_1075
; %bb.1074:                             ;   in Loop: Header=BB65_1061 Depth=1
	v_add_co_u32_e32 v19, vcc, 0x100, v18
	v_addc_co_u32_e32 v20, vcc, 0, v17, vcc
	v_mov_b32_e32 v21, s23
	v_cndmask_b32_e64 v20, v20, v21, s[14:15]
	v_cndmask_b32_e64 v19, v19, v15, s[14:15]
	flat_load_dwordx2 v[19:20], v[19:20]
	ds_read_b64 v[21:22], v9 offset:256
	s_waitcnt vmcnt(0) lgkmcnt(0)
	v_mul_f32_e32 v23, v22, v20
	v_mul_f32_e32 v20, v21, v20
	v_fma_f32 v21, v21, v19, -v23
	v_fmac_f32_e32 v20, v22, v19
	v_add_f32_e32 v3, v3, v21
	v_add_f32_e32 v4, v4, v20
.LBB65_1075:                            ;   in Loop: Header=BB65_1061 Depth=1
	s_or_b64 exec, exec, s[28:29]
	v_add_u32_e32 v5, 48, v5
	v_cmp_gt_i32_e32 vcc, s9, v5
	s_and_b64 s[40:41], vcc, s[12:13]
	s_and_saveexec_b64 s[28:29], s[40:41]
	s_cbranch_execz .LBB65_1060
; %bb.1076:                             ;   in Loop: Header=BB65_1061 Depth=1
	v_add_co_u32_e32 v5, vcc, 0x180, v18
	v_addc_co_u32_e32 v17, vcc, 0, v17, vcc
	v_mov_b32_e32 v18, s23
	v_cndmask_b32_e64 v18, v17, v18, s[14:15]
	v_cndmask_b32_e64 v17, v5, v16, s[14:15]
	flat_load_dwordx2 v[17:18], v[17:18]
	ds_read_b64 v[19:20], v9 offset:384
	s_waitcnt vmcnt(0) lgkmcnt(0)
	v_mul_f32_e32 v5, v20, v18
	v_mul_f32_e32 v18, v19, v18
	v_fma_f32 v5, v19, v17, -v5
	v_fmac_f32_e32 v18, v20, v17
	v_add_f32_e32 v3, v3, v5
	v_add_f32_e32 v4, v4, v18
	s_branch .LBB65_1060
.LBB65_1077:
	s_xor_b64 s[8:9], s[26:27], -1
	v_lshlrev_b32_e32 v1, 3, v1
	ds_write_b64 v1, v[3:4] offset:32768
	s_waitcnt lgkmcnt(0)
	s_barrier
	s_and_saveexec_b64 s[10:11], s[4:5]
	s_cbranch_execz .LBB65_1079
; %bb.1078:
	v_lshlrev_b32_e32 v18, 3, v0
	ds_read2st64_b64 v[8:11], v18 offset0:65 offset1:66
	ds_read2st64_b64 v[12:15], v18 offset0:67 offset1:68
	ds_read_b64 v[16:17], v18 offset:40448
	s_waitcnt lgkmcnt(2)
	v_add_f32_e32 v3, v3, v8
	v_add_f32_e32 v4, v4, v9
	;; [unrolled: 1-line block ×4, first 2 shown]
	ds_read2st64_b64 v[3:6], v18 offset0:69 offset1:70
	s_waitcnt lgkmcnt(2)
	v_add_f32_e32 v8, v8, v12
	v_add_f32_e32 v9, v9, v13
	;; [unrolled: 1-line block ×4, first 2 shown]
	s_waitcnt lgkmcnt(0)
	v_add_f32_e32 v3, v8, v3
	ds_read2st64_b64 v[8:11], v18 offset0:71 offset1:72
	v_add_f32_e32 v4, v12, v4
	v_add_f32_e32 v12, v3, v5
	;; [unrolled: 1-line block ×3, first 2 shown]
	ds_read2st64_b64 v[3:6], v18 offset0:73 offset1:74
	s_waitcnt lgkmcnt(1)
	v_add_f32_e32 v8, v12, v8
	v_add_f32_e32 v9, v13, v9
	;; [unrolled: 1-line block ×4, first 2 shown]
	s_waitcnt lgkmcnt(0)
	v_add_f32_e32 v3, v8, v3
	ds_read2st64_b64 v[8:11], v18 offset0:75 offset1:76
	v_add_f32_e32 v4, v12, v4
	v_add_f32_e32 v12, v3, v5
	;; [unrolled: 1-line block ×3, first 2 shown]
	ds_read2st64_b64 v[3:6], v18 offset0:77 offset1:78
	s_waitcnt lgkmcnt(1)
	v_add_f32_e32 v8, v12, v8
	v_add_f32_e32 v9, v13, v9
	;; [unrolled: 1-line block ×4, first 2 shown]
	s_waitcnt lgkmcnt(0)
	v_add_f32_e32 v3, v8, v3
	v_add_f32_e32 v4, v9, v4
	v_add_f32_e32 v3, v3, v5
	v_add_f32_e32 v4, v4, v6
	v_add_f32_e32 v3, v3, v16
	v_add_f32_e32 v4, v4, v17
	v_cndmask_b32_e64 v3, -v3, 0, s[18:19]
	v_cndmask_b32_e64 v4, -v4, 0, s[18:19]
.LBB65_1079:
	s_or_b64 exec, exec, s[10:11]
	s_and_b64 vcc, exec, s[58:59]
	s_cbranch_vccnz .LBB65_1092
; %bb.1080:
	v_mov_b32_e32 v5, 0xa000
	v_lshl_or_b32 v8, v2, 3, v5
	s_and_saveexec_b64 s[10:11], s[4:5]
; %bb.1081:
	v_lshl_add_u32 v5, v0, 3, v8
	ds_write_b64 v5, v[3:4]
; %bb.1082:
	s_or_b64 exec, exec, s[10:11]
	v_cmp_le_u32_e32 vcc, v2, v0
	v_mov_b32_e32 v5, 0
	v_mov_b32_e32 v6, 0
	s_waitcnt lgkmcnt(0)
	s_barrier
	s_and_saveexec_b64 s[10:11], vcc
	s_cbranch_execz .LBB65_1084
; %bb.1083:
	ds_read_b64 v[5:6], v1
	ds_read_b64 v[9:10], v8
	s_waitcnt lgkmcnt(0)
	v_mul_f32_e32 v11, v10, v6
	v_mul_f32_e32 v6, v9, v6
	v_fma_f32 v9, v9, v5, -v11
	v_fmac_f32_e32 v6, v10, v5
	v_add_f32_e32 v5, 0, v9
	v_add_f32_e32 v6, 0, v6
.LBB65_1084:
	s_or_b64 exec, exec, s[10:11]
	v_add_u32_e32 v9, 16, v2
	v_cmp_ge_u32_e32 vcc, v0, v9
	s_and_saveexec_b64 s[10:11], vcc
	s_cbranch_execz .LBB65_1086
; %bb.1085:
	ds_read_b64 v[9:10], v1 offset:8192
	ds_read_b64 v[11:12], v8 offset:128
	s_waitcnt lgkmcnt(0)
	v_mul_f32_e32 v13, v12, v10
	v_mul_f32_e32 v10, v11, v10
	v_fma_f32 v11, v11, v9, -v13
	v_fmac_f32_e32 v10, v12, v9
	v_add_f32_e32 v5, v5, v11
	v_add_f32_e32 v6, v6, v10
.LBB65_1086:
	s_or_b64 exec, exec, s[10:11]
	v_add_u32_e32 v9, 32, v2
	v_cmp_ge_u32_e32 vcc, v0, v9
	s_and_saveexec_b64 s[10:11], vcc
	s_cbranch_execz .LBB65_1088
; %bb.1087:
	ds_read_b64 v[9:10], v1 offset:16384
	ds_read_b64 v[11:12], v8 offset:256
	s_waitcnt lgkmcnt(0)
	v_mul_f32_e32 v13, v12, v10
	v_mul_f32_e32 v10, v11, v10
	v_fma_f32 v11, v11, v9, -v13
	v_fmac_f32_e32 v10, v12, v9
	v_add_f32_e32 v5, v5, v11
	v_add_f32_e32 v6, v6, v10
.LBB65_1088:
	s_or_b64 exec, exec, s[10:11]
	v_add_u32_e32 v2, 48, v2
	v_add_u32_e32 v9, 0x8000, v1
	v_cmp_ge_u32_e32 vcc, v0, v2
	s_and_saveexec_b64 s[10:11], vcc
	s_cbranch_execz .LBB65_1090
; %bb.1089:
	ds_read_b64 v[1:2], v1 offset:24576
	ds_read_b64 v[10:11], v8 offset:384
	s_waitcnt lgkmcnt(0)
	v_mul_f32_e32 v8, v11, v2
	v_mul_f32_e32 v2, v10, v2
	v_fma_f32 v8, v10, v1, -v8
	v_fmac_f32_e32 v2, v11, v1
	v_add_f32_e32 v5, v5, v8
	v_add_f32_e32 v6, v6, v2
.LBB65_1090:
	s_or_b64 exec, exec, s[10:11]
	s_mov_b64 s[12:13], 0
	s_mov_b64 s[10:11], 0
	ds_write_b64 v9, v[5:6]
	s_waitcnt lgkmcnt(0)
	s_barrier
                                        ; implicit-def: $vgpr8
                                        ; implicit-def: $vgpr9
                                        ; implicit-def: $vgpr1_vgpr2
	s_and_saveexec_b64 s[14:15], s[4:5]
	s_cbranch_execz .LBB65_1105
; %bb.1091:
	v_lshlrev_b32_e32 v1, 3, v0
	ds_read2st64_b64 v[8:11], v1 offset0:65 offset1:66
	ds_read2st64_b64 v[12:15], v1 offset0:67 offset1:68
	ds_read_b64 v[16:17], v1 offset:40448
	s_mov_b64 s[10:11], exec
	s_waitcnt lgkmcnt(2)
	v_add_f32_e32 v2, v5, v8
	v_add_f32_e32 v5, v6, v9
	v_add_f32_e32 v2, v2, v10
	v_add_f32_e32 v5, v5, v11
	ds_read2st64_b64 v[8:11], v1 offset0:69 offset1:70
	s_waitcnt lgkmcnt(2)
	v_add_f32_e32 v2, v2, v12
	v_add_f32_e32 v5, v5, v13
	v_add_f32_e32 v2, v2, v14
	v_add_f32_e32 v5, v5, v15
	ds_read2st64_b64 v[12:15], v1 offset0:71 offset1:72
	s_waitcnt lgkmcnt(1)
	v_add_f32_e32 v2, v2, v8
	v_add_f32_e32 v5, v5, v9
	v_add_f32_e32 v2, v2, v10
	v_add_f32_e32 v5, v5, v11
	ds_read2st64_b64 v[8:11], v1 offset0:73 offset1:74
	s_waitcnt lgkmcnt(1)
	v_add_f32_e32 v2, v2, v12
	v_add_f32_e32 v5, v5, v13
	v_add_f32_e32 v2, v2, v14
	v_add_f32_e32 v5, v5, v15
	ds_read2st64_b64 v[12:15], v1 offset0:75 offset1:76
	s_waitcnt lgkmcnt(1)
	v_add_f32_e32 v2, v2, v8
	v_add_f32_e32 v5, v5, v9
	v_add_f32_e32 v2, v2, v10
	v_add_f32_e32 v5, v5, v11
	ds_read2st64_b64 v[8:11], v1 offset0:77 offset1:78
	s_waitcnt lgkmcnt(1)
	v_add_f32_e32 v1, v2, v12
	v_add_f32_e32 v2, v5, v13
	v_add_u32_e32 v12, s33, v7
	v_add_f32_e32 v5, v1, v14
	v_add_f32_e32 v6, v2, v15
	v_mad_u64_u32 v[1:2], s[16:17], s20, v12, 0
	s_waitcnt lgkmcnt(0)
	v_add_f32_e32 v5, v5, v8
	v_add_f32_e32 v8, v6, v9
	;; [unrolled: 1-line block ×3, first 2 shown]
	v_mad_u64_u32 v[5:6], s[16:17], s21, v12, v[2:3]
	v_add_f32_e32 v2, v8, v11
	v_add_f32_e32 v9, v9, v16
	;; [unrolled: 1-line block ×3, first 2 shown]
	v_mov_b32_e32 v2, v5
	s_or_b64 exec, exec, s[14:15]
	s_and_b64 vcc, exec, s[12:13]
	s_cbranch_vccnz .LBB65_1093
	s_branch .LBB65_1106
.LBB65_1092:
	s_mov_b64 s[10:11], 0
                                        ; implicit-def: $vgpr8
                                        ; implicit-def: $vgpr9
                                        ; implicit-def: $vgpr1_vgpr2
	s_cbranch_execz .LBB65_1106
.LBB65_1093:
	v_mul_u32_u24_e32 v1, 0x208, v0
	v_lshlrev_b32_e32 v2, 9, v0
	v_sub_u32_e32 v2, v1, v2
	s_mov_b32 s14, 0
	v_mov_b32_e32 v5, 0
	v_mov_b32_e32 v6, v0
	s_branch .LBB65_1095
.LBB65_1094:                            ;   in Loop: Header=BB65_1095 Depth=1
	s_or_b64 exec, exec, s[12:13]
	s_add_i32 s14, s14, 2
	v_add_u32_e32 v2, 0x400, v2
	s_cmp_lg_u32 s14, 64
	v_add_u32_e32 v6, -2, v6
	s_barrier
	s_cbranch_scc0 .LBB65_1103
.LBB65_1095:                            ; =>This Inner Loop Header: Depth=1
	v_cmp_eq_u32_e32 vcc, 0, v6
	s_and_b64 s[16:17], s[4:5], vcc
	s_and_saveexec_b64 s[12:13], s[16:17]
	s_cbranch_execz .LBB65_1097
; %bb.1096:                             ;   in Loop: Header=BB65_1095 Depth=1
	ds_read_b64 v[8:9], v1
	s_waitcnt lgkmcnt(0)
	v_mul_f32_e32 v11, v4, v9
	v_mul_f32_e32 v10, v3, v9
	v_fma_f32 v9, v3, v8, -v11
	v_fmac_f32_e32 v10, v4, v8
	v_mov_b32_e32 v3, v9
	v_mov_b32_e32 v4, v10
	ds_write_b64 v5, v[9:10] offset:41472
.LBB65_1097:                            ;   in Loop: Header=BB65_1095 Depth=1
	s_or_b64 exec, exec, s[12:13]
	v_cmp_lt_u32_e32 vcc, s14, v0
	s_and_b64 s[16:17], s[4:5], vcc
	s_waitcnt lgkmcnt(0)
	s_barrier
	s_and_saveexec_b64 s[12:13], s[16:17]
	s_cbranch_execz .LBB65_1099
; %bb.1098:                             ;   in Loop: Header=BB65_1095 Depth=1
	ds_read_b64 v[8:9], v2
	ds_read_b64 v[10:11], v5 offset:41472
	s_waitcnt lgkmcnt(0)
	v_mul_f32_e32 v12, v11, v9
	v_mul_f32_e32 v9, v10, v9
	v_fma_f32 v10, v10, v8, -v12
	v_fmac_f32_e32 v9, v11, v8
	v_add_f32_e32 v3, v3, v10
	v_add_f32_e32 v4, v4, v9
.LBB65_1099:                            ;   in Loop: Header=BB65_1095 Depth=1
	s_or_b64 exec, exec, s[12:13]
	s_or_b32 s15, s14, 1
	v_cmp_eq_u32_e32 vcc, s15, v0
	s_and_b64 s[16:17], s[4:5], vcc
	s_barrier
	s_and_saveexec_b64 s[12:13], s[16:17]
	s_cbranch_execz .LBB65_1101
; %bb.1100:                             ;   in Loop: Header=BB65_1095 Depth=1
	ds_read_b64 v[8:9], v1
	s_waitcnt lgkmcnt(0)
	v_mul_f32_e32 v11, v4, v9
	v_mul_f32_e32 v10, v3, v9
	v_fma_f32 v9, v3, v8, -v11
	v_fmac_f32_e32 v10, v4, v8
	v_mov_b32_e32 v3, v9
	v_mov_b32_e32 v4, v10
	ds_write_b64 v5, v[9:10] offset:41472
.LBB65_1101:                            ;   in Loop: Header=BB65_1095 Depth=1
	s_or_b64 exec, exec, s[12:13]
	v_cmp_lt_u32_e32 vcc, s15, v0
	s_and_b64 s[16:17], s[4:5], vcc
	s_waitcnt lgkmcnt(0)
	s_barrier
	s_and_saveexec_b64 s[12:13], s[16:17]
	s_cbranch_execz .LBB65_1094
; %bb.1102:                             ;   in Loop: Header=BB65_1095 Depth=1
	ds_read_b64 v[8:9], v2 offset:512
	ds_read_b64 v[10:11], v5 offset:41472
	s_waitcnt lgkmcnt(0)
	v_mul_f32_e32 v12, v11, v9
	v_mul_f32_e32 v9, v10, v9
	v_fma_f32 v10, v10, v8, -v12
	v_fmac_f32_e32 v9, v11, v8
	v_add_f32_e32 v3, v3, v10
	v_add_f32_e32 v4, v4, v9
	s_branch .LBB65_1094
.LBB65_1103:
	s_and_b64 vcc, exec, s[8:9]
	s_cbranch_vccz .LBB65_1107
; %bb.1104:
	s_and_b64 s[8:9], s[4:5], exec
	s_cbranch_execz .LBB65_1108
	s_branch .LBB65_1109
.LBB65_1105:
	s_or_b64 exec, exec, s[14:15]
	s_and_b64 vcc, exec, s[12:13]
	s_cbranch_vccnz .LBB65_1093
.LBB65_1106:
	v_mov_b32_e32 v4, v8
	v_mov_b32_e32 v3, v9
	s_and_saveexec_b64 s[4:5], s[10:11]
	s_cbranch_execnz .LBB65_1112
	s_branch .LBB65_1113
.LBB65_1107:
	s_mov_b64 s[8:9], 0
.LBB65_1108:
	v_cmp_gt_i32_e32 vcc, s30, v0
	s_and_b64 s[4:5], s[4:5], vcc
	s_andn2_b64 s[8:9], s[8:9], exec
	s_and_b64 s[4:5], s[4:5], exec
	s_or_b64 s[8:9], s[8:9], s[4:5]
.LBB65_1109:
                                        ; implicit-def: $vgpr1_vgpr2
	s_and_saveexec_b64 s[4:5], s[8:9]
	s_cbranch_execz .LBB65_1111
; %bb.1110:
	v_mov_b32_e32 v0, s44
	v_add_co_u32_e32 v1, vcc, s33, v7
	v_addc_co_u32_e32 v0, vcc, 0, v0, vcc
	v_mul_lo_u32 v0, v0, s20
	v_mul_lo_u32 v5, v1, s21
	v_mad_u64_u32 v[1:2], s[8:9], v1, s20, 0
	s_or_b64 s[10:11], s[10:11], exec
	v_add3_u32 v2, v2, v5, v0
.LBB65_1111:
	s_or_b64 exec, exec, s[4:5]
	s_and_saveexec_b64 s[4:5], s[10:11]
	s_cbranch_execz .LBB65_1113
.LBB65_1112:
	v_lshlrev_b64 v[0:1], 3, v[1:2]
	v_mov_b32_e32 v2, s37
	v_add_co_u32_e32 v0, vcc, s36, v0
	v_addc_co_u32_e32 v1, vcc, v2, v1, vcc
	global_store_dwordx2 v[0:1], v[3:4], off
.LBB65_1113:
	s_or_b64 exec, exec, s[4:5]
	v_cmp_eq_u32_e32 vcc, 0, v7
	s_waitcnt vmcnt(0)
	buffer_wbinvl1_vol
	s_barrier
	s_and_saveexec_b64 s[4:5], vcc
	s_cbranch_execz .LBB65_1115
; %bb.1114:
	s_lshl_b64 s[8:9], s[34:35], 2
	s_add_u32 s6, s6, s8
	s_addc_u32 s7, s7, s9
	v_mov_b32_e32 v0, 0
	global_load_dword v1, v0, s[6:7]
	s_waitcnt vmcnt(0)
	v_add_u32_e32 v1, 1, v1
	global_store_dword v0, v1, s[6:7]
.LBB65_1115:
	s_or_b64 exec, exec, s[4:5]
	s_waitcnt vmcnt(0)
	buffer_wbinvl1_vol
	s_endpgm
.LBB65_1116:
	ds_read_b64 v[14:15], v12 offset:31680
	ds_read_b64 v[16:17], v13 offset:31208
	s_waitcnt lgkmcnt(0)
	v_mul_f32_e32 v18, v17, v15
	v_mul_f32_e32 v15, v16, v15
	v_fma_f32 v16, v16, v14, -v18
	v_fmac_f32_e32 v15, v17, v14
	v_add_f32_e32 v3, v3, v16
	v_add_f32_e32 v4, v4, v15
	s_or_b64 exec, exec, s[18:19]
	v_cmp_gt_u32_e64 s[14:15], 8, v8
	s_and_saveexec_b64 s[18:19], s[14:15]
	s_cbranch_execz .LBB65_156
.LBB65_1117:
	ds_read_b64 v[14:15], v12 offset:32192
	ds_read_b64 v[12:13], v13 offset:31216
	s_waitcnt lgkmcnt(0)
	v_mul_f32_e32 v16, v13, v15
	v_mul_f32_e32 v15, v12, v15
	v_fma_f32 v12, v12, v14, -v16
	v_fmac_f32_e32 v15, v13, v14
	v_add_f32_e32 v3, v3, v12
	v_add_f32_e32 v4, v4, v15
	s_or_b64 exec, exec, s[18:19]
	v_cmp_gt_u32_e64 s[14:15], 4, v8
	s_and_saveexec_b64 s[18:19], s[14:15]
	s_cbranch_execnz .LBB65_157
	s_branch .LBB65_158
.LBB65_1118:
	ds_read_b64 v[17:18], v15 offset:29568
	ds_read_b64 v[19:20], v16 offset:29128
	s_waitcnt lgkmcnt(0)
	v_mul_f32_e32 v21, v20, v18
	v_mul_f32_e32 v18, v19, v18
	v_fma_f32 v19, v19, v17, -v21
	v_fmac_f32_e32 v18, v20, v17
	v_add_f32_e32 v3, v3, v19
	v_add_f32_e32 v4, v4, v18
	s_or_b64 exec, exec, s[20:21]
	v_cmp_gt_u32_e64 s[18:19], 48, v8
	s_and_saveexec_b64 s[20:21], s[18:19]
	s_cbranch_execz .LBB65_198
.LBB65_1119:
	ds_read_b64 v[17:18], v15 offset:30080
	ds_read_b64 v[19:20], v16 offset:29136
	s_waitcnt lgkmcnt(0)
	v_mul_f32_e32 v21, v20, v18
	v_mul_f32_e32 v18, v19, v18
	v_fma_f32 v19, v19, v17, -v21
	v_fmac_f32_e32 v18, v20, v17
	v_add_f32_e32 v3, v3, v19
	v_add_f32_e32 v4, v4, v18
	s_or_b64 exec, exec, s[20:21]
	v_cmp_gt_u32_e64 s[18:19], 40, v8
	s_and_saveexec_b64 s[20:21], s[18:19]
	s_cbranch_execz .LBB65_199
.LBB65_1120:
	ds_read_b64 v[17:18], v15 offset:30592
	ds_read_b64 v[19:20], v16 offset:29144
	s_waitcnt lgkmcnt(0)
	v_mul_f32_e32 v21, v20, v18
	v_mul_f32_e32 v18, v19, v18
	v_fma_f32 v19, v19, v17, -v21
	v_fmac_f32_e32 v18, v20, v17
	v_add_f32_e32 v3, v3, v19
	v_add_f32_e32 v4, v4, v18
	s_or_b64 exec, exec, s[20:21]
	v_cmp_gt_u32_e64 s[18:19], 32, v8
	s_and_saveexec_b64 s[20:21], s[18:19]
	s_cbranch_execz .LBB65_200
.LBB65_1121:
	ds_read_b64 v[17:18], v15 offset:31104
	ds_read_b64 v[19:20], v16 offset:29152
	s_waitcnt lgkmcnt(0)
	v_mul_f32_e32 v21, v20, v18
	v_mul_f32_e32 v18, v19, v18
	v_fma_f32 v19, v19, v17, -v21
	v_fmac_f32_e32 v18, v20, v17
	v_add_f32_e32 v3, v3, v19
	v_add_f32_e32 v4, v4, v18
	s_or_b64 exec, exec, s[20:21]
	v_cmp_gt_u32_e64 s[18:19], 24, v8
	s_and_saveexec_b64 s[20:21], s[18:19]
	s_cbranch_execz .LBB65_201
.LBB65_1122:
	ds_read_b64 v[17:18], v15 offset:31616
	ds_read_b64 v[19:20], v16 offset:29160
	s_waitcnt lgkmcnt(0)
	v_mul_f32_e32 v21, v20, v18
	v_mul_f32_e32 v18, v19, v18
	v_fma_f32 v19, v19, v17, -v21
	v_fmac_f32_e32 v18, v20, v17
	v_add_f32_e32 v3, v3, v19
	v_add_f32_e32 v4, v4, v18
	s_or_b64 exec, exec, s[20:21]
	s_and_saveexec_b64 s[18:19], s[10:11]
	s_cbranch_execz .LBB65_202
.LBB65_1123:
	ds_read_b64 v[17:18], v15 offset:32128
	ds_read_b64 v[15:16], v16 offset:29168
	s_waitcnt lgkmcnt(0)
	v_mul_f32_e32 v19, v16, v18
	v_mul_f32_e32 v18, v15, v18
	v_fma_f32 v15, v15, v17, -v19
	v_fmac_f32_e32 v18, v16, v17
	v_add_f32_e32 v3, v3, v15
	v_add_f32_e32 v4, v4, v18
	s_or_b64 exec, exec, s[18:19]
	v_cmp_gt_u32_e64 s[18:19], 8, v8
	s_and_saveexec_b64 s[20:21], s[18:19]
	s_cbranch_execnz .LBB65_203
	s_branch .LBB65_204
.LBB65_1124:
	ds_read_b64 v[17:18], v15 offset:27520
	ds_read_b64 v[19:20], v16 offset:27048
	s_waitcnt lgkmcnt(0)
	v_mul_f32_e32 v21, v20, v18
	v_mul_f32_e32 v18, v19, v18
	v_fma_f32 v19, v19, v17, -v21
	v_fmac_f32_e32 v18, v20, v17
	v_add_f32_e32 v3, v3, v19
	v_add_f32_e32 v4, v4, v18
	s_or_b64 exec, exec, s[18:19]
	v_cmp_gt_u32_e64 s[14:15], 8, v8
	s_and_saveexec_b64 s[18:19], s[14:15]
	s_cbranch_execz .LBB65_260
.LBB65_1125:
	ds_read_b64 v[17:18], v15 offset:28032
	ds_read_b64 v[15:16], v16 offset:27056
	s_waitcnt lgkmcnt(0)
	v_mul_f32_e32 v19, v16, v18
	v_mul_f32_e32 v18, v15, v18
	v_fma_f32 v15, v15, v17, -v19
	v_fmac_f32_e32 v18, v16, v17
	v_add_f32_e32 v3, v3, v15
	v_add_f32_e32 v4, v4, v18
	s_or_b64 exec, exec, s[18:19]
	v_cmp_gt_u32_e64 s[14:15], 4, v8
	s_and_saveexec_b64 s[18:19], s[14:15]
	s_cbranch_execnz .LBB65_261
	s_branch .LBB65_262
.LBB65_1126:
	ds_read_b64 v[20:21], v18 offset:30464
	ds_read_b64 v[22:23], v19 offset:25048
	s_waitcnt lgkmcnt(0)
	v_mul_f32_e32 v24, v23, v21
	v_mul_f32_e32 v21, v22, v21
	v_fma_f32 v22, v22, v20, -v24
	v_fmac_f32_e32 v21, v23, v20
	v_add_f32_e32 v3, v3, v22
	v_add_f32_e32 v4, v4, v21
	s_or_b64 exec, exec, s[24:25]
	s_and_saveexec_b64 s[20:21], s[12:13]
	s_cbranch_execz .LBB65_322
.LBB65_1127:
	ds_read_b64 v[20:21], v18 offset:30976
	ds_read_b64 v[22:23], v19 offset:25056
	s_waitcnt lgkmcnt(0)
	v_mul_f32_e32 v24, v23, v21
	v_mul_f32_e32 v21, v22, v21
	v_fma_f32 v22, v22, v20, -v24
	v_fmac_f32_e32 v21, v23, v20
	v_add_f32_e32 v3, v3, v22
	v_add_f32_e32 v4, v4, v21
	s_or_b64 exec, exec, s[20:21]
	v_cmp_gt_u32_e64 s[20:21], 48, v8
	s_and_saveexec_b64 s[24:25], s[20:21]
	s_cbranch_execz .LBB65_323
.LBB65_1128:
	ds_read_b64 v[20:21], v18 offset:31488
	ds_read_b64 v[22:23], v19 offset:25064
	s_waitcnt lgkmcnt(0)
	v_mul_f32_e32 v24, v23, v21
	v_mul_f32_e32 v21, v22, v21
	v_fma_f32 v22, v22, v20, -v24
	v_fmac_f32_e32 v21, v23, v20
	v_add_f32_e32 v3, v3, v22
	v_add_f32_e32 v4, v4, v21
	s_or_b64 exec, exec, s[24:25]
	v_cmp_gt_u32_e64 s[20:21], 32, v8
	s_and_saveexec_b64 s[24:25], s[20:21]
	s_cbranch_execz .LBB65_324
.LBB65_1129:
	ds_read_b64 v[20:21], v18 offset:32000
	ds_read_b64 v[18:19], v19 offset:25072
	s_waitcnt lgkmcnt(0)
	v_mul_f32_e32 v22, v19, v21
	v_mul_f32_e32 v21, v18, v21
	v_fma_f32 v18, v18, v20, -v22
	v_fmac_f32_e32 v21, v19, v20
	v_add_f32_e32 v3, v3, v18
	v_add_f32_e32 v4, v4, v21
	s_or_b64 exec, exec, s[24:25]
	v_cmp_gt_u32_e64 s[20:21], 16, v8
	s_and_saveexec_b64 s[24:25], s[20:21]
	s_cbranch_execnz .LBB65_325
	s_branch .LBB65_326
.LBB65_1130:
	ds_read_b64 v[20:21], v18 offset:23360
	ds_read_b64 v[22:23], v19 offset:22888
	s_waitcnt lgkmcnt(0)
	v_mul_f32_e32 v24, v23, v21
	v_mul_f32_e32 v21, v22, v21
	v_fma_f32 v22, v22, v20, -v24
	v_fmac_f32_e32 v21, v23, v20
	v_add_f32_e32 v3, v3, v22
	v_add_f32_e32 v4, v4, v21
	s_or_b64 exec, exec, s[24:25]
	v_cmp_gt_u32_e64 s[18:19], 8, v8
	s_and_saveexec_b64 s[24:25], s[18:19]
	s_cbranch_execz .LBB65_414
.LBB65_1131:
	ds_read_b64 v[20:21], v18 offset:23872
	ds_read_b64 v[18:19], v19 offset:22896
	s_waitcnt lgkmcnt(0)
	v_mul_f32_e32 v22, v19, v21
	v_mul_f32_e32 v21, v18, v21
	v_fma_f32 v18, v18, v20, -v22
	v_fmac_f32_e32 v21, v19, v20
	v_add_f32_e32 v3, v3, v18
	v_add_f32_e32 v4, v4, v21
	s_or_b64 exec, exec, s[24:25]
	v_cmp_gt_u32_e64 s[18:19], 4, v8
	s_and_saveexec_b64 s[24:25], s[18:19]
	s_cbranch_execnz .LBB65_415
	s_branch .LBB65_416
.LBB65_1132:
	ds_read_b64 v[20:21], v18 offset:21248
	ds_read_b64 v[22:23], v19 offset:20808
	s_waitcnt lgkmcnt(0)
	v_mul_f32_e32 v24, v23, v21
	v_mul_f32_e32 v21, v22, v21
	v_fma_f32 v22, v22, v20, -v24
	v_fmac_f32_e32 v21, v23, v20
	v_add_f32_e32 v3, v3, v22
	v_add_f32_e32 v4, v4, v21
	s_or_b64 exec, exec, s[24:25]
	v_cmp_gt_u32_e64 s[18:19], 48, v8
	s_and_saveexec_b64 s[24:25], s[18:19]
	s_cbranch_execz .LBB65_456
.LBB65_1133:
	ds_read_b64 v[20:21], v18 offset:21760
	ds_read_b64 v[22:23], v19 offset:20816
	s_waitcnt lgkmcnt(0)
	v_mul_f32_e32 v24, v23, v21
	v_mul_f32_e32 v21, v22, v21
	v_fma_f32 v22, v22, v20, -v24
	v_fmac_f32_e32 v21, v23, v20
	v_add_f32_e32 v3, v3, v22
	v_add_f32_e32 v4, v4, v21
	s_or_b64 exec, exec, s[24:25]
	v_cmp_gt_u32_e64 s[18:19], 40, v8
	s_and_saveexec_b64 s[24:25], s[18:19]
	s_cbranch_execz .LBB65_457
.LBB65_1134:
	ds_read_b64 v[20:21], v18 offset:22272
	ds_read_b64 v[22:23], v19 offset:20824
	s_waitcnt lgkmcnt(0)
	v_mul_f32_e32 v24, v23, v21
	v_mul_f32_e32 v21, v22, v21
	v_fma_f32 v22, v22, v20, -v24
	v_fmac_f32_e32 v21, v23, v20
	v_add_f32_e32 v3, v3, v22
	v_add_f32_e32 v4, v4, v21
	s_or_b64 exec, exec, s[24:25]
	v_cmp_gt_u32_e64 s[18:19], 32, v8
	s_and_saveexec_b64 s[24:25], s[18:19]
	s_cbranch_execz .LBB65_458
.LBB65_1135:
	ds_read_b64 v[20:21], v18 offset:22784
	ds_read_b64 v[22:23], v19 offset:20832
	s_waitcnt lgkmcnt(0)
	v_mul_f32_e32 v24, v23, v21
	v_mul_f32_e32 v21, v22, v21
	v_fma_f32 v22, v22, v20, -v24
	v_fmac_f32_e32 v21, v23, v20
	v_add_f32_e32 v3, v3, v22
	v_add_f32_e32 v4, v4, v21
	s_or_b64 exec, exec, s[24:25]
	v_cmp_gt_u32_e64 s[18:19], 24, v8
	s_and_saveexec_b64 s[24:25], s[18:19]
	s_cbranch_execz .LBB65_459
.LBB65_1136:
	ds_read_b64 v[20:21], v18 offset:23296
	ds_read_b64 v[22:23], v19 offset:20840
	s_waitcnt lgkmcnt(0)
	v_mul_f32_e32 v24, v23, v21
	v_mul_f32_e32 v21, v22, v21
	v_fma_f32 v22, v22, v20, -v24
	v_fmac_f32_e32 v21, v23, v20
	v_add_f32_e32 v3, v3, v22
	v_add_f32_e32 v4, v4, v21
	s_or_b64 exec, exec, s[24:25]
	s_and_saveexec_b64 s[18:19], s[10:11]
	s_cbranch_execz .LBB65_460
.LBB65_1137:
	ds_read_b64 v[20:21], v18 offset:23808
	ds_read_b64 v[18:19], v19 offset:20848
	s_waitcnt lgkmcnt(0)
	v_mul_f32_e32 v22, v19, v21
	v_mul_f32_e32 v21, v18, v21
	v_fma_f32 v18, v18, v20, -v22
	v_fmac_f32_e32 v21, v19, v20
	v_add_f32_e32 v3, v3, v18
	v_add_f32_e32 v4, v4, v21
	s_or_b64 exec, exec, s[18:19]
	v_cmp_gt_u32_e64 s[18:19], 8, v8
	s_and_saveexec_b64 s[24:25], s[18:19]
	s_cbranch_execnz .LBB65_461
	s_branch .LBB65_462
.LBB65_1138:
	ds_read_b64 v[20:21], v18 offset:19200
	ds_read_b64 v[22:23], v19 offset:18728
	s_waitcnt lgkmcnt(0)
	v_mul_f32_e32 v24, v23, v21
	v_mul_f32_e32 v21, v22, v21
	v_fma_f32 v22, v22, v20, -v24
	v_fmac_f32_e32 v21, v23, v20
	v_add_f32_e32 v3, v3, v22
	v_add_f32_e32 v4, v4, v21
	s_or_b64 exec, exec, s[24:25]
	v_cmp_gt_u32_e64 s[18:19], 8, v8
	s_and_saveexec_b64 s[24:25], s[18:19]
	s_cbranch_execz .LBB65_518
.LBB65_1139:
	ds_read_b64 v[20:21], v18 offset:19712
	ds_read_b64 v[18:19], v19 offset:18736
	s_waitcnt lgkmcnt(0)
	v_mul_f32_e32 v22, v19, v21
	v_mul_f32_e32 v21, v18, v21
	v_fma_f32 v18, v18, v20, -v22
	v_fmac_f32_e32 v21, v19, v20
	v_add_f32_e32 v3, v3, v18
	v_add_f32_e32 v4, v4, v21
	s_or_b64 exec, exec, s[24:25]
	v_cmp_gt_u32_e64 s[18:19], 4, v8
	s_and_saveexec_b64 s[24:25], s[18:19]
	s_cbranch_execnz .LBB65_519
	s_branch .LBB65_520
.LBB65_1140:
	ds_read_b64 v[23:24], v21 offset:31232
	ds_read_b64 v[25:26], v22 offset:16872
	s_waitcnt lgkmcnt(0)
	v_mul_f32_e32 v27, v26, v24
	v_mul_f32_e32 v24, v25, v24
	v_fma_f32 v25, v25, v23, -v27
	v_fmac_f32_e32 v24, v26, v23
	v_add_f32_e32 v3, v3, v25
	v_add_f32_e32 v4, v4, v24
	s_or_b64 exec, exec, s[98:99]
	s_and_saveexec_b64 s[24:25], s[12:13]
	s_cbranch_execz .LBB65_616
.LBB65_1141:
	ds_read_b64 v[23:24], v21 offset:31744
	ds_read_b64 v[25:26], v22 offset:16880
	s_waitcnt lgkmcnt(0)
	v_mul_f32_e32 v27, v26, v24
	v_mul_f32_e32 v24, v25, v24
	v_fma_f32 v25, v25, v23, -v27
	v_fmac_f32_e32 v24, v26, v23
	v_add_f32_e32 v3, v3, v25
	v_add_f32_e32 v4, v4, v24
	s_or_b64 exec, exec, s[24:25]
	v_cmp_gt_u32_e64 s[24:25], 32, v8
	s_and_saveexec_b64 s[98:99], s[24:25]
	s_cbranch_execnz .LBB65_617
	s_branch .LBB65_618
.LBB65_1142:
	ds_read_b64 v[20:21], v18 offset:15040
	ds_read_b64 v[22:23], v19 offset:14568
	s_waitcnt lgkmcnt(0)
	v_mul_f32_e32 v24, v23, v21
	v_mul_f32_e32 v21, v22, v21
	v_fma_f32 v22, v22, v20, -v24
	v_fmac_f32_e32 v21, v23, v20
	v_add_f32_e32 v3, v3, v22
	v_add_f32_e32 v4, v4, v21
	s_or_b64 exec, exec, s[20:21]
	v_cmp_gt_u32_e64 s[16:17], 8, v8
	s_and_saveexec_b64 s[20:21], s[16:17]
	s_cbranch_execz .LBB65_654
.LBB65_1143:
	ds_read_b64 v[20:21], v18 offset:15552
	ds_read_b64 v[18:19], v19 offset:14576
	s_waitcnt lgkmcnt(0)
	v_mul_f32_e32 v22, v19, v21
	v_mul_f32_e32 v21, v18, v21
	v_fma_f32 v18, v18, v20, -v22
	v_fmac_f32_e32 v21, v19, v20
	v_add_f32_e32 v3, v3, v18
	v_add_f32_e32 v4, v4, v21
	s_or_b64 exec, exec, s[20:21]
	v_cmp_gt_u32_e64 s[16:17], 4, v8
	s_and_saveexec_b64 s[20:21], s[16:17]
	s_cbranch_execnz .LBB65_655
	s_branch .LBB65_656
.LBB65_1144:
	ds_read_b64 v[20:21], v18 offset:12928
	ds_read_b64 v[22:23], v19 offset:12488
	s_waitcnt lgkmcnt(0)
	v_mul_f32_e32 v24, v23, v21
	v_mul_f32_e32 v21, v22, v21
	v_fma_f32 v22, v22, v20, -v24
	v_fmac_f32_e32 v21, v23, v20
	v_add_f32_e32 v3, v3, v22
	v_add_f32_e32 v4, v4, v21
	s_or_b64 exec, exec, s[20:21]
	v_cmp_gt_u32_e64 s[16:17], 48, v8
	s_and_saveexec_b64 s[20:21], s[16:17]
	s_cbranch_execz .LBB65_696
.LBB65_1145:
	ds_read_b64 v[20:21], v18 offset:13440
	ds_read_b64 v[22:23], v19 offset:12496
	s_waitcnt lgkmcnt(0)
	v_mul_f32_e32 v24, v23, v21
	v_mul_f32_e32 v21, v22, v21
	v_fma_f32 v22, v22, v20, -v24
	v_fmac_f32_e32 v21, v23, v20
	v_add_f32_e32 v3, v3, v22
	v_add_f32_e32 v4, v4, v21
	s_or_b64 exec, exec, s[20:21]
	v_cmp_gt_u32_e64 s[16:17], 40, v8
	s_and_saveexec_b64 s[20:21], s[16:17]
	s_cbranch_execz .LBB65_697
.LBB65_1146:
	ds_read_b64 v[20:21], v18 offset:13952
	ds_read_b64 v[22:23], v19 offset:12504
	s_waitcnt lgkmcnt(0)
	v_mul_f32_e32 v24, v23, v21
	v_mul_f32_e32 v21, v22, v21
	v_fma_f32 v22, v22, v20, -v24
	v_fmac_f32_e32 v21, v23, v20
	v_add_f32_e32 v3, v3, v22
	v_add_f32_e32 v4, v4, v21
	s_or_b64 exec, exec, s[20:21]
	v_cmp_gt_u32_e64 s[16:17], 32, v8
	s_and_saveexec_b64 s[20:21], s[16:17]
	s_cbranch_execz .LBB65_698
.LBB65_1147:
	ds_read_b64 v[20:21], v18 offset:14464
	ds_read_b64 v[22:23], v19 offset:12512
	s_waitcnt lgkmcnt(0)
	v_mul_f32_e32 v24, v23, v21
	v_mul_f32_e32 v21, v22, v21
	v_fma_f32 v22, v22, v20, -v24
	v_fmac_f32_e32 v21, v23, v20
	v_add_f32_e32 v3, v3, v22
	v_add_f32_e32 v4, v4, v21
	s_or_b64 exec, exec, s[20:21]
	v_cmp_gt_u32_e64 s[16:17], 24, v8
	s_and_saveexec_b64 s[20:21], s[16:17]
	s_cbranch_execz .LBB65_699
.LBB65_1148:
	ds_read_b64 v[20:21], v18 offset:14976
	ds_read_b64 v[22:23], v19 offset:12520
	s_waitcnt lgkmcnt(0)
	v_mul_f32_e32 v24, v23, v21
	v_mul_f32_e32 v21, v22, v21
	v_fma_f32 v22, v22, v20, -v24
	v_fmac_f32_e32 v21, v23, v20
	v_add_f32_e32 v3, v3, v22
	v_add_f32_e32 v4, v4, v21
	s_or_b64 exec, exec, s[20:21]
	s_and_saveexec_b64 s[16:17], s[10:11]
	s_cbranch_execz .LBB65_700
.LBB65_1149:
	ds_read_b64 v[20:21], v18 offset:15488
	ds_read_b64 v[18:19], v19 offset:12528
	s_waitcnt lgkmcnt(0)
	v_mul_f32_e32 v22, v19, v21
	v_mul_f32_e32 v21, v18, v21
	v_fma_f32 v18, v18, v20, -v22
	v_fmac_f32_e32 v21, v19, v20
	v_add_f32_e32 v3, v3, v18
	v_add_f32_e32 v4, v4, v21
	s_or_b64 exec, exec, s[16:17]
	v_cmp_gt_u32_e64 s[16:17], 8, v8
	s_and_saveexec_b64 s[20:21], s[16:17]
	s_cbranch_execnz .LBB65_701
	s_branch .LBB65_702
.LBB65_1150:
	ds_read_b64 v[20:21], v18 offset:10880
	ds_read_b64 v[22:23], v19 offset:10408
	s_waitcnt lgkmcnt(0)
	v_mul_f32_e32 v24, v23, v21
	v_mul_f32_e32 v21, v22, v21
	v_fma_f32 v22, v22, v20, -v24
	v_fmac_f32_e32 v21, v23, v20
	v_add_f32_e32 v3, v3, v22
	v_add_f32_e32 v4, v4, v21
	s_or_b64 exec, exec, s[20:21]
	v_cmp_gt_u32_e64 s[16:17], 8, v8
	s_and_saveexec_b64 s[20:21], s[16:17]
	s_cbranch_execz .LBB65_758
.LBB65_1151:
	ds_read_b64 v[20:21], v18 offset:11392
	ds_read_b64 v[18:19], v19 offset:10416
	s_waitcnt lgkmcnt(0)
	v_mul_f32_e32 v22, v19, v21
	v_mul_f32_e32 v21, v18, v21
	v_fma_f32 v18, v18, v20, -v22
	v_fmac_f32_e32 v21, v19, v20
	v_add_f32_e32 v3, v3, v18
	v_add_f32_e32 v4, v4, v21
	s_or_b64 exec, exec, s[20:21]
	v_cmp_gt_u32_e64 s[16:17], 4, v8
	s_and_saveexec_b64 s[20:21], s[16:17]
	s_cbranch_execnz .LBB65_759
	s_branch .LBB65_760
.LBB65_1152:
	ds_read_b64 v[20:21], v18 offset:13824
	ds_read_b64 v[22:23], v19 offset:8408
	s_waitcnt lgkmcnt(0)
	v_mul_f32_e32 v24, v23, v21
	v_mul_f32_e32 v21, v22, v21
	v_fma_f32 v22, v22, v20, -v24
	v_fmac_f32_e32 v21, v23, v20
	v_add_f32_e32 v3, v3, v22
	v_add_f32_e32 v4, v4, v21
	s_or_b64 exec, exec, s[20:21]
	s_and_saveexec_b64 s[16:17], s[12:13]
	s_cbranch_execz .LBB65_820
.LBB65_1153:
	ds_read_b64 v[20:21], v18 offset:14336
	ds_read_b64 v[22:23], v19 offset:8416
	s_waitcnt lgkmcnt(0)
	v_mul_f32_e32 v24, v23, v21
	v_mul_f32_e32 v21, v22, v21
	v_fma_f32 v22, v22, v20, -v24
	v_fmac_f32_e32 v21, v23, v20
	v_add_f32_e32 v3, v3, v22
	v_add_f32_e32 v4, v4, v21
	s_or_b64 exec, exec, s[16:17]
	v_cmp_gt_u32_e64 s[16:17], 48, v8
	s_and_saveexec_b64 s[20:21], s[16:17]
	s_cbranch_execz .LBB65_821
.LBB65_1154:
	ds_read_b64 v[20:21], v18 offset:14848
	ds_read_b64 v[22:23], v19 offset:8424
	s_waitcnt lgkmcnt(0)
	v_mul_f32_e32 v24, v23, v21
	v_mul_f32_e32 v21, v22, v21
	v_fma_f32 v22, v22, v20, -v24
	v_fmac_f32_e32 v21, v23, v20
	v_add_f32_e32 v3, v3, v22
	v_add_f32_e32 v4, v4, v21
	s_or_b64 exec, exec, s[20:21]
	v_cmp_gt_u32_e64 s[16:17], 32, v8
	s_and_saveexec_b64 s[20:21], s[16:17]
	s_cbranch_execz .LBB65_822
.LBB65_1155:
	ds_read_b64 v[20:21], v18 offset:15360
	ds_read_b64 v[18:19], v19 offset:8432
	s_waitcnt lgkmcnt(0)
	v_mul_f32_e32 v22, v19, v21
	v_mul_f32_e32 v21, v18, v21
	v_fma_f32 v18, v18, v20, -v22
	v_fmac_f32_e32 v21, v19, v20
	v_add_f32_e32 v3, v3, v18
	v_add_f32_e32 v4, v4, v21
	s_or_b64 exec, exec, s[20:21]
	v_cmp_gt_u32_e64 s[16:17], 16, v8
	s_and_saveexec_b64 s[20:21], s[16:17]
	s_cbranch_execnz .LBB65_823
	s_branch .LBB65_824
.LBB65_1156:
	ds_read_b64 v[17:18], v15 offset:6720
	ds_read_b64 v[19:20], v16 offset:6248
	s_waitcnt lgkmcnt(0)
	v_mul_f32_e32 v21, v20, v18
	v_mul_f32_e32 v18, v19, v18
	v_fma_f32 v19, v19, v17, -v21
	v_fmac_f32_e32 v18, v20, v17
	v_add_f32_e32 v3, v3, v19
	v_add_f32_e32 v4, v4, v18
	s_or_b64 exec, exec, s[16:17]
	v_cmp_gt_u32_e64 s[14:15], 8, v8
	s_and_saveexec_b64 s[16:17], s[14:15]
	s_cbranch_execz .LBB65_912
.LBB65_1157:
	ds_read_b64 v[17:18], v15 offset:7232
	ds_read_b64 v[15:16], v16 offset:6256
	s_waitcnt lgkmcnt(0)
	v_mul_f32_e32 v19, v16, v18
	v_mul_f32_e32 v18, v15, v18
	v_fma_f32 v15, v15, v17, -v19
	v_fmac_f32_e32 v18, v16, v17
	v_add_f32_e32 v3, v3, v15
	v_add_f32_e32 v4, v4, v18
	s_or_b64 exec, exec, s[16:17]
	v_cmp_gt_u32_e64 s[14:15], 4, v8
	s_and_saveexec_b64 s[16:17], s[14:15]
	s_cbranch_execnz .LBB65_913
	s_branch .LBB65_914
.LBB65_1158:
	ds_read_b64 v[17:18], v15 offset:4608
	ds_read_b64 v[19:20], v16 offset:4168
	s_waitcnt lgkmcnt(0)
	v_mul_f32_e32 v21, v20, v18
	v_mul_f32_e32 v18, v19, v18
	v_fma_f32 v19, v19, v17, -v21
	v_fmac_f32_e32 v18, v20, v17
	v_add_f32_e32 v3, v3, v19
	v_add_f32_e32 v4, v4, v18
	s_or_b64 exec, exec, s[16:17]
	v_cmp_gt_u32_e64 s[14:15], 48, v8
	s_and_saveexec_b64 s[16:17], s[14:15]
	s_cbranch_execz .LBB65_954
.LBB65_1159:
	ds_read_b64 v[17:18], v15 offset:5120
	ds_read_b64 v[19:20], v16 offset:4176
	s_waitcnt lgkmcnt(0)
	v_mul_f32_e32 v21, v20, v18
	v_mul_f32_e32 v18, v19, v18
	v_fma_f32 v19, v19, v17, -v21
	v_fmac_f32_e32 v18, v20, v17
	v_add_f32_e32 v3, v3, v19
	v_add_f32_e32 v4, v4, v18
	s_or_b64 exec, exec, s[16:17]
	v_cmp_gt_u32_e64 s[14:15], 40, v8
	s_and_saveexec_b64 s[16:17], s[14:15]
	s_cbranch_execz .LBB65_955
.LBB65_1160:
	ds_read_b64 v[17:18], v15 offset:5632
	ds_read_b64 v[19:20], v16 offset:4184
	s_waitcnt lgkmcnt(0)
	v_mul_f32_e32 v21, v20, v18
	v_mul_f32_e32 v18, v19, v18
	v_fma_f32 v19, v19, v17, -v21
	v_fmac_f32_e32 v18, v20, v17
	v_add_f32_e32 v3, v3, v19
	v_add_f32_e32 v4, v4, v18
	s_or_b64 exec, exec, s[16:17]
	v_cmp_gt_u32_e64 s[14:15], 32, v8
	s_and_saveexec_b64 s[16:17], s[14:15]
	s_cbranch_execz .LBB65_956
.LBB65_1161:
	ds_read_b64 v[17:18], v15 offset:6144
	ds_read_b64 v[19:20], v16 offset:4192
	s_waitcnt lgkmcnt(0)
	v_mul_f32_e32 v21, v20, v18
	v_mul_f32_e32 v18, v19, v18
	v_fma_f32 v19, v19, v17, -v21
	v_fmac_f32_e32 v18, v20, v17
	v_add_f32_e32 v3, v3, v19
	v_add_f32_e32 v4, v4, v18
	s_or_b64 exec, exec, s[16:17]
	v_cmp_gt_u32_e64 s[14:15], 24, v8
	s_and_saveexec_b64 s[16:17], s[14:15]
	s_cbranch_execz .LBB65_957
.LBB65_1162:
	ds_read_b64 v[17:18], v15 offset:6656
	ds_read_b64 v[19:20], v16 offset:4200
	s_waitcnt lgkmcnt(0)
	v_mul_f32_e32 v21, v20, v18
	v_mul_f32_e32 v18, v19, v18
	v_fma_f32 v19, v19, v17, -v21
	v_fmac_f32_e32 v18, v20, v17
	v_add_f32_e32 v3, v3, v19
	v_add_f32_e32 v4, v4, v18
	s_or_b64 exec, exec, s[16:17]
	s_and_saveexec_b64 s[14:15], s[10:11]
	s_cbranch_execz .LBB65_958
.LBB65_1163:
	ds_read_b64 v[17:18], v15 offset:7168
	ds_read_b64 v[15:16], v16 offset:4208
	s_waitcnt lgkmcnt(0)
	v_mul_f32_e32 v19, v16, v18
	v_mul_f32_e32 v18, v15, v18
	v_fma_f32 v15, v15, v17, -v19
	v_fmac_f32_e32 v18, v16, v17
	v_add_f32_e32 v3, v3, v15
	v_add_f32_e32 v4, v4, v18
	s_or_b64 exec, exec, s[14:15]
	v_cmp_gt_u32_e64 s[14:15], 8, v8
	s_and_saveexec_b64 s[16:17], s[14:15]
	s_cbranch_execnz .LBB65_959
	s_branch .LBB65_960
.LBB65_1164:
	ds_read_b64 v[14:15], v12 offset:2560
	ds_read_b64 v[16:17], v13 offset:2088
	s_waitcnt lgkmcnt(0)
	v_mul_f32_e32 v18, v17, v15
	v_mul_f32_e32 v15, v16, v15
	v_fma_f32 v16, v16, v14, -v18
	v_fmac_f32_e32 v15, v17, v14
	v_add_f32_e32 v3, v3, v16
	v_add_f32_e32 v4, v4, v15
	s_or_b64 exec, exec, s[14:15]
	v_cmp_gt_u32_e64 s[12:13], 8, v8
	s_and_saveexec_b64 s[14:15], s[12:13]
	s_cbranch_execz .LBB65_1016
.LBB65_1165:
	ds_read_b64 v[14:15], v12 offset:3072
	ds_read_b64 v[12:13], v13 offset:2096
	s_waitcnt lgkmcnt(0)
	v_mul_f32_e32 v16, v13, v15
	v_mul_f32_e32 v15, v12, v15
	v_fma_f32 v12, v12, v14, -v16
	v_fmac_f32_e32 v15, v13, v14
	v_add_f32_e32 v3, v3, v12
	v_add_f32_e32 v4, v4, v15
	s_or_b64 exec, exec, s[14:15]
	v_cmp_gt_u32_e64 s[12:13], 4, v8
	s_and_saveexec_b64 s[14:15], s[12:13]
	s_cbranch_execnz .LBB65_1017
	s_branch .LBB65_1018
	.section	.rodata,"a",@progbits
	.p2align	6, 0x0
	.amdhsa_kernel _ZL19rocblas_trsv_deviceILi64ELi16ELb0ELb1ELb0ELb0E19rocblas_complex_numIfES1_PKS1_PS1_EviT7_lllT6_T8_lllPii
		.amdhsa_group_segment_fixed_size 41480
		.amdhsa_private_segment_fixed_size 48
		.amdhsa_kernarg_size 352
		.amdhsa_user_sgpr_count 8
		.amdhsa_user_sgpr_private_segment_buffer 1
		.amdhsa_user_sgpr_dispatch_ptr 0
		.amdhsa_user_sgpr_queue_ptr 0
		.amdhsa_user_sgpr_kernarg_segment_ptr 1
		.amdhsa_user_sgpr_dispatch_id 0
		.amdhsa_user_sgpr_flat_scratch_init 1
		.amdhsa_user_sgpr_private_segment_size 0
		.amdhsa_uses_dynamic_stack 0
		.amdhsa_system_sgpr_private_segment_wavefront_offset 1
		.amdhsa_system_sgpr_workgroup_id_x 1
		.amdhsa_system_sgpr_workgroup_id_y 0
		.amdhsa_system_sgpr_workgroup_id_z 1
		.amdhsa_system_sgpr_workgroup_info 0
		.amdhsa_system_vgpr_workitem_id 1
		.amdhsa_next_free_vgpr 49
		.amdhsa_next_free_sgpr 100
		.amdhsa_reserve_vcc 1
		.amdhsa_reserve_flat_scratch 1
		.amdhsa_float_round_mode_32 0
		.amdhsa_float_round_mode_16_64 0
		.amdhsa_float_denorm_mode_32 3
		.amdhsa_float_denorm_mode_16_64 3
		.amdhsa_dx10_clamp 1
		.amdhsa_ieee_mode 1
		.amdhsa_fp16_overflow 0
		.amdhsa_exception_fp_ieee_invalid_op 0
		.amdhsa_exception_fp_denorm_src 0
		.amdhsa_exception_fp_ieee_div_zero 0
		.amdhsa_exception_fp_ieee_overflow 0
		.amdhsa_exception_fp_ieee_underflow 0
		.amdhsa_exception_fp_ieee_inexact 0
		.amdhsa_exception_int_div_zero 0
	.end_amdhsa_kernel
	.section	.text._ZL19rocblas_trsv_deviceILi64ELi16ELb0ELb1ELb0ELb0E19rocblas_complex_numIfES1_PKS1_PS1_EviT7_lllT6_T8_lllPii,"axG",@progbits,_ZL19rocblas_trsv_deviceILi64ELi16ELb0ELb1ELb0ELb0E19rocblas_complex_numIfES1_PKS1_PS1_EviT7_lllT6_T8_lllPii,comdat
.Lfunc_end65:
	.size	_ZL19rocblas_trsv_deviceILi64ELi16ELb0ELb1ELb0ELb0E19rocblas_complex_numIfES1_PKS1_PS1_EviT7_lllT6_T8_lllPii, .Lfunc_end65-_ZL19rocblas_trsv_deviceILi64ELi16ELb0ELb1ELb0ELb0E19rocblas_complex_numIfES1_PKS1_PS1_EviT7_lllT6_T8_lllPii
                                        ; -- End function
	.set _ZL19rocblas_trsv_deviceILi64ELi16ELb0ELb1ELb0ELb0E19rocblas_complex_numIfES1_PKS1_PS1_EviT7_lllT6_T8_lllPii.num_vgpr, 31
	.set _ZL19rocblas_trsv_deviceILi64ELi16ELb0ELb1ELb0ELb0E19rocblas_complex_numIfES1_PKS1_PS1_EviT7_lllT6_T8_lllPii.num_agpr, 0
	.set _ZL19rocblas_trsv_deviceILi64ELi16ELb0ELb1ELb0ELb0E19rocblas_complex_numIfES1_PKS1_PS1_EviT7_lllT6_T8_lllPii.numbered_sgpr, 100
	.set _ZL19rocblas_trsv_deviceILi64ELi16ELb0ELb1ELb0ELb0E19rocblas_complex_numIfES1_PKS1_PS1_EviT7_lllT6_T8_lllPii.num_named_barrier, 0
	.set _ZL19rocblas_trsv_deviceILi64ELi16ELb0ELb1ELb0ELb0E19rocblas_complex_numIfES1_PKS1_PS1_EviT7_lllT6_T8_lllPii.private_seg_size, 48
	.set _ZL19rocblas_trsv_deviceILi64ELi16ELb0ELb1ELb0ELb0E19rocblas_complex_numIfES1_PKS1_PS1_EviT7_lllT6_T8_lllPii.uses_vcc, 1
	.set _ZL19rocblas_trsv_deviceILi64ELi16ELb0ELb1ELb0ELb0E19rocblas_complex_numIfES1_PKS1_PS1_EviT7_lllT6_T8_lllPii.uses_flat_scratch, 1
	.set _ZL19rocblas_trsv_deviceILi64ELi16ELb0ELb1ELb0ELb0E19rocblas_complex_numIfES1_PKS1_PS1_EviT7_lllT6_T8_lllPii.has_dyn_sized_stack, 0
	.set _ZL19rocblas_trsv_deviceILi64ELi16ELb0ELb1ELb0ELb0E19rocblas_complex_numIfES1_PKS1_PS1_EviT7_lllT6_T8_lllPii.has_recursion, 0
	.set _ZL19rocblas_trsv_deviceILi64ELi16ELb0ELb1ELb0ELb0E19rocblas_complex_numIfES1_PKS1_PS1_EviT7_lllT6_T8_lllPii.has_indirect_call, 0
	.section	.AMDGPU.csdata,"",@progbits
; Kernel info:
; codeLenInByte = 50308
; TotalNumSgprs: 106
; NumVgprs: 31
; ScratchSize: 48
; MemoryBound: 1
; FloatMode: 240
; IeeeMode: 1
; LDSByteSize: 41480 bytes/workgroup (compile time only)
; SGPRBlocks: 13
; VGPRBlocks: 12
; NumSGPRsForWavesPerEU: 106
; NumVGPRsForWavesPerEU: 49
; Occupancy: 4
; WaveLimiterHint : 0
; COMPUTE_PGM_RSRC2:SCRATCH_EN: 1
; COMPUTE_PGM_RSRC2:USER_SGPR: 8
; COMPUTE_PGM_RSRC2:TRAP_HANDLER: 0
; COMPUTE_PGM_RSRC2:TGID_X_EN: 1
; COMPUTE_PGM_RSRC2:TGID_Y_EN: 0
; COMPUTE_PGM_RSRC2:TGID_Z_EN: 1
; COMPUTE_PGM_RSRC2:TIDIG_COMP_CNT: 1
	.section	.text._ZL19rocblas_trsv_deviceILi64ELi16ELb0ELb1ELb1ELb0E19rocblas_complex_numIfES1_PKS1_PS1_EviT7_lllT6_T8_lllPii,"axG",@progbits,_ZL19rocblas_trsv_deviceILi64ELi16ELb0ELb1ELb1ELb0E19rocblas_complex_numIfES1_PKS1_PS1_EviT7_lllT6_T8_lllPii,comdat
	.globl	_ZL19rocblas_trsv_deviceILi64ELi16ELb0ELb1ELb1ELb0E19rocblas_complex_numIfES1_PKS1_PS1_EviT7_lllT6_T8_lllPii ; -- Begin function _ZL19rocblas_trsv_deviceILi64ELi16ELb0ELb1ELb1ELb0E19rocblas_complex_numIfES1_PKS1_PS1_EviT7_lllT6_T8_lllPii
	.p2align	8
	.type	_ZL19rocblas_trsv_deviceILi64ELi16ELb0ELb1ELb1ELb0E19rocblas_complex_numIfES1_PKS1_PS1_EviT7_lllT6_T8_lllPii,@function
_ZL19rocblas_trsv_deviceILi64ELi16ELb0ELb1ELb1ELb0E19rocblas_complex_numIfES1_PKS1_PS1_EviT7_lllT6_T8_lllPii: ; @_ZL19rocblas_trsv_deviceILi64ELi16ELb0ELb1ELb1ELb0E19rocblas_complex_numIfES1_PKS1_PS1_EviT7_lllT6_T8_lllPii
; %bb.0:
	s_mov_b32 s28, s7
	s_load_dwordx8 s[20:27], s[4:5], 0x8
	s_load_dword s7, s[4:5], 0x0
	v_mov_b32_e32 v2, v1
	s_mov_b32 s29, 0
	s_waitcnt lgkmcnt(0)
	s_mul_i32 s0, s27, s28
	s_mul_hi_u32 s1, s26, s28
	s_add_i32 s1, s1, s0
	s_mul_i32 s0, s26, s28
	s_lshl_b64 s[0:1], s[0:1], 3
	s_add_u32 s2, s20, s0
	s_addc_u32 s3, s21, s1
	s_load_dwordx2 s[20:21], s[4:5], 0x28
	s_load_dword s83, s[4:5], 0x6c
	s_lshl_b64 s[0:1], s[22:23], 3
	s_add_u32 s27, s2, s0
	s_addc_u32 s82, s3, s1
	s_cmp_eq_u32 s6, 0
	s_cbranch_scc1 .LBB66_10
; %bb.1:
	s_lshl_b32 s33, s6, 6
	v_add_u32_e32 v1, s33, v0
	v_ashrrev_i32_e32 v3, 31, v1
	v_mul_lo_u32 v5, s24, v3
	v_mul_lo_u32 v6, s25, v1
	v_mad_u64_u32 v[3:4], s[0:1], s24, v1, 0
	v_add_u32_e32 v7, s33, v2
	v_subrev_u32_e32 v7, 64, v7
	v_add3_u32 v4, v4, v5, v6
	v_lshlrev_b64 v[3:4], 3, v[3:4]
	v_ashrrev_i32_e32 v8, 31, v7
	v_cmp_gt_i32_e32 vcc, s7, v1
	v_mov_b32_e32 v1, s82
	v_add_co_u32_e64 v5, s[0:1], s27, v3
	v_addc_co_u32_e64 v1, s[0:1], v1, v4, s[0:1]
	v_lshlrev_b64 v[3:4], 3, v[7:8]
	v_mov_b32_e32 v6, 0
	v_add_co_u32_e64 v11, s[0:1], v5, v3
	v_addc_co_u32_e64 v12, s[0:1], v1, v4, s[0:1]
	v_cmp_gt_i32_e64 s[0:1], s7, v7
	s_and_b64 s[2:3], s[0:1], vcc
	v_mov_b32_e32 v3, 0
	v_mov_b32_e32 v5, 0
	s_waitcnt lgkmcnt(0)
	s_barrier
	s_and_saveexec_b64 s[0:1], s[2:3]
	s_cbranch_execz .LBB66_3
; %bb.2:
	global_load_dwordx2 v[5:6], v[11:12], off
.LBB66_3:
	s_or_b64 exec, exec, s[0:1]
	v_add_u32_e32 v1, 16, v7
	v_cmp_gt_i32_e64 s[0:1], s7, v1
	s_and_b64 s[2:3], s[0:1], vcc
	v_mov_b32_e32 v4, 0
	s_waitcnt vmcnt(0)
	s_barrier
	s_and_saveexec_b64 s[0:1], s[2:3]
	s_cbranch_execz .LBB66_5
; %bb.4:
	global_load_dwordx2 v[3:4], v[11:12], off offset:128
.LBB66_5:
	s_or_b64 exec, exec, s[0:1]
	v_add_u32_e32 v1, 32, v7
	v_cmp_gt_i32_e64 s[0:1], s7, v1
	s_and_b64 s[2:3], s[0:1], vcc
	v_mov_b32_e32 v8, 0
	v_mov_b32_e32 v9, 0
	;; [unrolled: 1-line block ×3, first 2 shown]
	s_waitcnt vmcnt(0)
	s_barrier
	s_and_saveexec_b64 s[0:1], s[2:3]
	s_cbranch_execz .LBB66_7
; %bb.6:
	global_load_dwordx2 v[9:10], v[11:12], off offset:256
.LBB66_7:
	s_or_b64 exec, exec, s[0:1]
	v_add_u32_e32 v1, 48, v7
	v_cmp_gt_i32_e64 s[0:1], s7, v1
	s_and_b64 s[2:3], s[0:1], vcc
	v_mov_b32_e32 v7, 0
	s_waitcnt vmcnt(0)
	s_barrier
	s_and_saveexec_b64 s[0:1], s[2:3]
	s_cbranch_execz .LBB66_9
; %bb.8:
	global_load_dwordx2 v[7:8], v[11:12], off offset:384
.LBB66_9:
	s_or_b64 exec, exec, s[0:1]
	s_branch .LBB66_11
.LBB66_10:
                                        ; implicit-def: $vgpr8
                                        ; implicit-def: $vgpr10
                                        ; implicit-def: $vgpr4
                                        ; implicit-def: $vgpr6
	s_mov_b32 s33, s29
.LBB66_11:
	s_ashr_i32 s0, s7, 31
	s_lshr_b32 s0, s0, 26
	s_add_i32 s0, s7, s0
	s_andn2_b32 s0, s0, 63
	s_sub_i32 s26, s7, s0
	s_add_i32 s0, s7, -1
	s_ashr_i32 s1, s0, 31
	s_lshr_b32 s1, s1, 26
	s_add_i32 s0, s0, s1
	s_ashr_i32 s0, s0, 6
	s_cmp_eq_u32 s0, s6
	s_cselect_b64 s[0:1], -1, 0
	s_cmp_lg_u32 s26, 0
	s_cselect_b64 s[2:3], -1, 0
	s_and_b64 s[22:23], s[2:3], s[0:1]
	s_cmp_lt_i32 s6, 5
	s_cselect_b64 s[2:3], -1, 0
	s_or_b64 s[0:1], s[2:3], s[22:23]
	s_ashr_i32 s40, s33, 31
	s_add_u32 s10, s24, 1
	v_mov_b32_e32 v1, 0
	v_mov_b32_e32 v11, s33
	v_mad_u64_u32 v[11:12], s[8:9], s10, v11, v[0:1]
	s_addc_u32 s11, s25, 0
	s_mul_i32 s8, s10, s40
	s_mul_i32 s11, s11, s33
	v_lshlrev_b32_e32 v17, 6, v0
	s_add_i32 s8, s8, s11
	s_mov_b64 s[12:13], -1
	v_add_u32_e32 v12, s8, v12
	s_and_b64 vcc, exec, s[22:23]
	v_add_u32_e32 v18, v2, v17
	v_cmp_le_u32_e64 s[8:9], v2, v0
	v_lshl_add_u32 v1, v2, 6, v0
	s_cbranch_vccnz .LBB66_69
; %bb.12:
	v_mad_u64_u32 v[13:14], s[10:11], s24, v2, v[11:12]
	v_cndmask_b32_e64 v19, v1, v18, s[2:3]
	v_mad_u64_u32 v[14:15], s[10:11], s25, v2, v[14:15]
	s_and_saveexec_b64 s[2:3], s[8:9]
	s_xor_b64 s[2:3], exec, s[2:3]
	s_cbranch_execz .LBB66_24
; %bb.13:
	v_cmp_ne_u32_e32 vcc, v0, v2
	s_and_saveexec_b64 s[8:9], vcc
	s_xor_b64 s[8:9], exec, s[8:9]
	s_cbranch_execz .LBB66_17
; %bb.14:
	v_or_b32_e32 v13, v2, v0
	v_cmp_gt_u32_e32 vcc, 64, v13
	s_and_saveexec_b64 s[10:11], vcc
; %bb.15:
	v_mov_b32_e32 v13, 0
	v_lshlrev_b32_e32 v15, 3, v19
	v_mov_b32_e32 v14, v13
	ds_write_b64 v15, v[13:14]
; %bb.16:
	s_or_b64 exec, exec, s[10:11]
                                        ; implicit-def: $vgpr19
                                        ; implicit-def: $vgpr13_vgpr14
.LBB66_17:
	s_andn2_saveexec_b64 s[8:9], s[8:9]
	s_cbranch_execz .LBB66_23
; %bb.18:
	v_lshlrev_b64 v[13:14], 3, v[13:14]
	v_mov_b32_e32 v15, s82
	v_add_co_u32_e32 v13, vcc, s27, v13
	v_addc_co_u32_e32 v14, vcc, v15, v14, vcc
	global_load_dwordx2 v[13:14], v[13:14], off
                                        ; implicit-def: $vgpr15
	s_waitcnt vmcnt(0)
	v_cmp_ngt_f32_e64 s[10:11], |v13|, |v14|
	s_and_saveexec_b64 s[12:13], s[10:11]
	s_xor_b64 s[10:11], exec, s[12:13]
	s_cbranch_execz .LBB66_20
; %bb.19:
	v_div_scale_f32 v15, s[12:13], -v14, -v14, v13
	v_div_scale_f32 v16, vcc, v13, -v14, v13
	v_rcp_f32_e32 v20, v15
	v_fma_f32 v21, -v15, v20, 1.0
	v_fmac_f32_e32 v20, v21, v20
	v_mul_f32_e32 v21, v16, v20
	v_fma_f32 v22, -v15, v21, v16
	v_fmac_f32_e32 v21, v22, v20
	v_fma_f32 v15, -v15, v21, v16
	v_div_fmas_f32 v15, v15, v20, v21
	v_div_fixup_f32 v15, v15, -v14, v13
	v_fma_f32 v13, v13, v15, -v14
	v_div_scale_f32 v14, s[12:13], v13, v13, 1.0
	v_div_scale_f32 v16, vcc, 1.0, v13, 1.0
	v_rcp_f32_e32 v20, v14
	v_fma_f32 v21, -v14, v20, 1.0
	v_fmac_f32_e32 v20, v21, v20
	v_mul_f32_e32 v21, v16, v20
	v_fma_f32 v22, -v14, v21, v16
	v_fmac_f32_e32 v21, v22, v20
	v_fma_f32 v14, -v14, v21, v16
	v_div_fmas_f32 v14, v14, v20, v21
	v_div_fixup_f32 v13, v14, v13, 1.0
	v_mul_f32_e32 v15, v15, v13
	v_xor_b32_e32 v16, 0x80000000, v13
                                        ; implicit-def: $vgpr13_vgpr14
.LBB66_20:
	s_andn2_saveexec_b64 s[10:11], s[10:11]
	s_cbranch_execz .LBB66_22
; %bb.21:
	v_div_scale_f32 v15, s[12:13], v13, v13, -v14
	v_div_scale_f32 v16, vcc, -v14, v13, -v14
	v_rcp_f32_e32 v20, v15
	v_fma_f32 v21, -v15, v20, 1.0
	v_fmac_f32_e32 v20, v21, v20
	v_mul_f32_e32 v21, v16, v20
	v_fma_f32 v22, -v15, v21, v16
	v_fmac_f32_e32 v21, v22, v20
	v_fma_f32 v15, -v15, v21, v16
	v_div_fmas_f32 v15, v15, v20, v21
	v_div_fixup_f32 v16, v15, v13, -v14
	v_fma_f32 v13, -v14, v16, v13
	v_div_scale_f32 v14, s[12:13], v13, v13, 1.0
	v_div_scale_f32 v15, vcc, 1.0, v13, 1.0
	v_rcp_f32_e32 v20, v14
	v_fma_f32 v21, -v14, v20, 1.0
	v_fmac_f32_e32 v20, v21, v20
	v_mul_f32_e32 v21, v15, v20
	v_fma_f32 v22, -v14, v21, v15
	v_fmac_f32_e32 v21, v22, v20
	v_fma_f32 v14, -v14, v21, v15
	v_div_fmas_f32 v14, v14, v20, v21
	v_div_fixup_f32 v15, v14, v13, 1.0
	v_mul_f32_e64 v16, v16, -v15
.LBB66_22:
	s_or_b64 exec, exec, s[10:11]
	v_lshlrev_b32_e32 v13, 3, v19
	ds_write_b64 v13, v[15:16]
.LBB66_23:
	s_or_b64 exec, exec, s[8:9]
                                        ; implicit-def: $vgpr13_vgpr14
                                        ; implicit-def: $vgpr19
.LBB66_24:
	s_andn2_saveexec_b64 s[2:3], s[2:3]
	s_cbranch_execz .LBB66_26
; %bb.25:
	v_lshlrev_b64 v[13:14], 3, v[13:14]
	v_mov_b32_e32 v15, s82
	v_add_co_u32_e32 v13, vcc, s27, v13
	v_addc_co_u32_e32 v14, vcc, v15, v14, vcc
	global_load_dwordx2 v[13:14], v[13:14], off
	v_lshlrev_b32_e32 v15, 3, v19
	s_waitcnt vmcnt(0)
	v_xor_b32_e32 v13, 0x80000000, v13
	ds_write_b64 v15, v[13:14]
.LBB66_26:
	s_or_b64 exec, exec, s[2:3]
	v_add_u32_e32 v15, 16, v2
	v_mad_u64_u32 v[13:14], s[2:3], s24, v15, v[11:12]
	v_lshl_add_u32 v16, v15, 6, v0
	v_cmp_le_u32_e32 vcc, v15, v0
	v_mad_u64_u32 v[20:21], s[2:3], s25, v15, v[14:15]
	v_add_u32_e32 v14, v15, v17
	v_cndmask_b32_e64 v19, v16, v14, s[0:1]
	v_mov_b32_e32 v14, v20
	s_and_saveexec_b64 s[2:3], vcc
	s_xor_b64 s[2:3], exec, s[2:3]
	s_cbranch_execz .LBB66_38
; %bb.27:
	v_cmp_ne_u32_e32 vcc, v0, v15
	s_and_saveexec_b64 s[8:9], vcc
	s_xor_b64 s[8:9], exec, s[8:9]
	s_cbranch_execz .LBB66_31
; %bb.28:
	v_or_b32_e32 v13, v15, v0
	v_cmp_gt_u32_e32 vcc, 64, v13
	s_and_saveexec_b64 s[10:11], vcc
; %bb.29:
	v_mov_b32_e32 v13, 0
	v_lshlrev_b32_e32 v15, 3, v19
	v_mov_b32_e32 v14, v13
	ds_write_b64 v15, v[13:14]
; %bb.30:
	s_or_b64 exec, exec, s[10:11]
                                        ; implicit-def: $vgpr19
                                        ; implicit-def: $vgpr13_vgpr14
.LBB66_31:
	s_andn2_saveexec_b64 s[8:9], s[8:9]
	s_cbranch_execz .LBB66_37
; %bb.32:
	v_lshlrev_b64 v[13:14], 3, v[13:14]
	v_mov_b32_e32 v15, s82
	v_add_co_u32_e32 v13, vcc, s27, v13
	v_addc_co_u32_e32 v14, vcc, v15, v14, vcc
	global_load_dwordx2 v[13:14], v[13:14], off
                                        ; implicit-def: $vgpr15
	s_waitcnt vmcnt(0)
	v_cmp_ngt_f32_e64 s[10:11], |v13|, |v14|
	s_and_saveexec_b64 s[12:13], s[10:11]
	s_xor_b64 s[10:11], exec, s[12:13]
	s_cbranch_execz .LBB66_34
; %bb.33:
	v_div_scale_f32 v15, s[12:13], -v14, -v14, v13
	v_div_scale_f32 v16, vcc, v13, -v14, v13
	v_rcp_f32_e32 v20, v15
	v_fma_f32 v21, -v15, v20, 1.0
	v_fmac_f32_e32 v20, v21, v20
	v_mul_f32_e32 v21, v16, v20
	v_fma_f32 v22, -v15, v21, v16
	v_fmac_f32_e32 v21, v22, v20
	v_fma_f32 v15, -v15, v21, v16
	v_div_fmas_f32 v15, v15, v20, v21
	v_div_fixup_f32 v15, v15, -v14, v13
	v_fma_f32 v13, v13, v15, -v14
	v_div_scale_f32 v14, s[12:13], v13, v13, 1.0
	v_div_scale_f32 v16, vcc, 1.0, v13, 1.0
	v_rcp_f32_e32 v20, v14
	v_fma_f32 v21, -v14, v20, 1.0
	v_fmac_f32_e32 v20, v21, v20
	v_mul_f32_e32 v21, v16, v20
	v_fma_f32 v22, -v14, v21, v16
	v_fmac_f32_e32 v21, v22, v20
	v_fma_f32 v14, -v14, v21, v16
	v_div_fmas_f32 v14, v14, v20, v21
	v_div_fixup_f32 v13, v14, v13, 1.0
	v_mul_f32_e32 v15, v15, v13
	v_xor_b32_e32 v16, 0x80000000, v13
                                        ; implicit-def: $vgpr13_vgpr14
.LBB66_34:
	s_andn2_saveexec_b64 s[10:11], s[10:11]
	s_cbranch_execz .LBB66_36
; %bb.35:
	v_div_scale_f32 v15, s[12:13], v13, v13, -v14
	v_div_scale_f32 v16, vcc, -v14, v13, -v14
	v_rcp_f32_e32 v20, v15
	v_fma_f32 v21, -v15, v20, 1.0
	v_fmac_f32_e32 v20, v21, v20
	v_mul_f32_e32 v21, v16, v20
	v_fma_f32 v22, -v15, v21, v16
	v_fmac_f32_e32 v21, v22, v20
	v_fma_f32 v15, -v15, v21, v16
	v_div_fmas_f32 v15, v15, v20, v21
	v_div_fixup_f32 v16, v15, v13, -v14
	v_fma_f32 v13, -v14, v16, v13
	v_div_scale_f32 v14, s[12:13], v13, v13, 1.0
	v_div_scale_f32 v15, vcc, 1.0, v13, 1.0
	v_rcp_f32_e32 v20, v14
	v_fma_f32 v21, -v14, v20, 1.0
	v_fmac_f32_e32 v20, v21, v20
	v_mul_f32_e32 v21, v15, v20
	v_fma_f32 v22, -v14, v21, v15
	v_fmac_f32_e32 v21, v22, v20
	v_fma_f32 v14, -v14, v21, v15
	v_div_fmas_f32 v14, v14, v20, v21
	v_div_fixup_f32 v15, v14, v13, 1.0
	v_mul_f32_e64 v16, v16, -v15
.LBB66_36:
	s_or_b64 exec, exec, s[10:11]
	v_lshlrev_b32_e32 v13, 3, v19
	ds_write_b64 v13, v[15:16]
.LBB66_37:
	s_or_b64 exec, exec, s[8:9]
                                        ; implicit-def: $vgpr13_vgpr14
                                        ; implicit-def: $vgpr19
.LBB66_38:
	s_andn2_saveexec_b64 s[2:3], s[2:3]
	s_cbranch_execz .LBB66_40
; %bb.39:
	v_lshlrev_b64 v[13:14], 3, v[13:14]
	v_mov_b32_e32 v15, s82
	v_add_co_u32_e32 v13, vcc, s27, v13
	v_addc_co_u32_e32 v14, vcc, v15, v14, vcc
	global_load_dwordx2 v[13:14], v[13:14], off
	v_lshlrev_b32_e32 v15, 3, v19
	s_waitcnt vmcnt(0)
	v_xor_b32_e32 v13, 0x80000000, v13
	ds_write_b64 v15, v[13:14]
.LBB66_40:
	s_or_b64 exec, exec, s[2:3]
	v_add_u32_e32 v15, 32, v2
	v_mad_u64_u32 v[13:14], s[2:3], s24, v15, v[11:12]
	v_lshl_add_u32 v16, v15, 6, v0
	v_cmp_le_u32_e32 vcc, v15, v0
	v_mad_u64_u32 v[20:21], s[2:3], s25, v15, v[14:15]
	v_add_u32_e32 v14, v15, v17
	v_cndmask_b32_e64 v19, v16, v14, s[0:1]
	v_mov_b32_e32 v14, v20
	s_and_saveexec_b64 s[2:3], vcc
	s_xor_b64 s[2:3], exec, s[2:3]
	s_cbranch_execz .LBB66_52
; %bb.41:
	v_cmp_ne_u32_e32 vcc, v0, v15
	s_and_saveexec_b64 s[8:9], vcc
	s_xor_b64 s[8:9], exec, s[8:9]
	s_cbranch_execz .LBB66_45
; %bb.42:
	v_or_b32_e32 v13, v15, v0
	v_cmp_gt_u32_e32 vcc, 64, v13
	s_and_saveexec_b64 s[10:11], vcc
; %bb.43:
	v_mov_b32_e32 v13, 0
	v_lshlrev_b32_e32 v15, 3, v19
	v_mov_b32_e32 v14, v13
	ds_write_b64 v15, v[13:14]
; %bb.44:
	s_or_b64 exec, exec, s[10:11]
                                        ; implicit-def: $vgpr19
                                        ; implicit-def: $vgpr13_vgpr14
.LBB66_45:
	s_andn2_saveexec_b64 s[8:9], s[8:9]
	s_cbranch_execz .LBB66_51
; %bb.46:
	v_lshlrev_b64 v[13:14], 3, v[13:14]
	v_mov_b32_e32 v15, s82
	v_add_co_u32_e32 v13, vcc, s27, v13
	v_addc_co_u32_e32 v14, vcc, v15, v14, vcc
	global_load_dwordx2 v[13:14], v[13:14], off
                                        ; implicit-def: $vgpr15
	s_waitcnt vmcnt(0)
	v_cmp_ngt_f32_e64 s[10:11], |v13|, |v14|
	s_and_saveexec_b64 s[12:13], s[10:11]
	s_xor_b64 s[10:11], exec, s[12:13]
	s_cbranch_execz .LBB66_48
; %bb.47:
	v_div_scale_f32 v15, s[12:13], -v14, -v14, v13
	v_div_scale_f32 v16, vcc, v13, -v14, v13
	v_rcp_f32_e32 v20, v15
	v_fma_f32 v21, -v15, v20, 1.0
	v_fmac_f32_e32 v20, v21, v20
	v_mul_f32_e32 v21, v16, v20
	v_fma_f32 v22, -v15, v21, v16
	v_fmac_f32_e32 v21, v22, v20
	v_fma_f32 v15, -v15, v21, v16
	v_div_fmas_f32 v15, v15, v20, v21
	v_div_fixup_f32 v15, v15, -v14, v13
	v_fma_f32 v13, v13, v15, -v14
	v_div_scale_f32 v14, s[12:13], v13, v13, 1.0
	v_div_scale_f32 v16, vcc, 1.0, v13, 1.0
	v_rcp_f32_e32 v20, v14
	v_fma_f32 v21, -v14, v20, 1.0
	v_fmac_f32_e32 v20, v21, v20
	v_mul_f32_e32 v21, v16, v20
	v_fma_f32 v22, -v14, v21, v16
	v_fmac_f32_e32 v21, v22, v20
	v_fma_f32 v14, -v14, v21, v16
	v_div_fmas_f32 v14, v14, v20, v21
	v_div_fixup_f32 v13, v14, v13, 1.0
	v_mul_f32_e32 v15, v15, v13
	v_xor_b32_e32 v16, 0x80000000, v13
                                        ; implicit-def: $vgpr13_vgpr14
.LBB66_48:
	s_andn2_saveexec_b64 s[10:11], s[10:11]
	s_cbranch_execz .LBB66_50
; %bb.49:
	v_div_scale_f32 v15, s[12:13], v13, v13, -v14
	v_div_scale_f32 v16, vcc, -v14, v13, -v14
	v_rcp_f32_e32 v20, v15
	v_fma_f32 v21, -v15, v20, 1.0
	v_fmac_f32_e32 v20, v21, v20
	v_mul_f32_e32 v21, v16, v20
	v_fma_f32 v22, -v15, v21, v16
	v_fmac_f32_e32 v21, v22, v20
	v_fma_f32 v15, -v15, v21, v16
	v_div_fmas_f32 v15, v15, v20, v21
	v_div_fixup_f32 v16, v15, v13, -v14
	v_fma_f32 v13, -v14, v16, v13
	v_div_scale_f32 v14, s[12:13], v13, v13, 1.0
	v_div_scale_f32 v15, vcc, 1.0, v13, 1.0
	v_rcp_f32_e32 v20, v14
	v_fma_f32 v21, -v14, v20, 1.0
	v_fmac_f32_e32 v20, v21, v20
	v_mul_f32_e32 v21, v15, v20
	v_fma_f32 v22, -v14, v21, v15
	v_fmac_f32_e32 v21, v22, v20
	v_fma_f32 v14, -v14, v21, v15
	v_div_fmas_f32 v14, v14, v20, v21
	v_div_fixup_f32 v15, v14, v13, 1.0
	v_mul_f32_e64 v16, v16, -v15
.LBB66_50:
	s_or_b64 exec, exec, s[10:11]
	v_lshlrev_b32_e32 v13, 3, v19
	ds_write_b64 v13, v[15:16]
.LBB66_51:
	s_or_b64 exec, exec, s[8:9]
                                        ; implicit-def: $vgpr13_vgpr14
                                        ; implicit-def: $vgpr19
.LBB66_52:
	s_andn2_saveexec_b64 s[2:3], s[2:3]
	s_cbranch_execz .LBB66_54
; %bb.53:
	v_lshlrev_b64 v[13:14], 3, v[13:14]
	v_mov_b32_e32 v15, s82
	v_add_co_u32_e32 v13, vcc, s27, v13
	v_addc_co_u32_e32 v14, vcc, v15, v14, vcc
	global_load_dwordx2 v[13:14], v[13:14], off
	v_lshlrev_b32_e32 v15, 3, v19
	s_waitcnt vmcnt(0)
	v_xor_b32_e32 v13, 0x80000000, v13
	ds_write_b64 v15, v[13:14]
.LBB66_54:
	s_or_b64 exec, exec, s[2:3]
	v_add_u32_e32 v15, 48, v2
	v_mad_u64_u32 v[13:14], s[2:3], s24, v15, v[11:12]
	v_lshl_add_u32 v16, v15, 6, v0
	v_cmp_le_u32_e32 vcc, v15, v0
	v_mad_u64_u32 v[20:21], s[2:3], s25, v15, v[14:15]
	v_add_u32_e32 v14, v15, v17
	v_cndmask_b32_e64 v19, v16, v14, s[0:1]
	v_mov_b32_e32 v14, v20
	s_and_saveexec_b64 s[2:3], vcc
	s_xor_b64 s[2:3], exec, s[2:3]
	s_cbranch_execz .LBB66_66
; %bb.55:
	v_cmp_ne_u32_e32 vcc, v0, v15
	s_and_saveexec_b64 s[8:9], vcc
	s_xor_b64 s[8:9], exec, s[8:9]
	s_cbranch_execz .LBB66_59
; %bb.56:
	v_or_b32_e32 v13, v15, v0
	v_cmp_gt_u32_e32 vcc, 64, v13
	s_and_saveexec_b64 s[10:11], vcc
; %bb.57:
	v_mov_b32_e32 v13, 0
	v_lshlrev_b32_e32 v15, 3, v19
	v_mov_b32_e32 v14, v13
	ds_write_b64 v15, v[13:14]
; %bb.58:
	s_or_b64 exec, exec, s[10:11]
                                        ; implicit-def: $vgpr19
                                        ; implicit-def: $vgpr13_vgpr14
.LBB66_59:
	s_andn2_saveexec_b64 s[8:9], s[8:9]
	s_cbranch_execz .LBB66_65
; %bb.60:
	v_lshlrev_b64 v[13:14], 3, v[13:14]
	v_mov_b32_e32 v15, s82
	v_add_co_u32_e32 v13, vcc, s27, v13
	v_addc_co_u32_e32 v14, vcc, v15, v14, vcc
	global_load_dwordx2 v[13:14], v[13:14], off
                                        ; implicit-def: $vgpr15
	s_waitcnt vmcnt(0)
	v_cmp_ngt_f32_e64 s[10:11], |v13|, |v14|
	s_and_saveexec_b64 s[12:13], s[10:11]
	s_xor_b64 s[10:11], exec, s[12:13]
	s_cbranch_execz .LBB66_62
; %bb.61:
	v_div_scale_f32 v15, s[12:13], -v14, -v14, v13
	v_div_scale_f32 v16, vcc, v13, -v14, v13
	v_rcp_f32_e32 v20, v15
	v_fma_f32 v21, -v15, v20, 1.0
	v_fmac_f32_e32 v20, v21, v20
	v_mul_f32_e32 v21, v16, v20
	v_fma_f32 v22, -v15, v21, v16
	v_fmac_f32_e32 v21, v22, v20
	v_fma_f32 v15, -v15, v21, v16
	v_div_fmas_f32 v15, v15, v20, v21
	v_div_fixup_f32 v15, v15, -v14, v13
	v_fma_f32 v13, v13, v15, -v14
	v_div_scale_f32 v14, s[12:13], v13, v13, 1.0
	v_div_scale_f32 v16, vcc, 1.0, v13, 1.0
	v_rcp_f32_e32 v20, v14
	v_fma_f32 v21, -v14, v20, 1.0
	v_fmac_f32_e32 v20, v21, v20
	v_mul_f32_e32 v21, v16, v20
	v_fma_f32 v22, -v14, v21, v16
	v_fmac_f32_e32 v21, v22, v20
	v_fma_f32 v14, -v14, v21, v16
	v_div_fmas_f32 v14, v14, v20, v21
	v_div_fixup_f32 v13, v14, v13, 1.0
	v_mul_f32_e32 v15, v15, v13
	v_xor_b32_e32 v16, 0x80000000, v13
                                        ; implicit-def: $vgpr13_vgpr14
.LBB66_62:
	s_andn2_saveexec_b64 s[10:11], s[10:11]
	s_cbranch_execz .LBB66_64
; %bb.63:
	v_div_scale_f32 v15, s[12:13], v13, v13, -v14
	v_div_scale_f32 v16, vcc, -v14, v13, -v14
	v_rcp_f32_e32 v20, v15
	v_fma_f32 v21, -v15, v20, 1.0
	v_fmac_f32_e32 v20, v21, v20
	v_mul_f32_e32 v21, v16, v20
	v_fma_f32 v22, -v15, v21, v16
	v_fmac_f32_e32 v21, v22, v20
	v_fma_f32 v15, -v15, v21, v16
	v_div_fmas_f32 v15, v15, v20, v21
	v_div_fixup_f32 v16, v15, v13, -v14
	v_fma_f32 v13, -v14, v16, v13
	v_div_scale_f32 v14, s[12:13], v13, v13, 1.0
	v_div_scale_f32 v15, vcc, 1.0, v13, 1.0
	v_rcp_f32_e32 v20, v14
	v_fma_f32 v21, -v14, v20, 1.0
	v_fmac_f32_e32 v20, v21, v20
	v_mul_f32_e32 v21, v15, v20
	v_fma_f32 v22, -v14, v21, v15
	v_fmac_f32_e32 v21, v22, v20
	v_fma_f32 v14, -v14, v21, v15
	v_div_fmas_f32 v14, v14, v20, v21
	v_div_fixup_f32 v15, v14, v13, 1.0
	v_mul_f32_e64 v16, v16, -v15
.LBB66_64:
	s_or_b64 exec, exec, s[10:11]
	v_lshlrev_b32_e32 v13, 3, v19
	ds_write_b64 v13, v[15:16]
.LBB66_65:
	s_or_b64 exec, exec, s[8:9]
                                        ; implicit-def: $vgpr13_vgpr14
                                        ; implicit-def: $vgpr19
.LBB66_66:
	s_andn2_saveexec_b64 s[2:3], s[2:3]
	s_cbranch_execz .LBB66_68
; %bb.67:
	v_lshlrev_b64 v[13:14], 3, v[13:14]
	v_mov_b32_e32 v15, s82
	v_add_co_u32_e32 v13, vcc, s27, v13
	v_addc_co_u32_e32 v14, vcc, v15, v14, vcc
	global_load_dwordx2 v[13:14], v[13:14], off
	v_lshlrev_b32_e32 v15, 3, v19
	s_waitcnt vmcnt(0)
	v_xor_b32_e32 v13, 0x80000000, v13
	ds_write_b64 v15, v[13:14]
.LBB66_68:
	s_or_b64 exec, exec, s[2:3]
	s_mov_b64 s[12:13], 0
.LBB66_69:
	s_xor_b64 s[10:11], s[0:1], -1
	s_and_b64 vcc, exec, s[12:13]
	s_cbranch_vccz .LBB66_127
; %bb.70:
	v_mad_u64_u32 v[13:14], s[2:3], s24, v2, v[11:12]
	v_cmp_le_u32_e32 vcc, v2, v0
	v_cmp_gt_i32_e64 s[2:3], s26, v0
	v_mad_u64_u32 v[14:15], s[8:9], s25, v2, v[14:15]
	v_max_i32_e32 v15, v2, v0
	v_cmp_le_i32_e64 s[8:9], s26, v15
	s_or_b64 s[8:9], s[8:9], vcc
	s_and_saveexec_b64 s[12:13], s[8:9]
	s_xor_b64 s[8:9], exec, s[12:13]
	s_cbranch_execz .LBB66_82
; %bb.71:
	v_cmp_ne_u32_e32 vcc, v0, v2
	s_xor_b64 s[12:13], s[2:3], -1
	s_or_b64 s[12:13], s[12:13], vcc
	s_and_saveexec_b64 s[14:15], s[12:13]
	s_xor_b64 s[12:13], exec, s[14:15]
	s_cbranch_execz .LBB66_75
; %bb.72:
	v_or_b32_e32 v13, v2, v0
	v_cmp_gt_u32_e32 vcc, 64, v13
	s_and_saveexec_b64 s[14:15], vcc
; %bb.73:
	v_mov_b32_e32 v13, 0
	v_lshlrev_b32_e32 v15, 3, v18
	v_mov_b32_e32 v14, v13
	ds_write_b64 v15, v[13:14]
; %bb.74:
	s_or_b64 exec, exec, s[14:15]
                                        ; implicit-def: $vgpr18
                                        ; implicit-def: $vgpr13_vgpr14
.LBB66_75:
	s_andn2_saveexec_b64 s[12:13], s[12:13]
	s_cbranch_execz .LBB66_81
; %bb.76:
	v_lshlrev_b64 v[13:14], 3, v[13:14]
	v_mov_b32_e32 v15, s82
	v_add_co_u32_e32 v13, vcc, s27, v13
	v_addc_co_u32_e32 v14, vcc, v15, v14, vcc
	global_load_dwordx2 v[13:14], v[13:14], off
                                        ; implicit-def: $vgpr15
	s_waitcnt vmcnt(0)
	v_cmp_ngt_f32_e64 s[14:15], |v13|, |v14|
	s_and_saveexec_b64 s[16:17], s[14:15]
	s_xor_b64 s[14:15], exec, s[16:17]
	s_cbranch_execz .LBB66_78
; %bb.77:
	v_div_scale_f32 v15, s[16:17], -v14, -v14, v13
	v_div_scale_f32 v16, vcc, v13, -v14, v13
	v_rcp_f32_e32 v19, v15
	v_fma_f32 v20, -v15, v19, 1.0
	v_fmac_f32_e32 v19, v20, v19
	v_mul_f32_e32 v20, v16, v19
	v_fma_f32 v21, -v15, v20, v16
	v_fmac_f32_e32 v20, v21, v19
	v_fma_f32 v15, -v15, v20, v16
	v_div_fmas_f32 v15, v15, v19, v20
	v_div_fixup_f32 v15, v15, -v14, v13
	v_fma_f32 v13, v13, v15, -v14
	v_div_scale_f32 v14, s[16:17], v13, v13, 1.0
	v_div_scale_f32 v16, vcc, 1.0, v13, 1.0
	v_rcp_f32_e32 v19, v14
	v_fma_f32 v20, -v14, v19, 1.0
	v_fmac_f32_e32 v19, v20, v19
	v_mul_f32_e32 v20, v16, v19
	v_fma_f32 v21, -v14, v20, v16
	v_fmac_f32_e32 v20, v21, v19
	v_fma_f32 v14, -v14, v20, v16
	v_div_fmas_f32 v14, v14, v19, v20
	v_div_fixup_f32 v13, v14, v13, 1.0
	v_mul_f32_e32 v15, v15, v13
	v_xor_b32_e32 v16, 0x80000000, v13
                                        ; implicit-def: $vgpr13_vgpr14
.LBB66_78:
	s_andn2_saveexec_b64 s[14:15], s[14:15]
	s_cbranch_execz .LBB66_80
; %bb.79:
	v_div_scale_f32 v15, s[16:17], v13, v13, -v14
	v_div_scale_f32 v16, vcc, -v14, v13, -v14
	v_rcp_f32_e32 v19, v15
	v_fma_f32 v20, -v15, v19, 1.0
	v_fmac_f32_e32 v19, v20, v19
	v_mul_f32_e32 v20, v16, v19
	v_fma_f32 v21, -v15, v20, v16
	v_fmac_f32_e32 v20, v21, v19
	v_fma_f32 v15, -v15, v20, v16
	v_div_fmas_f32 v15, v15, v19, v20
	v_div_fixup_f32 v16, v15, v13, -v14
	v_fma_f32 v13, -v14, v16, v13
	v_div_scale_f32 v14, s[16:17], v13, v13, 1.0
	v_div_scale_f32 v15, vcc, 1.0, v13, 1.0
	v_rcp_f32_e32 v19, v14
	v_fma_f32 v20, -v14, v19, 1.0
	v_fmac_f32_e32 v19, v20, v19
	v_mul_f32_e32 v20, v15, v19
	v_fma_f32 v21, -v14, v20, v15
	v_fmac_f32_e32 v20, v21, v19
	v_fma_f32 v14, -v14, v20, v15
	v_div_fmas_f32 v14, v14, v19, v20
	v_div_fixup_f32 v15, v14, v13, 1.0
	v_mul_f32_e64 v16, v16, -v15
.LBB66_80:
	s_or_b64 exec, exec, s[14:15]
	v_lshlrev_b32_e32 v13, 3, v18
	ds_write_b64 v13, v[15:16]
.LBB66_81:
	s_or_b64 exec, exec, s[12:13]
                                        ; implicit-def: $vgpr13_vgpr14
                                        ; implicit-def: $vgpr18
.LBB66_82:
	s_andn2_saveexec_b64 s[8:9], s[8:9]
	s_cbranch_execz .LBB66_84
; %bb.83:
	v_lshlrev_b64 v[13:14], 3, v[13:14]
	v_mov_b32_e32 v15, s82
	v_add_co_u32_e32 v13, vcc, s27, v13
	v_addc_co_u32_e32 v14, vcc, v15, v14, vcc
	global_load_dwordx2 v[13:14], v[13:14], off
	v_lshlrev_b32_e32 v15, 3, v18
	s_waitcnt vmcnt(0)
	v_xor_b32_e32 v13, 0x80000000, v13
	ds_write_b64 v15, v[13:14]
.LBB66_84:
	s_or_b64 exec, exec, s[8:9]
	v_add_u32_e32 v15, 16, v2
	v_mad_u64_u32 v[13:14], s[8:9], s24, v15, v[11:12]
	v_cmp_gt_u32_e32 vcc, v15, v0
	v_add_u32_e32 v16, v15, v17
	v_mad_u64_u32 v[19:20], s[8:9], s25, v15, v[14:15]
	v_cmp_gt_i32_e64 s[8:9], s26, v15
	s_and_b64 s[8:9], vcc, s[8:9]
	v_lshl_add_u32 v14, v15, 6, v0
	s_and_b64 s[8:9], s[2:3], s[8:9]
	v_cndmask_b32_e64 v18, v14, v16, s[0:1]
	v_mov_b32_e32 v14, v19
	s_xor_b64 s[8:9], s[8:9], -1
	s_and_saveexec_b64 s[12:13], s[8:9]
	s_xor_b64 s[8:9], exec, s[12:13]
	s_cbranch_execz .LBB66_96
; %bb.85:
	v_cmp_ne_u32_e32 vcc, v0, v15
	s_xor_b64 s[12:13], s[2:3], -1
	s_or_b64 s[12:13], s[12:13], vcc
	s_and_saveexec_b64 s[14:15], s[12:13]
	s_xor_b64 s[12:13], exec, s[14:15]
	s_cbranch_execz .LBB66_89
; %bb.86:
	v_or_b32_e32 v13, v15, v0
	v_cmp_gt_u32_e32 vcc, 64, v13
	s_and_saveexec_b64 s[14:15], vcc
; %bb.87:
	v_mov_b32_e32 v13, 0
	v_lshlrev_b32_e32 v15, 3, v18
	v_mov_b32_e32 v14, v13
	ds_write_b64 v15, v[13:14]
; %bb.88:
	s_or_b64 exec, exec, s[14:15]
                                        ; implicit-def: $vgpr18
                                        ; implicit-def: $vgpr13_vgpr14
.LBB66_89:
	s_andn2_saveexec_b64 s[12:13], s[12:13]
	s_cbranch_execz .LBB66_95
; %bb.90:
	v_lshlrev_b64 v[13:14], 3, v[13:14]
	v_mov_b32_e32 v15, s82
	v_add_co_u32_e32 v13, vcc, s27, v13
	v_addc_co_u32_e32 v14, vcc, v15, v14, vcc
	global_load_dwordx2 v[13:14], v[13:14], off
                                        ; implicit-def: $vgpr15
	s_waitcnt vmcnt(0)
	v_cmp_ngt_f32_e64 s[14:15], |v13|, |v14|
	s_and_saveexec_b64 s[16:17], s[14:15]
	s_xor_b64 s[14:15], exec, s[16:17]
	s_cbranch_execz .LBB66_92
; %bb.91:
	v_div_scale_f32 v15, s[16:17], -v14, -v14, v13
	v_div_scale_f32 v16, vcc, v13, -v14, v13
	v_rcp_f32_e32 v19, v15
	v_fma_f32 v20, -v15, v19, 1.0
	v_fmac_f32_e32 v19, v20, v19
	v_mul_f32_e32 v20, v16, v19
	v_fma_f32 v21, -v15, v20, v16
	v_fmac_f32_e32 v20, v21, v19
	v_fma_f32 v15, -v15, v20, v16
	v_div_fmas_f32 v15, v15, v19, v20
	v_div_fixup_f32 v15, v15, -v14, v13
	v_fma_f32 v13, v13, v15, -v14
	v_div_scale_f32 v14, s[16:17], v13, v13, 1.0
	v_div_scale_f32 v16, vcc, 1.0, v13, 1.0
	v_rcp_f32_e32 v19, v14
	v_fma_f32 v20, -v14, v19, 1.0
	v_fmac_f32_e32 v19, v20, v19
	v_mul_f32_e32 v20, v16, v19
	v_fma_f32 v21, -v14, v20, v16
	v_fmac_f32_e32 v20, v21, v19
	v_fma_f32 v14, -v14, v20, v16
	v_div_fmas_f32 v14, v14, v19, v20
	v_div_fixup_f32 v13, v14, v13, 1.0
	v_mul_f32_e32 v15, v15, v13
	v_xor_b32_e32 v16, 0x80000000, v13
                                        ; implicit-def: $vgpr13_vgpr14
.LBB66_92:
	s_andn2_saveexec_b64 s[14:15], s[14:15]
	s_cbranch_execz .LBB66_94
; %bb.93:
	v_div_scale_f32 v15, s[16:17], v13, v13, -v14
	v_div_scale_f32 v16, vcc, -v14, v13, -v14
	v_rcp_f32_e32 v19, v15
	v_fma_f32 v20, -v15, v19, 1.0
	v_fmac_f32_e32 v19, v20, v19
	v_mul_f32_e32 v20, v16, v19
	v_fma_f32 v21, -v15, v20, v16
	v_fmac_f32_e32 v20, v21, v19
	v_fma_f32 v15, -v15, v20, v16
	v_div_fmas_f32 v15, v15, v19, v20
	v_div_fixup_f32 v16, v15, v13, -v14
	v_fma_f32 v13, -v14, v16, v13
	v_div_scale_f32 v14, s[16:17], v13, v13, 1.0
	v_div_scale_f32 v15, vcc, 1.0, v13, 1.0
	v_rcp_f32_e32 v19, v14
	v_fma_f32 v20, -v14, v19, 1.0
	v_fmac_f32_e32 v19, v20, v19
	v_mul_f32_e32 v20, v15, v19
	v_fma_f32 v21, -v14, v20, v15
	v_fmac_f32_e32 v20, v21, v19
	v_fma_f32 v14, -v14, v20, v15
	v_div_fmas_f32 v14, v14, v19, v20
	v_div_fixup_f32 v15, v14, v13, 1.0
	v_mul_f32_e64 v16, v16, -v15
.LBB66_94:
	s_or_b64 exec, exec, s[14:15]
	v_lshlrev_b32_e32 v13, 3, v18
	ds_write_b64 v13, v[15:16]
.LBB66_95:
	s_or_b64 exec, exec, s[12:13]
                                        ; implicit-def: $vgpr13_vgpr14
                                        ; implicit-def: $vgpr18
.LBB66_96:
	s_andn2_saveexec_b64 s[8:9], s[8:9]
	s_cbranch_execz .LBB66_98
; %bb.97:
	v_lshlrev_b64 v[13:14], 3, v[13:14]
	v_mov_b32_e32 v15, s82
	v_add_co_u32_e32 v13, vcc, s27, v13
	v_addc_co_u32_e32 v14, vcc, v15, v14, vcc
	global_load_dwordx2 v[13:14], v[13:14], off
	v_lshlrev_b32_e32 v15, 3, v18
	s_waitcnt vmcnt(0)
	v_xor_b32_e32 v13, 0x80000000, v13
	ds_write_b64 v15, v[13:14]
.LBB66_98:
	s_or_b64 exec, exec, s[8:9]
	v_add_u32_e32 v15, 32, v2
	v_mad_u64_u32 v[13:14], s[8:9], s24, v15, v[11:12]
	v_cmp_gt_u32_e32 vcc, v15, v0
	v_add_u32_e32 v16, v15, v17
	v_mad_u64_u32 v[19:20], s[8:9], s25, v15, v[14:15]
	v_cmp_gt_i32_e64 s[8:9], s26, v15
	s_and_b64 s[8:9], vcc, s[8:9]
	v_lshl_add_u32 v14, v15, 6, v0
	s_and_b64 s[8:9], s[2:3], s[8:9]
	v_cndmask_b32_e64 v18, v14, v16, s[0:1]
	v_mov_b32_e32 v14, v19
	s_xor_b64 s[8:9], s[8:9], -1
	s_and_saveexec_b64 s[12:13], s[8:9]
	s_xor_b64 s[8:9], exec, s[12:13]
	s_cbranch_execz .LBB66_110
; %bb.99:
	v_cmp_ne_u32_e32 vcc, v0, v15
	s_xor_b64 s[12:13], s[2:3], -1
	s_or_b64 s[12:13], s[12:13], vcc
	s_and_saveexec_b64 s[14:15], s[12:13]
	s_xor_b64 s[12:13], exec, s[14:15]
	s_cbranch_execz .LBB66_103
; %bb.100:
	v_or_b32_e32 v13, v15, v0
	v_cmp_gt_u32_e32 vcc, 64, v13
	s_and_saveexec_b64 s[14:15], vcc
; %bb.101:
	v_mov_b32_e32 v13, 0
	v_lshlrev_b32_e32 v15, 3, v18
	v_mov_b32_e32 v14, v13
	ds_write_b64 v15, v[13:14]
; %bb.102:
	s_or_b64 exec, exec, s[14:15]
                                        ; implicit-def: $vgpr18
                                        ; implicit-def: $vgpr13_vgpr14
.LBB66_103:
	s_andn2_saveexec_b64 s[12:13], s[12:13]
	s_cbranch_execz .LBB66_109
; %bb.104:
	v_lshlrev_b64 v[13:14], 3, v[13:14]
	v_mov_b32_e32 v15, s82
	v_add_co_u32_e32 v13, vcc, s27, v13
	v_addc_co_u32_e32 v14, vcc, v15, v14, vcc
	global_load_dwordx2 v[13:14], v[13:14], off
                                        ; implicit-def: $vgpr15
	s_waitcnt vmcnt(0)
	v_cmp_ngt_f32_e64 s[14:15], |v13|, |v14|
	s_and_saveexec_b64 s[16:17], s[14:15]
	s_xor_b64 s[14:15], exec, s[16:17]
	s_cbranch_execz .LBB66_106
; %bb.105:
	v_div_scale_f32 v15, s[16:17], -v14, -v14, v13
	v_div_scale_f32 v16, vcc, v13, -v14, v13
	v_rcp_f32_e32 v19, v15
	v_fma_f32 v20, -v15, v19, 1.0
	v_fmac_f32_e32 v19, v20, v19
	v_mul_f32_e32 v20, v16, v19
	v_fma_f32 v21, -v15, v20, v16
	v_fmac_f32_e32 v20, v21, v19
	v_fma_f32 v15, -v15, v20, v16
	v_div_fmas_f32 v15, v15, v19, v20
	v_div_fixup_f32 v15, v15, -v14, v13
	v_fma_f32 v13, v13, v15, -v14
	v_div_scale_f32 v14, s[16:17], v13, v13, 1.0
	v_div_scale_f32 v16, vcc, 1.0, v13, 1.0
	v_rcp_f32_e32 v19, v14
	v_fma_f32 v20, -v14, v19, 1.0
	v_fmac_f32_e32 v19, v20, v19
	v_mul_f32_e32 v20, v16, v19
	v_fma_f32 v21, -v14, v20, v16
	v_fmac_f32_e32 v20, v21, v19
	v_fma_f32 v14, -v14, v20, v16
	v_div_fmas_f32 v14, v14, v19, v20
	v_div_fixup_f32 v13, v14, v13, 1.0
	v_mul_f32_e32 v15, v15, v13
	v_xor_b32_e32 v16, 0x80000000, v13
                                        ; implicit-def: $vgpr13_vgpr14
.LBB66_106:
	s_andn2_saveexec_b64 s[14:15], s[14:15]
	s_cbranch_execz .LBB66_108
; %bb.107:
	v_div_scale_f32 v15, s[16:17], v13, v13, -v14
	v_div_scale_f32 v16, vcc, -v14, v13, -v14
	v_rcp_f32_e32 v19, v15
	v_fma_f32 v20, -v15, v19, 1.0
	v_fmac_f32_e32 v19, v20, v19
	v_mul_f32_e32 v20, v16, v19
	v_fma_f32 v21, -v15, v20, v16
	v_fmac_f32_e32 v20, v21, v19
	v_fma_f32 v15, -v15, v20, v16
	v_div_fmas_f32 v15, v15, v19, v20
	v_div_fixup_f32 v16, v15, v13, -v14
	v_fma_f32 v13, -v14, v16, v13
	v_div_scale_f32 v14, s[16:17], v13, v13, 1.0
	v_div_scale_f32 v15, vcc, 1.0, v13, 1.0
	v_rcp_f32_e32 v19, v14
	v_fma_f32 v20, -v14, v19, 1.0
	v_fmac_f32_e32 v19, v20, v19
	v_mul_f32_e32 v20, v15, v19
	v_fma_f32 v21, -v14, v20, v15
	v_fmac_f32_e32 v20, v21, v19
	v_fma_f32 v14, -v14, v20, v15
	v_div_fmas_f32 v14, v14, v19, v20
	v_div_fixup_f32 v15, v14, v13, 1.0
	v_mul_f32_e64 v16, v16, -v15
.LBB66_108:
	s_or_b64 exec, exec, s[14:15]
	v_lshlrev_b32_e32 v13, 3, v18
	ds_write_b64 v13, v[15:16]
.LBB66_109:
	s_or_b64 exec, exec, s[12:13]
                                        ; implicit-def: $vgpr13_vgpr14
                                        ; implicit-def: $vgpr18
.LBB66_110:
	s_andn2_saveexec_b64 s[8:9], s[8:9]
	s_cbranch_execz .LBB66_112
; %bb.111:
	v_lshlrev_b64 v[13:14], 3, v[13:14]
	v_mov_b32_e32 v15, s82
	v_add_co_u32_e32 v13, vcc, s27, v13
	v_addc_co_u32_e32 v14, vcc, v15, v14, vcc
	global_load_dwordx2 v[13:14], v[13:14], off
	v_lshlrev_b32_e32 v15, 3, v18
	s_waitcnt vmcnt(0)
	v_xor_b32_e32 v13, 0x80000000, v13
	ds_write_b64 v15, v[13:14]
.LBB66_112:
	s_or_b64 exec, exec, s[8:9]
	v_add_u32_e32 v13, 48, v2
	v_mad_u64_u32 v[11:12], s[8:9], s24, v13, v[11:12]
	v_add_u32_e32 v16, v13, v17
	v_cmp_gt_u32_e32 vcc, v13, v0
	v_mad_u64_u32 v[14:15], s[8:9], s25, v13, v[12:13]
	v_lshl_add_u32 v12, v13, 6, v0
	v_cndmask_b32_e64 v15, v12, v16, s[0:1]
	v_cmp_gt_i32_e64 s[0:1], s26, v13
	s_and_b64 s[0:1], vcc, s[0:1]
	s_and_b64 s[0:1], s[2:3], s[0:1]
	v_mov_b32_e32 v12, v14
	s_xor_b64 s[0:1], s[0:1], -1
	s_and_saveexec_b64 s[8:9], s[0:1]
	s_xor_b64 s[0:1], exec, s[8:9]
	s_cbranch_execz .LBB66_124
; %bb.113:
	v_cmp_ne_u32_e32 vcc, v0, v13
	s_xor_b64 s[2:3], s[2:3], -1
	s_or_b64 s[2:3], s[2:3], vcc
	s_and_saveexec_b64 s[8:9], s[2:3]
	s_xor_b64 s[2:3], exec, s[8:9]
	s_cbranch_execz .LBB66_117
; %bb.114:
	v_or_b32_e32 v11, v13, v0
	v_cmp_gt_u32_e32 vcc, 64, v11
	s_and_saveexec_b64 s[8:9], vcc
; %bb.115:
	v_mov_b32_e32 v11, 0
	v_lshlrev_b32_e32 v13, 3, v15
	v_mov_b32_e32 v12, v11
	ds_write_b64 v13, v[11:12]
; %bb.116:
	s_or_b64 exec, exec, s[8:9]
                                        ; implicit-def: $vgpr15
                                        ; implicit-def: $vgpr11_vgpr12
.LBB66_117:
	s_andn2_saveexec_b64 s[2:3], s[2:3]
	s_cbranch_execz .LBB66_123
; %bb.118:
	v_lshlrev_b64 v[11:12], 3, v[11:12]
	v_mov_b32_e32 v13, s82
	v_add_co_u32_e32 v11, vcc, s27, v11
	v_addc_co_u32_e32 v12, vcc, v13, v12, vcc
	global_load_dwordx2 v[11:12], v[11:12], off
                                        ; implicit-def: $vgpr13
	s_waitcnt vmcnt(0)
	v_cmp_ngt_f32_e64 s[8:9], |v11|, |v12|
	s_and_saveexec_b64 s[12:13], s[8:9]
	s_xor_b64 s[8:9], exec, s[12:13]
	s_cbranch_execz .LBB66_120
; %bb.119:
	v_div_scale_f32 v13, s[12:13], -v12, -v12, v11
	v_div_scale_f32 v14, vcc, v11, -v12, v11
	v_rcp_f32_e32 v16, v13
	v_fma_f32 v17, -v13, v16, 1.0
	v_fmac_f32_e32 v16, v17, v16
	v_mul_f32_e32 v17, v14, v16
	v_fma_f32 v18, -v13, v17, v14
	v_fmac_f32_e32 v17, v18, v16
	v_fma_f32 v13, -v13, v17, v14
	v_div_fmas_f32 v13, v13, v16, v17
	v_div_fixup_f32 v13, v13, -v12, v11
	v_fma_f32 v11, v11, v13, -v12
	v_div_scale_f32 v12, s[12:13], v11, v11, 1.0
	v_div_scale_f32 v14, vcc, 1.0, v11, 1.0
	v_rcp_f32_e32 v16, v12
	v_fma_f32 v17, -v12, v16, 1.0
	v_fmac_f32_e32 v16, v17, v16
	v_mul_f32_e32 v17, v14, v16
	v_fma_f32 v18, -v12, v17, v14
	v_fmac_f32_e32 v17, v18, v16
	v_fma_f32 v12, -v12, v17, v14
	v_div_fmas_f32 v12, v12, v16, v17
	v_div_fixup_f32 v11, v12, v11, 1.0
	v_mul_f32_e32 v13, v13, v11
	v_xor_b32_e32 v14, 0x80000000, v11
                                        ; implicit-def: $vgpr11_vgpr12
.LBB66_120:
	s_andn2_saveexec_b64 s[8:9], s[8:9]
	s_cbranch_execz .LBB66_122
; %bb.121:
	v_div_scale_f32 v13, s[12:13], v11, v11, -v12
	v_div_scale_f32 v14, vcc, -v12, v11, -v12
	v_rcp_f32_e32 v16, v13
	v_fma_f32 v17, -v13, v16, 1.0
	v_fmac_f32_e32 v16, v17, v16
	v_mul_f32_e32 v17, v14, v16
	v_fma_f32 v18, -v13, v17, v14
	v_fmac_f32_e32 v17, v18, v16
	v_fma_f32 v13, -v13, v17, v14
	v_div_fmas_f32 v13, v13, v16, v17
	v_div_fixup_f32 v14, v13, v11, -v12
	v_fma_f32 v11, -v12, v14, v11
	v_div_scale_f32 v12, s[12:13], v11, v11, 1.0
	v_div_scale_f32 v13, vcc, 1.0, v11, 1.0
	v_rcp_f32_e32 v16, v12
	v_fma_f32 v17, -v12, v16, 1.0
	v_fmac_f32_e32 v16, v17, v16
	v_mul_f32_e32 v17, v13, v16
	v_fma_f32 v18, -v12, v17, v13
	v_fmac_f32_e32 v17, v18, v16
	v_fma_f32 v12, -v12, v17, v13
	v_div_fmas_f32 v12, v12, v16, v17
	v_div_fixup_f32 v13, v12, v11, 1.0
	v_mul_f32_e64 v14, v14, -v13
.LBB66_122:
	s_or_b64 exec, exec, s[8:9]
	v_lshlrev_b32_e32 v11, 3, v15
	ds_write_b64 v11, v[13:14]
.LBB66_123:
	s_or_b64 exec, exec, s[2:3]
                                        ; implicit-def: $vgpr11_vgpr12
                                        ; implicit-def: $vgpr15
.LBB66_124:
	s_andn2_saveexec_b64 s[0:1], s[0:1]
	s_cbranch_execz .LBB66_126
; %bb.125:
	v_lshlrev_b64 v[11:12], 3, v[11:12]
	v_mov_b32_e32 v13, s82
	v_add_co_u32_e32 v11, vcc, s27, v11
	v_addc_co_u32_e32 v12, vcc, v13, v12, vcc
	global_load_dwordx2 v[11:12], v[11:12], off
	v_lshlrev_b32_e32 v13, 3, v15
	s_waitcnt vmcnt(0)
	v_xor_b32_e32 v11, 0x80000000, v11
	ds_write_b64 v13, v[11:12]
.LBB66_126:
	s_or_b64 exec, exec, s[0:1]
.LBB66_127:
	v_cndmask_b32_e64 v11, 0, 1, s[10:11]
	v_cmp_ne_u32_e64 s[54:55], 1, v11
	s_andn2_b64 vcc, exec, s[10:11]
	s_waitcnt vmcnt(0) lgkmcnt(0)
	s_barrier
	s_cbranch_vccnz .LBB66_1049
; %bb.128:
	v_or_b32_e32 v11, v0, v2
	v_cmp_eq_u32_e32 vcc, 0, v11
	s_and_saveexec_b64 s[0:1], vcc
	s_cbranch_execz .LBB66_130
; %bb.129:
	s_movk_i32 s2, 0x1f0
	v_mov_b32_e32 v11, 0
	v_add_u32_e64 v12, s2, 0
	ds_read_b64 v[15:16], v11 offset:32760
	ds_read2st64_b64 v[11:14], v12 offset0:62 offset1:63
	s_movk_i32 s2, 0x7800
	s_waitcnt lgkmcnt(0)
	v_mul_f32_e32 v18, v15, v12
	v_mul_f32_e32 v17, v16, v12
	v_fmac_f32_e32 v18, v16, v11
	v_fma_f32 v12, v15, v11, -v17
	v_mul_f32_e32 v11, v18, v14
	v_fma_f32 v11, v12, v13, -v11
	v_mul_f32_e32 v12, v12, v14
	v_fmac_f32_e32 v12, v18, v13
	v_add_u32_e64 v13, s2, 0
	ds_write2_b64 v13, v[11:12], v[11:12] offset0:191 offset1:254
.LBB66_130:
	s_or_b64 exec, exec, s[0:1]
	v_lshlrev_b32_e32 v11, 6, v2
	v_add_u32_e32 v16, v11, v0
	v_and_b32_e32 v12, v11, v0
	v_xor_b32_e32 v11, v11, v0
	v_lshrrev_b16_e32 v11, 1, v11
	v_add_u16_e32 v15, v12, v11
	v_and_b32_e32 v13, 1, v0
	v_sub_u32_e32 v14, 1, v15
	v_cmp_lt_u32_e64 s[8:9], 3, v16
	v_cmp_gt_u32_e64 s[2:3], 4, v16
	v_mov_b32_e32 v11, 0
	v_mov_b32_e32 v12, 0
	s_waitcnt lgkmcnt(0)
	s_barrier
	buffer_wbinvl1_vol
	s_and_saveexec_b64 s[0:1], s[2:3]
	s_cbranch_execz .LBB66_134
; %bb.131:
	v_lshlrev_b32_e32 v11, 3, v13
	v_lshlrev_b32_e32 v17, 9, v14
	ds_read_b64 v[11:12], v11 offset:32224
	ds_read_b64 v[17:18], v17 offset:32240
	v_cmp_gt_u32_e64 s[10:11], 2, v16
	s_waitcnt lgkmcnt(0)
	v_mul_f32_e32 v19, v18, v12
	v_mul_f32_e32 v12, v17, v12
	v_fma_f32 v17, v17, v11, -v19
	v_fmac_f32_e32 v12, v18, v11
	v_add_f32_e32 v11, 0, v17
	v_add_f32_e32 v12, 0, v12
	s_and_saveexec_b64 s[12:13], s[10:11]
	s_cbranch_execz .LBB66_133
; %bb.132:
	v_lshlrev_b32_e32 v17, 3, v0
	v_mov_b32_e32 v19, 0
	ds_read_b64 v[17:18], v17 offset:32736
	ds_read_b64 v[19:20], v19 offset:32760
	s_waitcnt lgkmcnt(0)
	v_mul_f32_e32 v21, v20, v18
	v_mul_f32_e32 v18, v19, v18
	v_fma_f32 v19, v19, v17, -v21
	v_fmac_f32_e32 v18, v20, v17
	v_add_f32_e32 v11, v11, v19
	v_add_f32_e32 v12, v12, v18
.LBB66_133:
	s_or_b64 exec, exec, s[12:13]
.LBB66_134:
	s_or_b64 exec, exec, s[0:1]
	v_mov_b32_e32 v17, 0x8000
	v_cmp_ne_u32_e64 s[10:11], 0, v13
	s_xor_b64 s[0:1], s[8:9], -1
	v_lshl_add_u32 v15, v15, 3, v17
	s_and_b64 s[34:35], s[10:11], s[0:1]
	s_and_saveexec_b64 s[8:9], s[34:35]
	s_cbranch_execz .LBB66_136
; %bb.135:
	v_mov_b32_e32 v17, 0
	ds_read_b64 v[17:18], v17 offset:31720
	s_waitcnt lgkmcnt(0)
	v_mul_f32_e32 v19, v12, v18
	v_mul_f32_e32 v20, v11, v18
	v_fma_f32 v11, v11, v17, -v19
	v_fmac_f32_e32 v20, v12, v17
	v_xor_b32_e32 v17, 0x80000000, v11
	v_xor_b32_e32 v18, 0x80000000, v20
	v_mov_b32_e32 v12, v20
	ds_write_b64 v15, v[17:18]
.LBB66_136:
	s_or_b64 exec, exec, s[8:9]
	v_cmp_eq_u32_e64 s[8:9], 0, v13
	s_and_b64 s[30:31], s[8:9], s[0:1]
	s_waitcnt lgkmcnt(0)
	s_barrier
	s_and_saveexec_b64 s[0:1], s[30:31]
	s_cbranch_execz .LBB66_138
; %bb.137:
	v_mov_b32_e32 v17, 0
	ds_read_b64 v[17:18], v17 offset:31712
	ds_read_b64 v[19:20], v15
	s_waitcnt lgkmcnt(0)
	v_mul_f32_e32 v21, v20, v18
	v_mul_f32_e32 v18, v19, v18
	v_fma_f32 v19, v19, v17, -v21
	v_fmac_f32_e32 v18, v20, v17
	v_sub_f32_e32 v11, v11, v19
	v_sub_f32_e32 v12, v12, v18
.LBB66_138:
	s_or_b64 exec, exec, s[0:1]
	s_barrier
	s_and_saveexec_b64 s[0:1], s[30:31]
	s_cbranch_execz .LBB66_140
; %bb.139:
	v_mov_b32_e32 v17, 0
	ds_read_b64 v[17:18], v17 offset:31200
	s_waitcnt lgkmcnt(0)
	v_mul_f32_e32 v19, v12, v18
	v_mul_f32_e32 v20, v11, v18
	v_fma_f32 v11, v11, v17, -v19
	v_fmac_f32_e32 v20, v12, v17
	v_xor_b32_e32 v17, 0x80000000, v11
	v_xor_b32_e32 v18, 0x80000000, v20
	v_mov_b32_e32 v12, v20
	ds_write_b64 v15, v[17:18]
.LBB66_140:
	s_or_b64 exec, exec, s[0:1]
	s_waitcnt lgkmcnt(0)
	s_barrier
	s_barrier
	s_and_saveexec_b64 s[0:1], s[2:3]
; %bb.141:
	v_lshlrev_b32_e32 v17, 3, v13
	v_lshl_or_b32 v17, v14, 9, v17
	ds_write_b64 v17, v[11:12] offset:32224
; %bb.142:
	s_or_b64 exec, exec, s[0:1]
	v_cmp_eq_u32_e64 s[12:13], 0, v2
	v_cmp_gt_u32_e64 s[8:9], 2, v0
	s_and_b64 s[36:37], s[12:13], s[8:9]
	s_waitcnt lgkmcnt(0)
	s_barrier
	s_barrier
	s_and_saveexec_b64 s[0:1], s[36:37]
	s_cbranch_execz .LBB66_144
; %bb.143:
	v_lshlrev_b32_e32 v17, 3, v0
	s_movk_i32 s8, 0x1f8
	v_mad_u32_u24 v18, v0, s8, v17
	ds_read_b64 v[11:12], v18 offset:32224
	s_waitcnt lgkmcnt(0)
	ds_write_b64 v17, v[11:12] offset:31216
	ds_read_b64 v[11:12], v18 offset:32232
	s_waitcnt lgkmcnt(0)
	ds_write_b64 v17, v[11:12] offset:31728
.LBB66_144:
	s_or_b64 exec, exec, s[0:1]
	s_waitcnt lgkmcnt(0)
	s_barrier
	s_and_saveexec_b64 s[0:1], vcc
	s_cbranch_execz .LBB66_146
; %bb.145:
	s_movk_i32 s8, 0x1e0
	v_mov_b32_e32 v11, 0
	v_add_u32_e64 v17, s8, 0
	ds_read_b64 v[11:12], v11 offset:31720
	ds_read2st64_b64 v[17:20], v17 offset0:60 offset1:61
	s_movk_i32 s8, 0x7800
	s_waitcnt lgkmcnt(0)
	v_mul_f32_e32 v21, v12, v18
	v_mul_f32_e32 v18, v11, v18
	v_fma_f32 v21, v11, v17, -v21
	v_fmac_f32_e32 v18, v12, v17
	v_mul_f32_e32 v11, v18, v20
	v_mul_f32_e32 v12, v21, v20
	v_fma_f32 v11, v21, v19, -v11
	v_fmac_f32_e32 v12, v18, v19
	v_add_u32_e64 v17, s8, 0
	ds_write2_b64 v17, v[11:12], v[11:12] offset0:61 offset1:124
.LBB66_146:
	s_or_b64 exec, exec, s[0:1]
	v_lshrrev_b32_e32 v19, 2, v16
	v_and_b32_e32 v17, 3, v0
	v_sub_u32_e32 v18, 3, v19
	v_cmp_lt_u32_e64 s[8:9], 15, v16
	v_cmp_gt_u32_e64 s[18:19], 16, v16
	v_mov_b32_e32 v12, 0
	v_mov_b32_e32 v11, 0
	s_waitcnt lgkmcnt(0)
	s_barrier
	buffer_wbinvl1_vol
	s_and_saveexec_b64 s[0:1], s[18:19]
	s_cbranch_execz .LBB66_152
; %bb.147:
	v_lshlrev_b32_e32 v20, 3, v17
	v_lshlrev_b32_e32 v21, 9, v18
	ds_read_b64 v[11:12], v20 offset:31168
	ds_read_b64 v[22:23], v21 offset:31200
	v_cmp_gt_u32_e64 s[10:11], 12, v16
	s_waitcnt lgkmcnt(0)
	v_mul_f32_e32 v24, v23, v12
	v_mul_f32_e32 v12, v22, v12
	v_fma_f32 v22, v22, v11, -v24
	v_fmac_f32_e32 v12, v23, v11
	v_add_f32_e32 v11, 0, v22
	v_add_f32_e32 v12, 0, v12
	s_and_saveexec_b64 s[14:15], s[10:11]
	s_cbranch_execnz .LBB66_1125
; %bb.148:
	s_or_b64 exec, exec, s[14:15]
	v_cmp_gt_u32_e64 s[10:11], 8, v16
	s_and_saveexec_b64 s[14:15], s[10:11]
	s_cbranch_execnz .LBB66_1126
.LBB66_149:
	s_or_b64 exec, exec, s[14:15]
	v_cmp_gt_u32_e64 s[10:11], 4, v16
	s_and_saveexec_b64 s[14:15], s[10:11]
	s_cbranch_execz .LBB66_151
.LBB66_150:
	v_lshlrev_b32_e32 v20, 3, v0
	v_mov_b32_e32 v22, 0
	ds_read_b64 v[20:21], v20 offset:32704
	ds_read_b64 v[22:23], v22 offset:32760
	s_waitcnt lgkmcnt(0)
	v_mul_f32_e32 v24, v23, v21
	v_mul_f32_e32 v21, v22, v21
	v_fma_f32 v22, v22, v20, -v24
	v_fmac_f32_e32 v21, v23, v20
	v_add_f32_e32 v11, v11, v22
	v_add_f32_e32 v12, v12, v21
.LBB66_151:
	s_or_b64 exec, exec, s[14:15]
.LBB66_152:
                                        ; implicit-def: $vgpr38 : SGPR spill to VGPR lane
	v_writelane_b32 v38, s40, 0
	s_or_b64 exec, exec, s[0:1]
	v_mov_b32_e32 v20, 0x8000
	v_cmp_eq_u32_e64 s[10:11], 3, v17
	s_xor_b64 s[0:1], s[8:9], -1
	v_lshl_add_u32 v19, v19, 3, v20
	s_and_b64 s[40:41], s[10:11], s[0:1]
	s_and_saveexec_b64 s[8:9], s[40:41]
	s_cbranch_execz .LBB66_154
; %bb.153:
	v_mov_b32_e32 v20, 0
	ds_read_b64 v[20:21], v20 offset:30680
	s_waitcnt lgkmcnt(0)
	v_mul_f32_e32 v22, v12, v21
	v_mul_f32_e32 v23, v11, v21
	v_fma_f32 v11, v11, v20, -v22
	v_fmac_f32_e32 v23, v12, v20
	v_xor_b32_e32 v20, 0x80000000, v11
	v_xor_b32_e32 v21, 0x80000000, v23
	v_mov_b32_e32 v12, v23
	ds_write_b64 v19, v[20:21]
.LBB66_154:
	s_or_b64 exec, exec, s[8:9]
	v_cmp_ne_u32_e64 s[8:9], 3, v17
	s_and_b64 s[42:43], s[8:9], s[0:1]
	s_waitcnt lgkmcnt(0)
	s_barrier
	s_and_saveexec_b64 s[8:9], s[42:43]
	s_cbranch_execz .LBB66_156
; %bb.155:
	v_lshlrev_b32_e32 v20, 3, v17
	ds_read_b64 v[20:21], v20 offset:30656
	ds_read_b64 v[22:23], v19
	s_waitcnt lgkmcnt(0)
	v_mul_f32_e32 v24, v23, v21
	v_mul_f32_e32 v21, v22, v21
	v_fma_f32 v22, v22, v20, -v24
	v_fmac_f32_e32 v21, v23, v20
	v_sub_f32_e32 v11, v11, v22
	v_sub_f32_e32 v12, v12, v21
.LBB66_156:
	s_or_b64 exec, exec, s[8:9]
	v_cmp_eq_u32_e64 s[8:9], 2, v17
	s_and_b64 s[44:45], s[8:9], s[0:1]
	s_barrier
	s_and_saveexec_b64 s[8:9], s[44:45]
	s_cbranch_execz .LBB66_158
; %bb.157:
	v_mov_b32_e32 v20, 0
	ds_read_b64 v[20:21], v20 offset:30160
	s_waitcnt lgkmcnt(0)
	v_mul_f32_e32 v22, v12, v21
	v_mul_f32_e32 v23, v11, v21
	v_fma_f32 v11, v11, v20, -v22
	v_fmac_f32_e32 v23, v12, v20
	v_xor_b32_e32 v20, 0x80000000, v11
	v_xor_b32_e32 v21, 0x80000000, v23
	v_mov_b32_e32 v12, v23
	ds_write_b64 v19, v[20:21]
.LBB66_158:
	s_or_b64 exec, exec, s[8:9]
	v_cmp_gt_u32_e64 s[8:9], 2, v17
	s_and_b64 s[46:47], s[8:9], s[0:1]
	s_waitcnt lgkmcnt(0)
	s_barrier
	s_and_saveexec_b64 s[8:9], s[46:47]
	s_cbranch_execz .LBB66_160
; %bb.159:
	v_lshlrev_b32_e32 v20, 3, v17
	ds_read_b64 v[20:21], v20 offset:30144
	ds_read_b64 v[22:23], v19
	s_waitcnt lgkmcnt(0)
	v_mul_f32_e32 v24, v23, v21
	v_mul_f32_e32 v21, v22, v21
	v_fma_f32 v22, v22, v20, -v24
	v_fmac_f32_e32 v21, v23, v20
	v_sub_f32_e32 v11, v11, v22
	v_sub_f32_e32 v12, v12, v21
.LBB66_160:
	s_or_b64 exec, exec, s[8:9]
	v_cmp_eq_u32_e64 s[8:9], 1, v17
	s_and_b64 s[48:49], s[8:9], s[0:1]
	s_barrier
	s_and_saveexec_b64 s[8:9], s[48:49]
	s_cbranch_execz .LBB66_162
; %bb.161:
	v_mov_b32_e32 v20, 0
	ds_read_b64 v[20:21], v20 offset:29640
	s_waitcnt lgkmcnt(0)
	v_mul_f32_e32 v22, v12, v21
	v_mul_f32_e32 v23, v11, v21
	v_fma_f32 v11, v11, v20, -v22
	v_fmac_f32_e32 v23, v12, v20
	v_xor_b32_e32 v20, 0x80000000, v11
	v_xor_b32_e32 v21, 0x80000000, v23
	v_mov_b32_e32 v12, v23
	ds_write_b64 v19, v[20:21]
.LBB66_162:
	s_or_b64 exec, exec, s[8:9]
	v_cmp_eq_u32_e64 s[8:9], 0, v17
	s_and_b64 s[38:39], s[8:9], s[0:1]
	s_waitcnt lgkmcnt(0)
	s_barrier
	s_and_saveexec_b64 s[0:1], s[38:39]
	s_cbranch_execz .LBB66_164
; %bb.163:
	v_mov_b32_e32 v20, 0
	ds_read_b64 v[20:21], v20 offset:29632
	ds_read_b64 v[22:23], v19
	s_waitcnt lgkmcnt(0)
	v_mul_f32_e32 v24, v23, v21
	v_mul_f32_e32 v21, v22, v21
	v_fma_f32 v22, v22, v20, -v24
	v_fmac_f32_e32 v21, v23, v20
	v_sub_f32_e32 v11, v11, v22
	v_sub_f32_e32 v12, v12, v21
.LBB66_164:
	s_or_b64 exec, exec, s[0:1]
	s_barrier
	s_and_saveexec_b64 s[0:1], s[38:39]
	s_cbranch_execz .LBB66_166
; %bb.165:
	v_mov_b32_e32 v20, 0
	ds_read_b64 v[20:21], v20 offset:29120
	s_waitcnt lgkmcnt(0)
	v_mul_f32_e32 v22, v12, v21
	v_mul_f32_e32 v23, v11, v21
	v_fma_f32 v11, v11, v20, -v22
	v_fmac_f32_e32 v23, v12, v20
	v_xor_b32_e32 v20, 0x80000000, v11
	v_xor_b32_e32 v21, 0x80000000, v23
	v_mov_b32_e32 v12, v23
	ds_write_b64 v19, v[20:21]
.LBB66_166:
	s_or_b64 exec, exec, s[0:1]
	s_waitcnt lgkmcnt(0)
	s_barrier
	s_barrier
	s_and_saveexec_b64 s[0:1], s[18:19]
; %bb.167:
	v_lshlrev_b32_e32 v20, 3, v17
	v_lshl_or_b32 v20, v18, 9, v20
	ds_write_b64 v20, v[11:12] offset:31168
; %bb.168:
	s_or_b64 exec, exec, s[0:1]
	v_cmp_gt_u32_e64 s[8:9], 4, v0
	s_and_b64 s[50:51], s[12:13], s[8:9]
	s_waitcnt lgkmcnt(0)
	s_barrier
	s_barrier
	s_and_saveexec_b64 s[0:1], s[50:51]
	s_cbranch_execz .LBB66_170
; %bb.169:
	v_lshlrev_b32_e32 v20, 9, v0
	ds_read_b64 v[11:12], v20 offset:31168
	s_movk_i32 s8, 0xfe08
	v_mad_i32_i24 v21, v0, s8, v20
	s_waitcnt lgkmcnt(0)
	ds_write_b64 v21, v[11:12] offset:29152
	ds_read_b64 v[11:12], v20 offset:31176
	s_waitcnt lgkmcnt(0)
	ds_write_b64 v21, v[11:12] offset:29664
	ds_read_b64 v[11:12], v20 offset:31184
	;; [unrolled: 3-line block ×3, first 2 shown]
	s_waitcnt lgkmcnt(0)
	ds_write_b64 v21, v[11:12] offset:30688
.LBB66_170:
	s_or_b64 exec, exec, s[0:1]
	s_waitcnt lgkmcnt(0)
	s_barrier
	s_and_saveexec_b64 s[0:1], vcc
	s_cbranch_execz .LBB66_172
; %bb.171:
	s_movk_i32 s8, 0x1d0
	v_mov_b32_e32 v11, 0
	v_add_u32_e64 v20, s8, 0
	ds_read_b64 v[11:12], v11 offset:30680
	ds_read2st64_b64 v[20:23], v20 offset0:58 offset1:59
	s_movk_i32 s8, 0x7000
	s_waitcnt lgkmcnt(0)
	v_mul_f32_e32 v24, v12, v21
	v_mul_f32_e32 v21, v11, v21
	v_fma_f32 v24, v11, v20, -v24
	v_fmac_f32_e32 v21, v12, v20
	v_mul_f32_e32 v11, v21, v23
	v_mul_f32_e32 v12, v24, v23
	v_fma_f32 v11, v24, v22, -v11
	v_fmac_f32_e32 v12, v21, v22
	v_add_u32_e64 v20, s8, 0
	ds_write2_b64 v20, v[11:12], v[11:12] offset0:187 offset1:250
.LBB66_172:
	s_or_b64 exec, exec, s[0:1]
	v_mov_b32_e32 v11, 0
	v_mov_b32_e32 v12, 0
	s_waitcnt lgkmcnt(0)
	s_barrier
	buffer_wbinvl1_vol
	s_and_saveexec_b64 s[0:1], s[2:3]
	s_cbranch_execz .LBB66_176
; %bb.173:
	v_lshlrev_b32_e32 v11, 3, v13
	v_lshlrev_b32_e32 v20, 9, v14
	ds_read_b64 v[11:12], v11 offset:30144
	ds_read_b64 v[20:21], v20 offset:30160
	v_cmp_gt_u32_e64 s[8:9], 2, v16
	s_waitcnt lgkmcnt(0)
	v_mul_f32_e32 v22, v21, v12
	v_mul_f32_e32 v12, v20, v12
	v_fma_f32 v20, v20, v11, -v22
	v_fmac_f32_e32 v12, v21, v11
	v_add_f32_e32 v11, 0, v20
	v_add_f32_e32 v12, 0, v12
	s_and_saveexec_b64 s[10:11], s[8:9]
	s_cbranch_execz .LBB66_175
; %bb.174:
	v_lshlrev_b32_e32 v20, 3, v0
	v_mov_b32_e32 v22, 0
	ds_read_b64 v[20:21], v20 offset:30656
	ds_read_b64 v[22:23], v22 offset:30680
	s_waitcnt lgkmcnt(0)
	v_mul_f32_e32 v24, v23, v21
	v_mul_f32_e32 v21, v22, v21
	v_fma_f32 v22, v22, v20, -v24
	v_fmac_f32_e32 v21, v23, v20
	v_add_f32_e32 v11, v11, v22
	v_add_f32_e32 v12, v12, v21
.LBB66_175:
	s_or_b64 exec, exec, s[10:11]
.LBB66_176:
	s_or_b64 exec, exec, s[0:1]
	s_and_saveexec_b64 s[0:1], s[34:35]
	s_cbranch_execz .LBB66_178
; %bb.177:
	v_mov_b32_e32 v20, 0
	ds_read_b64 v[20:21], v20 offset:29640
	s_waitcnt lgkmcnt(0)
	v_mul_f32_e32 v22, v12, v21
	v_mul_f32_e32 v23, v11, v21
	v_fma_f32 v11, v11, v20, -v22
	v_fmac_f32_e32 v23, v12, v20
	v_xor_b32_e32 v20, 0x80000000, v11
	v_xor_b32_e32 v21, 0x80000000, v23
	v_mov_b32_e32 v12, v23
	ds_write_b64 v15, v[20:21]
.LBB66_178:
	s_or_b64 exec, exec, s[0:1]
	s_waitcnt lgkmcnt(0)
	s_barrier
	s_and_saveexec_b64 s[0:1], s[30:31]
	s_cbranch_execz .LBB66_180
; %bb.179:
	v_mov_b32_e32 v20, 0
	ds_read_b64 v[20:21], v20 offset:29632
	ds_read_b64 v[22:23], v15
	s_waitcnt lgkmcnt(0)
	v_mul_f32_e32 v24, v23, v21
	v_mul_f32_e32 v21, v22, v21
	v_fma_f32 v22, v22, v20, -v24
	v_fmac_f32_e32 v21, v23, v20
	v_sub_f32_e32 v11, v11, v22
	v_sub_f32_e32 v12, v12, v21
.LBB66_180:
	s_or_b64 exec, exec, s[0:1]
	s_barrier
	s_and_saveexec_b64 s[0:1], s[30:31]
	s_cbranch_execz .LBB66_182
; %bb.181:
	v_mov_b32_e32 v20, 0
	ds_read_b64 v[20:21], v20 offset:29120
	s_waitcnt lgkmcnt(0)
	v_mul_f32_e32 v22, v12, v21
	v_mul_f32_e32 v23, v11, v21
	v_fma_f32 v11, v11, v20, -v22
	v_fmac_f32_e32 v23, v12, v20
	v_xor_b32_e32 v20, 0x80000000, v11
	v_xor_b32_e32 v21, 0x80000000, v23
	v_mov_b32_e32 v12, v23
	ds_write_b64 v15, v[20:21]
.LBB66_182:
	s_or_b64 exec, exec, s[0:1]
	s_waitcnt lgkmcnt(0)
	s_barrier
	s_barrier
	s_and_saveexec_b64 s[0:1], s[2:3]
; %bb.183:
	v_lshlrev_b32_e32 v20, 3, v13
	v_lshl_or_b32 v20, v14, 9, v20
	ds_write_b64 v20, v[11:12] offset:30144
; %bb.184:
	s_or_b64 exec, exec, s[0:1]
	s_waitcnt lgkmcnt(0)
	s_barrier
	s_barrier
	s_and_saveexec_b64 s[0:1], s[36:37]
	s_cbranch_execz .LBB66_186
; %bb.185:
	v_lshlrev_b32_e32 v20, 3, v0
	s_movk_i32 s8, 0x1f8
	v_mad_u32_u24 v21, v0, s8, v20
	ds_read_b64 v[11:12], v21 offset:30144
	s_waitcnt lgkmcnt(0)
	ds_write_b64 v20, v[11:12] offset:29136
	ds_read_b64 v[11:12], v21 offset:30152
	s_waitcnt lgkmcnt(0)
	ds_write_b64 v20, v[11:12] offset:29648
.LBB66_186:
	s_or_b64 exec, exec, s[0:1]
	s_waitcnt lgkmcnt(0)
	s_barrier
	s_and_saveexec_b64 s[0:1], vcc
	s_cbranch_execz .LBB66_188
; %bb.187:
	s_movk_i32 s8, 0x1c0
	v_mov_b32_e32 v11, 0
	v_add_u32_e64 v20, s8, 0
	ds_read_b64 v[11:12], v11 offset:29640
	ds_read2st64_b64 v[20:23], v20 offset0:56 offset1:57
	s_movk_i32 s8, 0x7000
	s_waitcnt lgkmcnt(0)
	v_mul_f32_e32 v24, v12, v21
	v_mul_f32_e32 v21, v11, v21
	v_fma_f32 v24, v11, v20, -v24
	v_fmac_f32_e32 v21, v12, v20
	v_mul_f32_e32 v11, v21, v23
	v_mul_f32_e32 v12, v24, v23
	v_fma_f32 v11, v24, v22, -v11
	v_fmac_f32_e32 v12, v21, v22
	v_add_u32_e64 v20, s8, 0
	ds_write2_b64 v20, v[11:12], v[11:12] offset0:57 offset1:120
.LBB66_188:
	s_or_b64 exec, exec, s[0:1]
	v_lshrrev_b32_e32 v22, 3, v16
	v_and_b32_e32 v20, 7, v0
	v_sub_u32_e32 v21, 7, v22
	v_cmp_lt_u32_e64 s[10:11], 63, v16
	v_cmp_gt_u32_e64 s[8:9], 64, v16
	v_mov_b32_e32 v12, 0
	v_mov_b32_e32 v11, 0
	s_waitcnt lgkmcnt(0)
	s_barrier
	buffer_wbinvl1_vol
	s_and_saveexec_b64 s[0:1], s[8:9]
	s_cbranch_execz .LBB66_198
; %bb.189:
	v_lshlrev_b32_e32 v23, 3, v20
	v_lshlrev_b32_e32 v24, 9, v21
	ds_read_b64 v[11:12], v23 offset:29056
	ds_read_b64 v[25:26], v24 offset:29120
	v_cmp_gt_u32_e64 s[14:15], 56, v16
	s_waitcnt lgkmcnt(0)
	v_mul_f32_e32 v27, v26, v12
	v_mul_f32_e32 v12, v25, v12
	v_fma_f32 v25, v25, v11, -v27
	v_fmac_f32_e32 v12, v26, v11
	v_add_f32_e32 v11, 0, v25
	v_add_f32_e32 v12, 0, v12
	s_and_saveexec_b64 s[16:17], s[14:15]
	s_cbranch_execnz .LBB66_1127
; %bb.190:
	s_or_b64 exec, exec, s[16:17]
	v_cmp_gt_u32_e64 s[14:15], 48, v16
	s_and_saveexec_b64 s[16:17], s[14:15]
	s_cbranch_execnz .LBB66_1128
.LBB66_191:
	s_or_b64 exec, exec, s[16:17]
	v_cmp_gt_u32_e64 s[14:15], 40, v16
	s_and_saveexec_b64 s[16:17], s[14:15]
	s_cbranch_execnz .LBB66_1129
.LBB66_192:
	s_or_b64 exec, exec, s[16:17]
	v_cmp_gt_u32_e64 s[14:15], 32, v16
	s_and_saveexec_b64 s[16:17], s[14:15]
	s_cbranch_execnz .LBB66_1130
.LBB66_193:
	s_or_b64 exec, exec, s[16:17]
	v_cmp_gt_u32_e64 s[14:15], 24, v16
	s_and_saveexec_b64 s[16:17], s[14:15]
	s_cbranch_execnz .LBB66_1131
.LBB66_194:
	s_or_b64 exec, exec, s[16:17]
	s_and_saveexec_b64 s[14:15], s[18:19]
	s_cbranch_execnz .LBB66_1132
.LBB66_195:
	s_or_b64 exec, exec, s[14:15]
	v_cmp_gt_u32_e64 s[14:15], 8, v16
	s_and_saveexec_b64 s[16:17], s[14:15]
	s_cbranch_execz .LBB66_197
.LBB66_196:
	v_lshlrev_b32_e32 v23, 3, v0
	v_mov_b32_e32 v25, 0
	ds_read_b64 v[23:24], v23 offset:32640
	ds_read_b64 v[25:26], v25 offset:32760
	s_waitcnt lgkmcnt(0)
	v_mul_f32_e32 v27, v26, v24
	v_mul_f32_e32 v24, v25, v24
	v_fma_f32 v25, v25, v23, -v27
	v_fmac_f32_e32 v24, v26, v23
	v_add_f32_e32 v11, v11, v25
	v_add_f32_e32 v12, v12, v24
.LBB66_197:
	s_or_b64 exec, exec, s[16:17]
.LBB66_198:
	v_writelane_b32 v38, s54, 1
	v_writelane_b32 v38, s55, 2
	s_or_b64 exec, exec, s[0:1]
	v_mov_b32_e32 v23, 0x8000
	v_cmp_eq_u32_e64 s[14:15], 7, v20
	s_xor_b64 s[0:1], s[10:11], -1
	v_lshl_add_u32 v22, v22, 3, v23
	s_and_b64 s[54:55], s[14:15], s[0:1]
	s_and_saveexec_b64 s[10:11], s[54:55]
	s_cbranch_execz .LBB66_200
; %bb.199:
	v_mov_b32_e32 v23, 0
	ds_read_b64 v[23:24], v23 offset:28600
	s_waitcnt lgkmcnt(0)
	v_mul_f32_e32 v25, v12, v24
	v_mul_f32_e32 v26, v11, v24
	v_fma_f32 v11, v11, v23, -v25
	v_fmac_f32_e32 v26, v12, v23
	v_xor_b32_e32 v23, 0x80000000, v11
	v_xor_b32_e32 v24, 0x80000000, v26
	v_mov_b32_e32 v12, v26
	ds_write_b64 v22, v[23:24]
.LBB66_200:
	s_or_b64 exec, exec, s[10:11]
	v_cmp_ne_u32_e64 s[10:11], 7, v20
	s_and_b64 s[56:57], s[10:11], s[0:1]
	s_waitcnt lgkmcnt(0)
	s_barrier
	s_and_saveexec_b64 s[10:11], s[56:57]
	s_cbranch_execz .LBB66_202
; %bb.201:
	v_lshlrev_b32_e32 v23, 3, v20
	ds_read_b64 v[23:24], v23 offset:28544
	ds_read_b64 v[25:26], v22
	s_waitcnt lgkmcnt(0)
	v_mul_f32_e32 v27, v26, v24
	v_mul_f32_e32 v24, v25, v24
	v_fma_f32 v25, v25, v23, -v27
	v_fmac_f32_e32 v24, v26, v23
	v_sub_f32_e32 v11, v11, v25
	v_sub_f32_e32 v12, v12, v24
.LBB66_202:
	s_or_b64 exec, exec, s[10:11]
	v_cmp_eq_u32_e64 s[10:11], 6, v20
	s_and_b64 s[58:59], s[10:11], s[0:1]
	s_barrier
	s_and_saveexec_b64 s[10:11], s[58:59]
	s_cbranch_execz .LBB66_204
; %bb.203:
	v_mov_b32_e32 v23, 0
	ds_read_b64 v[23:24], v23 offset:28080
	s_waitcnt lgkmcnt(0)
	v_mul_f32_e32 v25, v12, v24
	v_mul_f32_e32 v26, v11, v24
	v_fma_f32 v11, v11, v23, -v25
	v_fmac_f32_e32 v26, v12, v23
	v_xor_b32_e32 v23, 0x80000000, v11
	v_xor_b32_e32 v24, 0x80000000, v26
	v_mov_b32_e32 v12, v26
	ds_write_b64 v22, v[23:24]
.LBB66_204:
	s_or_b64 exec, exec, s[10:11]
	v_cmp_gt_u32_e64 s[10:11], 6, v20
	s_and_b64 s[60:61], s[10:11], s[0:1]
	s_waitcnt lgkmcnt(0)
	s_barrier
	s_and_saveexec_b64 s[10:11], s[60:61]
	s_cbranch_execz .LBB66_206
; %bb.205:
	v_lshlrev_b32_e32 v23, 3, v20
	ds_read_b64 v[23:24], v23 offset:28032
	ds_read_b64 v[25:26], v22
	s_waitcnt lgkmcnt(0)
	v_mul_f32_e32 v27, v26, v24
	v_mul_f32_e32 v24, v25, v24
	v_fma_f32 v25, v25, v23, -v27
	v_fmac_f32_e32 v24, v26, v23
	v_sub_f32_e32 v11, v11, v25
	v_sub_f32_e32 v12, v12, v24
.LBB66_206:
	s_or_b64 exec, exec, s[10:11]
	v_cmp_eq_u32_e64 s[10:11], 5, v20
	s_and_b64 s[62:63], s[10:11], s[0:1]
	s_barrier
	s_and_saveexec_b64 s[10:11], s[62:63]
	s_cbranch_execz .LBB66_208
; %bb.207:
	v_mov_b32_e32 v23, 0
	ds_read_b64 v[23:24], v23 offset:27560
	s_waitcnt lgkmcnt(0)
	v_mul_f32_e32 v25, v12, v24
	v_mul_f32_e32 v26, v11, v24
	v_fma_f32 v11, v11, v23, -v25
	v_fmac_f32_e32 v26, v12, v23
	v_xor_b32_e32 v23, 0x80000000, v11
	v_xor_b32_e32 v24, 0x80000000, v26
	v_mov_b32_e32 v12, v26
	ds_write_b64 v22, v[23:24]
.LBB66_208:
	s_or_b64 exec, exec, s[10:11]
	v_cmp_gt_u32_e64 s[10:11], 5, v20
	;; [unrolled: 38-line block ×5, first 2 shown]
	s_and_b64 s[76:77], s[10:11], s[0:1]
	s_waitcnt lgkmcnt(0)
	s_barrier
	s_and_saveexec_b64 s[10:11], s[76:77]
	s_cbranch_execz .LBB66_222
; %bb.221:
	v_lshlrev_b32_e32 v23, 3, v20
	ds_read_b64 v[23:24], v23 offset:25984
	ds_read_b64 v[25:26], v22
	s_waitcnt lgkmcnt(0)
	v_mul_f32_e32 v27, v26, v24
	v_mul_f32_e32 v24, v25, v24
	v_fma_f32 v25, v25, v23, -v27
	v_fmac_f32_e32 v24, v26, v23
	v_sub_f32_e32 v11, v11, v25
	v_sub_f32_e32 v12, v12, v24
.LBB66_222:
	s_or_b64 exec, exec, s[10:11]
	v_cmp_eq_u32_e64 s[10:11], 1, v20
	s_and_b64 s[78:79], s[10:11], s[0:1]
	s_barrier
	s_and_saveexec_b64 s[10:11], s[78:79]
	s_cbranch_execz .LBB66_224
; %bb.223:
	v_mov_b32_e32 v23, 0
	ds_read_b64 v[23:24], v23 offset:25480
	s_waitcnt lgkmcnt(0)
	v_mul_f32_e32 v25, v12, v24
	v_mul_f32_e32 v26, v11, v24
	v_fma_f32 v11, v11, v23, -v25
	v_fmac_f32_e32 v26, v12, v23
	v_xor_b32_e32 v23, 0x80000000, v11
	v_xor_b32_e32 v24, 0x80000000, v26
	v_mov_b32_e32 v12, v26
	ds_write_b64 v22, v[23:24]
.LBB66_224:
	s_or_b64 exec, exec, s[10:11]
	v_cmp_eq_u32_e64 s[10:11], 0, v20
	s_and_b64 s[52:53], s[10:11], s[0:1]
	s_waitcnt lgkmcnt(0)
	s_barrier
	s_and_saveexec_b64 s[0:1], s[52:53]
	s_cbranch_execz .LBB66_226
; %bb.225:
	v_mov_b32_e32 v23, 0
	ds_read_b64 v[23:24], v23 offset:25472
	ds_read_b64 v[25:26], v22
	s_waitcnt lgkmcnt(0)
	v_mul_f32_e32 v27, v26, v24
	v_mul_f32_e32 v24, v25, v24
	v_fma_f32 v25, v25, v23, -v27
	v_fmac_f32_e32 v24, v26, v23
	v_sub_f32_e32 v11, v11, v25
	v_sub_f32_e32 v12, v12, v24
.LBB66_226:
	s_or_b64 exec, exec, s[0:1]
	s_barrier
	s_and_saveexec_b64 s[0:1], s[52:53]
	s_cbranch_execz .LBB66_228
; %bb.227:
	v_mov_b32_e32 v23, 0
	ds_read_b64 v[23:24], v23 offset:24960
	s_waitcnt lgkmcnt(0)
	v_mul_f32_e32 v25, v12, v24
	v_mul_f32_e32 v26, v11, v24
	v_fma_f32 v11, v11, v23, -v25
	v_fmac_f32_e32 v26, v12, v23
	v_xor_b32_e32 v23, 0x80000000, v11
	v_xor_b32_e32 v24, 0x80000000, v26
	v_mov_b32_e32 v12, v26
	ds_write_b64 v22, v[23:24]
.LBB66_228:
	s_or_b64 exec, exec, s[0:1]
	s_waitcnt lgkmcnt(0)
	s_barrier
	s_barrier
	s_and_saveexec_b64 s[0:1], s[8:9]
; %bb.229:
	v_lshlrev_b32_e32 v23, 3, v20
	v_lshl_or_b32 v23, v21, 9, v23
	ds_write_b64 v23, v[11:12] offset:29056
; %bb.230:
	s_or_b64 exec, exec, s[0:1]
	v_cmp_gt_u32_e64 s[10:11], 8, v0
	s_and_b64 s[80:81], s[12:13], s[10:11]
	s_waitcnt lgkmcnt(0)
	s_barrier
	s_barrier
	s_and_saveexec_b64 s[0:1], s[80:81]
	s_cbranch_execz .LBB66_232
; %bb.231:
	v_lshlrev_b32_e32 v23, 9, v0
	ds_read_b64 v[11:12], v23 offset:29056
	s_movk_i32 s10, 0xfe08
	v_mad_i32_i24 v24, v0, s10, v23
	s_waitcnt lgkmcnt(0)
	ds_write_b64 v24, v[11:12] offset:25024
	ds_read_b64 v[11:12], v23 offset:29064
	s_waitcnt lgkmcnt(0)
	ds_write_b64 v24, v[11:12] offset:25536
	ds_read_b64 v[11:12], v23 offset:29072
	s_waitcnt lgkmcnt(0)
	ds_write_b64 v24, v[11:12] offset:26048
	ds_read_b64 v[11:12], v23 offset:29080
	s_waitcnt lgkmcnt(0)
	ds_write_b64 v24, v[11:12] offset:26560
	ds_read_b64 v[11:12], v23 offset:29088
	s_waitcnt lgkmcnt(0)
	ds_write_b64 v24, v[11:12] offset:27072
	ds_read_b64 v[11:12], v23 offset:29096
	s_waitcnt lgkmcnt(0)
	ds_write_b64 v24, v[11:12] offset:27584
	ds_read_b64 v[11:12], v23 offset:29104
	s_waitcnt lgkmcnt(0)
	ds_write_b64 v24, v[11:12] offset:28096
	ds_read_b64 v[11:12], v23 offset:29112
	s_waitcnt lgkmcnt(0)
	ds_write_b64 v24, v[11:12] offset:28608
.LBB66_232:
	s_or_b64 exec, exec, s[0:1]
	s_waitcnt lgkmcnt(0)
	s_barrier
	s_and_saveexec_b64 s[0:1], vcc
	s_cbranch_execz .LBB66_234
; %bb.233:
	s_movk_i32 s10, 0x1b0
	v_mov_b32_e32 v11, 0
	v_add_u32_e64 v23, s10, 0
	ds_read_b64 v[11:12], v11 offset:28600
	ds_read2st64_b64 v[23:26], v23 offset0:54 offset1:55
	s_movk_i32 s10, 0x6800
	s_waitcnt lgkmcnt(0)
	v_mul_f32_e32 v27, v12, v24
	v_mul_f32_e32 v24, v11, v24
	v_fma_f32 v27, v11, v23, -v27
	v_fmac_f32_e32 v24, v12, v23
	v_mul_f32_e32 v11, v24, v26
	v_mul_f32_e32 v12, v27, v26
	v_fma_f32 v11, v27, v25, -v11
	v_fmac_f32_e32 v12, v24, v25
	v_add_u32_e64 v23, s10, 0
	ds_write2_b64 v23, v[11:12], v[11:12] offset0:183 offset1:246
.LBB66_234:
	s_or_b64 exec, exec, s[0:1]
	v_mov_b32_e32 v11, 0
	v_mov_b32_e32 v12, 0
	s_waitcnt lgkmcnt(0)
	s_barrier
	buffer_wbinvl1_vol
	s_and_saveexec_b64 s[0:1], s[2:3]
	s_cbranch_execz .LBB66_238
; %bb.235:
	v_lshlrev_b32_e32 v11, 3, v13
	v_lshlrev_b32_e32 v23, 9, v14
	ds_read_b64 v[11:12], v11 offset:28064
	ds_read_b64 v[23:24], v23 offset:28080
	v_cmp_gt_u32_e64 s[10:11], 2, v16
	s_waitcnt lgkmcnt(0)
	v_mul_f32_e32 v25, v24, v12
	v_mul_f32_e32 v12, v23, v12
	v_fma_f32 v23, v23, v11, -v25
	v_fmac_f32_e32 v12, v24, v11
	v_add_f32_e32 v11, 0, v23
	v_add_f32_e32 v12, 0, v12
	s_and_saveexec_b64 s[14:15], s[10:11]
	s_cbranch_execz .LBB66_237
; %bb.236:
	v_lshlrev_b32_e32 v23, 3, v0
	v_mov_b32_e32 v25, 0
	ds_read_b64 v[23:24], v23 offset:28576
	ds_read_b64 v[25:26], v25 offset:28600
	s_waitcnt lgkmcnt(0)
	v_mul_f32_e32 v27, v26, v24
	v_mul_f32_e32 v24, v25, v24
	v_fma_f32 v25, v25, v23, -v27
	v_fmac_f32_e32 v24, v26, v23
	v_add_f32_e32 v11, v11, v25
	v_add_f32_e32 v12, v12, v24
.LBB66_237:
	s_or_b64 exec, exec, s[14:15]
.LBB66_238:
	s_or_b64 exec, exec, s[0:1]
	s_and_saveexec_b64 s[0:1], s[34:35]
	s_cbranch_execz .LBB66_240
; %bb.239:
	v_mov_b32_e32 v23, 0
	ds_read_b64 v[23:24], v23 offset:27560
	s_waitcnt lgkmcnt(0)
	v_mul_f32_e32 v25, v12, v24
	v_mul_f32_e32 v26, v11, v24
	v_fma_f32 v11, v11, v23, -v25
	v_fmac_f32_e32 v26, v12, v23
	v_xor_b32_e32 v23, 0x80000000, v11
	v_xor_b32_e32 v24, 0x80000000, v26
	v_mov_b32_e32 v12, v26
	ds_write_b64 v15, v[23:24]
.LBB66_240:
	s_or_b64 exec, exec, s[0:1]
	s_waitcnt lgkmcnt(0)
	s_barrier
	s_and_saveexec_b64 s[0:1], s[30:31]
	s_cbranch_execz .LBB66_242
; %bb.241:
	v_mov_b32_e32 v23, 0
	ds_read_b64 v[23:24], v23 offset:27552
	ds_read_b64 v[25:26], v15
	s_waitcnt lgkmcnt(0)
	v_mul_f32_e32 v27, v26, v24
	v_mul_f32_e32 v24, v25, v24
	v_fma_f32 v25, v25, v23, -v27
	v_fmac_f32_e32 v24, v26, v23
	v_sub_f32_e32 v11, v11, v25
	v_sub_f32_e32 v12, v12, v24
.LBB66_242:
	s_or_b64 exec, exec, s[0:1]
	s_barrier
	s_and_saveexec_b64 s[0:1], s[30:31]
	s_cbranch_execz .LBB66_244
; %bb.243:
	v_mov_b32_e32 v23, 0
	ds_read_b64 v[23:24], v23 offset:27040
	s_waitcnt lgkmcnt(0)
	v_mul_f32_e32 v25, v12, v24
	v_mul_f32_e32 v26, v11, v24
	v_fma_f32 v11, v11, v23, -v25
	v_fmac_f32_e32 v26, v12, v23
	v_xor_b32_e32 v23, 0x80000000, v11
	v_xor_b32_e32 v24, 0x80000000, v26
	v_mov_b32_e32 v12, v26
	ds_write_b64 v15, v[23:24]
.LBB66_244:
	s_or_b64 exec, exec, s[0:1]
	s_waitcnt lgkmcnt(0)
	s_barrier
	s_barrier
	s_and_saveexec_b64 s[0:1], s[2:3]
; %bb.245:
	v_lshlrev_b32_e32 v23, 3, v13
	v_lshl_or_b32 v23, v14, 9, v23
	ds_write_b64 v23, v[11:12] offset:28064
; %bb.246:
	s_or_b64 exec, exec, s[0:1]
	s_waitcnt lgkmcnt(0)
	s_barrier
	s_barrier
	s_and_saveexec_b64 s[0:1], s[36:37]
	s_cbranch_execz .LBB66_248
; %bb.247:
	v_lshlrev_b32_e32 v23, 3, v0
	s_movk_i32 s10, 0x1f8
	v_mad_u32_u24 v24, v0, s10, v23
	ds_read_b64 v[11:12], v24 offset:28064
	s_waitcnt lgkmcnt(0)
	ds_write_b64 v23, v[11:12] offset:27056
	ds_read_b64 v[11:12], v24 offset:28072
	s_waitcnt lgkmcnt(0)
	ds_write_b64 v23, v[11:12] offset:27568
.LBB66_248:
	s_or_b64 exec, exec, s[0:1]
	s_waitcnt lgkmcnt(0)
	s_barrier
	s_and_saveexec_b64 s[0:1], vcc
	s_cbranch_execz .LBB66_250
; %bb.249:
	s_movk_i32 s10, 0x1a0
	v_mov_b32_e32 v11, 0
	v_add_u32_e64 v23, s10, 0
	ds_read_b64 v[11:12], v11 offset:27560
	ds_read2st64_b64 v[23:26], v23 offset0:52 offset1:53
	s_movk_i32 s10, 0x6800
	s_waitcnt lgkmcnt(0)
	v_mul_f32_e32 v27, v12, v24
	v_mul_f32_e32 v24, v11, v24
	v_fma_f32 v27, v11, v23, -v27
	v_fmac_f32_e32 v24, v12, v23
	v_mul_f32_e32 v11, v24, v26
	v_mul_f32_e32 v12, v27, v26
	v_fma_f32 v11, v27, v25, -v11
	v_fmac_f32_e32 v12, v24, v25
	v_add_u32_e64 v23, s10, 0
	ds_write2_b64 v23, v[11:12], v[11:12] offset0:53 offset1:116
.LBB66_250:
	s_or_b64 exec, exec, s[0:1]
	v_mov_b32_e32 v12, 0
	v_mov_b32_e32 v11, 0
	s_waitcnt lgkmcnt(0)
	s_barrier
	buffer_wbinvl1_vol
	s_and_saveexec_b64 s[0:1], s[18:19]
	s_cbranch_execz .LBB66_256
; %bb.251:
	v_lshlrev_b32_e32 v23, 3, v17
	v_lshlrev_b32_e32 v24, 9, v18
	ds_read_b64 v[11:12], v23 offset:27008
	ds_read_b64 v[25:26], v24 offset:27040
	v_cmp_gt_u32_e64 s[10:11], 12, v16
	s_waitcnt lgkmcnt(0)
	v_mul_f32_e32 v27, v26, v12
	v_mul_f32_e32 v12, v25, v12
	v_fma_f32 v25, v25, v11, -v27
	v_fmac_f32_e32 v12, v26, v11
	v_add_f32_e32 v11, 0, v25
	v_add_f32_e32 v12, 0, v12
	s_and_saveexec_b64 s[14:15], s[10:11]
	s_cbranch_execnz .LBB66_1133
; %bb.252:
	s_or_b64 exec, exec, s[14:15]
	v_cmp_gt_u32_e64 s[10:11], 8, v16
	s_and_saveexec_b64 s[14:15], s[10:11]
	s_cbranch_execnz .LBB66_1134
.LBB66_253:
	s_or_b64 exec, exec, s[14:15]
	v_cmp_gt_u32_e64 s[10:11], 4, v16
	s_and_saveexec_b64 s[14:15], s[10:11]
	s_cbranch_execz .LBB66_255
.LBB66_254:
	v_lshlrev_b32_e32 v23, 3, v0
	v_mov_b32_e32 v25, 0
	ds_read_b64 v[23:24], v23 offset:28544
	ds_read_b64 v[25:26], v25 offset:28600
	s_waitcnt lgkmcnt(0)
	v_mul_f32_e32 v27, v26, v24
	v_mul_f32_e32 v24, v25, v24
	v_fma_f32 v25, v25, v23, -v27
	v_fmac_f32_e32 v24, v26, v23
	v_add_f32_e32 v11, v11, v25
	v_add_f32_e32 v12, v12, v24
.LBB66_255:
	s_or_b64 exec, exec, s[14:15]
.LBB66_256:
	s_or_b64 exec, exec, s[0:1]
	s_and_saveexec_b64 s[0:1], s[40:41]
	s_cbranch_execz .LBB66_258
; %bb.257:
	v_mov_b32_e32 v23, 0
	ds_read_b64 v[23:24], v23 offset:26520
	s_waitcnt lgkmcnt(0)
	v_mul_f32_e32 v25, v12, v24
	v_mul_f32_e32 v26, v11, v24
	v_fma_f32 v11, v11, v23, -v25
	v_fmac_f32_e32 v26, v12, v23
	v_xor_b32_e32 v23, 0x80000000, v11
	v_xor_b32_e32 v24, 0x80000000, v26
	v_mov_b32_e32 v12, v26
	ds_write_b64 v19, v[23:24]
.LBB66_258:
	s_or_b64 exec, exec, s[0:1]
	s_waitcnt lgkmcnt(0)
	s_barrier
	s_and_saveexec_b64 s[0:1], s[42:43]
	s_cbranch_execz .LBB66_260
; %bb.259:
	v_lshlrev_b32_e32 v23, 3, v17
	ds_read_b64 v[23:24], v23 offset:26496
	ds_read_b64 v[25:26], v19
	s_waitcnt lgkmcnt(0)
	v_mul_f32_e32 v27, v26, v24
	v_mul_f32_e32 v24, v25, v24
	v_fma_f32 v25, v25, v23, -v27
	v_fmac_f32_e32 v24, v26, v23
	v_sub_f32_e32 v11, v11, v25
	v_sub_f32_e32 v12, v12, v24
.LBB66_260:
	s_or_b64 exec, exec, s[0:1]
	s_barrier
	s_and_saveexec_b64 s[0:1], s[44:45]
	s_cbranch_execz .LBB66_262
; %bb.261:
	v_mov_b32_e32 v23, 0
	ds_read_b64 v[23:24], v23 offset:26000
	s_waitcnt lgkmcnt(0)
	v_mul_f32_e32 v25, v12, v24
	v_mul_f32_e32 v26, v11, v24
	v_fma_f32 v11, v11, v23, -v25
	v_fmac_f32_e32 v26, v12, v23
	v_xor_b32_e32 v23, 0x80000000, v11
	v_xor_b32_e32 v24, 0x80000000, v26
	v_mov_b32_e32 v12, v26
	ds_write_b64 v19, v[23:24]
.LBB66_262:
	s_or_b64 exec, exec, s[0:1]
	s_waitcnt lgkmcnt(0)
	s_barrier
	s_and_saveexec_b64 s[0:1], s[46:47]
	s_cbranch_execz .LBB66_264
; %bb.263:
	v_lshlrev_b32_e32 v23, 3, v17
	ds_read_b64 v[23:24], v23 offset:25984
	ds_read_b64 v[25:26], v19
	s_waitcnt lgkmcnt(0)
	v_mul_f32_e32 v27, v26, v24
	v_mul_f32_e32 v24, v25, v24
	v_fma_f32 v25, v25, v23, -v27
	v_fmac_f32_e32 v24, v26, v23
	v_sub_f32_e32 v11, v11, v25
	v_sub_f32_e32 v12, v12, v24
.LBB66_264:
	s_or_b64 exec, exec, s[0:1]
	s_barrier
	s_and_saveexec_b64 s[0:1], s[48:49]
	s_cbranch_execz .LBB66_266
; %bb.265:
	v_mov_b32_e32 v23, 0
	ds_read_b64 v[23:24], v23 offset:25480
	s_waitcnt lgkmcnt(0)
	v_mul_f32_e32 v25, v12, v24
	v_mul_f32_e32 v26, v11, v24
	v_fma_f32 v11, v11, v23, -v25
	v_fmac_f32_e32 v26, v12, v23
	v_xor_b32_e32 v23, 0x80000000, v11
	v_xor_b32_e32 v24, 0x80000000, v26
	v_mov_b32_e32 v12, v26
	ds_write_b64 v19, v[23:24]
.LBB66_266:
	s_or_b64 exec, exec, s[0:1]
	s_waitcnt lgkmcnt(0)
	s_barrier
	s_and_saveexec_b64 s[0:1], s[38:39]
	s_cbranch_execz .LBB66_268
; %bb.267:
	v_mov_b32_e32 v23, 0
	ds_read_b64 v[23:24], v23 offset:25472
	ds_read_b64 v[25:26], v19
	s_waitcnt lgkmcnt(0)
	v_mul_f32_e32 v27, v26, v24
	v_mul_f32_e32 v24, v25, v24
	v_fma_f32 v25, v25, v23, -v27
	v_fmac_f32_e32 v24, v26, v23
	v_sub_f32_e32 v11, v11, v25
	v_sub_f32_e32 v12, v12, v24
.LBB66_268:
	s_or_b64 exec, exec, s[0:1]
	s_barrier
	s_and_saveexec_b64 s[0:1], s[38:39]
	s_cbranch_execz .LBB66_270
; %bb.269:
	v_mov_b32_e32 v23, 0
	ds_read_b64 v[23:24], v23 offset:24960
	s_waitcnt lgkmcnt(0)
	v_mul_f32_e32 v25, v12, v24
	v_mul_f32_e32 v26, v11, v24
	v_fma_f32 v11, v11, v23, -v25
	v_fmac_f32_e32 v26, v12, v23
	v_xor_b32_e32 v23, 0x80000000, v11
	v_xor_b32_e32 v24, 0x80000000, v26
	v_mov_b32_e32 v12, v26
	ds_write_b64 v19, v[23:24]
.LBB66_270:
	s_or_b64 exec, exec, s[0:1]
	s_waitcnt lgkmcnt(0)
	s_barrier
	s_barrier
	s_and_saveexec_b64 s[0:1], s[18:19]
; %bb.271:
	v_lshlrev_b32_e32 v23, 3, v17
	v_lshl_or_b32 v23, v18, 9, v23
	ds_write_b64 v23, v[11:12] offset:27008
; %bb.272:
	s_or_b64 exec, exec, s[0:1]
	s_waitcnt lgkmcnt(0)
	s_barrier
	s_barrier
	s_and_saveexec_b64 s[0:1], s[50:51]
	s_cbranch_execz .LBB66_274
; %bb.273:
	v_lshlrev_b32_e32 v23, 9, v0
	ds_read_b64 v[11:12], v23 offset:27008
	s_movk_i32 s10, 0xfe08
	v_mad_i32_i24 v24, v0, s10, v23
	s_waitcnt lgkmcnt(0)
	ds_write_b64 v24, v[11:12] offset:24992
	ds_read_b64 v[11:12], v23 offset:27016
	s_waitcnt lgkmcnt(0)
	ds_write_b64 v24, v[11:12] offset:25504
	ds_read_b64 v[11:12], v23 offset:27024
	;; [unrolled: 3-line block ×3, first 2 shown]
	s_waitcnt lgkmcnt(0)
	ds_write_b64 v24, v[11:12] offset:26528
.LBB66_274:
	s_or_b64 exec, exec, s[0:1]
	s_waitcnt lgkmcnt(0)
	s_barrier
	s_and_saveexec_b64 s[0:1], vcc
	s_cbranch_execz .LBB66_276
; %bb.275:
	s_movk_i32 s10, 0x190
	v_mov_b32_e32 v11, 0
	v_add_u32_e64 v23, s10, 0
	ds_read_b64 v[11:12], v11 offset:26520
	ds_read2st64_b64 v[23:26], v23 offset0:50 offset1:51
	s_movk_i32 s10, 0x6000
	s_waitcnt lgkmcnt(0)
	v_mul_f32_e32 v27, v12, v24
	v_mul_f32_e32 v24, v11, v24
	v_fma_f32 v27, v11, v23, -v27
	v_fmac_f32_e32 v24, v12, v23
	v_mul_f32_e32 v11, v24, v26
	v_mul_f32_e32 v12, v27, v26
	v_fma_f32 v11, v27, v25, -v11
	v_fmac_f32_e32 v12, v24, v25
	v_add_u32_e64 v23, s10, 0
	ds_write2_b64 v23, v[11:12], v[11:12] offset0:179 offset1:242
.LBB66_276:
	s_or_b64 exec, exec, s[0:1]
	v_mov_b32_e32 v11, 0
	v_mov_b32_e32 v12, 0
	s_waitcnt lgkmcnt(0)
	s_barrier
	buffer_wbinvl1_vol
	s_and_saveexec_b64 s[0:1], s[2:3]
	s_cbranch_execz .LBB66_280
; %bb.277:
	v_lshlrev_b32_e32 v11, 3, v13
	v_lshlrev_b32_e32 v23, 9, v14
	ds_read_b64 v[11:12], v11 offset:25984
	ds_read_b64 v[23:24], v23 offset:26000
	v_cmp_gt_u32_e64 s[10:11], 2, v16
	s_waitcnt lgkmcnt(0)
	v_mul_f32_e32 v25, v24, v12
	v_mul_f32_e32 v12, v23, v12
	v_fma_f32 v23, v23, v11, -v25
	v_fmac_f32_e32 v12, v24, v11
	v_add_f32_e32 v11, 0, v23
	v_add_f32_e32 v12, 0, v12
	s_and_saveexec_b64 s[14:15], s[10:11]
	s_cbranch_execz .LBB66_279
; %bb.278:
	v_lshlrev_b32_e32 v23, 3, v0
	v_mov_b32_e32 v25, 0
	ds_read_b64 v[23:24], v23 offset:26496
	ds_read_b64 v[25:26], v25 offset:26520
	s_waitcnt lgkmcnt(0)
	v_mul_f32_e32 v27, v26, v24
	v_mul_f32_e32 v24, v25, v24
	v_fma_f32 v25, v25, v23, -v27
	v_fmac_f32_e32 v24, v26, v23
	v_add_f32_e32 v11, v11, v25
	v_add_f32_e32 v12, v12, v24
.LBB66_279:
	s_or_b64 exec, exec, s[14:15]
.LBB66_280:
	s_or_b64 exec, exec, s[0:1]
	s_and_saveexec_b64 s[0:1], s[34:35]
	s_cbranch_execz .LBB66_282
; %bb.281:
	v_mov_b32_e32 v23, 0
	ds_read_b64 v[23:24], v23 offset:25480
	s_waitcnt lgkmcnt(0)
	v_mul_f32_e32 v25, v12, v24
	v_mul_f32_e32 v26, v11, v24
	v_fma_f32 v11, v11, v23, -v25
	v_fmac_f32_e32 v26, v12, v23
	v_xor_b32_e32 v23, 0x80000000, v11
	v_xor_b32_e32 v24, 0x80000000, v26
	v_mov_b32_e32 v12, v26
	ds_write_b64 v15, v[23:24]
.LBB66_282:
	s_or_b64 exec, exec, s[0:1]
	s_waitcnt lgkmcnt(0)
	s_barrier
	s_and_saveexec_b64 s[0:1], s[30:31]
	s_cbranch_execz .LBB66_284
; %bb.283:
	v_mov_b32_e32 v23, 0
	ds_read_b64 v[23:24], v23 offset:25472
	ds_read_b64 v[25:26], v15
	s_waitcnt lgkmcnt(0)
	v_mul_f32_e32 v27, v26, v24
	v_mul_f32_e32 v24, v25, v24
	v_fma_f32 v25, v25, v23, -v27
	v_fmac_f32_e32 v24, v26, v23
	v_sub_f32_e32 v11, v11, v25
	v_sub_f32_e32 v12, v12, v24
.LBB66_284:
	s_or_b64 exec, exec, s[0:1]
	s_barrier
	s_and_saveexec_b64 s[0:1], s[30:31]
	s_cbranch_execz .LBB66_286
; %bb.285:
	v_mov_b32_e32 v23, 0
	ds_read_b64 v[23:24], v23 offset:24960
	s_waitcnt lgkmcnt(0)
	v_mul_f32_e32 v25, v12, v24
	v_mul_f32_e32 v26, v11, v24
	v_fma_f32 v11, v11, v23, -v25
	v_fmac_f32_e32 v26, v12, v23
	v_xor_b32_e32 v23, 0x80000000, v11
	v_xor_b32_e32 v24, 0x80000000, v26
	v_mov_b32_e32 v12, v26
	ds_write_b64 v15, v[23:24]
.LBB66_286:
	s_or_b64 exec, exec, s[0:1]
	s_waitcnt lgkmcnt(0)
	s_barrier
	s_barrier
	s_and_saveexec_b64 s[0:1], s[2:3]
; %bb.287:
	v_lshlrev_b32_e32 v23, 3, v13
	v_lshl_or_b32 v23, v14, 9, v23
	ds_write_b64 v23, v[11:12] offset:25984
; %bb.288:
	s_or_b64 exec, exec, s[0:1]
	s_waitcnt lgkmcnt(0)
	s_barrier
	s_barrier
	s_and_saveexec_b64 s[0:1], s[36:37]
	s_cbranch_execz .LBB66_290
; %bb.289:
	v_lshlrev_b32_e32 v23, 3, v0
	s_movk_i32 s10, 0x1f8
	v_mad_u32_u24 v24, v0, s10, v23
	ds_read_b64 v[11:12], v24 offset:25984
	s_waitcnt lgkmcnt(0)
	ds_write_b64 v23, v[11:12] offset:24976
	ds_read_b64 v[11:12], v24 offset:25992
	s_waitcnt lgkmcnt(0)
	ds_write_b64 v23, v[11:12] offset:25488
.LBB66_290:
	s_or_b64 exec, exec, s[0:1]
	s_waitcnt lgkmcnt(0)
	s_barrier
	s_and_saveexec_b64 s[0:1], vcc
	s_cbranch_execz .LBB66_292
; %bb.291:
	s_movk_i32 s10, 0x180
	v_mov_b32_e32 v11, 0
	v_add_u32_e64 v23, s10, 0
	ds_read_b64 v[11:12], v11 offset:25480
	ds_read2st64_b64 v[23:26], v23 offset0:48 offset1:49
	s_movk_i32 s10, 0x6000
	s_waitcnt lgkmcnt(0)
	v_mul_f32_e32 v27, v12, v24
	v_mul_f32_e32 v24, v11, v24
	v_fma_f32 v27, v11, v23, -v27
	v_fmac_f32_e32 v24, v12, v23
	v_mul_f32_e32 v11, v24, v26
	v_mul_f32_e32 v12, v27, v26
	v_fma_f32 v11, v27, v25, -v11
	v_fmac_f32_e32 v12, v24, v25
	v_add_u32_e64 v23, s10, 0
	ds_write2_b64 v23, v[11:12], v[11:12] offset0:49 offset1:112
.LBB66_292:
	s_or_b64 exec, exec, s[0:1]
	s_movk_i32 s0, 0xff
	v_lshrrev_b32_e32 v25, 4, v16
	v_cmp_lt_u32_e64 s[14:15], s0, v16
	s_movk_i32 s0, 0x100
	v_and_b32_e32 v23, 15, v0
	v_sub_u32_e32 v24, 15, v25
	v_cmp_gt_u32_e64 s[10:11], s0, v16
	v_mov_b32_e32 v12, 0
	v_mov_b32_e32 v11, 0
	s_waitcnt lgkmcnt(0)
	s_barrier
	buffer_wbinvl1_vol
	s_and_saveexec_b64 s[0:1], s[10:11]
	s_cbranch_execz .LBB66_320
; %bb.293:
	v_lshlrev_b32_e32 v26, 3, v23
	v_lshlrev_b32_e32 v27, 9, v24
	ds_read_b64 v[11:12], v26 offset:24832
	ds_read_b64 v[28:29], v27 offset:24960
	s_movk_i32 s16, 0xf0
	v_cmp_gt_u32_e64 s[16:17], s16, v16
	s_waitcnt lgkmcnt(0)
	v_mul_f32_e32 v30, v29, v12
	v_mul_f32_e32 v12, v28, v12
	v_fma_f32 v28, v28, v11, -v30
	v_fmac_f32_e32 v12, v29, v11
	v_add_f32_e32 v11, 0, v28
	v_add_f32_e32 v12, 0, v12
	s_and_saveexec_b64 s[20:21], s[16:17]
	s_cbranch_execz .LBB66_295
; %bb.294:
	ds_read_b64 v[28:29], v26 offset:25344
	ds_read_b64 v[30:31], v27 offset:24968
	s_waitcnt lgkmcnt(0)
	v_mul_f32_e32 v32, v31, v29
	v_mul_f32_e32 v29, v30, v29
	v_fma_f32 v30, v30, v28, -v32
	v_fmac_f32_e32 v29, v31, v28
	v_add_f32_e32 v11, v11, v30
	v_add_f32_e32 v12, v12, v29
.LBB66_295:
	s_or_b64 exec, exec, s[20:21]
	s_movk_i32 s16, 0xe0
	v_cmp_gt_u32_e64 s[16:17], s16, v16
	s_and_saveexec_b64 s[20:21], s[16:17]
	s_cbranch_execz .LBB66_297
; %bb.296:
	ds_read_b64 v[28:29], v26 offset:25856
	ds_read_b64 v[30:31], v27 offset:24976
	s_waitcnt lgkmcnt(0)
	v_mul_f32_e32 v32, v31, v29
	v_mul_f32_e32 v29, v30, v29
	v_fma_f32 v30, v30, v28, -v32
	v_fmac_f32_e32 v29, v31, v28
	v_add_f32_e32 v11, v11, v30
	v_add_f32_e32 v12, v12, v29
.LBB66_297:
	s_or_b64 exec, exec, s[20:21]
	s_movk_i32 s16, 0xd0
	v_cmp_gt_u32_e64 s[16:17], s16, v16
	;; [unrolled: 16-line block ×10, first 2 shown]
	s_and_saveexec_b64 s[20:21], s[16:17]
	s_cbranch_execnz .LBB66_1135
; %bb.314:
	s_or_b64 exec, exec, s[20:21]
	s_and_saveexec_b64 s[16:17], s[8:9]
	s_cbranch_execnz .LBB66_1136
.LBB66_315:
	s_or_b64 exec, exec, s[16:17]
	v_cmp_gt_u32_e64 s[16:17], 48, v16
	s_and_saveexec_b64 s[20:21], s[16:17]
	s_cbranch_execnz .LBB66_1137
.LBB66_316:
	s_or_b64 exec, exec, s[20:21]
	v_cmp_gt_u32_e64 s[16:17], 32, v16
	s_and_saveexec_b64 s[20:21], s[16:17]
	s_cbranch_execnz .LBB66_1138
.LBB66_317:
	s_or_b64 exec, exec, s[20:21]
	v_cmp_gt_u32_e64 s[16:17], 16, v16
	s_and_saveexec_b64 s[20:21], s[16:17]
	s_cbranch_execz .LBB66_319
.LBB66_318:
	v_lshlrev_b32_e32 v26, 3, v0
	v_mov_b32_e32 v28, 0
	ds_read_b64 v[26:27], v26 offset:32512
	ds_read_b64 v[28:29], v28 offset:32760
	s_waitcnt lgkmcnt(0)
	v_mul_f32_e32 v30, v29, v27
	v_mul_f32_e32 v27, v28, v27
	v_fma_f32 v28, v28, v26, -v30
	v_fmac_f32_e32 v27, v29, v26
	v_add_f32_e32 v11, v11, v28
	v_add_f32_e32 v12, v12, v27
.LBB66_319:
	s_or_b64 exec, exec, s[20:21]
.LBB66_320:
	s_or_b64 exec, exec, s[0:1]
	v_mov_b32_e32 v26, 0x8000
	v_lshl_add_u32 v25, v25, 3, v26
	v_cmp_eq_u32_e64 s[16:17], 15, v23
	s_xor_b64 s[20:21], s[14:15], -1
	s_and_b64 s[14:15], s[16:17], s[20:21]
	s_mov_b64 s[0:1], exec
	v_writelane_b32 v38, s14, 3
	v_writelane_b32 v38, s15, 4
	s_and_b64 s[14:15], s[0:1], s[14:15]
	s_mov_b64 exec, s[14:15]
	s_cbranch_execz .LBB66_322
; %bb.321:
	v_mov_b32_e32 v26, 0
	ds_read_b64 v[26:27], v26 offset:24440
	s_waitcnt lgkmcnt(0)
	v_mul_f32_e32 v28, v12, v27
	v_mul_f32_e32 v29, v11, v27
	v_fma_f32 v11, v11, v26, -v28
	v_fmac_f32_e32 v29, v12, v26
	v_xor_b32_e32 v26, 0x80000000, v11
	v_xor_b32_e32 v27, 0x80000000, v29
	v_mov_b32_e32 v12, v29
	ds_write_b64 v25, v[26:27]
.LBB66_322:
	s_or_b64 exec, exec, s[0:1]
	v_cmp_ne_u32_e64 s[14:15], 15, v23
	s_waitcnt lgkmcnt(0)
	s_barrier
	s_and_b64 s[14:15], s[14:15], s[20:21]
	s_mov_b64 s[0:1], exec
	v_writelane_b32 v38, s14, 5
	v_writelane_b32 v38, s15, 6
	s_and_b64 s[14:15], s[0:1], s[14:15]
	s_mov_b64 exec, s[14:15]
	s_cbranch_execz .LBB66_324
; %bb.323:
	v_lshlrev_b32_e32 v26, 3, v23
	ds_read_b64 v[26:27], v26 offset:24320
	ds_read_b64 v[28:29], v25
	s_waitcnt lgkmcnt(0)
	v_mul_f32_e32 v30, v29, v27
	v_mul_f32_e32 v27, v28, v27
	v_fma_f32 v28, v28, v26, -v30
	v_fmac_f32_e32 v27, v29, v26
	v_sub_f32_e32 v11, v11, v28
	v_sub_f32_e32 v12, v12, v27
.LBB66_324:
	s_or_b64 exec, exec, s[0:1]
	v_cmp_eq_u32_e64 s[14:15], 14, v23
	s_barrier
	s_and_b64 s[14:15], s[14:15], s[20:21]
	s_mov_b64 s[0:1], exec
	v_writelane_b32 v38, s14, 7
	v_writelane_b32 v38, s15, 8
	s_and_b64 s[14:15], s[0:1], s[14:15]
	s_mov_b64 exec, s[14:15]
	s_cbranch_execz .LBB66_326
; %bb.325:
	v_mov_b32_e32 v26, 0
	ds_read_b64 v[26:27], v26 offset:23920
	s_waitcnt lgkmcnt(0)
	v_mul_f32_e32 v28, v12, v27
	v_mul_f32_e32 v29, v11, v27
	v_fma_f32 v11, v11, v26, -v28
	v_fmac_f32_e32 v29, v12, v26
	v_xor_b32_e32 v26, 0x80000000, v11
	v_xor_b32_e32 v27, 0x80000000, v29
	v_mov_b32_e32 v12, v29
	ds_write_b64 v25, v[26:27]
.LBB66_326:
	s_or_b64 exec, exec, s[0:1]
	v_cmp_gt_u32_e64 s[14:15], 14, v23
	s_waitcnt lgkmcnt(0)
	s_barrier
	s_and_b64 s[14:15], s[14:15], s[20:21]
	s_mov_b64 s[0:1], exec
	v_writelane_b32 v38, s14, 9
	v_writelane_b32 v38, s15, 10
	s_and_b64 s[14:15], s[0:1], s[14:15]
	s_mov_b64 exec, s[14:15]
	s_cbranch_execz .LBB66_328
; %bb.327:
	v_lshlrev_b32_e32 v26, 3, v23
	ds_read_b64 v[26:27], v26 offset:23808
	ds_read_b64 v[28:29], v25
	s_waitcnt lgkmcnt(0)
	v_mul_f32_e32 v30, v29, v27
	v_mul_f32_e32 v27, v28, v27
	v_fma_f32 v28, v28, v26, -v30
	v_fmac_f32_e32 v27, v29, v26
	v_sub_f32_e32 v11, v11, v28
	v_sub_f32_e32 v12, v12, v27
.LBB66_328:
	s_or_b64 exec, exec, s[0:1]
	v_cmp_eq_u32_e64 s[14:15], 13, v23
	s_barrier
	s_and_b64 s[14:15], s[14:15], s[20:21]
	s_mov_b64 s[0:1], exec
	v_writelane_b32 v38, s14, 11
	v_writelane_b32 v38, s15, 12
	s_and_b64 s[14:15], s[0:1], s[14:15]
	s_mov_b64 exec, s[14:15]
	s_cbranch_execz .LBB66_330
; %bb.329:
	v_mov_b32_e32 v26, 0
	ds_read_b64 v[26:27], v26 offset:23400
	s_waitcnt lgkmcnt(0)
	v_mul_f32_e32 v28, v12, v27
	v_mul_f32_e32 v29, v11, v27
	v_fma_f32 v11, v11, v26, -v28
	v_fmac_f32_e32 v29, v12, v26
	v_xor_b32_e32 v26, 0x80000000, v11
	v_xor_b32_e32 v27, 0x80000000, v29
	v_mov_b32_e32 v12, v29
	ds_write_b64 v25, v[26:27]
.LBB66_330:
	s_or_b64 exec, exec, s[0:1]
	v_cmp_gt_u32_e64 s[14:15], 13, v23
	;; [unrolled: 46-line block ×11, first 2 shown]
	s_waitcnt lgkmcnt(0)
	s_barrier
	s_and_b64 s[14:15], s[14:15], s[20:21]
	s_mov_b64 s[0:1], exec
	v_writelane_b32 v38, s14, 49
	v_writelane_b32 v38, s15, 50
	s_and_b64 s[14:15], s[0:1], s[14:15]
	s_mov_b64 exec, s[14:15]
	s_cbranch_execz .LBB66_368
; %bb.367:
	v_lshlrev_b32_e32 v26, 3, v23
	ds_read_b64 v[26:27], v26 offset:18688
	ds_read_b64 v[28:29], v25
	s_waitcnt lgkmcnt(0)
	v_mul_f32_e32 v30, v29, v27
	v_mul_f32_e32 v27, v28, v27
	v_fma_f32 v28, v28, v26, -v30
	v_fmac_f32_e32 v27, v29, v26
	v_sub_f32_e32 v11, v11, v28
	v_sub_f32_e32 v12, v12, v27
.LBB66_368:
	s_or_b64 exec, exec, s[0:1]
	v_cmp_eq_u32_e64 s[14:15], 3, v23
	s_and_b64 s[0:1], s[14:15], s[20:21]
	s_barrier
	s_and_saveexec_b64 s[14:15], s[0:1]
	s_cbranch_execz .LBB66_370
; %bb.369:
	v_mov_b32_e32 v26, 0
	ds_read_b64 v[26:27], v26 offset:18200
	s_waitcnt lgkmcnt(0)
	v_mul_f32_e32 v28, v12, v27
	v_mul_f32_e32 v29, v11, v27
	v_fma_f32 v11, v11, v26, -v28
	v_fmac_f32_e32 v29, v12, v26
	v_xor_b32_e32 v26, 0x80000000, v11
	v_xor_b32_e32 v27, 0x80000000, v29
	v_mov_b32_e32 v12, v29
	ds_write_b64 v25, v[26:27]
.LBB66_370:
	s_or_b64 exec, exec, s[14:15]
	v_cmp_gt_u32_e64 s[14:15], 3, v23
	s_waitcnt lgkmcnt(0)
	s_barrier
	s_and_b64 s[16:17], s[14:15], s[20:21]
	s_mov_b64 s[14:15], exec
	v_writelane_b32 v38, s16, 51
	v_writelane_b32 v38, s17, 52
	s_and_b64 s[16:17], s[14:15], s[16:17]
	s_mov_b64 exec, s[16:17]
	s_cbranch_execz .LBB66_372
; %bb.371:
	v_lshlrev_b32_e32 v26, 3, v23
	ds_read_b64 v[26:27], v26 offset:18176
	ds_read_b64 v[28:29], v25
	s_waitcnt lgkmcnt(0)
	v_mul_f32_e32 v30, v29, v27
	v_mul_f32_e32 v27, v28, v27
	v_fma_f32 v28, v28, v26, -v30
	v_fmac_f32_e32 v27, v29, v26
	v_sub_f32_e32 v11, v11, v28
	v_sub_f32_e32 v12, v12, v27
.LBB66_372:
	s_or_b64 exec, exec, s[14:15]
	v_cmp_eq_u32_e64 s[14:15], 2, v23
	s_barrier
	s_and_b64 s[16:17], s[14:15], s[20:21]
	s_mov_b64 s[14:15], exec
	v_writelane_b32 v38, s16, 53
	v_writelane_b32 v38, s17, 54
	s_and_b64 s[16:17], s[14:15], s[16:17]
	s_mov_b64 exec, s[16:17]
	s_cbranch_execz .LBB66_374
; %bb.373:
	v_mov_b32_e32 v26, 0
	ds_read_b64 v[26:27], v26 offset:17680
	s_waitcnt lgkmcnt(0)
	v_mul_f32_e32 v28, v12, v27
	v_mul_f32_e32 v29, v11, v27
	v_fma_f32 v11, v11, v26, -v28
	v_fmac_f32_e32 v29, v12, v26
	v_xor_b32_e32 v26, 0x80000000, v11
	v_xor_b32_e32 v27, 0x80000000, v29
	v_mov_b32_e32 v12, v29
	ds_write_b64 v25, v[26:27]
.LBB66_374:
	s_or_b64 exec, exec, s[14:15]
	v_cmp_gt_u32_e64 s[14:15], 2, v23
	s_and_b64 s[84:85], s[14:15], s[20:21]
	s_waitcnt lgkmcnt(0)
	s_barrier
	s_and_saveexec_b64 s[14:15], s[84:85]
	s_cbranch_execz .LBB66_376
; %bb.375:
	v_lshlrev_b32_e32 v26, 3, v23
	ds_read_b64 v[26:27], v26 offset:17664
	ds_read_b64 v[28:29], v25
	s_waitcnt lgkmcnt(0)
	v_mul_f32_e32 v30, v29, v27
	v_mul_f32_e32 v27, v28, v27
	v_fma_f32 v28, v28, v26, -v30
	v_fmac_f32_e32 v27, v29, v26
	v_sub_f32_e32 v11, v11, v28
	v_sub_f32_e32 v12, v12, v27
.LBB66_376:
	s_or_b64 exec, exec, s[14:15]
	v_cmp_eq_u32_e64 s[14:15], 1, v23
	s_and_b64 s[88:89], s[14:15], s[20:21]
	s_barrier
	s_and_saveexec_b64 s[14:15], s[88:89]
	s_cbranch_execz .LBB66_378
; %bb.377:
	v_mov_b32_e32 v26, 0
	ds_read_b64 v[26:27], v26 offset:17160
	s_waitcnt lgkmcnt(0)
	v_mul_f32_e32 v28, v12, v27
	v_mul_f32_e32 v29, v11, v27
	v_fma_f32 v11, v11, v26, -v28
	v_fmac_f32_e32 v29, v12, v26
	v_xor_b32_e32 v26, 0x80000000, v11
	v_xor_b32_e32 v27, 0x80000000, v29
	v_mov_b32_e32 v12, v29
	ds_write_b64 v25, v[26:27]
.LBB66_378:
	s_or_b64 exec, exec, s[14:15]
	v_cmp_eq_u32_e64 s[14:15], 0, v23
	s_and_b64 s[86:87], s[14:15], s[20:21]
	s_waitcnt lgkmcnt(0)
	s_barrier
	s_and_saveexec_b64 s[14:15], s[86:87]
	s_cbranch_execz .LBB66_380
; %bb.379:
	v_mov_b32_e32 v26, 0
	ds_read_b64 v[26:27], v26 offset:17152
	ds_read_b64 v[28:29], v25
	s_waitcnt lgkmcnt(0)
	v_mul_f32_e32 v30, v29, v27
	v_mul_f32_e32 v27, v28, v27
	v_fma_f32 v28, v28, v26, -v30
	v_fmac_f32_e32 v27, v29, v26
	v_sub_f32_e32 v11, v11, v28
	v_sub_f32_e32 v12, v12, v27
.LBB66_380:
	s_or_b64 exec, exec, s[14:15]
	s_barrier
	s_and_saveexec_b64 s[14:15], s[86:87]
	s_cbranch_execz .LBB66_382
; %bb.381:
	v_mov_b32_e32 v26, 0
	ds_read_b64 v[26:27], v26 offset:16640
	s_waitcnt lgkmcnt(0)
	v_mul_f32_e32 v28, v12, v27
	v_mul_f32_e32 v29, v11, v27
	v_fma_f32 v11, v11, v26, -v28
	v_fmac_f32_e32 v29, v12, v26
	v_xor_b32_e32 v26, 0x80000000, v11
	v_xor_b32_e32 v27, 0x80000000, v29
	v_mov_b32_e32 v12, v29
	ds_write_b64 v25, v[26:27]
.LBB66_382:
	s_or_b64 exec, exec, s[14:15]
	s_waitcnt lgkmcnt(0)
	s_barrier
	s_barrier
	s_and_saveexec_b64 s[14:15], s[10:11]
; %bb.383:
	v_lshlrev_b32_e32 v26, 3, v23
	v_lshl_or_b32 v26, v24, 9, v26
	ds_write_b64 v26, v[11:12] offset:24832
; %bb.384:
	s_or_b64 exec, exec, s[14:15]
	v_cmp_gt_u32_e64 s[14:15], 16, v0
	s_and_b64 s[90:91], s[12:13], s[14:15]
	s_waitcnt lgkmcnt(0)
	s_barrier
	s_barrier
	s_and_saveexec_b64 s[14:15], s[90:91]
	s_cbranch_execz .LBB66_386
; %bb.385:
	v_lshlrev_b32_e32 v26, 9, v0
	ds_read_b64 v[11:12], v26 offset:24832
	s_movk_i32 s16, 0xfe08
	v_mad_i32_i24 v27, v0, s16, v26
	s_waitcnt lgkmcnt(0)
	ds_write_b64 v27, v[11:12] offset:16768
	ds_read_b64 v[11:12], v26 offset:24840
	s_waitcnt lgkmcnt(0)
	ds_write_b64 v27, v[11:12] offset:17280
	ds_read_b64 v[11:12], v26 offset:24848
	;; [unrolled: 3-line block ×15, first 2 shown]
	s_waitcnt lgkmcnt(0)
	ds_write_b64 v27, v[11:12] offset:24448
.LBB66_386:
	s_or_b64 exec, exec, s[14:15]
	s_waitcnt lgkmcnt(0)
	s_barrier
	s_and_saveexec_b64 s[14:15], vcc
	s_cbranch_execz .LBB66_388
; %bb.387:
	s_movk_i32 s16, 0x170
	v_mov_b32_e32 v11, 0
	v_add_u32_e64 v26, s16, 0
	ds_read_b64 v[11:12], v11 offset:24440
	ds_read2st64_b64 v[26:29], v26 offset0:46 offset1:47
	s_movk_i32 s16, 0x5800
	s_waitcnt lgkmcnt(0)
	v_mul_f32_e32 v30, v12, v27
	v_mul_f32_e32 v27, v11, v27
	v_fma_f32 v30, v11, v26, -v30
	v_fmac_f32_e32 v27, v12, v26
	v_mul_f32_e32 v11, v27, v29
	v_mul_f32_e32 v12, v30, v29
	v_fma_f32 v11, v30, v28, -v11
	v_fmac_f32_e32 v12, v27, v28
	v_add_u32_e64 v26, s16, 0
	ds_write2_b64 v26, v[11:12], v[11:12] offset0:175 offset1:238
.LBB66_388:
	s_or_b64 exec, exec, s[14:15]
	v_mov_b32_e32 v11, 0
	v_mov_b32_e32 v12, 0
	s_waitcnt lgkmcnt(0)
	s_barrier
	buffer_wbinvl1_vol
	s_and_saveexec_b64 s[16:17], s[2:3]
	s_cbranch_execz .LBB66_392
; %bb.389:
	v_lshlrev_b32_e32 v11, 3, v13
	v_lshlrev_b32_e32 v26, 9, v14
	ds_read_b64 v[11:12], v11 offset:23904
	ds_read_b64 v[26:27], v26 offset:23920
	v_cmp_gt_u32_e64 s[14:15], 2, v16
	s_waitcnt lgkmcnt(0)
	v_mul_f32_e32 v28, v27, v12
	v_mul_f32_e32 v12, v26, v12
	v_fma_f32 v26, v26, v11, -v28
	v_fmac_f32_e32 v12, v27, v11
	v_add_f32_e32 v11, 0, v26
	v_add_f32_e32 v12, 0, v12
	s_and_saveexec_b64 s[20:21], s[14:15]
	s_cbranch_execz .LBB66_391
; %bb.390:
	v_lshlrev_b32_e32 v26, 3, v0
	v_mov_b32_e32 v28, 0
	ds_read_b64 v[26:27], v26 offset:24416
	ds_read_b64 v[28:29], v28 offset:24440
	s_waitcnt lgkmcnt(0)
	v_mul_f32_e32 v30, v29, v27
	v_mul_f32_e32 v27, v28, v27
	v_fma_f32 v28, v28, v26, -v30
	v_fmac_f32_e32 v27, v29, v26
	v_add_f32_e32 v11, v11, v28
	v_add_f32_e32 v12, v12, v27
.LBB66_391:
	s_or_b64 exec, exec, s[20:21]
.LBB66_392:
	s_or_b64 exec, exec, s[16:17]
	s_and_saveexec_b64 s[14:15], s[34:35]
	s_cbranch_execz .LBB66_394
; %bb.393:
	v_mov_b32_e32 v26, 0
	ds_read_b64 v[26:27], v26 offset:23400
	s_waitcnt lgkmcnt(0)
	v_mul_f32_e32 v28, v12, v27
	v_mul_f32_e32 v29, v11, v27
	v_fma_f32 v11, v11, v26, -v28
	v_fmac_f32_e32 v29, v12, v26
	v_xor_b32_e32 v26, 0x80000000, v11
	v_xor_b32_e32 v27, 0x80000000, v29
	v_mov_b32_e32 v12, v29
	ds_write_b64 v15, v[26:27]
.LBB66_394:
	s_or_b64 exec, exec, s[14:15]
	s_waitcnt lgkmcnt(0)
	s_barrier
	s_and_saveexec_b64 s[14:15], s[30:31]
	s_cbranch_execz .LBB66_396
; %bb.395:
	v_mov_b32_e32 v26, 0
	ds_read_b64 v[26:27], v26 offset:23392
	ds_read_b64 v[28:29], v15
	s_waitcnt lgkmcnt(0)
	v_mul_f32_e32 v30, v29, v27
	v_mul_f32_e32 v27, v28, v27
	v_fma_f32 v28, v28, v26, -v30
	v_fmac_f32_e32 v27, v29, v26
	v_sub_f32_e32 v11, v11, v28
	v_sub_f32_e32 v12, v12, v27
.LBB66_396:
	s_or_b64 exec, exec, s[14:15]
	s_barrier
	s_and_saveexec_b64 s[14:15], s[30:31]
	s_cbranch_execz .LBB66_398
; %bb.397:
	v_mov_b32_e32 v26, 0
	ds_read_b64 v[26:27], v26 offset:22880
	s_waitcnt lgkmcnt(0)
	v_mul_f32_e32 v28, v12, v27
	v_mul_f32_e32 v29, v11, v27
	v_fma_f32 v11, v11, v26, -v28
	v_fmac_f32_e32 v29, v12, v26
	v_xor_b32_e32 v26, 0x80000000, v11
	v_xor_b32_e32 v27, 0x80000000, v29
	v_mov_b32_e32 v12, v29
	ds_write_b64 v15, v[26:27]
.LBB66_398:
	s_or_b64 exec, exec, s[14:15]
	s_waitcnt lgkmcnt(0)
	s_barrier
	s_barrier
	s_and_saveexec_b64 s[14:15], s[2:3]
; %bb.399:
	v_lshlrev_b32_e32 v26, 3, v13
	v_lshl_or_b32 v26, v14, 9, v26
	ds_write_b64 v26, v[11:12] offset:23904
; %bb.400:
	s_or_b64 exec, exec, s[14:15]
	s_waitcnt lgkmcnt(0)
	s_barrier
	s_barrier
	s_and_saveexec_b64 s[14:15], s[36:37]
	s_cbranch_execz .LBB66_402
; %bb.401:
	v_lshlrev_b32_e32 v26, 3, v0
	s_movk_i32 s16, 0x1f8
	v_mad_u32_u24 v27, v0, s16, v26
	ds_read_b64 v[11:12], v27 offset:23904
	s_waitcnt lgkmcnt(0)
	ds_write_b64 v26, v[11:12] offset:22896
	ds_read_b64 v[11:12], v27 offset:23912
	s_waitcnt lgkmcnt(0)
	ds_write_b64 v26, v[11:12] offset:23408
.LBB66_402:
	s_or_b64 exec, exec, s[14:15]
	s_waitcnt lgkmcnt(0)
	s_barrier
	s_and_saveexec_b64 s[14:15], vcc
	s_cbranch_execz .LBB66_404
; %bb.403:
	s_movk_i32 s16, 0x160
	v_mov_b32_e32 v11, 0
	v_add_u32_e64 v26, s16, 0
	ds_read_b64 v[11:12], v11 offset:23400
	ds_read2st64_b64 v[26:29], v26 offset0:44 offset1:45
	s_movk_i32 s16, 0x5800
	s_waitcnt lgkmcnt(0)
	v_mul_f32_e32 v30, v12, v27
	v_mul_f32_e32 v27, v11, v27
	v_fma_f32 v30, v11, v26, -v30
	v_fmac_f32_e32 v27, v12, v26
	v_mul_f32_e32 v11, v27, v29
	v_mul_f32_e32 v12, v30, v29
	v_fma_f32 v11, v30, v28, -v11
	v_fmac_f32_e32 v12, v27, v28
	v_add_u32_e64 v26, s16, 0
	ds_write2_b64 v26, v[11:12], v[11:12] offset0:45 offset1:108
.LBB66_404:
	s_or_b64 exec, exec, s[14:15]
	v_mov_b32_e32 v12, 0
	v_mov_b32_e32 v11, 0
	s_waitcnt lgkmcnt(0)
	s_barrier
	buffer_wbinvl1_vol
	s_and_saveexec_b64 s[16:17], s[18:19]
	s_cbranch_execz .LBB66_410
; %bb.405:
	v_lshlrev_b32_e32 v26, 3, v17
	v_lshlrev_b32_e32 v27, 9, v18
	ds_read_b64 v[11:12], v26 offset:22848
	ds_read_b64 v[28:29], v27 offset:22880
	v_cmp_gt_u32_e64 s[14:15], 12, v16
	s_waitcnt lgkmcnt(0)
	v_mul_f32_e32 v30, v29, v12
	v_mul_f32_e32 v12, v28, v12
	v_fma_f32 v28, v28, v11, -v30
	v_fmac_f32_e32 v12, v29, v11
	v_add_f32_e32 v11, 0, v28
	v_add_f32_e32 v12, 0, v12
	s_and_saveexec_b64 s[20:21], s[14:15]
	s_cbranch_execnz .LBB66_1139
; %bb.406:
	s_or_b64 exec, exec, s[20:21]
	v_cmp_gt_u32_e64 s[14:15], 8, v16
	s_and_saveexec_b64 s[20:21], s[14:15]
	s_cbranch_execnz .LBB66_1140
.LBB66_407:
	s_or_b64 exec, exec, s[20:21]
	v_cmp_gt_u32_e64 s[14:15], 4, v16
	s_and_saveexec_b64 s[20:21], s[14:15]
	s_cbranch_execz .LBB66_409
.LBB66_408:
	v_lshlrev_b32_e32 v26, 3, v0
	v_mov_b32_e32 v28, 0
	ds_read_b64 v[26:27], v26 offset:24384
	ds_read_b64 v[28:29], v28 offset:24440
	s_waitcnt lgkmcnt(0)
	v_mul_f32_e32 v30, v29, v27
	v_mul_f32_e32 v27, v28, v27
	v_fma_f32 v28, v28, v26, -v30
	v_fmac_f32_e32 v27, v29, v26
	v_add_f32_e32 v11, v11, v28
	v_add_f32_e32 v12, v12, v27
.LBB66_409:
	s_or_b64 exec, exec, s[20:21]
.LBB66_410:
	s_or_b64 exec, exec, s[16:17]
	s_and_saveexec_b64 s[14:15], s[40:41]
	s_cbranch_execz .LBB66_412
; %bb.411:
	v_mov_b32_e32 v26, 0
	ds_read_b64 v[26:27], v26 offset:22360
	s_waitcnt lgkmcnt(0)
	v_mul_f32_e32 v28, v12, v27
	v_mul_f32_e32 v29, v11, v27
	v_fma_f32 v11, v11, v26, -v28
	v_fmac_f32_e32 v29, v12, v26
	v_xor_b32_e32 v26, 0x80000000, v11
	v_xor_b32_e32 v27, 0x80000000, v29
	v_mov_b32_e32 v12, v29
	ds_write_b64 v19, v[26:27]
.LBB66_412:
	s_or_b64 exec, exec, s[14:15]
	s_waitcnt lgkmcnt(0)
	s_barrier
	s_and_saveexec_b64 s[14:15], s[42:43]
	s_cbranch_execz .LBB66_414
; %bb.413:
	v_lshlrev_b32_e32 v26, 3, v17
	ds_read_b64 v[26:27], v26 offset:22336
	ds_read_b64 v[28:29], v19
	s_waitcnt lgkmcnt(0)
	v_mul_f32_e32 v30, v29, v27
	v_mul_f32_e32 v27, v28, v27
	v_fma_f32 v28, v28, v26, -v30
	v_fmac_f32_e32 v27, v29, v26
	v_sub_f32_e32 v11, v11, v28
	v_sub_f32_e32 v12, v12, v27
.LBB66_414:
	s_or_b64 exec, exec, s[14:15]
	s_barrier
	s_and_saveexec_b64 s[14:15], s[44:45]
	s_cbranch_execz .LBB66_416
; %bb.415:
	v_mov_b32_e32 v26, 0
	ds_read_b64 v[26:27], v26 offset:21840
	s_waitcnt lgkmcnt(0)
	v_mul_f32_e32 v28, v12, v27
	v_mul_f32_e32 v29, v11, v27
	v_fma_f32 v11, v11, v26, -v28
	v_fmac_f32_e32 v29, v12, v26
	v_xor_b32_e32 v26, 0x80000000, v11
	v_xor_b32_e32 v27, 0x80000000, v29
	v_mov_b32_e32 v12, v29
	ds_write_b64 v19, v[26:27]
.LBB66_416:
	s_or_b64 exec, exec, s[14:15]
	s_waitcnt lgkmcnt(0)
	s_barrier
	s_and_saveexec_b64 s[14:15], s[46:47]
	s_cbranch_execz .LBB66_418
; %bb.417:
	v_lshlrev_b32_e32 v26, 3, v17
	ds_read_b64 v[26:27], v26 offset:21824
	ds_read_b64 v[28:29], v19
	s_waitcnt lgkmcnt(0)
	v_mul_f32_e32 v30, v29, v27
	v_mul_f32_e32 v27, v28, v27
	v_fma_f32 v28, v28, v26, -v30
	v_fmac_f32_e32 v27, v29, v26
	v_sub_f32_e32 v11, v11, v28
	v_sub_f32_e32 v12, v12, v27
.LBB66_418:
	s_or_b64 exec, exec, s[14:15]
	s_barrier
	s_and_saveexec_b64 s[14:15], s[48:49]
	s_cbranch_execz .LBB66_420
; %bb.419:
	v_mov_b32_e32 v26, 0
	ds_read_b64 v[26:27], v26 offset:21320
	s_waitcnt lgkmcnt(0)
	v_mul_f32_e32 v28, v12, v27
	v_mul_f32_e32 v29, v11, v27
	v_fma_f32 v11, v11, v26, -v28
	v_fmac_f32_e32 v29, v12, v26
	v_xor_b32_e32 v26, 0x80000000, v11
	v_xor_b32_e32 v27, 0x80000000, v29
	v_mov_b32_e32 v12, v29
	ds_write_b64 v19, v[26:27]
.LBB66_420:
	s_or_b64 exec, exec, s[14:15]
	s_waitcnt lgkmcnt(0)
	s_barrier
	s_and_saveexec_b64 s[14:15], s[38:39]
	s_cbranch_execz .LBB66_422
; %bb.421:
	v_mov_b32_e32 v26, 0
	ds_read_b64 v[26:27], v26 offset:21312
	ds_read_b64 v[28:29], v19
	s_waitcnt lgkmcnt(0)
	v_mul_f32_e32 v30, v29, v27
	v_mul_f32_e32 v27, v28, v27
	v_fma_f32 v28, v28, v26, -v30
	v_fmac_f32_e32 v27, v29, v26
	v_sub_f32_e32 v11, v11, v28
	v_sub_f32_e32 v12, v12, v27
.LBB66_422:
	s_or_b64 exec, exec, s[14:15]
	s_barrier
	s_and_saveexec_b64 s[14:15], s[38:39]
	s_cbranch_execz .LBB66_424
; %bb.423:
	v_mov_b32_e32 v26, 0
	ds_read_b64 v[26:27], v26 offset:20800
	s_waitcnt lgkmcnt(0)
	v_mul_f32_e32 v28, v12, v27
	v_mul_f32_e32 v29, v11, v27
	v_fma_f32 v11, v11, v26, -v28
	v_fmac_f32_e32 v29, v12, v26
	v_xor_b32_e32 v26, 0x80000000, v11
	v_xor_b32_e32 v27, 0x80000000, v29
	v_mov_b32_e32 v12, v29
	ds_write_b64 v19, v[26:27]
.LBB66_424:
	s_or_b64 exec, exec, s[14:15]
	s_waitcnt lgkmcnt(0)
	s_barrier
	s_barrier
	s_and_saveexec_b64 s[14:15], s[18:19]
; %bb.425:
	v_lshlrev_b32_e32 v26, 3, v17
	v_lshl_or_b32 v26, v18, 9, v26
	ds_write_b64 v26, v[11:12] offset:22848
; %bb.426:
	s_or_b64 exec, exec, s[14:15]
	s_waitcnt lgkmcnt(0)
	s_barrier
	s_barrier
	s_and_saveexec_b64 s[14:15], s[50:51]
	s_cbranch_execz .LBB66_428
; %bb.427:
	v_lshlrev_b32_e32 v26, 9, v0
	ds_read_b64 v[11:12], v26 offset:22848
	s_movk_i32 s16, 0xfe08
	v_mad_i32_i24 v27, v0, s16, v26
	s_waitcnt lgkmcnt(0)
	ds_write_b64 v27, v[11:12] offset:20832
	ds_read_b64 v[11:12], v26 offset:22856
	s_waitcnt lgkmcnt(0)
	ds_write_b64 v27, v[11:12] offset:21344
	ds_read_b64 v[11:12], v26 offset:22864
	;; [unrolled: 3-line block ×3, first 2 shown]
	s_waitcnt lgkmcnt(0)
	ds_write_b64 v27, v[11:12] offset:22368
.LBB66_428:
	s_or_b64 exec, exec, s[14:15]
	s_waitcnt lgkmcnt(0)
	s_barrier
	s_and_saveexec_b64 s[14:15], vcc
	s_cbranch_execz .LBB66_430
; %bb.429:
	s_movk_i32 s16, 0x150
	v_mov_b32_e32 v11, 0
	v_add_u32_e64 v26, s16, 0
	ds_read_b64 v[11:12], v11 offset:22360
	ds_read2st64_b64 v[26:29], v26 offset0:42 offset1:43
	s_movk_i32 s16, 0x5000
	s_waitcnt lgkmcnt(0)
	v_mul_f32_e32 v30, v12, v27
	v_mul_f32_e32 v27, v11, v27
	v_fma_f32 v30, v11, v26, -v30
	v_fmac_f32_e32 v27, v12, v26
	v_mul_f32_e32 v11, v27, v29
	v_mul_f32_e32 v12, v30, v29
	v_fma_f32 v11, v30, v28, -v11
	v_fmac_f32_e32 v12, v27, v28
	v_add_u32_e64 v26, s16, 0
	ds_write2_b64 v26, v[11:12], v[11:12] offset0:171 offset1:234
.LBB66_430:
	s_or_b64 exec, exec, s[14:15]
	v_mov_b32_e32 v11, 0
	v_mov_b32_e32 v12, 0
	s_waitcnt lgkmcnt(0)
	s_barrier
	buffer_wbinvl1_vol
	s_and_saveexec_b64 s[16:17], s[2:3]
	s_cbranch_execz .LBB66_434
; %bb.431:
	v_lshlrev_b32_e32 v11, 3, v13
	v_lshlrev_b32_e32 v26, 9, v14
	ds_read_b64 v[11:12], v11 offset:21824
	ds_read_b64 v[26:27], v26 offset:21840
	v_cmp_gt_u32_e64 s[14:15], 2, v16
	s_waitcnt lgkmcnt(0)
	v_mul_f32_e32 v28, v27, v12
	v_mul_f32_e32 v12, v26, v12
	v_fma_f32 v26, v26, v11, -v28
	v_fmac_f32_e32 v12, v27, v11
	v_add_f32_e32 v11, 0, v26
	v_add_f32_e32 v12, 0, v12
	s_and_saveexec_b64 s[20:21], s[14:15]
	s_cbranch_execz .LBB66_433
; %bb.432:
	v_lshlrev_b32_e32 v26, 3, v0
	v_mov_b32_e32 v28, 0
	ds_read_b64 v[26:27], v26 offset:22336
	ds_read_b64 v[28:29], v28 offset:22360
	s_waitcnt lgkmcnt(0)
	v_mul_f32_e32 v30, v29, v27
	v_mul_f32_e32 v27, v28, v27
	v_fma_f32 v28, v28, v26, -v30
	v_fmac_f32_e32 v27, v29, v26
	v_add_f32_e32 v11, v11, v28
	v_add_f32_e32 v12, v12, v27
.LBB66_433:
	s_or_b64 exec, exec, s[20:21]
.LBB66_434:
	s_or_b64 exec, exec, s[16:17]
	s_and_saveexec_b64 s[14:15], s[34:35]
	s_cbranch_execz .LBB66_436
; %bb.435:
	v_mov_b32_e32 v26, 0
	ds_read_b64 v[26:27], v26 offset:21320
	s_waitcnt lgkmcnt(0)
	v_mul_f32_e32 v28, v12, v27
	v_mul_f32_e32 v29, v11, v27
	v_fma_f32 v11, v11, v26, -v28
	v_fmac_f32_e32 v29, v12, v26
	v_xor_b32_e32 v26, 0x80000000, v11
	v_xor_b32_e32 v27, 0x80000000, v29
	v_mov_b32_e32 v12, v29
	ds_write_b64 v15, v[26:27]
.LBB66_436:
	s_or_b64 exec, exec, s[14:15]
	s_waitcnt lgkmcnt(0)
	s_barrier
	s_and_saveexec_b64 s[14:15], s[30:31]
	s_cbranch_execz .LBB66_438
; %bb.437:
	v_mov_b32_e32 v26, 0
	ds_read_b64 v[26:27], v26 offset:21312
	ds_read_b64 v[28:29], v15
	s_waitcnt lgkmcnt(0)
	v_mul_f32_e32 v30, v29, v27
	v_mul_f32_e32 v27, v28, v27
	v_fma_f32 v28, v28, v26, -v30
	v_fmac_f32_e32 v27, v29, v26
	v_sub_f32_e32 v11, v11, v28
	v_sub_f32_e32 v12, v12, v27
.LBB66_438:
	s_or_b64 exec, exec, s[14:15]
	s_barrier
	s_and_saveexec_b64 s[14:15], s[30:31]
	s_cbranch_execz .LBB66_440
; %bb.439:
	v_mov_b32_e32 v26, 0
	ds_read_b64 v[26:27], v26 offset:20800
	s_waitcnt lgkmcnt(0)
	v_mul_f32_e32 v28, v12, v27
	v_mul_f32_e32 v29, v11, v27
	v_fma_f32 v11, v11, v26, -v28
	v_fmac_f32_e32 v29, v12, v26
	v_xor_b32_e32 v26, 0x80000000, v11
	v_xor_b32_e32 v27, 0x80000000, v29
	v_mov_b32_e32 v12, v29
	ds_write_b64 v15, v[26:27]
.LBB66_440:
	s_or_b64 exec, exec, s[14:15]
	s_waitcnt lgkmcnt(0)
	s_barrier
	s_barrier
	s_and_saveexec_b64 s[14:15], s[2:3]
; %bb.441:
	v_lshlrev_b32_e32 v26, 3, v13
	v_lshl_or_b32 v26, v14, 9, v26
	ds_write_b64 v26, v[11:12] offset:21824
; %bb.442:
	s_or_b64 exec, exec, s[14:15]
	s_waitcnt lgkmcnt(0)
	s_barrier
	s_barrier
	s_and_saveexec_b64 s[14:15], s[36:37]
	s_cbranch_execz .LBB66_444
; %bb.443:
	v_lshlrev_b32_e32 v26, 3, v0
	s_movk_i32 s16, 0x1f8
	v_mad_u32_u24 v27, v0, s16, v26
	ds_read_b64 v[11:12], v27 offset:21824
	s_waitcnt lgkmcnt(0)
	ds_write_b64 v26, v[11:12] offset:20816
	ds_read_b64 v[11:12], v27 offset:21832
	s_waitcnt lgkmcnt(0)
	ds_write_b64 v26, v[11:12] offset:21328
.LBB66_444:
	s_or_b64 exec, exec, s[14:15]
	s_waitcnt lgkmcnt(0)
	s_barrier
	s_and_saveexec_b64 s[14:15], vcc
	s_cbranch_execz .LBB66_446
; %bb.445:
	s_movk_i32 s16, 0x140
	v_mov_b32_e32 v11, 0
	v_add_u32_e64 v26, s16, 0
	ds_read_b64 v[11:12], v11 offset:21320
	ds_read2st64_b64 v[26:29], v26 offset0:40 offset1:41
	s_movk_i32 s16, 0x5000
	s_waitcnt lgkmcnt(0)
	v_mul_f32_e32 v30, v12, v27
	v_mul_f32_e32 v27, v11, v27
	v_fma_f32 v30, v11, v26, -v30
	v_fmac_f32_e32 v27, v12, v26
	v_mul_f32_e32 v11, v27, v29
	v_mul_f32_e32 v12, v30, v29
	v_fma_f32 v11, v30, v28, -v11
	v_fmac_f32_e32 v12, v27, v28
	v_add_u32_e64 v26, s16, 0
	ds_write2_b64 v26, v[11:12], v[11:12] offset0:41 offset1:104
.LBB66_446:
	s_or_b64 exec, exec, s[14:15]
	v_mov_b32_e32 v12, 0
	v_mov_b32_e32 v11, 0
	s_waitcnt lgkmcnt(0)
	s_barrier
	buffer_wbinvl1_vol
	s_and_saveexec_b64 s[16:17], s[8:9]
	s_cbranch_execz .LBB66_456
; %bb.447:
	v_lshlrev_b32_e32 v26, 3, v20
	v_lshlrev_b32_e32 v27, 9, v21
	ds_read_b64 v[11:12], v26 offset:20736
	ds_read_b64 v[28:29], v27 offset:20800
	v_cmp_gt_u32_e64 s[14:15], 56, v16
	s_waitcnt lgkmcnt(0)
	v_mul_f32_e32 v30, v29, v12
	v_mul_f32_e32 v12, v28, v12
	v_fma_f32 v28, v28, v11, -v30
	v_fmac_f32_e32 v12, v29, v11
	v_add_f32_e32 v11, 0, v28
	v_add_f32_e32 v12, 0, v12
	s_and_saveexec_b64 s[20:21], s[14:15]
	s_cbranch_execnz .LBB66_1141
; %bb.448:
	s_or_b64 exec, exec, s[20:21]
	v_cmp_gt_u32_e64 s[14:15], 48, v16
	s_and_saveexec_b64 s[20:21], s[14:15]
	s_cbranch_execnz .LBB66_1142
.LBB66_449:
	s_or_b64 exec, exec, s[20:21]
	v_cmp_gt_u32_e64 s[14:15], 40, v16
	s_and_saveexec_b64 s[20:21], s[14:15]
	s_cbranch_execnz .LBB66_1143
.LBB66_450:
	s_or_b64 exec, exec, s[20:21]
	v_cmp_gt_u32_e64 s[14:15], 32, v16
	s_and_saveexec_b64 s[20:21], s[14:15]
	s_cbranch_execnz .LBB66_1144
.LBB66_451:
	s_or_b64 exec, exec, s[20:21]
	v_cmp_gt_u32_e64 s[14:15], 24, v16
	s_and_saveexec_b64 s[20:21], s[14:15]
	s_cbranch_execnz .LBB66_1145
.LBB66_452:
	s_or_b64 exec, exec, s[20:21]
	s_and_saveexec_b64 s[14:15], s[18:19]
	s_cbranch_execnz .LBB66_1146
.LBB66_453:
	s_or_b64 exec, exec, s[14:15]
	v_cmp_gt_u32_e64 s[14:15], 8, v16
	s_and_saveexec_b64 s[20:21], s[14:15]
	s_cbranch_execz .LBB66_455
.LBB66_454:
	v_lshlrev_b32_e32 v26, 3, v0
	v_mov_b32_e32 v28, 0
	ds_read_b64 v[26:27], v26 offset:24320
	ds_read_b64 v[28:29], v28 offset:24440
	s_waitcnt lgkmcnt(0)
	v_mul_f32_e32 v30, v29, v27
	v_mul_f32_e32 v27, v28, v27
	v_fma_f32 v28, v28, v26, -v30
	v_fmac_f32_e32 v27, v29, v26
	v_add_f32_e32 v11, v11, v28
	v_add_f32_e32 v12, v12, v27
.LBB66_455:
	s_or_b64 exec, exec, s[20:21]
.LBB66_456:
	s_or_b64 exec, exec, s[16:17]
	s_and_saveexec_b64 s[14:15], s[54:55]
	s_cbranch_execz .LBB66_458
; %bb.457:
	v_mov_b32_e32 v26, 0
	ds_read_b64 v[26:27], v26 offset:20280
	s_waitcnt lgkmcnt(0)
	v_mul_f32_e32 v28, v12, v27
	v_mul_f32_e32 v29, v11, v27
	v_fma_f32 v11, v11, v26, -v28
	v_fmac_f32_e32 v29, v12, v26
	v_xor_b32_e32 v26, 0x80000000, v11
	v_xor_b32_e32 v27, 0x80000000, v29
	v_mov_b32_e32 v12, v29
	ds_write_b64 v22, v[26:27]
.LBB66_458:
	s_or_b64 exec, exec, s[14:15]
	s_waitcnt lgkmcnt(0)
	s_barrier
	s_and_saveexec_b64 s[14:15], s[56:57]
	s_cbranch_execz .LBB66_460
; %bb.459:
	v_lshlrev_b32_e32 v26, 3, v20
	ds_read_b64 v[26:27], v26 offset:20224
	ds_read_b64 v[28:29], v22
	s_waitcnt lgkmcnt(0)
	v_mul_f32_e32 v30, v29, v27
	v_mul_f32_e32 v27, v28, v27
	v_fma_f32 v28, v28, v26, -v30
	v_fmac_f32_e32 v27, v29, v26
	v_sub_f32_e32 v11, v11, v28
	v_sub_f32_e32 v12, v12, v27
.LBB66_460:
	s_or_b64 exec, exec, s[14:15]
	s_barrier
	s_and_saveexec_b64 s[14:15], s[58:59]
	s_cbranch_execz .LBB66_462
; %bb.461:
	v_mov_b32_e32 v26, 0
	ds_read_b64 v[26:27], v26 offset:19760
	s_waitcnt lgkmcnt(0)
	v_mul_f32_e32 v28, v12, v27
	v_mul_f32_e32 v29, v11, v27
	v_fma_f32 v11, v11, v26, -v28
	v_fmac_f32_e32 v29, v12, v26
	v_xor_b32_e32 v26, 0x80000000, v11
	v_xor_b32_e32 v27, 0x80000000, v29
	v_mov_b32_e32 v12, v29
	ds_write_b64 v22, v[26:27]
.LBB66_462:
	s_or_b64 exec, exec, s[14:15]
	s_waitcnt lgkmcnt(0)
	s_barrier
	s_and_saveexec_b64 s[14:15], s[60:61]
	s_cbranch_execz .LBB66_464
; %bb.463:
	v_lshlrev_b32_e32 v26, 3, v20
	ds_read_b64 v[26:27], v26 offset:19712
	ds_read_b64 v[28:29], v22
	s_waitcnt lgkmcnt(0)
	v_mul_f32_e32 v30, v29, v27
	v_mul_f32_e32 v27, v28, v27
	v_fma_f32 v28, v28, v26, -v30
	v_fmac_f32_e32 v27, v29, v26
	v_sub_f32_e32 v11, v11, v28
	v_sub_f32_e32 v12, v12, v27
.LBB66_464:
	s_or_b64 exec, exec, s[14:15]
	s_barrier
	;; [unrolled: 34-line block ×6, first 2 shown]
	s_and_saveexec_b64 s[14:15], s[78:79]
	s_cbranch_execz .LBB66_482
; %bb.481:
	v_mov_b32_e32 v26, 0
	ds_read_b64 v[26:27], v26 offset:17160
	s_waitcnt lgkmcnt(0)
	v_mul_f32_e32 v28, v12, v27
	v_mul_f32_e32 v29, v11, v27
	v_fma_f32 v11, v11, v26, -v28
	v_fmac_f32_e32 v29, v12, v26
	v_xor_b32_e32 v26, 0x80000000, v11
	v_xor_b32_e32 v27, 0x80000000, v29
	v_mov_b32_e32 v12, v29
	ds_write_b64 v22, v[26:27]
.LBB66_482:
	s_or_b64 exec, exec, s[14:15]
	s_waitcnt lgkmcnt(0)
	s_barrier
	s_and_saveexec_b64 s[14:15], s[52:53]
	s_cbranch_execz .LBB66_484
; %bb.483:
	v_mov_b32_e32 v26, 0
	ds_read_b64 v[26:27], v26 offset:17152
	ds_read_b64 v[28:29], v22
	s_waitcnt lgkmcnt(0)
	v_mul_f32_e32 v30, v29, v27
	v_mul_f32_e32 v27, v28, v27
	v_fma_f32 v28, v28, v26, -v30
	v_fmac_f32_e32 v27, v29, v26
	v_sub_f32_e32 v11, v11, v28
	v_sub_f32_e32 v12, v12, v27
.LBB66_484:
	s_or_b64 exec, exec, s[14:15]
	s_barrier
	s_and_saveexec_b64 s[14:15], s[52:53]
	s_cbranch_execz .LBB66_486
; %bb.485:
	v_mov_b32_e32 v26, 0
	ds_read_b64 v[26:27], v26 offset:16640
	s_waitcnt lgkmcnt(0)
	v_mul_f32_e32 v28, v12, v27
	v_mul_f32_e32 v29, v11, v27
	v_fma_f32 v11, v11, v26, -v28
	v_fmac_f32_e32 v29, v12, v26
	v_xor_b32_e32 v26, 0x80000000, v11
	v_xor_b32_e32 v27, 0x80000000, v29
	v_mov_b32_e32 v12, v29
	ds_write_b64 v22, v[26:27]
.LBB66_486:
	s_or_b64 exec, exec, s[14:15]
	s_waitcnt lgkmcnt(0)
	s_barrier
	s_barrier
	s_and_saveexec_b64 s[14:15], s[8:9]
; %bb.487:
	v_lshlrev_b32_e32 v26, 3, v20
	v_lshl_or_b32 v26, v21, 9, v26
	ds_write_b64 v26, v[11:12] offset:20736
; %bb.488:
	s_or_b64 exec, exec, s[14:15]
	s_waitcnt lgkmcnt(0)
	s_barrier
	s_barrier
	s_and_saveexec_b64 s[14:15], s[80:81]
	s_cbranch_execz .LBB66_490
; %bb.489:
	v_lshlrev_b32_e32 v26, 9, v0
	ds_read_b64 v[11:12], v26 offset:20736
	s_movk_i32 s16, 0xfe08
	v_mad_i32_i24 v27, v0, s16, v26
	s_waitcnt lgkmcnt(0)
	ds_write_b64 v27, v[11:12] offset:16704
	ds_read_b64 v[11:12], v26 offset:20744
	s_waitcnt lgkmcnt(0)
	ds_write_b64 v27, v[11:12] offset:17216
	ds_read_b64 v[11:12], v26 offset:20752
	;; [unrolled: 3-line block ×7, first 2 shown]
	s_waitcnt lgkmcnt(0)
	ds_write_b64 v27, v[11:12] offset:20288
.LBB66_490:
	s_or_b64 exec, exec, s[14:15]
	s_waitcnt lgkmcnt(0)
	s_barrier
	s_and_saveexec_b64 s[14:15], vcc
	s_cbranch_execz .LBB66_492
; %bb.491:
	s_movk_i32 s16, 0x130
	v_mov_b32_e32 v11, 0
	v_add_u32_e64 v26, s16, 0
	ds_read_b64 v[11:12], v11 offset:20280
	ds_read2st64_b64 v[26:29], v26 offset0:38 offset1:39
	s_movk_i32 s16, 0x4800
	s_waitcnt lgkmcnt(0)
	v_mul_f32_e32 v30, v12, v27
	v_mul_f32_e32 v27, v11, v27
	v_fma_f32 v30, v11, v26, -v30
	v_fmac_f32_e32 v27, v12, v26
	v_mul_f32_e32 v11, v27, v29
	v_mul_f32_e32 v12, v30, v29
	v_fma_f32 v11, v30, v28, -v11
	v_fmac_f32_e32 v12, v27, v28
	v_add_u32_e64 v26, s16, 0
	ds_write2_b64 v26, v[11:12], v[11:12] offset0:167 offset1:230
.LBB66_492:
	s_or_b64 exec, exec, s[14:15]
	v_mov_b32_e32 v11, 0
	v_mov_b32_e32 v12, 0
	s_waitcnt lgkmcnt(0)
	s_barrier
	buffer_wbinvl1_vol
	s_and_saveexec_b64 s[16:17], s[2:3]
	s_cbranch_execz .LBB66_496
; %bb.493:
	v_lshlrev_b32_e32 v11, 3, v13
	v_lshlrev_b32_e32 v26, 9, v14
	ds_read_b64 v[11:12], v11 offset:19744
	ds_read_b64 v[26:27], v26 offset:19760
	v_cmp_gt_u32_e64 s[14:15], 2, v16
	s_waitcnt lgkmcnt(0)
	v_mul_f32_e32 v28, v27, v12
	v_mul_f32_e32 v12, v26, v12
	v_fma_f32 v26, v26, v11, -v28
	v_fmac_f32_e32 v12, v27, v11
	v_add_f32_e32 v11, 0, v26
	v_add_f32_e32 v12, 0, v12
	s_and_saveexec_b64 s[20:21], s[14:15]
	s_cbranch_execz .LBB66_495
; %bb.494:
	v_lshlrev_b32_e32 v26, 3, v0
	v_mov_b32_e32 v28, 0
	ds_read_b64 v[26:27], v26 offset:20256
	ds_read_b64 v[28:29], v28 offset:20280
	s_waitcnt lgkmcnt(0)
	v_mul_f32_e32 v30, v29, v27
	v_mul_f32_e32 v27, v28, v27
	v_fma_f32 v28, v28, v26, -v30
	v_fmac_f32_e32 v27, v29, v26
	v_add_f32_e32 v11, v11, v28
	v_add_f32_e32 v12, v12, v27
.LBB66_495:
	s_or_b64 exec, exec, s[20:21]
.LBB66_496:
	s_or_b64 exec, exec, s[16:17]
	s_and_saveexec_b64 s[14:15], s[34:35]
	s_cbranch_execz .LBB66_498
; %bb.497:
	v_mov_b32_e32 v26, 0
	ds_read_b64 v[26:27], v26 offset:19240
	s_waitcnt lgkmcnt(0)
	v_mul_f32_e32 v28, v12, v27
	v_mul_f32_e32 v29, v11, v27
	v_fma_f32 v11, v11, v26, -v28
	v_fmac_f32_e32 v29, v12, v26
	v_xor_b32_e32 v26, 0x80000000, v11
	v_xor_b32_e32 v27, 0x80000000, v29
	v_mov_b32_e32 v12, v29
	ds_write_b64 v15, v[26:27]
.LBB66_498:
	s_or_b64 exec, exec, s[14:15]
	s_waitcnt lgkmcnt(0)
	s_barrier
	s_and_saveexec_b64 s[14:15], s[30:31]
	s_cbranch_execz .LBB66_500
; %bb.499:
	v_mov_b32_e32 v26, 0
	ds_read_b64 v[26:27], v26 offset:19232
	ds_read_b64 v[28:29], v15
	s_waitcnt lgkmcnt(0)
	v_mul_f32_e32 v30, v29, v27
	v_mul_f32_e32 v27, v28, v27
	v_fma_f32 v28, v28, v26, -v30
	v_fmac_f32_e32 v27, v29, v26
	v_sub_f32_e32 v11, v11, v28
	v_sub_f32_e32 v12, v12, v27
.LBB66_500:
	s_or_b64 exec, exec, s[14:15]
	s_barrier
	s_and_saveexec_b64 s[14:15], s[30:31]
	s_cbranch_execz .LBB66_502
; %bb.501:
	v_mov_b32_e32 v26, 0
	ds_read_b64 v[26:27], v26 offset:18720
	s_waitcnt lgkmcnt(0)
	v_mul_f32_e32 v28, v12, v27
	v_mul_f32_e32 v29, v11, v27
	v_fma_f32 v11, v11, v26, -v28
	v_fmac_f32_e32 v29, v12, v26
	v_xor_b32_e32 v26, 0x80000000, v11
	v_xor_b32_e32 v27, 0x80000000, v29
	v_mov_b32_e32 v12, v29
	ds_write_b64 v15, v[26:27]
.LBB66_502:
	s_or_b64 exec, exec, s[14:15]
	s_waitcnt lgkmcnt(0)
	s_barrier
	s_barrier
	s_and_saveexec_b64 s[14:15], s[2:3]
; %bb.503:
	v_lshlrev_b32_e32 v26, 3, v13
	v_lshl_or_b32 v26, v14, 9, v26
	ds_write_b64 v26, v[11:12] offset:19744
; %bb.504:
	s_or_b64 exec, exec, s[14:15]
	s_waitcnt lgkmcnt(0)
	s_barrier
	s_barrier
	s_and_saveexec_b64 s[14:15], s[36:37]
	s_cbranch_execz .LBB66_506
; %bb.505:
	v_lshlrev_b32_e32 v26, 3, v0
	s_movk_i32 s16, 0x1f8
	v_mad_u32_u24 v27, v0, s16, v26
	ds_read_b64 v[11:12], v27 offset:19744
	s_waitcnt lgkmcnt(0)
	ds_write_b64 v26, v[11:12] offset:18736
	ds_read_b64 v[11:12], v27 offset:19752
	s_waitcnt lgkmcnt(0)
	ds_write_b64 v26, v[11:12] offset:19248
.LBB66_506:
	s_or_b64 exec, exec, s[14:15]
	s_waitcnt lgkmcnt(0)
	s_barrier
	s_and_saveexec_b64 s[14:15], vcc
	s_cbranch_execz .LBB66_508
; %bb.507:
	s_movk_i32 s16, 0x120
	v_mov_b32_e32 v11, 0
	v_add_u32_e64 v26, s16, 0
	ds_read_b64 v[11:12], v11 offset:19240
	ds_read2st64_b64 v[26:29], v26 offset0:36 offset1:37
	s_movk_i32 s16, 0x4800
	s_waitcnt lgkmcnt(0)
	v_mul_f32_e32 v30, v12, v27
	v_mul_f32_e32 v27, v11, v27
	v_fma_f32 v30, v11, v26, -v30
	v_fmac_f32_e32 v27, v12, v26
	v_mul_f32_e32 v11, v27, v29
	v_mul_f32_e32 v12, v30, v29
	v_fma_f32 v11, v30, v28, -v11
	v_fmac_f32_e32 v12, v27, v28
	v_add_u32_e64 v26, s16, 0
	ds_write2_b64 v26, v[11:12], v[11:12] offset0:37 offset1:100
.LBB66_508:
	s_or_b64 exec, exec, s[14:15]
	v_mov_b32_e32 v12, 0
	v_mov_b32_e32 v11, 0
	s_waitcnt lgkmcnt(0)
	s_barrier
	buffer_wbinvl1_vol
	s_and_saveexec_b64 s[16:17], s[18:19]
	s_cbranch_execz .LBB66_514
; %bb.509:
	v_lshlrev_b32_e32 v26, 3, v17
	v_lshlrev_b32_e32 v27, 9, v18
	ds_read_b64 v[11:12], v26 offset:18688
	ds_read_b64 v[28:29], v27 offset:18720
	v_cmp_gt_u32_e64 s[14:15], 12, v16
	s_waitcnt lgkmcnt(0)
	v_mul_f32_e32 v30, v29, v12
	v_mul_f32_e32 v12, v28, v12
	v_fma_f32 v28, v28, v11, -v30
	v_fmac_f32_e32 v12, v29, v11
	v_add_f32_e32 v11, 0, v28
	v_add_f32_e32 v12, 0, v12
	s_and_saveexec_b64 s[20:21], s[14:15]
	s_cbranch_execnz .LBB66_1147
; %bb.510:
	s_or_b64 exec, exec, s[20:21]
	v_cmp_gt_u32_e64 s[14:15], 8, v16
	s_and_saveexec_b64 s[20:21], s[14:15]
	s_cbranch_execnz .LBB66_1148
.LBB66_511:
	s_or_b64 exec, exec, s[20:21]
	v_cmp_gt_u32_e64 s[14:15], 4, v16
	s_and_saveexec_b64 s[20:21], s[14:15]
	s_cbranch_execz .LBB66_513
.LBB66_512:
	v_lshlrev_b32_e32 v26, 3, v0
	v_mov_b32_e32 v28, 0
	ds_read_b64 v[26:27], v26 offset:20224
	ds_read_b64 v[28:29], v28 offset:20280
	s_waitcnt lgkmcnt(0)
	v_mul_f32_e32 v30, v29, v27
	v_mul_f32_e32 v27, v28, v27
	v_fma_f32 v28, v28, v26, -v30
	v_fmac_f32_e32 v27, v29, v26
	v_add_f32_e32 v11, v11, v28
	v_add_f32_e32 v12, v12, v27
.LBB66_513:
	s_or_b64 exec, exec, s[20:21]
.LBB66_514:
	s_or_b64 exec, exec, s[16:17]
	s_and_saveexec_b64 s[14:15], s[40:41]
	s_cbranch_execz .LBB66_516
; %bb.515:
	v_mov_b32_e32 v26, 0
	ds_read_b64 v[26:27], v26 offset:18200
	s_waitcnt lgkmcnt(0)
	v_mul_f32_e32 v28, v12, v27
	v_mul_f32_e32 v29, v11, v27
	v_fma_f32 v11, v11, v26, -v28
	v_fmac_f32_e32 v29, v12, v26
	v_xor_b32_e32 v26, 0x80000000, v11
	v_xor_b32_e32 v27, 0x80000000, v29
	v_mov_b32_e32 v12, v29
	ds_write_b64 v19, v[26:27]
.LBB66_516:
	s_or_b64 exec, exec, s[14:15]
	s_waitcnt lgkmcnt(0)
	s_barrier
	s_and_saveexec_b64 s[14:15], s[42:43]
	s_cbranch_execz .LBB66_518
; %bb.517:
	v_lshlrev_b32_e32 v26, 3, v17
	ds_read_b64 v[26:27], v26 offset:18176
	ds_read_b64 v[28:29], v19
	s_waitcnt lgkmcnt(0)
	v_mul_f32_e32 v30, v29, v27
	v_mul_f32_e32 v27, v28, v27
	v_fma_f32 v28, v28, v26, -v30
	v_fmac_f32_e32 v27, v29, v26
	v_sub_f32_e32 v11, v11, v28
	v_sub_f32_e32 v12, v12, v27
.LBB66_518:
	s_or_b64 exec, exec, s[14:15]
	s_barrier
	s_and_saveexec_b64 s[14:15], s[44:45]
	s_cbranch_execz .LBB66_520
; %bb.519:
	v_mov_b32_e32 v26, 0
	ds_read_b64 v[26:27], v26 offset:17680
	s_waitcnt lgkmcnt(0)
	v_mul_f32_e32 v28, v12, v27
	v_mul_f32_e32 v29, v11, v27
	v_fma_f32 v11, v11, v26, -v28
	v_fmac_f32_e32 v29, v12, v26
	v_xor_b32_e32 v26, 0x80000000, v11
	v_xor_b32_e32 v27, 0x80000000, v29
	v_mov_b32_e32 v12, v29
	ds_write_b64 v19, v[26:27]
.LBB66_520:
	s_or_b64 exec, exec, s[14:15]
	s_waitcnt lgkmcnt(0)
	s_barrier
	s_and_saveexec_b64 s[14:15], s[46:47]
	s_cbranch_execz .LBB66_522
; %bb.521:
	v_lshlrev_b32_e32 v26, 3, v17
	ds_read_b64 v[26:27], v26 offset:17664
	ds_read_b64 v[28:29], v19
	s_waitcnt lgkmcnt(0)
	v_mul_f32_e32 v30, v29, v27
	v_mul_f32_e32 v27, v28, v27
	v_fma_f32 v28, v28, v26, -v30
	v_fmac_f32_e32 v27, v29, v26
	v_sub_f32_e32 v11, v11, v28
	v_sub_f32_e32 v12, v12, v27
.LBB66_522:
	s_or_b64 exec, exec, s[14:15]
	s_barrier
	s_and_saveexec_b64 s[14:15], s[48:49]
	s_cbranch_execz .LBB66_524
; %bb.523:
	v_mov_b32_e32 v26, 0
	ds_read_b64 v[26:27], v26 offset:17160
	s_waitcnt lgkmcnt(0)
	v_mul_f32_e32 v28, v12, v27
	v_mul_f32_e32 v29, v11, v27
	v_fma_f32 v11, v11, v26, -v28
	v_fmac_f32_e32 v29, v12, v26
	v_xor_b32_e32 v26, 0x80000000, v11
	v_xor_b32_e32 v27, 0x80000000, v29
	v_mov_b32_e32 v12, v29
	ds_write_b64 v19, v[26:27]
.LBB66_524:
	s_or_b64 exec, exec, s[14:15]
	s_waitcnt lgkmcnt(0)
	s_barrier
	s_and_saveexec_b64 s[14:15], s[38:39]
	s_cbranch_execz .LBB66_526
; %bb.525:
	v_mov_b32_e32 v26, 0
	ds_read_b64 v[26:27], v26 offset:17152
	ds_read_b64 v[28:29], v19
	s_waitcnt lgkmcnt(0)
	v_mul_f32_e32 v30, v29, v27
	v_mul_f32_e32 v27, v28, v27
	v_fma_f32 v28, v28, v26, -v30
	v_fmac_f32_e32 v27, v29, v26
	v_sub_f32_e32 v11, v11, v28
	v_sub_f32_e32 v12, v12, v27
.LBB66_526:
	s_or_b64 exec, exec, s[14:15]
	s_barrier
	s_and_saveexec_b64 s[14:15], s[38:39]
	s_cbranch_execz .LBB66_528
; %bb.527:
	v_mov_b32_e32 v26, 0
	ds_read_b64 v[26:27], v26 offset:16640
	s_waitcnt lgkmcnt(0)
	v_mul_f32_e32 v28, v12, v27
	v_mul_f32_e32 v29, v11, v27
	v_fma_f32 v11, v11, v26, -v28
	v_fmac_f32_e32 v29, v12, v26
	v_xor_b32_e32 v26, 0x80000000, v11
	v_xor_b32_e32 v27, 0x80000000, v29
	v_mov_b32_e32 v12, v29
	ds_write_b64 v19, v[26:27]
.LBB66_528:
	s_or_b64 exec, exec, s[14:15]
	s_waitcnt lgkmcnt(0)
	s_barrier
	s_barrier
	s_and_saveexec_b64 s[14:15], s[18:19]
; %bb.529:
	v_lshlrev_b32_e32 v26, 3, v17
	v_lshl_or_b32 v26, v18, 9, v26
	ds_write_b64 v26, v[11:12] offset:18688
; %bb.530:
	s_or_b64 exec, exec, s[14:15]
	s_waitcnt lgkmcnt(0)
	s_barrier
	s_barrier
	s_and_saveexec_b64 s[14:15], s[50:51]
	s_cbranch_execz .LBB66_532
; %bb.531:
	v_lshlrev_b32_e32 v26, 9, v0
	ds_read_b64 v[11:12], v26 offset:18688
	s_movk_i32 s16, 0xfe08
	v_mad_i32_i24 v27, v0, s16, v26
	s_waitcnt lgkmcnt(0)
	ds_write_b64 v27, v[11:12] offset:16672
	ds_read_b64 v[11:12], v26 offset:18696
	s_waitcnt lgkmcnt(0)
	ds_write_b64 v27, v[11:12] offset:17184
	ds_read_b64 v[11:12], v26 offset:18704
	;; [unrolled: 3-line block ×3, first 2 shown]
	s_waitcnt lgkmcnt(0)
	ds_write_b64 v27, v[11:12] offset:18208
.LBB66_532:
	s_or_b64 exec, exec, s[14:15]
	s_waitcnt lgkmcnt(0)
	s_barrier
	s_and_saveexec_b64 s[14:15], vcc
	s_cbranch_execz .LBB66_534
; %bb.533:
	s_movk_i32 s16, 0x110
	v_mov_b32_e32 v11, 0
	v_add_u32_e64 v26, s16, 0
	ds_read_b64 v[11:12], v11 offset:18200
	ds_read2st64_b64 v[26:29], v26 offset0:34 offset1:35
	s_movk_i32 s16, 0x4000
	s_waitcnt lgkmcnt(0)
	v_mul_f32_e32 v30, v12, v27
	v_mul_f32_e32 v27, v11, v27
	v_fma_f32 v30, v11, v26, -v30
	v_fmac_f32_e32 v27, v12, v26
	v_mul_f32_e32 v11, v27, v29
	v_mul_f32_e32 v12, v30, v29
	v_fma_f32 v11, v30, v28, -v11
	v_fmac_f32_e32 v12, v27, v28
	v_add_u32_e64 v26, s16, 0
	ds_write2_b64 v26, v[11:12], v[11:12] offset0:163 offset1:226
.LBB66_534:
	s_or_b64 exec, exec, s[14:15]
	v_mov_b32_e32 v11, 0
	v_mov_b32_e32 v12, 0
	s_waitcnt lgkmcnt(0)
	s_barrier
	buffer_wbinvl1_vol
	s_and_saveexec_b64 s[16:17], s[2:3]
	s_cbranch_execz .LBB66_538
; %bb.535:
	v_lshlrev_b32_e32 v11, 3, v13
	v_lshlrev_b32_e32 v26, 9, v14
	ds_read_b64 v[11:12], v11 offset:17664
	ds_read_b64 v[26:27], v26 offset:17680
	v_cmp_gt_u32_e64 s[14:15], 2, v16
	s_waitcnt lgkmcnt(0)
	v_mul_f32_e32 v28, v27, v12
	v_mul_f32_e32 v12, v26, v12
	v_fma_f32 v26, v26, v11, -v28
	v_fmac_f32_e32 v12, v27, v11
	v_add_f32_e32 v11, 0, v26
	v_add_f32_e32 v12, 0, v12
	s_and_saveexec_b64 s[20:21], s[14:15]
	s_cbranch_execz .LBB66_537
; %bb.536:
	v_lshlrev_b32_e32 v26, 3, v0
	v_mov_b32_e32 v28, 0
	ds_read_b64 v[26:27], v26 offset:18176
	ds_read_b64 v[28:29], v28 offset:18200
	s_waitcnt lgkmcnt(0)
	v_mul_f32_e32 v30, v29, v27
	v_mul_f32_e32 v27, v28, v27
	v_fma_f32 v28, v28, v26, -v30
	v_fmac_f32_e32 v27, v29, v26
	v_add_f32_e32 v11, v11, v28
	v_add_f32_e32 v12, v12, v27
.LBB66_537:
	s_or_b64 exec, exec, s[20:21]
.LBB66_538:
	s_or_b64 exec, exec, s[16:17]
	s_and_saveexec_b64 s[14:15], s[34:35]
	s_cbranch_execz .LBB66_540
; %bb.539:
	v_mov_b32_e32 v26, 0
	ds_read_b64 v[26:27], v26 offset:17160
	s_waitcnt lgkmcnt(0)
	v_mul_f32_e32 v28, v12, v27
	v_mul_f32_e32 v29, v11, v27
	v_fma_f32 v11, v11, v26, -v28
	v_fmac_f32_e32 v29, v12, v26
	v_xor_b32_e32 v26, 0x80000000, v11
	v_xor_b32_e32 v27, 0x80000000, v29
	v_mov_b32_e32 v12, v29
	ds_write_b64 v15, v[26:27]
.LBB66_540:
	s_or_b64 exec, exec, s[14:15]
	s_waitcnt lgkmcnt(0)
	s_barrier
	s_and_saveexec_b64 s[14:15], s[30:31]
	s_cbranch_execz .LBB66_542
; %bb.541:
	v_mov_b32_e32 v26, 0
	ds_read_b64 v[26:27], v26 offset:17152
	ds_read_b64 v[28:29], v15
	s_waitcnt lgkmcnt(0)
	v_mul_f32_e32 v30, v29, v27
	v_mul_f32_e32 v27, v28, v27
	v_fma_f32 v28, v28, v26, -v30
	v_fmac_f32_e32 v27, v29, v26
	v_sub_f32_e32 v11, v11, v28
	v_sub_f32_e32 v12, v12, v27
.LBB66_542:
	s_or_b64 exec, exec, s[14:15]
	s_barrier
	s_and_saveexec_b64 s[14:15], s[30:31]
	s_cbranch_execz .LBB66_544
; %bb.543:
	v_mov_b32_e32 v26, 0
	ds_read_b64 v[26:27], v26 offset:16640
	s_waitcnt lgkmcnt(0)
	v_mul_f32_e32 v28, v12, v27
	v_mul_f32_e32 v29, v11, v27
	v_fma_f32 v11, v11, v26, -v28
	v_fmac_f32_e32 v29, v12, v26
	v_xor_b32_e32 v26, 0x80000000, v11
	v_xor_b32_e32 v27, 0x80000000, v29
	v_mov_b32_e32 v12, v29
	ds_write_b64 v15, v[26:27]
.LBB66_544:
	s_or_b64 exec, exec, s[14:15]
	s_waitcnt lgkmcnt(0)
	s_barrier
	s_barrier
	s_and_saveexec_b64 s[14:15], s[2:3]
; %bb.545:
	v_lshlrev_b32_e32 v26, 3, v13
	v_lshl_or_b32 v26, v14, 9, v26
	ds_write_b64 v26, v[11:12] offset:17664
; %bb.546:
	s_or_b64 exec, exec, s[14:15]
	s_waitcnt lgkmcnt(0)
	s_barrier
	s_barrier
	s_and_saveexec_b64 s[14:15], s[36:37]
	s_cbranch_execz .LBB66_548
; %bb.547:
	v_lshlrev_b32_e32 v26, 3, v0
	s_movk_i32 s16, 0x1f8
	v_mad_u32_u24 v27, v0, s16, v26
	ds_read_b64 v[11:12], v27 offset:17664
	s_waitcnt lgkmcnt(0)
	ds_write_b64 v26, v[11:12] offset:16656
	ds_read_b64 v[11:12], v27 offset:17672
	s_waitcnt lgkmcnt(0)
	ds_write_b64 v26, v[11:12] offset:17168
.LBB66_548:
	s_or_b64 exec, exec, s[14:15]
	s_waitcnt lgkmcnt(0)
	s_barrier
	s_and_saveexec_b64 s[14:15], vcc
	s_cbranch_execz .LBB66_550
; %bb.549:
	s_movk_i32 s16, 0x100
	v_mov_b32_e32 v11, 0
	v_add_u32_e64 v26, s16, 0
	ds_read_b64 v[11:12], v11 offset:17160
	ds_read2st64_b64 v[26:29], v26 offset0:32 offset1:33
	s_movk_i32 s16, 0x4000
	s_waitcnt lgkmcnt(0)
	v_mul_f32_e32 v30, v12, v27
	v_mul_f32_e32 v27, v11, v27
	v_fma_f32 v30, v11, v26, -v30
	v_fmac_f32_e32 v27, v12, v26
	v_mul_f32_e32 v11, v27, v29
	v_mul_f32_e32 v12, v30, v29
	v_fma_f32 v11, v30, v28, -v11
	v_fmac_f32_e32 v12, v27, v28
	v_add_u32_e64 v26, s16, 0
	ds_write2_b64 v26, v[11:12], v[11:12] offset0:33 offset1:96
.LBB66_550:
	s_or_b64 exec, exec, s[14:15]
	s_movk_i32 s14, 0x3ff
	v_lshrrev_b32_e32 v28, 5, v16
	v_cmp_lt_u32_e64 s[16:17], s14, v16
	s_movk_i32 s14, 0x400
	v_and_b32_e32 v26, 31, v0
	v_sub_u32_e32 v27, 31, v28
	v_cmp_gt_u32_e64 s[14:15], s14, v16
	v_mov_b32_e32 v12, 0
	v_mov_b32_e32 v11, 0
	s_waitcnt lgkmcnt(0)
	s_barrier
	buffer_wbinvl1_vol
	s_and_saveexec_b64 s[92:93], s[14:15]
	s_cbranch_execz .LBB66_612
; %bb.551:
	v_lshlrev_b32_e32 v29, 3, v26
	v_lshlrev_b32_e32 v30, 9, v27
	ds_read_b64 v[11:12], v29 offset:16384
	ds_read_b64 v[31:32], v30 offset:16640
	s_movk_i32 s20, 0x3e0
	v_cmp_gt_u32_e64 s[20:21], s20, v16
	s_waitcnt lgkmcnt(0)
	v_mul_f32_e32 v33, v32, v12
	v_mul_f32_e32 v12, v31, v12
	v_fma_f32 v31, v31, v11, -v33
	v_fmac_f32_e32 v12, v32, v11
	v_add_f32_e32 v11, 0, v31
	v_add_f32_e32 v12, 0, v12
	s_and_saveexec_b64 s[94:95], s[20:21]
	s_cbranch_execz .LBB66_553
; %bb.552:
	ds_read_b64 v[31:32], v29 offset:16896
	ds_read_b64 v[33:34], v30 offset:16648
	s_waitcnt lgkmcnt(0)
	v_mul_f32_e32 v35, v34, v32
	v_mul_f32_e32 v32, v33, v32
	v_fma_f32 v33, v33, v31, -v35
	v_fmac_f32_e32 v32, v34, v31
	v_add_f32_e32 v11, v11, v33
	v_add_f32_e32 v12, v12, v32
.LBB66_553:
	s_or_b64 exec, exec, s[94:95]
	s_movk_i32 s20, 0x3c0
	v_cmp_gt_u32_e64 s[20:21], s20, v16
	s_and_saveexec_b64 s[94:95], s[20:21]
	s_cbranch_execz .LBB66_555
; %bb.554:
	ds_read_b64 v[31:32], v29 offset:17408
	ds_read_b64 v[33:34], v30 offset:16656
	s_waitcnt lgkmcnt(0)
	v_mul_f32_e32 v35, v34, v32
	v_mul_f32_e32 v32, v33, v32
	v_fma_f32 v33, v33, v31, -v35
	v_fmac_f32_e32 v32, v34, v31
	v_add_f32_e32 v11, v11, v33
	v_add_f32_e32 v12, v12, v32
.LBB66_555:
	s_or_b64 exec, exec, s[94:95]
	s_movk_i32 s20, 0x3a0
	v_cmp_gt_u32_e64 s[20:21], s20, v16
	;; [unrolled: 16-line block ×22, first 2 shown]
	s_and_saveexec_b64 s[94:95], s[20:21]
	s_cbranch_execz .LBB66_597
; %bb.596:
	ds_read_b64 v[31:32], v29 offset:28160
	ds_read_b64 v[33:34], v30 offset:16824
	s_waitcnt lgkmcnt(0)
	v_mul_f32_e32 v35, v34, v32
	v_mul_f32_e32 v32, v33, v32
	v_fma_f32 v33, v33, v31, -v35
	v_fmac_f32_e32 v32, v34, v31
	v_add_f32_e32 v11, v11, v33
	v_add_f32_e32 v12, v12, v32
.LBB66_597:
	s_or_b64 exec, exec, s[94:95]
	s_and_saveexec_b64 s[20:21], s[10:11]
	s_cbranch_execz .LBB66_599
; %bb.598:
	ds_read_b64 v[31:32], v29 offset:28672
	ds_read_b64 v[33:34], v30 offset:16832
	s_waitcnt lgkmcnt(0)
	v_mul_f32_e32 v35, v34, v32
	v_mul_f32_e32 v32, v33, v32
	v_fma_f32 v33, v33, v31, -v35
	v_fmac_f32_e32 v32, v34, v31
	v_add_f32_e32 v11, v11, v33
	v_add_f32_e32 v12, v12, v32
.LBB66_599:
	s_or_b64 exec, exec, s[20:21]
	s_movk_i32 s20, 0xe0
	v_cmp_gt_u32_e64 s[20:21], s20, v16
	s_and_saveexec_b64 s[94:95], s[20:21]
	s_cbranch_execz .LBB66_601
; %bb.600:
	ds_read_b64 v[31:32], v29 offset:29184
	ds_read_b64 v[33:34], v30 offset:16840
	s_waitcnt lgkmcnt(0)
	v_mul_f32_e32 v35, v34, v32
	v_mul_f32_e32 v32, v33, v32
	v_fma_f32 v33, v33, v31, -v35
	v_fmac_f32_e32 v32, v34, v31
	v_add_f32_e32 v11, v11, v33
	v_add_f32_e32 v12, v12, v32
.LBB66_601:
	s_or_b64 exec, exec, s[94:95]
	s_movk_i32 s20, 0xc0
	v_cmp_gt_u32_e64 s[20:21], s20, v16
	;; [unrolled: 16-line block ×5, first 2 shown]
	s_and_saveexec_b64 s[94:95], s[20:21]
	s_cbranch_execnz .LBB66_1149
; %bb.608:
	s_or_b64 exec, exec, s[94:95]
	s_and_saveexec_b64 s[20:21], s[8:9]
	s_cbranch_execnz .LBB66_1150
.LBB66_609:
	s_or_b64 exec, exec, s[20:21]
	v_cmp_gt_u32_e64 s[20:21], 32, v16
	s_and_saveexec_b64 s[94:95], s[20:21]
	s_cbranch_execz .LBB66_611
.LBB66_610:
	ds_read_b64 v[31:32], v29 offset:32256
	ds_read_b64 v[29:30], v30 offset:16888
	s_waitcnt lgkmcnt(0)
	v_mul_f32_e32 v33, v30, v32
	v_mul_f32_e32 v32, v29, v32
	v_fma_f32 v29, v29, v31, -v33
	v_fmac_f32_e32 v32, v30, v31
	v_add_f32_e32 v11, v11, v29
	v_add_f32_e32 v12, v12, v32
.LBB66_611:
	s_or_b64 exec, exec, s[94:95]
.LBB66_612:
	s_or_b64 exec, exec, s[92:93]
	v_mov_b32_e32 v29, 0x8000
	s_movk_i32 s20, 0x208
	v_lshlrev_b32_e32 v30, 9, v26
	v_mov_b32_e32 v31, 0x3c00
	v_lshl_add_u32 v28, v28, 3, v29
	v_mul_u32_u24_e32 v29, 0x208, v26
	v_sub_u32_e32 v30, 0, v30
	v_mad_u32_u24 v31, v26, s20, v31
	s_mov_b32 s92, 31
	s_xor_b64 s[20:21], s[16:17], -1
	s_branch .LBB66_614
.LBB66_613:                             ;   in Loop: Header=BB66_614 Depth=1
	s_or_b64 exec, exec, s[16:17]
	s_add_i32 s92, s92, -2
	s_cmp_eq_u32 s93, 0
	v_add_u32_e32 v30, 0xfffffc00, v30
	s_barrier
	s_cbranch_scc1 .LBB66_622
.LBB66_614:                             ; =>This Inner Loop Header: Depth=1
	s_movk_i32 s16, 0xc200
	v_cmp_eq_u32_e64 s[16:17], s16, v30
	s_and_b64 s[94:95], s[20:21], s[16:17]
	s_and_saveexec_b64 s[16:17], s[94:95]
	s_cbranch_execz .LBB66_616
; %bb.615:                              ;   in Loop: Header=BB66_614 Depth=1
	ds_read_b64 v[32:33], v29
	s_waitcnt lgkmcnt(0)
	v_mul_f32_e32 v34, v12, v33
	v_mul_f32_e32 v35, v11, v33
	v_fma_f32 v11, v11, v32, -v34
	v_fmac_f32_e32 v35, v12, v32
	v_xor_b32_e32 v32, 0x80000000, v11
	v_xor_b32_e32 v33, 0x80000000, v35
	v_mov_b32_e32 v12, v35
	ds_write_b64 v28, v[32:33]
.LBB66_616:                             ;   in Loop: Header=BB66_614 Depth=1
	s_or_b64 exec, exec, s[16:17]
	v_cmp_gt_u32_e64 s[16:17], s92, v26
	s_and_b64 s[94:95], s[20:21], s[16:17]
	v_add_u32_e32 v32, v31, v30
	s_waitcnt lgkmcnt(0)
	s_barrier
	s_and_saveexec_b64 s[16:17], s[94:95]
	s_cbranch_execz .LBB66_618
; %bb.617:                              ;   in Loop: Header=BB66_614 Depth=1
	ds_read_b64 v[33:34], v32 offset:512
	ds_read_b64 v[35:36], v28
	s_waitcnt lgkmcnt(0)
	v_mul_f32_e32 v37, v36, v34
	v_mul_f32_e32 v34, v35, v34
	v_fma_f32 v35, v35, v33, -v37
	v_fmac_f32_e32 v34, v36, v33
	v_sub_f32_e32 v11, v11, v35
	v_sub_f32_e32 v12, v12, v34
.LBB66_618:                             ;   in Loop: Header=BB66_614 Depth=1
	s_or_b64 exec, exec, s[16:17]
	s_add_i32 s93, s92, -1
	v_cmp_eq_u32_e64 s[16:17], s93, v26
	s_and_b64 s[94:95], s[20:21], s[16:17]
	s_barrier
	s_and_saveexec_b64 s[16:17], s[94:95]
	s_cbranch_execz .LBB66_620
; %bb.619:                              ;   in Loop: Header=BB66_614 Depth=1
	ds_read_b64 v[33:34], v29
	s_waitcnt lgkmcnt(0)
	v_mul_f32_e32 v35, v12, v34
	v_mul_f32_e32 v36, v11, v34
	v_fma_f32 v11, v11, v33, -v35
	v_fmac_f32_e32 v36, v12, v33
	v_xor_b32_e32 v33, 0x80000000, v11
	v_xor_b32_e32 v34, 0x80000000, v36
	v_mov_b32_e32 v12, v36
	ds_write_b64 v28, v[33:34]
.LBB66_620:                             ;   in Loop: Header=BB66_614 Depth=1
	s_or_b64 exec, exec, s[16:17]
	v_cmp_gt_u32_e64 s[16:17], s93, v26
	s_and_b64 s[94:95], s[20:21], s[16:17]
	s_waitcnt lgkmcnt(0)
	s_barrier
	s_and_saveexec_b64 s[16:17], s[94:95]
	s_cbranch_execz .LBB66_613
; %bb.621:                              ;   in Loop: Header=BB66_614 Depth=1
	ds_read_b64 v[32:33], v32
	ds_read_b64 v[34:35], v28
	s_waitcnt lgkmcnt(0)
	v_mul_f32_e32 v36, v35, v33
	v_mul_f32_e32 v33, v34, v33
	v_fma_f32 v34, v34, v32, -v36
	v_fmac_f32_e32 v33, v35, v32
	v_sub_f32_e32 v11, v11, v34
	v_sub_f32_e32 v12, v12, v33
	s_branch .LBB66_613
.LBB66_622:
	s_and_saveexec_b64 s[16:17], s[14:15]
; %bb.623:
	v_lshlrev_b32_e32 v26, 3, v26
	v_lshl_or_b32 v26, v27, 9, v26
	ds_write_b64 v26, v[11:12] offset:16384
; %bb.624:
	s_or_b64 exec, exec, s[16:17]
	v_cmp_gt_u32_e64 s[14:15], 32, v0
	s_and_b64 s[14:15], s[12:13], s[14:15]
	s_waitcnt lgkmcnt(0)
	s_barrier
	s_barrier
	s_and_saveexec_b64 s[12:13], s[14:15]
	s_cbranch_execz .LBB66_626
; %bb.625:
	v_lshlrev_b32_e32 v26, 9, v0
	ds_read_b64 v[11:12], v26 offset:16384
	s_movk_i32 s14, 0xfe08
	v_mad_i32_i24 v27, v0, s14, v26
	s_waitcnt lgkmcnt(0)
	ds_write_b64 v27, v[11:12] offset:256
	ds_read_b64 v[11:12], v26 offset:16392
	s_waitcnt lgkmcnt(0)
	ds_write_b64 v27, v[11:12] offset:768
	ds_read_b64 v[11:12], v26 offset:16400
	;; [unrolled: 3-line block ×31, first 2 shown]
	s_waitcnt lgkmcnt(0)
	ds_write_b64 v27, v[11:12] offset:16128
.LBB66_626:
	s_or_b64 exec, exec, s[12:13]
	s_waitcnt lgkmcnt(0)
	s_barrier
	s_and_saveexec_b64 s[12:13], vcc
	s_cbranch_execz .LBB66_628
; %bb.627:
	s_movk_i32 s14, 0xf0
	v_mov_b32_e32 v11, 0
	v_add_u32_e64 v26, s14, 0
	ds_read_b64 v[11:12], v11 offset:16120
	ds_read2st64_b64 v[26:29], v26 offset0:30 offset1:31
	s_movk_i32 s14, 0x3800
	s_waitcnt lgkmcnt(0)
	v_mul_f32_e32 v30, v12, v27
	v_mul_f32_e32 v27, v11, v27
	v_fma_f32 v30, v11, v26, -v30
	v_fmac_f32_e32 v27, v12, v26
	v_mul_f32_e32 v11, v27, v29
	v_mul_f32_e32 v12, v30, v29
	v_fma_f32 v11, v30, v28, -v11
	v_fmac_f32_e32 v12, v27, v28
	v_add_u32_e64 v26, s14, 0
	ds_write2_b64 v26, v[11:12], v[11:12] offset0:159 offset1:222
.LBB66_628:
	s_or_b64 exec, exec, s[12:13]
	v_mov_b32_e32 v11, 0
	v_mov_b32_e32 v12, 0
	s_waitcnt lgkmcnt(0)
	s_barrier
	buffer_wbinvl1_vol
	s_and_saveexec_b64 s[14:15], s[2:3]
	s_cbranch_execz .LBB66_632
; %bb.629:
	v_lshlrev_b32_e32 v11, 3, v13
	v_lshlrev_b32_e32 v26, 9, v14
	ds_read_b64 v[11:12], v11 offset:15584
	ds_read_b64 v[26:27], v26 offset:15600
	v_cmp_gt_u32_e64 s[12:13], 2, v16
	s_waitcnt lgkmcnt(0)
	v_mul_f32_e32 v28, v27, v12
	v_mul_f32_e32 v12, v26, v12
	v_fma_f32 v26, v26, v11, -v28
	v_fmac_f32_e32 v12, v27, v11
	v_add_f32_e32 v11, 0, v26
	v_add_f32_e32 v12, 0, v12
	s_and_saveexec_b64 s[16:17], s[12:13]
	s_cbranch_execz .LBB66_631
; %bb.630:
	v_lshlrev_b32_e32 v26, 3, v0
	v_mov_b32_e32 v28, 0
	ds_read_b64 v[26:27], v26 offset:16096
	ds_read_b64 v[28:29], v28 offset:16120
	s_waitcnt lgkmcnt(0)
	v_mul_f32_e32 v30, v29, v27
	v_mul_f32_e32 v27, v28, v27
	v_fma_f32 v28, v28, v26, -v30
	v_fmac_f32_e32 v27, v29, v26
	v_add_f32_e32 v11, v11, v28
	v_add_f32_e32 v12, v12, v27
.LBB66_631:
	s_or_b64 exec, exec, s[16:17]
.LBB66_632:
	s_or_b64 exec, exec, s[14:15]
	s_and_saveexec_b64 s[12:13], s[34:35]
	s_cbranch_execz .LBB66_634
; %bb.633:
	v_mov_b32_e32 v26, 0
	ds_read_b64 v[26:27], v26 offset:15080
	s_waitcnt lgkmcnt(0)
	v_mul_f32_e32 v28, v12, v27
	v_mul_f32_e32 v29, v11, v27
	v_fma_f32 v11, v11, v26, -v28
	v_fmac_f32_e32 v29, v12, v26
	v_xor_b32_e32 v26, 0x80000000, v11
	v_xor_b32_e32 v27, 0x80000000, v29
	v_mov_b32_e32 v12, v29
	ds_write_b64 v15, v[26:27]
.LBB66_634:
	s_or_b64 exec, exec, s[12:13]
	s_waitcnt lgkmcnt(0)
	s_barrier
	s_and_saveexec_b64 s[12:13], s[30:31]
	s_cbranch_execz .LBB66_636
; %bb.635:
	v_mov_b32_e32 v26, 0
	ds_read_b64 v[26:27], v26 offset:15072
	ds_read_b64 v[28:29], v15
	s_waitcnt lgkmcnt(0)
	v_mul_f32_e32 v30, v29, v27
	v_mul_f32_e32 v27, v28, v27
	v_fma_f32 v28, v28, v26, -v30
	v_fmac_f32_e32 v27, v29, v26
	v_sub_f32_e32 v11, v11, v28
	v_sub_f32_e32 v12, v12, v27
.LBB66_636:
	s_or_b64 exec, exec, s[12:13]
	s_barrier
	s_and_saveexec_b64 s[12:13], s[30:31]
	s_cbranch_execz .LBB66_638
; %bb.637:
	v_mov_b32_e32 v26, 0
	ds_read_b64 v[26:27], v26 offset:14560
	s_waitcnt lgkmcnt(0)
	v_mul_f32_e32 v28, v12, v27
	v_mul_f32_e32 v29, v11, v27
	v_fma_f32 v11, v11, v26, -v28
	v_fmac_f32_e32 v29, v12, v26
	v_xor_b32_e32 v26, 0x80000000, v11
	v_xor_b32_e32 v27, 0x80000000, v29
	v_mov_b32_e32 v12, v29
	ds_write_b64 v15, v[26:27]
.LBB66_638:
	s_or_b64 exec, exec, s[12:13]
	s_waitcnt lgkmcnt(0)
	s_barrier
	s_barrier
	s_and_saveexec_b64 s[12:13], s[2:3]
; %bb.639:
	v_lshlrev_b32_e32 v26, 3, v13
	v_lshl_or_b32 v26, v14, 9, v26
	ds_write_b64 v26, v[11:12] offset:15584
; %bb.640:
	s_or_b64 exec, exec, s[12:13]
	s_waitcnt lgkmcnt(0)
	s_barrier
	s_barrier
	s_and_saveexec_b64 s[12:13], s[36:37]
	s_cbranch_execz .LBB66_642
; %bb.641:
	v_lshlrev_b32_e32 v26, 3, v0
	s_movk_i32 s14, 0x1f8
	v_mad_u32_u24 v27, v0, s14, v26
	ds_read_b64 v[11:12], v27 offset:15584
	s_waitcnt lgkmcnt(0)
	ds_write_b64 v26, v[11:12] offset:14576
	ds_read_b64 v[11:12], v27 offset:15592
	s_waitcnt lgkmcnt(0)
	ds_write_b64 v26, v[11:12] offset:15088
.LBB66_642:
	s_or_b64 exec, exec, s[12:13]
	s_waitcnt lgkmcnt(0)
	s_barrier
	s_and_saveexec_b64 s[12:13], vcc
	s_cbranch_execz .LBB66_644
; %bb.643:
	s_movk_i32 s14, 0xe0
	v_mov_b32_e32 v11, 0
	v_add_u32_e64 v26, s14, 0
	ds_read_b64 v[11:12], v11 offset:15080
	ds_read2st64_b64 v[26:29], v26 offset0:28 offset1:29
	s_movk_i32 s14, 0x3800
	s_waitcnt lgkmcnt(0)
	v_mul_f32_e32 v30, v12, v27
	v_mul_f32_e32 v27, v11, v27
	v_fma_f32 v30, v11, v26, -v30
	v_fmac_f32_e32 v27, v12, v26
	v_mul_f32_e32 v11, v27, v29
	v_mul_f32_e32 v12, v30, v29
	v_fma_f32 v11, v30, v28, -v11
	v_fmac_f32_e32 v12, v27, v28
	v_add_u32_e64 v26, s14, 0
	ds_write2_b64 v26, v[11:12], v[11:12] offset0:29 offset1:92
.LBB66_644:
	s_or_b64 exec, exec, s[12:13]
	v_mov_b32_e32 v12, 0
	v_mov_b32_e32 v11, 0
	s_waitcnt lgkmcnt(0)
	s_barrier
	buffer_wbinvl1_vol
	s_and_saveexec_b64 s[14:15], s[18:19]
	s_cbranch_execz .LBB66_650
; %bb.645:
	v_lshlrev_b32_e32 v26, 3, v17
	v_lshlrev_b32_e32 v27, 9, v18
	ds_read_b64 v[11:12], v26 offset:14528
	ds_read_b64 v[28:29], v27 offset:14560
	v_cmp_gt_u32_e64 s[12:13], 12, v16
	s_waitcnt lgkmcnt(0)
	v_mul_f32_e32 v30, v29, v12
	v_mul_f32_e32 v12, v28, v12
	v_fma_f32 v28, v28, v11, -v30
	v_fmac_f32_e32 v12, v29, v11
	v_add_f32_e32 v11, 0, v28
	v_add_f32_e32 v12, 0, v12
	s_and_saveexec_b64 s[16:17], s[12:13]
	s_cbranch_execnz .LBB66_1151
; %bb.646:
	s_or_b64 exec, exec, s[16:17]
	v_cmp_gt_u32_e64 s[12:13], 8, v16
	s_and_saveexec_b64 s[16:17], s[12:13]
	s_cbranch_execnz .LBB66_1152
.LBB66_647:
	s_or_b64 exec, exec, s[16:17]
	v_cmp_gt_u32_e64 s[12:13], 4, v16
	s_and_saveexec_b64 s[16:17], s[12:13]
	s_cbranch_execz .LBB66_649
.LBB66_648:
	v_lshlrev_b32_e32 v26, 3, v0
	v_mov_b32_e32 v28, 0
	ds_read_b64 v[26:27], v26 offset:16064
	ds_read_b64 v[28:29], v28 offset:16120
	s_waitcnt lgkmcnt(0)
	v_mul_f32_e32 v30, v29, v27
	v_mul_f32_e32 v27, v28, v27
	v_fma_f32 v28, v28, v26, -v30
	v_fmac_f32_e32 v27, v29, v26
	v_add_f32_e32 v11, v11, v28
	v_add_f32_e32 v12, v12, v27
.LBB66_649:
	s_or_b64 exec, exec, s[16:17]
.LBB66_650:
	s_or_b64 exec, exec, s[14:15]
	s_and_saveexec_b64 s[12:13], s[40:41]
	s_cbranch_execz .LBB66_652
; %bb.651:
	v_mov_b32_e32 v26, 0
	ds_read_b64 v[26:27], v26 offset:14040
	s_waitcnt lgkmcnt(0)
	v_mul_f32_e32 v28, v12, v27
	v_mul_f32_e32 v29, v11, v27
	v_fma_f32 v11, v11, v26, -v28
	v_fmac_f32_e32 v29, v12, v26
	v_xor_b32_e32 v26, 0x80000000, v11
	v_xor_b32_e32 v27, 0x80000000, v29
	v_mov_b32_e32 v12, v29
	ds_write_b64 v19, v[26:27]
.LBB66_652:
	s_or_b64 exec, exec, s[12:13]
	s_waitcnt lgkmcnt(0)
	s_barrier
	s_and_saveexec_b64 s[12:13], s[42:43]
	s_cbranch_execz .LBB66_654
; %bb.653:
	v_lshlrev_b32_e32 v26, 3, v17
	ds_read_b64 v[26:27], v26 offset:14016
	ds_read_b64 v[28:29], v19
	s_waitcnt lgkmcnt(0)
	v_mul_f32_e32 v30, v29, v27
	v_mul_f32_e32 v27, v28, v27
	v_fma_f32 v28, v28, v26, -v30
	v_fmac_f32_e32 v27, v29, v26
	v_sub_f32_e32 v11, v11, v28
	v_sub_f32_e32 v12, v12, v27
.LBB66_654:
	s_or_b64 exec, exec, s[12:13]
	s_barrier
	s_and_saveexec_b64 s[12:13], s[44:45]
	s_cbranch_execz .LBB66_656
; %bb.655:
	v_mov_b32_e32 v26, 0
	ds_read_b64 v[26:27], v26 offset:13520
	s_waitcnt lgkmcnt(0)
	v_mul_f32_e32 v28, v12, v27
	v_mul_f32_e32 v29, v11, v27
	v_fma_f32 v11, v11, v26, -v28
	v_fmac_f32_e32 v29, v12, v26
	v_xor_b32_e32 v26, 0x80000000, v11
	v_xor_b32_e32 v27, 0x80000000, v29
	v_mov_b32_e32 v12, v29
	ds_write_b64 v19, v[26:27]
.LBB66_656:
	s_or_b64 exec, exec, s[12:13]
	s_waitcnt lgkmcnt(0)
	s_barrier
	s_and_saveexec_b64 s[12:13], s[46:47]
	s_cbranch_execz .LBB66_658
; %bb.657:
	v_lshlrev_b32_e32 v26, 3, v17
	ds_read_b64 v[26:27], v26 offset:13504
	ds_read_b64 v[28:29], v19
	s_waitcnt lgkmcnt(0)
	v_mul_f32_e32 v30, v29, v27
	v_mul_f32_e32 v27, v28, v27
	v_fma_f32 v28, v28, v26, -v30
	v_fmac_f32_e32 v27, v29, v26
	v_sub_f32_e32 v11, v11, v28
	v_sub_f32_e32 v12, v12, v27
.LBB66_658:
	s_or_b64 exec, exec, s[12:13]
	s_barrier
	s_and_saveexec_b64 s[12:13], s[48:49]
	s_cbranch_execz .LBB66_660
; %bb.659:
	v_mov_b32_e32 v26, 0
	ds_read_b64 v[26:27], v26 offset:13000
	s_waitcnt lgkmcnt(0)
	v_mul_f32_e32 v28, v12, v27
	v_mul_f32_e32 v29, v11, v27
	v_fma_f32 v11, v11, v26, -v28
	v_fmac_f32_e32 v29, v12, v26
	v_xor_b32_e32 v26, 0x80000000, v11
	v_xor_b32_e32 v27, 0x80000000, v29
	v_mov_b32_e32 v12, v29
	ds_write_b64 v19, v[26:27]
.LBB66_660:
	s_or_b64 exec, exec, s[12:13]
	s_waitcnt lgkmcnt(0)
	s_barrier
	s_and_saveexec_b64 s[12:13], s[38:39]
	s_cbranch_execz .LBB66_662
; %bb.661:
	v_mov_b32_e32 v26, 0
	ds_read_b64 v[26:27], v26 offset:12992
	ds_read_b64 v[28:29], v19
	s_waitcnt lgkmcnt(0)
	v_mul_f32_e32 v30, v29, v27
	v_mul_f32_e32 v27, v28, v27
	v_fma_f32 v28, v28, v26, -v30
	v_fmac_f32_e32 v27, v29, v26
	v_sub_f32_e32 v11, v11, v28
	v_sub_f32_e32 v12, v12, v27
.LBB66_662:
	s_or_b64 exec, exec, s[12:13]
	s_barrier
	s_and_saveexec_b64 s[12:13], s[38:39]
	s_cbranch_execz .LBB66_664
; %bb.663:
	v_mov_b32_e32 v26, 0
	ds_read_b64 v[26:27], v26 offset:12480
	s_waitcnt lgkmcnt(0)
	v_mul_f32_e32 v28, v12, v27
	v_mul_f32_e32 v29, v11, v27
	v_fma_f32 v11, v11, v26, -v28
	v_fmac_f32_e32 v29, v12, v26
	v_xor_b32_e32 v26, 0x80000000, v11
	v_xor_b32_e32 v27, 0x80000000, v29
	v_mov_b32_e32 v12, v29
	ds_write_b64 v19, v[26:27]
.LBB66_664:
	s_or_b64 exec, exec, s[12:13]
	s_waitcnt lgkmcnt(0)
	s_barrier
	s_barrier
	s_and_saveexec_b64 s[12:13], s[18:19]
; %bb.665:
	v_lshlrev_b32_e32 v26, 3, v17
	v_lshl_or_b32 v26, v18, 9, v26
	ds_write_b64 v26, v[11:12] offset:14528
; %bb.666:
	s_or_b64 exec, exec, s[12:13]
	s_waitcnt lgkmcnt(0)
	s_barrier
	s_barrier
	s_and_saveexec_b64 s[12:13], s[50:51]
	s_cbranch_execz .LBB66_668
; %bb.667:
	v_lshlrev_b32_e32 v26, 9, v0
	ds_read_b64 v[11:12], v26 offset:14528
	s_movk_i32 s14, 0xfe08
	v_mad_i32_i24 v27, v0, s14, v26
	s_waitcnt lgkmcnt(0)
	ds_write_b64 v27, v[11:12] offset:12512
	ds_read_b64 v[11:12], v26 offset:14536
	s_waitcnt lgkmcnt(0)
	ds_write_b64 v27, v[11:12] offset:13024
	ds_read_b64 v[11:12], v26 offset:14544
	;; [unrolled: 3-line block ×3, first 2 shown]
	s_waitcnt lgkmcnt(0)
	ds_write_b64 v27, v[11:12] offset:14048
.LBB66_668:
	s_or_b64 exec, exec, s[12:13]
	s_waitcnt lgkmcnt(0)
	s_barrier
	s_and_saveexec_b64 s[12:13], vcc
	s_cbranch_execz .LBB66_670
; %bb.669:
	s_movk_i32 s14, 0xd0
	v_mov_b32_e32 v11, 0
	v_add_u32_e64 v26, s14, 0
	ds_read_b64 v[11:12], v11 offset:14040
	ds_read2st64_b64 v[26:29], v26 offset0:26 offset1:27
	s_movk_i32 s14, 0x3000
	s_waitcnt lgkmcnt(0)
	v_mul_f32_e32 v30, v12, v27
	v_mul_f32_e32 v27, v11, v27
	v_fma_f32 v30, v11, v26, -v30
	v_fmac_f32_e32 v27, v12, v26
	v_mul_f32_e32 v11, v27, v29
	v_mul_f32_e32 v12, v30, v29
	v_fma_f32 v11, v30, v28, -v11
	v_fmac_f32_e32 v12, v27, v28
	v_add_u32_e64 v26, s14, 0
	ds_write2_b64 v26, v[11:12], v[11:12] offset0:155 offset1:218
.LBB66_670:
	s_or_b64 exec, exec, s[12:13]
	v_mov_b32_e32 v11, 0
	v_mov_b32_e32 v12, 0
	s_waitcnt lgkmcnt(0)
	s_barrier
	buffer_wbinvl1_vol
	s_and_saveexec_b64 s[14:15], s[2:3]
	s_cbranch_execz .LBB66_674
; %bb.671:
	v_lshlrev_b32_e32 v11, 3, v13
	v_lshlrev_b32_e32 v26, 9, v14
	ds_read_b64 v[11:12], v11 offset:13504
	ds_read_b64 v[26:27], v26 offset:13520
	v_cmp_gt_u32_e64 s[12:13], 2, v16
	s_waitcnt lgkmcnt(0)
	v_mul_f32_e32 v28, v27, v12
	v_mul_f32_e32 v12, v26, v12
	v_fma_f32 v26, v26, v11, -v28
	v_fmac_f32_e32 v12, v27, v11
	v_add_f32_e32 v11, 0, v26
	v_add_f32_e32 v12, 0, v12
	s_and_saveexec_b64 s[16:17], s[12:13]
	s_cbranch_execz .LBB66_673
; %bb.672:
	v_lshlrev_b32_e32 v26, 3, v0
	v_mov_b32_e32 v28, 0
	ds_read_b64 v[26:27], v26 offset:14016
	ds_read_b64 v[28:29], v28 offset:14040
	s_waitcnt lgkmcnt(0)
	v_mul_f32_e32 v30, v29, v27
	v_mul_f32_e32 v27, v28, v27
	v_fma_f32 v28, v28, v26, -v30
	v_fmac_f32_e32 v27, v29, v26
	v_add_f32_e32 v11, v11, v28
	v_add_f32_e32 v12, v12, v27
.LBB66_673:
	s_or_b64 exec, exec, s[16:17]
.LBB66_674:
	s_or_b64 exec, exec, s[14:15]
	s_and_saveexec_b64 s[12:13], s[34:35]
	s_cbranch_execz .LBB66_676
; %bb.675:
	v_mov_b32_e32 v26, 0
	ds_read_b64 v[26:27], v26 offset:13000
	s_waitcnt lgkmcnt(0)
	v_mul_f32_e32 v28, v12, v27
	v_mul_f32_e32 v29, v11, v27
	v_fma_f32 v11, v11, v26, -v28
	v_fmac_f32_e32 v29, v12, v26
	v_xor_b32_e32 v26, 0x80000000, v11
	v_xor_b32_e32 v27, 0x80000000, v29
	v_mov_b32_e32 v12, v29
	ds_write_b64 v15, v[26:27]
.LBB66_676:
	s_or_b64 exec, exec, s[12:13]
	s_waitcnt lgkmcnt(0)
	s_barrier
	s_and_saveexec_b64 s[12:13], s[30:31]
	s_cbranch_execz .LBB66_678
; %bb.677:
	v_mov_b32_e32 v26, 0
	ds_read_b64 v[26:27], v26 offset:12992
	ds_read_b64 v[28:29], v15
	s_waitcnt lgkmcnt(0)
	v_mul_f32_e32 v30, v29, v27
	v_mul_f32_e32 v27, v28, v27
	v_fma_f32 v28, v28, v26, -v30
	v_fmac_f32_e32 v27, v29, v26
	v_sub_f32_e32 v11, v11, v28
	v_sub_f32_e32 v12, v12, v27
.LBB66_678:
	s_or_b64 exec, exec, s[12:13]
	s_barrier
	s_and_saveexec_b64 s[12:13], s[30:31]
	s_cbranch_execz .LBB66_680
; %bb.679:
	v_mov_b32_e32 v26, 0
	ds_read_b64 v[26:27], v26 offset:12480
	s_waitcnt lgkmcnt(0)
	v_mul_f32_e32 v28, v12, v27
	v_mul_f32_e32 v29, v11, v27
	v_fma_f32 v11, v11, v26, -v28
	v_fmac_f32_e32 v29, v12, v26
	v_xor_b32_e32 v26, 0x80000000, v11
	v_xor_b32_e32 v27, 0x80000000, v29
	v_mov_b32_e32 v12, v29
	ds_write_b64 v15, v[26:27]
.LBB66_680:
	s_or_b64 exec, exec, s[12:13]
	s_waitcnt lgkmcnt(0)
	s_barrier
	s_barrier
	s_and_saveexec_b64 s[12:13], s[2:3]
; %bb.681:
	v_lshlrev_b32_e32 v26, 3, v13
	v_lshl_or_b32 v26, v14, 9, v26
	ds_write_b64 v26, v[11:12] offset:13504
; %bb.682:
	s_or_b64 exec, exec, s[12:13]
	s_waitcnt lgkmcnt(0)
	s_barrier
	s_barrier
	s_and_saveexec_b64 s[12:13], s[36:37]
	s_cbranch_execz .LBB66_684
; %bb.683:
	v_lshlrev_b32_e32 v26, 3, v0
	s_movk_i32 s14, 0x1f8
	v_mad_u32_u24 v27, v0, s14, v26
	ds_read_b64 v[11:12], v27 offset:13504
	s_waitcnt lgkmcnt(0)
	ds_write_b64 v26, v[11:12] offset:12496
	ds_read_b64 v[11:12], v27 offset:13512
	s_waitcnt lgkmcnt(0)
	ds_write_b64 v26, v[11:12] offset:13008
.LBB66_684:
	s_or_b64 exec, exec, s[12:13]
	s_waitcnt lgkmcnt(0)
	s_barrier
	s_and_saveexec_b64 s[12:13], vcc
	s_cbranch_execz .LBB66_686
; %bb.685:
	s_movk_i32 s14, 0xc0
	v_mov_b32_e32 v11, 0
	v_add_u32_e64 v26, s14, 0
	ds_read_b64 v[11:12], v11 offset:13000
	ds_read2st64_b64 v[26:29], v26 offset0:24 offset1:25
	s_movk_i32 s14, 0x3000
	s_waitcnt lgkmcnt(0)
	v_mul_f32_e32 v30, v12, v27
	v_mul_f32_e32 v27, v11, v27
	v_fma_f32 v30, v11, v26, -v30
	v_fmac_f32_e32 v27, v12, v26
	v_mul_f32_e32 v11, v27, v29
	v_mul_f32_e32 v12, v30, v29
	v_fma_f32 v11, v30, v28, -v11
	v_fmac_f32_e32 v12, v27, v28
	v_add_u32_e64 v26, s14, 0
	ds_write2_b64 v26, v[11:12], v[11:12] offset0:25 offset1:88
.LBB66_686:
	s_or_b64 exec, exec, s[12:13]
	v_mov_b32_e32 v12, 0
	v_mov_b32_e32 v11, 0
	s_waitcnt lgkmcnt(0)
	s_barrier
	buffer_wbinvl1_vol
	s_and_saveexec_b64 s[14:15], s[8:9]
	s_cbranch_execz .LBB66_696
; %bb.687:
	v_lshlrev_b32_e32 v26, 3, v20
	v_lshlrev_b32_e32 v27, 9, v21
	ds_read_b64 v[11:12], v26 offset:12416
	ds_read_b64 v[28:29], v27 offset:12480
	v_cmp_gt_u32_e64 s[12:13], 56, v16
	s_waitcnt lgkmcnt(0)
	v_mul_f32_e32 v30, v29, v12
	v_mul_f32_e32 v12, v28, v12
	v_fma_f32 v28, v28, v11, -v30
	v_fmac_f32_e32 v12, v29, v11
	v_add_f32_e32 v11, 0, v28
	v_add_f32_e32 v12, 0, v12
	s_and_saveexec_b64 s[16:17], s[12:13]
	s_cbranch_execnz .LBB66_1153
; %bb.688:
	s_or_b64 exec, exec, s[16:17]
	v_cmp_gt_u32_e64 s[12:13], 48, v16
	s_and_saveexec_b64 s[16:17], s[12:13]
	s_cbranch_execnz .LBB66_1154
.LBB66_689:
	s_or_b64 exec, exec, s[16:17]
	v_cmp_gt_u32_e64 s[12:13], 40, v16
	s_and_saveexec_b64 s[16:17], s[12:13]
	s_cbranch_execnz .LBB66_1155
.LBB66_690:
	s_or_b64 exec, exec, s[16:17]
	v_cmp_gt_u32_e64 s[12:13], 32, v16
	s_and_saveexec_b64 s[16:17], s[12:13]
	s_cbranch_execnz .LBB66_1156
.LBB66_691:
	s_or_b64 exec, exec, s[16:17]
	v_cmp_gt_u32_e64 s[12:13], 24, v16
	s_and_saveexec_b64 s[16:17], s[12:13]
	s_cbranch_execnz .LBB66_1157
.LBB66_692:
	s_or_b64 exec, exec, s[16:17]
	s_and_saveexec_b64 s[12:13], s[18:19]
	s_cbranch_execnz .LBB66_1158
.LBB66_693:
	s_or_b64 exec, exec, s[12:13]
	v_cmp_gt_u32_e64 s[12:13], 8, v16
	s_and_saveexec_b64 s[16:17], s[12:13]
	s_cbranch_execz .LBB66_695
.LBB66_694:
	v_lshlrev_b32_e32 v26, 3, v0
	v_mov_b32_e32 v28, 0
	ds_read_b64 v[26:27], v26 offset:16000
	ds_read_b64 v[28:29], v28 offset:16120
	s_waitcnt lgkmcnt(0)
	v_mul_f32_e32 v30, v29, v27
	v_mul_f32_e32 v27, v28, v27
	v_fma_f32 v28, v28, v26, -v30
	v_fmac_f32_e32 v27, v29, v26
	v_add_f32_e32 v11, v11, v28
	v_add_f32_e32 v12, v12, v27
.LBB66_695:
	s_or_b64 exec, exec, s[16:17]
.LBB66_696:
	s_or_b64 exec, exec, s[14:15]
	s_and_saveexec_b64 s[12:13], s[54:55]
	s_cbranch_execz .LBB66_698
; %bb.697:
	v_mov_b32_e32 v26, 0
	ds_read_b64 v[26:27], v26 offset:11960
	s_waitcnt lgkmcnt(0)
	v_mul_f32_e32 v28, v12, v27
	v_mul_f32_e32 v29, v11, v27
	v_fma_f32 v11, v11, v26, -v28
	v_fmac_f32_e32 v29, v12, v26
	v_xor_b32_e32 v26, 0x80000000, v11
	v_xor_b32_e32 v27, 0x80000000, v29
	v_mov_b32_e32 v12, v29
	ds_write_b64 v22, v[26:27]
.LBB66_698:
	s_or_b64 exec, exec, s[12:13]
	s_waitcnt lgkmcnt(0)
	s_barrier
	s_and_saveexec_b64 s[12:13], s[56:57]
	s_cbranch_execz .LBB66_700
; %bb.699:
	v_lshlrev_b32_e32 v26, 3, v20
	ds_read_b64 v[26:27], v26 offset:11904
	ds_read_b64 v[28:29], v22
	s_waitcnt lgkmcnt(0)
	v_mul_f32_e32 v30, v29, v27
	v_mul_f32_e32 v27, v28, v27
	v_fma_f32 v28, v28, v26, -v30
	v_fmac_f32_e32 v27, v29, v26
	v_sub_f32_e32 v11, v11, v28
	v_sub_f32_e32 v12, v12, v27
.LBB66_700:
	s_or_b64 exec, exec, s[12:13]
	s_barrier
	s_and_saveexec_b64 s[12:13], s[58:59]
	s_cbranch_execz .LBB66_702
; %bb.701:
	v_mov_b32_e32 v26, 0
	ds_read_b64 v[26:27], v26 offset:11440
	s_waitcnt lgkmcnt(0)
	v_mul_f32_e32 v28, v12, v27
	v_mul_f32_e32 v29, v11, v27
	v_fma_f32 v11, v11, v26, -v28
	v_fmac_f32_e32 v29, v12, v26
	v_xor_b32_e32 v26, 0x80000000, v11
	v_xor_b32_e32 v27, 0x80000000, v29
	v_mov_b32_e32 v12, v29
	ds_write_b64 v22, v[26:27]
.LBB66_702:
	s_or_b64 exec, exec, s[12:13]
	s_waitcnt lgkmcnt(0)
	s_barrier
	s_and_saveexec_b64 s[12:13], s[60:61]
	s_cbranch_execz .LBB66_704
; %bb.703:
	v_lshlrev_b32_e32 v26, 3, v20
	ds_read_b64 v[26:27], v26 offset:11392
	ds_read_b64 v[28:29], v22
	s_waitcnt lgkmcnt(0)
	v_mul_f32_e32 v30, v29, v27
	v_mul_f32_e32 v27, v28, v27
	v_fma_f32 v28, v28, v26, -v30
	v_fmac_f32_e32 v27, v29, v26
	v_sub_f32_e32 v11, v11, v28
	v_sub_f32_e32 v12, v12, v27
.LBB66_704:
	s_or_b64 exec, exec, s[12:13]
	s_barrier
	;; [unrolled: 34-line block ×6, first 2 shown]
	s_and_saveexec_b64 s[12:13], s[78:79]
	s_cbranch_execz .LBB66_722
; %bb.721:
	v_mov_b32_e32 v26, 0
	ds_read_b64 v[26:27], v26 offset:8840
	s_waitcnt lgkmcnt(0)
	v_mul_f32_e32 v28, v12, v27
	v_mul_f32_e32 v29, v11, v27
	v_fma_f32 v11, v11, v26, -v28
	v_fmac_f32_e32 v29, v12, v26
	v_xor_b32_e32 v26, 0x80000000, v11
	v_xor_b32_e32 v27, 0x80000000, v29
	v_mov_b32_e32 v12, v29
	ds_write_b64 v22, v[26:27]
.LBB66_722:
	s_or_b64 exec, exec, s[12:13]
	s_waitcnt lgkmcnt(0)
	s_barrier
	s_and_saveexec_b64 s[12:13], s[52:53]
	s_cbranch_execz .LBB66_724
; %bb.723:
	v_mov_b32_e32 v26, 0
	ds_read_b64 v[26:27], v26 offset:8832
	ds_read_b64 v[28:29], v22
	s_waitcnt lgkmcnt(0)
	v_mul_f32_e32 v30, v29, v27
	v_mul_f32_e32 v27, v28, v27
	v_fma_f32 v28, v28, v26, -v30
	v_fmac_f32_e32 v27, v29, v26
	v_sub_f32_e32 v11, v11, v28
	v_sub_f32_e32 v12, v12, v27
.LBB66_724:
	s_or_b64 exec, exec, s[12:13]
	s_barrier
	s_and_saveexec_b64 s[12:13], s[52:53]
	s_cbranch_execz .LBB66_726
; %bb.725:
	v_mov_b32_e32 v26, 0
	ds_read_b64 v[26:27], v26 offset:8320
	s_waitcnt lgkmcnt(0)
	v_mul_f32_e32 v28, v12, v27
	v_mul_f32_e32 v29, v11, v27
	v_fma_f32 v11, v11, v26, -v28
	v_fmac_f32_e32 v29, v12, v26
	v_xor_b32_e32 v26, 0x80000000, v11
	v_xor_b32_e32 v27, 0x80000000, v29
	v_mov_b32_e32 v12, v29
	ds_write_b64 v22, v[26:27]
.LBB66_726:
	s_or_b64 exec, exec, s[12:13]
	s_waitcnt lgkmcnt(0)
	s_barrier
	s_barrier
	s_and_saveexec_b64 s[12:13], s[8:9]
; %bb.727:
	v_lshlrev_b32_e32 v26, 3, v20
	v_lshl_or_b32 v26, v21, 9, v26
	ds_write_b64 v26, v[11:12] offset:12416
; %bb.728:
	s_or_b64 exec, exec, s[12:13]
	s_waitcnt lgkmcnt(0)
	s_barrier
	s_barrier
	s_and_saveexec_b64 s[12:13], s[80:81]
	s_cbranch_execz .LBB66_730
; %bb.729:
	v_lshlrev_b32_e32 v26, 9, v0
	ds_read_b64 v[11:12], v26 offset:12416
	s_movk_i32 s14, 0xfe08
	v_mad_i32_i24 v27, v0, s14, v26
	s_waitcnt lgkmcnt(0)
	ds_write_b64 v27, v[11:12] offset:8384
	ds_read_b64 v[11:12], v26 offset:12424
	s_waitcnt lgkmcnt(0)
	ds_write_b64 v27, v[11:12] offset:8896
	ds_read_b64 v[11:12], v26 offset:12432
	;; [unrolled: 3-line block ×7, first 2 shown]
	s_waitcnt lgkmcnt(0)
	ds_write_b64 v27, v[11:12] offset:11968
.LBB66_730:
	s_or_b64 exec, exec, s[12:13]
	s_waitcnt lgkmcnt(0)
	s_barrier
	s_and_saveexec_b64 s[12:13], vcc
	s_cbranch_execz .LBB66_732
; %bb.731:
	s_movk_i32 s14, 0xb0
	v_mov_b32_e32 v11, 0
	v_add_u32_e64 v26, s14, 0
	ds_read_b64 v[11:12], v11 offset:11960
	ds_read2st64_b64 v[26:29], v26 offset0:22 offset1:23
	s_movk_i32 s14, 0x2800
	s_waitcnt lgkmcnt(0)
	v_mul_f32_e32 v30, v12, v27
	v_mul_f32_e32 v27, v11, v27
	v_fma_f32 v30, v11, v26, -v30
	v_fmac_f32_e32 v27, v12, v26
	v_mul_f32_e32 v11, v27, v29
	v_mul_f32_e32 v12, v30, v29
	v_fma_f32 v11, v30, v28, -v11
	v_fmac_f32_e32 v12, v27, v28
	v_add_u32_e64 v26, s14, 0
	ds_write2_b64 v26, v[11:12], v[11:12] offset0:151 offset1:214
.LBB66_732:
	s_or_b64 exec, exec, s[12:13]
	v_mov_b32_e32 v11, 0
	v_mov_b32_e32 v12, 0
	s_waitcnt lgkmcnt(0)
	s_barrier
	buffer_wbinvl1_vol
	s_and_saveexec_b64 s[14:15], s[2:3]
	s_cbranch_execz .LBB66_736
; %bb.733:
	v_lshlrev_b32_e32 v11, 3, v13
	v_lshlrev_b32_e32 v26, 9, v14
	ds_read_b64 v[11:12], v11 offset:11424
	ds_read_b64 v[26:27], v26 offset:11440
	v_cmp_gt_u32_e64 s[12:13], 2, v16
	s_waitcnt lgkmcnt(0)
	v_mul_f32_e32 v28, v27, v12
	v_mul_f32_e32 v12, v26, v12
	v_fma_f32 v26, v26, v11, -v28
	v_fmac_f32_e32 v12, v27, v11
	v_add_f32_e32 v11, 0, v26
	v_add_f32_e32 v12, 0, v12
	s_and_saveexec_b64 s[16:17], s[12:13]
	s_cbranch_execz .LBB66_735
; %bb.734:
	v_lshlrev_b32_e32 v26, 3, v0
	v_mov_b32_e32 v28, 0
	ds_read_b64 v[26:27], v26 offset:11936
	ds_read_b64 v[28:29], v28 offset:11960
	s_waitcnt lgkmcnt(0)
	v_mul_f32_e32 v30, v29, v27
	v_mul_f32_e32 v27, v28, v27
	v_fma_f32 v28, v28, v26, -v30
	v_fmac_f32_e32 v27, v29, v26
	v_add_f32_e32 v11, v11, v28
	v_add_f32_e32 v12, v12, v27
.LBB66_735:
	s_or_b64 exec, exec, s[16:17]
.LBB66_736:
	s_or_b64 exec, exec, s[14:15]
	s_and_saveexec_b64 s[12:13], s[34:35]
	s_cbranch_execz .LBB66_738
; %bb.737:
	v_mov_b32_e32 v26, 0
	ds_read_b64 v[26:27], v26 offset:10920
	s_waitcnt lgkmcnt(0)
	v_mul_f32_e32 v28, v12, v27
	v_mul_f32_e32 v29, v11, v27
	v_fma_f32 v11, v11, v26, -v28
	v_fmac_f32_e32 v29, v12, v26
	v_xor_b32_e32 v26, 0x80000000, v11
	v_xor_b32_e32 v27, 0x80000000, v29
	v_mov_b32_e32 v12, v29
	ds_write_b64 v15, v[26:27]
.LBB66_738:
	s_or_b64 exec, exec, s[12:13]
	s_waitcnt lgkmcnt(0)
	s_barrier
	s_and_saveexec_b64 s[12:13], s[30:31]
	s_cbranch_execz .LBB66_740
; %bb.739:
	v_mov_b32_e32 v26, 0
	ds_read_b64 v[26:27], v26 offset:10912
	ds_read_b64 v[28:29], v15
	s_waitcnt lgkmcnt(0)
	v_mul_f32_e32 v30, v29, v27
	v_mul_f32_e32 v27, v28, v27
	v_fma_f32 v28, v28, v26, -v30
	v_fmac_f32_e32 v27, v29, v26
	v_sub_f32_e32 v11, v11, v28
	v_sub_f32_e32 v12, v12, v27
.LBB66_740:
	s_or_b64 exec, exec, s[12:13]
	s_barrier
	s_and_saveexec_b64 s[12:13], s[30:31]
	s_cbranch_execz .LBB66_742
; %bb.741:
	v_mov_b32_e32 v26, 0
	ds_read_b64 v[26:27], v26 offset:10400
	s_waitcnt lgkmcnt(0)
	v_mul_f32_e32 v28, v12, v27
	v_mul_f32_e32 v29, v11, v27
	v_fma_f32 v11, v11, v26, -v28
	v_fmac_f32_e32 v29, v12, v26
	v_xor_b32_e32 v26, 0x80000000, v11
	v_xor_b32_e32 v27, 0x80000000, v29
	v_mov_b32_e32 v12, v29
	ds_write_b64 v15, v[26:27]
.LBB66_742:
	s_or_b64 exec, exec, s[12:13]
	s_waitcnt lgkmcnt(0)
	s_barrier
	s_barrier
	s_and_saveexec_b64 s[12:13], s[2:3]
; %bb.743:
	v_lshlrev_b32_e32 v26, 3, v13
	v_lshl_or_b32 v26, v14, 9, v26
	ds_write_b64 v26, v[11:12] offset:11424
; %bb.744:
	s_or_b64 exec, exec, s[12:13]
	s_waitcnt lgkmcnt(0)
	s_barrier
	s_barrier
	s_and_saveexec_b64 s[12:13], s[36:37]
	s_cbranch_execz .LBB66_746
; %bb.745:
	v_lshlrev_b32_e32 v26, 3, v0
	s_movk_i32 s14, 0x1f8
	v_mad_u32_u24 v27, v0, s14, v26
	ds_read_b64 v[11:12], v27 offset:11424
	s_waitcnt lgkmcnt(0)
	ds_write_b64 v26, v[11:12] offset:10416
	ds_read_b64 v[11:12], v27 offset:11432
	s_waitcnt lgkmcnt(0)
	ds_write_b64 v26, v[11:12] offset:10928
.LBB66_746:
	s_or_b64 exec, exec, s[12:13]
	s_waitcnt lgkmcnt(0)
	s_barrier
	s_and_saveexec_b64 s[12:13], vcc
	s_cbranch_execz .LBB66_748
; %bb.747:
	s_movk_i32 s14, 0xa0
	v_mov_b32_e32 v11, 0
	v_add_u32_e64 v26, s14, 0
	ds_read_b64 v[11:12], v11 offset:10920
	ds_read2st64_b64 v[26:29], v26 offset0:20 offset1:21
	s_movk_i32 s14, 0x2800
	s_waitcnt lgkmcnt(0)
	v_mul_f32_e32 v30, v12, v27
	v_mul_f32_e32 v27, v11, v27
	v_fma_f32 v30, v11, v26, -v30
	v_fmac_f32_e32 v27, v12, v26
	v_mul_f32_e32 v11, v27, v29
	v_mul_f32_e32 v12, v30, v29
	v_fma_f32 v11, v30, v28, -v11
	v_fmac_f32_e32 v12, v27, v28
	v_add_u32_e64 v26, s14, 0
	ds_write2_b64 v26, v[11:12], v[11:12] offset0:21 offset1:84
.LBB66_748:
	s_or_b64 exec, exec, s[12:13]
	v_mov_b32_e32 v12, 0
	v_mov_b32_e32 v11, 0
	s_waitcnt lgkmcnt(0)
	s_barrier
	buffer_wbinvl1_vol
	s_and_saveexec_b64 s[14:15], s[18:19]
	s_cbranch_execz .LBB66_754
; %bb.749:
	v_lshlrev_b32_e32 v26, 3, v17
	v_lshlrev_b32_e32 v27, 9, v18
	ds_read_b64 v[11:12], v26 offset:10368
	ds_read_b64 v[28:29], v27 offset:10400
	v_cmp_gt_u32_e64 s[12:13], 12, v16
	s_waitcnt lgkmcnt(0)
	v_mul_f32_e32 v30, v29, v12
	v_mul_f32_e32 v12, v28, v12
	v_fma_f32 v28, v28, v11, -v30
	v_fmac_f32_e32 v12, v29, v11
	v_add_f32_e32 v11, 0, v28
	v_add_f32_e32 v12, 0, v12
	s_and_saveexec_b64 s[16:17], s[12:13]
	s_cbranch_execnz .LBB66_1159
; %bb.750:
	s_or_b64 exec, exec, s[16:17]
	v_cmp_gt_u32_e64 s[12:13], 8, v16
	s_and_saveexec_b64 s[16:17], s[12:13]
	s_cbranch_execnz .LBB66_1160
.LBB66_751:
	s_or_b64 exec, exec, s[16:17]
	v_cmp_gt_u32_e64 s[12:13], 4, v16
	s_and_saveexec_b64 s[16:17], s[12:13]
	s_cbranch_execz .LBB66_753
.LBB66_752:
	v_lshlrev_b32_e32 v26, 3, v0
	v_mov_b32_e32 v28, 0
	ds_read_b64 v[26:27], v26 offset:11904
	ds_read_b64 v[28:29], v28 offset:11960
	s_waitcnt lgkmcnt(0)
	v_mul_f32_e32 v30, v29, v27
	v_mul_f32_e32 v27, v28, v27
	v_fma_f32 v28, v28, v26, -v30
	v_fmac_f32_e32 v27, v29, v26
	v_add_f32_e32 v11, v11, v28
	v_add_f32_e32 v12, v12, v27
.LBB66_753:
	s_or_b64 exec, exec, s[16:17]
.LBB66_754:
	s_or_b64 exec, exec, s[14:15]
	s_and_saveexec_b64 s[12:13], s[40:41]
	s_cbranch_execz .LBB66_756
; %bb.755:
	v_mov_b32_e32 v26, 0
	ds_read_b64 v[26:27], v26 offset:9880
	s_waitcnt lgkmcnt(0)
	v_mul_f32_e32 v28, v12, v27
	v_mul_f32_e32 v29, v11, v27
	v_fma_f32 v11, v11, v26, -v28
	v_fmac_f32_e32 v29, v12, v26
	v_xor_b32_e32 v26, 0x80000000, v11
	v_xor_b32_e32 v27, 0x80000000, v29
	v_mov_b32_e32 v12, v29
	ds_write_b64 v19, v[26:27]
.LBB66_756:
	s_or_b64 exec, exec, s[12:13]
	s_waitcnt lgkmcnt(0)
	s_barrier
	s_and_saveexec_b64 s[12:13], s[42:43]
	s_cbranch_execz .LBB66_758
; %bb.757:
	v_lshlrev_b32_e32 v26, 3, v17
	ds_read_b64 v[26:27], v26 offset:9856
	ds_read_b64 v[28:29], v19
	s_waitcnt lgkmcnt(0)
	v_mul_f32_e32 v30, v29, v27
	v_mul_f32_e32 v27, v28, v27
	v_fma_f32 v28, v28, v26, -v30
	v_fmac_f32_e32 v27, v29, v26
	v_sub_f32_e32 v11, v11, v28
	v_sub_f32_e32 v12, v12, v27
.LBB66_758:
	s_or_b64 exec, exec, s[12:13]
	s_barrier
	s_and_saveexec_b64 s[12:13], s[44:45]
	s_cbranch_execz .LBB66_760
; %bb.759:
	v_mov_b32_e32 v26, 0
	ds_read_b64 v[26:27], v26 offset:9360
	s_waitcnt lgkmcnt(0)
	v_mul_f32_e32 v28, v12, v27
	v_mul_f32_e32 v29, v11, v27
	v_fma_f32 v11, v11, v26, -v28
	v_fmac_f32_e32 v29, v12, v26
	v_xor_b32_e32 v26, 0x80000000, v11
	v_xor_b32_e32 v27, 0x80000000, v29
	v_mov_b32_e32 v12, v29
	ds_write_b64 v19, v[26:27]
.LBB66_760:
	s_or_b64 exec, exec, s[12:13]
	s_waitcnt lgkmcnt(0)
	s_barrier
	s_and_saveexec_b64 s[12:13], s[46:47]
	s_cbranch_execz .LBB66_762
; %bb.761:
	v_lshlrev_b32_e32 v26, 3, v17
	ds_read_b64 v[26:27], v26 offset:9344
	ds_read_b64 v[28:29], v19
	s_waitcnt lgkmcnt(0)
	v_mul_f32_e32 v30, v29, v27
	v_mul_f32_e32 v27, v28, v27
	v_fma_f32 v28, v28, v26, -v30
	v_fmac_f32_e32 v27, v29, v26
	v_sub_f32_e32 v11, v11, v28
	v_sub_f32_e32 v12, v12, v27
.LBB66_762:
	s_or_b64 exec, exec, s[12:13]
	s_barrier
	s_and_saveexec_b64 s[12:13], s[48:49]
	s_cbranch_execz .LBB66_764
; %bb.763:
	v_mov_b32_e32 v26, 0
	ds_read_b64 v[26:27], v26 offset:8840
	s_waitcnt lgkmcnt(0)
	v_mul_f32_e32 v28, v12, v27
	v_mul_f32_e32 v29, v11, v27
	v_fma_f32 v11, v11, v26, -v28
	v_fmac_f32_e32 v29, v12, v26
	v_xor_b32_e32 v26, 0x80000000, v11
	v_xor_b32_e32 v27, 0x80000000, v29
	v_mov_b32_e32 v12, v29
	ds_write_b64 v19, v[26:27]
.LBB66_764:
	s_or_b64 exec, exec, s[12:13]
	s_waitcnt lgkmcnt(0)
	s_barrier
	s_and_saveexec_b64 s[12:13], s[38:39]
	s_cbranch_execz .LBB66_766
; %bb.765:
	v_mov_b32_e32 v26, 0
	ds_read_b64 v[26:27], v26 offset:8832
	ds_read_b64 v[28:29], v19
	s_waitcnt lgkmcnt(0)
	v_mul_f32_e32 v30, v29, v27
	v_mul_f32_e32 v27, v28, v27
	v_fma_f32 v28, v28, v26, -v30
	v_fmac_f32_e32 v27, v29, v26
	v_sub_f32_e32 v11, v11, v28
	v_sub_f32_e32 v12, v12, v27
.LBB66_766:
	s_or_b64 exec, exec, s[12:13]
	s_barrier
	s_and_saveexec_b64 s[12:13], s[38:39]
	s_cbranch_execz .LBB66_768
; %bb.767:
	v_mov_b32_e32 v26, 0
	ds_read_b64 v[26:27], v26 offset:8320
	s_waitcnt lgkmcnt(0)
	v_mul_f32_e32 v28, v12, v27
	v_mul_f32_e32 v29, v11, v27
	v_fma_f32 v11, v11, v26, -v28
	v_fmac_f32_e32 v29, v12, v26
	v_xor_b32_e32 v26, 0x80000000, v11
	v_xor_b32_e32 v27, 0x80000000, v29
	v_mov_b32_e32 v12, v29
	ds_write_b64 v19, v[26:27]
.LBB66_768:
	s_or_b64 exec, exec, s[12:13]
	s_waitcnt lgkmcnt(0)
	s_barrier
	s_barrier
	s_and_saveexec_b64 s[12:13], s[18:19]
; %bb.769:
	v_lshlrev_b32_e32 v26, 3, v17
	v_lshl_or_b32 v26, v18, 9, v26
	ds_write_b64 v26, v[11:12] offset:10368
; %bb.770:
	s_or_b64 exec, exec, s[12:13]
	s_waitcnt lgkmcnt(0)
	s_barrier
	s_barrier
	s_and_saveexec_b64 s[12:13], s[50:51]
	s_cbranch_execz .LBB66_772
; %bb.771:
	v_lshlrev_b32_e32 v26, 9, v0
	ds_read_b64 v[11:12], v26 offset:10368
	s_movk_i32 s14, 0xfe08
	v_mad_i32_i24 v27, v0, s14, v26
	s_waitcnt lgkmcnt(0)
	ds_write_b64 v27, v[11:12] offset:8352
	ds_read_b64 v[11:12], v26 offset:10376
	s_waitcnt lgkmcnt(0)
	ds_write_b64 v27, v[11:12] offset:8864
	ds_read_b64 v[11:12], v26 offset:10384
	;; [unrolled: 3-line block ×3, first 2 shown]
	s_waitcnt lgkmcnt(0)
	ds_write_b64 v27, v[11:12] offset:9888
.LBB66_772:
	s_or_b64 exec, exec, s[12:13]
	s_waitcnt lgkmcnt(0)
	s_barrier
	s_and_saveexec_b64 s[12:13], vcc
	s_cbranch_execz .LBB66_774
; %bb.773:
	s_movk_i32 s14, 0x90
	v_mov_b32_e32 v11, 0
	v_add_u32_e64 v26, s14, 0
	ds_read_b64 v[11:12], v11 offset:9880
	ds_read2st64_b64 v[26:29], v26 offset0:18 offset1:19
	s_movk_i32 s14, 0x2000
	s_waitcnt lgkmcnt(0)
	v_mul_f32_e32 v30, v12, v27
	v_mul_f32_e32 v27, v11, v27
	v_fma_f32 v30, v11, v26, -v30
	v_fmac_f32_e32 v27, v12, v26
	v_mul_f32_e32 v11, v27, v29
	v_mul_f32_e32 v12, v30, v29
	v_fma_f32 v11, v30, v28, -v11
	v_fmac_f32_e32 v12, v27, v28
	v_add_u32_e64 v26, s14, 0
	ds_write2_b64 v26, v[11:12], v[11:12] offset0:147 offset1:210
.LBB66_774:
	s_or_b64 exec, exec, s[12:13]
	v_mov_b32_e32 v11, 0
	v_mov_b32_e32 v12, 0
	s_waitcnt lgkmcnt(0)
	s_barrier
	buffer_wbinvl1_vol
	s_and_saveexec_b64 s[14:15], s[2:3]
	s_cbranch_execz .LBB66_778
; %bb.775:
	v_lshlrev_b32_e32 v11, 3, v13
	v_lshlrev_b32_e32 v26, 9, v14
	ds_read_b64 v[11:12], v11 offset:9344
	ds_read_b64 v[26:27], v26 offset:9360
	v_cmp_gt_u32_e64 s[12:13], 2, v16
	s_waitcnt lgkmcnt(0)
	v_mul_f32_e32 v28, v27, v12
	v_mul_f32_e32 v12, v26, v12
	v_fma_f32 v26, v26, v11, -v28
	v_fmac_f32_e32 v12, v27, v11
	v_add_f32_e32 v11, 0, v26
	v_add_f32_e32 v12, 0, v12
	s_and_saveexec_b64 s[16:17], s[12:13]
	s_cbranch_execz .LBB66_777
; %bb.776:
	v_lshlrev_b32_e32 v26, 3, v0
	v_mov_b32_e32 v28, 0
	ds_read_b64 v[26:27], v26 offset:9856
	ds_read_b64 v[28:29], v28 offset:9880
	s_waitcnt lgkmcnt(0)
	v_mul_f32_e32 v30, v29, v27
	v_mul_f32_e32 v27, v28, v27
	v_fma_f32 v28, v28, v26, -v30
	v_fmac_f32_e32 v27, v29, v26
	v_add_f32_e32 v11, v11, v28
	v_add_f32_e32 v12, v12, v27
.LBB66_777:
	s_or_b64 exec, exec, s[16:17]
.LBB66_778:
	s_or_b64 exec, exec, s[14:15]
	s_and_saveexec_b64 s[12:13], s[34:35]
	s_cbranch_execz .LBB66_780
; %bb.779:
	v_mov_b32_e32 v26, 0
	ds_read_b64 v[26:27], v26 offset:8840
	s_waitcnt lgkmcnt(0)
	v_mul_f32_e32 v28, v12, v27
	v_mul_f32_e32 v29, v11, v27
	v_fma_f32 v11, v11, v26, -v28
	v_fmac_f32_e32 v29, v12, v26
	v_xor_b32_e32 v26, 0x80000000, v11
	v_xor_b32_e32 v27, 0x80000000, v29
	v_mov_b32_e32 v12, v29
	ds_write_b64 v15, v[26:27]
.LBB66_780:
	s_or_b64 exec, exec, s[12:13]
	s_waitcnt lgkmcnt(0)
	s_barrier
	s_and_saveexec_b64 s[12:13], s[30:31]
	s_cbranch_execz .LBB66_782
; %bb.781:
	v_mov_b32_e32 v26, 0
	ds_read_b64 v[26:27], v26 offset:8832
	ds_read_b64 v[28:29], v15
	s_waitcnt lgkmcnt(0)
	v_mul_f32_e32 v30, v29, v27
	v_mul_f32_e32 v27, v28, v27
	v_fma_f32 v28, v28, v26, -v30
	v_fmac_f32_e32 v27, v29, v26
	v_sub_f32_e32 v11, v11, v28
	v_sub_f32_e32 v12, v12, v27
.LBB66_782:
	s_or_b64 exec, exec, s[12:13]
	s_barrier
	s_and_saveexec_b64 s[12:13], s[30:31]
	s_cbranch_execz .LBB66_784
; %bb.783:
	v_mov_b32_e32 v26, 0
	ds_read_b64 v[26:27], v26 offset:8320
	s_waitcnt lgkmcnt(0)
	v_mul_f32_e32 v28, v12, v27
	v_mul_f32_e32 v29, v11, v27
	v_fma_f32 v11, v11, v26, -v28
	v_fmac_f32_e32 v29, v12, v26
	v_xor_b32_e32 v26, 0x80000000, v11
	v_xor_b32_e32 v27, 0x80000000, v29
	v_mov_b32_e32 v12, v29
	ds_write_b64 v15, v[26:27]
.LBB66_784:
	s_or_b64 exec, exec, s[12:13]
	s_waitcnt lgkmcnt(0)
	s_barrier
	s_barrier
	s_and_saveexec_b64 s[12:13], s[2:3]
; %bb.785:
	v_lshlrev_b32_e32 v26, 3, v13
	v_lshl_or_b32 v26, v14, 9, v26
	ds_write_b64 v26, v[11:12] offset:9344
; %bb.786:
	s_or_b64 exec, exec, s[12:13]
	s_waitcnt lgkmcnt(0)
	s_barrier
	s_barrier
	s_and_saveexec_b64 s[12:13], s[36:37]
	s_cbranch_execz .LBB66_788
; %bb.787:
	v_lshlrev_b32_e32 v26, 3, v0
	s_movk_i32 s14, 0x1f8
	v_mad_u32_u24 v27, v0, s14, v26
	ds_read_b64 v[11:12], v27 offset:9344
	s_waitcnt lgkmcnt(0)
	ds_write_b64 v26, v[11:12] offset:8336
	ds_read_b64 v[11:12], v27 offset:9352
	s_waitcnt lgkmcnt(0)
	ds_write_b64 v26, v[11:12] offset:8848
.LBB66_788:
	s_or_b64 exec, exec, s[12:13]
	s_waitcnt lgkmcnt(0)
	s_barrier
	s_and_saveexec_b64 s[12:13], vcc
	s_cbranch_execz .LBB66_790
; %bb.789:
	s_movk_i32 s14, 0x80
	v_mov_b32_e32 v11, 0
	v_add_u32_e64 v26, s14, 0
	ds_read_b64 v[11:12], v11 offset:8840
	ds_read2st64_b64 v[26:29], v26 offset0:16 offset1:17
	s_movk_i32 s14, 0x2000
	s_waitcnt lgkmcnt(0)
	v_mul_f32_e32 v30, v12, v27
	v_mul_f32_e32 v27, v11, v27
	v_fma_f32 v30, v11, v26, -v30
	v_fmac_f32_e32 v27, v12, v26
	v_mul_f32_e32 v11, v27, v29
	v_mul_f32_e32 v12, v30, v29
	v_fma_f32 v11, v30, v28, -v11
	v_fmac_f32_e32 v12, v27, v28
	v_add_u32_e64 v26, s14, 0
	ds_write2_b64 v26, v[11:12], v[11:12] offset0:17 offset1:80
.LBB66_790:
	s_or_b64 exec, exec, s[12:13]
	v_mov_b32_e32 v12, 0
	v_mov_b32_e32 v11, 0
	s_waitcnt lgkmcnt(0)
	s_barrier
	buffer_wbinvl1_vol
	s_and_saveexec_b64 s[14:15], s[10:11]
	s_cbranch_execz .LBB66_818
; %bb.791:
	v_lshlrev_b32_e32 v26, 3, v23
	v_lshlrev_b32_e32 v27, 9, v24
	ds_read_b64 v[11:12], v26 offset:8192
	ds_read_b64 v[28:29], v27 offset:8320
	s_movk_i32 s12, 0xf0
	v_cmp_gt_u32_e64 s[12:13], s12, v16
	s_waitcnt lgkmcnt(0)
	v_mul_f32_e32 v30, v29, v12
	v_mul_f32_e32 v12, v28, v12
	v_fma_f32 v28, v28, v11, -v30
	v_fmac_f32_e32 v12, v29, v11
	v_add_f32_e32 v11, 0, v28
	v_add_f32_e32 v12, 0, v12
	s_and_saveexec_b64 s[16:17], s[12:13]
	s_cbranch_execz .LBB66_793
; %bb.792:
	ds_read_b64 v[28:29], v26 offset:8704
	ds_read_b64 v[30:31], v27 offset:8328
	s_waitcnt lgkmcnt(0)
	v_mul_f32_e32 v32, v31, v29
	v_mul_f32_e32 v29, v30, v29
	v_fma_f32 v30, v30, v28, -v32
	v_fmac_f32_e32 v29, v31, v28
	v_add_f32_e32 v11, v11, v30
	v_add_f32_e32 v12, v12, v29
.LBB66_793:
	s_or_b64 exec, exec, s[16:17]
	s_movk_i32 s12, 0xe0
	v_cmp_gt_u32_e64 s[12:13], s12, v16
	s_and_saveexec_b64 s[16:17], s[12:13]
	s_cbranch_execz .LBB66_795
; %bb.794:
	ds_read_b64 v[28:29], v26 offset:9216
	ds_read_b64 v[30:31], v27 offset:8336
	s_waitcnt lgkmcnt(0)
	v_mul_f32_e32 v32, v31, v29
	v_mul_f32_e32 v29, v30, v29
	v_fma_f32 v30, v30, v28, -v32
	v_fmac_f32_e32 v29, v31, v28
	v_add_f32_e32 v11, v11, v30
	v_add_f32_e32 v12, v12, v29
.LBB66_795:
	s_or_b64 exec, exec, s[16:17]
	s_movk_i32 s12, 0xd0
	v_cmp_gt_u32_e64 s[12:13], s12, v16
	;; [unrolled: 16-line block ×10, first 2 shown]
	s_and_saveexec_b64 s[16:17], s[12:13]
	s_cbranch_execnz .LBB66_1161
; %bb.812:
	s_or_b64 exec, exec, s[16:17]
	s_and_saveexec_b64 s[12:13], s[8:9]
	s_cbranch_execnz .LBB66_1162
.LBB66_813:
	s_or_b64 exec, exec, s[12:13]
	v_cmp_gt_u32_e64 s[12:13], 48, v16
	s_and_saveexec_b64 s[16:17], s[12:13]
	s_cbranch_execnz .LBB66_1163
.LBB66_814:
	s_or_b64 exec, exec, s[16:17]
	v_cmp_gt_u32_e64 s[12:13], 32, v16
	s_and_saveexec_b64 s[16:17], s[12:13]
	s_cbranch_execnz .LBB66_1164
.LBB66_815:
	s_or_b64 exec, exec, s[16:17]
	v_cmp_gt_u32_e64 s[12:13], 16, v16
	s_and_saveexec_b64 s[16:17], s[12:13]
	s_cbranch_execz .LBB66_817
.LBB66_816:
	v_lshlrev_b32_e32 v26, 3, v0
	v_mov_b32_e32 v28, 0
	ds_read_b64 v[26:27], v26 offset:15872
	ds_read_b64 v[28:29], v28 offset:16120
	s_waitcnt lgkmcnt(0)
	v_mul_f32_e32 v30, v29, v27
	v_mul_f32_e32 v27, v28, v27
	v_fma_f32 v28, v28, v26, -v30
	v_fmac_f32_e32 v27, v29, v26
	v_add_f32_e32 v11, v11, v28
	v_add_f32_e32 v12, v12, v27
.LBB66_817:
	s_or_b64 exec, exec, s[16:17]
.LBB66_818:
	s_or_b64 exec, exec, s[14:15]
	s_mov_b64 s[12:13], exec
	v_readlane_b32 s14, v38, 3
	v_readlane_b32 s15, v38, 4
	s_and_b64 s[14:15], s[12:13], s[14:15]
	s_mov_b64 exec, s[14:15]
	s_cbranch_execz .LBB66_820
; %bb.819:
	v_mov_b32_e32 v26, 0
	ds_read_b64 v[26:27], v26 offset:7800
	s_waitcnt lgkmcnt(0)
	v_mul_f32_e32 v28, v12, v27
	v_mul_f32_e32 v29, v11, v27
	v_fma_f32 v11, v11, v26, -v28
	v_fmac_f32_e32 v29, v12, v26
	v_xor_b32_e32 v26, 0x80000000, v11
	v_xor_b32_e32 v27, 0x80000000, v29
	v_mov_b32_e32 v12, v29
	ds_write_b64 v25, v[26:27]
.LBB66_820:
	s_or_b64 exec, exec, s[12:13]
	s_waitcnt lgkmcnt(0)
	s_barrier
	s_mov_b64 s[12:13], exec
	v_readlane_b32 s14, v38, 5
	v_readlane_b32 s15, v38, 6
	s_and_b64 s[14:15], s[12:13], s[14:15]
	s_mov_b64 exec, s[14:15]
	s_cbranch_execz .LBB66_822
; %bb.821:
	v_lshlrev_b32_e32 v26, 3, v23
	ds_read_b64 v[26:27], v26 offset:7680
	ds_read_b64 v[28:29], v25
	s_waitcnt lgkmcnt(0)
	v_mul_f32_e32 v30, v29, v27
	v_mul_f32_e32 v27, v28, v27
	v_fma_f32 v28, v28, v26, -v30
	v_fmac_f32_e32 v27, v29, v26
	v_sub_f32_e32 v11, v11, v28
	v_sub_f32_e32 v12, v12, v27
.LBB66_822:
	s_or_b64 exec, exec, s[12:13]
	s_barrier
	s_mov_b64 s[12:13], exec
	v_readlane_b32 s14, v38, 7
	v_readlane_b32 s15, v38, 8
	s_and_b64 s[14:15], s[12:13], s[14:15]
	s_mov_b64 exec, s[14:15]
	s_cbranch_execz .LBB66_824
; %bb.823:
	v_mov_b32_e32 v26, 0
	ds_read_b64 v[26:27], v26 offset:7280
	s_waitcnt lgkmcnt(0)
	v_mul_f32_e32 v28, v12, v27
	v_mul_f32_e32 v29, v11, v27
	v_fma_f32 v11, v11, v26, -v28
	v_fmac_f32_e32 v29, v12, v26
	v_xor_b32_e32 v26, 0x80000000, v11
	v_xor_b32_e32 v27, 0x80000000, v29
	v_mov_b32_e32 v12, v29
	ds_write_b64 v25, v[26:27]
.LBB66_824:
	s_or_b64 exec, exec, s[12:13]
	s_waitcnt lgkmcnt(0)
	s_barrier
	s_mov_b64 s[12:13], exec
	v_readlane_b32 s14, v38, 9
	v_readlane_b32 s15, v38, 10
	s_and_b64 s[14:15], s[12:13], s[14:15]
	s_mov_b64 exec, s[14:15]
	s_cbranch_execz .LBB66_826
; %bb.825:
	v_lshlrev_b32_e32 v26, 3, v23
	ds_read_b64 v[26:27], v26 offset:7168
	ds_read_b64 v[28:29], v25
	s_waitcnt lgkmcnt(0)
	v_mul_f32_e32 v30, v29, v27
	v_mul_f32_e32 v27, v28, v27
	v_fma_f32 v28, v28, v26, -v30
	v_fmac_f32_e32 v27, v29, v26
	v_sub_f32_e32 v11, v11, v28
	v_sub_f32_e32 v12, v12, v27
.LBB66_826:
	s_or_b64 exec, exec, s[12:13]
	s_barrier
	;; [unrolled: 42-line block ×12, first 2 shown]
	s_and_saveexec_b64 s[12:13], s[0:1]
	s_cbranch_execz .LBB66_868
; %bb.867:
	v_mov_b32_e32 v26, 0
	ds_read_b64 v[26:27], v26 offset:1560
	s_waitcnt lgkmcnt(0)
	v_mul_f32_e32 v28, v12, v27
	v_mul_f32_e32 v29, v11, v27
	v_fma_f32 v11, v11, v26, -v28
	v_fmac_f32_e32 v29, v12, v26
	v_xor_b32_e32 v26, 0x80000000, v11
	v_xor_b32_e32 v27, 0x80000000, v29
	v_mov_b32_e32 v12, v29
	ds_write_b64 v25, v[26:27]
.LBB66_868:
	s_or_b64 exec, exec, s[12:13]
	s_waitcnt lgkmcnt(0)
	s_barrier
	s_mov_b64 s[0:1], exec
	v_readlane_b32 s12, v38, 51
	v_readlane_b32 s13, v38, 52
	s_and_b64 s[12:13], s[0:1], s[12:13]
	s_mov_b64 exec, s[12:13]
	s_cbranch_execz .LBB66_870
; %bb.869:
	v_lshlrev_b32_e32 v26, 3, v23
	ds_read_b64 v[26:27], v26 offset:1536
	ds_read_b64 v[28:29], v25
	s_waitcnt lgkmcnt(0)
	v_mul_f32_e32 v30, v29, v27
	v_mul_f32_e32 v27, v28, v27
	v_fma_f32 v28, v28, v26, -v30
	v_fmac_f32_e32 v27, v29, v26
	v_sub_f32_e32 v11, v11, v28
	v_sub_f32_e32 v12, v12, v27
.LBB66_870:
	s_or_b64 exec, exec, s[0:1]
	s_barrier
	s_mov_b64 s[0:1], exec
	v_readlane_b32 s12, v38, 53
	v_readlane_b32 s13, v38, 54
	s_and_b64 s[12:13], s[0:1], s[12:13]
	s_mov_b64 exec, s[12:13]
	s_cbranch_execz .LBB66_872
; %bb.871:
	v_mov_b32_e32 v26, 0
	ds_read_b64 v[26:27], v26 offset:1040
	s_waitcnt lgkmcnt(0)
	v_mul_f32_e32 v28, v12, v27
	v_mul_f32_e32 v29, v11, v27
	v_fma_f32 v11, v11, v26, -v28
	v_fmac_f32_e32 v29, v12, v26
	v_xor_b32_e32 v26, 0x80000000, v11
	v_xor_b32_e32 v27, 0x80000000, v29
	v_mov_b32_e32 v12, v29
	ds_write_b64 v25, v[26:27]
.LBB66_872:
	s_or_b64 exec, exec, s[0:1]
	s_waitcnt lgkmcnt(0)
	s_barrier
	s_and_saveexec_b64 s[0:1], s[84:85]
	s_cbranch_execz .LBB66_874
; %bb.873:
	v_lshlrev_b32_e32 v26, 3, v23
	ds_read_b64 v[26:27], v26 offset:1024
	ds_read_b64 v[28:29], v25
	s_waitcnt lgkmcnt(0)
	v_mul_f32_e32 v30, v29, v27
	v_mul_f32_e32 v27, v28, v27
	v_fma_f32 v28, v28, v26, -v30
	v_fmac_f32_e32 v27, v29, v26
	v_sub_f32_e32 v11, v11, v28
	v_sub_f32_e32 v12, v12, v27
.LBB66_874:
	s_or_b64 exec, exec, s[0:1]
	s_barrier
	s_and_saveexec_b64 s[0:1], s[88:89]
	s_cbranch_execz .LBB66_876
; %bb.875:
	v_mov_b32_e32 v26, 0
	ds_read_b64 v[26:27], v26 offset:520
	s_waitcnt lgkmcnt(0)
	v_mul_f32_e32 v28, v12, v27
	v_mul_f32_e32 v29, v11, v27
	v_fma_f32 v11, v11, v26, -v28
	v_fmac_f32_e32 v29, v12, v26
	v_xor_b32_e32 v26, 0x80000000, v11
	v_xor_b32_e32 v27, 0x80000000, v29
	v_mov_b32_e32 v12, v29
	ds_write_b64 v25, v[26:27]
.LBB66_876:
	s_or_b64 exec, exec, s[0:1]
	s_waitcnt lgkmcnt(0)
	s_barrier
	s_and_saveexec_b64 s[0:1], s[86:87]
	s_cbranch_execz .LBB66_878
; %bb.877:
	v_mov_b32_e32 v26, 0
	ds_read_b64 v[26:27], v26 offset:512
	ds_read_b64 v[28:29], v25
	s_waitcnt lgkmcnt(0)
	v_mul_f32_e32 v30, v29, v27
	v_mul_f32_e32 v27, v28, v27
	v_fma_f32 v28, v28, v26, -v30
	v_fmac_f32_e32 v27, v29, v26
	v_sub_f32_e32 v11, v11, v28
	v_sub_f32_e32 v12, v12, v27
.LBB66_878:
	s_or_b64 exec, exec, s[0:1]
	s_barrier
	s_and_saveexec_b64 s[0:1], s[86:87]
	s_cbranch_execz .LBB66_880
; %bb.879:
	v_mov_b32_e32 v26, 0
	ds_read_b64 v[26:27], v26
	s_waitcnt lgkmcnt(0)
	v_mul_f32_e32 v28, v12, v27
	v_mul_f32_e32 v29, v11, v27
	v_fma_f32 v11, v11, v26, -v28
	v_fmac_f32_e32 v29, v12, v26
	v_xor_b32_e32 v26, 0x80000000, v11
	v_xor_b32_e32 v27, 0x80000000, v29
	v_mov_b32_e32 v12, v29
	ds_write_b64 v25, v[26:27]
.LBB66_880:
	s_or_b64 exec, exec, s[0:1]
	s_waitcnt lgkmcnt(0)
	s_barrier
	s_barrier
	s_and_saveexec_b64 s[0:1], s[10:11]
; %bb.881:
	v_lshlrev_b32_e32 v23, 3, v23
	v_lshl_or_b32 v23, v24, 9, v23
	ds_write_b64 v23, v[11:12] offset:8192
; %bb.882:
	s_or_b64 exec, exec, s[0:1]
	s_waitcnt lgkmcnt(0)
	s_barrier
	s_barrier
	s_and_saveexec_b64 s[0:1], s[90:91]
	s_cbranch_execz .LBB66_884
; %bb.883:
	v_lshlrev_b32_e32 v23, 9, v0
	ds_read_b64 v[11:12], v23 offset:8192
	s_movk_i32 s10, 0xfe08
	v_mad_i32_i24 v24, v0, s10, v23
	s_waitcnt lgkmcnt(0)
	ds_write_b64 v24, v[11:12] offset:128
	ds_read_b64 v[11:12], v23 offset:8200
	s_waitcnt lgkmcnt(0)
	ds_write_b64 v24, v[11:12] offset:640
	ds_read_b64 v[11:12], v23 offset:8208
	;; [unrolled: 3-line block ×15, first 2 shown]
	s_waitcnt lgkmcnt(0)
	ds_write_b64 v24, v[11:12] offset:7808
.LBB66_884:
	s_or_b64 exec, exec, s[0:1]
	s_waitcnt lgkmcnt(0)
	s_barrier
	s_and_saveexec_b64 s[0:1], vcc
	s_cbranch_execz .LBB66_886
; %bb.885:
	s_movk_i32 s10, 0x70
	v_mov_b32_e32 v11, 0
	v_add_u32_e64 v23, s10, 0
	ds_read_b64 v[11:12], v11 offset:7800
	ds_read2st64_b64 v[23:26], v23 offset0:14 offset1:15
	s_movk_i32 s10, 0x1800
	s_waitcnt lgkmcnt(0)
	v_mul_f32_e32 v27, v12, v24
	v_mul_f32_e32 v24, v11, v24
	v_fma_f32 v27, v11, v23, -v27
	v_fmac_f32_e32 v24, v12, v23
	v_mul_f32_e32 v11, v24, v26
	v_mul_f32_e32 v12, v27, v26
	v_fma_f32 v11, v27, v25, -v11
	v_fmac_f32_e32 v12, v24, v25
	v_add_u32_e64 v23, s10, 0
	ds_write2_b64 v23, v[11:12], v[11:12] offset0:143 offset1:206
.LBB66_886:
	s_or_b64 exec, exec, s[0:1]
	v_mov_b32_e32 v11, 0
	v_mov_b32_e32 v12, 0
	s_waitcnt lgkmcnt(0)
	s_barrier
	buffer_wbinvl1_vol
	s_and_saveexec_b64 s[0:1], s[2:3]
	s_cbranch_execz .LBB66_890
; %bb.887:
	v_lshlrev_b32_e32 v11, 3, v13
	v_lshlrev_b32_e32 v23, 9, v14
	ds_read_b64 v[11:12], v11 offset:7264
	ds_read_b64 v[23:24], v23 offset:7280
	v_cmp_gt_u32_e64 s[10:11], 2, v16
	s_waitcnt lgkmcnt(0)
	v_mul_f32_e32 v25, v24, v12
	v_mul_f32_e32 v12, v23, v12
	v_fma_f32 v23, v23, v11, -v25
	v_fmac_f32_e32 v12, v24, v11
	v_add_f32_e32 v11, 0, v23
	v_add_f32_e32 v12, 0, v12
	s_and_saveexec_b64 s[12:13], s[10:11]
	s_cbranch_execz .LBB66_889
; %bb.888:
	v_lshlrev_b32_e32 v23, 3, v0
	v_mov_b32_e32 v25, 0
	ds_read_b64 v[23:24], v23 offset:7776
	ds_read_b64 v[25:26], v25 offset:7800
	s_waitcnt lgkmcnt(0)
	v_mul_f32_e32 v27, v26, v24
	v_mul_f32_e32 v24, v25, v24
	v_fma_f32 v25, v25, v23, -v27
	v_fmac_f32_e32 v24, v26, v23
	v_add_f32_e32 v11, v11, v25
	v_add_f32_e32 v12, v12, v24
.LBB66_889:
	s_or_b64 exec, exec, s[12:13]
.LBB66_890:
	s_or_b64 exec, exec, s[0:1]
	s_and_saveexec_b64 s[0:1], s[34:35]
	s_cbranch_execz .LBB66_892
; %bb.891:
	v_mov_b32_e32 v23, 0
	ds_read_b64 v[23:24], v23 offset:6760
	s_waitcnt lgkmcnt(0)
	v_mul_f32_e32 v25, v12, v24
	v_mul_f32_e32 v26, v11, v24
	v_fma_f32 v11, v11, v23, -v25
	v_fmac_f32_e32 v26, v12, v23
	v_xor_b32_e32 v23, 0x80000000, v11
	v_xor_b32_e32 v24, 0x80000000, v26
	v_mov_b32_e32 v12, v26
	ds_write_b64 v15, v[23:24]
.LBB66_892:
	s_or_b64 exec, exec, s[0:1]
	s_waitcnt lgkmcnt(0)
	s_barrier
	s_and_saveexec_b64 s[0:1], s[30:31]
	s_cbranch_execz .LBB66_894
; %bb.893:
	v_mov_b32_e32 v23, 0
	ds_read_b64 v[23:24], v23 offset:6752
	ds_read_b64 v[25:26], v15
	s_waitcnt lgkmcnt(0)
	v_mul_f32_e32 v27, v26, v24
	v_mul_f32_e32 v24, v25, v24
	v_fma_f32 v25, v25, v23, -v27
	v_fmac_f32_e32 v24, v26, v23
	v_sub_f32_e32 v11, v11, v25
	v_sub_f32_e32 v12, v12, v24
.LBB66_894:
	s_or_b64 exec, exec, s[0:1]
	s_barrier
	s_and_saveexec_b64 s[0:1], s[30:31]
	s_cbranch_execz .LBB66_896
; %bb.895:
	v_mov_b32_e32 v23, 0
	ds_read_b64 v[23:24], v23 offset:6240
	s_waitcnt lgkmcnt(0)
	v_mul_f32_e32 v25, v12, v24
	v_mul_f32_e32 v26, v11, v24
	v_fma_f32 v11, v11, v23, -v25
	v_fmac_f32_e32 v26, v12, v23
	v_xor_b32_e32 v23, 0x80000000, v11
	v_xor_b32_e32 v24, 0x80000000, v26
	v_mov_b32_e32 v12, v26
	ds_write_b64 v15, v[23:24]
.LBB66_896:
	s_or_b64 exec, exec, s[0:1]
	s_waitcnt lgkmcnt(0)
	s_barrier
	s_barrier
	s_and_saveexec_b64 s[0:1], s[2:3]
; %bb.897:
	v_lshlrev_b32_e32 v23, 3, v13
	v_lshl_or_b32 v23, v14, 9, v23
	ds_write_b64 v23, v[11:12] offset:7264
; %bb.898:
	s_or_b64 exec, exec, s[0:1]
	s_waitcnt lgkmcnt(0)
	s_barrier
	s_barrier
	s_and_saveexec_b64 s[0:1], s[36:37]
	s_cbranch_execz .LBB66_900
; %bb.899:
	v_lshlrev_b32_e32 v23, 3, v0
	s_movk_i32 s10, 0x1f8
	v_mad_u32_u24 v24, v0, s10, v23
	ds_read_b64 v[11:12], v24 offset:7264
	s_waitcnt lgkmcnt(0)
	ds_write_b64 v23, v[11:12] offset:6256
	ds_read_b64 v[11:12], v24 offset:7272
	s_waitcnt lgkmcnt(0)
	ds_write_b64 v23, v[11:12] offset:6768
.LBB66_900:
	s_or_b64 exec, exec, s[0:1]
	s_waitcnt lgkmcnt(0)
	s_barrier
	s_and_saveexec_b64 s[0:1], vcc
	s_cbranch_execz .LBB66_902
; %bb.901:
	s_movk_i32 s10, 0x60
	v_mov_b32_e32 v11, 0
	v_add_u32_e64 v23, s10, 0
	ds_read_b64 v[11:12], v11 offset:6760
	ds_read2st64_b64 v[23:26], v23 offset0:12 offset1:13
	s_movk_i32 s10, 0x1800
	s_waitcnt lgkmcnt(0)
	v_mul_f32_e32 v27, v12, v24
	v_mul_f32_e32 v24, v11, v24
	v_fma_f32 v27, v11, v23, -v27
	v_fmac_f32_e32 v24, v12, v23
	v_mul_f32_e32 v11, v24, v26
	v_mul_f32_e32 v12, v27, v26
	v_fma_f32 v11, v27, v25, -v11
	v_fmac_f32_e32 v12, v24, v25
	v_add_u32_e64 v23, s10, 0
	ds_write2_b64 v23, v[11:12], v[11:12] offset0:13 offset1:76
.LBB66_902:
	s_or_b64 exec, exec, s[0:1]
	v_mov_b32_e32 v12, 0
	v_mov_b32_e32 v11, 0
	s_waitcnt lgkmcnt(0)
	s_barrier
	buffer_wbinvl1_vol
	s_and_saveexec_b64 s[0:1], s[18:19]
	s_cbranch_execz .LBB66_908
; %bb.903:
	v_lshlrev_b32_e32 v23, 3, v17
	v_lshlrev_b32_e32 v24, 9, v18
	ds_read_b64 v[11:12], v23 offset:6208
	ds_read_b64 v[25:26], v24 offset:6240
	v_cmp_gt_u32_e64 s[10:11], 12, v16
	s_waitcnt lgkmcnt(0)
	v_mul_f32_e32 v27, v26, v12
	v_mul_f32_e32 v12, v25, v12
	v_fma_f32 v25, v25, v11, -v27
	v_fmac_f32_e32 v12, v26, v11
	v_add_f32_e32 v11, 0, v25
	v_add_f32_e32 v12, 0, v12
	s_and_saveexec_b64 s[12:13], s[10:11]
	s_cbranch_execnz .LBB66_1165
; %bb.904:
	s_or_b64 exec, exec, s[12:13]
	v_cmp_gt_u32_e64 s[10:11], 8, v16
	s_and_saveexec_b64 s[12:13], s[10:11]
	s_cbranch_execnz .LBB66_1166
.LBB66_905:
	s_or_b64 exec, exec, s[12:13]
	v_cmp_gt_u32_e64 s[10:11], 4, v16
	s_and_saveexec_b64 s[12:13], s[10:11]
	s_cbranch_execz .LBB66_907
.LBB66_906:
	v_lshlrev_b32_e32 v23, 3, v0
	v_mov_b32_e32 v25, 0
	ds_read_b64 v[23:24], v23 offset:7744
	ds_read_b64 v[25:26], v25 offset:7800
	s_waitcnt lgkmcnt(0)
	v_mul_f32_e32 v27, v26, v24
	v_mul_f32_e32 v24, v25, v24
	v_fma_f32 v25, v25, v23, -v27
	v_fmac_f32_e32 v24, v26, v23
	v_add_f32_e32 v11, v11, v25
	v_add_f32_e32 v12, v12, v24
.LBB66_907:
	s_or_b64 exec, exec, s[12:13]
.LBB66_908:
	s_or_b64 exec, exec, s[0:1]
	s_and_saveexec_b64 s[0:1], s[40:41]
	s_cbranch_execz .LBB66_910
; %bb.909:
	v_mov_b32_e32 v23, 0
	ds_read_b64 v[23:24], v23 offset:5720
	s_waitcnt lgkmcnt(0)
	v_mul_f32_e32 v25, v12, v24
	v_mul_f32_e32 v26, v11, v24
	v_fma_f32 v11, v11, v23, -v25
	v_fmac_f32_e32 v26, v12, v23
	v_xor_b32_e32 v23, 0x80000000, v11
	v_xor_b32_e32 v24, 0x80000000, v26
	v_mov_b32_e32 v12, v26
	ds_write_b64 v19, v[23:24]
.LBB66_910:
	s_or_b64 exec, exec, s[0:1]
	s_waitcnt lgkmcnt(0)
	s_barrier
	s_and_saveexec_b64 s[0:1], s[42:43]
	s_cbranch_execz .LBB66_912
; %bb.911:
	v_lshlrev_b32_e32 v23, 3, v17
	ds_read_b64 v[23:24], v23 offset:5696
	ds_read_b64 v[25:26], v19
	s_waitcnt lgkmcnt(0)
	v_mul_f32_e32 v27, v26, v24
	v_mul_f32_e32 v24, v25, v24
	v_fma_f32 v25, v25, v23, -v27
	v_fmac_f32_e32 v24, v26, v23
	v_sub_f32_e32 v11, v11, v25
	v_sub_f32_e32 v12, v12, v24
.LBB66_912:
	s_or_b64 exec, exec, s[0:1]
	s_barrier
	s_and_saveexec_b64 s[0:1], s[44:45]
	s_cbranch_execz .LBB66_914
; %bb.913:
	v_mov_b32_e32 v23, 0
	ds_read_b64 v[23:24], v23 offset:5200
	s_waitcnt lgkmcnt(0)
	v_mul_f32_e32 v25, v12, v24
	v_mul_f32_e32 v26, v11, v24
	v_fma_f32 v11, v11, v23, -v25
	v_fmac_f32_e32 v26, v12, v23
	v_xor_b32_e32 v23, 0x80000000, v11
	v_xor_b32_e32 v24, 0x80000000, v26
	v_mov_b32_e32 v12, v26
	ds_write_b64 v19, v[23:24]
.LBB66_914:
	s_or_b64 exec, exec, s[0:1]
	s_waitcnt lgkmcnt(0)
	s_barrier
	s_and_saveexec_b64 s[0:1], s[46:47]
	s_cbranch_execz .LBB66_916
; %bb.915:
	v_lshlrev_b32_e32 v23, 3, v17
	ds_read_b64 v[23:24], v23 offset:5184
	ds_read_b64 v[25:26], v19
	s_waitcnt lgkmcnt(0)
	v_mul_f32_e32 v27, v26, v24
	v_mul_f32_e32 v24, v25, v24
	v_fma_f32 v25, v25, v23, -v27
	v_fmac_f32_e32 v24, v26, v23
	v_sub_f32_e32 v11, v11, v25
	v_sub_f32_e32 v12, v12, v24
.LBB66_916:
	s_or_b64 exec, exec, s[0:1]
	s_barrier
	s_and_saveexec_b64 s[0:1], s[48:49]
	s_cbranch_execz .LBB66_918
; %bb.917:
	v_mov_b32_e32 v23, 0
	ds_read_b64 v[23:24], v23 offset:4680
	s_waitcnt lgkmcnt(0)
	v_mul_f32_e32 v25, v12, v24
	v_mul_f32_e32 v26, v11, v24
	v_fma_f32 v11, v11, v23, -v25
	v_fmac_f32_e32 v26, v12, v23
	v_xor_b32_e32 v23, 0x80000000, v11
	v_xor_b32_e32 v24, 0x80000000, v26
	v_mov_b32_e32 v12, v26
	ds_write_b64 v19, v[23:24]
.LBB66_918:
	s_or_b64 exec, exec, s[0:1]
	s_waitcnt lgkmcnt(0)
	s_barrier
	s_and_saveexec_b64 s[0:1], s[38:39]
	s_cbranch_execz .LBB66_920
; %bb.919:
	v_mov_b32_e32 v23, 0
	ds_read_b64 v[23:24], v23 offset:4672
	ds_read_b64 v[25:26], v19
	s_waitcnt lgkmcnt(0)
	v_mul_f32_e32 v27, v26, v24
	v_mul_f32_e32 v24, v25, v24
	v_fma_f32 v25, v25, v23, -v27
	v_fmac_f32_e32 v24, v26, v23
	v_sub_f32_e32 v11, v11, v25
	v_sub_f32_e32 v12, v12, v24
.LBB66_920:
	s_or_b64 exec, exec, s[0:1]
	s_barrier
	s_and_saveexec_b64 s[0:1], s[38:39]
	s_cbranch_execz .LBB66_922
; %bb.921:
	v_mov_b32_e32 v23, 0
	ds_read_b64 v[23:24], v23 offset:4160
	s_waitcnt lgkmcnt(0)
	v_mul_f32_e32 v25, v12, v24
	v_mul_f32_e32 v26, v11, v24
	v_fma_f32 v11, v11, v23, -v25
	v_fmac_f32_e32 v26, v12, v23
	v_xor_b32_e32 v23, 0x80000000, v11
	v_xor_b32_e32 v24, 0x80000000, v26
	v_mov_b32_e32 v12, v26
	ds_write_b64 v19, v[23:24]
.LBB66_922:
	s_or_b64 exec, exec, s[0:1]
	s_waitcnt lgkmcnt(0)
	s_barrier
	s_barrier
	s_and_saveexec_b64 s[0:1], s[18:19]
; %bb.923:
	v_lshlrev_b32_e32 v23, 3, v17
	v_lshl_or_b32 v23, v18, 9, v23
	ds_write_b64 v23, v[11:12] offset:6208
; %bb.924:
	s_or_b64 exec, exec, s[0:1]
	s_waitcnt lgkmcnt(0)
	s_barrier
	s_barrier
	s_and_saveexec_b64 s[0:1], s[50:51]
	s_cbranch_execz .LBB66_926
; %bb.925:
	v_lshlrev_b32_e32 v23, 9, v0
	ds_read_b64 v[11:12], v23 offset:6208
	s_movk_i32 s10, 0xfe08
	v_mad_i32_i24 v24, v0, s10, v23
	s_waitcnt lgkmcnt(0)
	ds_write_b64 v24, v[11:12] offset:4192
	ds_read_b64 v[11:12], v23 offset:6216
	s_waitcnt lgkmcnt(0)
	ds_write_b64 v24, v[11:12] offset:4704
	ds_read_b64 v[11:12], v23 offset:6224
	;; [unrolled: 3-line block ×3, first 2 shown]
	s_waitcnt lgkmcnt(0)
	ds_write_b64 v24, v[11:12] offset:5728
.LBB66_926:
	s_or_b64 exec, exec, s[0:1]
	s_waitcnt lgkmcnt(0)
	s_barrier
	s_and_saveexec_b64 s[0:1], vcc
	s_cbranch_execz .LBB66_928
; %bb.927:
	s_movk_i32 s10, 0x50
	v_mov_b32_e32 v11, 0
	v_add_u32_e64 v23, s10, 0
	ds_read_b64 v[11:12], v11 offset:5720
	ds_read2st64_b64 v[23:26], v23 offset0:10 offset1:11
	s_movk_i32 s10, 0x1000
	s_waitcnt lgkmcnt(0)
	v_mul_f32_e32 v27, v12, v24
	v_mul_f32_e32 v24, v11, v24
	v_fma_f32 v27, v11, v23, -v27
	v_fmac_f32_e32 v24, v12, v23
	v_mul_f32_e32 v11, v24, v26
	v_mul_f32_e32 v12, v27, v26
	v_fma_f32 v11, v27, v25, -v11
	v_fmac_f32_e32 v12, v24, v25
	v_add_u32_e64 v23, s10, 0
	ds_write2_b64 v23, v[11:12], v[11:12] offset0:139 offset1:202
.LBB66_928:
	s_or_b64 exec, exec, s[0:1]
	v_mov_b32_e32 v11, 0
	v_mov_b32_e32 v12, 0
	s_waitcnt lgkmcnt(0)
	s_barrier
	buffer_wbinvl1_vol
	s_and_saveexec_b64 s[0:1], s[2:3]
	s_cbranch_execz .LBB66_932
; %bb.929:
	v_lshlrev_b32_e32 v11, 3, v13
	v_lshlrev_b32_e32 v23, 9, v14
	ds_read_b64 v[11:12], v11 offset:5184
	ds_read_b64 v[23:24], v23 offset:5200
	v_cmp_gt_u32_e64 s[10:11], 2, v16
	s_waitcnt lgkmcnt(0)
	v_mul_f32_e32 v25, v24, v12
	v_mul_f32_e32 v12, v23, v12
	v_fma_f32 v23, v23, v11, -v25
	v_fmac_f32_e32 v12, v24, v11
	v_add_f32_e32 v11, 0, v23
	v_add_f32_e32 v12, 0, v12
	s_and_saveexec_b64 s[12:13], s[10:11]
	s_cbranch_execz .LBB66_931
; %bb.930:
	v_lshlrev_b32_e32 v23, 3, v0
	v_mov_b32_e32 v25, 0
	ds_read_b64 v[23:24], v23 offset:5696
	ds_read_b64 v[25:26], v25 offset:5720
	s_waitcnt lgkmcnt(0)
	v_mul_f32_e32 v27, v26, v24
	v_mul_f32_e32 v24, v25, v24
	v_fma_f32 v25, v25, v23, -v27
	v_fmac_f32_e32 v24, v26, v23
	v_add_f32_e32 v11, v11, v25
	v_add_f32_e32 v12, v12, v24
.LBB66_931:
	s_or_b64 exec, exec, s[12:13]
.LBB66_932:
	s_or_b64 exec, exec, s[0:1]
	s_and_saveexec_b64 s[0:1], s[34:35]
	s_cbranch_execz .LBB66_934
; %bb.933:
	v_mov_b32_e32 v23, 0
	ds_read_b64 v[23:24], v23 offset:4680
	s_waitcnt lgkmcnt(0)
	v_mul_f32_e32 v25, v12, v24
	v_mul_f32_e32 v26, v11, v24
	v_fma_f32 v11, v11, v23, -v25
	v_fmac_f32_e32 v26, v12, v23
	v_xor_b32_e32 v23, 0x80000000, v11
	v_xor_b32_e32 v24, 0x80000000, v26
	v_mov_b32_e32 v12, v26
	ds_write_b64 v15, v[23:24]
.LBB66_934:
	s_or_b64 exec, exec, s[0:1]
	s_waitcnt lgkmcnt(0)
	s_barrier
	s_and_saveexec_b64 s[0:1], s[30:31]
	s_cbranch_execz .LBB66_936
; %bb.935:
	v_mov_b32_e32 v23, 0
	ds_read_b64 v[23:24], v23 offset:4672
	ds_read_b64 v[25:26], v15
	s_waitcnt lgkmcnt(0)
	v_mul_f32_e32 v27, v26, v24
	v_mul_f32_e32 v24, v25, v24
	v_fma_f32 v25, v25, v23, -v27
	v_fmac_f32_e32 v24, v26, v23
	v_sub_f32_e32 v11, v11, v25
	v_sub_f32_e32 v12, v12, v24
.LBB66_936:
	s_or_b64 exec, exec, s[0:1]
	s_barrier
	s_and_saveexec_b64 s[0:1], s[30:31]
	s_cbranch_execz .LBB66_938
; %bb.937:
	v_mov_b32_e32 v23, 0
	ds_read_b64 v[23:24], v23 offset:4160
	s_waitcnt lgkmcnt(0)
	v_mul_f32_e32 v25, v12, v24
	v_mul_f32_e32 v26, v11, v24
	v_fma_f32 v11, v11, v23, -v25
	v_fmac_f32_e32 v26, v12, v23
	v_xor_b32_e32 v23, 0x80000000, v11
	v_xor_b32_e32 v24, 0x80000000, v26
	v_mov_b32_e32 v12, v26
	ds_write_b64 v15, v[23:24]
.LBB66_938:
	s_or_b64 exec, exec, s[0:1]
	s_waitcnt lgkmcnt(0)
	s_barrier
	s_barrier
	s_and_saveexec_b64 s[0:1], s[2:3]
; %bb.939:
	v_lshlrev_b32_e32 v23, 3, v13
	v_lshl_or_b32 v23, v14, 9, v23
	ds_write_b64 v23, v[11:12] offset:5184
; %bb.940:
	s_or_b64 exec, exec, s[0:1]
	s_waitcnt lgkmcnt(0)
	s_barrier
	s_barrier
	s_and_saveexec_b64 s[0:1], s[36:37]
	s_cbranch_execz .LBB66_942
; %bb.941:
	v_lshlrev_b32_e32 v23, 3, v0
	s_movk_i32 s10, 0x1f8
	v_mad_u32_u24 v24, v0, s10, v23
	ds_read_b64 v[11:12], v24 offset:5184
	s_waitcnt lgkmcnt(0)
	ds_write_b64 v23, v[11:12] offset:4176
	ds_read_b64 v[11:12], v24 offset:5192
	s_waitcnt lgkmcnt(0)
	ds_write_b64 v23, v[11:12] offset:4688
.LBB66_942:
	s_or_b64 exec, exec, s[0:1]
	s_waitcnt lgkmcnt(0)
	s_barrier
	s_and_saveexec_b64 s[0:1], vcc
	s_cbranch_execz .LBB66_944
; %bb.943:
	v_mov_b32_e32 v11, 0
	v_add_u32_e64 v12, 64, 0
	ds_read2st64_b64 v[23:26], v12 offset0:8 offset1:9
	ds_read_b64 v[11:12], v11 offset:4680
	s_movk_i32 s10, 0x1000
	s_waitcnt lgkmcnt(0)
	v_mul_f32_e32 v27, v12, v24
	v_mul_f32_e32 v24, v11, v24
	v_fma_f32 v27, v11, v23, -v27
	v_fmac_f32_e32 v24, v12, v23
	v_mul_f32_e32 v11, v24, v26
	v_mul_f32_e32 v12, v27, v26
	v_fma_f32 v11, v27, v25, -v11
	v_fmac_f32_e32 v12, v24, v25
	v_add_u32_e64 v23, s10, 0
	ds_write2_b64 v23, v[11:12], v[11:12] offset0:9 offset1:72
.LBB66_944:
	s_or_b64 exec, exec, s[0:1]
	v_mov_b32_e32 v12, 0
	v_mov_b32_e32 v11, 0
	s_waitcnt lgkmcnt(0)
	s_barrier
	buffer_wbinvl1_vol
	s_and_saveexec_b64 s[0:1], s[8:9]
	s_cbranch_execz .LBB66_954
; %bb.945:
	v_lshlrev_b32_e32 v23, 3, v20
	v_lshlrev_b32_e32 v24, 9, v21
	ds_read_b64 v[11:12], v23 offset:4096
	ds_read_b64 v[25:26], v24 offset:4160
	v_cmp_gt_u32_e64 s[10:11], 56, v16
	s_waitcnt lgkmcnt(0)
	v_mul_f32_e32 v27, v26, v12
	v_mul_f32_e32 v12, v25, v12
	v_fma_f32 v25, v25, v11, -v27
	v_fmac_f32_e32 v12, v26, v11
	v_add_f32_e32 v11, 0, v25
	v_add_f32_e32 v12, 0, v12
	s_and_saveexec_b64 s[12:13], s[10:11]
	s_cbranch_execnz .LBB66_1167
; %bb.946:
	s_or_b64 exec, exec, s[12:13]
	v_cmp_gt_u32_e64 s[10:11], 48, v16
	s_and_saveexec_b64 s[12:13], s[10:11]
	s_cbranch_execnz .LBB66_1168
.LBB66_947:
	s_or_b64 exec, exec, s[12:13]
	v_cmp_gt_u32_e64 s[10:11], 40, v16
	s_and_saveexec_b64 s[12:13], s[10:11]
	s_cbranch_execnz .LBB66_1169
.LBB66_948:
	s_or_b64 exec, exec, s[12:13]
	v_cmp_gt_u32_e64 s[10:11], 32, v16
	s_and_saveexec_b64 s[12:13], s[10:11]
	s_cbranch_execnz .LBB66_1170
.LBB66_949:
	s_or_b64 exec, exec, s[12:13]
	v_cmp_gt_u32_e64 s[10:11], 24, v16
	s_and_saveexec_b64 s[12:13], s[10:11]
	s_cbranch_execnz .LBB66_1171
.LBB66_950:
	s_or_b64 exec, exec, s[12:13]
	s_and_saveexec_b64 s[10:11], s[18:19]
	s_cbranch_execnz .LBB66_1172
.LBB66_951:
	s_or_b64 exec, exec, s[10:11]
	v_cmp_gt_u32_e64 s[10:11], 8, v16
	s_and_saveexec_b64 s[12:13], s[10:11]
	s_cbranch_execz .LBB66_953
.LBB66_952:
	v_lshlrev_b32_e32 v23, 3, v0
	v_mov_b32_e32 v25, 0
	ds_read_b64 v[23:24], v23 offset:7680
	ds_read_b64 v[25:26], v25 offset:7800
	s_waitcnt lgkmcnt(0)
	v_mul_f32_e32 v27, v26, v24
	v_mul_f32_e32 v24, v25, v24
	v_fma_f32 v25, v25, v23, -v27
	v_fmac_f32_e32 v24, v26, v23
	v_add_f32_e32 v11, v11, v25
	v_add_f32_e32 v12, v12, v24
.LBB66_953:
	s_or_b64 exec, exec, s[12:13]
.LBB66_954:
	s_or_b64 exec, exec, s[0:1]
	s_and_saveexec_b64 s[0:1], s[54:55]
	s_cbranch_execz .LBB66_956
; %bb.955:
	v_mov_b32_e32 v23, 0
	ds_read_b64 v[23:24], v23 offset:3640
	s_waitcnt lgkmcnt(0)
	v_mul_f32_e32 v25, v12, v24
	v_mul_f32_e32 v26, v11, v24
	v_fma_f32 v11, v11, v23, -v25
	v_fmac_f32_e32 v26, v12, v23
	v_xor_b32_e32 v23, 0x80000000, v11
	v_xor_b32_e32 v24, 0x80000000, v26
	v_mov_b32_e32 v12, v26
	ds_write_b64 v22, v[23:24]
.LBB66_956:
	s_or_b64 exec, exec, s[0:1]
	s_waitcnt lgkmcnt(0)
	s_barrier
	s_and_saveexec_b64 s[0:1], s[56:57]
	s_load_dwordx2 s[20:21], s[4:5], 0x28
	v_readlane_b32 s54, v38, 1
	v_readlane_b32 s55, v38, 2
	s_cbranch_execz .LBB66_958
; %bb.957:
	v_lshlrev_b32_e32 v23, 3, v20
	ds_read_b64 v[23:24], v23 offset:3584
	ds_read_b64 v[25:26], v22
	s_waitcnt lgkmcnt(0)
	v_mul_f32_e32 v27, v26, v24
	v_mul_f32_e32 v24, v25, v24
	v_fma_f32 v25, v25, v23, -v27
	v_fmac_f32_e32 v24, v26, v23
	v_sub_f32_e32 v11, v11, v25
	v_sub_f32_e32 v12, v12, v24
.LBB66_958:
	s_or_b64 exec, exec, s[0:1]
	s_waitcnt lgkmcnt(0)
	s_barrier
	s_and_saveexec_b64 s[0:1], s[58:59]
	s_cbranch_execz .LBB66_960
; %bb.959:
	v_mov_b32_e32 v23, 0
	ds_read_b64 v[23:24], v23 offset:3120
	s_waitcnt lgkmcnt(0)
	v_mul_f32_e32 v25, v12, v24
	v_mul_f32_e32 v26, v11, v24
	v_fma_f32 v11, v11, v23, -v25
	v_fmac_f32_e32 v26, v12, v23
	v_xor_b32_e32 v23, 0x80000000, v11
	v_xor_b32_e32 v24, 0x80000000, v26
	v_mov_b32_e32 v12, v26
	ds_write_b64 v22, v[23:24]
.LBB66_960:
	s_or_b64 exec, exec, s[0:1]
	s_waitcnt lgkmcnt(0)
	s_barrier
	s_and_saveexec_b64 s[0:1], s[60:61]
	s_cbranch_execz .LBB66_962
; %bb.961:
	v_lshlrev_b32_e32 v23, 3, v20
	ds_read_b64 v[23:24], v23 offset:3072
	ds_read_b64 v[25:26], v22
	s_waitcnt lgkmcnt(0)
	v_mul_f32_e32 v27, v26, v24
	v_mul_f32_e32 v24, v25, v24
	v_fma_f32 v25, v25, v23, -v27
	v_fmac_f32_e32 v24, v26, v23
	v_sub_f32_e32 v11, v11, v25
	v_sub_f32_e32 v12, v12, v24
.LBB66_962:
	s_or_b64 exec, exec, s[0:1]
	s_barrier
	s_and_saveexec_b64 s[0:1], s[62:63]
	s_cbranch_execz .LBB66_964
; %bb.963:
	v_mov_b32_e32 v23, 0
	ds_read_b64 v[23:24], v23 offset:2600
	s_waitcnt lgkmcnt(0)
	v_mul_f32_e32 v25, v12, v24
	v_mul_f32_e32 v26, v11, v24
	v_fma_f32 v11, v11, v23, -v25
	v_fmac_f32_e32 v26, v12, v23
	v_xor_b32_e32 v23, 0x80000000, v11
	v_xor_b32_e32 v24, 0x80000000, v26
	v_mov_b32_e32 v12, v26
	ds_write_b64 v22, v[23:24]
.LBB66_964:
	s_or_b64 exec, exec, s[0:1]
	s_waitcnt lgkmcnt(0)
	s_barrier
	s_and_saveexec_b64 s[0:1], s[64:65]
	s_cbranch_execz .LBB66_966
; %bb.965:
	v_lshlrev_b32_e32 v23, 3, v20
	ds_read_b64 v[23:24], v23 offset:2560
	ds_read_b64 v[25:26], v22
	s_waitcnt lgkmcnt(0)
	v_mul_f32_e32 v27, v26, v24
	v_mul_f32_e32 v24, v25, v24
	v_fma_f32 v25, v25, v23, -v27
	v_fmac_f32_e32 v24, v26, v23
	v_sub_f32_e32 v11, v11, v25
	v_sub_f32_e32 v12, v12, v24
.LBB66_966:
	s_or_b64 exec, exec, s[0:1]
	;; [unrolled: 34-line block ×5, first 2 shown]
	s_barrier
	s_and_saveexec_b64 s[0:1], s[78:79]
	s_cbranch_execz .LBB66_980
; %bb.979:
	v_mov_b32_e32 v23, 0
	ds_read_b64 v[23:24], v23 offset:520
	s_waitcnt lgkmcnt(0)
	v_mul_f32_e32 v25, v12, v24
	v_mul_f32_e32 v26, v11, v24
	v_fma_f32 v11, v11, v23, -v25
	v_fmac_f32_e32 v26, v12, v23
	v_xor_b32_e32 v23, 0x80000000, v11
	v_xor_b32_e32 v24, 0x80000000, v26
	v_mov_b32_e32 v12, v26
	ds_write_b64 v22, v[23:24]
.LBB66_980:
	s_or_b64 exec, exec, s[0:1]
	s_waitcnt lgkmcnt(0)
	s_barrier
	s_and_saveexec_b64 s[0:1], s[52:53]
	s_cbranch_execz .LBB66_982
; %bb.981:
	v_mov_b32_e32 v23, 0
	ds_read_b64 v[23:24], v23 offset:512
	ds_read_b64 v[25:26], v22
	s_waitcnt lgkmcnt(0)
	v_mul_f32_e32 v27, v26, v24
	v_mul_f32_e32 v24, v25, v24
	v_fma_f32 v25, v25, v23, -v27
	v_fmac_f32_e32 v24, v26, v23
	v_sub_f32_e32 v11, v11, v25
	v_sub_f32_e32 v12, v12, v24
.LBB66_982:
	s_or_b64 exec, exec, s[0:1]
	s_barrier
	s_and_saveexec_b64 s[0:1], s[52:53]
	s_cbranch_execz .LBB66_984
; %bb.983:
	v_mov_b32_e32 v23, 0
	ds_read_b64 v[23:24], v23
	s_waitcnt lgkmcnt(0)
	v_mul_f32_e32 v25, v12, v24
	v_mul_f32_e32 v26, v11, v24
	v_fma_f32 v11, v11, v23, -v25
	v_fmac_f32_e32 v26, v12, v23
	v_xor_b32_e32 v23, 0x80000000, v11
	v_xor_b32_e32 v24, 0x80000000, v26
	v_mov_b32_e32 v12, v26
	ds_write_b64 v22, v[23:24]
.LBB66_984:
	s_or_b64 exec, exec, s[0:1]
	s_waitcnt lgkmcnt(0)
	s_barrier
	s_barrier
	s_and_saveexec_b64 s[0:1], s[8:9]
; %bb.985:
	v_lshlrev_b32_e32 v20, 3, v20
	v_lshl_or_b32 v20, v21, 9, v20
	ds_write_b64 v20, v[11:12] offset:4096
; %bb.986:
	s_or_b64 exec, exec, s[0:1]
	s_waitcnt lgkmcnt(0)
	s_barrier
	s_barrier
	s_and_saveexec_b64 s[0:1], s[80:81]
	s_cbranch_execz .LBB66_988
; %bb.987:
	v_lshlrev_b32_e32 v20, 9, v0
	ds_read_b64 v[11:12], v20 offset:4096
	s_movk_i32 s8, 0xfe08
	v_mad_i32_i24 v21, v0, s8, v20
	s_waitcnt lgkmcnt(0)
	ds_write_b64 v21, v[11:12] offset:64
	ds_read_b64 v[11:12], v20 offset:4104
	s_waitcnt lgkmcnt(0)
	ds_write_b64 v21, v[11:12] offset:576
	ds_read_b64 v[11:12], v20 offset:4112
	;; [unrolled: 3-line block ×7, first 2 shown]
	s_waitcnt lgkmcnt(0)
	ds_write_b64 v21, v[11:12] offset:3648
.LBB66_988:
	s_or_b64 exec, exec, s[0:1]
	s_waitcnt lgkmcnt(0)
	s_barrier
	s_and_saveexec_b64 s[0:1], vcc
	s_cbranch_execz .LBB66_990
; %bb.989:
	v_mov_b32_e32 v11, 0
	v_add_u32_e64 v12, 48, 0
	ds_read2st64_b64 v[20:23], v12 offset0:6 offset1:7
	ds_read_b64 v[11:12], v11 offset:3640
	s_movk_i32 s8, 0x800
	s_waitcnt lgkmcnt(0)
	v_mul_f32_e32 v24, v12, v21
	v_mul_f32_e32 v21, v11, v21
	v_fma_f32 v24, v11, v20, -v24
	v_fmac_f32_e32 v21, v12, v20
	v_mul_f32_e32 v11, v21, v23
	v_mul_f32_e32 v12, v24, v23
	v_fma_f32 v11, v24, v22, -v11
	v_fmac_f32_e32 v12, v21, v22
	v_add_u32_e64 v20, s8, 0
	ds_write2_b64 v20, v[11:12], v[11:12] offset0:135 offset1:198
.LBB66_990:
	s_or_b64 exec, exec, s[0:1]
	v_mov_b32_e32 v11, 0
	v_mov_b32_e32 v12, 0
	s_waitcnt lgkmcnt(0)
	s_barrier
	buffer_wbinvl1_vol
	s_and_saveexec_b64 s[0:1], s[2:3]
	s_cbranch_execz .LBB66_994
; %bb.991:
	v_lshlrev_b32_e32 v11, 3, v13
	v_lshlrev_b32_e32 v20, 9, v14
	ds_read_b64 v[11:12], v11 offset:3104
	ds_read_b64 v[20:21], v20 offset:3120
	v_cmp_gt_u32_e64 s[8:9], 2, v16
	s_waitcnt lgkmcnt(0)
	v_mul_f32_e32 v22, v21, v12
	v_mul_f32_e32 v12, v20, v12
	v_fma_f32 v20, v20, v11, -v22
	v_fmac_f32_e32 v12, v21, v11
	v_add_f32_e32 v11, 0, v20
	v_add_f32_e32 v12, 0, v12
	s_and_saveexec_b64 s[10:11], s[8:9]
	s_cbranch_execz .LBB66_993
; %bb.992:
	v_lshlrev_b32_e32 v20, 3, v0
	v_mov_b32_e32 v22, 0
	ds_read_b64 v[20:21], v20 offset:3616
	ds_read_b64 v[22:23], v22 offset:3640
	s_waitcnt lgkmcnt(0)
	v_mul_f32_e32 v24, v23, v21
	v_mul_f32_e32 v21, v22, v21
	v_fma_f32 v22, v22, v20, -v24
	v_fmac_f32_e32 v21, v23, v20
	v_add_f32_e32 v11, v11, v22
	v_add_f32_e32 v12, v12, v21
.LBB66_993:
	s_or_b64 exec, exec, s[10:11]
.LBB66_994:
	s_or_b64 exec, exec, s[0:1]
	s_and_saveexec_b64 s[0:1], s[34:35]
	s_cbranch_execz .LBB66_996
; %bb.995:
	v_mov_b32_e32 v20, 0
	ds_read_b64 v[20:21], v20 offset:2600
	s_waitcnt lgkmcnt(0)
	v_mul_f32_e32 v22, v12, v21
	v_mul_f32_e32 v23, v11, v21
	v_fma_f32 v11, v11, v20, -v22
	v_fmac_f32_e32 v23, v12, v20
	v_xor_b32_e32 v20, 0x80000000, v11
	v_xor_b32_e32 v21, 0x80000000, v23
	v_mov_b32_e32 v12, v23
	ds_write_b64 v15, v[20:21]
.LBB66_996:
	s_or_b64 exec, exec, s[0:1]
	s_waitcnt lgkmcnt(0)
	s_barrier
	s_and_saveexec_b64 s[0:1], s[30:31]
	s_cbranch_execz .LBB66_998
; %bb.997:
	v_mov_b32_e32 v20, 0
	ds_read_b64 v[20:21], v20 offset:2592
	ds_read_b64 v[22:23], v15
	s_waitcnt lgkmcnt(0)
	v_mul_f32_e32 v24, v23, v21
	v_mul_f32_e32 v21, v22, v21
	v_fma_f32 v22, v22, v20, -v24
	v_fmac_f32_e32 v21, v23, v20
	v_sub_f32_e32 v11, v11, v22
	v_sub_f32_e32 v12, v12, v21
.LBB66_998:
	s_or_b64 exec, exec, s[0:1]
	s_barrier
	s_and_saveexec_b64 s[0:1], s[30:31]
	s_cbranch_execz .LBB66_1000
; %bb.999:
	v_mov_b32_e32 v20, 0
	ds_read_b64 v[20:21], v20 offset:2080
	s_waitcnt lgkmcnt(0)
	v_mul_f32_e32 v22, v12, v21
	v_mul_f32_e32 v23, v11, v21
	v_fma_f32 v11, v11, v20, -v22
	v_fmac_f32_e32 v23, v12, v20
	v_xor_b32_e32 v20, 0x80000000, v11
	v_xor_b32_e32 v21, 0x80000000, v23
	v_mov_b32_e32 v12, v23
	ds_write_b64 v15, v[20:21]
.LBB66_1000:
	s_or_b64 exec, exec, s[0:1]
	s_waitcnt lgkmcnt(0)
	s_barrier
	s_barrier
	s_and_saveexec_b64 s[0:1], s[2:3]
; %bb.1001:
	v_lshlrev_b32_e32 v20, 3, v13
	v_lshl_or_b32 v20, v14, 9, v20
	ds_write_b64 v20, v[11:12] offset:3104
; %bb.1002:
	s_or_b64 exec, exec, s[0:1]
	s_waitcnt lgkmcnt(0)
	s_barrier
	s_barrier
	s_and_saveexec_b64 s[0:1], s[36:37]
	s_cbranch_execz .LBB66_1004
; %bb.1003:
	v_lshlrev_b32_e32 v20, 3, v0
	s_movk_i32 s8, 0x1f8
	v_mad_u32_u24 v21, v0, s8, v20
	ds_read_b64 v[11:12], v21 offset:3104
	s_waitcnt lgkmcnt(0)
	ds_write_b64 v20, v[11:12] offset:2096
	ds_read_b64 v[11:12], v21 offset:3112
	s_waitcnt lgkmcnt(0)
	ds_write_b64 v20, v[11:12] offset:2608
.LBB66_1004:
	s_or_b64 exec, exec, s[0:1]
	s_waitcnt lgkmcnt(0)
	s_barrier
	s_and_saveexec_b64 s[0:1], vcc
	s_cbranch_execz .LBB66_1006
; %bb.1005:
	v_mov_b32_e32 v11, 0
	v_add_u32_e64 v12, 32, 0
	ds_read2st64_b64 v[20:23], v12 offset0:4 offset1:5
	ds_read_b64 v[11:12], v11 offset:2600
	s_movk_i32 s8, 0x800
	s_waitcnt lgkmcnt(0)
	v_mul_f32_e32 v24, v12, v21
	v_mul_f32_e32 v21, v11, v21
	v_fma_f32 v24, v11, v20, -v24
	v_fmac_f32_e32 v21, v12, v20
	v_mul_f32_e32 v11, v21, v23
	v_mul_f32_e32 v12, v24, v23
	v_fma_f32 v11, v24, v22, -v11
	v_fmac_f32_e32 v12, v21, v22
	v_add_u32_e64 v20, s8, 0
	ds_write2_b64 v20, v[11:12], v[11:12] offset0:5 offset1:68
.LBB66_1006:
	s_or_b64 exec, exec, s[0:1]
	v_mov_b32_e32 v12, 0
	v_mov_b32_e32 v11, 0
	s_waitcnt lgkmcnt(0)
	s_barrier
	buffer_wbinvl1_vol
	s_and_saveexec_b64 s[0:1], s[18:19]
	s_cbranch_execz .LBB66_1012
; %bb.1007:
	v_lshlrev_b32_e32 v20, 3, v17
	v_lshlrev_b32_e32 v21, 9, v18
	ds_read_b64 v[11:12], v20 offset:2048
	ds_read_b64 v[22:23], v21 offset:2080
	v_cmp_gt_u32_e64 s[8:9], 12, v16
	s_waitcnt lgkmcnt(0)
	v_mul_f32_e32 v24, v23, v12
	v_mul_f32_e32 v12, v22, v12
	v_fma_f32 v22, v22, v11, -v24
	v_fmac_f32_e32 v12, v23, v11
	v_add_f32_e32 v11, 0, v22
	v_add_f32_e32 v12, 0, v12
	s_and_saveexec_b64 s[10:11], s[8:9]
	s_cbranch_execnz .LBB66_1173
; %bb.1008:
	s_or_b64 exec, exec, s[10:11]
	v_cmp_gt_u32_e64 s[8:9], 8, v16
	s_and_saveexec_b64 s[10:11], s[8:9]
	s_cbranch_execnz .LBB66_1174
.LBB66_1009:
	s_or_b64 exec, exec, s[10:11]
	v_cmp_gt_u32_e64 s[8:9], 4, v16
	s_and_saveexec_b64 s[10:11], s[8:9]
	s_cbranch_execz .LBB66_1011
.LBB66_1010:
	v_lshlrev_b32_e32 v20, 3, v0
	v_mov_b32_e32 v22, 0
	ds_read_b64 v[20:21], v20 offset:3584
	ds_read_b64 v[22:23], v22 offset:3640
	s_waitcnt lgkmcnt(0)
	v_mul_f32_e32 v24, v23, v21
	v_mul_f32_e32 v21, v22, v21
	v_fma_f32 v22, v22, v20, -v24
	v_fmac_f32_e32 v21, v23, v20
	v_add_f32_e32 v11, v11, v22
	v_add_f32_e32 v12, v12, v21
.LBB66_1011:
	s_or_b64 exec, exec, s[10:11]
.LBB66_1012:
	s_or_b64 exec, exec, s[0:1]
	s_and_saveexec_b64 s[0:1], s[40:41]
	s_cbranch_execz .LBB66_1014
; %bb.1013:
	v_mov_b32_e32 v20, 0
	ds_read_b64 v[20:21], v20 offset:1560
	s_waitcnt lgkmcnt(0)
	v_mul_f32_e32 v22, v12, v21
	v_mul_f32_e32 v23, v11, v21
	v_fma_f32 v11, v11, v20, -v22
	v_fmac_f32_e32 v23, v12, v20
	v_xor_b32_e32 v20, 0x80000000, v11
	v_xor_b32_e32 v21, 0x80000000, v23
	v_mov_b32_e32 v12, v23
	ds_write_b64 v19, v[20:21]
.LBB66_1014:
	s_or_b64 exec, exec, s[0:1]
	s_waitcnt lgkmcnt(0)
	s_barrier
	s_and_saveexec_b64 s[0:1], s[42:43]
	v_readlane_b32 s40, v38, 0
	s_cbranch_execz .LBB66_1016
; %bb.1015:
	v_lshlrev_b32_e32 v20, 3, v17
	ds_read_b64 v[20:21], v20 offset:1536
	ds_read_b64 v[22:23], v19
	s_waitcnt lgkmcnt(0)
	v_mul_f32_e32 v24, v23, v21
	v_mul_f32_e32 v21, v22, v21
	v_fma_f32 v22, v22, v20, -v24
	v_fmac_f32_e32 v21, v23, v20
	v_sub_f32_e32 v11, v11, v22
	v_sub_f32_e32 v12, v12, v21
.LBB66_1016:
	s_or_b64 exec, exec, s[0:1]
	s_barrier
	s_and_saveexec_b64 s[0:1], s[44:45]
	s_cbranch_execz .LBB66_1018
; %bb.1017:
	v_mov_b32_e32 v20, 0
	ds_read_b64 v[20:21], v20 offset:1040
	s_waitcnt lgkmcnt(0)
	v_mul_f32_e32 v22, v12, v21
	v_mul_f32_e32 v23, v11, v21
	v_fma_f32 v11, v11, v20, -v22
	v_fmac_f32_e32 v23, v12, v20
	v_xor_b32_e32 v20, 0x80000000, v11
	v_xor_b32_e32 v21, 0x80000000, v23
	v_mov_b32_e32 v12, v23
	ds_write_b64 v19, v[20:21]
.LBB66_1018:
	s_or_b64 exec, exec, s[0:1]
	s_waitcnt lgkmcnt(0)
	s_barrier
	s_and_saveexec_b64 s[0:1], s[46:47]
	s_cbranch_execz .LBB66_1020
; %bb.1019:
	v_lshlrev_b32_e32 v20, 3, v17
	ds_read_b64 v[20:21], v20 offset:1024
	ds_read_b64 v[22:23], v19
	s_waitcnt lgkmcnt(0)
	v_mul_f32_e32 v24, v23, v21
	v_mul_f32_e32 v21, v22, v21
	v_fma_f32 v22, v22, v20, -v24
	v_fmac_f32_e32 v21, v23, v20
	v_sub_f32_e32 v11, v11, v22
	v_sub_f32_e32 v12, v12, v21
.LBB66_1020:
	s_or_b64 exec, exec, s[0:1]
	s_barrier
	s_and_saveexec_b64 s[0:1], s[48:49]
	s_cbranch_execz .LBB66_1022
; %bb.1021:
	v_mov_b32_e32 v20, 0
	ds_read_b64 v[20:21], v20 offset:520
	s_waitcnt lgkmcnt(0)
	v_mul_f32_e32 v22, v12, v21
	v_mul_f32_e32 v23, v11, v21
	v_fma_f32 v11, v11, v20, -v22
	v_fmac_f32_e32 v23, v12, v20
	v_xor_b32_e32 v20, 0x80000000, v11
	v_xor_b32_e32 v21, 0x80000000, v23
	v_mov_b32_e32 v12, v23
	ds_write_b64 v19, v[20:21]
.LBB66_1022:
	s_or_b64 exec, exec, s[0:1]
	s_waitcnt lgkmcnt(0)
	s_barrier
	s_and_saveexec_b64 s[0:1], s[38:39]
	s_cbranch_execz .LBB66_1024
; %bb.1023:
	v_mov_b32_e32 v20, 0
	ds_read_b64 v[20:21], v20 offset:512
	ds_read_b64 v[22:23], v19
	s_waitcnt lgkmcnt(0)
	v_mul_f32_e32 v24, v23, v21
	v_mul_f32_e32 v21, v22, v21
	v_fma_f32 v22, v22, v20, -v24
	v_fmac_f32_e32 v21, v23, v20
	v_sub_f32_e32 v11, v11, v22
	v_sub_f32_e32 v12, v12, v21
.LBB66_1024:
	s_or_b64 exec, exec, s[0:1]
	s_barrier
	s_and_saveexec_b64 s[0:1], s[38:39]
	s_cbranch_execz .LBB66_1026
; %bb.1025:
	v_mov_b32_e32 v20, 0
	ds_read_b64 v[20:21], v20
	s_waitcnt lgkmcnt(0)
	v_mul_f32_e32 v22, v12, v21
	v_mul_f32_e32 v23, v11, v21
	v_fma_f32 v11, v11, v20, -v22
	v_fmac_f32_e32 v23, v12, v20
	v_xor_b32_e32 v20, 0x80000000, v11
	v_xor_b32_e32 v21, 0x80000000, v23
	v_mov_b32_e32 v12, v23
	ds_write_b64 v19, v[20:21]
.LBB66_1026:
	s_or_b64 exec, exec, s[0:1]
	s_waitcnt lgkmcnt(0)
	s_barrier
	s_barrier
	s_and_saveexec_b64 s[0:1], s[18:19]
; %bb.1027:
	v_lshlrev_b32_e32 v17, 3, v17
	v_lshl_or_b32 v17, v18, 9, v17
	ds_write_b64 v17, v[11:12] offset:2048
; %bb.1028:
	s_or_b64 exec, exec, s[0:1]
	s_waitcnt lgkmcnt(0)
	s_barrier
	s_barrier
	s_and_saveexec_b64 s[0:1], s[50:51]
	s_cbranch_execz .LBB66_1030
; %bb.1029:
	v_lshlrev_b32_e32 v17, 9, v0
	ds_read_b64 v[11:12], v17 offset:2048
	s_movk_i32 s8, 0xfe08
	v_mad_i32_i24 v18, v0, s8, v17
	s_waitcnt lgkmcnt(0)
	ds_write_b64 v18, v[11:12] offset:32
	ds_read_b64 v[11:12], v17 offset:2056
	s_waitcnt lgkmcnt(0)
	ds_write_b64 v18, v[11:12] offset:544
	ds_read_b64 v[11:12], v17 offset:2064
	;; [unrolled: 3-line block ×3, first 2 shown]
	s_waitcnt lgkmcnt(0)
	ds_write_b64 v18, v[11:12] offset:1568
.LBB66_1030:
	s_or_b64 exec, exec, s[0:1]
	s_waitcnt lgkmcnt(0)
	s_barrier
	s_and_saveexec_b64 s[0:1], vcc
	s_cbranch_execz .LBB66_1032
; %bb.1031:
	v_mov_b32_e32 v21, 0
	ds_read2_b64 v[17:20], v21 offset0:130 offset1:194
	ds_read_b64 v[11:12], v21 offset:1560
	s_waitcnt lgkmcnt(0)
	v_mul_f32_e32 v22, v12, v18
	v_mul_f32_e32 v18, v11, v18
	v_fma_f32 v11, v11, v17, -v22
	v_fmac_f32_e32 v18, v12, v17
	v_mul_f32_e32 v17, v18, v20
	v_mul_f32_e32 v12, v11, v20
	v_fma_f32 v11, v11, v19, -v17
	v_fmac_f32_e32 v12, v18, v19
	ds_write2_b64 v21, v[11:12], v[11:12] offset0:131 offset1:194
.LBB66_1032:
	s_or_b64 exec, exec, s[0:1]
	v_mov_b32_e32 v11, 0
	v_mov_b32_e32 v12, 0
	s_waitcnt lgkmcnt(0)
	s_barrier
	buffer_wbinvl1_vol
	s_and_saveexec_b64 s[0:1], s[2:3]
	s_cbranch_execz .LBB66_1036
; %bb.1033:
	v_lshlrev_b32_e32 v11, 3, v13
	v_lshlrev_b32_e32 v17, 9, v14
	ds_read_b64 v[11:12], v11 offset:1024
	ds_read_b64 v[17:18], v17 offset:1040
	v_cmp_gt_u32_e64 s[8:9], 2, v16
	s_waitcnt lgkmcnt(0)
	v_mul_f32_e32 v19, v18, v12
	v_mul_f32_e32 v12, v17, v12
	v_fma_f32 v17, v17, v11, -v19
	v_fmac_f32_e32 v12, v18, v11
	v_add_f32_e32 v11, 0, v17
	v_add_f32_e32 v12, 0, v12
	s_and_saveexec_b64 s[10:11], s[8:9]
	s_cbranch_execz .LBB66_1035
; %bb.1034:
	v_lshlrev_b32_e32 v16, 3, v0
	v_mov_b32_e32 v18, 0
	ds_read_b64 v[16:17], v16 offset:1536
	ds_read_b64 v[18:19], v18 offset:1560
	s_waitcnt lgkmcnt(0)
	v_mul_f32_e32 v20, v19, v17
	v_mul_f32_e32 v17, v18, v17
	v_fma_f32 v18, v18, v16, -v20
	v_fmac_f32_e32 v17, v19, v16
	v_add_f32_e32 v11, v11, v18
	v_add_f32_e32 v12, v12, v17
.LBB66_1035:
	s_or_b64 exec, exec, s[10:11]
.LBB66_1036:
	s_or_b64 exec, exec, s[0:1]
	s_and_saveexec_b64 s[0:1], s[34:35]
	s_cbranch_execz .LBB66_1038
; %bb.1037:
	v_mov_b32_e32 v16, 0
	ds_read_b64 v[16:17], v16 offset:520
	s_waitcnt lgkmcnt(0)
	v_mul_f32_e32 v18, v12, v17
	v_mul_f32_e32 v19, v11, v17
	v_fma_f32 v11, v11, v16, -v18
	v_fmac_f32_e32 v19, v12, v16
	v_xor_b32_e32 v16, 0x80000000, v11
	v_xor_b32_e32 v17, 0x80000000, v19
	v_mov_b32_e32 v12, v19
	ds_write_b64 v15, v[16:17]
.LBB66_1038:
	s_or_b64 exec, exec, s[0:1]
	s_waitcnt lgkmcnt(0)
	s_barrier
	s_and_saveexec_b64 s[0:1], s[30:31]
	s_cbranch_execz .LBB66_1040
; %bb.1039:
	v_mov_b32_e32 v16, 0
	ds_read_b64 v[16:17], v16 offset:512
	ds_read_b64 v[18:19], v15
	s_waitcnt lgkmcnt(0)
	v_mul_f32_e32 v20, v19, v17
	v_mul_f32_e32 v17, v18, v17
	v_fma_f32 v18, v18, v16, -v20
	v_fmac_f32_e32 v17, v19, v16
	v_sub_f32_e32 v11, v11, v18
	v_sub_f32_e32 v12, v12, v17
.LBB66_1040:
	s_or_b64 exec, exec, s[0:1]
	s_barrier
	s_and_saveexec_b64 s[0:1], s[30:31]
	s_cbranch_execz .LBB66_1042
; %bb.1041:
	v_mov_b32_e32 v16, 0
	ds_read_b64 v[16:17], v16
	s_waitcnt lgkmcnt(0)
	v_mul_f32_e32 v18, v12, v17
	v_mul_f32_e32 v19, v11, v17
	v_fma_f32 v11, v11, v16, -v18
	v_fmac_f32_e32 v19, v12, v16
	v_xor_b32_e32 v16, 0x80000000, v11
	v_xor_b32_e32 v17, 0x80000000, v19
	v_mov_b32_e32 v12, v19
	ds_write_b64 v15, v[16:17]
.LBB66_1042:
	s_or_b64 exec, exec, s[0:1]
	s_waitcnt lgkmcnt(0)
	s_barrier
	s_barrier
	s_and_saveexec_b64 s[0:1], s[2:3]
; %bb.1043:
	v_lshlrev_b32_e32 v13, 3, v13
	v_lshl_or_b32 v13, v14, 9, v13
	ds_write_b64 v13, v[11:12] offset:1024
; %bb.1044:
	s_or_b64 exec, exec, s[0:1]
	s_waitcnt lgkmcnt(0)
	s_barrier
	s_barrier
	s_and_saveexec_b64 s[0:1], s[36:37]
	s_cbranch_execz .LBB66_1046
; %bb.1045:
	v_lshlrev_b32_e32 v13, 3, v0
	s_movk_i32 s2, 0x1f8
	v_mad_u32_u24 v14, v0, s2, v13
	ds_read_b64 v[11:12], v14 offset:1024
	s_waitcnt lgkmcnt(0)
	ds_write_b64 v13, v[11:12] offset:16
	ds_read_b64 v[11:12], v14 offset:1032
	s_waitcnt lgkmcnt(0)
	ds_write_b64 v13, v[11:12] offset:528
.LBB66_1046:
	s_or_b64 exec, exec, s[0:1]
	s_waitcnt lgkmcnt(0)
	s_barrier
	s_and_saveexec_b64 s[0:1], vcc
	s_cbranch_execz .LBB66_1048
; %bb.1047:
	v_mov_b32_e32 v17, 0
	ds_read2st64_b64 v[11:14], v17 offset1:1
	ds_read_b64 v[15:16], v17 offset:520
	s_waitcnt lgkmcnt(0)
	v_mul_f32_e32 v18, v16, v12
	v_mul_f32_e32 v19, v15, v12
	v_fma_f32 v15, v15, v11, -v18
	v_fmac_f32_e32 v19, v16, v11
	v_mul_f32_e32 v11, v19, v14
	v_mul_f32_e32 v12, v15, v14
	v_fma_f32 v11, v15, v13, -v11
	v_fmac_f32_e32 v12, v19, v13
	ds_write2_b64 v17, v[11:12], v[11:12] offset0:1 offset1:64
.LBB66_1048:
	s_or_b64 exec, exec, s[0:1]
.LBB66_1049:
	s_load_dwordx8 s[12:19], s[4:5], 0x30
	s_load_dwordx2 s[0:1], s[4:5], 0x50
	v_cmp_le_i32_e32 vcc, s26, v0
	v_mov_b32_e32 v11, 0
	v_add_u32_e32 v13, s33, v0
	s_waitcnt lgkmcnt(0)
	s_mul_i32 s3, s19, s28
	s_mul_hi_u32 s4, s18, s28
	s_mul_i32 s2, s18, s28
	s_add_i32 s3, s4, s3
	s_lshl_b64 s[2:3], s[2:3], 3
	s_add_u32 s4, s12, s2
	s_addc_u32 s5, s13, s3
	s_lshl_b64 s[2:3], s[14:15], 3
	s_add_u32 s30, s4, s2
	s_addc_u32 s31, s5, s3
	s_and_b64 s[14:15], vcc, s[22:23]
	v_cmp_eq_u32_e64 s[2:3], 0, v2
	s_xor_b64 s[4:5], s[14:15], -1
	s_and_b64 s[8:9], s[2:3], s[4:5]
	v_mov_b32_e32 v12, 0
	s_barrier
	s_and_saveexec_b64 s[4:5], s[8:9]
	s_cbranch_execz .LBB66_1051
; %bb.1050:
	v_ashrrev_i32_e32 v14, 31, v13
	v_mul_lo_u32 v15, s17, v13
	v_mad_u64_u32 v[11:12], s[8:9], s16, v13, 0
	v_mul_lo_u32 v14, s16, v14
	v_add3_u32 v12, v12, v14, v15
	v_lshlrev_b64 v[11:12], 3, v[11:12]
	v_mov_b32_e32 v14, s31
	v_add_co_u32_e32 v11, vcc, s30, v11
	v_addc_co_u32_e32 v12, vcc, v14, v12, vcc
	global_load_dwordx2 v[14:15], v[11:12], off
	s_waitcnt vmcnt(0)
	v_mul_f32_e32 v11, s20, v14
	v_mul_f32_e32 v12, s20, v15
	v_fma_f32 v11, s21, v15, -v11
	v_fma_f32 v12, v14, -s21, -v12
.LBB66_1051:
	s_or_b64 exec, exec, s[4:5]
	s_and_b32 s4, 0xffff, s83
	v_mad_u32_u24 v17, v2, s4, v0
	s_cmp_lt_i32 s6, 1
	v_cmp_eq_u32_e64 s[4:5], 0, v17
	s_cbranch_scc1 .LBB66_1086
; %bb.1052:
	v_mad_u64_u32 v[14:15], s[8:9], s24, v13, 0
	s_mov_b32 s24, 0
	v_cmp_gt_u32_e64 s[12:13], 64, v17
	v_mad_u64_u32 v[15:16], s[8:9], s25, v13, v[15:16]
	s_lshl_b64 s[8:9], s[28:29], 2
	s_add_u32 s18, s0, s8
	s_addc_u32 s19, s1, s9
	v_cmp_gt_i32_e64 s[8:9], s7, v13
	v_lshlrev_b64 v[13:14], 3, v[14:15]
	v_mov_b32_e32 v16, 0xa000
	v_mov_b32_e32 v15, s82
	v_add_co_u32_e32 v20, vcc, s27, v13
	v_lshl_add_u32 v18, v17, 3, v16
	v_lshl_or_b32 v19, v2, 3, v16
	s_add_i32 s25, s6, -1
	v_addc_co_u32_e32 v21, vcc, v15, v14, vcc
	v_mov_b32_e32 v22, -1
	v_mov_b32_e32 v14, 0
	s_branch .LBB66_1055
.LBB66_1053:                            ;   in Loop: Header=BB66_1055 Depth=1
	ds_read_b64 v[15:16], v19 offset:384
	s_waitcnt vmcnt(0) lgkmcnt(0)
	v_mul_f32_e32 v24, v23, v16
	v_mul_f32_e32 v23, v23, v15
	v_fmac_f32_e32 v24, v13, v15
	v_fma_f32 v13, v13, v16, -v23
	v_add_f32_e32 v11, v11, v24
	v_add_f32_e32 v12, v12, v13
.LBB66_1054:                            ;   in Loop: Header=BB66_1055 Depth=1
	s_or_b64 exec, exec, s[20:21]
	s_add_i32 s24, s24, 1
	s_cmp_eq_u32 s24, s6
	s_cbranch_scc1 .LBB66_1086
.LBB66_1055:                            ; =>This Loop Header: Depth=1
                                        ;     Child Loop BB66_1057 Depth 2
	v_cmp_gt_i32_e32 vcc, s24, v22
	s_and_b64 s[20:21], s[4:5], vcc
	s_and_saveexec_b64 s[10:11], s[20:21]
	s_cbranch_execz .LBB66_1058
; %bb.1056:                             ;   in Loop: Header=BB66_1055 Depth=1
	global_load_dword v22, v14, s[18:19]
	s_waitcnt vmcnt(0)
	v_cmp_le_i32_e32 vcc, s24, v22
	s_cbranch_vccnz .LBB66_1058
.LBB66_1057:                            ;   Parent Loop BB66_1055 Depth=1
                                        ; =>  This Inner Loop Header: Depth=2
	buffer_wbinvl1_vol
	global_load_dword v22, v14, s[18:19]
	s_waitcnt vmcnt(0)
	v_cmp_gt_i32_e32 vcc, s24, v22
	s_cbranch_vccnz .LBB66_1057
.LBB66_1058:                            ;   in Loop: Header=BB66_1055 Depth=1
	s_or_b64 exec, exec, s[10:11]
	s_lshl_b32 s27, s24, 6
	buffer_wbinvl1_vol
	s_barrier
	s_and_saveexec_b64 s[10:11], s[12:13]
	s_cbranch_execz .LBB66_1063
; %bb.1059:                             ;   in Loop: Header=BB66_1055 Depth=1
	v_or_b32_e32 v13, s27, v17
	v_cmp_le_i32_e32 vcc, s7, v13
	s_and_saveexec_b64 s[20:21], vcc
	s_xor_b64 s[20:21], exec, s[20:21]
; %bb.1060:                             ;   in Loop: Header=BB66_1055 Depth=1
	v_mov_b32_e32 v13, v14
	ds_write_b64 v18, v[13:14]
                                        ; implicit-def: $vgpr13
; %bb.1061:                             ;   in Loop: Header=BB66_1055 Depth=1
	s_andn2_saveexec_b64 s[20:21], s[20:21]
	s_cbranch_execz .LBB66_1063
; %bb.1062:                             ;   in Loop: Header=BB66_1055 Depth=1
	v_mad_u64_u32 v[15:16], s[20:21], s16, v13, 0
	v_mad_u64_u32 v[23:24], s[20:21], s17, v13, v[16:17]
	v_mov_b32_e32 v13, s31
	v_mov_b32_e32 v16, v23
	v_lshlrev_b64 v[15:16], 3, v[15:16]
	v_add_co_u32_e32 v15, vcc, s30, v15
	v_addc_co_u32_e32 v16, vcc, v13, v16, vcc
	global_load_dwordx2 v[15:16], v[15:16], off
	s_waitcnt vmcnt(0)
	ds_write_b64 v18, v[15:16]
.LBB66_1063:                            ;   in Loop: Header=BB66_1055 Depth=1
	s_or_b64 exec, exec, s[10:11]
	v_add_u32_e32 v13, s27, v2
	v_lshlrev_b64 v[15:16], 3, v[13:14]
	s_cmp_lg_u32 s24, s25
	v_add_co_u32_e32 v15, vcc, v20, v15
	s_cselect_b64 s[10:11], -1, 0
	v_addc_co_u32_e32 v16, vcc, v21, v16, vcc
	v_cmp_gt_i32_e32 vcc, s7, v13
	v_cndmask_b32_e64 v23, 0, 1, s[10:11]
	s_and_b64 s[34:35], vcc, s[8:9]
	v_cmp_ne_u32_e64 s[10:11], 1, v23
	s_waitcnt lgkmcnt(0)
	s_barrier
	s_and_saveexec_b64 s[20:21], s[34:35]
	s_cbranch_execz .LBB66_1069
; %bb.1064:                             ;   in Loop: Header=BB66_1055 Depth=1
	s_and_b64 vcc, exec, s[10:11]
	v_mov_b32_e32 v23, v5
	s_cbranch_vccnz .LBB66_1066
; %bb.1065:                             ;   in Loop: Header=BB66_1055 Depth=1
	global_load_dword v23, v[15:16], off
.LBB66_1066:                            ;   in Loop: Header=BB66_1055 Depth=1
	s_and_b64 vcc, exec, s[10:11]
	v_mov_b32_e32 v24, v6
	s_cbranch_vccnz .LBB66_1068
; %bb.1067:                             ;   in Loop: Header=BB66_1055 Depth=1
	global_load_dword v24, v[15:16], off offset:4
.LBB66_1068:                            ;   in Loop: Header=BB66_1055 Depth=1
	ds_read_b64 v[25:26], v19
	s_waitcnt vmcnt(0) lgkmcnt(0)
	v_mul_f32_e32 v27, v24, v26
	v_mul_f32_e32 v24, v24, v25
	v_fmac_f32_e32 v27, v23, v25
	v_fma_f32 v23, v23, v26, -v24
	v_add_f32_e32 v11, v11, v27
	v_add_f32_e32 v12, v12, v23
.LBB66_1069:                            ;   in Loop: Header=BB66_1055 Depth=1
	s_or_b64 exec, exec, s[20:21]
	v_add_u32_e32 v23, 16, v13
	v_cmp_gt_i32_e32 vcc, s7, v23
	s_and_b64 s[34:35], vcc, s[8:9]
	s_and_saveexec_b64 s[20:21], s[34:35]
	s_cbranch_execz .LBB66_1075
; %bb.1070:                             ;   in Loop: Header=BB66_1055 Depth=1
	s_and_b64 vcc, exec, s[10:11]
	v_mov_b32_e32 v23, v3
	s_cbranch_vccnz .LBB66_1072
; %bb.1071:                             ;   in Loop: Header=BB66_1055 Depth=1
	global_load_dword v23, v[15:16], off offset:128
.LBB66_1072:                            ;   in Loop: Header=BB66_1055 Depth=1
	s_and_b64 vcc, exec, s[10:11]
	v_mov_b32_e32 v24, v4
	s_cbranch_vccnz .LBB66_1074
; %bb.1073:                             ;   in Loop: Header=BB66_1055 Depth=1
	global_load_dword v24, v[15:16], off offset:132
.LBB66_1074:                            ;   in Loop: Header=BB66_1055 Depth=1
	ds_read_b64 v[25:26], v19 offset:128
	s_waitcnt vmcnt(0) lgkmcnt(0)
	v_mul_f32_e32 v27, v24, v26
	v_mul_f32_e32 v24, v24, v25
	v_fmac_f32_e32 v27, v23, v25
	v_fma_f32 v23, v23, v26, -v24
	v_add_f32_e32 v11, v11, v27
	v_add_f32_e32 v12, v12, v23
.LBB66_1075:                            ;   in Loop: Header=BB66_1055 Depth=1
	s_or_b64 exec, exec, s[20:21]
	v_add_u32_e32 v23, 32, v13
	v_cmp_gt_i32_e32 vcc, s7, v23
	s_and_b64 s[34:35], vcc, s[8:9]
	s_and_saveexec_b64 s[20:21], s[34:35]
	s_cbranch_execz .LBB66_1081
; %bb.1076:                             ;   in Loop: Header=BB66_1055 Depth=1
	s_and_b64 vcc, exec, s[10:11]
	v_mov_b32_e32 v23, v9
	s_cbranch_vccnz .LBB66_1078
; %bb.1077:                             ;   in Loop: Header=BB66_1055 Depth=1
	global_load_dword v23, v[15:16], off offset:256
.LBB66_1078:                            ;   in Loop: Header=BB66_1055 Depth=1
	s_and_b64 vcc, exec, s[10:11]
	v_mov_b32_e32 v24, v10
	s_cbranch_vccnz .LBB66_1080
; %bb.1079:                             ;   in Loop: Header=BB66_1055 Depth=1
	global_load_dword v24, v[15:16], off offset:260
.LBB66_1080:                            ;   in Loop: Header=BB66_1055 Depth=1
	ds_read_b64 v[25:26], v19 offset:256
	s_waitcnt vmcnt(0) lgkmcnt(0)
	v_mul_f32_e32 v27, v24, v26
	v_mul_f32_e32 v24, v24, v25
	v_fmac_f32_e32 v27, v23, v25
	v_fma_f32 v23, v23, v26, -v24
	v_add_f32_e32 v11, v11, v27
	v_add_f32_e32 v12, v12, v23
.LBB66_1081:                            ;   in Loop: Header=BB66_1055 Depth=1
	s_or_b64 exec, exec, s[20:21]
	v_add_u32_e32 v13, 48, v13
	v_cmp_gt_i32_e32 vcc, s7, v13
	s_and_b64 s[34:35], vcc, s[8:9]
	s_and_saveexec_b64 s[20:21], s[34:35]
	s_cbranch_execz .LBB66_1054
; %bb.1082:                             ;   in Loop: Header=BB66_1055 Depth=1
	s_and_b64 vcc, exec, s[10:11]
	v_mov_b32_e32 v13, v7
	s_cbranch_vccnz .LBB66_1084
; %bb.1083:                             ;   in Loop: Header=BB66_1055 Depth=1
	global_load_dword v13, v[15:16], off offset:384
.LBB66_1084:                            ;   in Loop: Header=BB66_1055 Depth=1
	s_and_b64 vcc, exec, s[10:11]
	v_mov_b32_e32 v23, v8
	s_cbranch_vccnz .LBB66_1053
; %bb.1085:                             ;   in Loop: Header=BB66_1055 Depth=1
	global_load_dword v23, v[15:16], off offset:388
	s_branch .LBB66_1053
.LBB66_1086:
	s_xor_b64 s[4:5], s[22:23], -1
	v_lshlrev_b32_e32 v1, 3, v1
	ds_write_b64 v1, v[11:12] offset:32768
	s_waitcnt lgkmcnt(0)
	s_barrier
	s_and_saveexec_b64 s[6:7], s[2:3]
	s_cbranch_execz .LBB66_1088
; %bb.1087:
	v_lshlrev_b32_e32 v15, 3, v0
	ds_read2st64_b64 v[3:6], v15 offset0:65 offset1:66
	ds_read2st64_b64 v[7:10], v15 offset0:67 offset1:68
	ds_read_b64 v[13:14], v15 offset:40448
	s_waitcnt lgkmcnt(2)
	v_add_f32_e32 v3, v11, v3
	v_add_f32_e32 v4, v12, v4
	;; [unrolled: 1-line block ×4, first 2 shown]
	ds_read2st64_b64 v[3:6], v15 offset0:69 offset1:70
	s_waitcnt lgkmcnt(2)
	v_add_f32_e32 v7, v11, v7
	v_add_f32_e32 v8, v12, v8
	;; [unrolled: 1-line block ×4, first 2 shown]
	s_waitcnt lgkmcnt(0)
	v_add_f32_e32 v3, v7, v3
	ds_read2st64_b64 v[7:10], v15 offset0:71 offset1:72
	v_add_f32_e32 v4, v11, v4
	v_add_f32_e32 v11, v3, v5
	;; [unrolled: 1-line block ×3, first 2 shown]
	ds_read2st64_b64 v[3:6], v15 offset0:73 offset1:74
	s_waitcnt lgkmcnt(1)
	v_add_f32_e32 v7, v11, v7
	v_add_f32_e32 v8, v12, v8
	;; [unrolled: 1-line block ×4, first 2 shown]
	s_waitcnt lgkmcnt(0)
	v_add_f32_e32 v3, v7, v3
	ds_read2st64_b64 v[7:10], v15 offset0:75 offset1:76
	v_add_f32_e32 v4, v11, v4
	v_add_f32_e32 v11, v3, v5
	;; [unrolled: 1-line block ×3, first 2 shown]
	ds_read2st64_b64 v[3:6], v15 offset0:77 offset1:78
	s_waitcnt lgkmcnt(1)
	v_add_f32_e32 v7, v11, v7
	v_add_f32_e32 v8, v12, v8
	v_add_f32_e32 v7, v7, v9
	v_add_f32_e32 v8, v8, v10
	s_waitcnt lgkmcnt(0)
	v_add_f32_e32 v3, v7, v3
	v_add_f32_e32 v4, v8, v4
	;; [unrolled: 1-line block ×6, first 2 shown]
	v_cndmask_b32_e64 v11, -v3, 0, s[14:15]
	v_cndmask_b32_e64 v12, -v4, 0, s[14:15]
.LBB66_1088:
	s_or_b64 exec, exec, s[6:7]
	s_and_b64 vcc, exec, s[54:55]
	s_cbranch_vccnz .LBB66_1101
; %bb.1089:
	v_mov_b32_e32 v3, 0xa000
	v_lshl_or_b32 v5, v2, 3, v3
	s_and_saveexec_b64 s[6:7], s[2:3]
; %bb.1090:
	v_lshl_add_u32 v3, v0, 3, v5
	ds_write_b64 v3, v[11:12]
; %bb.1091:
	s_or_b64 exec, exec, s[6:7]
	v_cmp_le_u32_e32 vcc, v2, v0
	v_mov_b32_e32 v3, 0
	v_mov_b32_e32 v4, 0
	s_waitcnt lgkmcnt(0)
	s_barrier
	s_and_saveexec_b64 s[6:7], vcc
	s_cbranch_execz .LBB66_1093
; %bb.1092:
	ds_read_b64 v[3:4], v1
	ds_read_b64 v[6:7], v5
	s_waitcnt lgkmcnt(0)
	v_mul_f32_e32 v8, v7, v4
	v_mul_f32_e32 v4, v6, v4
	v_fma_f32 v6, v6, v3, -v8
	v_fmac_f32_e32 v4, v7, v3
	v_add_f32_e32 v3, 0, v6
	v_add_f32_e32 v4, 0, v4
.LBB66_1093:
	s_or_b64 exec, exec, s[6:7]
	v_add_u32_e32 v6, 16, v2
	v_cmp_ge_u32_e32 vcc, v0, v6
	s_and_saveexec_b64 s[6:7], vcc
	s_cbranch_execz .LBB66_1095
; %bb.1094:
	ds_read_b64 v[6:7], v1 offset:8192
	ds_read_b64 v[8:9], v5 offset:128
	s_waitcnt lgkmcnt(0)
	v_mul_f32_e32 v10, v9, v7
	v_mul_f32_e32 v7, v8, v7
	v_fma_f32 v8, v8, v6, -v10
	v_fmac_f32_e32 v7, v9, v6
	v_add_f32_e32 v3, v3, v8
	v_add_f32_e32 v4, v4, v7
.LBB66_1095:
	s_or_b64 exec, exec, s[6:7]
	v_add_u32_e32 v6, 32, v2
	v_cmp_ge_u32_e32 vcc, v0, v6
	s_and_saveexec_b64 s[6:7], vcc
	s_cbranch_execz .LBB66_1097
; %bb.1096:
	ds_read_b64 v[6:7], v1 offset:16384
	ds_read_b64 v[8:9], v5 offset:256
	s_waitcnt lgkmcnt(0)
	v_mul_f32_e32 v10, v9, v7
	v_mul_f32_e32 v7, v8, v7
	v_fma_f32 v8, v8, v6, -v10
	v_fmac_f32_e32 v7, v9, v6
	v_add_f32_e32 v3, v3, v8
	v_add_f32_e32 v4, v4, v7
.LBB66_1097:
	s_or_b64 exec, exec, s[6:7]
	v_add_u32_e32 v2, 48, v2
	v_add_u32_e32 v6, 0x8000, v1
	v_cmp_ge_u32_e32 vcc, v0, v2
	s_and_saveexec_b64 s[6:7], vcc
	s_cbranch_execz .LBB66_1099
; %bb.1098:
	ds_read_b64 v[1:2], v1 offset:24576
	ds_read_b64 v[7:8], v5 offset:384
	s_waitcnt lgkmcnt(0)
	v_mul_f32_e32 v5, v8, v2
	v_mul_f32_e32 v2, v7, v2
	v_fma_f32 v5, v7, v1, -v5
	v_fmac_f32_e32 v2, v8, v1
	v_add_f32_e32 v3, v3, v5
	v_add_f32_e32 v4, v4, v2
.LBB66_1099:
	s_or_b64 exec, exec, s[6:7]
	s_mov_b64 s[8:9], 0
	s_mov_b64 s[6:7], 0
	ds_write_b64 v6, v[3:4]
	s_waitcnt lgkmcnt(0)
	s_barrier
                                        ; implicit-def: $vgpr5
                                        ; implicit-def: $vgpr6
                                        ; implicit-def: $vgpr1_vgpr2
	s_and_saveexec_b64 s[10:11], s[2:3]
	s_cbranch_execz .LBB66_1114
; %bb.1100:
	v_lshlrev_b32_e32 v18, 3, v0
	ds_read2st64_b64 v[5:8], v18 offset0:65 offset1:66
	ds_read2st64_b64 v[13:16], v18 offset0:67 offset1:68
	ds_read_b64 v[9:10], v18 offset:40448
	s_mov_b64 s[6:7], exec
	s_waitcnt lgkmcnt(2)
	v_add_f32_e32 v1, v3, v5
	v_add_f32_e32 v2, v4, v6
	;; [unrolled: 1-line block ×4, first 2 shown]
	ds_read2st64_b64 v[1:4], v18 offset0:69 offset1:70
	s_waitcnt lgkmcnt(2)
	v_add_f32_e32 v5, v5, v13
	v_add_f32_e32 v6, v6, v14
	;; [unrolled: 1-line block ×4, first 2 shown]
	s_waitcnt lgkmcnt(0)
	v_add_f32_e32 v1, v5, v1
	ds_read2st64_b64 v[5:8], v18 offset0:71 offset1:72
	v_add_f32_e32 v2, v13, v2
	v_add_f32_e32 v13, v1, v3
	;; [unrolled: 1-line block ×3, first 2 shown]
	ds_read2st64_b64 v[1:4], v18 offset0:73 offset1:74
	s_waitcnt lgkmcnt(1)
	v_add_f32_e32 v5, v13, v5
	v_add_f32_e32 v6, v14, v6
	;; [unrolled: 1-line block ×4, first 2 shown]
	s_waitcnt lgkmcnt(0)
	v_add_f32_e32 v1, v5, v1
	ds_read2st64_b64 v[5:8], v18 offset0:75 offset1:76
	v_add_f32_e32 v2, v13, v2
	v_add_f32_e32 v1, v1, v3
	;; [unrolled: 1-line block ×3, first 2 shown]
	ds_read2st64_b64 v[13:16], v18 offset0:77 offset1:78
	s_waitcnt lgkmcnt(1)
	v_add_f32_e32 v1, v1, v5
	v_add_f32_e32 v2, v2, v6
	v_add_u32_e32 v5, s33, v17
	v_add_f32_e32 v3, v1, v7
	v_add_f32_e32 v4, v2, v8
	v_mad_u64_u32 v[1:2], s[12:13], s16, v5, 0
	s_waitcnt lgkmcnt(0)
	v_add_f32_e32 v3, v3, v13
	v_add_f32_e32 v6, v3, v15
	v_mad_u64_u32 v[2:3], s[12:13], s17, v5, v[2:3]
	v_add_f32_e32 v4, v4, v14
	v_add_f32_e32 v3, v4, v16
	;; [unrolled: 1-line block ×4, first 2 shown]
	s_or_b64 exec, exec, s[10:11]
	s_and_b64 vcc, exec, s[8:9]
	s_cbranch_vccnz .LBB66_1102
	s_branch .LBB66_1115
.LBB66_1101:
	s_mov_b64 s[6:7], 0
                                        ; implicit-def: $vgpr5
                                        ; implicit-def: $vgpr6
                                        ; implicit-def: $vgpr1_vgpr2
	s_cbranch_execz .LBB66_1115
.LBB66_1102:
	v_mul_u32_u24_e32 v1, 0x208, v0
	v_lshlrev_b32_e32 v2, 9, v0
	v_sub_u32_e32 v2, v1, v2
	s_mov_b32 s10, 0
	v_mov_b32_e32 v3, 0
	v_mov_b32_e32 v4, v0
	s_branch .LBB66_1104
.LBB66_1103:                            ;   in Loop: Header=BB66_1104 Depth=1
	s_or_b64 exec, exec, s[8:9]
	s_add_i32 s10, s10, 2
	v_add_u32_e32 v2, 0x400, v2
	s_cmp_lg_u32 s10, 64
	v_add_u32_e32 v4, -2, v4
	s_barrier
	s_cbranch_scc0 .LBB66_1112
.LBB66_1104:                            ; =>This Inner Loop Header: Depth=1
	v_cmp_eq_u32_e32 vcc, 0, v4
	s_and_b64 s[12:13], s[2:3], vcc
	s_and_saveexec_b64 s[8:9], s[12:13]
	s_cbranch_execz .LBB66_1106
; %bb.1105:                             ;   in Loop: Header=BB66_1104 Depth=1
	ds_read_b64 v[5:6], v1
	s_waitcnt lgkmcnt(0)
	v_mul_f32_e32 v8, v12, v6
	v_mul_f32_e32 v7, v11, v6
	v_fma_f32 v6, v11, v5, -v8
	v_fmac_f32_e32 v7, v12, v5
	v_mov_b32_e32 v11, v6
	v_mov_b32_e32 v12, v7
	ds_write_b64 v3, v[6:7] offset:41472
.LBB66_1106:                            ;   in Loop: Header=BB66_1104 Depth=1
	s_or_b64 exec, exec, s[8:9]
	v_cmp_lt_u32_e32 vcc, s10, v0
	s_and_b64 s[12:13], s[2:3], vcc
	s_waitcnt lgkmcnt(0)
	s_barrier
	s_and_saveexec_b64 s[8:9], s[12:13]
	s_cbranch_execz .LBB66_1108
; %bb.1107:                             ;   in Loop: Header=BB66_1104 Depth=1
	ds_read_b64 v[5:6], v2
	ds_read_b64 v[7:8], v3 offset:41472
	s_waitcnt lgkmcnt(0)
	v_mul_f32_e32 v9, v8, v6
	v_mul_f32_e32 v6, v7, v6
	v_fma_f32 v7, v7, v5, -v9
	v_fmac_f32_e32 v6, v8, v5
	v_add_f32_e32 v11, v11, v7
	v_add_f32_e32 v12, v12, v6
.LBB66_1108:                            ;   in Loop: Header=BB66_1104 Depth=1
	s_or_b64 exec, exec, s[8:9]
	s_or_b32 s11, s10, 1
	v_cmp_eq_u32_e32 vcc, s11, v0
	s_and_b64 s[12:13], s[2:3], vcc
	s_barrier
	s_and_saveexec_b64 s[8:9], s[12:13]
	s_cbranch_execz .LBB66_1110
; %bb.1109:                             ;   in Loop: Header=BB66_1104 Depth=1
	ds_read_b64 v[5:6], v1
	s_waitcnt lgkmcnt(0)
	v_mul_f32_e32 v8, v12, v6
	v_mul_f32_e32 v7, v11, v6
	v_fma_f32 v6, v11, v5, -v8
	v_fmac_f32_e32 v7, v12, v5
	v_mov_b32_e32 v11, v6
	v_mov_b32_e32 v12, v7
	ds_write_b64 v3, v[6:7] offset:41472
.LBB66_1110:                            ;   in Loop: Header=BB66_1104 Depth=1
	s_or_b64 exec, exec, s[8:9]
	v_cmp_lt_u32_e32 vcc, s11, v0
	s_and_b64 s[12:13], s[2:3], vcc
	s_waitcnt lgkmcnt(0)
	s_barrier
	s_and_saveexec_b64 s[8:9], s[12:13]
	s_cbranch_execz .LBB66_1103
; %bb.1111:                             ;   in Loop: Header=BB66_1104 Depth=1
	ds_read_b64 v[5:6], v2 offset:512
	ds_read_b64 v[7:8], v3 offset:41472
	s_waitcnt lgkmcnt(0)
	v_mul_f32_e32 v9, v8, v6
	v_mul_f32_e32 v6, v7, v6
	v_fma_f32 v7, v7, v5, -v9
	v_fmac_f32_e32 v6, v8, v5
	v_add_f32_e32 v11, v11, v7
	v_add_f32_e32 v12, v12, v6
	s_branch .LBB66_1103
.LBB66_1112:
	s_and_b64 vcc, exec, s[4:5]
	s_cbranch_vccz .LBB66_1116
; %bb.1113:
	s_and_b64 s[4:5], s[2:3], exec
	s_cbranch_execz .LBB66_1117
	s_branch .LBB66_1118
.LBB66_1114:
	s_or_b64 exec, exec, s[10:11]
	s_and_b64 vcc, exec, s[8:9]
	s_cbranch_vccnz .LBB66_1102
.LBB66_1115:
	v_mov_b32_e32 v12, v5
	v_mov_b32_e32 v11, v6
	s_and_saveexec_b64 s[2:3], s[6:7]
	s_cbranch_execnz .LBB66_1121
	s_branch .LBB66_1122
.LBB66_1116:
	s_mov_b64 s[4:5], 0
.LBB66_1117:
	v_cmp_gt_i32_e32 vcc, s26, v0
	s_and_b64 s[2:3], s[2:3], vcc
	s_andn2_b64 s[4:5], s[4:5], exec
	s_and_b64 s[2:3], s[2:3], exec
	s_or_b64 s[4:5], s[4:5], s[2:3]
.LBB66_1118:
                                        ; implicit-def: $vgpr1_vgpr2
	s_and_saveexec_b64 s[2:3], s[4:5]
	s_cbranch_execz .LBB66_1120
; %bb.1119:
	v_mov_b32_e32 v0, s40
	v_add_co_u32_e32 v1, vcc, s33, v17
	v_addc_co_u32_e32 v0, vcc, 0, v0, vcc
	v_mul_lo_u32 v0, v0, s16
	v_mul_lo_u32 v3, v1, s17
	v_mad_u64_u32 v[1:2], s[4:5], v1, s16, 0
	s_or_b64 s[6:7], s[6:7], exec
	v_add3_u32 v2, v2, v3, v0
.LBB66_1120:
	s_or_b64 exec, exec, s[2:3]
	s_and_saveexec_b64 s[2:3], s[6:7]
	s_cbranch_execz .LBB66_1122
.LBB66_1121:
	v_lshlrev_b64 v[0:1], 3, v[1:2]
	v_mov_b32_e32 v2, s31
	v_add_co_u32_e32 v0, vcc, s30, v0
	v_addc_co_u32_e32 v1, vcc, v2, v1, vcc
	global_store_dwordx2 v[0:1], v[11:12], off
.LBB66_1122:
	s_or_b64 exec, exec, s[2:3]
	v_cmp_eq_u32_e32 vcc, 0, v17
	s_waitcnt vmcnt(0)
	buffer_wbinvl1_vol
	s_barrier
	s_and_saveexec_b64 s[2:3], vcc
	s_cbranch_execz .LBB66_1124
; %bb.1123:
	s_lshl_b64 s[4:5], s[28:29], 2
	s_add_u32 s0, s0, s4
	s_addc_u32 s1, s1, s5
	v_mov_b32_e32 v0, 0
	global_load_dword v1, v0, s[0:1]
	s_waitcnt vmcnt(0)
	v_add_u32_e32 v1, 1, v1
	global_store_dword v0, v1, s[0:1]
.LBB66_1124:
	s_or_b64 exec, exec, s[2:3]
	s_waitcnt vmcnt(0)
	buffer_wbinvl1_vol
	s_endpgm
.LBB66_1125:
	ds_read_b64 v[22:23], v20 offset:31680
	ds_read_b64 v[24:25], v21 offset:31208
	s_waitcnt lgkmcnt(0)
	v_mul_f32_e32 v26, v25, v23
	v_mul_f32_e32 v23, v24, v23
	v_fma_f32 v24, v24, v22, -v26
	v_fmac_f32_e32 v23, v25, v22
	v_add_f32_e32 v11, v11, v24
	v_add_f32_e32 v12, v12, v23
	s_or_b64 exec, exec, s[14:15]
	v_cmp_gt_u32_e64 s[10:11], 8, v16
	s_and_saveexec_b64 s[14:15], s[10:11]
	s_cbranch_execz .LBB66_149
.LBB66_1126:
	ds_read_b64 v[22:23], v20 offset:32192
	ds_read_b64 v[20:21], v21 offset:31216
	s_waitcnt lgkmcnt(0)
	v_mul_f32_e32 v24, v21, v23
	v_mul_f32_e32 v23, v20, v23
	v_fma_f32 v20, v20, v22, -v24
	v_fmac_f32_e32 v23, v21, v22
	v_add_f32_e32 v11, v11, v20
	v_add_f32_e32 v12, v12, v23
	s_or_b64 exec, exec, s[14:15]
	v_cmp_gt_u32_e64 s[10:11], 4, v16
	s_and_saveexec_b64 s[14:15], s[10:11]
	s_cbranch_execnz .LBB66_150
	s_branch .LBB66_151
.LBB66_1127:
	ds_read_b64 v[25:26], v23 offset:29568
	ds_read_b64 v[27:28], v24 offset:29128
	s_waitcnt lgkmcnt(0)
	v_mul_f32_e32 v29, v28, v26
	v_mul_f32_e32 v26, v27, v26
	v_fma_f32 v27, v27, v25, -v29
	v_fmac_f32_e32 v26, v28, v25
	v_add_f32_e32 v11, v11, v27
	v_add_f32_e32 v12, v12, v26
	s_or_b64 exec, exec, s[16:17]
	v_cmp_gt_u32_e64 s[14:15], 48, v16
	s_and_saveexec_b64 s[16:17], s[14:15]
	s_cbranch_execz .LBB66_191
.LBB66_1128:
	ds_read_b64 v[25:26], v23 offset:30080
	ds_read_b64 v[27:28], v24 offset:29136
	s_waitcnt lgkmcnt(0)
	v_mul_f32_e32 v29, v28, v26
	v_mul_f32_e32 v26, v27, v26
	v_fma_f32 v27, v27, v25, -v29
	v_fmac_f32_e32 v26, v28, v25
	v_add_f32_e32 v11, v11, v27
	v_add_f32_e32 v12, v12, v26
	s_or_b64 exec, exec, s[16:17]
	v_cmp_gt_u32_e64 s[14:15], 40, v16
	s_and_saveexec_b64 s[16:17], s[14:15]
	s_cbranch_execz .LBB66_192
.LBB66_1129:
	ds_read_b64 v[25:26], v23 offset:30592
	ds_read_b64 v[27:28], v24 offset:29144
	s_waitcnt lgkmcnt(0)
	v_mul_f32_e32 v29, v28, v26
	v_mul_f32_e32 v26, v27, v26
	v_fma_f32 v27, v27, v25, -v29
	v_fmac_f32_e32 v26, v28, v25
	v_add_f32_e32 v11, v11, v27
	v_add_f32_e32 v12, v12, v26
	s_or_b64 exec, exec, s[16:17]
	v_cmp_gt_u32_e64 s[14:15], 32, v16
	s_and_saveexec_b64 s[16:17], s[14:15]
	s_cbranch_execz .LBB66_193
.LBB66_1130:
	ds_read_b64 v[25:26], v23 offset:31104
	ds_read_b64 v[27:28], v24 offset:29152
	s_waitcnt lgkmcnt(0)
	v_mul_f32_e32 v29, v28, v26
	v_mul_f32_e32 v26, v27, v26
	v_fma_f32 v27, v27, v25, -v29
	v_fmac_f32_e32 v26, v28, v25
	v_add_f32_e32 v11, v11, v27
	v_add_f32_e32 v12, v12, v26
	s_or_b64 exec, exec, s[16:17]
	v_cmp_gt_u32_e64 s[14:15], 24, v16
	s_and_saveexec_b64 s[16:17], s[14:15]
	s_cbranch_execz .LBB66_194
.LBB66_1131:
	ds_read_b64 v[25:26], v23 offset:31616
	ds_read_b64 v[27:28], v24 offset:29160
	s_waitcnt lgkmcnt(0)
	v_mul_f32_e32 v29, v28, v26
	v_mul_f32_e32 v26, v27, v26
	v_fma_f32 v27, v27, v25, -v29
	v_fmac_f32_e32 v26, v28, v25
	v_add_f32_e32 v11, v11, v27
	v_add_f32_e32 v12, v12, v26
	s_or_b64 exec, exec, s[16:17]
	s_and_saveexec_b64 s[14:15], s[18:19]
	s_cbranch_execz .LBB66_195
.LBB66_1132:
	ds_read_b64 v[25:26], v23 offset:32128
	ds_read_b64 v[23:24], v24 offset:29168
	s_waitcnt lgkmcnt(0)
	v_mul_f32_e32 v27, v24, v26
	v_mul_f32_e32 v26, v23, v26
	v_fma_f32 v23, v23, v25, -v27
	v_fmac_f32_e32 v26, v24, v25
	v_add_f32_e32 v11, v11, v23
	v_add_f32_e32 v12, v12, v26
	s_or_b64 exec, exec, s[14:15]
	v_cmp_gt_u32_e64 s[14:15], 8, v16
	s_and_saveexec_b64 s[16:17], s[14:15]
	s_cbranch_execnz .LBB66_196
	s_branch .LBB66_197
.LBB66_1133:
	ds_read_b64 v[25:26], v23 offset:27520
	ds_read_b64 v[27:28], v24 offset:27048
	s_waitcnt lgkmcnt(0)
	v_mul_f32_e32 v29, v28, v26
	v_mul_f32_e32 v26, v27, v26
	v_fma_f32 v27, v27, v25, -v29
	v_fmac_f32_e32 v26, v28, v25
	v_add_f32_e32 v11, v11, v27
	v_add_f32_e32 v12, v12, v26
	s_or_b64 exec, exec, s[14:15]
	v_cmp_gt_u32_e64 s[10:11], 8, v16
	s_and_saveexec_b64 s[14:15], s[10:11]
	s_cbranch_execz .LBB66_253
.LBB66_1134:
	ds_read_b64 v[25:26], v23 offset:28032
	ds_read_b64 v[23:24], v24 offset:27056
	s_waitcnt lgkmcnt(0)
	v_mul_f32_e32 v27, v24, v26
	v_mul_f32_e32 v26, v23, v26
	v_fma_f32 v23, v23, v25, -v27
	v_fmac_f32_e32 v26, v24, v25
	v_add_f32_e32 v11, v11, v23
	v_add_f32_e32 v12, v12, v26
	s_or_b64 exec, exec, s[14:15]
	v_cmp_gt_u32_e64 s[10:11], 4, v16
	s_and_saveexec_b64 s[14:15], s[10:11]
	s_cbranch_execnz .LBB66_254
	s_branch .LBB66_255
.LBB66_1135:
	ds_read_b64 v[28:29], v26 offset:30464
	ds_read_b64 v[30:31], v27 offset:25048
	s_waitcnt lgkmcnt(0)
	v_mul_f32_e32 v32, v31, v29
	v_mul_f32_e32 v29, v30, v29
	v_fma_f32 v30, v30, v28, -v32
	v_fmac_f32_e32 v29, v31, v28
	v_add_f32_e32 v11, v11, v30
	v_add_f32_e32 v12, v12, v29
	s_or_b64 exec, exec, s[20:21]
	s_and_saveexec_b64 s[16:17], s[8:9]
	s_cbranch_execz .LBB66_315
.LBB66_1136:
	ds_read_b64 v[28:29], v26 offset:30976
	ds_read_b64 v[30:31], v27 offset:25056
	s_waitcnt lgkmcnt(0)
	v_mul_f32_e32 v32, v31, v29
	v_mul_f32_e32 v29, v30, v29
	v_fma_f32 v30, v30, v28, -v32
	v_fmac_f32_e32 v29, v31, v28
	v_add_f32_e32 v11, v11, v30
	v_add_f32_e32 v12, v12, v29
	s_or_b64 exec, exec, s[16:17]
	v_cmp_gt_u32_e64 s[16:17], 48, v16
	s_and_saveexec_b64 s[20:21], s[16:17]
	s_cbranch_execz .LBB66_316
.LBB66_1137:
	ds_read_b64 v[28:29], v26 offset:31488
	ds_read_b64 v[30:31], v27 offset:25064
	s_waitcnt lgkmcnt(0)
	v_mul_f32_e32 v32, v31, v29
	v_mul_f32_e32 v29, v30, v29
	v_fma_f32 v30, v30, v28, -v32
	v_fmac_f32_e32 v29, v31, v28
	v_add_f32_e32 v11, v11, v30
	v_add_f32_e32 v12, v12, v29
	s_or_b64 exec, exec, s[20:21]
	v_cmp_gt_u32_e64 s[16:17], 32, v16
	s_and_saveexec_b64 s[20:21], s[16:17]
	s_cbranch_execz .LBB66_317
.LBB66_1138:
	ds_read_b64 v[28:29], v26 offset:32000
	ds_read_b64 v[26:27], v27 offset:25072
	s_waitcnt lgkmcnt(0)
	v_mul_f32_e32 v30, v27, v29
	v_mul_f32_e32 v29, v26, v29
	v_fma_f32 v26, v26, v28, -v30
	v_fmac_f32_e32 v29, v27, v28
	v_add_f32_e32 v11, v11, v26
	v_add_f32_e32 v12, v12, v29
	s_or_b64 exec, exec, s[20:21]
	v_cmp_gt_u32_e64 s[16:17], 16, v16
	s_and_saveexec_b64 s[20:21], s[16:17]
	s_cbranch_execnz .LBB66_318
	s_branch .LBB66_319
.LBB66_1139:
	ds_read_b64 v[28:29], v26 offset:23360
	ds_read_b64 v[30:31], v27 offset:22888
	s_waitcnt lgkmcnt(0)
	v_mul_f32_e32 v32, v31, v29
	v_mul_f32_e32 v29, v30, v29
	v_fma_f32 v30, v30, v28, -v32
	v_fmac_f32_e32 v29, v31, v28
	v_add_f32_e32 v11, v11, v30
	v_add_f32_e32 v12, v12, v29
	s_or_b64 exec, exec, s[20:21]
	v_cmp_gt_u32_e64 s[14:15], 8, v16
	s_and_saveexec_b64 s[20:21], s[14:15]
	s_cbranch_execz .LBB66_407
.LBB66_1140:
	ds_read_b64 v[28:29], v26 offset:23872
	ds_read_b64 v[26:27], v27 offset:22896
	s_waitcnt lgkmcnt(0)
	v_mul_f32_e32 v30, v27, v29
	v_mul_f32_e32 v29, v26, v29
	v_fma_f32 v26, v26, v28, -v30
	v_fmac_f32_e32 v29, v27, v28
	v_add_f32_e32 v11, v11, v26
	v_add_f32_e32 v12, v12, v29
	s_or_b64 exec, exec, s[20:21]
	v_cmp_gt_u32_e64 s[14:15], 4, v16
	s_and_saveexec_b64 s[20:21], s[14:15]
	s_cbranch_execnz .LBB66_408
	s_branch .LBB66_409
.LBB66_1141:
	ds_read_b64 v[28:29], v26 offset:21248
	ds_read_b64 v[30:31], v27 offset:20808
	s_waitcnt lgkmcnt(0)
	v_mul_f32_e32 v32, v31, v29
	v_mul_f32_e32 v29, v30, v29
	v_fma_f32 v30, v30, v28, -v32
	v_fmac_f32_e32 v29, v31, v28
	v_add_f32_e32 v11, v11, v30
	v_add_f32_e32 v12, v12, v29
	s_or_b64 exec, exec, s[20:21]
	v_cmp_gt_u32_e64 s[14:15], 48, v16
	s_and_saveexec_b64 s[20:21], s[14:15]
	s_cbranch_execz .LBB66_449
.LBB66_1142:
	ds_read_b64 v[28:29], v26 offset:21760
	ds_read_b64 v[30:31], v27 offset:20816
	s_waitcnt lgkmcnt(0)
	v_mul_f32_e32 v32, v31, v29
	v_mul_f32_e32 v29, v30, v29
	v_fma_f32 v30, v30, v28, -v32
	v_fmac_f32_e32 v29, v31, v28
	v_add_f32_e32 v11, v11, v30
	v_add_f32_e32 v12, v12, v29
	s_or_b64 exec, exec, s[20:21]
	v_cmp_gt_u32_e64 s[14:15], 40, v16
	s_and_saveexec_b64 s[20:21], s[14:15]
	s_cbranch_execz .LBB66_450
.LBB66_1143:
	ds_read_b64 v[28:29], v26 offset:22272
	ds_read_b64 v[30:31], v27 offset:20824
	s_waitcnt lgkmcnt(0)
	v_mul_f32_e32 v32, v31, v29
	v_mul_f32_e32 v29, v30, v29
	v_fma_f32 v30, v30, v28, -v32
	v_fmac_f32_e32 v29, v31, v28
	v_add_f32_e32 v11, v11, v30
	v_add_f32_e32 v12, v12, v29
	s_or_b64 exec, exec, s[20:21]
	v_cmp_gt_u32_e64 s[14:15], 32, v16
	s_and_saveexec_b64 s[20:21], s[14:15]
	s_cbranch_execz .LBB66_451
.LBB66_1144:
	ds_read_b64 v[28:29], v26 offset:22784
	ds_read_b64 v[30:31], v27 offset:20832
	s_waitcnt lgkmcnt(0)
	v_mul_f32_e32 v32, v31, v29
	v_mul_f32_e32 v29, v30, v29
	v_fma_f32 v30, v30, v28, -v32
	v_fmac_f32_e32 v29, v31, v28
	v_add_f32_e32 v11, v11, v30
	v_add_f32_e32 v12, v12, v29
	s_or_b64 exec, exec, s[20:21]
	v_cmp_gt_u32_e64 s[14:15], 24, v16
	s_and_saveexec_b64 s[20:21], s[14:15]
	s_cbranch_execz .LBB66_452
.LBB66_1145:
	ds_read_b64 v[28:29], v26 offset:23296
	ds_read_b64 v[30:31], v27 offset:20840
	s_waitcnt lgkmcnt(0)
	v_mul_f32_e32 v32, v31, v29
	v_mul_f32_e32 v29, v30, v29
	v_fma_f32 v30, v30, v28, -v32
	v_fmac_f32_e32 v29, v31, v28
	v_add_f32_e32 v11, v11, v30
	v_add_f32_e32 v12, v12, v29
	s_or_b64 exec, exec, s[20:21]
	s_and_saveexec_b64 s[14:15], s[18:19]
	s_cbranch_execz .LBB66_453
.LBB66_1146:
	ds_read_b64 v[28:29], v26 offset:23808
	ds_read_b64 v[26:27], v27 offset:20848
	s_waitcnt lgkmcnt(0)
	v_mul_f32_e32 v30, v27, v29
	v_mul_f32_e32 v29, v26, v29
	v_fma_f32 v26, v26, v28, -v30
	v_fmac_f32_e32 v29, v27, v28
	v_add_f32_e32 v11, v11, v26
	v_add_f32_e32 v12, v12, v29
	s_or_b64 exec, exec, s[14:15]
	v_cmp_gt_u32_e64 s[14:15], 8, v16
	s_and_saveexec_b64 s[20:21], s[14:15]
	s_cbranch_execnz .LBB66_454
	s_branch .LBB66_455
.LBB66_1147:
	ds_read_b64 v[28:29], v26 offset:19200
	ds_read_b64 v[30:31], v27 offset:18728
	s_waitcnt lgkmcnt(0)
	v_mul_f32_e32 v32, v31, v29
	v_mul_f32_e32 v29, v30, v29
	v_fma_f32 v30, v30, v28, -v32
	v_fmac_f32_e32 v29, v31, v28
	v_add_f32_e32 v11, v11, v30
	v_add_f32_e32 v12, v12, v29
	s_or_b64 exec, exec, s[20:21]
	v_cmp_gt_u32_e64 s[14:15], 8, v16
	s_and_saveexec_b64 s[20:21], s[14:15]
	s_cbranch_execz .LBB66_511
.LBB66_1148:
	ds_read_b64 v[28:29], v26 offset:19712
	ds_read_b64 v[26:27], v27 offset:18736
	s_waitcnt lgkmcnt(0)
	v_mul_f32_e32 v30, v27, v29
	v_mul_f32_e32 v29, v26, v29
	v_fma_f32 v26, v26, v28, -v30
	v_fmac_f32_e32 v29, v27, v28
	v_add_f32_e32 v11, v11, v26
	v_add_f32_e32 v12, v12, v29
	s_or_b64 exec, exec, s[20:21]
	v_cmp_gt_u32_e64 s[14:15], 4, v16
	s_and_saveexec_b64 s[20:21], s[14:15]
	s_cbranch_execnz .LBB66_512
	s_branch .LBB66_513
.LBB66_1149:
	ds_read_b64 v[31:32], v29 offset:31232
	ds_read_b64 v[33:34], v30 offset:16872
	s_waitcnt lgkmcnt(0)
	v_mul_f32_e32 v35, v34, v32
	v_mul_f32_e32 v32, v33, v32
	v_fma_f32 v33, v33, v31, -v35
	v_fmac_f32_e32 v32, v34, v31
	v_add_f32_e32 v11, v11, v33
	v_add_f32_e32 v12, v12, v32
	s_or_b64 exec, exec, s[94:95]
	s_and_saveexec_b64 s[20:21], s[8:9]
	s_cbranch_execz .LBB66_609
.LBB66_1150:
	ds_read_b64 v[31:32], v29 offset:31744
	ds_read_b64 v[33:34], v30 offset:16880
	s_waitcnt lgkmcnt(0)
	v_mul_f32_e32 v35, v34, v32
	v_mul_f32_e32 v32, v33, v32
	v_fma_f32 v33, v33, v31, -v35
	v_fmac_f32_e32 v32, v34, v31
	v_add_f32_e32 v11, v11, v33
	v_add_f32_e32 v12, v12, v32
	s_or_b64 exec, exec, s[20:21]
	v_cmp_gt_u32_e64 s[20:21], 32, v16
	s_and_saveexec_b64 s[94:95], s[20:21]
	s_cbranch_execnz .LBB66_610
	s_branch .LBB66_611
.LBB66_1151:
	ds_read_b64 v[28:29], v26 offset:15040
	ds_read_b64 v[30:31], v27 offset:14568
	s_waitcnt lgkmcnt(0)
	v_mul_f32_e32 v32, v31, v29
	v_mul_f32_e32 v29, v30, v29
	v_fma_f32 v30, v30, v28, -v32
	v_fmac_f32_e32 v29, v31, v28
	v_add_f32_e32 v11, v11, v30
	v_add_f32_e32 v12, v12, v29
	s_or_b64 exec, exec, s[16:17]
	v_cmp_gt_u32_e64 s[12:13], 8, v16
	s_and_saveexec_b64 s[16:17], s[12:13]
	s_cbranch_execz .LBB66_647
.LBB66_1152:
	ds_read_b64 v[28:29], v26 offset:15552
	ds_read_b64 v[26:27], v27 offset:14576
	s_waitcnt lgkmcnt(0)
	v_mul_f32_e32 v30, v27, v29
	v_mul_f32_e32 v29, v26, v29
	v_fma_f32 v26, v26, v28, -v30
	v_fmac_f32_e32 v29, v27, v28
	v_add_f32_e32 v11, v11, v26
	v_add_f32_e32 v12, v12, v29
	s_or_b64 exec, exec, s[16:17]
	v_cmp_gt_u32_e64 s[12:13], 4, v16
	s_and_saveexec_b64 s[16:17], s[12:13]
	s_cbranch_execnz .LBB66_648
	s_branch .LBB66_649
.LBB66_1153:
	ds_read_b64 v[28:29], v26 offset:12928
	ds_read_b64 v[30:31], v27 offset:12488
	s_waitcnt lgkmcnt(0)
	v_mul_f32_e32 v32, v31, v29
	v_mul_f32_e32 v29, v30, v29
	v_fma_f32 v30, v30, v28, -v32
	v_fmac_f32_e32 v29, v31, v28
	v_add_f32_e32 v11, v11, v30
	v_add_f32_e32 v12, v12, v29
	s_or_b64 exec, exec, s[16:17]
	v_cmp_gt_u32_e64 s[12:13], 48, v16
	s_and_saveexec_b64 s[16:17], s[12:13]
	s_cbranch_execz .LBB66_689
.LBB66_1154:
	ds_read_b64 v[28:29], v26 offset:13440
	ds_read_b64 v[30:31], v27 offset:12496
	s_waitcnt lgkmcnt(0)
	v_mul_f32_e32 v32, v31, v29
	v_mul_f32_e32 v29, v30, v29
	v_fma_f32 v30, v30, v28, -v32
	v_fmac_f32_e32 v29, v31, v28
	v_add_f32_e32 v11, v11, v30
	v_add_f32_e32 v12, v12, v29
	s_or_b64 exec, exec, s[16:17]
	v_cmp_gt_u32_e64 s[12:13], 40, v16
	s_and_saveexec_b64 s[16:17], s[12:13]
	s_cbranch_execz .LBB66_690
.LBB66_1155:
	ds_read_b64 v[28:29], v26 offset:13952
	ds_read_b64 v[30:31], v27 offset:12504
	s_waitcnt lgkmcnt(0)
	v_mul_f32_e32 v32, v31, v29
	v_mul_f32_e32 v29, v30, v29
	v_fma_f32 v30, v30, v28, -v32
	v_fmac_f32_e32 v29, v31, v28
	v_add_f32_e32 v11, v11, v30
	v_add_f32_e32 v12, v12, v29
	s_or_b64 exec, exec, s[16:17]
	v_cmp_gt_u32_e64 s[12:13], 32, v16
	s_and_saveexec_b64 s[16:17], s[12:13]
	s_cbranch_execz .LBB66_691
.LBB66_1156:
	ds_read_b64 v[28:29], v26 offset:14464
	ds_read_b64 v[30:31], v27 offset:12512
	s_waitcnt lgkmcnt(0)
	v_mul_f32_e32 v32, v31, v29
	v_mul_f32_e32 v29, v30, v29
	v_fma_f32 v30, v30, v28, -v32
	v_fmac_f32_e32 v29, v31, v28
	v_add_f32_e32 v11, v11, v30
	v_add_f32_e32 v12, v12, v29
	s_or_b64 exec, exec, s[16:17]
	v_cmp_gt_u32_e64 s[12:13], 24, v16
	s_and_saveexec_b64 s[16:17], s[12:13]
	s_cbranch_execz .LBB66_692
.LBB66_1157:
	ds_read_b64 v[28:29], v26 offset:14976
	ds_read_b64 v[30:31], v27 offset:12520
	s_waitcnt lgkmcnt(0)
	v_mul_f32_e32 v32, v31, v29
	v_mul_f32_e32 v29, v30, v29
	v_fma_f32 v30, v30, v28, -v32
	v_fmac_f32_e32 v29, v31, v28
	v_add_f32_e32 v11, v11, v30
	v_add_f32_e32 v12, v12, v29
	s_or_b64 exec, exec, s[16:17]
	s_and_saveexec_b64 s[12:13], s[18:19]
	s_cbranch_execz .LBB66_693
.LBB66_1158:
	ds_read_b64 v[28:29], v26 offset:15488
	ds_read_b64 v[26:27], v27 offset:12528
	s_waitcnt lgkmcnt(0)
	v_mul_f32_e32 v30, v27, v29
	v_mul_f32_e32 v29, v26, v29
	v_fma_f32 v26, v26, v28, -v30
	v_fmac_f32_e32 v29, v27, v28
	v_add_f32_e32 v11, v11, v26
	v_add_f32_e32 v12, v12, v29
	s_or_b64 exec, exec, s[12:13]
	v_cmp_gt_u32_e64 s[12:13], 8, v16
	s_and_saveexec_b64 s[16:17], s[12:13]
	s_cbranch_execnz .LBB66_694
	s_branch .LBB66_695
.LBB66_1159:
	ds_read_b64 v[28:29], v26 offset:10880
	ds_read_b64 v[30:31], v27 offset:10408
	s_waitcnt lgkmcnt(0)
	v_mul_f32_e32 v32, v31, v29
	v_mul_f32_e32 v29, v30, v29
	v_fma_f32 v30, v30, v28, -v32
	v_fmac_f32_e32 v29, v31, v28
	v_add_f32_e32 v11, v11, v30
	v_add_f32_e32 v12, v12, v29
	s_or_b64 exec, exec, s[16:17]
	v_cmp_gt_u32_e64 s[12:13], 8, v16
	s_and_saveexec_b64 s[16:17], s[12:13]
	s_cbranch_execz .LBB66_751
.LBB66_1160:
	ds_read_b64 v[28:29], v26 offset:11392
	ds_read_b64 v[26:27], v27 offset:10416
	s_waitcnt lgkmcnt(0)
	v_mul_f32_e32 v30, v27, v29
	v_mul_f32_e32 v29, v26, v29
	v_fma_f32 v26, v26, v28, -v30
	v_fmac_f32_e32 v29, v27, v28
	v_add_f32_e32 v11, v11, v26
	v_add_f32_e32 v12, v12, v29
	s_or_b64 exec, exec, s[16:17]
	v_cmp_gt_u32_e64 s[12:13], 4, v16
	s_and_saveexec_b64 s[16:17], s[12:13]
	s_cbranch_execnz .LBB66_752
	s_branch .LBB66_753
.LBB66_1161:
	ds_read_b64 v[28:29], v26 offset:13824
	ds_read_b64 v[30:31], v27 offset:8408
	s_waitcnt lgkmcnt(0)
	v_mul_f32_e32 v32, v31, v29
	v_mul_f32_e32 v29, v30, v29
	v_fma_f32 v30, v30, v28, -v32
	v_fmac_f32_e32 v29, v31, v28
	v_add_f32_e32 v11, v11, v30
	v_add_f32_e32 v12, v12, v29
	s_or_b64 exec, exec, s[16:17]
	s_and_saveexec_b64 s[12:13], s[8:9]
	s_cbranch_execz .LBB66_813
.LBB66_1162:
	ds_read_b64 v[28:29], v26 offset:14336
	ds_read_b64 v[30:31], v27 offset:8416
	s_waitcnt lgkmcnt(0)
	v_mul_f32_e32 v32, v31, v29
	v_mul_f32_e32 v29, v30, v29
	v_fma_f32 v30, v30, v28, -v32
	v_fmac_f32_e32 v29, v31, v28
	v_add_f32_e32 v11, v11, v30
	v_add_f32_e32 v12, v12, v29
	s_or_b64 exec, exec, s[12:13]
	v_cmp_gt_u32_e64 s[12:13], 48, v16
	s_and_saveexec_b64 s[16:17], s[12:13]
	s_cbranch_execz .LBB66_814
.LBB66_1163:
	ds_read_b64 v[28:29], v26 offset:14848
	ds_read_b64 v[30:31], v27 offset:8424
	s_waitcnt lgkmcnt(0)
	v_mul_f32_e32 v32, v31, v29
	v_mul_f32_e32 v29, v30, v29
	v_fma_f32 v30, v30, v28, -v32
	v_fmac_f32_e32 v29, v31, v28
	v_add_f32_e32 v11, v11, v30
	v_add_f32_e32 v12, v12, v29
	s_or_b64 exec, exec, s[16:17]
	v_cmp_gt_u32_e64 s[12:13], 32, v16
	s_and_saveexec_b64 s[16:17], s[12:13]
	s_cbranch_execz .LBB66_815
.LBB66_1164:
	ds_read_b64 v[28:29], v26 offset:15360
	ds_read_b64 v[26:27], v27 offset:8432
	s_waitcnt lgkmcnt(0)
	v_mul_f32_e32 v30, v27, v29
	v_mul_f32_e32 v29, v26, v29
	v_fma_f32 v26, v26, v28, -v30
	v_fmac_f32_e32 v29, v27, v28
	v_add_f32_e32 v11, v11, v26
	v_add_f32_e32 v12, v12, v29
	s_or_b64 exec, exec, s[16:17]
	v_cmp_gt_u32_e64 s[12:13], 16, v16
	s_and_saveexec_b64 s[16:17], s[12:13]
	s_cbranch_execnz .LBB66_816
	s_branch .LBB66_817
.LBB66_1165:
	ds_read_b64 v[25:26], v23 offset:6720
	ds_read_b64 v[27:28], v24 offset:6248
	s_waitcnt lgkmcnt(0)
	v_mul_f32_e32 v29, v28, v26
	v_mul_f32_e32 v26, v27, v26
	v_fma_f32 v27, v27, v25, -v29
	v_fmac_f32_e32 v26, v28, v25
	v_add_f32_e32 v11, v11, v27
	v_add_f32_e32 v12, v12, v26
	s_or_b64 exec, exec, s[12:13]
	v_cmp_gt_u32_e64 s[10:11], 8, v16
	s_and_saveexec_b64 s[12:13], s[10:11]
	s_cbranch_execz .LBB66_905
.LBB66_1166:
	ds_read_b64 v[25:26], v23 offset:7232
	ds_read_b64 v[23:24], v24 offset:6256
	s_waitcnt lgkmcnt(0)
	v_mul_f32_e32 v27, v24, v26
	v_mul_f32_e32 v26, v23, v26
	v_fma_f32 v23, v23, v25, -v27
	v_fmac_f32_e32 v26, v24, v25
	v_add_f32_e32 v11, v11, v23
	v_add_f32_e32 v12, v12, v26
	s_or_b64 exec, exec, s[12:13]
	v_cmp_gt_u32_e64 s[10:11], 4, v16
	s_and_saveexec_b64 s[12:13], s[10:11]
	s_cbranch_execnz .LBB66_906
	s_branch .LBB66_907
.LBB66_1167:
	ds_read_b64 v[25:26], v23 offset:4608
	ds_read_b64 v[27:28], v24 offset:4168
	s_waitcnt lgkmcnt(0)
	v_mul_f32_e32 v29, v28, v26
	v_mul_f32_e32 v26, v27, v26
	v_fma_f32 v27, v27, v25, -v29
	v_fmac_f32_e32 v26, v28, v25
	v_add_f32_e32 v11, v11, v27
	v_add_f32_e32 v12, v12, v26
	s_or_b64 exec, exec, s[12:13]
	v_cmp_gt_u32_e64 s[10:11], 48, v16
	s_and_saveexec_b64 s[12:13], s[10:11]
	s_cbranch_execz .LBB66_947
.LBB66_1168:
	ds_read_b64 v[25:26], v23 offset:5120
	ds_read_b64 v[27:28], v24 offset:4176
	s_waitcnt lgkmcnt(0)
	v_mul_f32_e32 v29, v28, v26
	v_mul_f32_e32 v26, v27, v26
	v_fma_f32 v27, v27, v25, -v29
	v_fmac_f32_e32 v26, v28, v25
	v_add_f32_e32 v11, v11, v27
	v_add_f32_e32 v12, v12, v26
	s_or_b64 exec, exec, s[12:13]
	v_cmp_gt_u32_e64 s[10:11], 40, v16
	s_and_saveexec_b64 s[12:13], s[10:11]
	s_cbranch_execz .LBB66_948
.LBB66_1169:
	ds_read_b64 v[25:26], v23 offset:5632
	ds_read_b64 v[27:28], v24 offset:4184
	s_waitcnt lgkmcnt(0)
	v_mul_f32_e32 v29, v28, v26
	v_mul_f32_e32 v26, v27, v26
	v_fma_f32 v27, v27, v25, -v29
	v_fmac_f32_e32 v26, v28, v25
	v_add_f32_e32 v11, v11, v27
	v_add_f32_e32 v12, v12, v26
	s_or_b64 exec, exec, s[12:13]
	v_cmp_gt_u32_e64 s[10:11], 32, v16
	s_and_saveexec_b64 s[12:13], s[10:11]
	s_cbranch_execz .LBB66_949
.LBB66_1170:
	ds_read_b64 v[25:26], v23 offset:6144
	ds_read_b64 v[27:28], v24 offset:4192
	s_waitcnt lgkmcnt(0)
	v_mul_f32_e32 v29, v28, v26
	v_mul_f32_e32 v26, v27, v26
	v_fma_f32 v27, v27, v25, -v29
	v_fmac_f32_e32 v26, v28, v25
	v_add_f32_e32 v11, v11, v27
	v_add_f32_e32 v12, v12, v26
	s_or_b64 exec, exec, s[12:13]
	v_cmp_gt_u32_e64 s[10:11], 24, v16
	s_and_saveexec_b64 s[12:13], s[10:11]
	s_cbranch_execz .LBB66_950
.LBB66_1171:
	ds_read_b64 v[25:26], v23 offset:6656
	ds_read_b64 v[27:28], v24 offset:4200
	s_waitcnt lgkmcnt(0)
	v_mul_f32_e32 v29, v28, v26
	v_mul_f32_e32 v26, v27, v26
	v_fma_f32 v27, v27, v25, -v29
	v_fmac_f32_e32 v26, v28, v25
	v_add_f32_e32 v11, v11, v27
	v_add_f32_e32 v12, v12, v26
	s_or_b64 exec, exec, s[12:13]
	s_and_saveexec_b64 s[10:11], s[18:19]
	s_cbranch_execz .LBB66_951
.LBB66_1172:
	ds_read_b64 v[25:26], v23 offset:7168
	ds_read_b64 v[23:24], v24 offset:4208
	s_waitcnt lgkmcnt(0)
	v_mul_f32_e32 v27, v24, v26
	v_mul_f32_e32 v26, v23, v26
	v_fma_f32 v23, v23, v25, -v27
	v_fmac_f32_e32 v26, v24, v25
	v_add_f32_e32 v11, v11, v23
	v_add_f32_e32 v12, v12, v26
	s_or_b64 exec, exec, s[10:11]
	v_cmp_gt_u32_e64 s[10:11], 8, v16
	s_and_saveexec_b64 s[12:13], s[10:11]
	s_cbranch_execnz .LBB66_952
	s_branch .LBB66_953
.LBB66_1173:
	ds_read_b64 v[22:23], v20 offset:2560
	ds_read_b64 v[24:25], v21 offset:2088
	s_waitcnt lgkmcnt(0)
	v_mul_f32_e32 v26, v25, v23
	v_mul_f32_e32 v23, v24, v23
	v_fma_f32 v24, v24, v22, -v26
	v_fmac_f32_e32 v23, v25, v22
	v_add_f32_e32 v11, v11, v24
	v_add_f32_e32 v12, v12, v23
	s_or_b64 exec, exec, s[10:11]
	v_cmp_gt_u32_e64 s[8:9], 8, v16
	s_and_saveexec_b64 s[10:11], s[8:9]
	s_cbranch_execz .LBB66_1009
.LBB66_1174:
	ds_read_b64 v[22:23], v20 offset:3072
	ds_read_b64 v[20:21], v21 offset:2096
	s_waitcnt lgkmcnt(0)
	v_mul_f32_e32 v24, v21, v23
	v_mul_f32_e32 v23, v20, v23
	v_fma_f32 v20, v20, v22, -v24
	v_fmac_f32_e32 v23, v21, v22
	v_add_f32_e32 v11, v11, v20
	v_add_f32_e32 v12, v12, v23
	s_or_b64 exec, exec, s[10:11]
	v_cmp_gt_u32_e64 s[8:9], 4, v16
	s_and_saveexec_b64 s[10:11], s[8:9]
	s_cbranch_execnz .LBB66_1010
	s_branch .LBB66_1011
	.section	.rodata,"a",@progbits
	.p2align	6, 0x0
	.amdhsa_kernel _ZL19rocblas_trsv_deviceILi64ELi16ELb0ELb1ELb1ELb0E19rocblas_complex_numIfES1_PKS1_PS1_EviT7_lllT6_T8_lllPii
		.amdhsa_group_segment_fixed_size 41480
		.amdhsa_private_segment_fixed_size 0
		.amdhsa_kernarg_size 352
		.amdhsa_user_sgpr_count 6
		.amdhsa_user_sgpr_private_segment_buffer 1
		.amdhsa_user_sgpr_dispatch_ptr 0
		.amdhsa_user_sgpr_queue_ptr 0
		.amdhsa_user_sgpr_kernarg_segment_ptr 1
		.amdhsa_user_sgpr_dispatch_id 0
		.amdhsa_user_sgpr_flat_scratch_init 0
		.amdhsa_user_sgpr_private_segment_size 0
		.amdhsa_uses_dynamic_stack 0
		.amdhsa_system_sgpr_private_segment_wavefront_offset 0
		.amdhsa_system_sgpr_workgroup_id_x 1
		.amdhsa_system_sgpr_workgroup_id_y 0
		.amdhsa_system_sgpr_workgroup_id_z 1
		.amdhsa_system_sgpr_workgroup_info 0
		.amdhsa_system_vgpr_workitem_id 1
		.amdhsa_next_free_vgpr 49
		.amdhsa_next_free_sgpr 98
		.amdhsa_reserve_vcc 1
		.amdhsa_reserve_flat_scratch 0
		.amdhsa_float_round_mode_32 0
		.amdhsa_float_round_mode_16_64 0
		.amdhsa_float_denorm_mode_32 3
		.amdhsa_float_denorm_mode_16_64 3
		.amdhsa_dx10_clamp 1
		.amdhsa_ieee_mode 1
		.amdhsa_fp16_overflow 0
		.amdhsa_exception_fp_ieee_invalid_op 0
		.amdhsa_exception_fp_denorm_src 0
		.amdhsa_exception_fp_ieee_div_zero 0
		.amdhsa_exception_fp_ieee_overflow 0
		.amdhsa_exception_fp_ieee_underflow 0
		.amdhsa_exception_fp_ieee_inexact 0
		.amdhsa_exception_int_div_zero 0
	.end_amdhsa_kernel
	.section	.text._ZL19rocblas_trsv_deviceILi64ELi16ELb0ELb1ELb1ELb0E19rocblas_complex_numIfES1_PKS1_PS1_EviT7_lllT6_T8_lllPii,"axG",@progbits,_ZL19rocblas_trsv_deviceILi64ELi16ELb0ELb1ELb1ELb0E19rocblas_complex_numIfES1_PKS1_PS1_EviT7_lllT6_T8_lllPii,comdat
.Lfunc_end66:
	.size	_ZL19rocblas_trsv_deviceILi64ELi16ELb0ELb1ELb1ELb0E19rocblas_complex_numIfES1_PKS1_PS1_EviT7_lllT6_T8_lllPii, .Lfunc_end66-_ZL19rocblas_trsv_deviceILi64ELi16ELb0ELb1ELb1ELb0E19rocblas_complex_numIfES1_PKS1_PS1_EviT7_lllT6_T8_lllPii
                                        ; -- End function
	.set _ZL19rocblas_trsv_deviceILi64ELi16ELb0ELb1ELb1ELb0E19rocblas_complex_numIfES1_PKS1_PS1_EviT7_lllT6_T8_lllPii.num_vgpr, 39
	.set _ZL19rocblas_trsv_deviceILi64ELi16ELb0ELb1ELb1ELb0E19rocblas_complex_numIfES1_PKS1_PS1_EviT7_lllT6_T8_lllPii.num_agpr, 0
	.set _ZL19rocblas_trsv_deviceILi64ELi16ELb0ELb1ELb1ELb0E19rocblas_complex_numIfES1_PKS1_PS1_EviT7_lllT6_T8_lllPii.numbered_sgpr, 96
	.set _ZL19rocblas_trsv_deviceILi64ELi16ELb0ELb1ELb1ELb0E19rocblas_complex_numIfES1_PKS1_PS1_EviT7_lllT6_T8_lllPii.num_named_barrier, 0
	.set _ZL19rocblas_trsv_deviceILi64ELi16ELb0ELb1ELb1ELb0E19rocblas_complex_numIfES1_PKS1_PS1_EviT7_lllT6_T8_lllPii.private_seg_size, 0
	.set _ZL19rocblas_trsv_deviceILi64ELi16ELb0ELb1ELb1ELb0E19rocblas_complex_numIfES1_PKS1_PS1_EviT7_lllT6_T8_lllPii.uses_vcc, 1
	.set _ZL19rocblas_trsv_deviceILi64ELi16ELb0ELb1ELb1ELb0E19rocblas_complex_numIfES1_PKS1_PS1_EviT7_lllT6_T8_lllPii.uses_flat_scratch, 0
	.set _ZL19rocblas_trsv_deviceILi64ELi16ELb0ELb1ELb1ELb0E19rocblas_complex_numIfES1_PKS1_PS1_EviT7_lllT6_T8_lllPii.has_dyn_sized_stack, 0
	.set _ZL19rocblas_trsv_deviceILi64ELi16ELb0ELb1ELb1ELb0E19rocblas_complex_numIfES1_PKS1_PS1_EviT7_lllT6_T8_lllPii.has_recursion, 0
	.set _ZL19rocblas_trsv_deviceILi64ELi16ELb0ELb1ELb1ELb0E19rocblas_complex_numIfES1_PKS1_PS1_EviT7_lllT6_T8_lllPii.has_indirect_call, 0
	.section	.AMDGPU.csdata,"",@progbits
; Kernel info:
; codeLenInByte = 50124
; TotalNumSgprs: 100
; NumVgprs: 39
; ScratchSize: 0
; MemoryBound: 0
; FloatMode: 240
; IeeeMode: 1
; LDSByteSize: 41480 bytes/workgroup (compile time only)
; SGPRBlocks: 12
; VGPRBlocks: 12
; NumSGPRsForWavesPerEU: 102
; NumVGPRsForWavesPerEU: 49
; Occupancy: 4
; WaveLimiterHint : 0
; COMPUTE_PGM_RSRC2:SCRATCH_EN: 0
; COMPUTE_PGM_RSRC2:USER_SGPR: 6
; COMPUTE_PGM_RSRC2:TRAP_HANDLER: 0
; COMPUTE_PGM_RSRC2:TGID_X_EN: 1
; COMPUTE_PGM_RSRC2:TGID_Y_EN: 0
; COMPUTE_PGM_RSRC2:TGID_Z_EN: 1
; COMPUTE_PGM_RSRC2:TIDIG_COMP_CNT: 1
	.section	.text._ZL19rocblas_trsv_deviceILi64ELi16ELb1ELb0ELb0ELb1E19rocblas_complex_numIfES1_PKS1_PS1_EviT7_lllT6_T8_lllPii,"axG",@progbits,_ZL19rocblas_trsv_deviceILi64ELi16ELb1ELb0ELb0ELb1E19rocblas_complex_numIfES1_PKS1_PS1_EviT7_lllT6_T8_lllPii,comdat
	.globl	_ZL19rocblas_trsv_deviceILi64ELi16ELb1ELb0ELb0ELb1E19rocblas_complex_numIfES1_PKS1_PS1_EviT7_lllT6_T8_lllPii ; -- Begin function _ZL19rocblas_trsv_deviceILi64ELi16ELb1ELb0ELb0ELb1E19rocblas_complex_numIfES1_PKS1_PS1_EviT7_lllT6_T8_lllPii
	.p2align	8
	.type	_ZL19rocblas_trsv_deviceILi64ELi16ELb1ELb0ELb0ELb1E19rocblas_complex_numIfES1_PKS1_PS1_EviT7_lllT6_T8_lllPii,@function
_ZL19rocblas_trsv_deviceILi64ELi16ELb1ELb0ELb0ELb1E19rocblas_complex_numIfES1_PKS1_PS1_EviT7_lllT6_T8_lllPii: ; @_ZL19rocblas_trsv_deviceILi64ELi16ELb1ELb0ELb0ELb1E19rocblas_complex_numIfES1_PKS1_PS1_EviT7_lllT6_T8_lllPii
; %bb.0:
	s_load_dwordx8 s[20:27], s[4:5], 0x8
	s_load_dword s33, s[4:5], 0x0
	s_add_u32 flat_scratch_lo, s6, s10
	s_addc_u32 flat_scratch_hi, s7, 0
	s_add_u32 s0, s0, s10
	s_waitcnt lgkmcnt(0)
	s_mul_i32 s6, s27, s9
	s_mul_hi_u32 s7, s26, s9
	s_addc_u32 s1, s1, 0
	s_add_i32 s7, s7, s6
	s_mul_i32 s6, s26, s9
	s_lshl_b64 s[6:7], s[6:7], 3
	s_mov_b32 s28, s9
	s_add_u32 s9, s20, s6
	s_load_dword s34, s[4:5], 0x6c
	s_addc_u32 s10, s21, s7
	s_lshl_b64 s[6:7], s[22:23], 3
	s_add_u32 s94, s9, s6
	s_addc_u32 s95, s10, s7
	s_cmp_eq_u32 s8, 0
	s_mov_b32 s29, 0
	s_cbranch_scc1 .LBB67_18
; %bb.1:
	s_lshl_b32 s9, s8, 6
	v_add_u32_e32 v2, s9, v1
	v_subrev_u32_e32 v4, 64, v2
	v_ashrrev_i32_e32 v2, 31, v4
	v_mul_lo_u32 v7, s24, v2
	v_mul_lo_u32 v8, s25, v4
	v_mad_u64_u32 v[2:3], s[6:7], s24, v4, 0
	v_add_u32_e32 v5, s9, v0
	v_ashrrev_i32_e32 v6, 31, v5
	v_add3_u32 v3, v3, v7, v8
	v_lshlrev_b64 v[2:3], 3, v[2:3]
	v_mov_b32_e32 v7, s95
	v_add_co_u32_e64 v8, s[6:7], s94, v2
	v_addc_co_u32_e64 v7, s[6:7], v7, v3, s[6:7]
	v_lshlrev_b64 v[2:3], 3, v[5:6]
	v_cmp_gt_i32_e32 vcc, s33, v5
	v_add_co_u32_e64 v2, s[6:7], v8, v2
	v_addc_co_u32_e64 v3, s[6:7], v7, v3, s[6:7]
	v_max_i32_e32 v5, v5, v4
	v_cmp_le_i32_e64 s[6:7], s33, v5
	s_waitcnt lgkmcnt(0)
	s_barrier
	s_and_saveexec_b64 s[10:11], s[6:7]
	s_xor_b64 s[6:7], exec, s[10:11]
	s_cbranch_execz .LBB67_3
; %bb.2:
	v_mov_b32_e32 v5, 0
	buffer_store_dword v5, off, s[0:3], 0
	buffer_store_dword v5, off, s[0:3], 0 offset:4
.LBB67_3:
	s_andn2_saveexec_b64 s[6:7], s[6:7]
	s_cbranch_execz .LBB67_5
; %bb.4:
	global_load_dwordx2 v[5:6], v[2:3], off
	s_waitcnt vmcnt(0)
	buffer_store_dword v6, off, s[0:3], 0 offset:4
	buffer_store_dword v5, off, s[0:3], 0
.LBB67_5:
	s_or_b64 exec, exec, s[6:7]
	v_add_u32_e32 v5, 16, v4
	v_cmp_le_i32_e64 s[6:7], s33, v5
	s_xor_b64 s[10:11], vcc, -1
	s_or_b64 s[6:7], s[10:11], s[6:7]
	s_waitcnt vmcnt(0)
	s_barrier
	s_and_saveexec_b64 s[12:13], s[6:7]
	s_xor_b64 s[6:7], exec, s[12:13]
	s_cbranch_execz .LBB67_7
; %bb.6:
	v_mov_b32_e32 v5, 0
	buffer_store_dword v5, off, s[0:3], 0 offset:8
	buffer_store_dword v5, off, s[0:3], 0 offset:12
.LBB67_7:
	s_andn2_saveexec_b64 s[6:7], s[6:7]
	s_cbranch_execz .LBB67_9
; %bb.8:
	s_lshl_b64 s[12:13], s[24:25], 7
	v_mov_b32_e32 v6, s13
	v_add_co_u32_e32 v5, vcc, s12, v2
	v_addc_co_u32_e32 v6, vcc, v3, v6, vcc
	global_load_dwordx2 v[5:6], v[5:6], off
	s_waitcnt vmcnt(0)
	buffer_store_dword v6, off, s[0:3], 0 offset:12
	buffer_store_dword v5, off, s[0:3], 0 offset:8
.LBB67_9:
	s_or_b64 exec, exec, s[6:7]
	v_add_u32_e32 v5, 32, v4
	v_cmp_le_i32_e32 vcc, s33, v5
	s_or_b64 s[6:7], s[10:11], vcc
	s_waitcnt vmcnt(0)
	s_barrier
	s_and_saveexec_b64 s[12:13], s[6:7]
	s_xor_b64 s[6:7], exec, s[12:13]
	s_cbranch_execz .LBB67_11
; %bb.10:
	v_mov_b32_e32 v5, 0
	buffer_store_dword v5, off, s[0:3], 0 offset:16
	buffer_store_dword v5, off, s[0:3], 0 offset:20
.LBB67_11:
	s_andn2_saveexec_b64 s[6:7], s[6:7]
	s_cbranch_execz .LBB67_13
; %bb.12:
	s_lshl_b64 s[12:13], s[24:25], 8
	v_mov_b32_e32 v6, s13
	v_add_co_u32_e32 v5, vcc, s12, v2
	v_addc_co_u32_e32 v6, vcc, v3, v6, vcc
	global_load_dwordx2 v[5:6], v[5:6], off
	s_waitcnt vmcnt(0)
	buffer_store_dword v6, off, s[0:3], 0 offset:20
	buffer_store_dword v5, off, s[0:3], 0 offset:16
.LBB67_13:
	s_or_b64 exec, exec, s[6:7]
	v_add_u32_e32 v4, 48, v4
	v_cmp_le_i32_e32 vcc, s33, v4
	s_or_b64 s[6:7], s[10:11], vcc
	s_waitcnt vmcnt(0)
	s_barrier
	s_and_saveexec_b64 s[10:11], s[6:7]
	s_xor_b64 s[6:7], exec, s[10:11]
	s_cbranch_execz .LBB67_15
; %bb.14:
	v_mov_b32_e32 v2, 0
	buffer_store_dword v2, off, s[0:3], 0 offset:24
	buffer_store_dword v2, off, s[0:3], 0 offset:28
                                        ; implicit-def: $vgpr2_vgpr3
.LBB67_15:
	s_andn2_saveexec_b64 s[6:7], s[6:7]
	s_cbranch_execz .LBB67_17
; %bb.16:
	v_mov_b32_e32 v4, 0x180
	v_mad_u64_u32 v[2:3], s[10:11], s24, v4, v[2:3]
	s_mul_i32 s9, s25, 0x180
	v_add_u32_e32 v3, s9, v3
	global_load_dwordx2 v[2:3], v[2:3], off
	s_waitcnt vmcnt(0)
	buffer_store_dword v3, off, s[0:3], 0 offset:28
	buffer_store_dword v2, off, s[0:3], 0 offset:24
.LBB67_17:
	s_or_b64 exec, exec, s[6:7]
.LBB67_18:
	s_ashr_i32 s6, s33, 31
	s_lshr_b32 s6, s6, 26
	s_add_i32 s6, s33, s6
	s_andn2_b32 s6, s6, 63
	s_sub_i32 s9, s33, s6
	s_add_i32 s6, s33, -1
	s_ashr_i32 s7, s6, 31
	s_lshr_b32 s7, s7, 26
	s_add_i32 s6, s6, s7
	s_ashr_i32 s6, s6, 6
	s_cmp_eq_u32 s6, s8
	s_cselect_b64 s[6:7], -1, 0
	s_cmp_lg_u32 s9, 0
	s_cselect_b64 s[10:11], -1, 0
	s_and_b64 s[22:23], s[10:11], s[6:7]
	s_mov_b64 s[10:11], -1
	s_and_b64 vcc, exec, s[22:23]
	v_cmp_le_u32_e64 s[6:7], v0, v1
	v_lshlrev_b32_e32 v8, 3, v0
	v_lshl_add_u32 v7, v1, 6, v0
	s_cbranch_vccnz .LBB67_44
; %bb.19:
	s_add_u32 s10, s24, 1
	s_addc_u32 s11, s25, 0
	s_lshl_b32 s12, s8, 6
	s_ashr_i32 s13, s12, 31
	s_mul_hi_u32 s14, s10, s12
	s_mul_i32 s13, s10, s13
	s_add_i32 s13, s14, s13
	s_mul_i32 s11, s11, s12
	s_add_i32 s11, s13, s11
	s_mul_i32 s10, s10, s12
	s_lshl_b64 s[10:11], s[10:11], 3
	s_add_u32 s10, s94, s10
	s_addc_u32 s11, s95, s11
	v_lshlrev_b32_e32 v2, 3, v0
	v_mov_b32_e32 v3, s11
	v_add_co_u32_e32 v2, vcc, s10, v2
	v_addc_co_u32_e32 v3, vcc, 0, v3, vcc
	s_and_saveexec_b64 s[10:11], s[6:7]
	s_xor_b64 s[6:7], exec, s[10:11]
	s_cbranch_execz .LBB67_23
; %bb.20:
	v_or_b32_e32 v4, v1, v0
	v_cmp_gt_u32_e32 vcc, 64, v4
	s_and_saveexec_b64 s[10:11], vcc
; %bb.21:
	v_mov_b32_e32 v4, 0
	v_lshlrev_b32_e32 v6, 3, v7
	v_mov_b32_e32 v5, v4
	ds_write_b64 v6, v[4:5]
; %bb.22:
	s_or_b64 exec, exec, s[10:11]
.LBB67_23:
	s_andn2_saveexec_b64 s[6:7], s[6:7]
	s_cbranch_execz .LBB67_25
; %bb.24:
	v_mad_u64_u32 v[4:5], s[10:11], s24, v1, 0
	v_mad_u64_u32 v[5:6], s[10:11], s25, v1, v[5:6]
	v_lshlrev_b32_e32 v6, 3, v7
	v_lshlrev_b64 v[4:5], 3, v[4:5]
	v_add_co_u32_e32 v4, vcc, v2, v4
	v_addc_co_u32_e32 v5, vcc, v3, v5, vcc
	global_load_dwordx2 v[4:5], v[4:5], off
	s_waitcnt vmcnt(0)
	v_xor_b32_e32 v4, 0x80000000, v4
	v_xor_b32_e32 v5, 0x80000000, v5
	ds_write_b64 v6, v[4:5]
.LBB67_25:
	s_or_b64 exec, exec, s[6:7]
	v_add_u32_e32 v5, 16, v1
	v_lshl_add_u32 v4, v5, 6, v0
	v_cmp_le_u32_e32 vcc, v0, v5
	s_and_saveexec_b64 s[6:7], vcc
	s_xor_b64 s[6:7], exec, s[6:7]
	s_cbranch_execz .LBB67_29
; %bb.26:
	v_or_b32_e32 v5, v5, v0
	v_cmp_gt_u32_e32 vcc, 64, v5
	s_and_saveexec_b64 s[10:11], vcc
; %bb.27:
	v_lshlrev_b32_e32 v6, 3, v4
	v_mov_b32_e32 v4, 0
	v_mov_b32_e32 v5, v4
	ds_write_b64 v6, v[4:5]
; %bb.28:
	s_or_b64 exec, exec, s[10:11]
                                        ; implicit-def: $vgpr5
                                        ; implicit-def: $vgpr4
.LBB67_29:
	s_andn2_saveexec_b64 s[6:7], s[6:7]
	s_cbranch_execz .LBB67_31
; %bb.30:
	v_mad_u64_u32 v[9:10], s[10:11], s24, v5, 0
	v_lshlrev_b32_e32 v4, 3, v4
	v_mov_b32_e32 v6, v10
	v_mad_u64_u32 v[5:6], s[10:11], s25, v5, v[6:7]
	v_mov_b32_e32 v10, v5
	v_lshlrev_b64 v[5:6], 3, v[9:10]
	v_add_co_u32_e32 v5, vcc, v2, v5
	v_addc_co_u32_e32 v6, vcc, v3, v6, vcc
	global_load_dwordx2 v[5:6], v[5:6], off
	s_waitcnt vmcnt(0)
	v_xor_b32_e32 v5, 0x80000000, v5
	v_xor_b32_e32 v6, 0x80000000, v6
	ds_write_b64 v4, v[5:6]
.LBB67_31:
	s_or_b64 exec, exec, s[6:7]
	v_add_u32_e32 v5, 32, v1
	v_lshl_add_u32 v4, v5, 6, v0
	v_cmp_le_u32_e32 vcc, v0, v5
	s_and_saveexec_b64 s[6:7], vcc
	s_xor_b64 s[6:7], exec, s[6:7]
	s_cbranch_execz .LBB67_35
; %bb.32:
	v_or_b32_e32 v5, v5, v0
	v_cmp_gt_u32_e32 vcc, 64, v5
	s_and_saveexec_b64 s[10:11], vcc
; %bb.33:
	v_lshlrev_b32_e32 v6, 3, v4
	v_mov_b32_e32 v4, 0
	v_mov_b32_e32 v5, v4
	ds_write_b64 v6, v[4:5]
; %bb.34:
	s_or_b64 exec, exec, s[10:11]
                                        ; implicit-def: $vgpr5
                                        ; implicit-def: $vgpr4
.LBB67_35:
	s_andn2_saveexec_b64 s[6:7], s[6:7]
	s_cbranch_execz .LBB67_37
; %bb.36:
	v_mad_u64_u32 v[9:10], s[10:11], s24, v5, 0
	v_lshlrev_b32_e32 v4, 3, v4
	v_mov_b32_e32 v6, v10
	v_mad_u64_u32 v[5:6], s[10:11], s25, v5, v[6:7]
	v_mov_b32_e32 v10, v5
	v_lshlrev_b64 v[5:6], 3, v[9:10]
	v_add_co_u32_e32 v5, vcc, v2, v5
	v_addc_co_u32_e32 v6, vcc, v3, v6, vcc
	global_load_dwordx2 v[5:6], v[5:6], off
	s_waitcnt vmcnt(0)
	v_xor_b32_e32 v5, 0x80000000, v5
	v_xor_b32_e32 v6, 0x80000000, v6
	ds_write_b64 v4, v[5:6]
.LBB67_37:
	s_or_b64 exec, exec, s[6:7]
	v_add_u32_e32 v5, 48, v1
	v_lshl_add_u32 v4, v5, 6, v0
	v_cmp_le_u32_e32 vcc, v0, v5
	s_and_saveexec_b64 s[6:7], vcc
	s_xor_b64 s[6:7], exec, s[6:7]
	s_cbranch_execz .LBB67_41
; %bb.38:
	v_or_b32_e32 v2, v5, v0
	v_cmp_gt_u32_e32 vcc, 64, v2
	s_and_saveexec_b64 s[10:11], vcc
; %bb.39:
	v_mov_b32_e32 v2, 0
	v_lshlrev_b32_e32 v4, 3, v4
	v_mov_b32_e32 v3, v2
	ds_write_b64 v4, v[2:3]
; %bb.40:
	s_or_b64 exec, exec, s[10:11]
                                        ; implicit-def: $vgpr5
                                        ; implicit-def: $vgpr2
                                        ; implicit-def: $vgpr3
                                        ; implicit-def: $vgpr4
.LBB67_41:
	s_andn2_saveexec_b64 s[6:7], s[6:7]
	s_cbranch_execz .LBB67_43
; %bb.42:
	v_mad_u64_u32 v[9:10], s[10:11], s24, v5, 0
	v_lshlrev_b32_e32 v4, 3, v4
	v_mov_b32_e32 v6, v10
	v_mad_u64_u32 v[5:6], s[10:11], s25, v5, v[6:7]
	v_mov_b32_e32 v10, v5
	v_lshlrev_b64 v[5:6], 3, v[9:10]
	v_add_co_u32_e32 v2, vcc, v2, v5
	v_addc_co_u32_e32 v3, vcc, v3, v6, vcc
	global_load_dwordx2 v[2:3], v[2:3], off
	s_waitcnt vmcnt(0)
	v_xor_b32_e32 v2, 0x80000000, v2
	v_xor_b32_e32 v3, 0x80000000, v3
	ds_write_b64 v4, v[2:3]
.LBB67_43:
	s_or_b64 exec, exec, s[6:7]
	s_mov_b64 s[10:11], 0
.LBB67_44:
	s_and_b64 vcc, exec, s[10:11]
	s_cbranch_vccz .LBB67_70
; %bb.45:
	s_add_u32 s6, s24, 1
	s_addc_u32 s7, s25, 0
	s_lshl_b32 s10, s8, 6
	s_ashr_i32 s11, s10, 31
	s_mul_hi_u32 s12, s6, s10
	s_mul_i32 s11, s6, s11
	s_add_i32 s11, s12, s11
	s_mul_i32 s7, s7, s10
	s_add_i32 s7, s11, s7
	s_mul_i32 s6, s6, s10
	s_lshl_b64 s[6:7], s[6:7], 3
	s_add_u32 s6, s94, s6
	s_addc_u32 s7, s95, s7
	v_lshlrev_b32_e32 v2, 3, v0
	v_mov_b32_e32 v3, s7
	v_add_co_u32_e64 v2, s[6:7], s6, v2
	v_addc_co_u32_e64 v3, s[6:7], 0, v3, s[6:7]
	v_max_i32_e32 v4, v1, v0
	v_cmp_le_u32_e64 s[6:7], v0, v1
	v_cmp_le_i32_e64 s[10:11], s9, v4
	v_cmp_gt_i32_e32 vcc, s9, v0
	s_or_b64 s[6:7], s[10:11], s[6:7]
	s_and_saveexec_b64 s[10:11], s[6:7]
	s_xor_b64 s[10:11], exec, s[10:11]
	s_cbranch_execz .LBB67_49
; %bb.46:
	v_or_b32_e32 v4, v1, v0
	v_cmp_gt_u32_e64 s[6:7], 64, v4
	s_and_saveexec_b64 s[12:13], s[6:7]
; %bb.47:
	v_mov_b32_e32 v4, 0
	v_lshlrev_b32_e32 v6, 3, v7
	v_mov_b32_e32 v5, v4
	ds_write_b64 v6, v[4:5]
; %bb.48:
	s_or_b64 exec, exec, s[12:13]
.LBB67_49:
	s_andn2_saveexec_b64 s[10:11], s[10:11]
	s_cbranch_execz .LBB67_51
; %bb.50:
	v_mad_u64_u32 v[4:5], s[6:7], s24, v1, 0
	v_mad_u64_u32 v[5:6], s[6:7], s25, v1, v[5:6]
	v_lshlrev_b32_e32 v6, 3, v7
	v_lshlrev_b64 v[4:5], 3, v[4:5]
	v_add_co_u32_e64 v4, s[6:7], v2, v4
	v_addc_co_u32_e64 v5, s[6:7], v3, v5, s[6:7]
	global_load_dwordx2 v[4:5], v[4:5], off
	s_waitcnt vmcnt(0)
	v_xor_b32_e32 v4, 0x80000000, v4
	v_xor_b32_e32 v5, 0x80000000, v5
	ds_write_b64 v6, v[4:5]
.LBB67_51:
	s_or_b64 exec, exec, s[10:11]
	v_add_u32_e32 v5, 16, v1
	v_cmp_gt_u32_e64 s[6:7], v0, v5
	v_cmp_gt_i32_e64 s[10:11], s9, v5
	s_and_b64 s[6:7], s[6:7], s[10:11]
	s_and_b64 s[6:7], s[6:7], vcc
	v_lshl_add_u32 v4, v5, 6, v0
	s_xor_b64 s[6:7], s[6:7], -1
	s_and_saveexec_b64 s[10:11], s[6:7]
	s_xor_b64 s[10:11], exec, s[10:11]
	s_cbranch_execz .LBB67_55
; %bb.52:
	v_or_b32_e32 v5, v5, v0
	v_cmp_gt_u32_e64 s[6:7], 64, v5
	s_and_saveexec_b64 s[12:13], s[6:7]
; %bb.53:
	v_lshlrev_b32_e32 v6, 3, v4
	v_mov_b32_e32 v4, 0
	v_mov_b32_e32 v5, v4
	ds_write_b64 v6, v[4:5]
; %bb.54:
	s_or_b64 exec, exec, s[12:13]
                                        ; implicit-def: $vgpr5
                                        ; implicit-def: $vgpr4
.LBB67_55:
	s_andn2_saveexec_b64 s[10:11], s[10:11]
	s_cbranch_execz .LBB67_57
; %bb.56:
	v_mad_u64_u32 v[9:10], s[6:7], s24, v5, 0
	v_lshlrev_b32_e32 v4, 3, v4
	v_mov_b32_e32 v6, v10
	v_mad_u64_u32 v[5:6], s[6:7], s25, v5, v[6:7]
	v_mov_b32_e32 v10, v5
	v_lshlrev_b64 v[5:6], 3, v[9:10]
	v_add_co_u32_e64 v5, s[6:7], v2, v5
	v_addc_co_u32_e64 v6, s[6:7], v3, v6, s[6:7]
	global_load_dwordx2 v[5:6], v[5:6], off
	s_waitcnt vmcnt(0)
	v_xor_b32_e32 v5, 0x80000000, v5
	v_xor_b32_e32 v6, 0x80000000, v6
	ds_write_b64 v4, v[5:6]
.LBB67_57:
	s_or_b64 exec, exec, s[10:11]
	v_add_u32_e32 v5, 32, v1
	v_cmp_gt_u32_e64 s[6:7], v0, v5
	v_cmp_gt_i32_e64 s[10:11], s9, v5
	s_and_b64 s[6:7], s[6:7], s[10:11]
	s_and_b64 s[6:7], s[6:7], vcc
	v_lshl_add_u32 v4, v5, 6, v0
	s_xor_b64 s[6:7], s[6:7], -1
	s_and_saveexec_b64 s[10:11], s[6:7]
	s_xor_b64 s[10:11], exec, s[10:11]
	s_cbranch_execz .LBB67_61
; %bb.58:
	v_or_b32_e32 v5, v5, v0
	v_cmp_gt_u32_e64 s[6:7], 64, v5
	s_and_saveexec_b64 s[12:13], s[6:7]
; %bb.59:
	v_lshlrev_b32_e32 v6, 3, v4
	v_mov_b32_e32 v4, 0
	v_mov_b32_e32 v5, v4
	ds_write_b64 v6, v[4:5]
; %bb.60:
	s_or_b64 exec, exec, s[12:13]
                                        ; implicit-def: $vgpr5
                                        ; implicit-def: $vgpr4
.LBB67_61:
	s_andn2_saveexec_b64 s[10:11], s[10:11]
	s_cbranch_execz .LBB67_63
; %bb.62:
	v_mad_u64_u32 v[9:10], s[6:7], s24, v5, 0
	v_lshlrev_b32_e32 v4, 3, v4
	v_mov_b32_e32 v6, v10
	v_mad_u64_u32 v[5:6], s[6:7], s25, v5, v[6:7]
	v_mov_b32_e32 v10, v5
	v_lshlrev_b64 v[5:6], 3, v[9:10]
	v_add_co_u32_e64 v5, s[6:7], v2, v5
	v_addc_co_u32_e64 v6, s[6:7], v3, v6, s[6:7]
	global_load_dwordx2 v[5:6], v[5:6], off
	s_waitcnt vmcnt(0)
	v_xor_b32_e32 v5, 0x80000000, v5
	v_xor_b32_e32 v6, 0x80000000, v6
	ds_write_b64 v4, v[5:6]
.LBB67_63:
	s_or_b64 exec, exec, s[10:11]
	v_add_u32_e32 v5, 48, v1
	v_cmp_gt_u32_e64 s[6:7], v0, v5
	v_cmp_gt_i32_e64 s[10:11], s9, v5
	s_and_b64 s[6:7], s[6:7], s[10:11]
	s_and_b64 s[6:7], s[6:7], vcc
	v_lshl_add_u32 v4, v5, 6, v0
	s_xor_b64 s[6:7], s[6:7], -1
	s_and_saveexec_b64 s[10:11], s[6:7]
	s_xor_b64 s[6:7], exec, s[10:11]
	s_cbranch_execz .LBB67_67
; %bb.64:
	v_or_b32_e32 v2, v5, v0
	v_cmp_gt_u32_e32 vcc, 64, v2
	s_and_saveexec_b64 s[10:11], vcc
; %bb.65:
	v_mov_b32_e32 v2, 0
	v_lshlrev_b32_e32 v4, 3, v4
	v_mov_b32_e32 v3, v2
	ds_write_b64 v4, v[2:3]
; %bb.66:
	s_or_b64 exec, exec, s[10:11]
                                        ; implicit-def: $vgpr5
                                        ; implicit-def: $vgpr2
                                        ; implicit-def: $vgpr3
                                        ; implicit-def: $vgpr4
.LBB67_67:
	s_andn2_saveexec_b64 s[6:7], s[6:7]
	s_cbranch_execz .LBB67_69
; %bb.68:
	v_mad_u64_u32 v[9:10], s[10:11], s24, v5, 0
	v_lshlrev_b32_e32 v4, 3, v4
	v_mov_b32_e32 v6, v10
	v_mad_u64_u32 v[5:6], s[10:11], s25, v5, v[6:7]
	v_mov_b32_e32 v10, v5
	v_lshlrev_b64 v[5:6], 3, v[9:10]
	v_add_co_u32_e32 v2, vcc, v2, v5
	v_addc_co_u32_e32 v3, vcc, v3, v6, vcc
	global_load_dwordx2 v[2:3], v[2:3], off
	s_waitcnt vmcnt(0)
	v_xor_b32_e32 v2, 0x80000000, v2
	v_xor_b32_e32 v3, 0x80000000, v3
	ds_write_b64 v4, v[2:3]
.LBB67_69:
	s_or_b64 exec, exec, s[6:7]
.LBB67_70:
	s_cmp_lt_i32 s8, 5
	s_cselect_b64 s[6:7], -1, 0
	s_or_b64 s[26:27], s[6:7], s[22:23]
	s_and_b64 vcc, exec, s[26:27]
	s_waitcnt vmcnt(0) lgkmcnt(0)
	s_barrier
	s_cbranch_vccnz .LBB67_930
; %bb.71:
	v_or_b32_e32 v2, v0, v1
	s_mov_b32 s11, 0
	v_cmp_eq_u32_e32 vcc, 0, v2
	s_and_saveexec_b64 s[6:7], vcc
; %bb.72:
	s_mov_b32 s10, 1.0
	v_mov_b32_e32 v2, s10
	v_mov_b32_e32 v4, 0
	v_mov_b32_e32 v3, s11
	ds_write2_b64 v4, v[2:3], v[2:3] offset1:65
; %bb.73:
	s_or_b64 exec, exec, s[6:7]
	v_and_b32_e32 v9, 1, v0
	v_lshrrev_b32_e32 v6, 1, v7
	v_lshlrev_b32_e32 v2, 3, v9
	v_cmp_lt_u32_e64 s[10:11], 3, v7
	v_cmp_gt_u32_e64 s[6:7], 4, v7
	v_lshl_or_b32 v4, v6, 9, v2
	v_mov_b32_e32 v3, 0
	v_mov_b32_e32 v2, 0
	s_waitcnt lgkmcnt(0)
	s_barrier
	s_and_saveexec_b64 s[14:15], s[6:7]
	s_cbranch_execz .LBB67_77
; %bb.74:
	v_mul_u32_u24_e32 v5, 0x208, v6
	ds_read_b64 v[2:3], v4 offset:16
	ds_read_b64 v[10:11], v5
	v_cmp_gt_u32_e64 s[12:13], 2, v7
	s_waitcnt lgkmcnt(0)
	v_mul_f32_e32 v5, v11, v3
	v_mul_f32_e32 v3, v10, v3
	v_fma_f32 v5, v10, v2, -v5
	v_fmac_f32_e32 v3, v11, v2
	v_add_f32_e32 v2, 0, v5
	v_add_f32_e32 v3, 0, v3
	s_and_saveexec_b64 s[16:17], s[12:13]
	s_cbranch_execz .LBB67_76
; %bb.75:
	v_lshlrev_b32_e32 v5, 3, v0
	v_mov_b32_e32 v12, 0
	ds_read_b64 v[10:11], v5 offset:528
	ds_read_b64 v[12:13], v12 offset:8
	s_waitcnt lgkmcnt(0)
	v_mul_f32_e32 v5, v13, v11
	v_mul_f32_e32 v11, v12, v11
	v_fma_f32 v5, v12, v10, -v5
	v_fmac_f32_e32 v11, v13, v10
	v_add_f32_e32 v2, v2, v5
	v_add_f32_e32 v3, v3, v11
.LBB67_76:
	s_or_b64 exec, exec, s[16:17]
	v_xor_b32_e32 v2, 0x80000000, v2
	v_xor_b32_e32 v3, 0x80000000, v3
.LBB67_77:
	s_or_b64 exec, exec, s[14:15]
	v_mov_b32_e32 v5, 0x8000
	v_cmp_eq_u32_e64 s[12:13], 0, v9
	s_xor_b64 s[14:15], s[10:11], -1
	v_lshl_add_u32 v5, v6, 3, v5
	s_and_b64 s[34:35], s[12:13], s[14:15]
	s_and_saveexec_b64 s[10:11], s[34:35]
; %bb.78:
	ds_write_b64 v5, v[2:3]
; %bb.79:
	s_or_b64 exec, exec, s[10:11]
	v_cmp_ne_u32_e64 s[10:11], 0, v9
	s_and_b64 s[30:31], s[10:11], s[14:15]
	s_waitcnt lgkmcnt(0)
	s_barrier
	s_and_saveexec_b64 s[10:11], s[30:31]
	s_cbranch_execz .LBB67_81
; %bb.80:
	v_mov_b32_e32 v9, 0
	ds_read_b64 v[9:10], v9 offset:1048
	ds_read_b64 v[11:12], v5
	s_waitcnt lgkmcnt(0)
	v_mul_f32_e32 v13, v12, v10
	v_mul_f32_e32 v10, v11, v10
	v_fma_f32 v11, v11, v9, -v13
	v_fmac_f32_e32 v10, v12, v9
	v_add_f32_e32 v2, v2, v11
	v_add_f32_e32 v3, v3, v10
.LBB67_81:
	s_or_b64 exec, exec, s[10:11]
	s_barrier
	s_and_saveexec_b64 s[10:11], s[30:31]
; %bb.82:
	ds_write_b64 v5, v[2:3]
; %bb.83:
	s_or_b64 exec, exec, s[10:11]
	s_waitcnt lgkmcnt(0)
	s_barrier
	s_barrier
	s_and_saveexec_b64 s[10:11], s[6:7]
; %bb.84:
	v_xor_b32_e32 v3, 0x80000000, v3
	v_xor_b32_e32 v2, 0x80000000, v2
	ds_write_b64 v4, v[2:3] offset:16
; %bb.85:
	s_or_b64 exec, exec, s[10:11]
	s_waitcnt lgkmcnt(0)
	s_barrier
	s_barrier
	s_and_saveexec_b64 s[10:11], vcc
; %bb.86:
	s_mov_b64 s[12:13], 0x3f800000
	v_mov_b32_e32 v2, s12
	v_mov_b32_e32 v9, 0
	;; [unrolled: 1-line block ×3, first 2 shown]
	ds_write2_b64 v9, v[2:3], v[2:3] offset0:130 offset1:195
; %bb.87:
	s_or_b64 exec, exec, s[10:11]
	v_and_b32_e32 v12, 3, v0
	v_lshrrev_b32_e32 v13, 2, v7
	v_lshlrev_b32_e32 v10, 3, v12
	v_cmp_lt_u32_e64 s[10:11], 15, v7
	v_cmp_gt_u32_e64 s[18:19], 16, v7
	v_lshl_or_b32 v9, v13, 9, v10
	v_mov_b32_e32 v3, 0
	v_mov_b32_e32 v2, 0
	s_waitcnt lgkmcnt(0)
	s_barrier
	s_and_saveexec_b64 s[14:15], s[18:19]
	s_cbranch_execz .LBB67_93
; %bb.88:
	v_mul_u32_u24_e32 v11, 0x208, v13
	ds_read_b64 v[2:3], v9 offset:32
	ds_read_b64 v[14:15], v11
	v_cmp_gt_u32_e64 s[12:13], 12, v7
	s_waitcnt lgkmcnt(0)
	v_mul_f32_e32 v16, v15, v3
	v_mul_f32_e32 v3, v14, v3
	v_fma_f32 v14, v14, v2, -v16
	v_fmac_f32_e32 v3, v15, v2
	v_add_f32_e32 v2, 0, v14
	v_add_f32_e32 v3, 0, v3
	s_and_saveexec_b64 s[16:17], s[12:13]
	s_cbranch_execnz .LBB67_990
; %bb.89:
	s_or_b64 exec, exec, s[16:17]
	v_cmp_gt_u32_e64 s[12:13], 8, v7
	s_and_saveexec_b64 s[16:17], s[12:13]
	s_cbranch_execnz .LBB67_991
.LBB67_90:
	s_or_b64 exec, exec, s[16:17]
	v_cmp_gt_u32_e64 s[12:13], 4, v7
	s_and_saveexec_b64 s[16:17], s[12:13]
	s_cbranch_execz .LBB67_92
.LBB67_91:
	v_lshlrev_b32_e32 v11, 3, v0
	v_mov_b32_e32 v16, 0
	ds_read_b64 v[14:15], v11 offset:1568
	ds_read_b64 v[16:17], v16 offset:24
	s_waitcnt lgkmcnt(0)
	v_mul_f32_e32 v11, v17, v15
	v_mul_f32_e32 v15, v16, v15
	v_fma_f32 v11, v16, v14, -v11
	v_fmac_f32_e32 v15, v17, v14
	v_add_f32_e32 v2, v2, v11
	v_add_f32_e32 v3, v3, v15
.LBB67_92:
	s_or_b64 exec, exec, s[16:17]
	v_xor_b32_e32 v2, 0x80000000, v2
	v_xor_b32_e32 v3, 0x80000000, v3
.LBB67_93:
	s_or_b64 exec, exec, s[14:15]
	v_mov_b32_e32 v11, 0x8000
	v_cmp_eq_u32_e64 s[12:13], 0, v12
	s_xor_b64 s[14:15], s[10:11], -1
	v_lshl_add_u32 v11, v13, 3, v11
	s_and_b64 s[38:39], s[12:13], s[14:15]
	s_and_saveexec_b64 s[10:11], s[38:39]
; %bb.94:
	ds_write_b64 v11, v[2:3]
; %bb.95:
	s_or_b64 exec, exec, s[10:11]
	v_cmp_ne_u32_e64 s[10:11], 0, v12
	s_and_b64 s[40:41], s[10:11], s[14:15]
	s_waitcnt lgkmcnt(0)
	s_barrier
	s_and_saveexec_b64 s[10:11], s[40:41]
	s_cbranch_execz .LBB67_97
; %bb.96:
	ds_read_b64 v[14:15], v10 offset:2080
	ds_read_b64 v[16:17], v11
	s_waitcnt lgkmcnt(0)
	v_mul_f32_e32 v18, v17, v15
	v_mul_f32_e32 v15, v16, v15
	v_fma_f32 v16, v16, v14, -v18
	v_fmac_f32_e32 v15, v17, v14
	v_add_f32_e32 v2, v2, v16
	v_add_f32_e32 v3, v3, v15
.LBB67_97:
	s_or_b64 exec, exec, s[10:11]
	v_cmp_eq_u32_e64 s[10:11], 1, v12
	s_and_b64 s[42:43], s[10:11], s[14:15]
	s_barrier
	s_and_saveexec_b64 s[10:11], s[42:43]
; %bb.98:
	ds_write_b64 v11, v[2:3]
; %bb.99:
	s_or_b64 exec, exec, s[10:11]
	v_cmp_lt_u32_e64 s[10:11], 1, v12
	s_and_b64 s[44:45], s[10:11], s[14:15]
	s_waitcnt lgkmcnt(0)
	s_barrier
	s_and_saveexec_b64 s[10:11], s[44:45]
	s_cbranch_execz .LBB67_101
; %bb.100:
	ds_read_b64 v[14:15], v10 offset:2592
	ds_read_b64 v[16:17], v11
	s_waitcnt lgkmcnt(0)
	v_mul_f32_e32 v18, v17, v15
	v_mul_f32_e32 v15, v16, v15
	v_fma_f32 v16, v16, v14, -v18
	v_fmac_f32_e32 v15, v17, v14
	v_add_f32_e32 v2, v2, v16
	v_add_f32_e32 v3, v3, v15
.LBB67_101:
	s_or_b64 exec, exec, s[10:11]
	v_cmp_eq_u32_e64 s[10:11], 2, v12
	s_and_b64 s[46:47], s[10:11], s[14:15]
	s_barrier
	s_and_saveexec_b64 s[10:11], s[46:47]
; %bb.102:
	ds_write_b64 v11, v[2:3]
; %bb.103:
	s_or_b64 exec, exec, s[10:11]
	v_cmp_eq_u32_e64 s[10:11], 3, v12
	s_and_b64 s[36:37], s[10:11], s[14:15]
	s_waitcnt lgkmcnt(0)
	s_barrier
	s_and_saveexec_b64 s[10:11], s[36:37]
	s_cbranch_execz .LBB67_105
; %bb.104:
	v_mov_b32_e32 v14, 0
	ds_read_b64 v[14:15], v14 offset:3128
	ds_read_b64 v[16:17], v11
	s_waitcnt lgkmcnt(0)
	v_mul_f32_e32 v18, v17, v15
	v_mul_f32_e32 v15, v16, v15
	v_fma_f32 v16, v16, v14, -v18
	v_fmac_f32_e32 v15, v17, v14
	v_add_f32_e32 v2, v2, v16
	v_add_f32_e32 v3, v3, v15
.LBB67_105:
	s_or_b64 exec, exec, s[10:11]
	s_barrier
	s_and_saveexec_b64 s[10:11], s[36:37]
; %bb.106:
	ds_write_b64 v11, v[2:3]
; %bb.107:
	s_or_b64 exec, exec, s[10:11]
	s_waitcnt lgkmcnt(0)
	s_barrier
	s_barrier
	s_and_saveexec_b64 s[10:11], s[18:19]
; %bb.108:
	v_xor_b32_e32 v2, 0x80000000, v2
	v_xor_b32_e32 v3, 0x80000000, v3
	ds_write_b64 v9, v[2:3] offset:32
; %bb.109:
	s_or_b64 exec, exec, s[10:11]
	s_waitcnt lgkmcnt(0)
	s_barrier
	s_barrier
	s_and_saveexec_b64 s[10:11], vcc
	s_cbranch_execz .LBB67_111
; %bb.110:
	s_mov_b64 s[12:13], 0x3f800000
	v_mov_b32_e32 v2, s12
	v_mov_b32_e32 v3, s13
	s_movk_i32 s12, 0x800
	v_add_u32_e64 v14, s12, 0
	ds_write2_b64 v14, v[2:3], v[2:3] offset0:4 offset1:69
.LBB67_111:
	s_or_b64 exec, exec, s[10:11]
	v_mov_b32_e32 v3, 0
	v_mov_b32_e32 v2, 0
	s_waitcnt lgkmcnt(0)
	s_barrier
	s_and_saveexec_b64 s[12:13], s[6:7]
	s_cbranch_execz .LBB67_115
; %bb.112:
	v_mul_u32_u24_e32 v14, 0x208, v6
	ds_read_b64 v[2:3], v4 offset:2096
	ds_read_b64 v[14:15], v14 offset:2080
	v_cmp_gt_u32_e64 s[10:11], 2, v7
	s_waitcnt lgkmcnt(0)
	v_mul_f32_e32 v16, v15, v3
	v_mul_f32_e32 v3, v14, v3
	v_fma_f32 v14, v14, v2, -v16
	v_fmac_f32_e32 v3, v15, v2
	v_add_f32_e32 v2, 0, v14
	v_add_f32_e32 v3, 0, v3
	s_and_saveexec_b64 s[14:15], s[10:11]
	s_cbranch_execz .LBB67_114
; %bb.113:
	v_lshlrev_b32_e32 v14, 3, v0
	v_mov_b32_e32 v16, 0
	ds_read_b64 v[14:15], v14 offset:2608
	ds_read_b64 v[16:17], v16 offset:2088
	s_waitcnt lgkmcnt(0)
	v_mul_f32_e32 v18, v17, v15
	v_mul_f32_e32 v15, v16, v15
	v_fma_f32 v16, v16, v14, -v18
	v_fmac_f32_e32 v15, v17, v14
	v_add_f32_e32 v2, v2, v16
	v_add_f32_e32 v3, v3, v15
.LBB67_114:
	s_or_b64 exec, exec, s[14:15]
	v_xor_b32_e32 v2, 0x80000000, v2
	v_xor_b32_e32 v3, 0x80000000, v3
.LBB67_115:
	s_or_b64 exec, exec, s[12:13]
	s_and_saveexec_b64 s[10:11], s[34:35]
; %bb.116:
	ds_write_b64 v5, v[2:3]
; %bb.117:
	s_or_b64 exec, exec, s[10:11]
	s_waitcnt lgkmcnt(0)
	s_barrier
	s_and_saveexec_b64 s[10:11], s[30:31]
	s_cbranch_execz .LBB67_119
; %bb.118:
	v_mov_b32_e32 v14, 0
	ds_read_b64 v[14:15], v14 offset:3128
	ds_read_b64 v[16:17], v5
	s_waitcnt lgkmcnt(0)
	v_mul_f32_e32 v18, v17, v15
	v_mul_f32_e32 v15, v16, v15
	v_fma_f32 v16, v16, v14, -v18
	v_fmac_f32_e32 v15, v17, v14
	v_add_f32_e32 v2, v2, v16
	v_add_f32_e32 v3, v3, v15
.LBB67_119:
	s_or_b64 exec, exec, s[10:11]
	s_barrier
	s_and_saveexec_b64 s[10:11], s[30:31]
; %bb.120:
	ds_write_b64 v5, v[2:3]
; %bb.121:
	s_or_b64 exec, exec, s[10:11]
	s_waitcnt lgkmcnt(0)
	s_barrier
	s_barrier
	s_and_saveexec_b64 s[10:11], s[6:7]
; %bb.122:
	v_xor_b32_e32 v3, 0x80000000, v3
	v_xor_b32_e32 v2, 0x80000000, v2
	ds_write_b64 v4, v[2:3] offset:2096
; %bb.123:
	s_or_b64 exec, exec, s[10:11]
	s_waitcnt lgkmcnt(0)
	s_barrier
	s_barrier
	s_and_saveexec_b64 s[10:11], vcc
	s_cbranch_execz .LBB67_125
; %bb.124:
	s_mov_b64 s[12:13], 0x3f800000
	v_mov_b32_e32 v2, s12
	v_mov_b32_e32 v3, s13
	s_movk_i32 s12, 0x800
	v_add_u32_e64 v14, s12, 0
	ds_write2_b64 v14, v[2:3], v[2:3] offset0:134 offset1:199
.LBB67_125:
	s_or_b64 exec, exec, s[10:11]
	v_and_b32_e32 v17, 7, v0
	v_lshrrev_b32_e32 v18, 3, v7
	v_lshlrev_b32_e32 v15, 3, v17
	v_cmp_lt_u32_e64 s[12:13], 63, v7
	v_cmp_gt_u32_e64 s[10:11], 64, v7
	v_lshl_or_b32 v14, v18, 9, v15
	v_mov_b32_e32 v3, 0
	v_mov_b32_e32 v2, 0
	s_waitcnt lgkmcnt(0)
	s_barrier
	s_and_saveexec_b64 s[16:17], s[10:11]
	s_cbranch_execz .LBB67_135
; %bb.126:
	v_mul_u32_u24_e32 v16, 0x208, v18
	ds_read_b64 v[2:3], v14 offset:64
	ds_read_b64 v[19:20], v16
	v_cmp_gt_u32_e64 s[14:15], 56, v7
	s_waitcnt lgkmcnt(0)
	v_mul_f32_e32 v21, v20, v3
	v_mul_f32_e32 v3, v19, v3
	v_fma_f32 v19, v19, v2, -v21
	v_fmac_f32_e32 v3, v20, v2
	v_add_f32_e32 v2, 0, v19
	v_add_f32_e32 v3, 0, v3
	s_and_saveexec_b64 s[20:21], s[14:15]
	s_cbranch_execnz .LBB67_992
; %bb.127:
	s_or_b64 exec, exec, s[20:21]
	v_cmp_gt_u32_e64 s[14:15], 48, v7
	s_and_saveexec_b64 s[20:21], s[14:15]
	s_cbranch_execnz .LBB67_993
.LBB67_128:
	s_or_b64 exec, exec, s[20:21]
	v_cmp_gt_u32_e64 s[14:15], 40, v7
	s_and_saveexec_b64 s[20:21], s[14:15]
	s_cbranch_execnz .LBB67_994
.LBB67_129:
	s_or_b64 exec, exec, s[20:21]
	v_cmp_gt_u32_e64 s[14:15], 32, v7
	s_and_saveexec_b64 s[20:21], s[14:15]
	s_cbranch_execnz .LBB67_995
.LBB67_130:
	s_or_b64 exec, exec, s[20:21]
	v_cmp_gt_u32_e64 s[14:15], 24, v7
	s_and_saveexec_b64 s[20:21], s[14:15]
	s_cbranch_execnz .LBB67_996
.LBB67_131:
	s_or_b64 exec, exec, s[20:21]
	v_cmp_gt_u32_e64 s[14:15], 16, v7
	s_and_saveexec_b64 s[20:21], s[14:15]
	s_cbranch_execnz .LBB67_997
.LBB67_132:
	s_or_b64 exec, exec, s[20:21]
	v_cmp_gt_u32_e64 s[14:15], 8, v7
	s_and_saveexec_b64 s[20:21], s[14:15]
	s_cbranch_execz .LBB67_134
.LBB67_133:
	v_lshlrev_b32_e32 v16, 3, v0
	v_mov_b32_e32 v21, 0
	ds_read_b64 v[19:20], v16 offset:3648
	ds_read_b64 v[21:22], v21 offset:56
	s_waitcnt lgkmcnt(0)
	v_mul_f32_e32 v16, v22, v20
	v_mul_f32_e32 v20, v21, v20
	v_fma_f32 v16, v21, v19, -v16
	v_fmac_f32_e32 v20, v22, v19
	v_add_f32_e32 v2, v2, v16
	v_add_f32_e32 v3, v3, v20
.LBB67_134:
	s_or_b64 exec, exec, s[20:21]
	v_xor_b32_e32 v2, 0x80000000, v2
	v_xor_b32_e32 v3, 0x80000000, v3
.LBB67_135:
	s_or_b64 exec, exec, s[16:17]
	v_mov_b32_e32 v16, 0x8000
	v_cmp_eq_u32_e64 s[14:15], 0, v17
	s_xor_b64 s[16:17], s[12:13], -1
	v_lshl_add_u32 v16, v18, 3, v16
	s_and_b64 s[50:51], s[14:15], s[16:17]
	s_and_saveexec_b64 s[12:13], s[50:51]
; %bb.136:
	ds_write_b64 v16, v[2:3]
; %bb.137:
	s_or_b64 exec, exec, s[12:13]
	v_cmp_ne_u32_e64 s[12:13], 0, v17
	s_and_b64 s[52:53], s[12:13], s[16:17]
	s_waitcnt lgkmcnt(0)
	s_barrier
	s_and_saveexec_b64 s[12:13], s[52:53]
	s_cbranch_execz .LBB67_139
; %bb.138:
	ds_read_b64 v[19:20], v15 offset:4160
	ds_read_b64 v[21:22], v16
	s_waitcnt lgkmcnt(0)
	v_mul_f32_e32 v23, v22, v20
	v_mul_f32_e32 v20, v21, v20
	v_fma_f32 v21, v21, v19, -v23
	v_fmac_f32_e32 v20, v22, v19
	v_add_f32_e32 v2, v2, v21
	v_add_f32_e32 v3, v3, v20
.LBB67_139:
	s_or_b64 exec, exec, s[12:13]
	v_cmp_eq_u32_e64 s[12:13], 1, v17
	s_and_b64 s[54:55], s[12:13], s[16:17]
	s_barrier
	s_and_saveexec_b64 s[12:13], s[54:55]
; %bb.140:
	ds_write_b64 v16, v[2:3]
; %bb.141:
	s_or_b64 exec, exec, s[12:13]
	v_cmp_lt_u32_e64 s[12:13], 1, v17
	s_and_b64 s[56:57], s[12:13], s[16:17]
	s_waitcnt lgkmcnt(0)
	s_barrier
	s_and_saveexec_b64 s[12:13], s[56:57]
	s_cbranch_execz .LBB67_143
; %bb.142:
	ds_read_b64 v[19:20], v15 offset:4672
	ds_read_b64 v[21:22], v16
	s_waitcnt lgkmcnt(0)
	v_mul_f32_e32 v23, v22, v20
	v_mul_f32_e32 v20, v21, v20
	v_fma_f32 v21, v21, v19, -v23
	v_fmac_f32_e32 v20, v22, v19
	v_add_f32_e32 v2, v2, v21
	v_add_f32_e32 v3, v3, v20
.LBB67_143:
	s_or_b64 exec, exec, s[12:13]
	v_cmp_eq_u32_e64 s[12:13], 2, v17
	s_and_b64 s[58:59], s[12:13], s[16:17]
	s_barrier
	s_and_saveexec_b64 s[12:13], s[58:59]
; %bb.144:
	ds_write_b64 v16, v[2:3]
; %bb.145:
	s_or_b64 exec, exec, s[12:13]
	v_cmp_lt_u32_e64 s[12:13], 2, v17
	;; [unrolled: 26-line block ×5, first 2 shown]
	s_and_b64 s[72:73], s[12:13], s[16:17]
	s_waitcnt lgkmcnt(0)
	s_barrier
	s_and_saveexec_b64 s[12:13], s[72:73]
	s_cbranch_execz .LBB67_159
; %bb.158:
	ds_read_b64 v[19:20], v15 offset:6720
	ds_read_b64 v[21:22], v16
	s_waitcnt lgkmcnt(0)
	v_mul_f32_e32 v23, v22, v20
	v_mul_f32_e32 v20, v21, v20
	v_fma_f32 v21, v21, v19, -v23
	v_fmac_f32_e32 v20, v22, v19
	v_add_f32_e32 v2, v2, v21
	v_add_f32_e32 v3, v3, v20
.LBB67_159:
	s_or_b64 exec, exec, s[12:13]
	v_cmp_eq_u32_e64 s[12:13], 6, v17
	s_and_b64 s[74:75], s[12:13], s[16:17]
	s_barrier
	s_and_saveexec_b64 s[12:13], s[74:75]
; %bb.160:
	ds_write_b64 v16, v[2:3]
; %bb.161:
	s_or_b64 exec, exec, s[12:13]
	v_cmp_eq_u32_e64 s[12:13], 7, v17
	s_and_b64 s[48:49], s[12:13], s[16:17]
	s_waitcnt lgkmcnt(0)
	s_barrier
	s_and_saveexec_b64 s[12:13], s[48:49]
	s_cbranch_execz .LBB67_163
; %bb.162:
	v_mov_b32_e32 v19, 0
	ds_read_b64 v[19:20], v19 offset:7288
	ds_read_b64 v[21:22], v16
	s_waitcnt lgkmcnt(0)
	v_mul_f32_e32 v23, v22, v20
	v_mul_f32_e32 v20, v21, v20
	v_fma_f32 v21, v21, v19, -v23
	v_fmac_f32_e32 v20, v22, v19
	v_add_f32_e32 v2, v2, v21
	v_add_f32_e32 v3, v3, v20
.LBB67_163:
	s_or_b64 exec, exec, s[12:13]
	s_barrier
	s_and_saveexec_b64 s[12:13], s[48:49]
; %bb.164:
	ds_write_b64 v16, v[2:3]
; %bb.165:
	s_or_b64 exec, exec, s[12:13]
	s_waitcnt lgkmcnt(0)
	s_barrier
	s_barrier
	s_and_saveexec_b64 s[12:13], s[10:11]
; %bb.166:
	v_xor_b32_e32 v3, 0x80000000, v3
	v_xor_b32_e32 v2, 0x80000000, v2
	ds_write_b64 v14, v[2:3] offset:64
; %bb.167:
	s_or_b64 exec, exec, s[12:13]
	s_waitcnt lgkmcnt(0)
	s_barrier
	s_barrier
	s_and_saveexec_b64 s[12:13], vcc
	s_cbranch_execz .LBB67_169
; %bb.168:
	s_mov_b64 s[14:15], 0x3f800000
	v_mov_b32_e32 v2, s14
	v_mov_b32_e32 v3, s15
	s_movk_i32 s14, 0x1000
	v_add_u32_e64 v19, s14, 0
	ds_write2_b64 v19, v[2:3], v[2:3] offset0:8 offset1:73
.LBB67_169:
	s_or_b64 exec, exec, s[12:13]
	v_mov_b32_e32 v3, 0
	v_mov_b32_e32 v2, 0
	s_waitcnt lgkmcnt(0)
	s_barrier
	s_and_saveexec_b64 s[14:15], s[6:7]
	s_cbranch_execz .LBB67_173
; %bb.170:
	v_mul_u32_u24_e32 v19, 0x208, v6
	ds_read_b64 v[2:3], v4 offset:4176
	ds_read_b64 v[19:20], v19 offset:4160
	v_cmp_gt_u32_e64 s[12:13], 2, v7
	s_waitcnt lgkmcnt(0)
	v_mul_f32_e32 v21, v20, v3
	v_mul_f32_e32 v3, v19, v3
	v_fma_f32 v19, v19, v2, -v21
	v_fmac_f32_e32 v3, v20, v2
	v_add_f32_e32 v2, 0, v19
	v_add_f32_e32 v3, 0, v3
	s_and_saveexec_b64 s[16:17], s[12:13]
	s_cbranch_execz .LBB67_172
; %bb.171:
	v_lshlrev_b32_e32 v19, 3, v0
	v_mov_b32_e32 v21, 0
	ds_read_b64 v[19:20], v19 offset:4688
	ds_read_b64 v[21:22], v21 offset:4168
	s_waitcnt lgkmcnt(0)
	v_mul_f32_e32 v23, v22, v20
	v_mul_f32_e32 v20, v21, v20
	v_fma_f32 v21, v21, v19, -v23
	v_fmac_f32_e32 v20, v22, v19
	v_add_f32_e32 v2, v2, v21
	v_add_f32_e32 v3, v3, v20
.LBB67_172:
	s_or_b64 exec, exec, s[16:17]
	v_xor_b32_e32 v2, 0x80000000, v2
	v_xor_b32_e32 v3, 0x80000000, v3
.LBB67_173:
	s_or_b64 exec, exec, s[14:15]
	s_and_saveexec_b64 s[12:13], s[34:35]
; %bb.174:
	ds_write_b64 v5, v[2:3]
; %bb.175:
	s_or_b64 exec, exec, s[12:13]
	s_waitcnt lgkmcnt(0)
	s_barrier
	s_and_saveexec_b64 s[12:13], s[30:31]
	s_cbranch_execz .LBB67_177
; %bb.176:
	v_mov_b32_e32 v19, 0
	ds_read_b64 v[19:20], v19 offset:5208
	ds_read_b64 v[21:22], v5
	s_waitcnt lgkmcnt(0)
	v_mul_f32_e32 v23, v22, v20
	v_mul_f32_e32 v20, v21, v20
	v_fma_f32 v21, v21, v19, -v23
	v_fmac_f32_e32 v20, v22, v19
	v_add_f32_e32 v2, v2, v21
	v_add_f32_e32 v3, v3, v20
.LBB67_177:
	s_or_b64 exec, exec, s[12:13]
	s_barrier
	s_and_saveexec_b64 s[12:13], s[30:31]
; %bb.178:
	ds_write_b64 v5, v[2:3]
; %bb.179:
	s_or_b64 exec, exec, s[12:13]
	s_waitcnt lgkmcnt(0)
	s_barrier
	s_barrier
	s_and_saveexec_b64 s[12:13], s[6:7]
; %bb.180:
	v_xor_b32_e32 v3, 0x80000000, v3
	v_xor_b32_e32 v2, 0x80000000, v2
	ds_write_b64 v4, v[2:3] offset:4176
; %bb.181:
	s_or_b64 exec, exec, s[12:13]
	s_waitcnt lgkmcnt(0)
	s_barrier
	s_barrier
	s_and_saveexec_b64 s[12:13], vcc
	s_cbranch_execz .LBB67_183
; %bb.182:
	s_mov_b64 s[14:15], 0x3f800000
	v_mov_b32_e32 v2, s14
	v_mov_b32_e32 v3, s15
	s_movk_i32 s14, 0x1000
	v_add_u32_e64 v19, s14, 0
	ds_write2_b64 v19, v[2:3], v[2:3] offset0:138 offset1:203
.LBB67_183:
	s_or_b64 exec, exec, s[12:13]
	v_mov_b32_e32 v3, 0
	v_mov_b32_e32 v2, 0
	s_waitcnt lgkmcnt(0)
	s_barrier
	s_and_saveexec_b64 s[14:15], s[18:19]
	s_cbranch_execz .LBB67_189
; %bb.184:
	v_mul_u32_u24_e32 v19, 0x208, v13
	ds_read_b64 v[2:3], v9 offset:4192
	ds_read_b64 v[20:21], v19 offset:4160
	v_cmp_gt_u32_e64 s[12:13], 12, v7
	s_waitcnt lgkmcnt(0)
	v_mul_f32_e32 v22, v21, v3
	v_mul_f32_e32 v3, v20, v3
	v_fma_f32 v20, v20, v2, -v22
	v_fmac_f32_e32 v3, v21, v2
	v_add_f32_e32 v2, 0, v20
	v_add_f32_e32 v3, 0, v3
	s_and_saveexec_b64 s[16:17], s[12:13]
	s_cbranch_execnz .LBB67_998
; %bb.185:
	s_or_b64 exec, exec, s[16:17]
	v_cmp_gt_u32_e64 s[12:13], 8, v7
	s_and_saveexec_b64 s[16:17], s[12:13]
	s_cbranch_execnz .LBB67_999
.LBB67_186:
	s_or_b64 exec, exec, s[16:17]
	v_cmp_gt_u32_e64 s[12:13], 4, v7
	s_and_saveexec_b64 s[16:17], s[12:13]
	s_cbranch_execz .LBB67_188
.LBB67_187:
	v_lshlrev_b32_e32 v19, 3, v0
	v_mov_b32_e32 v21, 0
	ds_read_b64 v[19:20], v19 offset:5728
	ds_read_b64 v[21:22], v21 offset:4184
	s_waitcnt lgkmcnt(0)
	v_mul_f32_e32 v23, v22, v20
	v_mul_f32_e32 v20, v21, v20
	v_fma_f32 v21, v21, v19, -v23
	v_fmac_f32_e32 v20, v22, v19
	v_add_f32_e32 v2, v2, v21
	v_add_f32_e32 v3, v3, v20
.LBB67_188:
	s_or_b64 exec, exec, s[16:17]
	v_xor_b32_e32 v2, 0x80000000, v2
	v_xor_b32_e32 v3, 0x80000000, v3
.LBB67_189:
	s_or_b64 exec, exec, s[14:15]
	s_and_saveexec_b64 s[12:13], s[38:39]
; %bb.190:
	ds_write_b64 v11, v[2:3]
; %bb.191:
	s_or_b64 exec, exec, s[12:13]
	s_waitcnt lgkmcnt(0)
	s_barrier
	s_and_saveexec_b64 s[12:13], s[40:41]
	s_cbranch_execz .LBB67_193
; %bb.192:
	ds_read_b64 v[19:20], v10 offset:6240
	ds_read_b64 v[21:22], v11
	s_waitcnt lgkmcnt(0)
	v_mul_f32_e32 v23, v22, v20
	v_mul_f32_e32 v20, v21, v20
	v_fma_f32 v21, v21, v19, -v23
	v_fmac_f32_e32 v20, v22, v19
	v_add_f32_e32 v2, v2, v21
	v_add_f32_e32 v3, v3, v20
.LBB67_193:
	s_or_b64 exec, exec, s[12:13]
	s_barrier
	s_and_saveexec_b64 s[12:13], s[42:43]
; %bb.194:
	ds_write_b64 v11, v[2:3]
; %bb.195:
	s_or_b64 exec, exec, s[12:13]
	s_waitcnt lgkmcnt(0)
	s_barrier
	s_and_saveexec_b64 s[12:13], s[44:45]
	s_cbranch_execz .LBB67_197
; %bb.196:
	ds_read_b64 v[19:20], v10 offset:6752
	ds_read_b64 v[21:22], v11
	s_waitcnt lgkmcnt(0)
	v_mul_f32_e32 v23, v22, v20
	v_mul_f32_e32 v20, v21, v20
	v_fma_f32 v21, v21, v19, -v23
	v_fmac_f32_e32 v20, v22, v19
	v_add_f32_e32 v2, v2, v21
	v_add_f32_e32 v3, v3, v20
.LBB67_197:
	s_or_b64 exec, exec, s[12:13]
	s_barrier
	s_and_saveexec_b64 s[12:13], s[46:47]
; %bb.198:
	ds_write_b64 v11, v[2:3]
; %bb.199:
	s_or_b64 exec, exec, s[12:13]
	s_waitcnt lgkmcnt(0)
	s_barrier
	s_and_saveexec_b64 s[12:13], s[36:37]
	s_cbranch_execz .LBB67_201
; %bb.200:
	v_mov_b32_e32 v19, 0
	ds_read_b64 v[19:20], v19 offset:7288
	ds_read_b64 v[21:22], v11
	s_waitcnt lgkmcnt(0)
	v_mul_f32_e32 v23, v22, v20
	v_mul_f32_e32 v20, v21, v20
	v_fma_f32 v21, v21, v19, -v23
	v_fmac_f32_e32 v20, v22, v19
	v_add_f32_e32 v2, v2, v21
	v_add_f32_e32 v3, v3, v20
.LBB67_201:
	s_or_b64 exec, exec, s[12:13]
	s_barrier
	s_and_saveexec_b64 s[12:13], s[36:37]
; %bb.202:
	ds_write_b64 v11, v[2:3]
; %bb.203:
	s_or_b64 exec, exec, s[12:13]
	s_waitcnt lgkmcnt(0)
	s_barrier
	s_barrier
	s_and_saveexec_b64 s[12:13], s[18:19]
; %bb.204:
	v_xor_b32_e32 v2, 0x80000000, v2
	v_xor_b32_e32 v3, 0x80000000, v3
	ds_write_b64 v9, v[2:3] offset:4192
; %bb.205:
	s_or_b64 exec, exec, s[12:13]
	s_waitcnt lgkmcnt(0)
	s_barrier
	s_barrier
	s_and_saveexec_b64 s[12:13], vcc
	s_cbranch_execz .LBB67_207
; %bb.206:
	s_mov_b64 s[14:15], 0x3f800000
	v_mov_b32_e32 v2, s14
	v_mov_b32_e32 v3, s15
	s_movk_i32 s14, 0x1800
	v_add_u32_e64 v19, s14, 0
	ds_write2_b64 v19, v[2:3], v[2:3] offset0:12 offset1:77
.LBB67_207:
	s_or_b64 exec, exec, s[12:13]
	v_mov_b32_e32 v3, 0
	v_mov_b32_e32 v2, 0
	s_waitcnt lgkmcnt(0)
	s_barrier
	s_and_saveexec_b64 s[14:15], s[6:7]
	s_cbranch_execz .LBB67_211
; %bb.208:
	v_mul_u32_u24_e32 v19, 0x208, v6
	ds_read_b64 v[2:3], v4 offset:6256
	ds_read_b64 v[19:20], v19 offset:6240
	v_cmp_gt_u32_e64 s[12:13], 2, v7
	s_waitcnt lgkmcnt(0)
	v_mul_f32_e32 v21, v20, v3
	v_mul_f32_e32 v3, v19, v3
	v_fma_f32 v19, v19, v2, -v21
	v_fmac_f32_e32 v3, v20, v2
	v_add_f32_e32 v2, 0, v19
	v_add_f32_e32 v3, 0, v3
	s_and_saveexec_b64 s[16:17], s[12:13]
	s_cbranch_execz .LBB67_210
; %bb.209:
	v_lshlrev_b32_e32 v19, 3, v0
	v_mov_b32_e32 v21, 0
	ds_read_b64 v[19:20], v19 offset:6768
	ds_read_b64 v[21:22], v21 offset:6248
	s_waitcnt lgkmcnt(0)
	v_mul_f32_e32 v23, v22, v20
	v_mul_f32_e32 v20, v21, v20
	v_fma_f32 v21, v21, v19, -v23
	v_fmac_f32_e32 v20, v22, v19
	v_add_f32_e32 v2, v2, v21
	v_add_f32_e32 v3, v3, v20
.LBB67_210:
	s_or_b64 exec, exec, s[16:17]
	v_xor_b32_e32 v2, 0x80000000, v2
	v_xor_b32_e32 v3, 0x80000000, v3
.LBB67_211:
	s_or_b64 exec, exec, s[14:15]
	s_and_saveexec_b64 s[12:13], s[34:35]
; %bb.212:
	ds_write_b64 v5, v[2:3]
; %bb.213:
	s_or_b64 exec, exec, s[12:13]
	s_waitcnt lgkmcnt(0)
	s_barrier
	s_and_saveexec_b64 s[12:13], s[30:31]
	s_cbranch_execz .LBB67_215
; %bb.214:
	v_mov_b32_e32 v19, 0
	ds_read_b64 v[19:20], v19 offset:7288
	ds_read_b64 v[21:22], v5
	s_waitcnt lgkmcnt(0)
	v_mul_f32_e32 v23, v22, v20
	v_mul_f32_e32 v20, v21, v20
	v_fma_f32 v21, v21, v19, -v23
	v_fmac_f32_e32 v20, v22, v19
	v_add_f32_e32 v2, v2, v21
	v_add_f32_e32 v3, v3, v20
.LBB67_215:
	s_or_b64 exec, exec, s[12:13]
	s_barrier
	s_and_saveexec_b64 s[12:13], s[30:31]
; %bb.216:
	ds_write_b64 v5, v[2:3]
; %bb.217:
	s_or_b64 exec, exec, s[12:13]
	s_waitcnt lgkmcnt(0)
	s_barrier
	s_barrier
	s_and_saveexec_b64 s[12:13], s[6:7]
; %bb.218:
	v_xor_b32_e32 v3, 0x80000000, v3
	v_xor_b32_e32 v2, 0x80000000, v2
	ds_write_b64 v4, v[2:3] offset:6256
; %bb.219:
	s_or_b64 exec, exec, s[12:13]
	s_waitcnt lgkmcnt(0)
	s_barrier
	s_barrier
	s_and_saveexec_b64 s[12:13], vcc
	s_cbranch_execz .LBB67_221
; %bb.220:
	s_mov_b64 s[14:15], 0x3f800000
	v_mov_b32_e32 v2, s14
	v_mov_b32_e32 v3, s15
	s_movk_i32 s14, 0x1800
	v_add_u32_e64 v19, s14, 0
	ds_write2_b64 v19, v[2:3], v[2:3] offset0:142 offset1:207
.LBB67_221:
	s_or_b64 exec, exec, s[12:13]
	v_lshrrev_b32_e32 v23, 4, v7
	v_and_b32_e32 v20, 15, v0
	s_movk_i32 s12, 0xff
	v_lshlrev_b32_e32 v22, 6, v23
	v_cmp_lt_u32_e64 s[14:15], s12, v7
	s_movk_i32 s12, 0x100
	v_or_b32_e32 v2, v22, v20
	v_cmp_gt_u32_e64 s[12:13], s12, v7
	v_lshlrev_b32_e32 v19, 3, v2
	v_mov_b32_e32 v3, 0
	v_mov_b32_e32 v2, 0
	s_waitcnt lgkmcnt(0)
	s_barrier
	s_and_saveexec_b64 s[20:21], s[12:13]
	s_cbranch_execz .LBB67_249
; %bb.222:
	v_mul_u32_u24_e32 v21, 0x208, v23
	ds_read_b64 v[2:3], v19 offset:128
	ds_read_b64 v[24:25], v21
	s_movk_i32 s16, 0xf0
	v_cmp_gt_u32_e64 s[16:17], s16, v7
	s_waitcnt lgkmcnt(0)
	v_mul_f32_e32 v26, v25, v3
	v_mul_f32_e32 v3, v24, v3
	v_fma_f32 v24, v24, v2, -v26
	v_fmac_f32_e32 v3, v25, v2
	v_add_f32_e32 v2, 0, v24
	v_add_f32_e32 v3, 0, v3
	s_and_saveexec_b64 s[76:77], s[16:17]
	s_cbranch_execz .LBB67_224
; %bb.223:
	v_lshlrev_b32_e32 v24, 3, v23
	v_sub_u32_e32 v24, v21, v24
	v_lshl_add_u32 v24, v20, 3, v24
	ds_read_b64 v[24:25], v24 offset:640
	ds_read_b64 v[26:27], v21 offset:8
	s_waitcnt lgkmcnt(0)
	v_mul_f32_e32 v28, v27, v25
	v_mul_f32_e32 v25, v26, v25
	v_fma_f32 v26, v26, v24, -v28
	v_fmac_f32_e32 v25, v27, v24
	v_add_f32_e32 v2, v2, v26
	v_add_f32_e32 v3, v3, v25
.LBB67_224:
	s_or_b64 exec, exec, s[76:77]
	s_movk_i32 s16, 0xe0
	v_cmp_gt_u32_e64 s[16:17], s16, v7
	s_and_saveexec_b64 s[76:77], s[16:17]
	s_cbranch_execz .LBB67_226
; %bb.225:
	v_lshlrev_b32_e32 v24, 3, v23
	v_sub_u32_e32 v24, v21, v24
	v_lshl_add_u32 v24, v20, 3, v24
	ds_read_b64 v[24:25], v24 offset:1152
	ds_read_b64 v[26:27], v21 offset:16
	s_waitcnt lgkmcnt(0)
	v_mul_f32_e32 v28, v27, v25
	v_mul_f32_e32 v25, v26, v25
	v_fma_f32 v26, v26, v24, -v28
	v_fmac_f32_e32 v25, v27, v24
	v_add_f32_e32 v2, v2, v26
	v_add_f32_e32 v3, v3, v25
.LBB67_226:
	s_or_b64 exec, exec, s[76:77]
	s_movk_i32 s16, 0xd0
	v_cmp_gt_u32_e64 s[16:17], s16, v7
	;; [unrolled: 19-line block ×7, first 2 shown]
	s_and_saveexec_b64 s[76:77], s[16:17]
	s_cbranch_execz .LBB67_238
; %bb.237:
	ds_read_b64 v[24:25], v19 offset:4224
	ds_read_b64 v[26:27], v21 offset:64
	s_waitcnt lgkmcnt(0)
	v_mul_f32_e32 v28, v27, v25
	v_mul_f32_e32 v25, v26, v25
	v_fma_f32 v26, v26, v24, -v28
	v_fmac_f32_e32 v25, v27, v24
	v_add_f32_e32 v2, v2, v26
	v_add_f32_e32 v3, v3, v25
.LBB67_238:
	s_or_b64 exec, exec, s[76:77]
	s_movk_i32 s16, 0x70
	v_cmp_gt_u32_e64 s[16:17], s16, v7
	s_and_saveexec_b64 s[76:77], s[16:17]
	s_cbranch_execz .LBB67_240
; %bb.239:
	v_lshlrev_b32_e32 v24, 3, v20
	v_lshl_add_u32 v24, v22, 3, v24
	ds_read_b64 v[24:25], v24 offset:4736
	ds_read_b64 v[26:27], v21 offset:72
	s_waitcnt lgkmcnt(0)
	v_mul_f32_e32 v28, v27, v25
	v_mul_f32_e32 v25, v26, v25
	v_fma_f32 v26, v26, v24, -v28
	v_fmac_f32_e32 v25, v27, v24
	v_add_f32_e32 v2, v2, v26
	v_add_f32_e32 v3, v3, v25
.LBB67_240:
	s_or_b64 exec, exec, s[76:77]
	s_movk_i32 s16, 0x60
	v_cmp_gt_u32_e64 s[16:17], s16, v7
	s_and_saveexec_b64 s[76:77], s[16:17]
	s_cbranch_execz .LBB67_242
; %bb.241:
	v_lshlrev_b32_e32 v24, 3, v20
	v_lshl_add_u32 v24, v22, 3, v24
	ds_read_b64 v[24:25], v24 offset:5248
	ds_read_b64 v[26:27], v21 offset:80
	s_waitcnt lgkmcnt(0)
	v_mul_f32_e32 v28, v27, v25
	v_mul_f32_e32 v25, v26, v25
	v_fma_f32 v26, v26, v24, -v28
	v_fmac_f32_e32 v25, v27, v24
	v_add_f32_e32 v2, v2, v26
	v_add_f32_e32 v3, v3, v25
.LBB67_242:
	s_or_b64 exec, exec, s[76:77]
	s_movk_i32 s16, 0x50
	v_cmp_gt_u32_e64 s[16:17], s16, v7
	s_and_saveexec_b64 s[76:77], s[16:17]
	s_cbranch_execnz .LBB67_1000
; %bb.243:
	s_or_b64 exec, exec, s[76:77]
	v_cmp_gt_u32_e64 s[16:17], 64, v7
	s_and_saveexec_b64 s[76:77], s[16:17]
	s_cbranch_execnz .LBB67_1001
.LBB67_244:
	s_or_b64 exec, exec, s[76:77]
	v_cmp_gt_u32_e64 s[16:17], 48, v7
	s_and_saveexec_b64 s[76:77], s[16:17]
	s_cbranch_execnz .LBB67_1002
.LBB67_245:
	s_or_b64 exec, exec, s[76:77]
	v_cmp_gt_u32_e64 s[16:17], 32, v7
	s_and_saveexec_b64 s[76:77], s[16:17]
	s_cbranch_execnz .LBB67_1003
.LBB67_246:
	s_or_b64 exec, exec, s[76:77]
	v_cmp_gt_u32_e64 s[16:17], 16, v7
	s_and_saveexec_b64 s[76:77], s[16:17]
	s_cbranch_execz .LBB67_248
.LBB67_247:
	v_lshlrev_b32_e32 v21, 3, v0
	v_mov_b32_e32 v26, 0
	ds_read_b64 v[24:25], v21 offset:7808
	ds_read_b64 v[26:27], v26 offset:120
	s_waitcnt lgkmcnt(0)
	v_mul_f32_e32 v21, v27, v25
	v_mul_f32_e32 v25, v26, v25
	v_fma_f32 v21, v26, v24, -v21
	v_fmac_f32_e32 v25, v27, v24
	v_add_f32_e32 v2, v2, v21
	v_add_f32_e32 v3, v3, v25
.LBB67_248:
	s_or_b64 exec, exec, s[76:77]
	v_xor_b32_e32 v2, 0x80000000, v2
	v_xor_b32_e32 v3, 0x80000000, v3
.LBB67_249:
	s_or_b64 exec, exec, s[20:21]
	v_mov_b32_e32 v21, 0x8000
	v_lshl_add_u32 v21, v23, 3, v21
	v_cmp_eq_u32_e64 s[16:17], 0, v20
	s_xor_b64 s[20:21], s[14:15], -1
	s_and_b64 s[16:17], s[16:17], s[20:21]
	s_mov_b64 s[14:15], exec
                                        ; implicit-def: $vgpr35 : SGPR spill to VGPR lane
	v_writelane_b32 v35, s16, 0
	v_writelane_b32 v35, s17, 1
	s_and_b64 s[16:17], s[14:15], s[16:17]
	s_mov_b64 exec, s[16:17]
; %bb.250:
	ds_write_b64 v21, v[2:3]
; %bb.251:
	s_or_b64 exec, exec, s[14:15]
	v_cmp_ne_u32_e64 s[14:15], 0, v20
	s_waitcnt lgkmcnt(0)
	s_barrier
	s_and_b64 s[16:17], s[14:15], s[20:21]
	s_mov_b64 s[14:15], exec
	v_writelane_b32 v35, s16, 2
	v_writelane_b32 v35, s17, 3
	s_and_b64 s[16:17], s[14:15], s[16:17]
	s_mov_b64 exec, s[16:17]
	s_cbranch_execz .LBB67_253
; %bb.252:
	v_lshlrev_b32_e32 v24, 3, v20
	ds_read_b64 v[24:25], v24 offset:8320
	ds_read_b64 v[26:27], v21
	s_waitcnt lgkmcnt(0)
	v_mul_f32_e32 v28, v27, v25
	v_mul_f32_e32 v25, v26, v25
	v_fma_f32 v26, v26, v24, -v28
	v_fmac_f32_e32 v25, v27, v24
	v_add_f32_e32 v2, v2, v26
	v_add_f32_e32 v3, v3, v25
.LBB67_253:
	s_or_b64 exec, exec, s[14:15]
	v_cmp_eq_u32_e64 s[14:15], 1, v20
	s_barrier
	s_and_b64 s[16:17], s[14:15], s[20:21]
	s_mov_b64 s[14:15], exec
	v_writelane_b32 v35, s16, 4
	v_writelane_b32 v35, s17, 5
	s_and_b64 s[16:17], s[14:15], s[16:17]
	s_mov_b64 exec, s[16:17]
; %bb.254:
	ds_write_b64 v21, v[2:3]
; %bb.255:
	s_or_b64 exec, exec, s[14:15]
	v_cmp_lt_u32_e64 s[14:15], 1, v20
	s_waitcnt lgkmcnt(0)
	s_barrier
	s_and_b64 s[16:17], s[14:15], s[20:21]
	s_mov_b64 s[14:15], exec
	v_writelane_b32 v35, s16, 6
	v_writelane_b32 v35, s17, 7
	s_and_b64 s[16:17], s[14:15], s[16:17]
	s_mov_b64 exec, s[16:17]
	s_cbranch_execz .LBB67_257
; %bb.256:
	v_lshlrev_b32_e32 v24, 3, v20
	ds_read_b64 v[24:25], v24 offset:8832
	ds_read_b64 v[26:27], v21
	s_waitcnt lgkmcnt(0)
	v_mul_f32_e32 v28, v27, v25
	v_mul_f32_e32 v25, v26, v25
	v_fma_f32 v26, v26, v24, -v28
	v_fmac_f32_e32 v25, v27, v24
	v_add_f32_e32 v2, v2, v26
	v_add_f32_e32 v3, v3, v25
.LBB67_257:
	s_or_b64 exec, exec, s[14:15]
	v_cmp_eq_u32_e64 s[14:15], 2, v20
	s_barrier
	s_and_b64 s[16:17], s[14:15], s[20:21]
	s_mov_b64 s[14:15], exec
	v_writelane_b32 v35, s16, 8
	v_writelane_b32 v35, s17, 9
	s_and_b64 s[16:17], s[14:15], s[16:17]
	s_mov_b64 exec, s[16:17]
; %bb.258:
	ds_write_b64 v21, v[2:3]
; %bb.259:
	s_or_b64 exec, exec, s[14:15]
	v_cmp_lt_u32_e64 s[14:15], 2, v20
	;; [unrolled: 35-line block ×10, first 2 shown]
	s_and_b64 s[96:97], s[14:15], s[20:21]
	s_waitcnt lgkmcnt(0)
	s_barrier
	s_and_saveexec_b64 s[14:15], s[96:97]
	s_cbranch_execz .LBB67_293
; %bb.292:
	v_lshlrev_b32_e32 v24, 3, v20
	ds_read_b64 v[24:25], v24 offset:13440
	ds_read_b64 v[26:27], v21
	s_waitcnt lgkmcnt(0)
	v_mul_f32_e32 v28, v27, v25
	v_mul_f32_e32 v25, v26, v25
	v_fma_f32 v26, v26, v24, -v28
	v_fmac_f32_e32 v25, v27, v24
	v_add_f32_e32 v2, v2, v26
	v_add_f32_e32 v3, v3, v25
.LBB67_293:
	s_or_b64 exec, exec, s[14:15]
	v_cmp_eq_u32_e64 s[14:15], 11, v20
	s_and_b64 s[98:99], s[14:15], s[20:21]
	s_barrier
	s_and_saveexec_b64 s[14:15], s[98:99]
; %bb.294:
	ds_write_b64 v21, v[2:3]
; %bb.295:
	s_or_b64 exec, exec, s[14:15]
	v_cmp_lt_u32_e64 s[14:15], 11, v20
	s_and_b64 s[76:77], s[14:15], s[20:21]
	s_waitcnt lgkmcnt(0)
	s_barrier
	s_and_saveexec_b64 s[14:15], s[76:77]
	s_cbranch_execz .LBB67_297
; %bb.296:
	v_lshlrev_b32_e32 v24, 3, v20
	ds_read_b64 v[24:25], v24 offset:13952
	ds_read_b64 v[26:27], v21
	s_waitcnt lgkmcnt(0)
	v_mul_f32_e32 v28, v27, v25
	v_mul_f32_e32 v25, v26, v25
	v_fma_f32 v26, v26, v24, -v28
	v_fmac_f32_e32 v25, v27, v24
	v_add_f32_e32 v2, v2, v26
	v_add_f32_e32 v3, v3, v25
.LBB67_297:
	s_or_b64 exec, exec, s[14:15]
	v_cmp_eq_u32_e64 s[14:15], 12, v20
	s_and_b64 s[78:79], s[14:15], s[20:21]
	s_barrier
	s_and_saveexec_b64 s[14:15], s[78:79]
; %bb.298:
	ds_write_b64 v21, v[2:3]
; %bb.299:
	s_or_b64 exec, exec, s[14:15]
	v_cmp_lt_u32_e64 s[14:15], 12, v20
	;; [unrolled: 27-line block ×3, first 2 shown]
	s_and_b64 s[84:85], s[14:15], s[20:21]
	s_waitcnt lgkmcnt(0)
	s_barrier
	s_and_saveexec_b64 s[14:15], s[84:85]
	s_cbranch_execz .LBB67_305
; %bb.304:
	v_lshlrev_b32_e32 v24, 3, v20
	ds_read_b64 v[24:25], v24 offset:14976
	ds_read_b64 v[26:27], v21
	s_waitcnt lgkmcnt(0)
	v_mul_f32_e32 v28, v27, v25
	v_mul_f32_e32 v25, v26, v25
	v_fma_f32 v26, v26, v24, -v28
	v_fmac_f32_e32 v25, v27, v24
	v_add_f32_e32 v2, v2, v26
	v_add_f32_e32 v3, v3, v25
.LBB67_305:
	s_or_b64 exec, exec, s[14:15]
	v_cmp_eq_u32_e64 s[14:15], 14, v20
	s_and_b64 s[86:87], s[14:15], s[20:21]
	s_barrier
	s_and_saveexec_b64 s[14:15], s[86:87]
; %bb.306:
	ds_write_b64 v21, v[2:3]
; %bb.307:
	s_or_b64 exec, exec, s[14:15]
	v_cmp_eq_u32_e64 s[14:15], 15, v20
	s_and_b64 s[92:93], s[14:15], s[20:21]
	s_waitcnt lgkmcnt(0)
	s_barrier
	s_and_saveexec_b64 s[14:15], s[92:93]
	s_cbranch_execz .LBB67_309
; %bb.308:
	v_mov_b32_e32 v24, 0
	ds_read_b64 v[24:25], v24 offset:15608
	ds_read_b64 v[26:27], v21
	s_waitcnt lgkmcnt(0)
	v_mul_f32_e32 v28, v27, v25
	v_mul_f32_e32 v25, v26, v25
	v_fma_f32 v26, v26, v24, -v28
	v_fmac_f32_e32 v25, v27, v24
	v_add_f32_e32 v2, v2, v26
	v_add_f32_e32 v3, v3, v25
.LBB67_309:
	s_or_b64 exec, exec, s[14:15]
	s_barrier
	s_and_saveexec_b64 s[14:15], s[92:93]
; %bb.310:
	ds_write_b64 v21, v[2:3]
; %bb.311:
	s_or_b64 exec, exec, s[14:15]
	s_waitcnt lgkmcnt(0)
	s_barrier
	s_barrier
	s_and_saveexec_b64 s[14:15], s[12:13]
; %bb.312:
	v_xor_b32_e32 v2, 0x80000000, v2
	v_xor_b32_e32 v3, 0x80000000, v3
	ds_write_b64 v19, v[2:3] offset:128
; %bb.313:
	s_or_b64 exec, exec, s[14:15]
	s_waitcnt lgkmcnt(0)
	s_barrier
	s_barrier
	s_and_saveexec_b64 s[14:15], vcc
	s_cbranch_execz .LBB67_315
; %bb.314:
	s_mov_b64 s[16:17], 0x3f800000
	v_mov_b32_e32 v2, s16
	v_mov_b32_e32 v3, s17
	s_movk_i32 s16, 0x2000
	v_add_u32_e64 v24, s16, 0
	ds_write2_b64 v24, v[2:3], v[2:3] offset0:16 offset1:81
.LBB67_315:
	s_or_b64 exec, exec, s[14:15]
	v_mov_b32_e32 v3, 0
	v_mov_b32_e32 v2, 0
	s_waitcnt lgkmcnt(0)
	s_barrier
	s_and_saveexec_b64 s[16:17], s[6:7]
	s_cbranch_execz .LBB67_319
; %bb.316:
	v_mul_u32_u24_e32 v24, 0x208, v6
	ds_read_b64 v[2:3], v4 offset:8336
	ds_read_b64 v[24:25], v24 offset:8320
	v_cmp_gt_u32_e64 s[14:15], 2, v7
	s_waitcnt lgkmcnt(0)
	v_mul_f32_e32 v26, v25, v3
	v_mul_f32_e32 v3, v24, v3
	v_fma_f32 v24, v24, v2, -v26
	v_fmac_f32_e32 v3, v25, v2
	v_add_f32_e32 v2, 0, v24
	v_add_f32_e32 v3, 0, v3
	s_and_saveexec_b64 s[20:21], s[14:15]
	s_cbranch_execz .LBB67_318
; %bb.317:
	v_lshlrev_b32_e32 v24, 3, v0
	v_mov_b32_e32 v26, 0
	ds_read_b64 v[24:25], v24 offset:8848
	ds_read_b64 v[26:27], v26 offset:8328
	s_waitcnt lgkmcnt(0)
	v_mul_f32_e32 v28, v27, v25
	v_mul_f32_e32 v25, v26, v25
	v_fma_f32 v26, v26, v24, -v28
	v_fmac_f32_e32 v25, v27, v24
	v_add_f32_e32 v2, v2, v26
	v_add_f32_e32 v3, v3, v25
.LBB67_318:
	s_or_b64 exec, exec, s[20:21]
	v_xor_b32_e32 v2, 0x80000000, v2
	v_xor_b32_e32 v3, 0x80000000, v3
.LBB67_319:
	s_or_b64 exec, exec, s[16:17]
	s_and_saveexec_b64 s[14:15], s[34:35]
; %bb.320:
	ds_write_b64 v5, v[2:3]
; %bb.321:
	s_or_b64 exec, exec, s[14:15]
	s_waitcnt lgkmcnt(0)
	s_barrier
	s_and_saveexec_b64 s[14:15], s[30:31]
	s_cbranch_execz .LBB67_323
; %bb.322:
	v_mov_b32_e32 v24, 0
	ds_read_b64 v[24:25], v24 offset:9368
	ds_read_b64 v[26:27], v5
	s_waitcnt lgkmcnt(0)
	v_mul_f32_e32 v28, v27, v25
	v_mul_f32_e32 v25, v26, v25
	v_fma_f32 v26, v26, v24, -v28
	v_fmac_f32_e32 v25, v27, v24
	v_add_f32_e32 v2, v2, v26
	v_add_f32_e32 v3, v3, v25
.LBB67_323:
	s_or_b64 exec, exec, s[14:15]
	s_barrier
	s_and_saveexec_b64 s[14:15], s[30:31]
; %bb.324:
	ds_write_b64 v5, v[2:3]
; %bb.325:
	s_or_b64 exec, exec, s[14:15]
	s_waitcnt lgkmcnt(0)
	s_barrier
	s_barrier
	s_and_saveexec_b64 s[14:15], s[6:7]
; %bb.326:
	v_xor_b32_e32 v3, 0x80000000, v3
	v_xor_b32_e32 v2, 0x80000000, v2
	ds_write_b64 v4, v[2:3] offset:8336
; %bb.327:
	s_or_b64 exec, exec, s[14:15]
	s_waitcnt lgkmcnt(0)
	s_barrier
	s_barrier
	s_and_saveexec_b64 s[14:15], vcc
	s_cbranch_execz .LBB67_329
; %bb.328:
	s_mov_b64 s[16:17], 0x3f800000
	v_mov_b32_e32 v2, s16
	v_mov_b32_e32 v3, s17
	s_movk_i32 s16, 0x2000
	v_add_u32_e64 v24, s16, 0
	ds_write2_b64 v24, v[2:3], v[2:3] offset0:146 offset1:211
.LBB67_329:
	s_or_b64 exec, exec, s[14:15]
	v_mov_b32_e32 v3, 0
	v_mov_b32_e32 v2, 0
	s_waitcnt lgkmcnt(0)
	s_barrier
	s_and_saveexec_b64 s[16:17], s[18:19]
	s_cbranch_execz .LBB67_335
; %bb.330:
	v_mul_u32_u24_e32 v24, 0x208, v13
	ds_read_b64 v[2:3], v9 offset:8352
	ds_read_b64 v[25:26], v24 offset:8320
	v_cmp_gt_u32_e64 s[14:15], 12, v7
	s_waitcnt lgkmcnt(0)
	v_mul_f32_e32 v27, v26, v3
	v_mul_f32_e32 v3, v25, v3
	v_fma_f32 v25, v25, v2, -v27
	v_fmac_f32_e32 v3, v26, v2
	v_add_f32_e32 v2, 0, v25
	v_add_f32_e32 v3, 0, v3
	s_and_saveexec_b64 s[20:21], s[14:15]
	s_cbranch_execnz .LBB67_1004
; %bb.331:
	s_or_b64 exec, exec, s[20:21]
	v_cmp_gt_u32_e64 s[14:15], 8, v7
	s_and_saveexec_b64 s[20:21], s[14:15]
	s_cbranch_execnz .LBB67_1005
.LBB67_332:
	s_or_b64 exec, exec, s[20:21]
	v_cmp_gt_u32_e64 s[14:15], 4, v7
	s_and_saveexec_b64 s[20:21], s[14:15]
	s_cbranch_execz .LBB67_334
.LBB67_333:
	v_lshlrev_b32_e32 v24, 3, v0
	v_mov_b32_e32 v26, 0
	ds_read_b64 v[24:25], v24 offset:9888
	ds_read_b64 v[26:27], v26 offset:8344
	s_waitcnt lgkmcnt(0)
	v_mul_f32_e32 v28, v27, v25
	v_mul_f32_e32 v25, v26, v25
	v_fma_f32 v26, v26, v24, -v28
	v_fmac_f32_e32 v25, v27, v24
	v_add_f32_e32 v2, v2, v26
	v_add_f32_e32 v3, v3, v25
.LBB67_334:
	s_or_b64 exec, exec, s[20:21]
	v_xor_b32_e32 v2, 0x80000000, v2
	v_xor_b32_e32 v3, 0x80000000, v3
.LBB67_335:
	s_or_b64 exec, exec, s[16:17]
	s_and_saveexec_b64 s[14:15], s[38:39]
; %bb.336:
	ds_write_b64 v11, v[2:3]
; %bb.337:
	s_or_b64 exec, exec, s[14:15]
	s_waitcnt lgkmcnt(0)
	s_barrier
	s_and_saveexec_b64 s[14:15], s[40:41]
	s_cbranch_execz .LBB67_339
; %bb.338:
	ds_read_b64 v[24:25], v10 offset:10400
	ds_read_b64 v[26:27], v11
	s_waitcnt lgkmcnt(0)
	v_mul_f32_e32 v28, v27, v25
	v_mul_f32_e32 v25, v26, v25
	v_fma_f32 v26, v26, v24, -v28
	v_fmac_f32_e32 v25, v27, v24
	v_add_f32_e32 v2, v2, v26
	v_add_f32_e32 v3, v3, v25
.LBB67_339:
	s_or_b64 exec, exec, s[14:15]
	s_barrier
	s_and_saveexec_b64 s[14:15], s[42:43]
; %bb.340:
	ds_write_b64 v11, v[2:3]
; %bb.341:
	s_or_b64 exec, exec, s[14:15]
	s_waitcnt lgkmcnt(0)
	s_barrier
	s_and_saveexec_b64 s[14:15], s[44:45]
	s_cbranch_execz .LBB67_343
; %bb.342:
	ds_read_b64 v[24:25], v10 offset:10912
	ds_read_b64 v[26:27], v11
	s_waitcnt lgkmcnt(0)
	v_mul_f32_e32 v28, v27, v25
	v_mul_f32_e32 v25, v26, v25
	v_fma_f32 v26, v26, v24, -v28
	v_fmac_f32_e32 v25, v27, v24
	v_add_f32_e32 v2, v2, v26
	v_add_f32_e32 v3, v3, v25
.LBB67_343:
	s_or_b64 exec, exec, s[14:15]
	s_barrier
	s_and_saveexec_b64 s[14:15], s[46:47]
; %bb.344:
	ds_write_b64 v11, v[2:3]
; %bb.345:
	s_or_b64 exec, exec, s[14:15]
	s_waitcnt lgkmcnt(0)
	s_barrier
	s_and_saveexec_b64 s[14:15], s[36:37]
	s_cbranch_execz .LBB67_347
; %bb.346:
	v_mov_b32_e32 v24, 0
	ds_read_b64 v[24:25], v24 offset:11448
	ds_read_b64 v[26:27], v11
	s_waitcnt lgkmcnt(0)
	v_mul_f32_e32 v28, v27, v25
	v_mul_f32_e32 v25, v26, v25
	v_fma_f32 v26, v26, v24, -v28
	v_fmac_f32_e32 v25, v27, v24
	v_add_f32_e32 v2, v2, v26
	v_add_f32_e32 v3, v3, v25
.LBB67_347:
	s_or_b64 exec, exec, s[14:15]
	s_barrier
	s_and_saveexec_b64 s[14:15], s[36:37]
; %bb.348:
	ds_write_b64 v11, v[2:3]
; %bb.349:
	s_or_b64 exec, exec, s[14:15]
	s_waitcnt lgkmcnt(0)
	s_barrier
	s_barrier
	s_and_saveexec_b64 s[14:15], s[18:19]
; %bb.350:
	v_xor_b32_e32 v2, 0x80000000, v2
	v_xor_b32_e32 v3, 0x80000000, v3
	ds_write_b64 v9, v[2:3] offset:8352
; %bb.351:
	s_or_b64 exec, exec, s[14:15]
	s_waitcnt lgkmcnt(0)
	s_barrier
	s_barrier
	s_and_saveexec_b64 s[14:15], vcc
	s_cbranch_execz .LBB67_353
; %bb.352:
	s_mov_b64 s[16:17], 0x3f800000
	v_mov_b32_e32 v2, s16
	v_mov_b32_e32 v3, s17
	s_movk_i32 s16, 0x2800
	v_add_u32_e64 v24, s16, 0
	ds_write2_b64 v24, v[2:3], v[2:3] offset0:20 offset1:85
.LBB67_353:
	s_or_b64 exec, exec, s[14:15]
	v_mov_b32_e32 v3, 0
	v_mov_b32_e32 v2, 0
	s_waitcnt lgkmcnt(0)
	s_barrier
	s_and_saveexec_b64 s[16:17], s[6:7]
	s_cbranch_execz .LBB67_357
; %bb.354:
	v_mul_u32_u24_e32 v24, 0x208, v6
	ds_read_b64 v[2:3], v4 offset:10416
	ds_read_b64 v[24:25], v24 offset:10400
	v_cmp_gt_u32_e64 s[14:15], 2, v7
	s_waitcnt lgkmcnt(0)
	v_mul_f32_e32 v26, v25, v3
	v_mul_f32_e32 v3, v24, v3
	v_fma_f32 v24, v24, v2, -v26
	v_fmac_f32_e32 v3, v25, v2
	v_add_f32_e32 v2, 0, v24
	v_add_f32_e32 v3, 0, v3
	s_and_saveexec_b64 s[20:21], s[14:15]
	s_cbranch_execz .LBB67_356
; %bb.355:
	v_lshlrev_b32_e32 v24, 3, v0
	v_mov_b32_e32 v26, 0
	ds_read_b64 v[24:25], v24 offset:10928
	ds_read_b64 v[26:27], v26 offset:10408
	s_waitcnt lgkmcnt(0)
	v_mul_f32_e32 v28, v27, v25
	v_mul_f32_e32 v25, v26, v25
	v_fma_f32 v26, v26, v24, -v28
	v_fmac_f32_e32 v25, v27, v24
	v_add_f32_e32 v2, v2, v26
	v_add_f32_e32 v3, v3, v25
.LBB67_356:
	s_or_b64 exec, exec, s[20:21]
	v_xor_b32_e32 v2, 0x80000000, v2
	v_xor_b32_e32 v3, 0x80000000, v3
.LBB67_357:
	s_or_b64 exec, exec, s[16:17]
	s_and_saveexec_b64 s[14:15], s[34:35]
; %bb.358:
	ds_write_b64 v5, v[2:3]
; %bb.359:
	s_or_b64 exec, exec, s[14:15]
	s_waitcnt lgkmcnt(0)
	s_barrier
	s_and_saveexec_b64 s[14:15], s[30:31]
	s_cbranch_execz .LBB67_361
; %bb.360:
	v_mov_b32_e32 v24, 0
	ds_read_b64 v[24:25], v24 offset:11448
	ds_read_b64 v[26:27], v5
	s_waitcnt lgkmcnt(0)
	v_mul_f32_e32 v28, v27, v25
	v_mul_f32_e32 v25, v26, v25
	v_fma_f32 v26, v26, v24, -v28
	v_fmac_f32_e32 v25, v27, v24
	v_add_f32_e32 v2, v2, v26
	v_add_f32_e32 v3, v3, v25
.LBB67_361:
	s_or_b64 exec, exec, s[14:15]
	s_barrier
	s_and_saveexec_b64 s[14:15], s[30:31]
; %bb.362:
	ds_write_b64 v5, v[2:3]
; %bb.363:
	s_or_b64 exec, exec, s[14:15]
	s_waitcnt lgkmcnt(0)
	s_barrier
	s_barrier
	s_and_saveexec_b64 s[14:15], s[6:7]
; %bb.364:
	v_xor_b32_e32 v3, 0x80000000, v3
	v_xor_b32_e32 v2, 0x80000000, v2
	ds_write_b64 v4, v[2:3] offset:10416
; %bb.365:
	s_or_b64 exec, exec, s[14:15]
	s_waitcnt lgkmcnt(0)
	s_barrier
	s_barrier
	s_and_saveexec_b64 s[14:15], vcc
	s_cbranch_execz .LBB67_367
; %bb.366:
	s_mov_b64 s[16:17], 0x3f800000
	v_mov_b32_e32 v2, s16
	v_mov_b32_e32 v3, s17
	s_movk_i32 s16, 0x2800
	v_add_u32_e64 v24, s16, 0
	ds_write2_b64 v24, v[2:3], v[2:3] offset0:150 offset1:215
.LBB67_367:
	s_or_b64 exec, exec, s[14:15]
	v_mov_b32_e32 v3, 0
	v_mov_b32_e32 v2, 0
	s_waitcnt lgkmcnt(0)
	s_barrier
	s_and_saveexec_b64 s[16:17], s[10:11]
	s_cbranch_execz .LBB67_377
; %bb.368:
	v_mul_u32_u24_e32 v24, 0x208, v18
	ds_read_b64 v[2:3], v14 offset:8384
	ds_read_b64 v[25:26], v24 offset:8320
	v_cmp_gt_u32_e64 s[14:15], 56, v7
	s_waitcnt lgkmcnt(0)
	v_mul_f32_e32 v27, v26, v3
	v_mul_f32_e32 v3, v25, v3
	v_fma_f32 v25, v25, v2, -v27
	v_fmac_f32_e32 v3, v26, v2
	v_add_f32_e32 v2, 0, v25
	v_add_f32_e32 v3, 0, v3
	s_and_saveexec_b64 s[20:21], s[14:15]
	s_cbranch_execnz .LBB67_1006
; %bb.369:
	s_or_b64 exec, exec, s[20:21]
	v_cmp_gt_u32_e64 s[14:15], 48, v7
	s_and_saveexec_b64 s[20:21], s[14:15]
	s_cbranch_execnz .LBB67_1007
.LBB67_370:
	s_or_b64 exec, exec, s[20:21]
	v_cmp_gt_u32_e64 s[14:15], 40, v7
	s_and_saveexec_b64 s[20:21], s[14:15]
	s_cbranch_execnz .LBB67_1008
.LBB67_371:
	s_or_b64 exec, exec, s[20:21]
	v_cmp_gt_u32_e64 s[14:15], 32, v7
	s_and_saveexec_b64 s[20:21], s[14:15]
	s_cbranch_execnz .LBB67_1009
.LBB67_372:
	s_or_b64 exec, exec, s[20:21]
	v_cmp_gt_u32_e64 s[14:15], 24, v7
	s_and_saveexec_b64 s[20:21], s[14:15]
	s_cbranch_execnz .LBB67_1010
.LBB67_373:
	s_or_b64 exec, exec, s[20:21]
	v_cmp_gt_u32_e64 s[14:15], 16, v7
	s_and_saveexec_b64 s[20:21], s[14:15]
	s_cbranch_execnz .LBB67_1011
.LBB67_374:
	s_or_b64 exec, exec, s[20:21]
	v_cmp_gt_u32_e64 s[14:15], 8, v7
	s_and_saveexec_b64 s[20:21], s[14:15]
	s_cbranch_execz .LBB67_376
.LBB67_375:
	v_lshlrev_b32_e32 v24, 3, v0
	v_mov_b32_e32 v26, 0
	ds_read_b64 v[24:25], v24 offset:11968
	ds_read_b64 v[26:27], v26 offset:8376
	s_waitcnt lgkmcnt(0)
	v_mul_f32_e32 v28, v27, v25
	v_mul_f32_e32 v25, v26, v25
	v_fma_f32 v26, v26, v24, -v28
	v_fmac_f32_e32 v25, v27, v24
	v_add_f32_e32 v2, v2, v26
	v_add_f32_e32 v3, v3, v25
.LBB67_376:
	s_or_b64 exec, exec, s[20:21]
	v_xor_b32_e32 v2, 0x80000000, v2
	v_xor_b32_e32 v3, 0x80000000, v3
.LBB67_377:
	s_or_b64 exec, exec, s[16:17]
	s_and_saveexec_b64 s[14:15], s[50:51]
; %bb.378:
	ds_write_b64 v16, v[2:3]
; %bb.379:
	s_or_b64 exec, exec, s[14:15]
	s_waitcnt lgkmcnt(0)
	s_barrier
	s_and_saveexec_b64 s[14:15], s[52:53]
	s_cbranch_execz .LBB67_381
; %bb.380:
	ds_read_b64 v[24:25], v15 offset:12480
	ds_read_b64 v[26:27], v16
	s_waitcnt lgkmcnt(0)
	v_mul_f32_e32 v28, v27, v25
	v_mul_f32_e32 v25, v26, v25
	v_fma_f32 v26, v26, v24, -v28
	v_fmac_f32_e32 v25, v27, v24
	v_add_f32_e32 v2, v2, v26
	v_add_f32_e32 v3, v3, v25
.LBB67_381:
	s_or_b64 exec, exec, s[14:15]
	s_barrier
	s_and_saveexec_b64 s[14:15], s[54:55]
; %bb.382:
	ds_write_b64 v16, v[2:3]
; %bb.383:
	s_or_b64 exec, exec, s[14:15]
	s_waitcnt lgkmcnt(0)
	s_barrier
	s_and_saveexec_b64 s[14:15], s[56:57]
	s_cbranch_execz .LBB67_385
; %bb.384:
	ds_read_b64 v[24:25], v15 offset:12992
	ds_read_b64 v[26:27], v16
	s_waitcnt lgkmcnt(0)
	v_mul_f32_e32 v28, v27, v25
	v_mul_f32_e32 v25, v26, v25
	v_fma_f32 v26, v26, v24, -v28
	v_fmac_f32_e32 v25, v27, v24
	v_add_f32_e32 v2, v2, v26
	v_add_f32_e32 v3, v3, v25
.LBB67_385:
	s_or_b64 exec, exec, s[14:15]
	s_barrier
	;; [unrolled: 22-line block ×6, first 2 shown]
	s_and_saveexec_b64 s[14:15], s[74:75]
; %bb.402:
	ds_write_b64 v16, v[2:3]
; %bb.403:
	s_or_b64 exec, exec, s[14:15]
	s_waitcnt lgkmcnt(0)
	s_barrier
	s_and_saveexec_b64 s[14:15], s[48:49]
	s_cbranch_execz .LBB67_405
; %bb.404:
	v_mov_b32_e32 v24, 0
	ds_read_b64 v[24:25], v24 offset:15608
	ds_read_b64 v[26:27], v16
	s_waitcnt lgkmcnt(0)
	v_mul_f32_e32 v28, v27, v25
	v_mul_f32_e32 v25, v26, v25
	v_fma_f32 v26, v26, v24, -v28
	v_fmac_f32_e32 v25, v27, v24
	v_add_f32_e32 v2, v2, v26
	v_add_f32_e32 v3, v3, v25
.LBB67_405:
	s_or_b64 exec, exec, s[14:15]
	s_barrier
	s_and_saveexec_b64 s[14:15], s[48:49]
; %bb.406:
	ds_write_b64 v16, v[2:3]
; %bb.407:
	s_or_b64 exec, exec, s[14:15]
	s_waitcnt lgkmcnt(0)
	s_barrier
	s_barrier
	s_and_saveexec_b64 s[14:15], s[10:11]
; %bb.408:
	v_xor_b32_e32 v3, 0x80000000, v3
	v_xor_b32_e32 v2, 0x80000000, v2
	ds_write_b64 v14, v[2:3] offset:8384
; %bb.409:
	s_or_b64 exec, exec, s[14:15]
	s_waitcnt lgkmcnt(0)
	s_barrier
	s_barrier
	s_and_saveexec_b64 s[14:15], vcc
	s_cbranch_execz .LBB67_411
; %bb.410:
	s_mov_b64 s[16:17], 0x3f800000
	v_mov_b32_e32 v2, s16
	v_mov_b32_e32 v3, s17
	s_movk_i32 s16, 0x3000
	v_add_u32_e64 v24, s16, 0
	ds_write2_b64 v24, v[2:3], v[2:3] offset0:24 offset1:89
.LBB67_411:
	s_or_b64 exec, exec, s[14:15]
	v_mov_b32_e32 v3, 0
	v_mov_b32_e32 v2, 0
	s_waitcnt lgkmcnt(0)
	s_barrier
	s_and_saveexec_b64 s[16:17], s[6:7]
	s_cbranch_execz .LBB67_415
; %bb.412:
	v_mul_u32_u24_e32 v24, 0x208, v6
	ds_read_b64 v[2:3], v4 offset:12496
	ds_read_b64 v[24:25], v24 offset:12480
	v_cmp_gt_u32_e64 s[14:15], 2, v7
	s_waitcnt lgkmcnt(0)
	v_mul_f32_e32 v26, v25, v3
	v_mul_f32_e32 v3, v24, v3
	v_fma_f32 v24, v24, v2, -v26
	v_fmac_f32_e32 v3, v25, v2
	v_add_f32_e32 v2, 0, v24
	v_add_f32_e32 v3, 0, v3
	s_and_saveexec_b64 s[20:21], s[14:15]
	s_cbranch_execz .LBB67_414
; %bb.413:
	v_lshlrev_b32_e32 v24, 3, v0
	v_mov_b32_e32 v26, 0
	ds_read_b64 v[24:25], v24 offset:13008
	ds_read_b64 v[26:27], v26 offset:12488
	s_waitcnt lgkmcnt(0)
	v_mul_f32_e32 v28, v27, v25
	v_mul_f32_e32 v25, v26, v25
	v_fma_f32 v26, v26, v24, -v28
	v_fmac_f32_e32 v25, v27, v24
	v_add_f32_e32 v2, v2, v26
	v_add_f32_e32 v3, v3, v25
.LBB67_414:
	s_or_b64 exec, exec, s[20:21]
	v_xor_b32_e32 v2, 0x80000000, v2
	v_xor_b32_e32 v3, 0x80000000, v3
.LBB67_415:
	s_or_b64 exec, exec, s[16:17]
	s_and_saveexec_b64 s[14:15], s[34:35]
; %bb.416:
	ds_write_b64 v5, v[2:3]
; %bb.417:
	s_or_b64 exec, exec, s[14:15]
	s_waitcnt lgkmcnt(0)
	s_barrier
	s_and_saveexec_b64 s[14:15], s[30:31]
	s_cbranch_execz .LBB67_419
; %bb.418:
	v_mov_b32_e32 v24, 0
	ds_read_b64 v[24:25], v24 offset:13528
	ds_read_b64 v[26:27], v5
	s_waitcnt lgkmcnt(0)
	v_mul_f32_e32 v28, v27, v25
	v_mul_f32_e32 v25, v26, v25
	v_fma_f32 v26, v26, v24, -v28
	v_fmac_f32_e32 v25, v27, v24
	v_add_f32_e32 v2, v2, v26
	v_add_f32_e32 v3, v3, v25
.LBB67_419:
	s_or_b64 exec, exec, s[14:15]
	s_barrier
	s_and_saveexec_b64 s[14:15], s[30:31]
; %bb.420:
	ds_write_b64 v5, v[2:3]
; %bb.421:
	s_or_b64 exec, exec, s[14:15]
	s_waitcnt lgkmcnt(0)
	s_barrier
	s_barrier
	s_and_saveexec_b64 s[14:15], s[6:7]
; %bb.422:
	v_xor_b32_e32 v3, 0x80000000, v3
	v_xor_b32_e32 v2, 0x80000000, v2
	ds_write_b64 v4, v[2:3] offset:12496
; %bb.423:
	s_or_b64 exec, exec, s[14:15]
	s_waitcnt lgkmcnt(0)
	s_barrier
	s_barrier
	s_and_saveexec_b64 s[14:15], vcc
	s_cbranch_execz .LBB67_425
; %bb.424:
	s_mov_b64 s[16:17], 0x3f800000
	v_mov_b32_e32 v2, s16
	v_mov_b32_e32 v3, s17
	s_movk_i32 s16, 0x3000
	v_add_u32_e64 v24, s16, 0
	ds_write2_b64 v24, v[2:3], v[2:3] offset0:154 offset1:219
.LBB67_425:
	s_or_b64 exec, exec, s[14:15]
	v_mov_b32_e32 v3, 0
	v_mov_b32_e32 v2, 0
	s_waitcnt lgkmcnt(0)
	s_barrier
	s_and_saveexec_b64 s[16:17], s[18:19]
	s_cbranch_execz .LBB67_431
; %bb.426:
	v_mul_u32_u24_e32 v24, 0x208, v13
	ds_read_b64 v[2:3], v9 offset:12512
	ds_read_b64 v[25:26], v24 offset:12480
	v_cmp_gt_u32_e64 s[14:15], 12, v7
	s_waitcnt lgkmcnt(0)
	v_mul_f32_e32 v27, v26, v3
	v_mul_f32_e32 v3, v25, v3
	v_fma_f32 v25, v25, v2, -v27
	v_fmac_f32_e32 v3, v26, v2
	v_add_f32_e32 v2, 0, v25
	v_add_f32_e32 v3, 0, v3
	s_and_saveexec_b64 s[20:21], s[14:15]
	s_cbranch_execnz .LBB67_1012
; %bb.427:
	s_or_b64 exec, exec, s[20:21]
	v_cmp_gt_u32_e64 s[14:15], 8, v7
	s_and_saveexec_b64 s[20:21], s[14:15]
	s_cbranch_execnz .LBB67_1013
.LBB67_428:
	s_or_b64 exec, exec, s[20:21]
	v_cmp_gt_u32_e64 s[14:15], 4, v7
	s_and_saveexec_b64 s[20:21], s[14:15]
	s_cbranch_execz .LBB67_430
.LBB67_429:
	v_lshlrev_b32_e32 v24, 3, v0
	v_mov_b32_e32 v26, 0
	ds_read_b64 v[24:25], v24 offset:14048
	ds_read_b64 v[26:27], v26 offset:12504
	s_waitcnt lgkmcnt(0)
	v_mul_f32_e32 v28, v27, v25
	v_mul_f32_e32 v25, v26, v25
	v_fma_f32 v26, v26, v24, -v28
	v_fmac_f32_e32 v25, v27, v24
	v_add_f32_e32 v2, v2, v26
	v_add_f32_e32 v3, v3, v25
.LBB67_430:
	s_or_b64 exec, exec, s[20:21]
	v_xor_b32_e32 v2, 0x80000000, v2
	v_xor_b32_e32 v3, 0x80000000, v3
.LBB67_431:
	s_or_b64 exec, exec, s[16:17]
	s_and_saveexec_b64 s[14:15], s[38:39]
; %bb.432:
	ds_write_b64 v11, v[2:3]
; %bb.433:
	s_or_b64 exec, exec, s[14:15]
	s_waitcnt lgkmcnt(0)
	s_barrier
	s_and_saveexec_b64 s[14:15], s[40:41]
	s_cbranch_execz .LBB67_435
; %bb.434:
	ds_read_b64 v[24:25], v10 offset:14560
	ds_read_b64 v[26:27], v11
	s_waitcnt lgkmcnt(0)
	v_mul_f32_e32 v28, v27, v25
	v_mul_f32_e32 v25, v26, v25
	v_fma_f32 v26, v26, v24, -v28
	v_fmac_f32_e32 v25, v27, v24
	v_add_f32_e32 v2, v2, v26
	v_add_f32_e32 v3, v3, v25
.LBB67_435:
	s_or_b64 exec, exec, s[14:15]
	s_barrier
	s_and_saveexec_b64 s[14:15], s[42:43]
; %bb.436:
	ds_write_b64 v11, v[2:3]
; %bb.437:
	s_or_b64 exec, exec, s[14:15]
	s_waitcnt lgkmcnt(0)
	s_barrier
	s_and_saveexec_b64 s[14:15], s[44:45]
	s_cbranch_execz .LBB67_439
; %bb.438:
	ds_read_b64 v[24:25], v10 offset:15072
	ds_read_b64 v[26:27], v11
	s_waitcnt lgkmcnt(0)
	v_mul_f32_e32 v28, v27, v25
	v_mul_f32_e32 v25, v26, v25
	v_fma_f32 v26, v26, v24, -v28
	v_fmac_f32_e32 v25, v27, v24
	v_add_f32_e32 v2, v2, v26
	v_add_f32_e32 v3, v3, v25
.LBB67_439:
	s_or_b64 exec, exec, s[14:15]
	s_barrier
	s_and_saveexec_b64 s[14:15], s[46:47]
; %bb.440:
	ds_write_b64 v11, v[2:3]
; %bb.441:
	s_or_b64 exec, exec, s[14:15]
	s_waitcnt lgkmcnt(0)
	s_barrier
	s_and_saveexec_b64 s[14:15], s[36:37]
	s_cbranch_execz .LBB67_443
; %bb.442:
	v_mov_b32_e32 v24, 0
	ds_read_b64 v[24:25], v24 offset:15608
	ds_read_b64 v[26:27], v11
	s_waitcnt lgkmcnt(0)
	v_mul_f32_e32 v28, v27, v25
	v_mul_f32_e32 v25, v26, v25
	v_fma_f32 v26, v26, v24, -v28
	v_fmac_f32_e32 v25, v27, v24
	v_add_f32_e32 v2, v2, v26
	v_add_f32_e32 v3, v3, v25
.LBB67_443:
	s_or_b64 exec, exec, s[14:15]
	s_barrier
	s_and_saveexec_b64 s[14:15], s[36:37]
; %bb.444:
	ds_write_b64 v11, v[2:3]
; %bb.445:
	s_or_b64 exec, exec, s[14:15]
	s_waitcnt lgkmcnt(0)
	s_barrier
	s_barrier
	s_and_saveexec_b64 s[14:15], s[18:19]
; %bb.446:
	v_xor_b32_e32 v2, 0x80000000, v2
	v_xor_b32_e32 v3, 0x80000000, v3
	ds_write_b64 v9, v[2:3] offset:12512
; %bb.447:
	s_or_b64 exec, exec, s[14:15]
	s_waitcnt lgkmcnt(0)
	s_barrier
	s_barrier
	s_and_saveexec_b64 s[14:15], vcc
	s_cbranch_execz .LBB67_449
; %bb.448:
	s_mov_b64 s[16:17], 0x3f800000
	v_mov_b32_e32 v2, s16
	v_mov_b32_e32 v3, s17
	s_movk_i32 s16, 0x3800
	v_add_u32_e64 v24, s16, 0
	ds_write2_b64 v24, v[2:3], v[2:3] offset0:28 offset1:93
.LBB67_449:
	s_or_b64 exec, exec, s[14:15]
	v_mov_b32_e32 v3, 0
	v_mov_b32_e32 v2, 0
	s_waitcnt lgkmcnt(0)
	s_barrier
	s_and_saveexec_b64 s[16:17], s[6:7]
	s_cbranch_execz .LBB67_453
; %bb.450:
	v_mul_u32_u24_e32 v24, 0x208, v6
	ds_read_b64 v[2:3], v4 offset:14576
	ds_read_b64 v[24:25], v24 offset:14560
	v_cmp_gt_u32_e64 s[14:15], 2, v7
	s_waitcnt lgkmcnt(0)
	v_mul_f32_e32 v26, v25, v3
	v_mul_f32_e32 v3, v24, v3
	v_fma_f32 v24, v24, v2, -v26
	v_fmac_f32_e32 v3, v25, v2
	v_add_f32_e32 v2, 0, v24
	v_add_f32_e32 v3, 0, v3
	s_and_saveexec_b64 s[20:21], s[14:15]
	s_cbranch_execz .LBB67_452
; %bb.451:
	v_lshlrev_b32_e32 v24, 3, v0
	v_mov_b32_e32 v26, 0
	ds_read_b64 v[24:25], v24 offset:15088
	ds_read_b64 v[26:27], v26 offset:14568
	s_waitcnt lgkmcnt(0)
	v_mul_f32_e32 v28, v27, v25
	v_mul_f32_e32 v25, v26, v25
	v_fma_f32 v26, v26, v24, -v28
	v_fmac_f32_e32 v25, v27, v24
	v_add_f32_e32 v2, v2, v26
	v_add_f32_e32 v3, v3, v25
.LBB67_452:
	s_or_b64 exec, exec, s[20:21]
	v_xor_b32_e32 v2, 0x80000000, v2
	v_xor_b32_e32 v3, 0x80000000, v3
.LBB67_453:
	s_or_b64 exec, exec, s[16:17]
	s_and_saveexec_b64 s[14:15], s[34:35]
; %bb.454:
	ds_write_b64 v5, v[2:3]
; %bb.455:
	s_or_b64 exec, exec, s[14:15]
	s_waitcnt lgkmcnt(0)
	s_barrier
	s_and_saveexec_b64 s[14:15], s[30:31]
	s_cbranch_execz .LBB67_457
; %bb.456:
	v_mov_b32_e32 v24, 0
	ds_read_b64 v[24:25], v24 offset:15608
	ds_read_b64 v[26:27], v5
	s_waitcnt lgkmcnt(0)
	v_mul_f32_e32 v28, v27, v25
	v_mul_f32_e32 v25, v26, v25
	v_fma_f32 v26, v26, v24, -v28
	v_fmac_f32_e32 v25, v27, v24
	v_add_f32_e32 v2, v2, v26
	v_add_f32_e32 v3, v3, v25
.LBB67_457:
	s_or_b64 exec, exec, s[14:15]
	s_barrier
	s_and_saveexec_b64 s[14:15], s[30:31]
; %bb.458:
	ds_write_b64 v5, v[2:3]
; %bb.459:
	s_or_b64 exec, exec, s[14:15]
	s_waitcnt lgkmcnt(0)
	s_barrier
	s_barrier
	s_and_saveexec_b64 s[14:15], s[6:7]
; %bb.460:
	v_xor_b32_e32 v3, 0x80000000, v3
	v_xor_b32_e32 v2, 0x80000000, v2
	ds_write_b64 v4, v[2:3] offset:14576
; %bb.461:
	s_or_b64 exec, exec, s[14:15]
	s_waitcnt lgkmcnt(0)
	s_barrier
	s_barrier
	s_and_saveexec_b64 s[14:15], vcc
	s_cbranch_execz .LBB67_463
; %bb.462:
	s_mov_b64 s[16:17], 0x3f800000
	v_mov_b32_e32 v2, s16
	v_mov_b32_e32 v3, s17
	s_movk_i32 s16, 0x3800
	v_add_u32_e64 v24, s16, 0
	ds_write2_b64 v24, v[2:3], v[2:3] offset0:158 offset1:223
.LBB67_463:
	s_or_b64 exec, exec, s[14:15]
	s_movk_i32 s14, 0x3ff
	v_lshrrev_b32_e32 v26, 5, v7
	v_cmp_lt_u32_e64 s[16:17], s14, v7
	s_movk_i32 s14, 0x400
	v_mov_b32_e32 v3, 0
	v_and_b32_e32 v24, 31, v0
	v_cmp_gt_u32_e64 s[14:15], s14, v7
	v_lshlrev_b32_e32 v25, 9, v26
	v_mov_b32_e32 v2, v3
	s_waitcnt lgkmcnt(0)
	s_barrier
	s_and_saveexec_b64 s[88:89], s[14:15]
	s_cbranch_execz .LBB67_525
; %bb.464:
	v_lshlrev_b32_e32 v27, 3, v24
	v_add_u32_e32 v29, v27, v25
	v_mul_u32_u24_e32 v28, 0x208, v26
	ds_read_b64 v[2:3], v29 offset:256
	ds_read_b64 v[30:31], v28
	s_movk_i32 s20, 0x3e0
	v_cmp_gt_u32_e64 s[20:21], s20, v7
	s_waitcnt lgkmcnt(0)
	v_mul_f32_e32 v32, v31, v3
	v_mul_f32_e32 v3, v30, v3
	v_fma_f32 v30, v30, v2, -v32
	v_fmac_f32_e32 v3, v31, v2
	v_add_f32_e32 v2, 0, v30
	v_add_f32_e32 v3, 0, v3
	s_and_saveexec_b64 s[90:91], s[20:21]
	s_cbranch_execz .LBB67_466
; %bb.465:
	ds_read_b64 v[30:31], v29 offset:768
	ds_read_b64 v[32:33], v28 offset:8
	s_waitcnt lgkmcnt(0)
	v_mul_f32_e32 v34, v33, v31
	v_mul_f32_e32 v31, v32, v31
	v_fma_f32 v32, v32, v30, -v34
	v_fmac_f32_e32 v31, v33, v30
	v_add_f32_e32 v2, v2, v32
	v_add_f32_e32 v3, v3, v31
.LBB67_466:
	s_or_b64 exec, exec, s[90:91]
	s_movk_i32 s20, 0x3c0
	v_cmp_gt_u32_e64 s[20:21], s20, v7
	s_and_saveexec_b64 s[90:91], s[20:21]
	s_cbranch_execz .LBB67_468
; %bb.467:
	ds_read_b64 v[30:31], v29 offset:1280
	ds_read_b64 v[32:33], v28 offset:16
	s_waitcnt lgkmcnt(0)
	v_mul_f32_e32 v34, v33, v31
	v_mul_f32_e32 v31, v32, v31
	v_fma_f32 v32, v32, v30, -v34
	v_fmac_f32_e32 v31, v33, v30
	v_add_f32_e32 v2, v2, v32
	v_add_f32_e32 v3, v3, v31
.LBB67_468:
	s_or_b64 exec, exec, s[90:91]
	s_movk_i32 s20, 0x3a0
	v_cmp_gt_u32_e64 s[20:21], s20, v7
	;; [unrolled: 16-line block ×28, first 2 shown]
	s_and_saveexec_b64 s[90:91], s[20:21]
	s_cbranch_execnz .LBB67_1014
; %bb.521:
	s_or_b64 exec, exec, s[90:91]
	v_cmp_gt_u32_e64 s[20:21], 64, v7
	s_and_saveexec_b64 s[90:91], s[20:21]
	s_cbranch_execnz .LBB67_1015
.LBB67_522:
	s_or_b64 exec, exec, s[90:91]
	v_cmp_gt_u32_e64 s[20:21], 32, v7
	s_and_saveexec_b64 s[90:91], s[20:21]
	s_cbranch_execz .LBB67_524
.LBB67_523:
	ds_read_b64 v[29:30], v27 offset:16128
	ds_read_b64 v[27:28], v28 offset:248
	s_waitcnt lgkmcnt(0)
	v_mul_f32_e32 v31, v28, v30
	v_mul_f32_e32 v30, v27, v30
	v_fma_f32 v27, v27, v29, -v31
	v_fmac_f32_e32 v30, v28, v29
	v_add_f32_e32 v2, v2, v27
	v_add_f32_e32 v3, v3, v30
.LBB67_524:
	s_or_b64 exec, exec, s[90:91]
	v_xor_b32_e32 v2, 0x80000000, v2
	v_xor_b32_e32 v3, 0x80000000, v3
.LBB67_525:
	s_or_b64 exec, exec, s[88:89]
	v_mov_b32_e32 v27, 0x8000
	v_lshl_or_b32 v26, v26, 3, v27
	v_mov_b32_e32 v27, 0x4100
	v_lshl_or_b32 v27, v24, 3, v27
	s_mov_b32 s88, 0
	s_xor_b64 s[20:21], s[16:17], -1
	v_mov_b32_e32 v28, v24
	s_branch .LBB67_527
.LBB67_526:                             ;   in Loop: Header=BB67_527 Depth=1
	s_or_b64 exec, exec, s[16:17]
	s_add_i32 s88, s88, 2
	v_add_u32_e32 v27, 0x400, v27
	s_cmp_eq_u32 s88, 32
	v_add_u32_e32 v28, -2, v28
	s_barrier
	s_cbranch_scc1 .LBB67_535
.LBB67_527:                             ; =>This Inner Loop Header: Depth=1
	v_cmp_eq_u32_e64 s[16:17], 0, v28
	s_and_b64 s[90:91], s[20:21], s[16:17]
	s_and_saveexec_b64 s[16:17], s[90:91]
; %bb.528:                              ;   in Loop: Header=BB67_527 Depth=1
	ds_write_b64 v26, v[2:3]
; %bb.529:                              ;   in Loop: Header=BB67_527 Depth=1
	s_or_b64 exec, exec, s[16:17]
	v_cmp_lt_u32_e64 s[16:17], s88, v24
	s_and_b64 s[90:91], s[20:21], s[16:17]
	s_waitcnt lgkmcnt(0)
	s_barrier
	s_and_saveexec_b64 s[16:17], s[90:91]
	s_cbranch_execz .LBB67_531
; %bb.530:                              ;   in Loop: Header=BB67_527 Depth=1
	ds_read_b64 v[29:30], v27
	ds_read_b64 v[31:32], v26
	s_waitcnt lgkmcnt(0)
	v_mul_f32_e32 v33, v32, v30
	v_mul_f32_e32 v30, v31, v30
	v_fma_f32 v31, v31, v29, -v33
	v_fmac_f32_e32 v30, v32, v29
	v_add_f32_e32 v2, v2, v31
	v_add_f32_e32 v3, v3, v30
.LBB67_531:                             ;   in Loop: Header=BB67_527 Depth=1
	s_or_b64 exec, exec, s[16:17]
	s_or_b32 s89, s88, 1
	v_cmp_eq_u32_e64 s[16:17], s89, v24
	s_and_b64 s[90:91], s[20:21], s[16:17]
	s_barrier
	s_and_saveexec_b64 s[16:17], s[90:91]
; %bb.532:                              ;   in Loop: Header=BB67_527 Depth=1
	ds_write_b64 v26, v[2:3]
; %bb.533:                              ;   in Loop: Header=BB67_527 Depth=1
	s_or_b64 exec, exec, s[16:17]
	v_cmp_lt_u32_e64 s[16:17], s89, v24
	s_and_b64 s[90:91], s[20:21], s[16:17]
	s_waitcnt lgkmcnt(0)
	s_barrier
	s_and_saveexec_b64 s[16:17], s[90:91]
	s_cbranch_execz .LBB67_526
; %bb.534:                              ;   in Loop: Header=BB67_527 Depth=1
	ds_read_b64 v[29:30], v27 offset:512
	ds_read_b64 v[31:32], v26
	s_waitcnt lgkmcnt(0)
	v_mul_f32_e32 v33, v32, v30
	v_mul_f32_e32 v30, v31, v30
	v_fma_f32 v31, v31, v29, -v33
	v_fmac_f32_e32 v30, v32, v29
	v_add_f32_e32 v2, v2, v31
	v_add_f32_e32 v3, v3, v30
	s_branch .LBB67_526
.LBB67_535:
	s_and_saveexec_b64 s[16:17], s[14:15]
; %bb.536:
	v_lshl_add_u32 v24, v24, 3, v25
	v_xor_b32_e32 v3, 0x80000000, v3
	v_xor_b32_e32 v2, 0x80000000, v2
	ds_write_b64 v24, v[2:3] offset:256
; %bb.537:
	s_or_b64 exec, exec, s[16:17]
	s_waitcnt lgkmcnt(0)
	s_barrier
	s_barrier
	s_and_saveexec_b64 s[14:15], vcc
	s_cbranch_execz .LBB67_539
; %bb.538:
	s_mov_b64 s[16:17], 0x3f800000
	v_mov_b32_e32 v2, s16
	v_mov_b32_e32 v3, s17
	s_movk_i32 s16, 0x4000
	v_add_u32_e64 v24, s16, 0
	ds_write2_b64 v24, v[2:3], v[2:3] offset0:32 offset1:97
.LBB67_539:
	s_or_b64 exec, exec, s[14:15]
	v_mov_b32_e32 v3, 0
	v_mov_b32_e32 v2, 0
	s_waitcnt lgkmcnt(0)
	s_barrier
	s_and_saveexec_b64 s[16:17], s[6:7]
	s_cbranch_execz .LBB67_543
; %bb.540:
	v_mul_u32_u24_e32 v24, 0x208, v6
	ds_read_b64 v[2:3], v4 offset:16656
	ds_read_b64 v[24:25], v24 offset:16640
	v_cmp_gt_u32_e64 s[14:15], 2, v7
	s_waitcnt lgkmcnt(0)
	v_mul_f32_e32 v26, v25, v3
	v_mul_f32_e32 v3, v24, v3
	v_fma_f32 v24, v24, v2, -v26
	v_fmac_f32_e32 v3, v25, v2
	v_add_f32_e32 v2, 0, v24
	v_add_f32_e32 v3, 0, v3
	s_and_saveexec_b64 s[20:21], s[14:15]
	s_cbranch_execz .LBB67_542
; %bb.541:
	v_lshlrev_b32_e32 v24, 3, v0
	v_mov_b32_e32 v26, 0
	ds_read_b64 v[24:25], v24 offset:17168
	ds_read_b64 v[26:27], v26 offset:16648
	s_waitcnt lgkmcnt(0)
	v_mul_f32_e32 v28, v27, v25
	v_mul_f32_e32 v25, v26, v25
	v_fma_f32 v26, v26, v24, -v28
	v_fmac_f32_e32 v25, v27, v24
	v_add_f32_e32 v2, v2, v26
	v_add_f32_e32 v3, v3, v25
.LBB67_542:
	s_or_b64 exec, exec, s[20:21]
	v_xor_b32_e32 v2, 0x80000000, v2
	v_xor_b32_e32 v3, 0x80000000, v3
.LBB67_543:
	s_or_b64 exec, exec, s[16:17]
	s_and_saveexec_b64 s[14:15], s[34:35]
; %bb.544:
	ds_write_b64 v5, v[2:3]
; %bb.545:
	s_or_b64 exec, exec, s[14:15]
	s_waitcnt lgkmcnt(0)
	s_barrier
	s_and_saveexec_b64 s[14:15], s[30:31]
	s_cbranch_execz .LBB67_547
; %bb.546:
	v_mov_b32_e32 v24, 0
	ds_read_b64 v[24:25], v24 offset:17688
	ds_read_b64 v[26:27], v5
	s_waitcnt lgkmcnt(0)
	v_mul_f32_e32 v28, v27, v25
	v_mul_f32_e32 v25, v26, v25
	v_fma_f32 v26, v26, v24, -v28
	v_fmac_f32_e32 v25, v27, v24
	v_add_f32_e32 v2, v2, v26
	v_add_f32_e32 v3, v3, v25
.LBB67_547:
	s_or_b64 exec, exec, s[14:15]
	s_barrier
	s_and_saveexec_b64 s[14:15], s[30:31]
; %bb.548:
	ds_write_b64 v5, v[2:3]
; %bb.549:
	s_or_b64 exec, exec, s[14:15]
	s_waitcnt lgkmcnt(0)
	s_barrier
	s_barrier
	s_and_saveexec_b64 s[14:15], s[6:7]
; %bb.550:
	v_xor_b32_e32 v3, 0x80000000, v3
	v_xor_b32_e32 v2, 0x80000000, v2
	ds_write_b64 v4, v[2:3] offset:16656
; %bb.551:
	s_or_b64 exec, exec, s[14:15]
	s_waitcnt lgkmcnt(0)
	s_barrier
	s_barrier
	s_and_saveexec_b64 s[14:15], vcc
	s_cbranch_execz .LBB67_553
; %bb.552:
	s_mov_b64 s[16:17], 0x3f800000
	v_mov_b32_e32 v2, s16
	v_mov_b32_e32 v3, s17
	s_movk_i32 s16, 0x4000
	v_add_u32_e64 v24, s16, 0
	ds_write2_b64 v24, v[2:3], v[2:3] offset0:162 offset1:227
.LBB67_553:
	s_or_b64 exec, exec, s[14:15]
	v_mov_b32_e32 v3, 0
	v_mov_b32_e32 v2, 0
	s_waitcnt lgkmcnt(0)
	s_barrier
	s_and_saveexec_b64 s[16:17], s[18:19]
	s_cbranch_execz .LBB67_559
; %bb.554:
	v_mul_u32_u24_e32 v24, 0x208, v13
	ds_read_b64 v[2:3], v9 offset:16672
	ds_read_b64 v[25:26], v24 offset:16640
	v_cmp_gt_u32_e64 s[14:15], 12, v7
	s_waitcnt lgkmcnt(0)
	v_mul_f32_e32 v27, v26, v3
	v_mul_f32_e32 v3, v25, v3
	v_fma_f32 v25, v25, v2, -v27
	v_fmac_f32_e32 v3, v26, v2
	v_add_f32_e32 v2, 0, v25
	v_add_f32_e32 v3, 0, v3
	s_and_saveexec_b64 s[20:21], s[14:15]
	s_cbranch_execnz .LBB67_1016
; %bb.555:
	s_or_b64 exec, exec, s[20:21]
	v_cmp_gt_u32_e64 s[14:15], 8, v7
	s_and_saveexec_b64 s[20:21], s[14:15]
	s_cbranch_execnz .LBB67_1017
.LBB67_556:
	s_or_b64 exec, exec, s[20:21]
	v_cmp_gt_u32_e64 s[14:15], 4, v7
	s_and_saveexec_b64 s[20:21], s[14:15]
	s_cbranch_execz .LBB67_558
.LBB67_557:
	v_lshlrev_b32_e32 v24, 3, v0
	v_mov_b32_e32 v26, 0
	ds_read_b64 v[24:25], v24 offset:18208
	ds_read_b64 v[26:27], v26 offset:16664
	s_waitcnt lgkmcnt(0)
	v_mul_f32_e32 v28, v27, v25
	v_mul_f32_e32 v25, v26, v25
	v_fma_f32 v26, v26, v24, -v28
	v_fmac_f32_e32 v25, v27, v24
	v_add_f32_e32 v2, v2, v26
	v_add_f32_e32 v3, v3, v25
.LBB67_558:
	s_or_b64 exec, exec, s[20:21]
	v_xor_b32_e32 v2, 0x80000000, v2
	v_xor_b32_e32 v3, 0x80000000, v3
.LBB67_559:
	s_or_b64 exec, exec, s[16:17]
	s_and_saveexec_b64 s[14:15], s[38:39]
; %bb.560:
	ds_write_b64 v11, v[2:3]
; %bb.561:
	s_or_b64 exec, exec, s[14:15]
	s_waitcnt lgkmcnt(0)
	s_barrier
	s_and_saveexec_b64 s[14:15], s[40:41]
	s_cbranch_execz .LBB67_563
; %bb.562:
	ds_read_b64 v[24:25], v10 offset:18720
	ds_read_b64 v[26:27], v11
	s_waitcnt lgkmcnt(0)
	v_mul_f32_e32 v28, v27, v25
	v_mul_f32_e32 v25, v26, v25
	v_fma_f32 v26, v26, v24, -v28
	v_fmac_f32_e32 v25, v27, v24
	v_add_f32_e32 v2, v2, v26
	v_add_f32_e32 v3, v3, v25
.LBB67_563:
	s_or_b64 exec, exec, s[14:15]
	s_barrier
	s_and_saveexec_b64 s[14:15], s[42:43]
; %bb.564:
	ds_write_b64 v11, v[2:3]
; %bb.565:
	s_or_b64 exec, exec, s[14:15]
	s_waitcnt lgkmcnt(0)
	s_barrier
	s_and_saveexec_b64 s[14:15], s[44:45]
	s_cbranch_execz .LBB67_567
; %bb.566:
	ds_read_b64 v[24:25], v10 offset:19232
	ds_read_b64 v[26:27], v11
	s_waitcnt lgkmcnt(0)
	v_mul_f32_e32 v28, v27, v25
	v_mul_f32_e32 v25, v26, v25
	v_fma_f32 v26, v26, v24, -v28
	v_fmac_f32_e32 v25, v27, v24
	v_add_f32_e32 v2, v2, v26
	v_add_f32_e32 v3, v3, v25
.LBB67_567:
	s_or_b64 exec, exec, s[14:15]
	s_barrier
	s_and_saveexec_b64 s[14:15], s[46:47]
; %bb.568:
	ds_write_b64 v11, v[2:3]
; %bb.569:
	s_or_b64 exec, exec, s[14:15]
	s_waitcnt lgkmcnt(0)
	s_barrier
	s_and_saveexec_b64 s[14:15], s[36:37]
	s_cbranch_execz .LBB67_571
; %bb.570:
	v_mov_b32_e32 v24, 0
	ds_read_b64 v[24:25], v24 offset:19768
	ds_read_b64 v[26:27], v11
	s_waitcnt lgkmcnt(0)
	v_mul_f32_e32 v28, v27, v25
	v_mul_f32_e32 v25, v26, v25
	v_fma_f32 v26, v26, v24, -v28
	v_fmac_f32_e32 v25, v27, v24
	v_add_f32_e32 v2, v2, v26
	v_add_f32_e32 v3, v3, v25
.LBB67_571:
	s_or_b64 exec, exec, s[14:15]
	s_barrier
	s_and_saveexec_b64 s[14:15], s[36:37]
; %bb.572:
	ds_write_b64 v11, v[2:3]
; %bb.573:
	s_or_b64 exec, exec, s[14:15]
	s_waitcnt lgkmcnt(0)
	s_barrier
	s_barrier
	s_and_saveexec_b64 s[14:15], s[18:19]
; %bb.574:
	v_xor_b32_e32 v2, 0x80000000, v2
	v_xor_b32_e32 v3, 0x80000000, v3
	ds_write_b64 v9, v[2:3] offset:16672
; %bb.575:
	s_or_b64 exec, exec, s[14:15]
	s_waitcnt lgkmcnt(0)
	s_barrier
	s_barrier
	s_and_saveexec_b64 s[14:15], vcc
	s_cbranch_execz .LBB67_577
; %bb.576:
	s_mov_b64 s[16:17], 0x3f800000
	v_mov_b32_e32 v2, s16
	v_mov_b32_e32 v3, s17
	s_movk_i32 s16, 0x4800
	v_add_u32_e64 v24, s16, 0
	ds_write2_b64 v24, v[2:3], v[2:3] offset0:36 offset1:101
.LBB67_577:
	s_or_b64 exec, exec, s[14:15]
	v_mov_b32_e32 v3, 0
	v_mov_b32_e32 v2, 0
	s_waitcnt lgkmcnt(0)
	s_barrier
	s_and_saveexec_b64 s[16:17], s[6:7]
	s_cbranch_execz .LBB67_581
; %bb.578:
	v_mul_u32_u24_e32 v24, 0x208, v6
	ds_read_b64 v[2:3], v4 offset:18736
	ds_read_b64 v[24:25], v24 offset:18720
	v_cmp_gt_u32_e64 s[14:15], 2, v7
	s_waitcnt lgkmcnt(0)
	v_mul_f32_e32 v26, v25, v3
	v_mul_f32_e32 v3, v24, v3
	v_fma_f32 v24, v24, v2, -v26
	v_fmac_f32_e32 v3, v25, v2
	v_add_f32_e32 v2, 0, v24
	v_add_f32_e32 v3, 0, v3
	s_and_saveexec_b64 s[20:21], s[14:15]
	s_cbranch_execz .LBB67_580
; %bb.579:
	v_lshlrev_b32_e32 v24, 3, v0
	v_mov_b32_e32 v26, 0
	ds_read_b64 v[24:25], v24 offset:19248
	ds_read_b64 v[26:27], v26 offset:18728
	s_waitcnt lgkmcnt(0)
	v_mul_f32_e32 v28, v27, v25
	v_mul_f32_e32 v25, v26, v25
	v_fma_f32 v26, v26, v24, -v28
	v_fmac_f32_e32 v25, v27, v24
	v_add_f32_e32 v2, v2, v26
	v_add_f32_e32 v3, v3, v25
.LBB67_580:
	s_or_b64 exec, exec, s[20:21]
	v_xor_b32_e32 v2, 0x80000000, v2
	v_xor_b32_e32 v3, 0x80000000, v3
.LBB67_581:
	s_or_b64 exec, exec, s[16:17]
	s_and_saveexec_b64 s[14:15], s[34:35]
; %bb.582:
	ds_write_b64 v5, v[2:3]
; %bb.583:
	s_or_b64 exec, exec, s[14:15]
	s_waitcnt lgkmcnt(0)
	s_barrier
	s_and_saveexec_b64 s[14:15], s[30:31]
	s_cbranch_execz .LBB67_585
; %bb.584:
	v_mov_b32_e32 v24, 0
	ds_read_b64 v[24:25], v24 offset:19768
	ds_read_b64 v[26:27], v5
	s_waitcnt lgkmcnt(0)
	v_mul_f32_e32 v28, v27, v25
	v_mul_f32_e32 v25, v26, v25
	v_fma_f32 v26, v26, v24, -v28
	v_fmac_f32_e32 v25, v27, v24
	v_add_f32_e32 v2, v2, v26
	v_add_f32_e32 v3, v3, v25
.LBB67_585:
	s_or_b64 exec, exec, s[14:15]
	s_barrier
	s_and_saveexec_b64 s[14:15], s[30:31]
; %bb.586:
	ds_write_b64 v5, v[2:3]
; %bb.587:
	s_or_b64 exec, exec, s[14:15]
	s_waitcnt lgkmcnt(0)
	s_barrier
	s_barrier
	s_and_saveexec_b64 s[14:15], s[6:7]
; %bb.588:
	v_xor_b32_e32 v3, 0x80000000, v3
	v_xor_b32_e32 v2, 0x80000000, v2
	ds_write_b64 v4, v[2:3] offset:18736
; %bb.589:
	s_or_b64 exec, exec, s[14:15]
	s_waitcnt lgkmcnt(0)
	s_barrier
	s_barrier
	s_and_saveexec_b64 s[14:15], vcc
	s_cbranch_execz .LBB67_591
; %bb.590:
	s_mov_b64 s[16:17], 0x3f800000
	v_mov_b32_e32 v2, s16
	v_mov_b32_e32 v3, s17
	s_movk_i32 s16, 0x4800
	v_add_u32_e64 v24, s16, 0
	ds_write2_b64 v24, v[2:3], v[2:3] offset0:166 offset1:231
.LBB67_591:
	s_or_b64 exec, exec, s[14:15]
	v_mov_b32_e32 v3, 0
	v_mov_b32_e32 v2, 0
	s_waitcnt lgkmcnt(0)
	s_barrier
	s_and_saveexec_b64 s[16:17], s[10:11]
	s_cbranch_execz .LBB67_601
; %bb.592:
	v_mul_u32_u24_e32 v24, 0x208, v18
	ds_read_b64 v[2:3], v14 offset:16704
	ds_read_b64 v[25:26], v24 offset:16640
	v_cmp_gt_u32_e64 s[14:15], 56, v7
	s_waitcnt lgkmcnt(0)
	v_mul_f32_e32 v27, v26, v3
	v_mul_f32_e32 v3, v25, v3
	v_fma_f32 v25, v25, v2, -v27
	v_fmac_f32_e32 v3, v26, v2
	v_add_f32_e32 v2, 0, v25
	v_add_f32_e32 v3, 0, v3
	s_and_saveexec_b64 s[20:21], s[14:15]
	s_cbranch_execnz .LBB67_1018
; %bb.593:
	s_or_b64 exec, exec, s[20:21]
	v_cmp_gt_u32_e64 s[14:15], 48, v7
	s_and_saveexec_b64 s[20:21], s[14:15]
	s_cbranch_execnz .LBB67_1019
.LBB67_594:
	s_or_b64 exec, exec, s[20:21]
	v_cmp_gt_u32_e64 s[14:15], 40, v7
	s_and_saveexec_b64 s[20:21], s[14:15]
	s_cbranch_execnz .LBB67_1020
.LBB67_595:
	s_or_b64 exec, exec, s[20:21]
	v_cmp_gt_u32_e64 s[14:15], 32, v7
	s_and_saveexec_b64 s[20:21], s[14:15]
	s_cbranch_execnz .LBB67_1021
.LBB67_596:
	s_or_b64 exec, exec, s[20:21]
	v_cmp_gt_u32_e64 s[14:15], 24, v7
	s_and_saveexec_b64 s[20:21], s[14:15]
	s_cbranch_execnz .LBB67_1022
.LBB67_597:
	s_or_b64 exec, exec, s[20:21]
	v_cmp_gt_u32_e64 s[14:15], 16, v7
	s_and_saveexec_b64 s[20:21], s[14:15]
	s_cbranch_execnz .LBB67_1023
.LBB67_598:
	s_or_b64 exec, exec, s[20:21]
	v_cmp_gt_u32_e64 s[14:15], 8, v7
	s_and_saveexec_b64 s[20:21], s[14:15]
	s_cbranch_execz .LBB67_600
.LBB67_599:
	v_lshlrev_b32_e32 v24, 3, v0
	v_mov_b32_e32 v26, 0
	ds_read_b64 v[24:25], v24 offset:20288
	ds_read_b64 v[26:27], v26 offset:16696
	s_waitcnt lgkmcnt(0)
	v_mul_f32_e32 v28, v27, v25
	v_mul_f32_e32 v25, v26, v25
	v_fma_f32 v26, v26, v24, -v28
	v_fmac_f32_e32 v25, v27, v24
	v_add_f32_e32 v2, v2, v26
	v_add_f32_e32 v3, v3, v25
.LBB67_600:
	s_or_b64 exec, exec, s[20:21]
	v_xor_b32_e32 v2, 0x80000000, v2
	v_xor_b32_e32 v3, 0x80000000, v3
.LBB67_601:
	s_or_b64 exec, exec, s[16:17]
	s_and_saveexec_b64 s[14:15], s[50:51]
; %bb.602:
	ds_write_b64 v16, v[2:3]
; %bb.603:
	s_or_b64 exec, exec, s[14:15]
	s_waitcnt lgkmcnt(0)
	s_barrier
	s_and_saveexec_b64 s[14:15], s[52:53]
	s_cbranch_execz .LBB67_605
; %bb.604:
	ds_read_b64 v[24:25], v15 offset:20800
	ds_read_b64 v[26:27], v16
	s_waitcnt lgkmcnt(0)
	v_mul_f32_e32 v28, v27, v25
	v_mul_f32_e32 v25, v26, v25
	v_fma_f32 v26, v26, v24, -v28
	v_fmac_f32_e32 v25, v27, v24
	v_add_f32_e32 v2, v2, v26
	v_add_f32_e32 v3, v3, v25
.LBB67_605:
	s_or_b64 exec, exec, s[14:15]
	s_barrier
	s_and_saveexec_b64 s[14:15], s[54:55]
; %bb.606:
	ds_write_b64 v16, v[2:3]
; %bb.607:
	s_or_b64 exec, exec, s[14:15]
	s_waitcnt lgkmcnt(0)
	s_barrier
	s_and_saveexec_b64 s[14:15], s[56:57]
	s_cbranch_execz .LBB67_609
; %bb.608:
	ds_read_b64 v[24:25], v15 offset:21312
	ds_read_b64 v[26:27], v16
	s_waitcnt lgkmcnt(0)
	v_mul_f32_e32 v28, v27, v25
	v_mul_f32_e32 v25, v26, v25
	v_fma_f32 v26, v26, v24, -v28
	v_fmac_f32_e32 v25, v27, v24
	v_add_f32_e32 v2, v2, v26
	v_add_f32_e32 v3, v3, v25
.LBB67_609:
	s_or_b64 exec, exec, s[14:15]
	s_barrier
	;; [unrolled: 22-line block ×6, first 2 shown]
	s_and_saveexec_b64 s[14:15], s[74:75]
; %bb.626:
	ds_write_b64 v16, v[2:3]
; %bb.627:
	s_or_b64 exec, exec, s[14:15]
	s_waitcnt lgkmcnt(0)
	s_barrier
	s_and_saveexec_b64 s[14:15], s[48:49]
	s_cbranch_execz .LBB67_629
; %bb.628:
	v_mov_b32_e32 v24, 0
	ds_read_b64 v[24:25], v24 offset:23928
	ds_read_b64 v[26:27], v16
	s_waitcnt lgkmcnt(0)
	v_mul_f32_e32 v28, v27, v25
	v_mul_f32_e32 v25, v26, v25
	v_fma_f32 v26, v26, v24, -v28
	v_fmac_f32_e32 v25, v27, v24
	v_add_f32_e32 v2, v2, v26
	v_add_f32_e32 v3, v3, v25
.LBB67_629:
	s_or_b64 exec, exec, s[14:15]
	s_barrier
	s_and_saveexec_b64 s[14:15], s[48:49]
; %bb.630:
	ds_write_b64 v16, v[2:3]
; %bb.631:
	s_or_b64 exec, exec, s[14:15]
	s_waitcnt lgkmcnt(0)
	s_barrier
	s_barrier
	s_and_saveexec_b64 s[14:15], s[10:11]
; %bb.632:
	v_xor_b32_e32 v3, 0x80000000, v3
	v_xor_b32_e32 v2, 0x80000000, v2
	ds_write_b64 v14, v[2:3] offset:16704
; %bb.633:
	s_or_b64 exec, exec, s[14:15]
	s_waitcnt lgkmcnt(0)
	s_barrier
	s_barrier
	s_and_saveexec_b64 s[14:15], vcc
	s_cbranch_execz .LBB67_635
; %bb.634:
	s_mov_b64 s[16:17], 0x3f800000
	v_mov_b32_e32 v2, s16
	v_mov_b32_e32 v3, s17
	s_movk_i32 s16, 0x5000
	v_add_u32_e64 v24, s16, 0
	ds_write2_b64 v24, v[2:3], v[2:3] offset0:40 offset1:105
.LBB67_635:
	s_or_b64 exec, exec, s[14:15]
	v_mov_b32_e32 v3, 0
	v_mov_b32_e32 v2, 0
	s_waitcnt lgkmcnt(0)
	s_barrier
	s_and_saveexec_b64 s[16:17], s[6:7]
	s_cbranch_execz .LBB67_639
; %bb.636:
	v_mul_u32_u24_e32 v24, 0x208, v6
	ds_read_b64 v[2:3], v4 offset:20816
	ds_read_b64 v[24:25], v24 offset:20800
	v_cmp_gt_u32_e64 s[14:15], 2, v7
	s_waitcnt lgkmcnt(0)
	v_mul_f32_e32 v26, v25, v3
	v_mul_f32_e32 v3, v24, v3
	v_fma_f32 v24, v24, v2, -v26
	v_fmac_f32_e32 v3, v25, v2
	v_add_f32_e32 v2, 0, v24
	v_add_f32_e32 v3, 0, v3
	s_and_saveexec_b64 s[20:21], s[14:15]
	s_cbranch_execz .LBB67_638
; %bb.637:
	v_lshlrev_b32_e32 v24, 3, v0
	v_mov_b32_e32 v26, 0
	ds_read_b64 v[24:25], v24 offset:21328
	ds_read_b64 v[26:27], v26 offset:20808
	s_waitcnt lgkmcnt(0)
	v_mul_f32_e32 v28, v27, v25
	v_mul_f32_e32 v25, v26, v25
	v_fma_f32 v26, v26, v24, -v28
	v_fmac_f32_e32 v25, v27, v24
	v_add_f32_e32 v2, v2, v26
	v_add_f32_e32 v3, v3, v25
.LBB67_638:
	s_or_b64 exec, exec, s[20:21]
	v_xor_b32_e32 v2, 0x80000000, v2
	v_xor_b32_e32 v3, 0x80000000, v3
.LBB67_639:
	s_or_b64 exec, exec, s[16:17]
	s_and_saveexec_b64 s[14:15], s[34:35]
; %bb.640:
	ds_write_b64 v5, v[2:3]
; %bb.641:
	s_or_b64 exec, exec, s[14:15]
	s_waitcnt lgkmcnt(0)
	s_barrier
	s_and_saveexec_b64 s[14:15], s[30:31]
	s_cbranch_execz .LBB67_643
; %bb.642:
	v_mov_b32_e32 v24, 0
	ds_read_b64 v[24:25], v24 offset:21848
	ds_read_b64 v[26:27], v5
	s_waitcnt lgkmcnt(0)
	v_mul_f32_e32 v28, v27, v25
	v_mul_f32_e32 v25, v26, v25
	v_fma_f32 v26, v26, v24, -v28
	v_fmac_f32_e32 v25, v27, v24
	v_add_f32_e32 v2, v2, v26
	v_add_f32_e32 v3, v3, v25
.LBB67_643:
	s_or_b64 exec, exec, s[14:15]
	s_barrier
	s_and_saveexec_b64 s[14:15], s[30:31]
; %bb.644:
	ds_write_b64 v5, v[2:3]
; %bb.645:
	s_or_b64 exec, exec, s[14:15]
	s_waitcnt lgkmcnt(0)
	s_barrier
	s_barrier
	s_and_saveexec_b64 s[14:15], s[6:7]
; %bb.646:
	v_xor_b32_e32 v3, 0x80000000, v3
	v_xor_b32_e32 v2, 0x80000000, v2
	ds_write_b64 v4, v[2:3] offset:20816
; %bb.647:
	s_or_b64 exec, exec, s[14:15]
	s_waitcnt lgkmcnt(0)
	s_barrier
	s_barrier
	s_and_saveexec_b64 s[14:15], vcc
	s_cbranch_execz .LBB67_649
; %bb.648:
	s_mov_b64 s[16:17], 0x3f800000
	v_mov_b32_e32 v2, s16
	v_mov_b32_e32 v3, s17
	s_movk_i32 s16, 0x5000
	v_add_u32_e64 v24, s16, 0
	ds_write2_b64 v24, v[2:3], v[2:3] offset0:170 offset1:235
.LBB67_649:
	s_or_b64 exec, exec, s[14:15]
	v_mov_b32_e32 v3, 0
	v_mov_b32_e32 v2, 0
	s_waitcnt lgkmcnt(0)
	s_barrier
	s_and_saveexec_b64 s[16:17], s[18:19]
	s_cbranch_execz .LBB67_655
; %bb.650:
	v_mul_u32_u24_e32 v24, 0x208, v13
	ds_read_b64 v[2:3], v9 offset:20832
	ds_read_b64 v[25:26], v24 offset:20800
	v_cmp_gt_u32_e64 s[14:15], 12, v7
	s_waitcnt lgkmcnt(0)
	v_mul_f32_e32 v27, v26, v3
	v_mul_f32_e32 v3, v25, v3
	v_fma_f32 v25, v25, v2, -v27
	v_fmac_f32_e32 v3, v26, v2
	v_add_f32_e32 v2, 0, v25
	v_add_f32_e32 v3, 0, v3
	s_and_saveexec_b64 s[20:21], s[14:15]
	s_cbranch_execnz .LBB67_1024
; %bb.651:
	s_or_b64 exec, exec, s[20:21]
	v_cmp_gt_u32_e64 s[14:15], 8, v7
	s_and_saveexec_b64 s[20:21], s[14:15]
	s_cbranch_execnz .LBB67_1025
.LBB67_652:
	s_or_b64 exec, exec, s[20:21]
	v_cmp_gt_u32_e64 s[14:15], 4, v7
	s_and_saveexec_b64 s[20:21], s[14:15]
	s_cbranch_execz .LBB67_654
.LBB67_653:
	v_lshlrev_b32_e32 v24, 3, v0
	v_mov_b32_e32 v26, 0
	ds_read_b64 v[24:25], v24 offset:22368
	ds_read_b64 v[26:27], v26 offset:20824
	s_waitcnt lgkmcnt(0)
	v_mul_f32_e32 v28, v27, v25
	v_mul_f32_e32 v25, v26, v25
	v_fma_f32 v26, v26, v24, -v28
	v_fmac_f32_e32 v25, v27, v24
	v_add_f32_e32 v2, v2, v26
	v_add_f32_e32 v3, v3, v25
.LBB67_654:
	s_or_b64 exec, exec, s[20:21]
	v_xor_b32_e32 v2, 0x80000000, v2
	v_xor_b32_e32 v3, 0x80000000, v3
.LBB67_655:
	s_or_b64 exec, exec, s[16:17]
	s_and_saveexec_b64 s[14:15], s[38:39]
; %bb.656:
	ds_write_b64 v11, v[2:3]
; %bb.657:
	s_or_b64 exec, exec, s[14:15]
	s_waitcnt lgkmcnt(0)
	s_barrier
	s_and_saveexec_b64 s[14:15], s[40:41]
	s_cbranch_execz .LBB67_659
; %bb.658:
	ds_read_b64 v[24:25], v10 offset:22880
	ds_read_b64 v[26:27], v11
	s_waitcnt lgkmcnt(0)
	v_mul_f32_e32 v28, v27, v25
	v_mul_f32_e32 v25, v26, v25
	v_fma_f32 v26, v26, v24, -v28
	v_fmac_f32_e32 v25, v27, v24
	v_add_f32_e32 v2, v2, v26
	v_add_f32_e32 v3, v3, v25
.LBB67_659:
	s_or_b64 exec, exec, s[14:15]
	s_barrier
	s_and_saveexec_b64 s[14:15], s[42:43]
; %bb.660:
	ds_write_b64 v11, v[2:3]
; %bb.661:
	s_or_b64 exec, exec, s[14:15]
	s_waitcnt lgkmcnt(0)
	s_barrier
	s_and_saveexec_b64 s[14:15], s[44:45]
	s_cbranch_execz .LBB67_663
; %bb.662:
	ds_read_b64 v[24:25], v10 offset:23392
	ds_read_b64 v[26:27], v11
	s_waitcnt lgkmcnt(0)
	v_mul_f32_e32 v28, v27, v25
	v_mul_f32_e32 v25, v26, v25
	v_fma_f32 v26, v26, v24, -v28
	v_fmac_f32_e32 v25, v27, v24
	v_add_f32_e32 v2, v2, v26
	v_add_f32_e32 v3, v3, v25
.LBB67_663:
	s_or_b64 exec, exec, s[14:15]
	s_barrier
	s_and_saveexec_b64 s[14:15], s[46:47]
; %bb.664:
	ds_write_b64 v11, v[2:3]
; %bb.665:
	s_or_b64 exec, exec, s[14:15]
	s_waitcnt lgkmcnt(0)
	s_barrier
	s_and_saveexec_b64 s[14:15], s[36:37]
	s_cbranch_execz .LBB67_667
; %bb.666:
	v_mov_b32_e32 v24, 0
	ds_read_b64 v[24:25], v24 offset:23928
	ds_read_b64 v[26:27], v11
	s_waitcnt lgkmcnt(0)
	v_mul_f32_e32 v28, v27, v25
	v_mul_f32_e32 v25, v26, v25
	v_fma_f32 v26, v26, v24, -v28
	v_fmac_f32_e32 v25, v27, v24
	v_add_f32_e32 v2, v2, v26
	v_add_f32_e32 v3, v3, v25
.LBB67_667:
	s_or_b64 exec, exec, s[14:15]
	s_barrier
	s_and_saveexec_b64 s[14:15], s[36:37]
; %bb.668:
	ds_write_b64 v11, v[2:3]
; %bb.669:
	s_or_b64 exec, exec, s[14:15]
	s_waitcnt lgkmcnt(0)
	s_barrier
	s_barrier
	s_and_saveexec_b64 s[14:15], s[18:19]
; %bb.670:
	v_xor_b32_e32 v2, 0x80000000, v2
	v_xor_b32_e32 v3, 0x80000000, v3
	ds_write_b64 v9, v[2:3] offset:20832
; %bb.671:
	s_or_b64 exec, exec, s[14:15]
	s_waitcnt lgkmcnt(0)
	s_barrier
	s_barrier
	s_and_saveexec_b64 s[14:15], vcc
	s_cbranch_execz .LBB67_673
; %bb.672:
	s_mov_b64 s[16:17], 0x3f800000
	v_mov_b32_e32 v2, s16
	v_mov_b32_e32 v3, s17
	s_movk_i32 s16, 0x5800
	v_add_u32_e64 v24, s16, 0
	ds_write2_b64 v24, v[2:3], v[2:3] offset0:44 offset1:109
.LBB67_673:
	s_or_b64 exec, exec, s[14:15]
	v_mov_b32_e32 v3, 0
	v_mov_b32_e32 v2, 0
	s_waitcnt lgkmcnt(0)
	s_barrier
	s_and_saveexec_b64 s[16:17], s[6:7]
	s_cbranch_execz .LBB67_677
; %bb.674:
	v_mul_u32_u24_e32 v24, 0x208, v6
	ds_read_b64 v[2:3], v4 offset:22896
	ds_read_b64 v[24:25], v24 offset:22880
	v_cmp_gt_u32_e64 s[14:15], 2, v7
	s_waitcnt lgkmcnt(0)
	v_mul_f32_e32 v26, v25, v3
	v_mul_f32_e32 v3, v24, v3
	v_fma_f32 v24, v24, v2, -v26
	v_fmac_f32_e32 v3, v25, v2
	v_add_f32_e32 v2, 0, v24
	v_add_f32_e32 v3, 0, v3
	s_and_saveexec_b64 s[20:21], s[14:15]
	s_cbranch_execz .LBB67_676
; %bb.675:
	v_lshlrev_b32_e32 v24, 3, v0
	v_mov_b32_e32 v26, 0
	ds_read_b64 v[24:25], v24 offset:23408
	ds_read_b64 v[26:27], v26 offset:22888
	s_waitcnt lgkmcnt(0)
	v_mul_f32_e32 v28, v27, v25
	v_mul_f32_e32 v25, v26, v25
	v_fma_f32 v26, v26, v24, -v28
	v_fmac_f32_e32 v25, v27, v24
	v_add_f32_e32 v2, v2, v26
	v_add_f32_e32 v3, v3, v25
.LBB67_676:
	s_or_b64 exec, exec, s[20:21]
	v_xor_b32_e32 v2, 0x80000000, v2
	v_xor_b32_e32 v3, 0x80000000, v3
.LBB67_677:
	s_or_b64 exec, exec, s[16:17]
	s_and_saveexec_b64 s[14:15], s[34:35]
; %bb.678:
	ds_write_b64 v5, v[2:3]
; %bb.679:
	s_or_b64 exec, exec, s[14:15]
	s_waitcnt lgkmcnt(0)
	s_barrier
	s_and_saveexec_b64 s[14:15], s[30:31]
	s_cbranch_execz .LBB67_681
; %bb.680:
	v_mov_b32_e32 v24, 0
	ds_read_b64 v[24:25], v24 offset:23928
	ds_read_b64 v[26:27], v5
	s_waitcnt lgkmcnt(0)
	v_mul_f32_e32 v28, v27, v25
	v_mul_f32_e32 v25, v26, v25
	v_fma_f32 v26, v26, v24, -v28
	v_fmac_f32_e32 v25, v27, v24
	v_add_f32_e32 v2, v2, v26
	v_add_f32_e32 v3, v3, v25
.LBB67_681:
	s_or_b64 exec, exec, s[14:15]
	s_barrier
	s_and_saveexec_b64 s[14:15], s[30:31]
; %bb.682:
	ds_write_b64 v5, v[2:3]
; %bb.683:
	s_or_b64 exec, exec, s[14:15]
	s_waitcnt lgkmcnt(0)
	s_barrier
	s_barrier
	s_and_saveexec_b64 s[14:15], s[6:7]
; %bb.684:
	v_xor_b32_e32 v3, 0x80000000, v3
	v_xor_b32_e32 v2, 0x80000000, v2
	ds_write_b64 v4, v[2:3] offset:22896
; %bb.685:
	s_or_b64 exec, exec, s[14:15]
	s_waitcnt lgkmcnt(0)
	s_barrier
	s_barrier
	s_and_saveexec_b64 s[14:15], vcc
	s_cbranch_execz .LBB67_687
; %bb.686:
	s_mov_b64 s[16:17], 0x3f800000
	v_mov_b32_e32 v2, s16
	v_mov_b32_e32 v3, s17
	s_movk_i32 s16, 0x5800
	v_add_u32_e64 v24, s16, 0
	ds_write2_b64 v24, v[2:3], v[2:3] offset0:174 offset1:239
.LBB67_687:
	s_or_b64 exec, exec, s[14:15]
	v_mov_b32_e32 v3, 0
	v_mov_b32_e32 v2, 0
	s_waitcnt lgkmcnt(0)
	s_barrier
	s_and_saveexec_b64 s[16:17], s[12:13]
	s_cbranch_execz .LBB67_715
; %bb.688:
	v_mul_u32_u24_e32 v24, 0x208, v23
	ds_read_b64 v[2:3], v19 offset:16768
	ds_read_b64 v[25:26], v24 offset:16640
	s_movk_i32 s14, 0xf0
	v_cmp_gt_u32_e64 s[14:15], s14, v7
	s_waitcnt lgkmcnt(0)
	v_mul_f32_e32 v27, v26, v3
	v_mul_f32_e32 v3, v25, v3
	v_fma_f32 v25, v25, v2, -v27
	v_fmac_f32_e32 v3, v26, v2
	v_add_f32_e32 v2, 0, v25
	v_add_f32_e32 v3, 0, v3
	s_and_saveexec_b64 s[20:21], s[14:15]
	s_cbranch_execz .LBB67_690
; %bb.689:
	v_lshlrev_b32_e32 v25, 3, v23
	v_sub_u32_e32 v25, v24, v25
	v_lshl_add_u32 v25, v20, 3, v25
	ds_read_b64 v[25:26], v25 offset:17280
	ds_read_b64 v[27:28], v24 offset:16648
	s_waitcnt lgkmcnt(0)
	v_mul_f32_e32 v29, v28, v26
	v_mul_f32_e32 v26, v27, v26
	v_fma_f32 v27, v27, v25, -v29
	v_fmac_f32_e32 v26, v28, v25
	v_add_f32_e32 v2, v2, v27
	v_add_f32_e32 v3, v3, v26
.LBB67_690:
	s_or_b64 exec, exec, s[20:21]
	s_movk_i32 s14, 0xe0
	v_cmp_gt_u32_e64 s[14:15], s14, v7
	s_and_saveexec_b64 s[20:21], s[14:15]
	s_cbranch_execz .LBB67_692
; %bb.691:
	v_lshlrev_b32_e32 v25, 3, v23
	v_sub_u32_e32 v25, v24, v25
	v_lshl_add_u32 v25, v20, 3, v25
	ds_read_b64 v[25:26], v25 offset:17792
	ds_read_b64 v[27:28], v24 offset:16656
	s_waitcnt lgkmcnt(0)
	v_mul_f32_e32 v29, v28, v26
	v_mul_f32_e32 v26, v27, v26
	v_fma_f32 v27, v27, v25, -v29
	v_fmac_f32_e32 v26, v28, v25
	v_add_f32_e32 v2, v2, v27
	v_add_f32_e32 v3, v3, v26
.LBB67_692:
	s_or_b64 exec, exec, s[20:21]
	s_movk_i32 s14, 0xd0
	v_cmp_gt_u32_e64 s[14:15], s14, v7
	;; [unrolled: 19-line block ×6, first 2 shown]
	s_and_saveexec_b64 s[20:21], s[14:15]
	s_cbranch_execz .LBB67_702
; %bb.701:
	v_lshlrev_b32_e32 v23, 3, v20
	v_lshl_add_u32 v23, v22, 3, v23
	ds_read_b64 v[25:26], v23 offset:20352
	ds_read_b64 v[27:28], v24 offset:16696
	s_waitcnt lgkmcnt(0)
	v_mul_f32_e32 v23, v28, v26
	v_mul_f32_e32 v26, v27, v26
	v_fma_f32 v23, v27, v25, -v23
	v_fmac_f32_e32 v26, v28, v25
	v_add_f32_e32 v2, v2, v23
	v_add_f32_e32 v3, v3, v26
.LBB67_702:
	s_or_b64 exec, exec, s[20:21]
	s_movk_i32 s14, 0x80
	v_cmp_gt_u32_e64 s[14:15], s14, v7
	s_and_saveexec_b64 s[20:21], s[14:15]
	s_cbranch_execz .LBB67_704
; %bb.703:
	ds_read_b64 v[25:26], v19 offset:20864
	ds_read_b64 v[27:28], v24 offset:16704
	s_waitcnt lgkmcnt(0)
	v_mul_f32_e32 v23, v28, v26
	v_mul_f32_e32 v26, v27, v26
	v_fma_f32 v23, v27, v25, -v23
	v_fmac_f32_e32 v26, v28, v25
	v_add_f32_e32 v2, v2, v23
	v_add_f32_e32 v3, v3, v26
.LBB67_704:
	s_or_b64 exec, exec, s[20:21]
	s_movk_i32 s14, 0x70
	v_cmp_gt_u32_e64 s[14:15], s14, v7
	s_and_saveexec_b64 s[20:21], s[14:15]
	s_cbranch_execz .LBB67_706
; %bb.705:
	v_lshlrev_b32_e32 v23, 3, v20
	v_lshl_add_u32 v23, v22, 3, v23
	ds_read_b64 v[25:26], v23 offset:21376
	ds_read_b64 v[27:28], v24 offset:16712
	s_waitcnt lgkmcnt(0)
	v_mul_f32_e32 v23, v28, v26
	v_mul_f32_e32 v26, v27, v26
	v_fma_f32 v23, v27, v25, -v23
	v_fmac_f32_e32 v26, v28, v25
	v_add_f32_e32 v2, v2, v23
	v_add_f32_e32 v3, v3, v26
.LBB67_706:
	s_or_b64 exec, exec, s[20:21]
	s_movk_i32 s14, 0x60
	v_cmp_gt_u32_e64 s[14:15], s14, v7
	s_and_saveexec_b64 s[20:21], s[14:15]
	s_cbranch_execz .LBB67_708
; %bb.707:
	v_lshlrev_b32_e32 v23, 3, v20
	v_lshl_add_u32 v23, v22, 3, v23
	ds_read_b64 v[25:26], v23 offset:21888
	ds_read_b64 v[27:28], v24 offset:16720
	s_waitcnt lgkmcnt(0)
	v_mul_f32_e32 v23, v28, v26
	v_mul_f32_e32 v26, v27, v26
	v_fma_f32 v23, v27, v25, -v23
	v_fmac_f32_e32 v26, v28, v25
	v_add_f32_e32 v2, v2, v23
	v_add_f32_e32 v3, v3, v26
.LBB67_708:
	s_or_b64 exec, exec, s[20:21]
	s_movk_i32 s14, 0x50
	v_cmp_gt_u32_e64 s[14:15], s14, v7
	s_and_saveexec_b64 s[20:21], s[14:15]
	s_cbranch_execnz .LBB67_1026
; %bb.709:
	s_or_b64 exec, exec, s[20:21]
	v_cmp_gt_u32_e64 s[14:15], 64, v7
	s_and_saveexec_b64 s[20:21], s[14:15]
	s_cbranch_execnz .LBB67_1027
.LBB67_710:
	s_or_b64 exec, exec, s[20:21]
	v_cmp_gt_u32_e64 s[14:15], 48, v7
	s_and_saveexec_b64 s[20:21], s[14:15]
	s_cbranch_execnz .LBB67_1028
.LBB67_711:
	s_or_b64 exec, exec, s[20:21]
	v_cmp_gt_u32_e64 s[14:15], 32, v7
	s_and_saveexec_b64 s[20:21], s[14:15]
	s_cbranch_execnz .LBB67_1029
.LBB67_712:
	s_or_b64 exec, exec, s[20:21]
	v_cmp_gt_u32_e64 s[14:15], 16, v7
	s_and_saveexec_b64 s[20:21], s[14:15]
	s_cbranch_execz .LBB67_714
.LBB67_713:
	v_lshlrev_b32_e32 v22, 3, v0
	v_mov_b32_e32 v24, 0
	ds_read_b64 v[22:23], v22 offset:24448
	ds_read_b64 v[24:25], v24 offset:16760
	s_waitcnt lgkmcnt(0)
	v_mul_f32_e32 v26, v25, v23
	v_mul_f32_e32 v23, v24, v23
	v_fma_f32 v24, v24, v22, -v26
	v_fmac_f32_e32 v23, v25, v22
	v_add_f32_e32 v2, v2, v24
	v_add_f32_e32 v3, v3, v23
.LBB67_714:
	s_or_b64 exec, exec, s[20:21]
	v_xor_b32_e32 v2, 0x80000000, v2
	v_xor_b32_e32 v3, 0x80000000, v3
.LBB67_715:
	s_or_b64 exec, exec, s[16:17]
	s_mov_b64 s[14:15], exec
	v_readlane_b32 s16, v35, 0
	v_readlane_b32 s17, v35, 1
	s_and_b64 s[16:17], s[14:15], s[16:17]
	s_mov_b64 exec, s[16:17]
; %bb.716:
	ds_write_b64 v21, v[2:3]
; %bb.717:
	s_or_b64 exec, exec, s[14:15]
	s_waitcnt lgkmcnt(0)
	s_barrier
	s_mov_b64 s[14:15], exec
	v_readlane_b32 s16, v35, 2
	v_readlane_b32 s17, v35, 3
	s_and_b64 s[16:17], s[14:15], s[16:17]
	s_mov_b64 exec, s[16:17]
	s_cbranch_execz .LBB67_719
; %bb.718:
	v_lshlrev_b32_e32 v22, 3, v20
	ds_read_b64 v[22:23], v22 offset:24960
	ds_read_b64 v[24:25], v21
	s_waitcnt lgkmcnt(0)
	v_mul_f32_e32 v26, v25, v23
	v_mul_f32_e32 v23, v24, v23
	v_fma_f32 v24, v24, v22, -v26
	v_fmac_f32_e32 v23, v25, v22
	v_add_f32_e32 v2, v2, v24
	v_add_f32_e32 v3, v3, v23
.LBB67_719:
	s_or_b64 exec, exec, s[14:15]
	s_barrier
	s_mov_b64 s[14:15], exec
	v_readlane_b32 s16, v35, 4
	v_readlane_b32 s17, v35, 5
	s_and_b64 s[16:17], s[14:15], s[16:17]
	s_mov_b64 exec, s[16:17]
; %bb.720:
	ds_write_b64 v21, v[2:3]
; %bb.721:
	s_or_b64 exec, exec, s[14:15]
	s_waitcnt lgkmcnt(0)
	s_barrier
	s_mov_b64 s[14:15], exec
	v_readlane_b32 s16, v35, 6
	v_readlane_b32 s17, v35, 7
	s_and_b64 s[16:17], s[14:15], s[16:17]
	s_mov_b64 exec, s[16:17]
	s_cbranch_execz .LBB67_723
; %bb.722:
	v_lshlrev_b32_e32 v22, 3, v20
	ds_read_b64 v[22:23], v22 offset:25472
	ds_read_b64 v[24:25], v21
	s_waitcnt lgkmcnt(0)
	v_mul_f32_e32 v26, v25, v23
	v_mul_f32_e32 v23, v24, v23
	v_fma_f32 v24, v24, v22, -v26
	v_fmac_f32_e32 v23, v25, v22
	v_add_f32_e32 v2, v2, v24
	v_add_f32_e32 v3, v3, v23
.LBB67_723:
	s_or_b64 exec, exec, s[14:15]
	s_barrier
	;; [unrolled: 31-line block ×10, first 2 shown]
	s_mov_b64 s[14:15], exec
	v_readlane_b32 s16, v35, 40
	v_readlane_b32 s17, v35, 41
	s_and_b64 s[16:17], s[14:15], s[16:17]
	s_mov_b64 exec, s[16:17]
; %bb.756:
	ds_write_b64 v21, v[2:3]
; %bb.757:
	s_or_b64 exec, exec, s[14:15]
	s_waitcnt lgkmcnt(0)
	s_barrier
	s_and_saveexec_b64 s[14:15], s[96:97]
	s_cbranch_execz .LBB67_759
; %bb.758:
	v_lshlrev_b32_e32 v22, 3, v20
	ds_read_b64 v[22:23], v22 offset:30080
	ds_read_b64 v[24:25], v21
	s_waitcnt lgkmcnt(0)
	v_mul_f32_e32 v26, v25, v23
	v_mul_f32_e32 v23, v24, v23
	v_fma_f32 v24, v24, v22, -v26
	v_fmac_f32_e32 v23, v25, v22
	v_add_f32_e32 v2, v2, v24
	v_add_f32_e32 v3, v3, v23
.LBB67_759:
	s_or_b64 exec, exec, s[14:15]
	s_barrier
	s_and_saveexec_b64 s[14:15], s[98:99]
; %bb.760:
	ds_write_b64 v21, v[2:3]
; %bb.761:
	s_or_b64 exec, exec, s[14:15]
	s_waitcnt lgkmcnt(0)
	s_barrier
	s_and_saveexec_b64 s[14:15], s[76:77]
	s_cbranch_execz .LBB67_763
; %bb.762:
	v_lshlrev_b32_e32 v22, 3, v20
	ds_read_b64 v[22:23], v22 offset:30592
	ds_read_b64 v[24:25], v21
	s_waitcnt lgkmcnt(0)
	v_mul_f32_e32 v26, v25, v23
	v_mul_f32_e32 v23, v24, v23
	v_fma_f32 v24, v24, v22, -v26
	v_fmac_f32_e32 v23, v25, v22
	v_add_f32_e32 v2, v2, v24
	v_add_f32_e32 v3, v3, v23
.LBB67_763:
	s_or_b64 exec, exec, s[14:15]
	s_barrier
	s_and_saveexec_b64 s[14:15], s[78:79]
	;; [unrolled: 23-line block ×4, first 2 shown]
; %bb.772:
	ds_write_b64 v21, v[2:3]
; %bb.773:
	s_or_b64 exec, exec, s[14:15]
	s_waitcnt lgkmcnt(0)
	s_barrier
	s_and_saveexec_b64 s[14:15], s[92:93]
	s_cbranch_execz .LBB67_775
; %bb.774:
	v_mov_b32_e32 v20, 0
	ds_read_b64 v[22:23], v20 offset:32248
	ds_read_b64 v[24:25], v21
	s_waitcnt lgkmcnt(0)
	v_mul_f32_e32 v20, v25, v23
	v_mul_f32_e32 v23, v24, v23
	v_fma_f32 v20, v24, v22, -v20
	v_fmac_f32_e32 v23, v25, v22
	v_add_f32_e32 v2, v2, v20
	v_add_f32_e32 v3, v3, v23
.LBB67_775:
	s_or_b64 exec, exec, s[14:15]
	s_barrier
	s_and_saveexec_b64 s[14:15], s[92:93]
; %bb.776:
	ds_write_b64 v21, v[2:3]
; %bb.777:
	s_or_b64 exec, exec, s[14:15]
	s_waitcnt lgkmcnt(0)
	s_barrier
	s_barrier
	s_and_saveexec_b64 s[14:15], s[12:13]
; %bb.778:
	v_xor_b32_e32 v2, 0x80000000, v2
	v_xor_b32_e32 v3, 0x80000000, v3
	ds_write_b64 v19, v[2:3] offset:16768
; %bb.779:
	s_or_b64 exec, exec, s[14:15]
	s_waitcnt lgkmcnt(0)
	s_barrier
	s_barrier
	s_and_saveexec_b64 s[12:13], vcc
	s_cbranch_execz .LBB67_781
; %bb.780:
	s_mov_b64 s[14:15], 0x3f800000
	v_mov_b32_e32 v2, s14
	v_mov_b32_e32 v3, s15
	s_movk_i32 s14, 0x6000
	v_add_u32_e64 v19, s14, 0
	ds_write2_b64 v19, v[2:3], v[2:3] offset0:48 offset1:113
.LBB67_781:
	s_or_b64 exec, exec, s[12:13]
	v_mov_b32_e32 v3, 0
	v_mov_b32_e32 v2, 0
	s_waitcnt lgkmcnt(0)
	s_barrier
	s_and_saveexec_b64 s[14:15], s[6:7]
	s_cbranch_execz .LBB67_785
; %bb.782:
	v_mul_u32_u24_e32 v19, 0x208, v6
	ds_read_b64 v[2:3], v4 offset:24976
	ds_read_b64 v[19:20], v19 offset:24960
	v_cmp_gt_u32_e64 s[12:13], 2, v7
	s_waitcnt lgkmcnt(0)
	v_mul_f32_e32 v21, v20, v3
	v_mul_f32_e32 v3, v19, v3
	v_fma_f32 v19, v19, v2, -v21
	v_fmac_f32_e32 v3, v20, v2
	v_add_f32_e32 v2, 0, v19
	v_add_f32_e32 v3, 0, v3
	s_and_saveexec_b64 s[16:17], s[12:13]
	s_cbranch_execz .LBB67_784
; %bb.783:
	v_lshlrev_b32_e32 v19, 3, v0
	v_mov_b32_e32 v21, 0
	ds_read_b64 v[19:20], v19 offset:25488
	ds_read_b64 v[21:22], v21 offset:24968
	s_waitcnt lgkmcnt(0)
	v_mul_f32_e32 v23, v22, v20
	v_mul_f32_e32 v20, v21, v20
	v_fma_f32 v21, v21, v19, -v23
	v_fmac_f32_e32 v20, v22, v19
	v_add_f32_e32 v2, v2, v21
	v_add_f32_e32 v3, v3, v20
.LBB67_784:
	s_or_b64 exec, exec, s[16:17]
	v_xor_b32_e32 v2, 0x80000000, v2
	v_xor_b32_e32 v3, 0x80000000, v3
.LBB67_785:
	s_or_b64 exec, exec, s[14:15]
	s_and_saveexec_b64 s[12:13], s[34:35]
; %bb.786:
	ds_write_b64 v5, v[2:3]
; %bb.787:
	s_or_b64 exec, exec, s[12:13]
	s_waitcnt lgkmcnt(0)
	s_barrier
	s_and_saveexec_b64 s[12:13], s[30:31]
	s_cbranch_execz .LBB67_789
; %bb.788:
	v_mov_b32_e32 v19, 0
	ds_read_b64 v[19:20], v19 offset:26008
	ds_read_b64 v[21:22], v5
	s_waitcnt lgkmcnt(0)
	v_mul_f32_e32 v23, v22, v20
	v_mul_f32_e32 v20, v21, v20
	v_fma_f32 v21, v21, v19, -v23
	v_fmac_f32_e32 v20, v22, v19
	v_add_f32_e32 v2, v2, v21
	v_add_f32_e32 v3, v3, v20
.LBB67_789:
	s_or_b64 exec, exec, s[12:13]
	s_barrier
	s_and_saveexec_b64 s[12:13], s[30:31]
; %bb.790:
	ds_write_b64 v5, v[2:3]
; %bb.791:
	s_or_b64 exec, exec, s[12:13]
	s_waitcnt lgkmcnt(0)
	s_barrier
	s_barrier
	s_and_saveexec_b64 s[12:13], s[6:7]
; %bb.792:
	v_xor_b32_e32 v3, 0x80000000, v3
	v_xor_b32_e32 v2, 0x80000000, v2
	ds_write_b64 v4, v[2:3] offset:24976
; %bb.793:
	s_or_b64 exec, exec, s[12:13]
	s_waitcnt lgkmcnt(0)
	s_barrier
	s_barrier
	s_and_saveexec_b64 s[12:13], vcc
	s_cbranch_execz .LBB67_795
; %bb.794:
	s_mov_b64 s[14:15], 0x3f800000
	v_mov_b32_e32 v2, s14
	v_mov_b32_e32 v3, s15
	s_movk_i32 s14, 0x6000
	v_add_u32_e64 v19, s14, 0
	ds_write2_b64 v19, v[2:3], v[2:3] offset0:178 offset1:243
.LBB67_795:
	s_or_b64 exec, exec, s[12:13]
	v_mov_b32_e32 v3, 0
	v_mov_b32_e32 v2, 0
	s_waitcnt lgkmcnt(0)
	s_barrier
	s_and_saveexec_b64 s[14:15], s[18:19]
	s_cbranch_execz .LBB67_801
; %bb.796:
	v_mul_u32_u24_e32 v19, 0x208, v13
	ds_read_b64 v[2:3], v9 offset:24992
	ds_read_b64 v[20:21], v19 offset:24960
	v_cmp_gt_u32_e64 s[12:13], 12, v7
	s_waitcnt lgkmcnt(0)
	v_mul_f32_e32 v22, v21, v3
	v_mul_f32_e32 v3, v20, v3
	v_fma_f32 v20, v20, v2, -v22
	v_fmac_f32_e32 v3, v21, v2
	v_add_f32_e32 v2, 0, v20
	v_add_f32_e32 v3, 0, v3
	s_and_saveexec_b64 s[16:17], s[12:13]
	s_cbranch_execnz .LBB67_1030
; %bb.797:
	s_or_b64 exec, exec, s[16:17]
	v_cmp_gt_u32_e64 s[12:13], 8, v7
	s_and_saveexec_b64 s[16:17], s[12:13]
	s_cbranch_execnz .LBB67_1031
.LBB67_798:
	s_or_b64 exec, exec, s[16:17]
	v_cmp_gt_u32_e64 s[12:13], 4, v7
	s_and_saveexec_b64 s[16:17], s[12:13]
	s_cbranch_execz .LBB67_800
.LBB67_799:
	v_lshlrev_b32_e32 v19, 3, v0
	v_mov_b32_e32 v21, 0
	ds_read_b64 v[19:20], v19 offset:26528
	ds_read_b64 v[21:22], v21 offset:24984
	s_waitcnt lgkmcnt(0)
	v_mul_f32_e32 v23, v22, v20
	v_mul_f32_e32 v20, v21, v20
	v_fma_f32 v21, v21, v19, -v23
	v_fmac_f32_e32 v20, v22, v19
	v_add_f32_e32 v2, v2, v21
	v_add_f32_e32 v3, v3, v20
.LBB67_800:
	s_or_b64 exec, exec, s[16:17]
	v_xor_b32_e32 v2, 0x80000000, v2
	v_xor_b32_e32 v3, 0x80000000, v3
.LBB67_801:
	s_or_b64 exec, exec, s[14:15]
	s_and_saveexec_b64 s[12:13], s[38:39]
; %bb.802:
	ds_write_b64 v11, v[2:3]
; %bb.803:
	s_or_b64 exec, exec, s[12:13]
	s_waitcnt lgkmcnt(0)
	s_barrier
	s_and_saveexec_b64 s[12:13], s[40:41]
	s_cbranch_execz .LBB67_805
; %bb.804:
	ds_read_b64 v[19:20], v10 offset:27040
	ds_read_b64 v[21:22], v11
	s_waitcnt lgkmcnt(0)
	v_mul_f32_e32 v23, v22, v20
	v_mul_f32_e32 v20, v21, v20
	v_fma_f32 v21, v21, v19, -v23
	v_fmac_f32_e32 v20, v22, v19
	v_add_f32_e32 v2, v2, v21
	v_add_f32_e32 v3, v3, v20
.LBB67_805:
	s_or_b64 exec, exec, s[12:13]
	s_barrier
	s_and_saveexec_b64 s[12:13], s[42:43]
; %bb.806:
	ds_write_b64 v11, v[2:3]
; %bb.807:
	s_or_b64 exec, exec, s[12:13]
	s_waitcnt lgkmcnt(0)
	s_barrier
	s_and_saveexec_b64 s[12:13], s[44:45]
	s_cbranch_execz .LBB67_809
; %bb.808:
	ds_read_b64 v[19:20], v10 offset:27552
	ds_read_b64 v[21:22], v11
	s_waitcnt lgkmcnt(0)
	v_mul_f32_e32 v23, v22, v20
	v_mul_f32_e32 v20, v21, v20
	v_fma_f32 v21, v21, v19, -v23
	v_fmac_f32_e32 v20, v22, v19
	v_add_f32_e32 v2, v2, v21
	v_add_f32_e32 v3, v3, v20
.LBB67_809:
	s_or_b64 exec, exec, s[12:13]
	s_barrier
	s_and_saveexec_b64 s[12:13], s[46:47]
; %bb.810:
	ds_write_b64 v11, v[2:3]
; %bb.811:
	s_or_b64 exec, exec, s[12:13]
	s_waitcnt lgkmcnt(0)
	s_barrier
	s_and_saveexec_b64 s[12:13], s[36:37]
	s_cbranch_execz .LBB67_813
; %bb.812:
	v_mov_b32_e32 v19, 0
	ds_read_b64 v[19:20], v19 offset:28088
	ds_read_b64 v[21:22], v11
	s_waitcnt lgkmcnt(0)
	v_mul_f32_e32 v23, v22, v20
	v_mul_f32_e32 v20, v21, v20
	v_fma_f32 v21, v21, v19, -v23
	v_fmac_f32_e32 v20, v22, v19
	v_add_f32_e32 v2, v2, v21
	v_add_f32_e32 v3, v3, v20
.LBB67_813:
	s_or_b64 exec, exec, s[12:13]
	s_barrier
	s_and_saveexec_b64 s[12:13], s[36:37]
; %bb.814:
	ds_write_b64 v11, v[2:3]
; %bb.815:
	s_or_b64 exec, exec, s[12:13]
	s_waitcnt lgkmcnt(0)
	s_barrier
	s_barrier
	s_and_saveexec_b64 s[12:13], s[18:19]
; %bb.816:
	v_xor_b32_e32 v2, 0x80000000, v2
	v_xor_b32_e32 v3, 0x80000000, v3
	ds_write_b64 v9, v[2:3] offset:24992
; %bb.817:
	s_or_b64 exec, exec, s[12:13]
	s_waitcnt lgkmcnt(0)
	s_barrier
	s_barrier
	s_and_saveexec_b64 s[12:13], vcc
	s_cbranch_execz .LBB67_819
; %bb.818:
	s_mov_b64 s[14:15], 0x3f800000
	v_mov_b32_e32 v2, s14
	v_mov_b32_e32 v3, s15
	s_movk_i32 s14, 0x6800
	v_add_u32_e64 v19, s14, 0
	ds_write2_b64 v19, v[2:3], v[2:3] offset0:52 offset1:117
.LBB67_819:
	s_or_b64 exec, exec, s[12:13]
	v_mov_b32_e32 v3, 0
	v_mov_b32_e32 v2, 0
	s_waitcnt lgkmcnt(0)
	s_barrier
	s_and_saveexec_b64 s[14:15], s[6:7]
	s_cbranch_execz .LBB67_823
; %bb.820:
	v_mul_u32_u24_e32 v19, 0x208, v6
	ds_read_b64 v[2:3], v4 offset:27056
	ds_read_b64 v[19:20], v19 offset:27040
	v_cmp_gt_u32_e64 s[12:13], 2, v7
	s_waitcnt lgkmcnt(0)
	v_mul_f32_e32 v21, v20, v3
	v_mul_f32_e32 v3, v19, v3
	v_fma_f32 v19, v19, v2, -v21
	v_fmac_f32_e32 v3, v20, v2
	v_add_f32_e32 v2, 0, v19
	v_add_f32_e32 v3, 0, v3
	s_and_saveexec_b64 s[16:17], s[12:13]
	s_cbranch_execz .LBB67_822
; %bb.821:
	v_lshlrev_b32_e32 v19, 3, v0
	v_mov_b32_e32 v21, 0
	ds_read_b64 v[19:20], v19 offset:27568
	ds_read_b64 v[21:22], v21 offset:27048
	s_waitcnt lgkmcnt(0)
	v_mul_f32_e32 v23, v22, v20
	v_mul_f32_e32 v20, v21, v20
	v_fma_f32 v21, v21, v19, -v23
	v_fmac_f32_e32 v20, v22, v19
	v_add_f32_e32 v2, v2, v21
	v_add_f32_e32 v3, v3, v20
.LBB67_822:
	s_or_b64 exec, exec, s[16:17]
	v_xor_b32_e32 v2, 0x80000000, v2
	v_xor_b32_e32 v3, 0x80000000, v3
.LBB67_823:
	s_or_b64 exec, exec, s[14:15]
	s_and_saveexec_b64 s[12:13], s[34:35]
; %bb.824:
	ds_write_b64 v5, v[2:3]
; %bb.825:
	s_or_b64 exec, exec, s[12:13]
	s_waitcnt lgkmcnt(0)
	s_barrier
	s_and_saveexec_b64 s[12:13], s[30:31]
	s_cbranch_execz .LBB67_827
; %bb.826:
	v_mov_b32_e32 v19, 0
	ds_read_b64 v[19:20], v19 offset:28088
	ds_read_b64 v[21:22], v5
	s_waitcnt lgkmcnt(0)
	v_mul_f32_e32 v23, v22, v20
	v_mul_f32_e32 v20, v21, v20
	v_fma_f32 v21, v21, v19, -v23
	v_fmac_f32_e32 v20, v22, v19
	v_add_f32_e32 v2, v2, v21
	v_add_f32_e32 v3, v3, v20
.LBB67_827:
	s_or_b64 exec, exec, s[12:13]
	s_barrier
	s_and_saveexec_b64 s[12:13], s[30:31]
; %bb.828:
	ds_write_b64 v5, v[2:3]
; %bb.829:
	s_or_b64 exec, exec, s[12:13]
	s_waitcnt lgkmcnt(0)
	s_barrier
	s_barrier
	s_and_saveexec_b64 s[12:13], s[6:7]
; %bb.830:
	v_xor_b32_e32 v3, 0x80000000, v3
	v_xor_b32_e32 v2, 0x80000000, v2
	ds_write_b64 v4, v[2:3] offset:27056
; %bb.831:
	s_or_b64 exec, exec, s[12:13]
	s_waitcnt lgkmcnt(0)
	s_barrier
	s_barrier
	s_and_saveexec_b64 s[12:13], vcc
	s_cbranch_execz .LBB67_833
; %bb.832:
	s_mov_b64 s[14:15], 0x3f800000
	v_mov_b32_e32 v2, s14
	v_mov_b32_e32 v3, s15
	s_movk_i32 s14, 0x6800
	v_add_u32_e64 v19, s14, 0
	ds_write2_b64 v19, v[2:3], v[2:3] offset0:182 offset1:247
.LBB67_833:
	s_or_b64 exec, exec, s[12:13]
	v_mov_b32_e32 v3, 0
	v_mov_b32_e32 v2, 0
	s_waitcnt lgkmcnt(0)
	s_barrier
	s_and_saveexec_b64 s[14:15], s[10:11]
	s_cbranch_execz .LBB67_843
; %bb.834:
	v_mul_u32_u24_e32 v19, 0x208, v18
	ds_read_b64 v[2:3], v14 offset:25024
	ds_read_b64 v[20:21], v19 offset:24960
	v_cmp_gt_u32_e64 s[12:13], 56, v7
	s_waitcnt lgkmcnt(0)
	v_mul_f32_e32 v22, v21, v3
	v_mul_f32_e32 v3, v20, v3
	v_fma_f32 v20, v20, v2, -v22
	v_fmac_f32_e32 v3, v21, v2
	v_add_f32_e32 v2, 0, v20
	v_add_f32_e32 v3, 0, v3
	s_and_saveexec_b64 s[16:17], s[12:13]
	s_cbranch_execnz .LBB67_1032
; %bb.835:
	s_or_b64 exec, exec, s[16:17]
	v_cmp_gt_u32_e64 s[12:13], 48, v7
	s_and_saveexec_b64 s[16:17], s[12:13]
	s_cbranch_execnz .LBB67_1033
.LBB67_836:
	s_or_b64 exec, exec, s[16:17]
	v_cmp_gt_u32_e64 s[12:13], 40, v7
	s_and_saveexec_b64 s[16:17], s[12:13]
	s_cbranch_execnz .LBB67_1034
.LBB67_837:
	s_or_b64 exec, exec, s[16:17]
	v_cmp_gt_u32_e64 s[12:13], 32, v7
	s_and_saveexec_b64 s[16:17], s[12:13]
	s_cbranch_execnz .LBB67_1035
.LBB67_838:
	s_or_b64 exec, exec, s[16:17]
	v_cmp_gt_u32_e64 s[12:13], 24, v7
	s_and_saveexec_b64 s[16:17], s[12:13]
	s_cbranch_execnz .LBB67_1036
.LBB67_839:
	s_or_b64 exec, exec, s[16:17]
	v_cmp_gt_u32_e64 s[12:13], 16, v7
	s_and_saveexec_b64 s[16:17], s[12:13]
	s_cbranch_execnz .LBB67_1037
.LBB67_840:
	s_or_b64 exec, exec, s[16:17]
	v_cmp_gt_u32_e64 s[12:13], 8, v7
	s_and_saveexec_b64 s[16:17], s[12:13]
	s_cbranch_execz .LBB67_842
.LBB67_841:
	v_lshlrev_b32_e32 v17, 3, v0
	v_mov_b32_e32 v19, 0
	ds_read_b64 v[17:18], v17 offset:28608
	ds_read_b64 v[19:20], v19 offset:25016
	s_waitcnt lgkmcnt(0)
	v_mul_f32_e32 v21, v20, v18
	v_mul_f32_e32 v18, v19, v18
	v_fma_f32 v19, v19, v17, -v21
	v_fmac_f32_e32 v18, v20, v17
	v_add_f32_e32 v2, v2, v19
	v_add_f32_e32 v3, v3, v18
.LBB67_842:
	s_or_b64 exec, exec, s[16:17]
	v_xor_b32_e32 v2, 0x80000000, v2
	v_xor_b32_e32 v3, 0x80000000, v3
.LBB67_843:
	s_or_b64 exec, exec, s[14:15]
	s_and_saveexec_b64 s[12:13], s[50:51]
; %bb.844:
	ds_write_b64 v16, v[2:3]
; %bb.845:
	s_or_b64 exec, exec, s[12:13]
	s_waitcnt lgkmcnt(0)
	s_barrier
	s_and_saveexec_b64 s[12:13], s[52:53]
	s_cbranch_execz .LBB67_847
; %bb.846:
	ds_read_b64 v[17:18], v15 offset:29120
	ds_read_b64 v[19:20], v16
	s_waitcnt lgkmcnt(0)
	v_mul_f32_e32 v21, v20, v18
	v_mul_f32_e32 v18, v19, v18
	v_fma_f32 v19, v19, v17, -v21
	v_fmac_f32_e32 v18, v20, v17
	v_add_f32_e32 v2, v2, v19
	v_add_f32_e32 v3, v3, v18
.LBB67_847:
	s_or_b64 exec, exec, s[12:13]
	s_barrier
	s_and_saveexec_b64 s[12:13], s[54:55]
; %bb.848:
	ds_write_b64 v16, v[2:3]
; %bb.849:
	s_or_b64 exec, exec, s[12:13]
	s_waitcnt lgkmcnt(0)
	s_barrier
	s_and_saveexec_b64 s[12:13], s[56:57]
	s_cbranch_execz .LBB67_851
; %bb.850:
	ds_read_b64 v[17:18], v15 offset:29632
	ds_read_b64 v[19:20], v16
	s_waitcnt lgkmcnt(0)
	v_mul_f32_e32 v21, v20, v18
	v_mul_f32_e32 v18, v19, v18
	v_fma_f32 v19, v19, v17, -v21
	v_fmac_f32_e32 v18, v20, v17
	v_add_f32_e32 v2, v2, v19
	v_add_f32_e32 v3, v3, v18
.LBB67_851:
	s_or_b64 exec, exec, s[12:13]
	s_barrier
	;; [unrolled: 22-line block ×6, first 2 shown]
	s_and_saveexec_b64 s[12:13], s[74:75]
; %bb.868:
	ds_write_b64 v16, v[2:3]
; %bb.869:
	s_or_b64 exec, exec, s[12:13]
	s_waitcnt lgkmcnt(0)
	s_barrier
	s_and_saveexec_b64 s[12:13], s[48:49]
	s_cbranch_execz .LBB67_871
; %bb.870:
	v_mov_b32_e32 v15, 0
	ds_read_b64 v[17:18], v15 offset:32248
	ds_read_b64 v[19:20], v16
	s_waitcnt lgkmcnt(0)
	v_mul_f32_e32 v15, v20, v18
	v_mul_f32_e32 v18, v19, v18
	v_fma_f32 v15, v19, v17, -v15
	v_fmac_f32_e32 v18, v20, v17
	v_add_f32_e32 v2, v2, v15
	v_add_f32_e32 v3, v3, v18
.LBB67_871:
	s_or_b64 exec, exec, s[12:13]
	s_barrier
	s_and_saveexec_b64 s[12:13], s[48:49]
; %bb.872:
	ds_write_b64 v16, v[2:3]
; %bb.873:
	s_or_b64 exec, exec, s[12:13]
	s_waitcnt lgkmcnt(0)
	s_barrier
	s_barrier
	s_and_saveexec_b64 s[12:13], s[10:11]
; %bb.874:
	v_xor_b32_e32 v3, 0x80000000, v3
	v_xor_b32_e32 v2, 0x80000000, v2
	ds_write_b64 v14, v[2:3] offset:25024
; %bb.875:
	s_or_b64 exec, exec, s[12:13]
	s_waitcnt lgkmcnt(0)
	s_barrier
	s_barrier
	s_and_saveexec_b64 s[10:11], vcc
	s_cbranch_execz .LBB67_877
; %bb.876:
	s_mov_b64 s[12:13], 0x3f800000
	v_mov_b32_e32 v2, s12
	v_mov_b32_e32 v3, s13
	s_movk_i32 s12, 0x7000
	v_add_u32_e64 v14, s12, 0
	ds_write2_b64 v14, v[2:3], v[2:3] offset0:56 offset1:121
.LBB67_877:
	s_or_b64 exec, exec, s[10:11]
	v_mov_b32_e32 v3, 0
	v_mov_b32_e32 v2, 0
	s_waitcnt lgkmcnt(0)
	s_barrier
	s_and_saveexec_b64 s[12:13], s[6:7]
	s_cbranch_execz .LBB67_881
; %bb.878:
	v_mul_u32_u24_e32 v14, 0x208, v6
	ds_read_b64 v[2:3], v4 offset:29136
	ds_read_b64 v[14:15], v14 offset:29120
	v_cmp_gt_u32_e64 s[10:11], 2, v7
	s_waitcnt lgkmcnt(0)
	v_mul_f32_e32 v16, v15, v3
	v_mul_f32_e32 v3, v14, v3
	v_fma_f32 v14, v14, v2, -v16
	v_fmac_f32_e32 v3, v15, v2
	v_add_f32_e32 v2, 0, v14
	v_add_f32_e32 v3, 0, v3
	s_and_saveexec_b64 s[14:15], s[10:11]
	s_cbranch_execz .LBB67_880
; %bb.879:
	v_lshlrev_b32_e32 v14, 3, v0
	v_mov_b32_e32 v16, 0
	ds_read_b64 v[14:15], v14 offset:29648
	ds_read_b64 v[16:17], v16 offset:29128
	s_waitcnt lgkmcnt(0)
	v_mul_f32_e32 v18, v17, v15
	v_mul_f32_e32 v15, v16, v15
	v_fma_f32 v16, v16, v14, -v18
	v_fmac_f32_e32 v15, v17, v14
	v_add_f32_e32 v2, v2, v16
	v_add_f32_e32 v3, v3, v15
.LBB67_880:
	s_or_b64 exec, exec, s[14:15]
	v_xor_b32_e32 v2, 0x80000000, v2
	v_xor_b32_e32 v3, 0x80000000, v3
.LBB67_881:
	s_or_b64 exec, exec, s[12:13]
	s_and_saveexec_b64 s[10:11], s[34:35]
; %bb.882:
	ds_write_b64 v5, v[2:3]
; %bb.883:
	s_or_b64 exec, exec, s[10:11]
	s_waitcnt lgkmcnt(0)
	s_barrier
	s_and_saveexec_b64 s[10:11], s[30:31]
	s_cbranch_execz .LBB67_885
; %bb.884:
	v_mov_b32_e32 v14, 0
	ds_read_b64 v[14:15], v14 offset:30168
	ds_read_b64 v[16:17], v5
	s_waitcnt lgkmcnt(0)
	v_mul_f32_e32 v18, v17, v15
	v_mul_f32_e32 v15, v16, v15
	v_fma_f32 v16, v16, v14, -v18
	v_fmac_f32_e32 v15, v17, v14
	v_add_f32_e32 v2, v2, v16
	v_add_f32_e32 v3, v3, v15
.LBB67_885:
	s_or_b64 exec, exec, s[10:11]
	s_barrier
	s_and_saveexec_b64 s[10:11], s[30:31]
; %bb.886:
	ds_write_b64 v5, v[2:3]
; %bb.887:
	s_or_b64 exec, exec, s[10:11]
	s_waitcnt lgkmcnt(0)
	s_barrier
	s_barrier
	s_and_saveexec_b64 s[10:11], s[6:7]
; %bb.888:
	v_xor_b32_e32 v3, 0x80000000, v3
	v_xor_b32_e32 v2, 0x80000000, v2
	ds_write_b64 v4, v[2:3] offset:29136
; %bb.889:
	s_or_b64 exec, exec, s[10:11]
	s_waitcnt lgkmcnt(0)
	s_barrier
	s_barrier
	s_and_saveexec_b64 s[10:11], vcc
	s_cbranch_execz .LBB67_891
; %bb.890:
	s_mov_b64 s[12:13], 0x3f800000
	v_mov_b32_e32 v2, s12
	v_mov_b32_e32 v3, s13
	s_movk_i32 s12, 0x7000
	v_add_u32_e64 v14, s12, 0
	ds_write2_b64 v14, v[2:3], v[2:3] offset0:186 offset1:251
.LBB67_891:
	s_or_b64 exec, exec, s[10:11]
	v_mov_b32_e32 v3, 0
	v_mov_b32_e32 v2, 0
	s_waitcnt lgkmcnt(0)
	s_barrier
	s_and_saveexec_b64 s[12:13], s[18:19]
	s_cbranch_execz .LBB67_897
; %bb.892:
	v_mul_u32_u24_e32 v14, 0x208, v13
	ds_read_b64 v[2:3], v9 offset:29152
	ds_read_b64 v[15:16], v14 offset:29120
	v_cmp_gt_u32_e64 s[10:11], 12, v7
	s_waitcnt lgkmcnt(0)
	v_mul_f32_e32 v17, v16, v3
	v_mul_f32_e32 v3, v15, v3
	v_fma_f32 v15, v15, v2, -v17
	v_fmac_f32_e32 v3, v16, v2
	v_add_f32_e32 v2, 0, v15
	v_add_f32_e32 v3, 0, v3
	s_and_saveexec_b64 s[14:15], s[10:11]
	s_cbranch_execnz .LBB67_1038
; %bb.893:
	s_or_b64 exec, exec, s[14:15]
	v_cmp_gt_u32_e64 s[10:11], 8, v7
	s_and_saveexec_b64 s[14:15], s[10:11]
	s_cbranch_execnz .LBB67_1039
.LBB67_894:
	s_or_b64 exec, exec, s[14:15]
	v_cmp_gt_u32_e64 s[10:11], 4, v7
	s_and_saveexec_b64 s[14:15], s[10:11]
	s_cbranch_execz .LBB67_896
.LBB67_895:
	v_lshlrev_b32_e32 v12, 3, v0
	v_mov_b32_e32 v14, 0
	ds_read_b64 v[12:13], v12 offset:30688
	ds_read_b64 v[14:15], v14 offset:29144
	s_waitcnt lgkmcnt(0)
	v_mul_f32_e32 v16, v15, v13
	v_mul_f32_e32 v13, v14, v13
	v_fma_f32 v14, v14, v12, -v16
	v_fmac_f32_e32 v13, v15, v12
	v_add_f32_e32 v2, v2, v14
	v_add_f32_e32 v3, v3, v13
.LBB67_896:
	s_or_b64 exec, exec, s[14:15]
	v_xor_b32_e32 v2, 0x80000000, v2
	v_xor_b32_e32 v3, 0x80000000, v3
.LBB67_897:
	s_or_b64 exec, exec, s[12:13]
	s_and_saveexec_b64 s[10:11], s[38:39]
; %bb.898:
	ds_write_b64 v11, v[2:3]
; %bb.899:
	s_or_b64 exec, exec, s[10:11]
	s_waitcnt lgkmcnt(0)
	s_barrier
	s_and_saveexec_b64 s[10:11], s[40:41]
	s_cbranch_execz .LBB67_901
; %bb.900:
	ds_read_b64 v[12:13], v10 offset:31200
	ds_read_b64 v[14:15], v11
	s_waitcnt lgkmcnt(0)
	v_mul_f32_e32 v16, v15, v13
	v_mul_f32_e32 v13, v14, v13
	v_fma_f32 v14, v14, v12, -v16
	v_fmac_f32_e32 v13, v15, v12
	v_add_f32_e32 v2, v2, v14
	v_add_f32_e32 v3, v3, v13
.LBB67_901:
	s_or_b64 exec, exec, s[10:11]
	s_barrier
	s_and_saveexec_b64 s[10:11], s[42:43]
; %bb.902:
	ds_write_b64 v11, v[2:3]
; %bb.903:
	s_or_b64 exec, exec, s[10:11]
	s_waitcnt lgkmcnt(0)
	s_barrier
	s_and_saveexec_b64 s[10:11], s[44:45]
	s_cbranch_execz .LBB67_905
; %bb.904:
	ds_read_b64 v[12:13], v10 offset:31712
	ds_read_b64 v[14:15], v11
	s_waitcnt lgkmcnt(0)
	v_mul_f32_e32 v10, v15, v13
	v_mul_f32_e32 v13, v14, v13
	v_fma_f32 v10, v14, v12, -v10
	v_fmac_f32_e32 v13, v15, v12
	v_add_f32_e32 v2, v2, v10
	v_add_f32_e32 v3, v3, v13
.LBB67_905:
	s_or_b64 exec, exec, s[10:11]
	s_barrier
	s_and_saveexec_b64 s[10:11], s[46:47]
; %bb.906:
	ds_write_b64 v11, v[2:3]
; %bb.907:
	s_or_b64 exec, exec, s[10:11]
	s_waitcnt lgkmcnt(0)
	s_barrier
	s_and_saveexec_b64 s[10:11], s[36:37]
	s_cbranch_execz .LBB67_909
; %bb.908:
	v_mov_b32_e32 v10, 0
	ds_read_b64 v[12:13], v10 offset:32248
	ds_read_b64 v[14:15], v11
	s_waitcnt lgkmcnt(0)
	v_mul_f32_e32 v10, v15, v13
	v_mul_f32_e32 v13, v14, v13
	v_fma_f32 v10, v14, v12, -v10
	v_fmac_f32_e32 v13, v15, v12
	v_add_f32_e32 v2, v2, v10
	v_add_f32_e32 v3, v3, v13
.LBB67_909:
	s_or_b64 exec, exec, s[10:11]
	s_barrier
	s_and_saveexec_b64 s[10:11], s[36:37]
; %bb.910:
	ds_write_b64 v11, v[2:3]
; %bb.911:
	s_or_b64 exec, exec, s[10:11]
	s_waitcnt lgkmcnt(0)
	s_barrier
	s_barrier
	s_and_saveexec_b64 s[10:11], s[18:19]
; %bb.912:
	v_xor_b32_e32 v2, 0x80000000, v2
	v_xor_b32_e32 v3, 0x80000000, v3
	ds_write_b64 v9, v[2:3] offset:29152
; %bb.913:
	s_or_b64 exec, exec, s[10:11]
	s_waitcnt lgkmcnt(0)
	s_barrier
	s_barrier
	s_and_saveexec_b64 s[10:11], vcc
	s_cbranch_execz .LBB67_915
; %bb.914:
	s_mov_b64 s[12:13], 0x3f800000
	v_mov_b32_e32 v2, s12
	v_mov_b32_e32 v3, s13
	s_movk_i32 s12, 0x7800
	v_add_u32_e64 v9, s12, 0
	ds_write2_b64 v9, v[2:3], v[2:3] offset0:60 offset1:125
.LBB67_915:
	s_or_b64 exec, exec, s[10:11]
	v_mov_b32_e32 v3, 0
	v_mov_b32_e32 v2, 0
	s_waitcnt lgkmcnt(0)
	s_barrier
	s_and_saveexec_b64 s[12:13], s[6:7]
	s_cbranch_execz .LBB67_919
; %bb.916:
	v_mul_u32_u24_e32 v6, 0x208, v6
	ds_read_b64 v[2:3], v4 offset:31216
	ds_read_b64 v[9:10], v6 offset:31200
	v_cmp_gt_u32_e64 s[10:11], 2, v7
	s_waitcnt lgkmcnt(0)
	v_mul_f32_e32 v6, v10, v3
	v_mul_f32_e32 v3, v9, v3
	v_fma_f32 v6, v9, v2, -v6
	v_fmac_f32_e32 v3, v10, v2
	v_add_f32_e32 v2, 0, v6
	v_add_f32_e32 v3, 0, v3
	s_and_saveexec_b64 s[14:15], s[10:11]
	s_cbranch_execz .LBB67_918
; %bb.917:
	v_lshlrev_b32_e32 v6, 3, v0
	v_mov_b32_e32 v11, 0
	ds_read_b64 v[9:10], v6 offset:31728
	ds_read_b64 v[11:12], v11 offset:31208
	s_waitcnt lgkmcnt(0)
	v_mul_f32_e32 v6, v12, v10
	v_mul_f32_e32 v10, v11, v10
	v_fma_f32 v6, v11, v9, -v6
	v_fmac_f32_e32 v10, v12, v9
	v_add_f32_e32 v2, v2, v6
	v_add_f32_e32 v3, v3, v10
.LBB67_918:
	s_or_b64 exec, exec, s[14:15]
	v_xor_b32_e32 v2, 0x80000000, v2
	v_xor_b32_e32 v3, 0x80000000, v3
.LBB67_919:
	s_or_b64 exec, exec, s[12:13]
	s_and_saveexec_b64 s[10:11], s[34:35]
; %bb.920:
	ds_write_b64 v5, v[2:3]
; %bb.921:
	s_or_b64 exec, exec, s[10:11]
	s_waitcnt lgkmcnt(0)
	s_barrier
	s_and_saveexec_b64 s[10:11], s[30:31]
	s_load_dword s34, s[4:5], 0x6c
	s_cbranch_execz .LBB67_923
; %bb.922:
	v_mov_b32_e32 v6, 0
	ds_read_b64 v[9:10], v6 offset:32248
	ds_read_b64 v[11:12], v5
	s_waitcnt lgkmcnt(0)
	v_mul_f32_e32 v6, v12, v10
	v_mul_f32_e32 v10, v11, v10
	v_fma_f32 v6, v11, v9, -v6
	v_fmac_f32_e32 v10, v12, v9
	v_add_f32_e32 v2, v2, v6
	v_add_f32_e32 v3, v3, v10
.LBB67_923:
	s_or_b64 exec, exec, s[10:11]
	s_waitcnt lgkmcnt(0)
	s_barrier
	s_and_saveexec_b64 s[10:11], s[30:31]
; %bb.924:
	ds_write_b64 v5, v[2:3]
; %bb.925:
	s_or_b64 exec, exec, s[10:11]
	s_waitcnt lgkmcnt(0)
	s_barrier
	s_barrier
	s_and_saveexec_b64 s[10:11], s[6:7]
; %bb.926:
	v_xor_b32_e32 v3, 0x80000000, v3
	v_xor_b32_e32 v2, 0x80000000, v2
	ds_write_b64 v4, v[2:3] offset:31216
; %bb.927:
	s_or_b64 exec, exec, s[10:11]
	s_waitcnt lgkmcnt(0)
	s_barrier
	s_barrier
	s_and_saveexec_b64 s[6:7], vcc
	s_cbranch_execz .LBB67_929
; %bb.928:
	s_mov_b64 s[10:11], 0x3f800000
	v_mov_b32_e32 v2, s10
	v_mov_b32_e32 v3, s11
	s_movk_i32 s10, 0x7800
	v_add_u32_e64 v4, s10, 0
	ds_write2_b64 v4, v[2:3], v[2:3] offset0:190 offset1:255
.LBB67_929:
	s_or_b64 exec, exec, s[6:7]
.LBB67_930:
	s_load_dwordx8 s[12:19], s[4:5], 0x30
	s_load_dwordx2 s[20:21], s[4:5], 0x50
	v_cmp_le_i32_e32 vcc, s9, v0
	v_mov_b32_e32 v2, 0
	v_lshl_add_u32 v5, s8, 6, v0
	s_waitcnt lgkmcnt(0)
	s_mul_i32 s7, s19, s28
	s_mul_hi_u32 s10, s18, s28
	s_mul_i32 s6, s18, s28
	s_add_i32 s7, s10, s7
	s_lshl_b64 s[6:7], s[6:7], 3
	s_add_u32 s10, s12, s6
	s_addc_u32 s11, s13, s7
	s_lshl_b64 s[6:7], s[14:15], 3
	s_add_u32 s42, s10, s6
	s_addc_u32 s43, s11, s7
	s_and_b64 s[18:19], vcc, s[22:23]
	v_cmp_eq_u32_e64 s[6:7], 0, v1
	s_xor_b64 s[10:11], s[18:19], -1
	s_and_b64 s[12:13], s[6:7], s[10:11]
	v_mov_b32_e32 v3, v2
	s_barrier
	s_and_saveexec_b64 s[10:11], s[12:13]
	s_cbranch_execz .LBB67_932
; %bb.931:
	v_ashrrev_i32_e32 v4, 31, v5
	v_mul_lo_u32 v6, s17, v5
	v_mad_u64_u32 v[2:3], s[12:13], s16, v5, 0
	v_mul_lo_u32 v4, s16, v4
	s_load_dwordx2 s[12:13], s[4:5], 0x28
	v_add3_u32 v3, v3, v4, v6
	v_lshlrev_b64 v[2:3], 3, v[2:3]
	v_mov_b32_e32 v4, s43
	v_add_co_u32_e32 v2, vcc, s42, v2
	v_addc_co_u32_e32 v3, vcc, v4, v3, vcc
	global_load_dwordx2 v[3:4], v[2:3], off
	s_waitcnt vmcnt(0) lgkmcnt(0)
	v_mul_f32_e32 v2, s12, v3
	v_mul_f32_e32 v6, s12, v4
	v_fma_f32 v2, s13, v4, -v2
	v_fma_f32 v3, v3, -s13, -v6
.LBB67_932:
	s_or_b64 exec, exec, s[10:11]
	s_and_b32 s4, 0xffff, s34
	v_mad_u32_u24 v9, v1, s4, v0
	s_cmp_lt_i32 s8, 1
	v_cmp_eq_u32_e64 s[4:5], 0, v9
	s_cbranch_scc1 .LBB67_951
; %bb.933:
	v_mov_b32_e32 v4, 0
	v_mov_b32_e32 v6, v4
	s_lshl_b64 s[10:11], s[28:29], 2
	v_lshlrev_b64 v[12:13], 3, v[5:6]
	s_add_u32 s34, s20, s10
	s_mov_b64 s[30:31], src_private_base
	s_addc_u32 s35, s21, s11
	v_mov_b32_e32 v11, 0xa000
	v_cmp_gt_i32_e64 s[10:11], s33, v5
	v_mov_b32_e32 v5, s95
	v_add_co_u32_e32 v6, vcc, s94, v12
	s_mul_i32 s14, s25, 0x180
	s_mul_hi_u32 s15, s24, 0x180
	s_mov_b32 s30, 0
	v_cmp_gt_u32_e64 s[12:13], 64, v9
	v_lshl_add_u32 v10, v9, 3, v11
	v_lshl_or_b32 v11, v1, 3, v11
	s_add_i32 s44, s8, -1
	v_addc_co_u32_e32 v12, vcc, v5, v13, vcc
	s_lshl_b64 s[36:37], s[24:25], 7
	s_lshl_b64 s[38:39], s[24:25], 8
	s_add_i32 s45, s15, s14
	s_mul_i32 s46, s24, 0x180
	v_mov_b32_e32 v16, -1
	v_mov_b32_e32 v13, 0
	v_mov_b32_e32 v14, 8
	v_mov_b32_e32 v15, 16
	v_mov_b32_e32 v17, 24
	s_branch .LBB67_935
.LBB67_934:                             ;   in Loop: Header=BB67_935 Depth=1
	s_or_b64 exec, exec, s[40:41]
	s_add_i32 s30, s30, 1
	s_cmp_eq_u32 s30, s8
	s_cbranch_scc1 .LBB67_951
.LBB67_935:                             ; =>This Loop Header: Depth=1
                                        ;     Child Loop BB67_937 Depth 2
	v_cmp_gt_i32_e32 vcc, s30, v16
	s_and_b64 s[40:41], s[4:5], vcc
	s_and_saveexec_b64 s[14:15], s[40:41]
	s_cbranch_execz .LBB67_938
; %bb.936:                              ;   in Loop: Header=BB67_935 Depth=1
	global_load_dword v16, v4, s[34:35]
	s_waitcnt vmcnt(0)
	v_cmp_le_i32_e32 vcc, s30, v16
	s_cbranch_vccnz .LBB67_938
.LBB67_937:                             ;   Parent Loop BB67_935 Depth=1
                                        ; =>  This Inner Loop Header: Depth=2
	buffer_wbinvl1_vol
	global_load_dword v16, v4, s[34:35]
	s_waitcnt vmcnt(0)
	v_cmp_gt_i32_e32 vcc, s30, v16
	s_cbranch_vccnz .LBB67_937
.LBB67_938:                             ;   in Loop: Header=BB67_935 Depth=1
	s_or_b64 exec, exec, s[14:15]
	s_lshl_b32 s47, s30, 6
	buffer_wbinvl1_vol
	s_barrier
	s_and_saveexec_b64 s[14:15], s[12:13]
	s_cbranch_execz .LBB67_943
; %bb.939:                              ;   in Loop: Header=BB67_935 Depth=1
	v_or_b32_e32 v5, s47, v9
	v_cmp_le_i32_e32 vcc, s33, v5
	s_and_saveexec_b64 s[40:41], vcc
	s_xor_b64 s[40:41], exec, s[40:41]
; %bb.940:                              ;   in Loop: Header=BB67_935 Depth=1
	v_mov_b32_e32 v5, v4
	ds_write_b64 v10, v[4:5]
                                        ; implicit-def: $vgpr5
; %bb.941:                              ;   in Loop: Header=BB67_935 Depth=1
	s_andn2_saveexec_b64 s[40:41], s[40:41]
	s_cbranch_execz .LBB67_943
; %bb.942:                              ;   in Loop: Header=BB67_935 Depth=1
	v_mad_u64_u32 v[18:19], s[40:41], s16, v5, 0
	v_mad_u64_u32 v[19:20], s[40:41], s17, v5, v[19:20]
	v_mov_b32_e32 v5, s43
	v_lshlrev_b64 v[18:19], 3, v[18:19]
	v_add_co_u32_e32 v18, vcc, s42, v18
	v_addc_co_u32_e32 v19, vcc, v5, v19, vcc
	global_load_dwordx2 v[18:19], v[18:19], off
	s_waitcnt vmcnt(0)
	ds_write_b64 v10, v[18:19]
.LBB67_943:                             ;   in Loop: Header=BB67_935 Depth=1
	s_or_b64 exec, exec, s[14:15]
	v_add_u32_e32 v5, s47, v1
	v_mad_u64_u32 v[18:19], s[14:15], s24, v5, 0
	s_cmp_eq_u32 s30, s44
	s_cselect_b64 vcc, -1, 0
	v_mad_u64_u32 v[19:20], s[14:15], s25, v5, v[19:20]
	s_waitcnt lgkmcnt(0)
	s_barrier
	v_lshlrev_b64 v[18:19], 3, v[18:19]
	v_add_co_u32_e64 v18, s[14:15], v6, v18
	v_addc_co_u32_e64 v19, s[14:15], v12, v19, s[14:15]
	v_cmp_gt_i32_e64 s[14:15], s33, v5
	s_and_b64 s[40:41], s[10:11], s[14:15]
	s_and_saveexec_b64 s[14:15], s[40:41]
	s_cbranch_execz .LBB67_945
; %bb.944:                              ;   in Loop: Header=BB67_935 Depth=1
	v_mov_b32_e32 v20, s31
	v_cndmask_b32_e32 v21, v19, v20, vcc
	v_cndmask_b32_e32 v20, v18, v13, vcc
	flat_load_dwordx2 v[20:21], v[20:21]
	ds_read_b64 v[22:23], v11
	s_waitcnt vmcnt(0) lgkmcnt(0)
	v_mul_f32_e32 v24, v23, v21
	v_mul_f32_e32 v21, v22, v21
	v_fma_f32 v22, v22, v20, -v24
	v_fmac_f32_e32 v21, v23, v20
	v_add_f32_e32 v2, v2, v22
	v_add_f32_e32 v3, v3, v21
.LBB67_945:                             ;   in Loop: Header=BB67_935 Depth=1
	s_or_b64 exec, exec, s[14:15]
	v_add_u32_e32 v20, 16, v5
	v_cmp_gt_i32_e64 s[14:15], s33, v20
	s_and_b64 s[14:15], s[10:11], s[14:15]
	s_and_saveexec_b64 s[40:41], s[14:15]
	s_cbranch_execz .LBB67_947
; %bb.946:                              ;   in Loop: Header=BB67_935 Depth=1
	v_mov_b32_e32 v20, s37
	v_add_co_u32_e64 v22, s[14:15], s36, v18
	v_addc_co_u32_e64 v20, s[14:15], v19, v20, s[14:15]
	v_mov_b32_e32 v21, s31
	v_cndmask_b32_e32 v21, v20, v21, vcc
	v_cndmask_b32_e32 v20, v22, v14, vcc
	flat_load_dwordx2 v[20:21], v[20:21]
	ds_read_b64 v[22:23], v11 offset:128
	s_waitcnt vmcnt(0) lgkmcnt(0)
	v_mul_f32_e32 v24, v23, v21
	v_mul_f32_e32 v21, v22, v21
	v_fma_f32 v22, v22, v20, -v24
	v_fmac_f32_e32 v21, v23, v20
	v_add_f32_e32 v2, v2, v22
	v_add_f32_e32 v3, v3, v21
.LBB67_947:                             ;   in Loop: Header=BB67_935 Depth=1
	s_or_b64 exec, exec, s[40:41]
	v_add_u32_e32 v20, 32, v5
	v_cmp_gt_i32_e64 s[14:15], s33, v20
	s_and_b64 s[14:15], s[10:11], s[14:15]
	s_and_saveexec_b64 s[40:41], s[14:15]
	s_cbranch_execz .LBB67_949
; %bb.948:                              ;   in Loop: Header=BB67_935 Depth=1
	v_mov_b32_e32 v20, s39
	v_add_co_u32_e64 v22, s[14:15], s38, v18
	v_addc_co_u32_e64 v20, s[14:15], v19, v20, s[14:15]
	v_mov_b32_e32 v21, s31
	v_cndmask_b32_e32 v21, v20, v21, vcc
	v_cndmask_b32_e32 v20, v22, v15, vcc
	flat_load_dwordx2 v[20:21], v[20:21]
	ds_read_b64 v[22:23], v11 offset:256
	s_waitcnt vmcnt(0) lgkmcnt(0)
	v_mul_f32_e32 v24, v23, v21
	v_mul_f32_e32 v21, v22, v21
	v_fma_f32 v22, v22, v20, -v24
	v_fmac_f32_e32 v21, v23, v20
	v_add_f32_e32 v2, v2, v22
	v_add_f32_e32 v3, v3, v21
.LBB67_949:                             ;   in Loop: Header=BB67_935 Depth=1
	s_or_b64 exec, exec, s[40:41]
	v_add_u32_e32 v5, 48, v5
	v_cmp_gt_i32_e64 s[14:15], s33, v5
	s_and_b64 s[14:15], s[10:11], s[14:15]
	s_and_saveexec_b64 s[40:41], s[14:15]
	s_cbranch_execz .LBB67_934
; %bb.950:                              ;   in Loop: Header=BB67_935 Depth=1
	v_mov_b32_e32 v5, s45
	v_add_co_u32_e64 v18, s[14:15], s46, v18
	v_addc_co_u32_e64 v5, s[14:15], v19, v5, s[14:15]
	v_mov_b32_e32 v19, s31
	v_cndmask_b32_e32 v19, v5, v19, vcc
	v_cndmask_b32_e32 v18, v18, v17, vcc
	flat_load_dwordx2 v[18:19], v[18:19]
	ds_read_b64 v[20:21], v11 offset:384
	s_waitcnt vmcnt(0) lgkmcnt(0)
	v_mul_f32_e32 v5, v21, v19
	v_mul_f32_e32 v19, v20, v19
	v_fma_f32 v5, v20, v18, -v5
	v_fmac_f32_e32 v19, v21, v18
	v_add_f32_e32 v2, v2, v5
	v_add_f32_e32 v3, v3, v19
	s_branch .LBB67_934
.LBB67_951:
	s_xor_b64 s[4:5], s[22:23], -1
	s_xor_b64 s[10:11], s[26:27], -1
	v_lshlrev_b32_e32 v6, 3, v7
	ds_write_b64 v6, v[2:3] offset:32768
	s_waitcnt lgkmcnt(0)
	s_barrier
	s_and_saveexec_b64 s[12:13], s[6:7]
	s_cbranch_execz .LBB67_953
; %bb.952:
	v_lshlrev_b32_e32 v7, 3, v0
	ds_read2st64_b64 v[10:13], v7 offset0:65 offset1:66
	ds_read2st64_b64 v[14:17], v7 offset0:67 offset1:68
	ds_read_b64 v[18:19], v7 offset:40448
	s_waitcnt lgkmcnt(2)
	v_add_f32_e32 v2, v2, v10
	v_add_f32_e32 v3, v3, v11
	;; [unrolled: 1-line block ×4, first 2 shown]
	ds_read2st64_b64 v[2:5], v7 offset0:69 offset1:70
	s_waitcnt lgkmcnt(2)
	v_add_f32_e32 v10, v10, v14
	v_add_f32_e32 v11, v11, v15
	;; [unrolled: 1-line block ×4, first 2 shown]
	s_waitcnt lgkmcnt(0)
	v_add_f32_e32 v2, v10, v2
	ds_read2st64_b64 v[10:13], v7 offset0:71 offset1:72
	v_add_f32_e32 v3, v14, v3
	v_add_f32_e32 v14, v2, v4
	;; [unrolled: 1-line block ×3, first 2 shown]
	ds_read2st64_b64 v[2:5], v7 offset0:73 offset1:74
	s_waitcnt lgkmcnt(1)
	v_add_f32_e32 v10, v14, v10
	v_add_f32_e32 v11, v15, v11
	;; [unrolled: 1-line block ×4, first 2 shown]
	s_waitcnt lgkmcnt(0)
	v_add_f32_e32 v2, v10, v2
	ds_read2st64_b64 v[10:13], v7 offset0:75 offset1:76
	v_add_f32_e32 v3, v14, v3
	v_add_f32_e32 v14, v2, v4
	;; [unrolled: 1-line block ×3, first 2 shown]
	ds_read2st64_b64 v[2:5], v7 offset0:77 offset1:78
	s_waitcnt lgkmcnt(1)
	v_add_f32_e32 v7, v14, v10
	v_add_f32_e32 v10, v15, v11
	;; [unrolled: 1-line block ×4, first 2 shown]
	s_waitcnt lgkmcnt(0)
	v_add_f32_e32 v2, v7, v2
	v_add_f32_e32 v3, v10, v3
	;; [unrolled: 1-line block ×6, first 2 shown]
	v_cndmask_b32_e64 v2, -v2, 0, s[18:19]
	v_cndmask_b32_e64 v3, -v3, 0, s[18:19]
.LBB67_953:
	s_or_b64 exec, exec, s[12:13]
	s_andn2_b64 vcc, exec, s[10:11]
	s_cbranch_vccnz .LBB67_966
; %bb.954:
	v_mov_b32_e32 v4, 0xa000
	v_lshl_or_b32 v7, v1, 3, v4
	s_and_saveexec_b64 s[10:11], s[6:7]
; %bb.955:
	v_lshl_add_u32 v4, v0, 3, v7
	ds_write_b64 v4, v[2:3]
; %bb.956:
	s_or_b64 exec, exec, s[10:11]
	v_cmp_ge_u32_e32 vcc, v0, v1
	v_mov_b32_e32 v4, 0
	v_mov_b32_e32 v5, 0
	s_waitcnt lgkmcnt(0)
	s_barrier
	s_and_saveexec_b64 s[10:11], vcc
	s_cbranch_execz .LBB67_958
; %bb.957:
	ds_read_b64 v[4:5], v6
	ds_read_b64 v[10:11], v7
	s_waitcnt lgkmcnt(0)
	v_mul_f32_e32 v12, v11, v5
	v_mul_f32_e32 v5, v10, v5
	v_fma_f32 v10, v10, v4, -v12
	v_fmac_f32_e32 v5, v11, v4
	v_add_f32_e32 v4, 0, v10
	v_add_f32_e32 v5, 0, v5
.LBB67_958:
	s_or_b64 exec, exec, s[10:11]
	v_add_u32_e32 v10, 16, v1
	v_cmp_ge_u32_e32 vcc, v0, v10
	s_and_saveexec_b64 s[10:11], vcc
	s_cbranch_execz .LBB67_960
; %bb.959:
	ds_read_b64 v[10:11], v6 offset:8192
	ds_read_b64 v[12:13], v7 offset:128
	s_waitcnt lgkmcnt(0)
	v_mul_f32_e32 v14, v13, v11
	v_mul_f32_e32 v11, v12, v11
	v_fma_f32 v12, v12, v10, -v14
	v_fmac_f32_e32 v11, v13, v10
	v_add_f32_e32 v4, v4, v12
	v_add_f32_e32 v5, v5, v11
.LBB67_960:
	s_or_b64 exec, exec, s[10:11]
	v_add_u32_e32 v10, 32, v1
	v_cmp_ge_u32_e32 vcc, v0, v10
	s_and_saveexec_b64 s[10:11], vcc
	s_cbranch_execz .LBB67_962
; %bb.961:
	ds_read_b64 v[10:11], v6 offset:16384
	ds_read_b64 v[12:13], v7 offset:256
	s_waitcnt lgkmcnt(0)
	v_mul_f32_e32 v14, v13, v11
	v_mul_f32_e32 v11, v12, v11
	v_fma_f32 v12, v12, v10, -v14
	v_fmac_f32_e32 v11, v13, v10
	v_add_f32_e32 v4, v4, v12
	v_add_f32_e32 v5, v5, v11
.LBB67_962:
	s_or_b64 exec, exec, s[10:11]
	v_add_u32_e32 v1, 48, v1
	v_add_u32_e32 v10, 0x8000, v6
	v_cmp_ge_u32_e32 vcc, v0, v1
	s_and_saveexec_b64 s[10:11], vcc
	s_cbranch_execz .LBB67_964
; %bb.963:
	ds_read_b64 v[11:12], v6 offset:24576
	ds_read_b64 v[6:7], v7 offset:384
	s_waitcnt lgkmcnt(0)
	v_mul_f32_e32 v1, v7, v12
	v_mul_f32_e32 v12, v6, v12
	v_fma_f32 v1, v6, v11, -v1
	v_fmac_f32_e32 v12, v7, v11
	v_add_f32_e32 v4, v4, v1
	v_add_f32_e32 v5, v5, v12
.LBB67_964:
	s_or_b64 exec, exec, s[10:11]
	s_mov_b64 s[12:13], 0
	s_mov_b64 s[10:11], 0
	ds_write_b64 v10, v[4:5]
	s_waitcnt lgkmcnt(0)
	s_barrier
                                        ; implicit-def: $vgpr1
                                        ; implicit-def: $vgpr10
                                        ; implicit-def: $vgpr6_vgpr7
	s_and_saveexec_b64 s[14:15], s[6:7]
	s_cbranch_execz .LBB67_979
; %bb.965:
	v_lshlrev_b32_e32 v1, 3, v0
	ds_read2st64_b64 v[10:13], v1 offset0:65 offset1:66
	ds_read2st64_b64 v[14:17], v1 offset0:67 offset1:68
	ds_read_b64 v[18:19], v1 offset:40448
	s_mov_b64 s[10:11], exec
	s_waitcnt lgkmcnt(2)
	v_add_f32_e32 v4, v4, v10
	v_add_f32_e32 v5, v5, v11
	;; [unrolled: 1-line block ×4, first 2 shown]
	ds_read2st64_b64 v[4:7], v1 offset0:69 offset1:70
	s_waitcnt lgkmcnt(2)
	v_add_f32_e32 v10, v10, v14
	v_add_f32_e32 v11, v11, v15
	;; [unrolled: 1-line block ×4, first 2 shown]
	s_waitcnt lgkmcnt(0)
	v_add_f32_e32 v4, v10, v4
	ds_read2st64_b64 v[10:13], v1 offset0:71 offset1:72
	v_add_f32_e32 v5, v14, v5
	v_add_f32_e32 v14, v4, v6
	;; [unrolled: 1-line block ×3, first 2 shown]
	ds_read2st64_b64 v[4:7], v1 offset0:73 offset1:74
	s_waitcnt lgkmcnt(1)
	v_add_f32_e32 v10, v14, v10
	v_add_f32_e32 v11, v15, v11
	;; [unrolled: 1-line block ×4, first 2 shown]
	s_waitcnt lgkmcnt(0)
	v_add_f32_e32 v4, v10, v4
	ds_read2st64_b64 v[10:13], v1 offset0:75 offset1:76
	v_add_f32_e32 v5, v14, v5
	v_add_f32_e32 v4, v4, v6
	v_add_f32_e32 v5, v5, v7
	ds_read2st64_b64 v[14:17], v1 offset0:77 offset1:78
	s_waitcnt lgkmcnt(1)
	v_add_f32_e32 v1, v4, v10
	v_add_f32_e32 v4, v5, v11
	v_lshl_add_u32 v5, s8, 6, v9
	v_mad_u64_u32 v[6:7], s[18:19], s16, v5, 0
	v_add_f32_e32 v1, v1, v12
	s_waitcnt lgkmcnt(0)
	v_add_f32_e32 v1, v1, v14
	v_add_f32_e32 v4, v4, v13
	;; [unrolled: 1-line block ×3, first 2 shown]
	v_mov_b32_e32 v1, v7
	v_add_f32_e32 v10, v4, v15
	v_mad_u64_u32 v[4:5], s[18:19], s17, v5, v[1:2]
	v_add_f32_e32 v1, v10, v17
	v_add_f32_e32 v10, v11, v18
	;; [unrolled: 1-line block ×3, first 2 shown]
	v_mov_b32_e32 v7, v4
	s_or_b64 exec, exec, s[14:15]
	s_and_b64 vcc, exec, s[12:13]
	s_cbranch_vccnz .LBB67_967
	s_branch .LBB67_980
.LBB67_966:
	s_mov_b64 s[10:11], 0
                                        ; implicit-def: $vgpr1
                                        ; implicit-def: $vgpr10
                                        ; implicit-def: $vgpr6_vgpr7
	s_cbranch_execz .LBB67_980
.LBB67_967:
	s_mov_b32 s14, 0
	v_mov_b32_e32 v1, 0
	v_mov_b32_e32 v4, v0
	s_branch .LBB67_969
.LBB67_968:                             ;   in Loop: Header=BB67_969 Depth=1
	s_or_b64 exec, exec, s[12:13]
	s_add_i32 s14, s14, 2
	v_add_u32_e32 v8, 0x400, v8
	s_cmp_lg_u32 s14, 64
	v_add_u32_e32 v4, -2, v4
	s_barrier
	s_cbranch_scc0 .LBB67_977
.LBB67_969:                             ; =>This Inner Loop Header: Depth=1
	v_cmp_eq_u32_e32 vcc, 0, v4
	s_and_b64 s[18:19], s[6:7], vcc
	s_and_saveexec_b64 s[12:13], s[18:19]
; %bb.970:                              ;   in Loop: Header=BB67_969 Depth=1
	ds_write_b64 v1, v[2:3] offset:41472
; %bb.971:                              ;   in Loop: Header=BB67_969 Depth=1
	s_or_b64 exec, exec, s[12:13]
	v_cmp_lt_u32_e32 vcc, s14, v0
	s_and_b64 s[18:19], s[6:7], vcc
	s_waitcnt lgkmcnt(0)
	s_barrier
	s_and_saveexec_b64 s[12:13], s[18:19]
	s_cbranch_execz .LBB67_973
; %bb.972:                              ;   in Loop: Header=BB67_969 Depth=1
	ds_read_b64 v[5:6], v8
	ds_read_b64 v[10:11], v1 offset:41472
	s_waitcnt lgkmcnt(0)
	v_mul_f32_e32 v7, v11, v6
	v_mul_f32_e32 v6, v10, v6
	v_fma_f32 v7, v10, v5, -v7
	v_fmac_f32_e32 v6, v11, v5
	v_add_f32_e32 v2, v2, v7
	v_add_f32_e32 v3, v3, v6
.LBB67_973:                             ;   in Loop: Header=BB67_969 Depth=1
	s_or_b64 exec, exec, s[12:13]
	s_or_b32 s15, s14, 1
	v_cmp_eq_u32_e32 vcc, s15, v0
	s_and_b64 s[18:19], s[6:7], vcc
	s_barrier
	s_and_saveexec_b64 s[12:13], s[18:19]
; %bb.974:                              ;   in Loop: Header=BB67_969 Depth=1
	ds_write_b64 v1, v[2:3] offset:41472
; %bb.975:                              ;   in Loop: Header=BB67_969 Depth=1
	s_or_b64 exec, exec, s[12:13]
	v_cmp_lt_u32_e32 vcc, s15, v0
	s_and_b64 s[18:19], s[6:7], vcc
	s_waitcnt lgkmcnt(0)
	s_barrier
	s_and_saveexec_b64 s[12:13], s[18:19]
	s_cbranch_execz .LBB67_968
; %bb.976:                              ;   in Loop: Header=BB67_969 Depth=1
	ds_read_b64 v[5:6], v8 offset:512
	ds_read_b64 v[10:11], v1 offset:41472
	s_waitcnt lgkmcnt(0)
	v_mul_f32_e32 v7, v11, v6
	v_mul_f32_e32 v6, v10, v6
	v_fma_f32 v7, v10, v5, -v7
	v_fmac_f32_e32 v6, v11, v5
	v_add_f32_e32 v2, v2, v7
	v_add_f32_e32 v3, v3, v6
	s_branch .LBB67_968
.LBB67_977:
	s_and_b64 vcc, exec, s[4:5]
	s_cbranch_vccz .LBB67_981
; %bb.978:
	s_and_b64 s[4:5], s[6:7], exec
	s_cbranch_execz .LBB67_982
	s_branch .LBB67_983
.LBB67_979:
	s_or_b64 exec, exec, s[14:15]
	s_and_b64 vcc, exec, s[12:13]
	s_cbranch_vccnz .LBB67_967
.LBB67_980:
	v_mov_b32_e32 v3, v1
	v_mov_b32_e32 v2, v10
	s_and_saveexec_b64 s[4:5], s[10:11]
	s_cbranch_execnz .LBB67_986
	s_branch .LBB67_987
.LBB67_981:
	s_mov_b64 s[4:5], 0
.LBB67_982:
	v_cmp_gt_i32_e32 vcc, s9, v0
	s_and_b64 s[6:7], s[6:7], vcc
	s_andn2_b64 s[4:5], s[4:5], exec
	s_and_b64 s[6:7], s[6:7], exec
	s_or_b64 s[4:5], s[4:5], s[6:7]
.LBB67_983:
                                        ; implicit-def: $vgpr6_vgpr7
	s_and_saveexec_b64 s[6:7], s[4:5]
	s_cbranch_execz .LBB67_985
; %bb.984:
	s_lshl_b32 s4, s8, 6
	s_ashr_i32 s5, s4, 31
	v_mov_b32_e32 v0, s5
	v_add_co_u32_e32 v1, vcc, s4, v9
	v_addc_co_u32_e32 v0, vcc, 0, v0, vcc
	v_mul_lo_u32 v0, v0, s16
	v_mul_lo_u32 v4, v1, s17
	v_mad_u64_u32 v[6:7], s[4:5], v1, s16, 0
	s_or_b64 s[10:11], s[10:11], exec
	v_add3_u32 v7, v7, v4, v0
.LBB67_985:
	s_or_b64 exec, exec, s[6:7]
	s_and_saveexec_b64 s[4:5], s[10:11]
	s_cbranch_execz .LBB67_987
.LBB67_986:
	v_lshlrev_b64 v[0:1], 3, v[6:7]
	v_mov_b32_e32 v4, s43
	v_add_co_u32_e32 v0, vcc, s42, v0
	v_addc_co_u32_e32 v1, vcc, v4, v1, vcc
	global_store_dwordx2 v[0:1], v[2:3], off
.LBB67_987:
	s_or_b64 exec, exec, s[4:5]
	v_cmp_eq_u32_e32 vcc, 0, v9
	s_waitcnt vmcnt(0)
	buffer_wbinvl1_vol
	s_barrier
	s_and_saveexec_b64 s[4:5], vcc
	s_cbranch_execz .LBB67_989
; %bb.988:
	s_lshl_b64 s[6:7], s[28:29], 2
	s_add_u32 s6, s20, s6
	s_addc_u32 s7, s21, s7
	v_mov_b32_e32 v0, 0
	global_load_dword v1, v0, s[6:7]
	s_waitcnt vmcnt(0)
	v_add_u32_e32 v1, 1, v1
	global_store_dword v0, v1, s[6:7]
.LBB67_989:
	s_or_b64 exec, exec, s[4:5]
	s_waitcnt vmcnt(0)
	buffer_wbinvl1_vol
	s_endpgm
.LBB67_990:
	v_lshlrev_b32_e32 v14, 3, v13
	v_sub_u32_e32 v14, v11, v14
	v_lshl_add_u32 v14, v12, 3, v14
	ds_read_b64 v[14:15], v14 offset:544
	ds_read_b64 v[16:17], v11 offset:8
	s_waitcnt lgkmcnt(0)
	v_mul_f32_e32 v18, v17, v15
	v_mul_f32_e32 v15, v16, v15
	v_fma_f32 v16, v16, v14, -v18
	v_fmac_f32_e32 v15, v17, v14
	v_add_f32_e32 v2, v2, v16
	v_add_f32_e32 v3, v3, v15
	s_or_b64 exec, exec, s[16:17]
	v_cmp_gt_u32_e64 s[12:13], 8, v7
	s_and_saveexec_b64 s[16:17], s[12:13]
	s_cbranch_execz .LBB67_90
.LBB67_991:
	ds_read_b64 v[14:15], v9 offset:1056
	ds_read_b64 v[16:17], v11 offset:16
	s_waitcnt lgkmcnt(0)
	v_mul_f32_e32 v11, v17, v15
	v_mul_f32_e32 v15, v16, v15
	v_fma_f32 v11, v16, v14, -v11
	v_fmac_f32_e32 v15, v17, v14
	v_add_f32_e32 v2, v2, v11
	v_add_f32_e32 v3, v3, v15
	s_or_b64 exec, exec, s[16:17]
	v_cmp_gt_u32_e64 s[12:13], 4, v7
	s_and_saveexec_b64 s[16:17], s[12:13]
	s_cbranch_execnz .LBB67_91
	s_branch .LBB67_92
.LBB67_992:
	v_lshlrev_b32_e32 v19, 3, v18
	v_sub_u32_e32 v19, v16, v19
	v_lshl_add_u32 v19, v17, 3, v19
	ds_read_b64 v[19:20], v19 offset:576
	ds_read_b64 v[21:22], v16 offset:8
	s_waitcnt lgkmcnt(0)
	v_mul_f32_e32 v23, v22, v20
	v_mul_f32_e32 v20, v21, v20
	v_fma_f32 v21, v21, v19, -v23
	v_fmac_f32_e32 v20, v22, v19
	v_add_f32_e32 v2, v2, v21
	v_add_f32_e32 v3, v3, v20
	s_or_b64 exec, exec, s[20:21]
	v_cmp_gt_u32_e64 s[14:15], 48, v7
	s_and_saveexec_b64 s[20:21], s[14:15]
	s_cbranch_execz .LBB67_128
.LBB67_993:
	v_lshlrev_b32_e32 v19, 3, v18
	v_sub_u32_e32 v19, v16, v19
	v_lshl_add_u32 v19, v17, 3, v19
	ds_read_b64 v[19:20], v19 offset:1088
	ds_read_b64 v[21:22], v16 offset:16
	s_waitcnt lgkmcnt(0)
	v_mul_f32_e32 v23, v22, v20
	v_mul_f32_e32 v20, v21, v20
	v_fma_f32 v21, v21, v19, -v23
	v_fmac_f32_e32 v20, v22, v19
	v_add_f32_e32 v2, v2, v21
	v_add_f32_e32 v3, v3, v20
	s_or_b64 exec, exec, s[20:21]
	v_cmp_gt_u32_e64 s[14:15], 40, v7
	s_and_saveexec_b64 s[20:21], s[14:15]
	s_cbranch_execz .LBB67_129
.LBB67_994:
	v_lshlrev_b32_e32 v19, 3, v18
	v_sub_u32_e32 v19, v16, v19
	v_lshl_add_u32 v19, v17, 3, v19
	ds_read_b64 v[19:20], v19 offset:1600
	ds_read_b64 v[21:22], v16 offset:24
	s_waitcnt lgkmcnt(0)
	v_mul_f32_e32 v23, v22, v20
	v_mul_f32_e32 v20, v21, v20
	v_fma_f32 v21, v21, v19, -v23
	v_fmac_f32_e32 v20, v22, v19
	v_add_f32_e32 v2, v2, v21
	v_add_f32_e32 v3, v3, v20
	s_or_b64 exec, exec, s[20:21]
	v_cmp_gt_u32_e64 s[14:15], 32, v7
	s_and_saveexec_b64 s[20:21], s[14:15]
	s_cbranch_execz .LBB67_130
.LBB67_995:
	ds_read_b64 v[19:20], v14 offset:2112
	ds_read_b64 v[21:22], v16 offset:32
	s_waitcnt lgkmcnt(0)
	v_mul_f32_e32 v23, v22, v20
	v_mul_f32_e32 v20, v21, v20
	v_fma_f32 v21, v21, v19, -v23
	v_fmac_f32_e32 v20, v22, v19
	v_add_f32_e32 v2, v2, v21
	v_add_f32_e32 v3, v3, v20
	s_or_b64 exec, exec, s[20:21]
	v_cmp_gt_u32_e64 s[14:15], 24, v7
	s_and_saveexec_b64 s[20:21], s[14:15]
	s_cbranch_execz .LBB67_131
.LBB67_996:
	v_lshlrev_b32_e32 v19, 3, v18
	v_sub_u32_e32 v19, v16, v19
	v_lshl_add_u32 v19, v17, 3, v19
	ds_read_b64 v[19:20], v19 offset:2624
	ds_read_b64 v[21:22], v16 offset:40
	s_waitcnt lgkmcnt(0)
	v_mul_f32_e32 v23, v22, v20
	v_mul_f32_e32 v20, v21, v20
	v_fma_f32 v21, v21, v19, -v23
	v_fmac_f32_e32 v20, v22, v19
	v_add_f32_e32 v2, v2, v21
	v_add_f32_e32 v3, v3, v20
	s_or_b64 exec, exec, s[20:21]
	v_cmp_gt_u32_e64 s[14:15], 16, v7
	s_and_saveexec_b64 s[20:21], s[14:15]
	s_cbranch_execz .LBB67_132
.LBB67_997:
	ds_read_b64 v[19:20], v14 offset:3136
	ds_read_b64 v[21:22], v16 offset:48
	s_waitcnt lgkmcnt(0)
	v_mul_f32_e32 v16, v22, v20
	v_mul_f32_e32 v20, v21, v20
	v_fma_f32 v16, v21, v19, -v16
	v_fmac_f32_e32 v20, v22, v19
	v_add_f32_e32 v2, v2, v16
	v_add_f32_e32 v3, v3, v20
	s_or_b64 exec, exec, s[20:21]
	v_cmp_gt_u32_e64 s[14:15], 8, v7
	s_and_saveexec_b64 s[20:21], s[14:15]
	s_cbranch_execnz .LBB67_133
	s_branch .LBB67_134
.LBB67_998:
	v_lshlrev_b32_e32 v20, 3, v13
	v_sub_u32_e32 v20, v19, v20
	v_lshl_add_u32 v20, v12, 3, v20
	ds_read_b64 v[20:21], v20 offset:4704
	ds_read_b64 v[22:23], v19 offset:4168
	s_waitcnt lgkmcnt(0)
	v_mul_f32_e32 v24, v23, v21
	v_mul_f32_e32 v21, v22, v21
	v_fma_f32 v22, v22, v20, -v24
	v_fmac_f32_e32 v21, v23, v20
	v_add_f32_e32 v2, v2, v22
	v_add_f32_e32 v3, v3, v21
	s_or_b64 exec, exec, s[16:17]
	v_cmp_gt_u32_e64 s[12:13], 8, v7
	s_and_saveexec_b64 s[16:17], s[12:13]
	s_cbranch_execz .LBB67_186
.LBB67_999:
	ds_read_b64 v[20:21], v9 offset:5216
	ds_read_b64 v[22:23], v19 offset:4176
	s_waitcnt lgkmcnt(0)
	v_mul_f32_e32 v19, v23, v21
	v_mul_f32_e32 v21, v22, v21
	v_fma_f32 v19, v22, v20, -v19
	v_fmac_f32_e32 v21, v23, v20
	v_add_f32_e32 v2, v2, v19
	v_add_f32_e32 v3, v3, v21
	s_or_b64 exec, exec, s[16:17]
	v_cmp_gt_u32_e64 s[12:13], 4, v7
	s_and_saveexec_b64 s[16:17], s[12:13]
	s_cbranch_execnz .LBB67_187
	s_branch .LBB67_188
.LBB67_1000:
	v_lshlrev_b32_e32 v24, 3, v20
	v_lshl_add_u32 v24, v22, 3, v24
	ds_read_b64 v[24:25], v24 offset:5760
	ds_read_b64 v[26:27], v21 offset:88
	s_waitcnt lgkmcnt(0)
	v_mul_f32_e32 v28, v27, v25
	v_mul_f32_e32 v25, v26, v25
	v_fma_f32 v26, v26, v24, -v28
	v_fmac_f32_e32 v25, v27, v24
	v_add_f32_e32 v2, v2, v26
	v_add_f32_e32 v3, v3, v25
	s_or_b64 exec, exec, s[76:77]
	v_cmp_gt_u32_e64 s[16:17], 64, v7
	s_and_saveexec_b64 s[76:77], s[16:17]
	s_cbranch_execz .LBB67_244
.LBB67_1001:
	ds_read_b64 v[24:25], v19 offset:6272
	ds_read_b64 v[26:27], v21 offset:96
	s_waitcnt lgkmcnt(0)
	v_mul_f32_e32 v28, v27, v25
	v_mul_f32_e32 v25, v26, v25
	v_fma_f32 v26, v26, v24, -v28
	v_fmac_f32_e32 v25, v27, v24
	v_add_f32_e32 v2, v2, v26
	v_add_f32_e32 v3, v3, v25
	s_or_b64 exec, exec, s[76:77]
	v_cmp_gt_u32_e64 s[16:17], 48, v7
	s_and_saveexec_b64 s[76:77], s[16:17]
	s_cbranch_execz .LBB67_245
.LBB67_1002:
	v_lshlrev_b32_e32 v24, 3, v20
	v_lshl_add_u32 v24, v22, 3, v24
	ds_read_b64 v[24:25], v24 offset:6784
	ds_read_b64 v[26:27], v21 offset:104
	s_waitcnt lgkmcnt(0)
	v_mul_f32_e32 v28, v27, v25
	v_mul_f32_e32 v25, v26, v25
	v_fma_f32 v26, v26, v24, -v28
	v_fmac_f32_e32 v25, v27, v24
	v_add_f32_e32 v2, v2, v26
	v_add_f32_e32 v3, v3, v25
	s_or_b64 exec, exec, s[76:77]
	v_cmp_gt_u32_e64 s[16:17], 32, v7
	s_and_saveexec_b64 s[76:77], s[16:17]
	s_cbranch_execz .LBB67_246
.LBB67_1003:
	ds_read_b64 v[24:25], v19 offset:7296
	ds_read_b64 v[26:27], v21 offset:112
	s_waitcnt lgkmcnt(0)
	v_mul_f32_e32 v21, v27, v25
	v_mul_f32_e32 v25, v26, v25
	v_fma_f32 v21, v26, v24, -v21
	v_fmac_f32_e32 v25, v27, v24
	v_add_f32_e32 v2, v2, v21
	v_add_f32_e32 v3, v3, v25
	s_or_b64 exec, exec, s[76:77]
	v_cmp_gt_u32_e64 s[16:17], 16, v7
	s_and_saveexec_b64 s[76:77], s[16:17]
	s_cbranch_execnz .LBB67_247
	s_branch .LBB67_248
.LBB67_1004:
	v_lshlrev_b32_e32 v25, 3, v13
	v_sub_u32_e32 v25, v24, v25
	v_lshl_add_u32 v25, v12, 3, v25
	ds_read_b64 v[25:26], v25 offset:8864
	ds_read_b64 v[27:28], v24 offset:8328
	s_waitcnt lgkmcnt(0)
	v_mul_f32_e32 v29, v28, v26
	v_mul_f32_e32 v26, v27, v26
	v_fma_f32 v27, v27, v25, -v29
	v_fmac_f32_e32 v26, v28, v25
	v_add_f32_e32 v2, v2, v27
	v_add_f32_e32 v3, v3, v26
	s_or_b64 exec, exec, s[20:21]
	v_cmp_gt_u32_e64 s[14:15], 8, v7
	s_and_saveexec_b64 s[20:21], s[14:15]
	s_cbranch_execz .LBB67_332
.LBB67_1005:
	ds_read_b64 v[25:26], v9 offset:9376
	ds_read_b64 v[27:28], v24 offset:8336
	s_waitcnt lgkmcnt(0)
	v_mul_f32_e32 v24, v28, v26
	v_mul_f32_e32 v26, v27, v26
	v_fma_f32 v24, v27, v25, -v24
	v_fmac_f32_e32 v26, v28, v25
	v_add_f32_e32 v2, v2, v24
	v_add_f32_e32 v3, v3, v26
	s_or_b64 exec, exec, s[20:21]
	v_cmp_gt_u32_e64 s[14:15], 4, v7
	s_and_saveexec_b64 s[20:21], s[14:15]
	s_cbranch_execnz .LBB67_333
	s_branch .LBB67_334
.LBB67_1006:
	v_lshlrev_b32_e32 v25, 3, v18
	v_sub_u32_e32 v25, v24, v25
	v_lshl_add_u32 v25, v17, 3, v25
	ds_read_b64 v[25:26], v25 offset:8896
	ds_read_b64 v[27:28], v24 offset:8328
	s_waitcnt lgkmcnt(0)
	v_mul_f32_e32 v29, v28, v26
	v_mul_f32_e32 v26, v27, v26
	v_fma_f32 v27, v27, v25, -v29
	v_fmac_f32_e32 v26, v28, v25
	v_add_f32_e32 v2, v2, v27
	v_add_f32_e32 v3, v3, v26
	s_or_b64 exec, exec, s[20:21]
	v_cmp_gt_u32_e64 s[14:15], 48, v7
	s_and_saveexec_b64 s[20:21], s[14:15]
	s_cbranch_execz .LBB67_370
.LBB67_1007:
	v_lshlrev_b32_e32 v25, 3, v18
	v_sub_u32_e32 v25, v24, v25
	v_lshl_add_u32 v25, v17, 3, v25
	ds_read_b64 v[25:26], v25 offset:9408
	ds_read_b64 v[27:28], v24 offset:8336
	s_waitcnt lgkmcnt(0)
	v_mul_f32_e32 v29, v28, v26
	v_mul_f32_e32 v26, v27, v26
	v_fma_f32 v27, v27, v25, -v29
	v_fmac_f32_e32 v26, v28, v25
	v_add_f32_e32 v2, v2, v27
	v_add_f32_e32 v3, v3, v26
	s_or_b64 exec, exec, s[20:21]
	v_cmp_gt_u32_e64 s[14:15], 40, v7
	s_and_saveexec_b64 s[20:21], s[14:15]
	s_cbranch_execz .LBB67_371
.LBB67_1008:
	v_lshlrev_b32_e32 v25, 3, v18
	v_sub_u32_e32 v25, v24, v25
	v_lshl_add_u32 v25, v17, 3, v25
	ds_read_b64 v[25:26], v25 offset:9920
	ds_read_b64 v[27:28], v24 offset:8344
	s_waitcnt lgkmcnt(0)
	v_mul_f32_e32 v29, v28, v26
	v_mul_f32_e32 v26, v27, v26
	v_fma_f32 v27, v27, v25, -v29
	v_fmac_f32_e32 v26, v28, v25
	v_add_f32_e32 v2, v2, v27
	v_add_f32_e32 v3, v3, v26
	s_or_b64 exec, exec, s[20:21]
	v_cmp_gt_u32_e64 s[14:15], 32, v7
	s_and_saveexec_b64 s[20:21], s[14:15]
	s_cbranch_execz .LBB67_372
.LBB67_1009:
	ds_read_b64 v[25:26], v14 offset:10432
	ds_read_b64 v[27:28], v24 offset:8352
	s_waitcnt lgkmcnt(0)
	v_mul_f32_e32 v29, v28, v26
	v_mul_f32_e32 v26, v27, v26
	v_fma_f32 v27, v27, v25, -v29
	v_fmac_f32_e32 v26, v28, v25
	v_add_f32_e32 v2, v2, v27
	v_add_f32_e32 v3, v3, v26
	s_or_b64 exec, exec, s[20:21]
	v_cmp_gt_u32_e64 s[14:15], 24, v7
	s_and_saveexec_b64 s[20:21], s[14:15]
	s_cbranch_execz .LBB67_373
.LBB67_1010:
	v_lshlrev_b32_e32 v25, 3, v18
	v_sub_u32_e32 v25, v24, v25
	v_lshl_add_u32 v25, v17, 3, v25
	ds_read_b64 v[25:26], v25 offset:10944
	ds_read_b64 v[27:28], v24 offset:8360
	s_waitcnt lgkmcnt(0)
	v_mul_f32_e32 v29, v28, v26
	v_mul_f32_e32 v26, v27, v26
	v_fma_f32 v27, v27, v25, -v29
	v_fmac_f32_e32 v26, v28, v25
	v_add_f32_e32 v2, v2, v27
	v_add_f32_e32 v3, v3, v26
	s_or_b64 exec, exec, s[20:21]
	v_cmp_gt_u32_e64 s[14:15], 16, v7
	s_and_saveexec_b64 s[20:21], s[14:15]
	s_cbranch_execz .LBB67_374
.LBB67_1011:
	ds_read_b64 v[25:26], v14 offset:11456
	ds_read_b64 v[27:28], v24 offset:8368
	s_waitcnt lgkmcnt(0)
	v_mul_f32_e32 v24, v28, v26
	v_mul_f32_e32 v26, v27, v26
	v_fma_f32 v24, v27, v25, -v24
	v_fmac_f32_e32 v26, v28, v25
	v_add_f32_e32 v2, v2, v24
	v_add_f32_e32 v3, v3, v26
	s_or_b64 exec, exec, s[20:21]
	v_cmp_gt_u32_e64 s[14:15], 8, v7
	s_and_saveexec_b64 s[20:21], s[14:15]
	s_cbranch_execnz .LBB67_375
	s_branch .LBB67_376
.LBB67_1012:
	v_lshlrev_b32_e32 v25, 3, v13
	v_sub_u32_e32 v25, v24, v25
	v_lshl_add_u32 v25, v12, 3, v25
	ds_read_b64 v[25:26], v25 offset:13024
	ds_read_b64 v[27:28], v24 offset:12488
	s_waitcnt lgkmcnt(0)
	v_mul_f32_e32 v29, v28, v26
	v_mul_f32_e32 v26, v27, v26
	v_fma_f32 v27, v27, v25, -v29
	v_fmac_f32_e32 v26, v28, v25
	v_add_f32_e32 v2, v2, v27
	v_add_f32_e32 v3, v3, v26
	s_or_b64 exec, exec, s[20:21]
	v_cmp_gt_u32_e64 s[14:15], 8, v7
	s_and_saveexec_b64 s[20:21], s[14:15]
	s_cbranch_execz .LBB67_428
.LBB67_1013:
	ds_read_b64 v[25:26], v9 offset:13536
	ds_read_b64 v[27:28], v24 offset:12496
	s_waitcnt lgkmcnt(0)
	v_mul_f32_e32 v24, v28, v26
	v_mul_f32_e32 v26, v27, v26
	v_fma_f32 v24, v27, v25, -v24
	v_fmac_f32_e32 v26, v28, v25
	v_add_f32_e32 v2, v2, v24
	v_add_f32_e32 v3, v3, v26
	s_or_b64 exec, exec, s[20:21]
	v_cmp_gt_u32_e64 s[14:15], 4, v7
	s_and_saveexec_b64 s[20:21], s[14:15]
	s_cbranch_execnz .LBB67_429
	s_branch .LBB67_430
.LBB67_1014:
	ds_read_b64 v[30:31], v29 offset:15104
	ds_read_b64 v[32:33], v28 offset:232
	s_waitcnt lgkmcnt(0)
	v_mul_f32_e32 v34, v33, v31
	v_mul_f32_e32 v31, v32, v31
	v_fma_f32 v32, v32, v30, -v34
	v_fmac_f32_e32 v31, v33, v30
	v_add_f32_e32 v2, v2, v32
	v_add_f32_e32 v3, v3, v31
	s_or_b64 exec, exec, s[90:91]
	v_cmp_gt_u32_e64 s[20:21], 64, v7
	s_and_saveexec_b64 s[90:91], s[20:21]
	s_cbranch_execz .LBB67_522
.LBB67_1015:
	ds_read_b64 v[29:30], v29 offset:15616
	ds_read_b64 v[31:32], v28 offset:240
	s_waitcnt lgkmcnt(0)
	v_mul_f32_e32 v33, v32, v30
	v_mul_f32_e32 v30, v31, v30
	v_fma_f32 v31, v31, v29, -v33
	v_fmac_f32_e32 v30, v32, v29
	v_add_f32_e32 v2, v2, v31
	v_add_f32_e32 v3, v3, v30
	s_or_b64 exec, exec, s[90:91]
	v_cmp_gt_u32_e64 s[20:21], 32, v7
	s_and_saveexec_b64 s[90:91], s[20:21]
	s_cbranch_execnz .LBB67_523
	s_branch .LBB67_524
.LBB67_1016:
	v_lshlrev_b32_e32 v25, 3, v13
	v_sub_u32_e32 v25, v24, v25
	v_lshl_add_u32 v25, v12, 3, v25
	ds_read_b64 v[25:26], v25 offset:17184
	ds_read_b64 v[27:28], v24 offset:16648
	s_waitcnt lgkmcnt(0)
	v_mul_f32_e32 v29, v28, v26
	v_mul_f32_e32 v26, v27, v26
	v_fma_f32 v27, v27, v25, -v29
	v_fmac_f32_e32 v26, v28, v25
	v_add_f32_e32 v2, v2, v27
	v_add_f32_e32 v3, v3, v26
	s_or_b64 exec, exec, s[20:21]
	v_cmp_gt_u32_e64 s[14:15], 8, v7
	s_and_saveexec_b64 s[20:21], s[14:15]
	s_cbranch_execz .LBB67_556
.LBB67_1017:
	ds_read_b64 v[25:26], v9 offset:17696
	ds_read_b64 v[27:28], v24 offset:16656
	s_waitcnt lgkmcnt(0)
	v_mul_f32_e32 v24, v28, v26
	v_mul_f32_e32 v26, v27, v26
	v_fma_f32 v24, v27, v25, -v24
	v_fmac_f32_e32 v26, v28, v25
	v_add_f32_e32 v2, v2, v24
	v_add_f32_e32 v3, v3, v26
	s_or_b64 exec, exec, s[20:21]
	v_cmp_gt_u32_e64 s[14:15], 4, v7
	s_and_saveexec_b64 s[20:21], s[14:15]
	s_cbranch_execnz .LBB67_557
	s_branch .LBB67_558
.LBB67_1018:
	v_lshlrev_b32_e32 v25, 3, v18
	v_sub_u32_e32 v25, v24, v25
	v_lshl_add_u32 v25, v17, 3, v25
	ds_read_b64 v[25:26], v25 offset:17216
	ds_read_b64 v[27:28], v24 offset:16648
	s_waitcnt lgkmcnt(0)
	v_mul_f32_e32 v29, v28, v26
	v_mul_f32_e32 v26, v27, v26
	v_fma_f32 v27, v27, v25, -v29
	v_fmac_f32_e32 v26, v28, v25
	v_add_f32_e32 v2, v2, v27
	v_add_f32_e32 v3, v3, v26
	s_or_b64 exec, exec, s[20:21]
	v_cmp_gt_u32_e64 s[14:15], 48, v7
	s_and_saveexec_b64 s[20:21], s[14:15]
	s_cbranch_execz .LBB67_594
.LBB67_1019:
	v_lshlrev_b32_e32 v25, 3, v18
	v_sub_u32_e32 v25, v24, v25
	v_lshl_add_u32 v25, v17, 3, v25
	ds_read_b64 v[25:26], v25 offset:17728
	ds_read_b64 v[27:28], v24 offset:16656
	s_waitcnt lgkmcnt(0)
	v_mul_f32_e32 v29, v28, v26
	v_mul_f32_e32 v26, v27, v26
	v_fma_f32 v27, v27, v25, -v29
	v_fmac_f32_e32 v26, v28, v25
	v_add_f32_e32 v2, v2, v27
	v_add_f32_e32 v3, v3, v26
	s_or_b64 exec, exec, s[20:21]
	v_cmp_gt_u32_e64 s[14:15], 40, v7
	s_and_saveexec_b64 s[20:21], s[14:15]
	s_cbranch_execz .LBB67_595
.LBB67_1020:
	v_lshlrev_b32_e32 v25, 3, v18
	v_sub_u32_e32 v25, v24, v25
	v_lshl_add_u32 v25, v17, 3, v25
	ds_read_b64 v[25:26], v25 offset:18240
	ds_read_b64 v[27:28], v24 offset:16664
	s_waitcnt lgkmcnt(0)
	v_mul_f32_e32 v29, v28, v26
	v_mul_f32_e32 v26, v27, v26
	v_fma_f32 v27, v27, v25, -v29
	v_fmac_f32_e32 v26, v28, v25
	v_add_f32_e32 v2, v2, v27
	v_add_f32_e32 v3, v3, v26
	s_or_b64 exec, exec, s[20:21]
	v_cmp_gt_u32_e64 s[14:15], 32, v7
	s_and_saveexec_b64 s[20:21], s[14:15]
	s_cbranch_execz .LBB67_596
.LBB67_1021:
	ds_read_b64 v[25:26], v14 offset:18752
	ds_read_b64 v[27:28], v24 offset:16672
	s_waitcnt lgkmcnt(0)
	v_mul_f32_e32 v29, v28, v26
	v_mul_f32_e32 v26, v27, v26
	v_fma_f32 v27, v27, v25, -v29
	v_fmac_f32_e32 v26, v28, v25
	v_add_f32_e32 v2, v2, v27
	v_add_f32_e32 v3, v3, v26
	s_or_b64 exec, exec, s[20:21]
	v_cmp_gt_u32_e64 s[14:15], 24, v7
	s_and_saveexec_b64 s[20:21], s[14:15]
	s_cbranch_execz .LBB67_597
.LBB67_1022:
	v_lshlrev_b32_e32 v25, 3, v18
	v_sub_u32_e32 v25, v24, v25
	v_lshl_add_u32 v25, v17, 3, v25
	ds_read_b64 v[25:26], v25 offset:19264
	ds_read_b64 v[27:28], v24 offset:16680
	s_waitcnt lgkmcnt(0)
	v_mul_f32_e32 v29, v28, v26
	v_mul_f32_e32 v26, v27, v26
	v_fma_f32 v27, v27, v25, -v29
	v_fmac_f32_e32 v26, v28, v25
	v_add_f32_e32 v2, v2, v27
	v_add_f32_e32 v3, v3, v26
	s_or_b64 exec, exec, s[20:21]
	v_cmp_gt_u32_e64 s[14:15], 16, v7
	s_and_saveexec_b64 s[20:21], s[14:15]
	s_cbranch_execz .LBB67_598
.LBB67_1023:
	ds_read_b64 v[25:26], v14 offset:19776
	ds_read_b64 v[27:28], v24 offset:16688
	s_waitcnt lgkmcnt(0)
	v_mul_f32_e32 v24, v28, v26
	v_mul_f32_e32 v26, v27, v26
	v_fma_f32 v24, v27, v25, -v24
	v_fmac_f32_e32 v26, v28, v25
	v_add_f32_e32 v2, v2, v24
	v_add_f32_e32 v3, v3, v26
	s_or_b64 exec, exec, s[20:21]
	v_cmp_gt_u32_e64 s[14:15], 8, v7
	s_and_saveexec_b64 s[20:21], s[14:15]
	s_cbranch_execnz .LBB67_599
	s_branch .LBB67_600
.LBB67_1024:
	v_lshlrev_b32_e32 v25, 3, v13
	v_sub_u32_e32 v25, v24, v25
	v_lshl_add_u32 v25, v12, 3, v25
	ds_read_b64 v[25:26], v25 offset:21344
	ds_read_b64 v[27:28], v24 offset:20808
	s_waitcnt lgkmcnt(0)
	v_mul_f32_e32 v29, v28, v26
	v_mul_f32_e32 v26, v27, v26
	v_fma_f32 v27, v27, v25, -v29
	v_fmac_f32_e32 v26, v28, v25
	v_add_f32_e32 v2, v2, v27
	v_add_f32_e32 v3, v3, v26
	s_or_b64 exec, exec, s[20:21]
	v_cmp_gt_u32_e64 s[14:15], 8, v7
	s_and_saveexec_b64 s[20:21], s[14:15]
	s_cbranch_execz .LBB67_652
.LBB67_1025:
	ds_read_b64 v[25:26], v9 offset:21856
	ds_read_b64 v[27:28], v24 offset:20816
	s_waitcnt lgkmcnt(0)
	v_mul_f32_e32 v24, v28, v26
	v_mul_f32_e32 v26, v27, v26
	v_fma_f32 v24, v27, v25, -v24
	v_fmac_f32_e32 v26, v28, v25
	v_add_f32_e32 v2, v2, v24
	v_add_f32_e32 v3, v3, v26
	s_or_b64 exec, exec, s[20:21]
	v_cmp_gt_u32_e64 s[14:15], 4, v7
	s_and_saveexec_b64 s[20:21], s[14:15]
	s_cbranch_execnz .LBB67_653
	s_branch .LBB67_654
.LBB67_1026:
	v_lshlrev_b32_e32 v23, 3, v20
	v_lshl_add_u32 v23, v22, 3, v23
	ds_read_b64 v[25:26], v23 offset:22400
	ds_read_b64 v[27:28], v24 offset:16728
	s_waitcnt lgkmcnt(0)
	v_mul_f32_e32 v23, v28, v26
	v_mul_f32_e32 v26, v27, v26
	v_fma_f32 v23, v27, v25, -v23
	v_fmac_f32_e32 v26, v28, v25
	v_add_f32_e32 v2, v2, v23
	v_add_f32_e32 v3, v3, v26
	s_or_b64 exec, exec, s[20:21]
	v_cmp_gt_u32_e64 s[14:15], 64, v7
	s_and_saveexec_b64 s[20:21], s[14:15]
	s_cbranch_execz .LBB67_710
.LBB67_1027:
	ds_read_b64 v[25:26], v19 offset:22912
	ds_read_b64 v[27:28], v24 offset:16736
	s_waitcnt lgkmcnt(0)
	v_mul_f32_e32 v23, v28, v26
	v_mul_f32_e32 v26, v27, v26
	v_fma_f32 v23, v27, v25, -v23
	v_fmac_f32_e32 v26, v28, v25
	v_add_f32_e32 v2, v2, v23
	v_add_f32_e32 v3, v3, v26
	s_or_b64 exec, exec, s[20:21]
	v_cmp_gt_u32_e64 s[14:15], 48, v7
	s_and_saveexec_b64 s[20:21], s[14:15]
	s_cbranch_execz .LBB67_711
.LBB67_1028:
	v_lshlrev_b32_e32 v23, 3, v20
	v_lshl_add_u32 v22, v22, 3, v23
	ds_read_b64 v[22:23], v22 offset:23424
	ds_read_b64 v[25:26], v24 offset:16744
	s_waitcnt lgkmcnt(0)
	v_mul_f32_e32 v27, v26, v23
	v_mul_f32_e32 v23, v25, v23
	v_fma_f32 v25, v25, v22, -v27
	v_fmac_f32_e32 v23, v26, v22
	v_add_f32_e32 v2, v2, v25
	v_add_f32_e32 v3, v3, v23
	s_or_b64 exec, exec, s[20:21]
	v_cmp_gt_u32_e64 s[14:15], 32, v7
	s_and_saveexec_b64 s[20:21], s[14:15]
	s_cbranch_execz .LBB67_712
.LBB67_1029:
	ds_read_b64 v[22:23], v19 offset:23936
	ds_read_b64 v[24:25], v24 offset:16752
	s_waitcnt lgkmcnt(0)
	v_mul_f32_e32 v26, v25, v23
	v_mul_f32_e32 v23, v24, v23
	v_fma_f32 v24, v24, v22, -v26
	v_fmac_f32_e32 v23, v25, v22
	v_add_f32_e32 v2, v2, v24
	v_add_f32_e32 v3, v3, v23
	s_or_b64 exec, exec, s[20:21]
	v_cmp_gt_u32_e64 s[14:15], 16, v7
	s_and_saveexec_b64 s[20:21], s[14:15]
	s_cbranch_execnz .LBB67_713
	s_branch .LBB67_714
.LBB67_1030:
	v_lshlrev_b32_e32 v20, 3, v13
	v_sub_u32_e32 v20, v19, v20
	v_lshl_add_u32 v20, v12, 3, v20
	ds_read_b64 v[20:21], v20 offset:25504
	ds_read_b64 v[22:23], v19 offset:24968
	s_waitcnt lgkmcnt(0)
	v_mul_f32_e32 v24, v23, v21
	v_mul_f32_e32 v21, v22, v21
	v_fma_f32 v22, v22, v20, -v24
	v_fmac_f32_e32 v21, v23, v20
	v_add_f32_e32 v2, v2, v22
	v_add_f32_e32 v3, v3, v21
	s_or_b64 exec, exec, s[16:17]
	v_cmp_gt_u32_e64 s[12:13], 8, v7
	s_and_saveexec_b64 s[16:17], s[12:13]
	s_cbranch_execz .LBB67_798
.LBB67_1031:
	ds_read_b64 v[20:21], v9 offset:26016
	ds_read_b64 v[22:23], v19 offset:24976
	s_waitcnt lgkmcnt(0)
	v_mul_f32_e32 v19, v23, v21
	v_mul_f32_e32 v21, v22, v21
	v_fma_f32 v19, v22, v20, -v19
	v_fmac_f32_e32 v21, v23, v20
	v_add_f32_e32 v2, v2, v19
	v_add_f32_e32 v3, v3, v21
	s_or_b64 exec, exec, s[16:17]
	v_cmp_gt_u32_e64 s[12:13], 4, v7
	s_and_saveexec_b64 s[16:17], s[12:13]
	s_cbranch_execnz .LBB67_799
	s_branch .LBB67_800
.LBB67_1032:
	v_lshlrev_b32_e32 v20, 3, v18
	v_sub_u32_e32 v20, v19, v20
	v_lshl_add_u32 v20, v17, 3, v20
	ds_read_b64 v[20:21], v20 offset:25536
	ds_read_b64 v[22:23], v19 offset:24968
	s_waitcnt lgkmcnt(0)
	v_mul_f32_e32 v24, v23, v21
	v_mul_f32_e32 v21, v22, v21
	v_fma_f32 v22, v22, v20, -v24
	v_fmac_f32_e32 v21, v23, v20
	v_add_f32_e32 v2, v2, v22
	v_add_f32_e32 v3, v3, v21
	s_or_b64 exec, exec, s[16:17]
	v_cmp_gt_u32_e64 s[12:13], 48, v7
	s_and_saveexec_b64 s[16:17], s[12:13]
	s_cbranch_execz .LBB67_836
.LBB67_1033:
	v_lshlrev_b32_e32 v20, 3, v18
	v_sub_u32_e32 v20, v19, v20
	v_lshl_add_u32 v20, v17, 3, v20
	ds_read_b64 v[20:21], v20 offset:26048
	ds_read_b64 v[22:23], v19 offset:24976
	s_waitcnt lgkmcnt(0)
	v_mul_f32_e32 v24, v23, v21
	v_mul_f32_e32 v21, v22, v21
	v_fma_f32 v22, v22, v20, -v24
	v_fmac_f32_e32 v21, v23, v20
	v_add_f32_e32 v2, v2, v22
	v_add_f32_e32 v3, v3, v21
	s_or_b64 exec, exec, s[16:17]
	v_cmp_gt_u32_e64 s[12:13], 40, v7
	s_and_saveexec_b64 s[16:17], s[12:13]
	s_cbranch_execz .LBB67_837
.LBB67_1034:
	v_lshlrev_b32_e32 v20, 3, v18
	v_sub_u32_e32 v20, v19, v20
	v_lshl_add_u32 v20, v17, 3, v20
	ds_read_b64 v[20:21], v20 offset:26560
	ds_read_b64 v[22:23], v19 offset:24984
	s_waitcnt lgkmcnt(0)
	v_mul_f32_e32 v24, v23, v21
	v_mul_f32_e32 v21, v22, v21
	v_fma_f32 v22, v22, v20, -v24
	v_fmac_f32_e32 v21, v23, v20
	v_add_f32_e32 v2, v2, v22
	v_add_f32_e32 v3, v3, v21
	s_or_b64 exec, exec, s[16:17]
	v_cmp_gt_u32_e64 s[12:13], 32, v7
	s_and_saveexec_b64 s[16:17], s[12:13]
	s_cbranch_execz .LBB67_838
.LBB67_1035:
	ds_read_b64 v[20:21], v14 offset:27072
	ds_read_b64 v[22:23], v19 offset:24992
	s_waitcnt lgkmcnt(0)
	v_mul_f32_e32 v24, v23, v21
	v_mul_f32_e32 v21, v22, v21
	v_fma_f32 v22, v22, v20, -v24
	v_fmac_f32_e32 v21, v23, v20
	v_add_f32_e32 v2, v2, v22
	v_add_f32_e32 v3, v3, v21
	s_or_b64 exec, exec, s[16:17]
	v_cmp_gt_u32_e64 s[12:13], 24, v7
	s_and_saveexec_b64 s[16:17], s[12:13]
	s_cbranch_execz .LBB67_839
.LBB67_1036:
	v_lshlrev_b32_e32 v18, 3, v18
	v_sub_u32_e32 v18, v19, v18
	v_lshl_add_u32 v17, v17, 3, v18
	ds_read_b64 v[17:18], v17 offset:27584
	ds_read_b64 v[20:21], v19 offset:25000
	s_waitcnt lgkmcnt(0)
	v_mul_f32_e32 v22, v21, v18
	v_mul_f32_e32 v18, v20, v18
	v_fma_f32 v20, v20, v17, -v22
	v_fmac_f32_e32 v18, v21, v17
	v_add_f32_e32 v2, v2, v20
	v_add_f32_e32 v3, v3, v18
	s_or_b64 exec, exec, s[16:17]
	v_cmp_gt_u32_e64 s[12:13], 16, v7
	s_and_saveexec_b64 s[16:17], s[12:13]
	s_cbranch_execz .LBB67_840
.LBB67_1037:
	ds_read_b64 v[17:18], v14 offset:28096
	ds_read_b64 v[19:20], v19 offset:25008
	s_waitcnt lgkmcnt(0)
	v_mul_f32_e32 v21, v20, v18
	v_mul_f32_e32 v18, v19, v18
	v_fma_f32 v19, v19, v17, -v21
	v_fmac_f32_e32 v18, v20, v17
	v_add_f32_e32 v2, v2, v19
	v_add_f32_e32 v3, v3, v18
	s_or_b64 exec, exec, s[16:17]
	v_cmp_gt_u32_e64 s[12:13], 8, v7
	s_and_saveexec_b64 s[16:17], s[12:13]
	s_cbranch_execnz .LBB67_841
	s_branch .LBB67_842
.LBB67_1038:
	v_lshlrev_b32_e32 v13, 3, v13
	v_sub_u32_e32 v13, v14, v13
	v_lshl_add_u32 v12, v12, 3, v13
	ds_read_b64 v[12:13], v12 offset:29664
	ds_read_b64 v[15:16], v14 offset:29128
	s_waitcnt lgkmcnt(0)
	v_mul_f32_e32 v17, v16, v13
	v_mul_f32_e32 v13, v15, v13
	v_fma_f32 v15, v15, v12, -v17
	v_fmac_f32_e32 v13, v16, v12
	v_add_f32_e32 v2, v2, v15
	v_add_f32_e32 v3, v3, v13
	s_or_b64 exec, exec, s[14:15]
	v_cmp_gt_u32_e64 s[10:11], 8, v7
	s_and_saveexec_b64 s[14:15], s[10:11]
	s_cbranch_execz .LBB67_894
.LBB67_1039:
	ds_read_b64 v[12:13], v9 offset:30176
	ds_read_b64 v[14:15], v14 offset:29136
	s_waitcnt lgkmcnt(0)
	v_mul_f32_e32 v16, v15, v13
	v_mul_f32_e32 v13, v14, v13
	v_fma_f32 v14, v14, v12, -v16
	v_fmac_f32_e32 v13, v15, v12
	v_add_f32_e32 v2, v2, v14
	v_add_f32_e32 v3, v3, v13
	s_or_b64 exec, exec, s[14:15]
	v_cmp_gt_u32_e64 s[10:11], 4, v7
	s_and_saveexec_b64 s[14:15], s[10:11]
	s_cbranch_execnz .LBB67_895
	s_branch .LBB67_896
	.section	.rodata,"a",@progbits
	.p2align	6, 0x0
	.amdhsa_kernel _ZL19rocblas_trsv_deviceILi64ELi16ELb1ELb0ELb0ELb1E19rocblas_complex_numIfES1_PKS1_PS1_EviT7_lllT6_T8_lllPii
		.amdhsa_group_segment_fixed_size 41480
		.amdhsa_private_segment_fixed_size 48
		.amdhsa_kernarg_size 352
		.amdhsa_user_sgpr_count 8
		.amdhsa_user_sgpr_private_segment_buffer 1
		.amdhsa_user_sgpr_dispatch_ptr 0
		.amdhsa_user_sgpr_queue_ptr 0
		.amdhsa_user_sgpr_kernarg_segment_ptr 1
		.amdhsa_user_sgpr_dispatch_id 0
		.amdhsa_user_sgpr_flat_scratch_init 1
		.amdhsa_user_sgpr_private_segment_size 0
		.amdhsa_uses_dynamic_stack 0
		.amdhsa_system_sgpr_private_segment_wavefront_offset 1
		.amdhsa_system_sgpr_workgroup_id_x 1
		.amdhsa_system_sgpr_workgroup_id_y 0
		.amdhsa_system_sgpr_workgroup_id_z 1
		.amdhsa_system_sgpr_workgroup_info 0
		.amdhsa_system_vgpr_workitem_id 1
		.amdhsa_next_free_vgpr 49
		.amdhsa_next_free_sgpr 100
		.amdhsa_reserve_vcc 1
		.amdhsa_reserve_flat_scratch 1
		.amdhsa_float_round_mode_32 0
		.amdhsa_float_round_mode_16_64 0
		.amdhsa_float_denorm_mode_32 3
		.amdhsa_float_denorm_mode_16_64 3
		.amdhsa_dx10_clamp 1
		.amdhsa_ieee_mode 1
		.amdhsa_fp16_overflow 0
		.amdhsa_exception_fp_ieee_invalid_op 0
		.amdhsa_exception_fp_denorm_src 0
		.amdhsa_exception_fp_ieee_div_zero 0
		.amdhsa_exception_fp_ieee_overflow 0
		.amdhsa_exception_fp_ieee_underflow 0
		.amdhsa_exception_fp_ieee_inexact 0
		.amdhsa_exception_int_div_zero 0
	.end_amdhsa_kernel
	.section	.text._ZL19rocblas_trsv_deviceILi64ELi16ELb1ELb0ELb0ELb1E19rocblas_complex_numIfES1_PKS1_PS1_EviT7_lllT6_T8_lllPii,"axG",@progbits,_ZL19rocblas_trsv_deviceILi64ELi16ELb1ELb0ELb0ELb1E19rocblas_complex_numIfES1_PKS1_PS1_EviT7_lllT6_T8_lllPii,comdat
.Lfunc_end67:
	.size	_ZL19rocblas_trsv_deviceILi64ELi16ELb1ELb0ELb0ELb1E19rocblas_complex_numIfES1_PKS1_PS1_EviT7_lllT6_T8_lllPii, .Lfunc_end67-_ZL19rocblas_trsv_deviceILi64ELi16ELb1ELb0ELb0ELb1E19rocblas_complex_numIfES1_PKS1_PS1_EviT7_lllT6_T8_lllPii
                                        ; -- End function
	.set _ZL19rocblas_trsv_deviceILi64ELi16ELb1ELb0ELb0ELb1E19rocblas_complex_numIfES1_PKS1_PS1_EviT7_lllT6_T8_lllPii.num_vgpr, 36
	.set _ZL19rocblas_trsv_deviceILi64ELi16ELb1ELb0ELb0ELb1E19rocblas_complex_numIfES1_PKS1_PS1_EviT7_lllT6_T8_lllPii.num_agpr, 0
	.set _ZL19rocblas_trsv_deviceILi64ELi16ELb1ELb0ELb0ELb1E19rocblas_complex_numIfES1_PKS1_PS1_EviT7_lllT6_T8_lllPii.numbered_sgpr, 100
	.set _ZL19rocblas_trsv_deviceILi64ELi16ELb1ELb0ELb0ELb1E19rocblas_complex_numIfES1_PKS1_PS1_EviT7_lllT6_T8_lllPii.num_named_barrier, 0
	.set _ZL19rocblas_trsv_deviceILi64ELi16ELb1ELb0ELb0ELb1E19rocblas_complex_numIfES1_PKS1_PS1_EviT7_lllT6_T8_lllPii.private_seg_size, 48
	.set _ZL19rocblas_trsv_deviceILi64ELi16ELb1ELb0ELb0ELb1E19rocblas_complex_numIfES1_PKS1_PS1_EviT7_lllT6_T8_lllPii.uses_vcc, 1
	.set _ZL19rocblas_trsv_deviceILi64ELi16ELb1ELb0ELb0ELb1E19rocblas_complex_numIfES1_PKS1_PS1_EviT7_lllT6_T8_lllPii.uses_flat_scratch, 1
	.set _ZL19rocblas_trsv_deviceILi64ELi16ELb1ELb0ELb0ELb1E19rocblas_complex_numIfES1_PKS1_PS1_EviT7_lllT6_T8_lllPii.has_dyn_sized_stack, 0
	.set _ZL19rocblas_trsv_deviceILi64ELi16ELb1ELb0ELb0ELb1E19rocblas_complex_numIfES1_PKS1_PS1_EviT7_lllT6_T8_lllPii.has_recursion, 0
	.set _ZL19rocblas_trsv_deviceILi64ELi16ELb1ELb0ELb0ELb1E19rocblas_complex_numIfES1_PKS1_PS1_EviT7_lllT6_T8_lllPii.has_indirect_call, 0
	.section	.AMDGPU.csdata,"",@progbits
; Kernel info:
; codeLenInByte = 33668
; TotalNumSgprs: 106
; NumVgprs: 36
; ScratchSize: 48
; MemoryBound: 1
; FloatMode: 240
; IeeeMode: 1
; LDSByteSize: 41480 bytes/workgroup (compile time only)
; SGPRBlocks: 13
; VGPRBlocks: 12
; NumSGPRsForWavesPerEU: 106
; NumVGPRsForWavesPerEU: 49
; Occupancy: 4
; WaveLimiterHint : 0
; COMPUTE_PGM_RSRC2:SCRATCH_EN: 1
; COMPUTE_PGM_RSRC2:USER_SGPR: 8
; COMPUTE_PGM_RSRC2:TRAP_HANDLER: 0
; COMPUTE_PGM_RSRC2:TGID_X_EN: 1
; COMPUTE_PGM_RSRC2:TGID_Y_EN: 0
; COMPUTE_PGM_RSRC2:TGID_Z_EN: 1
; COMPUTE_PGM_RSRC2:TIDIG_COMP_CNT: 1
	.section	.text._ZL19rocblas_trsv_deviceILi64ELi16ELb1ELb1ELb0ELb1E19rocblas_complex_numIfES1_PKS1_PS1_EviT7_lllT6_T8_lllPii,"axG",@progbits,_ZL19rocblas_trsv_deviceILi64ELi16ELb1ELb1ELb0ELb1E19rocblas_complex_numIfES1_PKS1_PS1_EviT7_lllT6_T8_lllPii,comdat
	.globl	_ZL19rocblas_trsv_deviceILi64ELi16ELb1ELb1ELb0ELb1E19rocblas_complex_numIfES1_PKS1_PS1_EviT7_lllT6_T8_lllPii ; -- Begin function _ZL19rocblas_trsv_deviceILi64ELi16ELb1ELb1ELb0ELb1E19rocblas_complex_numIfES1_PKS1_PS1_EviT7_lllT6_T8_lllPii
	.p2align	8
	.type	_ZL19rocblas_trsv_deviceILi64ELi16ELb1ELb1ELb0ELb1E19rocblas_complex_numIfES1_PKS1_PS1_EviT7_lllT6_T8_lllPii,@function
_ZL19rocblas_trsv_deviceILi64ELi16ELb1ELb1ELb0ELb1E19rocblas_complex_numIfES1_PKS1_PS1_EviT7_lllT6_T8_lllPii: ; @_ZL19rocblas_trsv_deviceILi64ELi16ELb1ELb1ELb0ELb1E19rocblas_complex_numIfES1_PKS1_PS1_EviT7_lllT6_T8_lllPii
; %bb.0:
	s_load_dwordx8 s[24:31], s[4:5], 0x8
	s_load_dword s36, s[4:5], 0x0
	s_add_u32 flat_scratch_lo, s6, s10
	s_addc_u32 flat_scratch_hi, s7, 0
	s_add_u32 s0, s0, s10
	s_waitcnt lgkmcnt(0)
	s_mul_i32 s6, s31, s9
	s_mul_hi_u32 s7, s30, s9
	s_addc_u32 s1, s1, 0
	s_add_i32 s7, s7, s6
	s_mul_i32 s6, s30, s9
	s_load_dword s11, s[4:5], 0x60
	s_load_dword s93, s[4:5], 0x6c
	s_lshl_b64 s[6:7], s[6:7], 3
	s_mov_b32 s34, s9
	s_add_u32 s9, s24, s6
	s_addc_u32 s10, s25, s7
	s_lshl_b64 s[6:7], s[26:27], 3
	s_add_u32 s91, s9, s6
	s_addc_u32 s92, s10, s7
	s_waitcnt lgkmcnt(0)
	s_add_i32 s9, s11, -1
	s_sub_i32 s33, s9, s8
	s_cmp_eq_u32 s8, 0
	s_mov_b32 s35, 0
	s_cbranch_scc1 .LBB68_18
; %bb.1:
	s_lshl_b32 s10, s33, 6
	v_add_u32_e32 v6, s10, v0
	v_ashrrev_i32_e32 v2, 31, v6
	v_mul_lo_u32 v7, s28, v2
	v_mul_lo_u32 v8, s29, v6
	v_mad_u64_u32 v[2:3], s[6:7], s28, v6, 0
	v_add3_u32 v4, v1, s10, 64
	v_ashrrev_i32_e32 v5, 31, v4
	v_add3_u32 v3, v3, v7, v8
	v_lshlrev_b64 v[2:3], 3, v[2:3]
	v_mov_b32_e32 v7, s92
	v_add_co_u32_e64 v8, s[6:7], s91, v2
	v_addc_co_u32_e64 v7, s[6:7], v7, v3, s[6:7]
	v_lshlrev_b64 v[2:3], 3, v[4:5]
	v_max_i32_e32 v5, v4, v6
	v_add_co_u32_e64 v2, s[6:7], v8, v2
	v_addc_co_u32_e64 v3, s[6:7], v7, v3, s[6:7]
	v_cmp_gt_i32_e32 vcc, s36, v6
	v_cmp_le_i32_e64 s[6:7], s36, v5
	s_barrier
	s_and_saveexec_b64 s[10:11], s[6:7]
	s_xor_b64 s[6:7], exec, s[10:11]
	s_cbranch_execz .LBB68_3
; %bb.2:
	v_mov_b32_e32 v5, 0
	buffer_store_dword v5, off, s[0:3], 0
	buffer_store_dword v5, off, s[0:3], 0 offset:4
.LBB68_3:
	s_andn2_saveexec_b64 s[6:7], s[6:7]
	s_cbranch_execz .LBB68_5
; %bb.4:
	global_load_dwordx2 v[5:6], v[2:3], off
	s_waitcnt vmcnt(0)
	buffer_store_dword v6, off, s[0:3], 0 offset:4
	buffer_store_dword v5, off, s[0:3], 0
.LBB68_5:
	s_or_b64 exec, exec, s[6:7]
	v_add_u32_e32 v5, 16, v4
	v_cmp_le_i32_e64 s[6:7], s36, v5
	s_xor_b64 s[10:11], vcc, -1
	s_or_b64 s[6:7], s[6:7], s[10:11]
	s_waitcnt vmcnt(0)
	s_barrier
	s_and_saveexec_b64 s[12:13], s[6:7]
	s_xor_b64 s[6:7], exec, s[12:13]
	s_cbranch_execz .LBB68_7
; %bb.6:
	v_mov_b32_e32 v5, 0
	buffer_store_dword v5, off, s[0:3], 0 offset:8
	buffer_store_dword v5, off, s[0:3], 0 offset:12
.LBB68_7:
	s_andn2_saveexec_b64 s[6:7], s[6:7]
	s_cbranch_execz .LBB68_9
; %bb.8:
	global_load_dwordx2 v[5:6], v[2:3], off offset:128
	s_waitcnt vmcnt(0)
	buffer_store_dword v6, off, s[0:3], 0 offset:12
	buffer_store_dword v5, off, s[0:3], 0 offset:8
.LBB68_9:
	s_or_b64 exec, exec, s[6:7]
	v_add_u32_e32 v5, 32, v4
	v_cmp_le_i32_e32 vcc, s36, v5
	s_or_b64 s[6:7], vcc, s[10:11]
	s_waitcnt vmcnt(0)
	s_barrier
	s_and_saveexec_b64 s[12:13], s[6:7]
	s_xor_b64 s[6:7], exec, s[12:13]
	s_cbranch_execz .LBB68_11
; %bb.10:
	v_mov_b32_e32 v5, 0
	buffer_store_dword v5, off, s[0:3], 0 offset:16
	buffer_store_dword v5, off, s[0:3], 0 offset:20
.LBB68_11:
	s_andn2_saveexec_b64 s[6:7], s[6:7]
	s_cbranch_execz .LBB68_13
; %bb.12:
	global_load_dwordx2 v[5:6], v[2:3], off offset:256
	s_waitcnt vmcnt(0)
	buffer_store_dword v6, off, s[0:3], 0 offset:20
	buffer_store_dword v5, off, s[0:3], 0 offset:16
.LBB68_13:
	s_or_b64 exec, exec, s[6:7]
	v_add_u32_e32 v4, 48, v4
	v_cmp_le_i32_e32 vcc, s36, v4
	s_or_b64 s[6:7], vcc, s[10:11]
	s_waitcnt vmcnt(0)
	s_barrier
	s_and_saveexec_b64 s[10:11], s[6:7]
	s_xor_b64 s[6:7], exec, s[10:11]
	s_cbranch_execz .LBB68_15
; %bb.14:
	v_mov_b32_e32 v2, 0
	buffer_store_dword v2, off, s[0:3], 0 offset:24
	buffer_store_dword v2, off, s[0:3], 0 offset:28
                                        ; implicit-def: $vgpr2_vgpr3
.LBB68_15:
	s_andn2_saveexec_b64 s[6:7], s[6:7]
	s_cbranch_execz .LBB68_17
; %bb.16:
	global_load_dwordx2 v[2:3], v[2:3], off offset:384
	s_waitcnt vmcnt(0)
	buffer_store_dword v3, off, s[0:3], 0 offset:28
	buffer_store_dword v2, off, s[0:3], 0 offset:24
.LBB68_17:
	s_or_b64 exec, exec, s[6:7]
.LBB68_18:
	s_ashr_i32 s37, s36, 31
	s_lshr_b32 s6, s37, 26
	s_add_i32 s6, s36, s6
	s_andn2_b32 s6, s6, 63
	s_sub_i32 s90, s36, s6
	s_add_i32 s6, s36, -1
	s_ashr_i32 s7, s6, 31
	s_lshr_b32 s7, s7, 26
	s_add_i32 s6, s6, s7
	s_ashr_i32 s6, s6, 6
	s_cmp_eq_u32 s6, s33
	s_cselect_b64 s[6:7], -1, 0
	s_cmp_lg_u32 s90, 0
	s_cselect_b64 s[10:11], -1, 0
	s_and_b64 s[26:27], s[10:11], s[6:7]
	s_cmp_lt_i32 s8, 5
	s_cselect_b64 s[12:13], -1, 0
	v_lshlrev_b32_e32 v2, 6, v0
	s_mov_b64 s[16:17], -1
	s_or_b64 s[6:7], s[12:13], s[26:27]
	s_and_b64 vcc, exec, s[26:27]
	v_add_u32_e32 v3, v1, v2
	v_cmp_le_u32_e64 s[10:11], v0, v1
	v_lshl_add_u32 v7, v1, 6, v0
	s_cbranch_vccnz .LBB68_44
; %bb.19:
	s_add_u32 s14, s28, 1
	s_addc_u32 s15, s29, 0
	s_lshl_b32 s16, s33, 6
	s_ashr_i32 s17, s16, 31
	s_mul_hi_u32 s18, s14, s16
	s_mul_i32 s17, s14, s17
	s_add_i32 s17, s18, s17
	s_mul_i32 s15, s15, s16
	s_add_i32 s15, s17, s15
	s_mul_i32 s14, s14, s16
	s_lshl_b64 s[14:15], s[14:15], 3
	s_add_u32 s14, s91, s14
	s_addc_u32 s15, s92, s15
	v_lshlrev_b32_e32 v4, 3, v0
	v_mov_b32_e32 v5, s15
	v_add_co_u32_e32 v4, vcc, s14, v4
	v_addc_co_u32_e32 v5, vcc, 0, v5, vcc
	v_cndmask_b32_e64 v6, v7, v3, s[12:13]
	s_and_saveexec_b64 s[12:13], s[10:11]
	s_xor_b64 s[10:11], exec, s[12:13]
	s_cbranch_execz .LBB68_23
; %bb.20:
	v_or_b32_e32 v8, v1, v0
	v_cmp_gt_u32_e32 vcc, 64, v8
	s_and_saveexec_b64 s[12:13], vcc
; %bb.21:
	v_mov_b32_e32 v8, 0
	v_lshlrev_b32_e32 v6, 3, v6
	v_mov_b32_e32 v9, v8
	ds_write_b64 v6, v[8:9]
; %bb.22:
	s_or_b64 exec, exec, s[12:13]
                                        ; implicit-def: $vgpr6
.LBB68_23:
	s_andn2_saveexec_b64 s[10:11], s[10:11]
	s_cbranch_execz .LBB68_25
; %bb.24:
	v_mad_u64_u32 v[8:9], s[12:13], s28, v1, 0
	v_lshlrev_b32_e32 v6, 3, v6
	v_mad_u64_u32 v[9:10], s[12:13], s29, v1, v[9:10]
	v_lshlrev_b64 v[8:9], 3, v[8:9]
	v_add_co_u32_e32 v8, vcc, v4, v8
	v_addc_co_u32_e32 v9, vcc, v5, v9, vcc
	global_load_dwordx2 v[8:9], v[8:9], off
	s_waitcnt vmcnt(0)
	v_xor_b32_e32 v8, 0x80000000, v8
	v_xor_b32_e32 v9, 0x80000000, v9
	ds_write_b64 v6, v[8:9]
.LBB68_25:
	s_or_b64 exec, exec, s[10:11]
	v_add_u32_e32 v8, 16, v1
	v_add_u32_e32 v6, v8, v2
	v_lshl_add_u32 v9, v8, 6, v0
	v_cndmask_b32_e64 v6, v9, v6, s[6:7]
	v_cmp_le_u32_e32 vcc, v0, v8
	s_and_saveexec_b64 s[10:11], vcc
	s_xor_b64 s[10:11], exec, s[10:11]
	s_cbranch_execz .LBB68_29
; %bb.26:
	v_or_b32_e32 v8, v8, v0
	v_cmp_gt_u32_e32 vcc, 64, v8
	s_and_saveexec_b64 s[12:13], vcc
; %bb.27:
	v_mov_b32_e32 v8, 0
	v_lshlrev_b32_e32 v6, 3, v6
	v_mov_b32_e32 v9, v8
	ds_write_b64 v6, v[8:9]
; %bb.28:
	s_or_b64 exec, exec, s[12:13]
                                        ; implicit-def: $vgpr8
                                        ; implicit-def: $vgpr6
.LBB68_29:
	s_andn2_saveexec_b64 s[10:11], s[10:11]
	s_cbranch_execz .LBB68_31
; %bb.30:
	v_mad_u64_u32 v[9:10], s[12:13], s28, v8, 0
	v_lshlrev_b32_e32 v6, 3, v6
	v_mad_u64_u32 v[10:11], s[12:13], s29, v8, v[10:11]
	v_lshlrev_b64 v[8:9], 3, v[9:10]
	v_add_co_u32_e32 v8, vcc, v4, v8
	v_addc_co_u32_e32 v9, vcc, v5, v9, vcc
	global_load_dwordx2 v[8:9], v[8:9], off
	s_waitcnt vmcnt(0)
	v_xor_b32_e32 v8, 0x80000000, v8
	v_xor_b32_e32 v9, 0x80000000, v9
	ds_write_b64 v6, v[8:9]
.LBB68_31:
	s_or_b64 exec, exec, s[10:11]
	v_add_u32_e32 v8, 32, v1
	v_add_u32_e32 v6, v8, v2
	v_lshl_add_u32 v9, v8, 6, v0
	v_cndmask_b32_e64 v6, v9, v6, s[6:7]
	v_cmp_le_u32_e32 vcc, v0, v8
	s_and_saveexec_b64 s[10:11], vcc
	s_xor_b64 s[10:11], exec, s[10:11]
	s_cbranch_execz .LBB68_35
; %bb.32:
	v_or_b32_e32 v8, v8, v0
	v_cmp_gt_u32_e32 vcc, 64, v8
	s_and_saveexec_b64 s[12:13], vcc
; %bb.33:
	v_mov_b32_e32 v8, 0
	v_lshlrev_b32_e32 v6, 3, v6
	v_mov_b32_e32 v9, v8
	ds_write_b64 v6, v[8:9]
; %bb.34:
	s_or_b64 exec, exec, s[12:13]
                                        ; implicit-def: $vgpr8
                                        ; implicit-def: $vgpr6
.LBB68_35:
	s_andn2_saveexec_b64 s[10:11], s[10:11]
	s_cbranch_execz .LBB68_37
; %bb.36:
	v_mad_u64_u32 v[9:10], s[12:13], s28, v8, 0
	v_lshlrev_b32_e32 v6, 3, v6
	v_mad_u64_u32 v[10:11], s[12:13], s29, v8, v[10:11]
	v_lshlrev_b64 v[8:9], 3, v[9:10]
	v_add_co_u32_e32 v8, vcc, v4, v8
	v_addc_co_u32_e32 v9, vcc, v5, v9, vcc
	global_load_dwordx2 v[8:9], v[8:9], off
	s_waitcnt vmcnt(0)
	v_xor_b32_e32 v8, 0x80000000, v8
	v_xor_b32_e32 v9, 0x80000000, v9
	ds_write_b64 v6, v[8:9]
.LBB68_37:
	s_or_b64 exec, exec, s[10:11]
	v_add_u32_e32 v8, 48, v1
	v_add_u32_e32 v6, v8, v2
	v_lshl_add_u32 v9, v8, 6, v0
	v_cndmask_b32_e64 v6, v9, v6, s[6:7]
	v_cmp_le_u32_e32 vcc, v0, v8
	s_and_saveexec_b64 s[10:11], vcc
	s_xor_b64 s[10:11], exec, s[10:11]
	s_cbranch_execz .LBB68_41
; %bb.38:
	v_or_b32_e32 v4, v8, v0
	v_cmp_gt_u32_e32 vcc, 64, v4
	s_and_saveexec_b64 s[12:13], vcc
; %bb.39:
	v_mov_b32_e32 v4, 0
	v_lshlrev_b32_e32 v6, 3, v6
	v_mov_b32_e32 v5, v4
	ds_write_b64 v6, v[4:5]
; %bb.40:
	s_or_b64 exec, exec, s[12:13]
                                        ; implicit-def: $vgpr8
                                        ; implicit-def: $vgpr4
                                        ; implicit-def: $vgpr5
                                        ; implicit-def: $vgpr6
.LBB68_41:
	s_andn2_saveexec_b64 s[10:11], s[10:11]
	s_cbranch_execz .LBB68_43
; %bb.42:
	v_mad_u64_u32 v[9:10], s[12:13], s28, v8, 0
	v_lshlrev_b32_e32 v6, 3, v6
	v_mad_u64_u32 v[10:11], s[12:13], s29, v8, v[10:11]
	v_lshlrev_b64 v[8:9], 3, v[9:10]
	v_add_co_u32_e32 v4, vcc, v4, v8
	v_addc_co_u32_e32 v5, vcc, v5, v9, vcc
	global_load_dwordx2 v[4:5], v[4:5], off
	s_waitcnt vmcnt(0)
	v_xor_b32_e32 v4, 0x80000000, v4
	v_xor_b32_e32 v5, 0x80000000, v5
	ds_write_b64 v6, v[4:5]
.LBB68_43:
	s_or_b64 exec, exec, s[10:11]
	s_mov_b64 s[16:17], 0
.LBB68_44:
	s_xor_b64 s[14:15], s[6:7], -1
	s_and_b64 vcc, exec, s[16:17]
	s_cbranch_vccz .LBB68_70
; %bb.45:
	s_add_u32 s10, s28, 1
	s_addc_u32 s11, s29, 0
	s_lshl_b32 s12, s33, 6
	s_ashr_i32 s13, s12, 31
	s_mul_hi_u32 s16, s10, s12
	s_mul_i32 s13, s10, s13
	s_add_i32 s13, s16, s13
	s_mul_i32 s11, s11, s12
	s_add_i32 s11, s13, s11
	s_mul_i32 s10, s10, s12
	s_lshl_b64 s[10:11], s[10:11], 3
	s_add_u32 s10, s91, s10
	s_addc_u32 s11, s92, s11
	v_lshlrev_b32_e32 v4, 3, v0
	v_mov_b32_e32 v5, s11
	v_add_co_u32_e64 v4, s[10:11], s10, v4
	v_addc_co_u32_e64 v5, s[10:11], 0, v5, s[10:11]
	v_max_i32_e32 v6, v1, v0
	v_cmp_le_u32_e64 s[10:11], v0, v1
	v_cmp_le_i32_e64 s[12:13], s90, v6
	v_cmp_gt_i32_e32 vcc, s90, v0
	s_or_b64 s[10:11], s[12:13], s[10:11]
	s_and_saveexec_b64 s[12:13], s[10:11]
	s_xor_b64 s[12:13], exec, s[12:13]
	s_cbranch_execz .LBB68_49
; %bb.46:
	v_or_b32_e32 v6, v1, v0
	v_cmp_gt_u32_e64 s[10:11], 64, v6
	s_and_saveexec_b64 s[16:17], s[10:11]
; %bb.47:
	v_mov_b32_e32 v8, 0
	v_lshlrev_b32_e32 v3, 3, v3
	v_mov_b32_e32 v9, v8
	ds_write_b64 v3, v[8:9]
; %bb.48:
	s_or_b64 exec, exec, s[16:17]
                                        ; implicit-def: $vgpr3
.LBB68_49:
	s_andn2_saveexec_b64 s[12:13], s[12:13]
	s_cbranch_execz .LBB68_51
; %bb.50:
	v_mad_u64_u32 v[8:9], s[10:11], s28, v1, 0
	v_lshlrev_b32_e32 v3, 3, v3
	v_mov_b32_e32 v6, v9
	v_mad_u64_u32 v[9:10], s[10:11], s29, v1, v[6:7]
	v_lshlrev_b64 v[8:9], 3, v[8:9]
	v_add_co_u32_e64 v8, s[10:11], v4, v8
	v_addc_co_u32_e64 v9, s[10:11], v5, v9, s[10:11]
	global_load_dwordx2 v[8:9], v[8:9], off
	s_waitcnt vmcnt(0)
	v_xor_b32_e32 v8, 0x80000000, v8
	v_xor_b32_e32 v9, 0x80000000, v9
	ds_write_b64 v3, v[8:9]
.LBB68_51:
	s_or_b64 exec, exec, s[12:13]
	v_add_u32_e32 v6, 16, v1
	v_cmp_gt_u32_e64 s[10:11], v0, v6
	v_cmp_gt_i32_e64 s[12:13], s90, v6
	s_and_b64 s[10:11], s[10:11], s[12:13]
	v_add_u32_e32 v3, v6, v2
	v_lshl_add_u32 v8, v6, 6, v0
	s_and_b64 s[10:11], s[10:11], vcc
	v_cndmask_b32_e64 v3, v8, v3, s[6:7]
	s_xor_b64 s[10:11], s[10:11], -1
	s_and_saveexec_b64 s[12:13], s[10:11]
	s_xor_b64 s[12:13], exec, s[12:13]
	s_cbranch_execz .LBB68_55
; %bb.52:
	v_or_b32_e32 v6, v6, v0
	v_cmp_gt_u32_e64 s[10:11], 64, v6
	s_and_saveexec_b64 s[16:17], s[10:11]
; %bb.53:
	v_mov_b32_e32 v8, 0
	v_lshlrev_b32_e32 v3, 3, v3
	v_mov_b32_e32 v9, v8
	ds_write_b64 v3, v[8:9]
; %bb.54:
	s_or_b64 exec, exec, s[16:17]
                                        ; implicit-def: $vgpr6
                                        ; implicit-def: $vgpr3
.LBB68_55:
	s_andn2_saveexec_b64 s[12:13], s[12:13]
	s_cbranch_execz .LBB68_57
; %bb.56:
	v_mad_u64_u32 v[8:9], s[10:11], s28, v6, 0
	v_lshlrev_b32_e32 v3, 3, v3
	v_mad_u64_u32 v[9:10], s[10:11], s29, v6, v[9:10]
	v_lshlrev_b64 v[8:9], 3, v[8:9]
	v_add_co_u32_e64 v8, s[10:11], v4, v8
	v_addc_co_u32_e64 v9, s[10:11], v5, v9, s[10:11]
	global_load_dwordx2 v[8:9], v[8:9], off
	s_waitcnt vmcnt(0)
	v_xor_b32_e32 v8, 0x80000000, v8
	v_xor_b32_e32 v9, 0x80000000, v9
	ds_write_b64 v3, v[8:9]
.LBB68_57:
	s_or_b64 exec, exec, s[12:13]
	v_add_u32_e32 v6, 32, v1
	v_cmp_gt_u32_e64 s[10:11], v0, v6
	v_cmp_gt_i32_e64 s[12:13], s90, v6
	s_and_b64 s[10:11], s[10:11], s[12:13]
	v_add_u32_e32 v3, v6, v2
	v_lshl_add_u32 v8, v6, 6, v0
	s_and_b64 s[10:11], s[10:11], vcc
	v_cndmask_b32_e64 v3, v8, v3, s[6:7]
	s_xor_b64 s[10:11], s[10:11], -1
	s_and_saveexec_b64 s[12:13], s[10:11]
	s_xor_b64 s[12:13], exec, s[12:13]
	s_cbranch_execz .LBB68_61
; %bb.58:
	v_or_b32_e32 v6, v6, v0
	v_cmp_gt_u32_e64 s[10:11], 64, v6
	s_and_saveexec_b64 s[16:17], s[10:11]
; %bb.59:
	v_mov_b32_e32 v8, 0
	v_lshlrev_b32_e32 v3, 3, v3
	v_mov_b32_e32 v9, v8
	ds_write_b64 v3, v[8:9]
; %bb.60:
	s_or_b64 exec, exec, s[16:17]
                                        ; implicit-def: $vgpr6
                                        ; implicit-def: $vgpr3
.LBB68_61:
	s_andn2_saveexec_b64 s[12:13], s[12:13]
	s_cbranch_execz .LBB68_63
; %bb.62:
	v_mad_u64_u32 v[8:9], s[10:11], s28, v6, 0
	v_lshlrev_b32_e32 v3, 3, v3
	v_mad_u64_u32 v[9:10], s[10:11], s29, v6, v[9:10]
	v_lshlrev_b64 v[8:9], 3, v[8:9]
	v_add_co_u32_e64 v8, s[10:11], v4, v8
	v_addc_co_u32_e64 v9, s[10:11], v5, v9, s[10:11]
	global_load_dwordx2 v[8:9], v[8:9], off
	s_waitcnt vmcnt(0)
	v_xor_b32_e32 v8, 0x80000000, v8
	v_xor_b32_e32 v9, 0x80000000, v9
	ds_write_b64 v3, v[8:9]
.LBB68_63:
	s_or_b64 exec, exec, s[12:13]
	v_add_u32_e32 v3, 48, v1
	v_add_u32_e32 v2, v3, v2
	v_lshl_add_u32 v6, v3, 6, v0
	v_cndmask_b32_e64 v2, v6, v2, s[6:7]
	v_cmp_gt_u32_e64 s[6:7], v0, v3
	v_cmp_gt_i32_e64 s[10:11], s90, v3
	s_and_b64 s[6:7], s[6:7], s[10:11]
	s_and_b64 s[6:7], s[6:7], vcc
	s_xor_b64 s[6:7], s[6:7], -1
	s_and_saveexec_b64 s[10:11], s[6:7]
	s_xor_b64 s[6:7], exec, s[10:11]
	s_cbranch_execz .LBB68_67
; %bb.64:
	v_or_b32_e32 v3, v3, v0
	v_cmp_gt_u32_e32 vcc, 64, v3
	s_and_saveexec_b64 s[10:11], vcc
; %bb.65:
	v_lshlrev_b32_e32 v4, 3, v2
	v_mov_b32_e32 v2, 0
	v_mov_b32_e32 v3, v2
	ds_write_b64 v4, v[2:3]
; %bb.66:
	s_or_b64 exec, exec, s[10:11]
                                        ; implicit-def: $vgpr3
                                        ; implicit-def: $vgpr4
                                        ; implicit-def: $vgpr5
                                        ; implicit-def: $vgpr2
.LBB68_67:
	s_andn2_saveexec_b64 s[6:7], s[6:7]
	s_cbranch_execz .LBB68_69
; %bb.68:
	v_mad_u64_u32 v[8:9], s[10:11], s28, v3, 0
	v_lshlrev_b32_e32 v2, 3, v2
	v_mov_b32_e32 v6, v9
	v_mad_u64_u32 v[9:10], s[10:11], s29, v3, v[6:7]
	v_lshlrev_b64 v[8:9], 3, v[8:9]
	v_add_co_u32_e32 v3, vcc, v4, v8
	v_addc_co_u32_e32 v4, vcc, v5, v9, vcc
	global_load_dwordx2 v[3:4], v[3:4], off
	s_waitcnt vmcnt(0)
	v_xor_b32_e32 v3, 0x80000000, v3
	v_xor_b32_e32 v4, 0x80000000, v4
	ds_write_b64 v2, v[3:4]
.LBB68_69:
	s_or_b64 exec, exec, s[6:7]
.LBB68_70:
	v_cndmask_b32_e64 v2, 0, 1, s[14:15]
	v_cmp_ne_u32_e64 s[44:45], 1, v2
	s_andn2_b64 vcc, exec, s[14:15]
	s_waitcnt vmcnt(0) lgkmcnt(0)
	s_barrier
	s_cbranch_vccnz .LBB68_992
; %bb.71:
	v_or_b32_e32 v2, v0, v1
	s_mov_b32 s11, 0
	v_cmp_eq_u32_e32 vcc, 0, v2
	s_and_saveexec_b64 s[6:7], vcc
	s_cbranch_execz .LBB68_73
; %bb.72:
	v_mov_b32_e32 v6, 0
	ds_read_b64 v[2:3], v6 offset:8
	s_mov_b32 s10, 1.0
	v_mov_b32_e32 v4, s10
	v_mov_b32_e32 v5, s11
	ds_write_b64 v6, v[4:5] offset:520
	s_waitcnt lgkmcnt(1)
	ds_write2st64_b64 v6, v[4:5], v[2:3] offset1:1
.LBB68_73:
	s_or_b64 exec, exec, s[6:7]
	v_and_b32_e32 v8, 1, v0
	v_lshrrev_b32_e32 v6, 1, v7
	v_lshlrev_b32_e32 v2, 3, v8
	v_cmp_lt_u32_e64 s[10:11], 3, v7
	v_cmp_gt_u32_e64 s[22:23], 4, v7
	v_lshl_or_b32 v4, v6, 9, v2
	v_mov_b32_e32 v3, 0
	v_mov_b32_e32 v2, 0
	s_waitcnt lgkmcnt(0)
	s_barrier
	s_and_saveexec_b64 s[6:7], s[22:23]
	s_cbranch_execz .LBB68_77
; %bb.74:
	v_mul_u32_u24_e32 v5, 0x208, v6
	ds_read_b64 v[2:3], v4 offset:16
	ds_read_b64 v[9:10], v5
	v_cmp_gt_u32_e64 s[12:13], 2, v7
	s_waitcnt lgkmcnt(0)
	v_mul_f32_e32 v5, v10, v3
	v_mul_f32_e32 v3, v9, v3
	v_fma_f32 v5, v9, v2, -v5
	v_fmac_f32_e32 v3, v10, v2
	v_add_f32_e32 v2, 0, v5
	v_add_f32_e32 v3, 0, v3
	s_and_saveexec_b64 s[14:15], s[12:13]
	s_cbranch_execz .LBB68_76
; %bb.75:
	v_lshlrev_b32_e32 v5, 3, v0
	v_mov_b32_e32 v11, 0
	ds_read_b64 v[9:10], v5 offset:528
	ds_read_b64 v[11:12], v11 offset:8
	s_waitcnt lgkmcnt(0)
	v_mul_f32_e32 v5, v12, v10
	v_mul_f32_e32 v10, v11, v10
	v_fma_f32 v5, v11, v9, -v5
	v_fmac_f32_e32 v10, v12, v9
	v_add_f32_e32 v2, v2, v5
	v_add_f32_e32 v3, v3, v10
.LBB68_76:
	s_or_b64 exec, exec, s[14:15]
	v_xor_b32_e32 v2, 0x80000000, v2
	v_xor_b32_e32 v3, 0x80000000, v3
.LBB68_77:
	s_or_b64 exec, exec, s[6:7]
	v_mov_b32_e32 v5, 0x8000
	v_cmp_eq_u32_e64 s[12:13], 0, v8
	s_xor_b64 s[6:7], s[10:11], -1
	v_lshl_add_u32 v5, v6, 3, v5
	s_and_b64 s[38:39], s[12:13], s[6:7]
	s_and_saveexec_b64 s[10:11], s[38:39]
; %bb.78:
	ds_write_b64 v5, v[2:3]
; %bb.79:
	s_or_b64 exec, exec, s[10:11]
	v_cmp_ne_u32_e64 s[10:11], 0, v8
	s_and_b64 s[30:31], s[10:11], s[6:7]
	s_waitcnt lgkmcnt(0)
	s_barrier
	s_and_saveexec_b64 s[6:7], s[30:31]
	s_cbranch_execz .LBB68_81
; %bb.80:
	v_mov_b32_e32 v8, 0
	ds_read_b64 v[8:9], v8 offset:1048
	ds_read_b64 v[10:11], v5
	s_waitcnt lgkmcnt(0)
	v_mul_f32_e32 v12, v11, v9
	v_mul_f32_e32 v9, v10, v9
	v_fma_f32 v10, v10, v8, -v12
	v_fmac_f32_e32 v9, v11, v8
	v_add_f32_e32 v2, v2, v10
	v_add_f32_e32 v3, v3, v9
.LBB68_81:
	s_or_b64 exec, exec, s[6:7]
	s_barrier
	s_and_saveexec_b64 s[6:7], s[30:31]
; %bb.82:
	ds_write_b64 v5, v[2:3]
; %bb.83:
	s_or_b64 exec, exec, s[6:7]
	s_waitcnt lgkmcnt(0)
	s_barrier
	s_barrier
	s_and_saveexec_b64 s[6:7], s[22:23]
; %bb.84:
	v_xor_b32_e32 v3, 0x80000000, v3
	v_xor_b32_e32 v2, 0x80000000, v2
	ds_write_b64 v4, v[2:3] offset:16
; %bb.85:
	s_or_b64 exec, exec, s[6:7]
	v_cmp_eq_u32_e64 s[16:17], 0, v1
	v_cmp_gt_u32_e64 s[10:11], 2, v0
	s_and_b64 s[40:41], s[16:17], s[10:11]
	s_waitcnt lgkmcnt(0)
	s_barrier
	s_barrier
	s_and_saveexec_b64 s[6:7], s[40:41]
	s_cbranch_execz .LBB68_87
; %bb.86:
	v_lshlrev_b32_e32 v8, 3, v0
	s_movk_i32 s10, 0x1f8
	v_mad_u32_u24 v9, v0, s10, v8
	ds_read_b64 v[2:3], v9 offset:16
	s_waitcnt lgkmcnt(0)
	ds_write_b64 v8, v[2:3] offset:1024
	ds_read_b64 v[2:3], v9 offset:24
	s_waitcnt lgkmcnt(0)
	ds_write_b64 v8, v[2:3] offset:1536
.LBB68_87:
	s_or_b64 exec, exec, s[6:7]
	s_waitcnt lgkmcnt(0)
	s_barrier
	s_and_saveexec_b64 s[6:7], vcc
	s_cbranch_execz .LBB68_89
; %bb.88:
	v_mov_b32_e32 v10, 0
	ds_read_b64 v[2:3], v10 offset:1048
	s_mov_b64 s[10:11], 0x3f800000
	v_mov_b32_e32 v8, s10
	v_mov_b32_e32 v9, s11
	ds_write_b64 v10, v[8:9] offset:1560
	s_waitcnt lgkmcnt(1)
	ds_write2_b64 v10, v[8:9], v[2:3] offset0:130 offset1:194
.LBB68_89:
	s_or_b64 exec, exec, s[6:7]
	v_and_b32_e32 v11, 3, v0
	v_lshrrev_b32_e32 v12, 2, v7
	v_lshlrev_b32_e32 v9, 3, v11
	v_cmp_lt_u32_e64 s[12:13], 15, v7
	v_cmp_gt_u32_e64 s[10:11], 16, v7
	v_lshl_or_b32 v8, v12, 9, v9
	v_mov_b32_e32 v3, 0
	v_mov_b32_e32 v2, 0
	s_waitcnt lgkmcnt(0)
	s_barrier
	s_and_saveexec_b64 s[6:7], s[10:11]
	s_cbranch_execz .LBB68_95
; %bb.90:
	v_mul_u32_u24_e32 v10, 0x208, v12
	ds_read_b64 v[2:3], v8 offset:32
	ds_read_b64 v[13:14], v10
	v_cmp_gt_u32_e64 s[14:15], 12, v7
	s_waitcnt lgkmcnt(0)
	v_mul_f32_e32 v15, v14, v3
	v_mul_f32_e32 v3, v13, v3
	v_fma_f32 v13, v13, v2, -v15
	v_fmac_f32_e32 v3, v14, v2
	v_add_f32_e32 v2, 0, v13
	v_add_f32_e32 v3, 0, v3
	s_and_saveexec_b64 s[18:19], s[14:15]
	s_cbranch_execnz .LBB68_1050
; %bb.91:
	s_or_b64 exec, exec, s[18:19]
	v_cmp_gt_u32_e64 s[14:15], 8, v7
	s_and_saveexec_b64 s[18:19], s[14:15]
	s_cbranch_execnz .LBB68_1051
.LBB68_92:
	s_or_b64 exec, exec, s[18:19]
	v_cmp_gt_u32_e64 s[14:15], 4, v7
	s_and_saveexec_b64 s[18:19], s[14:15]
	s_cbranch_execz .LBB68_94
.LBB68_93:
	v_lshlrev_b32_e32 v10, 3, v0
	v_mov_b32_e32 v15, 0
	ds_read_b64 v[13:14], v10 offset:1568
	ds_read_b64 v[15:16], v15 offset:24
	s_waitcnt lgkmcnt(0)
	v_mul_f32_e32 v10, v16, v14
	v_mul_f32_e32 v14, v15, v14
	v_fma_f32 v10, v15, v13, -v10
	v_fmac_f32_e32 v14, v16, v13
	v_add_f32_e32 v2, v2, v10
	v_add_f32_e32 v3, v3, v14
.LBB68_94:
	s_or_b64 exec, exec, s[18:19]
	v_xor_b32_e32 v2, 0x80000000, v2
	v_xor_b32_e32 v3, 0x80000000, v3
.LBB68_95:
                                        ; implicit-def: $vgpr34 : SGPR spill to VGPR lane
	v_writelane_b32 v34, s44, 0
	v_writelane_b32 v34, s45, 1
	s_or_b64 exec, exec, s[6:7]
	v_mov_b32_e32 v10, 0x8000
	v_cmp_eq_u32_e64 s[14:15], 0, v11
	s_xor_b64 s[6:7], s[12:13], -1
	v_lshl_add_u32 v10, v12, 3, v10
	s_and_b64 s[44:45], s[14:15], s[6:7]
	s_and_saveexec_b64 s[12:13], s[44:45]
; %bb.96:
	ds_write_b64 v10, v[2:3]
; %bb.97:
	s_or_b64 exec, exec, s[12:13]
	v_cmp_ne_u32_e64 s[12:13], 0, v11
	s_and_b64 s[46:47], s[12:13], s[6:7]
	s_waitcnt lgkmcnt(0)
	s_barrier
	s_and_saveexec_b64 s[12:13], s[46:47]
	s_cbranch_execz .LBB68_99
; %bb.98:
	ds_read_b64 v[13:14], v9 offset:2080
	ds_read_b64 v[15:16], v10
	s_waitcnt lgkmcnt(0)
	v_mul_f32_e32 v17, v16, v14
	v_mul_f32_e32 v14, v15, v14
	v_fma_f32 v15, v15, v13, -v17
	v_fmac_f32_e32 v14, v16, v13
	v_add_f32_e32 v2, v2, v15
	v_add_f32_e32 v3, v3, v14
.LBB68_99:
	s_or_b64 exec, exec, s[12:13]
	v_cmp_eq_u32_e64 s[12:13], 1, v11
	s_and_b64 s[48:49], s[12:13], s[6:7]
	s_barrier
	s_and_saveexec_b64 s[12:13], s[48:49]
; %bb.100:
	ds_write_b64 v10, v[2:3]
; %bb.101:
	s_or_b64 exec, exec, s[12:13]
	v_cmp_lt_u32_e64 s[12:13], 1, v11
	s_and_b64 s[50:51], s[12:13], s[6:7]
	s_waitcnt lgkmcnt(0)
	s_barrier
	s_and_saveexec_b64 s[12:13], s[50:51]
	s_cbranch_execz .LBB68_103
; %bb.102:
	ds_read_b64 v[13:14], v9 offset:2592
	ds_read_b64 v[15:16], v10
	s_waitcnt lgkmcnt(0)
	v_mul_f32_e32 v17, v16, v14
	v_mul_f32_e32 v14, v15, v14
	v_fma_f32 v15, v15, v13, -v17
	v_fmac_f32_e32 v14, v16, v13
	v_add_f32_e32 v2, v2, v15
	v_add_f32_e32 v3, v3, v14
.LBB68_103:
	s_or_b64 exec, exec, s[12:13]
	v_cmp_eq_u32_e64 s[12:13], 2, v11
	s_and_b64 s[52:53], s[12:13], s[6:7]
	s_barrier
	s_and_saveexec_b64 s[12:13], s[52:53]
; %bb.104:
	ds_write_b64 v10, v[2:3]
; %bb.105:
	s_or_b64 exec, exec, s[12:13]
	v_cmp_eq_u32_e64 s[12:13], 3, v11
	s_and_b64 s[42:43], s[12:13], s[6:7]
	s_waitcnt lgkmcnt(0)
	s_barrier
	s_and_saveexec_b64 s[6:7], s[42:43]
	s_cbranch_execz .LBB68_107
; %bb.106:
	v_mov_b32_e32 v13, 0
	ds_read_b64 v[13:14], v13 offset:3128
	ds_read_b64 v[15:16], v10
	s_waitcnt lgkmcnt(0)
	v_mul_f32_e32 v17, v16, v14
	v_mul_f32_e32 v14, v15, v14
	v_fma_f32 v15, v15, v13, -v17
	v_fmac_f32_e32 v14, v16, v13
	v_add_f32_e32 v2, v2, v15
	v_add_f32_e32 v3, v3, v14
.LBB68_107:
	s_or_b64 exec, exec, s[6:7]
	s_barrier
	s_and_saveexec_b64 s[6:7], s[42:43]
; %bb.108:
	ds_write_b64 v10, v[2:3]
; %bb.109:
	s_or_b64 exec, exec, s[6:7]
	s_waitcnt lgkmcnt(0)
	s_barrier
	s_barrier
	s_and_saveexec_b64 s[6:7], s[10:11]
; %bb.110:
	v_xor_b32_e32 v2, 0x80000000, v2
	v_xor_b32_e32 v3, 0x80000000, v3
	ds_write_b64 v8, v[2:3] offset:32
; %bb.111:
	s_or_b64 exec, exec, s[6:7]
	v_cmp_gt_u32_e64 s[12:13], 4, v0
	s_and_b64 s[54:55], s[16:17], s[12:13]
	s_waitcnt lgkmcnt(0)
	s_barrier
	s_barrier
	s_and_saveexec_b64 s[6:7], s[54:55]
	s_cbranch_execz .LBB68_113
; %bb.112:
	v_lshlrev_b32_e32 v13, 9, v0
	ds_read_b64 v[2:3], v13 offset:32
	s_movk_i32 s12, 0xfe08
	v_mad_i32_i24 v14, v0, s12, v13
	s_waitcnt lgkmcnt(0)
	ds_write_b64 v14, v[2:3] offset:2048
	ds_read_b64 v[2:3], v13 offset:40
	s_waitcnt lgkmcnt(0)
	ds_write_b64 v14, v[2:3] offset:2560
	ds_read_b64 v[2:3], v13 offset:48
	;; [unrolled: 3-line block ×3, first 2 shown]
	s_waitcnt lgkmcnt(0)
	ds_write_b64 v14, v[2:3] offset:3584
.LBB68_113:
	s_or_b64 exec, exec, s[6:7]
	s_waitcnt lgkmcnt(0)
	s_barrier
	s_and_saveexec_b64 s[6:7], vcc
	s_cbranch_execz .LBB68_115
; %bb.114:
	v_mov_b32_e32 v15, 0
	ds_read_b64 v[2:3], v15 offset:2088
	s_mov_b64 s[12:13], 0x3f800000
	v_mov_b32_e32 v14, s13
	v_mov_b32_e32 v13, s12
	ds_write_b64 v15, v[13:14] offset:2600
	v_add_u32_e64 v15, 32, 0
	s_waitcnt lgkmcnt(1)
	ds_write2st64_b64 v15, v[13:14], v[2:3] offset0:4 offset1:5
.LBB68_115:
	s_or_b64 exec, exec, s[6:7]
	v_mov_b32_e32 v3, 0
	v_mov_b32_e32 v2, 0
	s_waitcnt lgkmcnt(0)
	s_barrier
	s_and_saveexec_b64 s[6:7], s[22:23]
	s_cbranch_execz .LBB68_119
; %bb.116:
	v_mul_u32_u24_e32 v13, 0x208, v6
	ds_read_b64 v[2:3], v4 offset:2096
	ds_read_b64 v[13:14], v13 offset:2080
	v_cmp_gt_u32_e64 s[12:13], 2, v7
	s_waitcnt lgkmcnt(0)
	v_mul_f32_e32 v15, v14, v3
	v_mul_f32_e32 v3, v13, v3
	v_fma_f32 v13, v13, v2, -v15
	v_fmac_f32_e32 v3, v14, v2
	v_add_f32_e32 v2, 0, v13
	v_add_f32_e32 v3, 0, v3
	s_and_saveexec_b64 s[14:15], s[12:13]
	s_cbranch_execz .LBB68_118
; %bb.117:
	v_lshlrev_b32_e32 v13, 3, v0
	v_mov_b32_e32 v15, 0
	ds_read_b64 v[13:14], v13 offset:2608
	ds_read_b64 v[15:16], v15 offset:2088
	s_waitcnt lgkmcnt(0)
	v_mul_f32_e32 v17, v16, v14
	v_mul_f32_e32 v14, v15, v14
	v_fma_f32 v15, v15, v13, -v17
	v_fmac_f32_e32 v14, v16, v13
	v_add_f32_e32 v2, v2, v15
	v_add_f32_e32 v3, v3, v14
.LBB68_118:
	s_or_b64 exec, exec, s[14:15]
	v_xor_b32_e32 v2, 0x80000000, v2
	v_xor_b32_e32 v3, 0x80000000, v3
.LBB68_119:
	s_or_b64 exec, exec, s[6:7]
	s_and_saveexec_b64 s[6:7], s[38:39]
; %bb.120:
	ds_write_b64 v5, v[2:3]
; %bb.121:
	s_or_b64 exec, exec, s[6:7]
	s_waitcnt lgkmcnt(0)
	s_barrier
	s_and_saveexec_b64 s[6:7], s[30:31]
	s_cbranch_execz .LBB68_123
; %bb.122:
	v_mov_b32_e32 v13, 0
	ds_read_b64 v[13:14], v13 offset:3128
	ds_read_b64 v[15:16], v5
	s_waitcnt lgkmcnt(0)
	v_mul_f32_e32 v17, v16, v14
	v_mul_f32_e32 v14, v15, v14
	v_fma_f32 v15, v15, v13, -v17
	v_fmac_f32_e32 v14, v16, v13
	v_add_f32_e32 v2, v2, v15
	v_add_f32_e32 v3, v3, v14
.LBB68_123:
	s_or_b64 exec, exec, s[6:7]
	s_barrier
	s_and_saveexec_b64 s[6:7], s[30:31]
; %bb.124:
	ds_write_b64 v5, v[2:3]
; %bb.125:
	s_or_b64 exec, exec, s[6:7]
	s_waitcnt lgkmcnt(0)
	s_barrier
	s_barrier
	s_and_saveexec_b64 s[6:7], s[22:23]
; %bb.126:
	v_xor_b32_e32 v3, 0x80000000, v3
	v_xor_b32_e32 v2, 0x80000000, v2
	ds_write_b64 v4, v[2:3] offset:2096
; %bb.127:
	s_or_b64 exec, exec, s[6:7]
	s_waitcnt lgkmcnt(0)
	s_barrier
	s_barrier
	s_and_saveexec_b64 s[6:7], s[40:41]
	s_cbranch_execz .LBB68_129
; %bb.128:
	v_lshlrev_b32_e32 v13, 3, v0
	s_movk_i32 s12, 0x1f8
	v_mad_u32_u24 v14, v0, s12, v13
	ds_read_b64 v[2:3], v14 offset:2096
	s_waitcnt lgkmcnt(0)
	ds_write_b64 v13, v[2:3] offset:3104
	ds_read_b64 v[2:3], v14 offset:2104
	s_waitcnt lgkmcnt(0)
	ds_write_b64 v13, v[2:3] offset:3616
.LBB68_129:
	s_or_b64 exec, exec, s[6:7]
	s_waitcnt lgkmcnt(0)
	s_barrier
	s_and_saveexec_b64 s[6:7], vcc
	s_cbranch_execz .LBB68_131
; %bb.130:
	v_mov_b32_e32 v15, 0
	ds_read_b64 v[2:3], v15 offset:3128
	s_mov_b64 s[12:13], 0x3f800000
	v_mov_b32_e32 v14, s13
	v_mov_b32_e32 v13, s12
	ds_write_b64 v15, v[13:14] offset:3640
	v_add_u32_e64 v15, 48, 0
	s_waitcnt lgkmcnt(1)
	ds_write2st64_b64 v15, v[13:14], v[2:3] offset0:6 offset1:7
.LBB68_131:
	s_or_b64 exec, exec, s[6:7]
	v_and_b32_e32 v16, 7, v0
	v_lshrrev_b32_e32 v17, 3, v7
	v_lshlrev_b32_e32 v14, 3, v16
	v_cmp_lt_u32_e64 s[14:15], 63, v7
	v_cmp_gt_u32_e64 s[12:13], 64, v7
	v_lshl_or_b32 v13, v17, 9, v14
	v_mov_b32_e32 v3, 0
	v_mov_b32_e32 v2, 0
	s_waitcnt lgkmcnt(0)
	s_barrier
	s_and_saveexec_b64 s[6:7], s[12:13]
	s_cbranch_execz .LBB68_141
; %bb.132:
	v_mul_u32_u24_e32 v15, 0x208, v17
	ds_read_b64 v[2:3], v13 offset:64
	ds_read_b64 v[18:19], v15
	v_cmp_gt_u32_e64 s[18:19], 56, v7
	s_waitcnt lgkmcnt(0)
	v_mul_f32_e32 v20, v19, v3
	v_mul_f32_e32 v3, v18, v3
	v_fma_f32 v18, v18, v2, -v20
	v_fmac_f32_e32 v3, v19, v2
	v_add_f32_e32 v2, 0, v18
	v_add_f32_e32 v3, 0, v3
	s_and_saveexec_b64 s[20:21], s[18:19]
	s_cbranch_execnz .LBB68_1052
; %bb.133:
	s_or_b64 exec, exec, s[20:21]
	v_cmp_gt_u32_e64 s[18:19], 48, v7
	s_and_saveexec_b64 s[20:21], s[18:19]
	s_cbranch_execnz .LBB68_1053
.LBB68_134:
	s_or_b64 exec, exec, s[20:21]
	v_cmp_gt_u32_e64 s[18:19], 40, v7
	s_and_saveexec_b64 s[20:21], s[18:19]
	s_cbranch_execnz .LBB68_1054
.LBB68_135:
	s_or_b64 exec, exec, s[20:21]
	v_cmp_gt_u32_e64 s[18:19], 32, v7
	s_and_saveexec_b64 s[20:21], s[18:19]
	s_cbranch_execnz .LBB68_1055
.LBB68_136:
	s_or_b64 exec, exec, s[20:21]
	v_cmp_gt_u32_e64 s[18:19], 24, v7
	s_and_saveexec_b64 s[20:21], s[18:19]
	s_cbranch_execnz .LBB68_1056
.LBB68_137:
	s_or_b64 exec, exec, s[20:21]
	v_cmp_gt_u32_e64 s[18:19], 16, v7
	s_and_saveexec_b64 s[20:21], s[18:19]
	s_cbranch_execnz .LBB68_1057
.LBB68_138:
	s_or_b64 exec, exec, s[20:21]
	v_cmp_gt_u32_e64 s[18:19], 8, v7
	s_and_saveexec_b64 s[20:21], s[18:19]
	s_cbranch_execz .LBB68_140
.LBB68_139:
	v_lshlrev_b32_e32 v15, 3, v0
	v_mov_b32_e32 v20, 0
	ds_read_b64 v[18:19], v15 offset:3648
	ds_read_b64 v[20:21], v20 offset:56
	s_waitcnt lgkmcnt(0)
	v_mul_f32_e32 v15, v21, v19
	v_mul_f32_e32 v19, v20, v19
	v_fma_f32 v15, v20, v18, -v15
	v_fmac_f32_e32 v19, v21, v18
	v_add_f32_e32 v2, v2, v15
	v_add_f32_e32 v3, v3, v19
.LBB68_140:
	s_or_b64 exec, exec, s[20:21]
	v_xor_b32_e32 v2, 0x80000000, v2
	v_xor_b32_e32 v3, 0x80000000, v3
.LBB68_141:
	s_or_b64 exec, exec, s[6:7]
	v_mov_b32_e32 v15, 0x8000
	v_cmp_eq_u32_e64 s[18:19], 0, v16
	s_xor_b64 s[6:7], s[14:15], -1
	v_lshl_add_u32 v15, v17, 3, v15
	s_and_b64 s[58:59], s[18:19], s[6:7]
	s_and_saveexec_b64 s[14:15], s[58:59]
; %bb.142:
	ds_write_b64 v15, v[2:3]
; %bb.143:
	s_or_b64 exec, exec, s[14:15]
	v_cmp_ne_u32_e64 s[14:15], 0, v16
	s_and_b64 s[60:61], s[14:15], s[6:7]
	s_waitcnt lgkmcnt(0)
	s_barrier
	s_and_saveexec_b64 s[14:15], s[60:61]
	s_cbranch_execz .LBB68_145
; %bb.144:
	ds_read_b64 v[18:19], v14 offset:4160
	ds_read_b64 v[20:21], v15
	s_waitcnt lgkmcnt(0)
	v_mul_f32_e32 v22, v21, v19
	v_mul_f32_e32 v19, v20, v19
	v_fma_f32 v20, v20, v18, -v22
	v_fmac_f32_e32 v19, v21, v18
	v_add_f32_e32 v2, v2, v20
	v_add_f32_e32 v3, v3, v19
.LBB68_145:
	s_or_b64 exec, exec, s[14:15]
	v_cmp_eq_u32_e64 s[14:15], 1, v16
	s_and_b64 s[62:63], s[14:15], s[6:7]
	s_barrier
	s_and_saveexec_b64 s[14:15], s[62:63]
; %bb.146:
	ds_write_b64 v15, v[2:3]
; %bb.147:
	s_or_b64 exec, exec, s[14:15]
	v_cmp_lt_u32_e64 s[14:15], 1, v16
	s_and_b64 s[64:65], s[14:15], s[6:7]
	s_waitcnt lgkmcnt(0)
	s_barrier
	s_and_saveexec_b64 s[14:15], s[64:65]
	s_cbranch_execz .LBB68_149
; %bb.148:
	ds_read_b64 v[18:19], v14 offset:4672
	ds_read_b64 v[20:21], v15
	s_waitcnt lgkmcnt(0)
	v_mul_f32_e32 v22, v21, v19
	v_mul_f32_e32 v19, v20, v19
	v_fma_f32 v20, v20, v18, -v22
	v_fmac_f32_e32 v19, v21, v18
	v_add_f32_e32 v2, v2, v20
	v_add_f32_e32 v3, v3, v19
.LBB68_149:
	s_or_b64 exec, exec, s[14:15]
	v_cmp_eq_u32_e64 s[14:15], 2, v16
	s_and_b64 s[66:67], s[14:15], s[6:7]
	s_barrier
	s_and_saveexec_b64 s[14:15], s[66:67]
; %bb.150:
	ds_write_b64 v15, v[2:3]
; %bb.151:
	s_or_b64 exec, exec, s[14:15]
	v_cmp_lt_u32_e64 s[14:15], 2, v16
	;; [unrolled: 26-line block ×5, first 2 shown]
	s_and_b64 s[80:81], s[14:15], s[6:7]
	s_waitcnt lgkmcnt(0)
	s_barrier
	s_and_saveexec_b64 s[14:15], s[80:81]
	s_cbranch_execz .LBB68_165
; %bb.164:
	ds_read_b64 v[18:19], v14 offset:6720
	ds_read_b64 v[20:21], v15
	s_waitcnt lgkmcnt(0)
	v_mul_f32_e32 v22, v21, v19
	v_mul_f32_e32 v19, v20, v19
	v_fma_f32 v20, v20, v18, -v22
	v_fmac_f32_e32 v19, v21, v18
	v_add_f32_e32 v2, v2, v20
	v_add_f32_e32 v3, v3, v19
.LBB68_165:
	s_or_b64 exec, exec, s[14:15]
	v_cmp_eq_u32_e64 s[14:15], 6, v16
	s_and_b64 s[82:83], s[14:15], s[6:7]
	s_barrier
	s_and_saveexec_b64 s[14:15], s[82:83]
; %bb.166:
	ds_write_b64 v15, v[2:3]
; %bb.167:
	s_or_b64 exec, exec, s[14:15]
	v_cmp_eq_u32_e64 s[14:15], 7, v16
	s_and_b64 s[56:57], s[14:15], s[6:7]
	s_waitcnt lgkmcnt(0)
	s_barrier
	s_and_saveexec_b64 s[6:7], s[56:57]
	s_cbranch_execz .LBB68_169
; %bb.168:
	v_mov_b32_e32 v18, 0
	ds_read_b64 v[18:19], v18 offset:7288
	ds_read_b64 v[20:21], v15
	s_waitcnt lgkmcnt(0)
	v_mul_f32_e32 v22, v21, v19
	v_mul_f32_e32 v19, v20, v19
	v_fma_f32 v20, v20, v18, -v22
	v_fmac_f32_e32 v19, v21, v18
	v_add_f32_e32 v2, v2, v20
	v_add_f32_e32 v3, v3, v19
.LBB68_169:
	s_or_b64 exec, exec, s[6:7]
	s_barrier
	s_and_saveexec_b64 s[6:7], s[56:57]
; %bb.170:
	ds_write_b64 v15, v[2:3]
; %bb.171:
	s_or_b64 exec, exec, s[6:7]
	s_waitcnt lgkmcnt(0)
	s_barrier
	s_barrier
	s_and_saveexec_b64 s[6:7], s[12:13]
; %bb.172:
	v_xor_b32_e32 v3, 0x80000000, v3
	v_xor_b32_e32 v2, 0x80000000, v2
	ds_write_b64 v13, v[2:3] offset:64
; %bb.173:
	s_or_b64 exec, exec, s[6:7]
	v_cmp_gt_u32_e64 s[14:15], 8, v0
	s_and_b64 s[84:85], s[16:17], s[14:15]
	s_waitcnt lgkmcnt(0)
	s_barrier
	s_barrier
	s_and_saveexec_b64 s[6:7], s[84:85]
	s_cbranch_execz .LBB68_175
; %bb.174:
	v_lshlrev_b32_e32 v18, 9, v0
	ds_read_b64 v[2:3], v18 offset:64
	s_movk_i32 s14, 0xfe08
	v_mad_i32_i24 v19, v0, s14, v18
	s_waitcnt lgkmcnt(0)
	ds_write_b64 v19, v[2:3] offset:4096
	ds_read_b64 v[2:3], v18 offset:72
	s_waitcnt lgkmcnt(0)
	ds_write_b64 v19, v[2:3] offset:4608
	ds_read_b64 v[2:3], v18 offset:80
	;; [unrolled: 3-line block ×7, first 2 shown]
	s_waitcnt lgkmcnt(0)
	ds_write_b64 v19, v[2:3] offset:7680
.LBB68_175:
	s_or_b64 exec, exec, s[6:7]
	s_waitcnt lgkmcnt(0)
	s_barrier
	s_and_saveexec_b64 s[6:7], vcc
	s_cbranch_execz .LBB68_177
; %bb.176:
	v_mov_b32_e32 v20, 0
	ds_read_b64 v[2:3], v20 offset:4168
	s_mov_b64 s[14:15], 0x3f800000
	v_mov_b32_e32 v19, s15
	v_mov_b32_e32 v18, s14
	ds_write_b64 v20, v[18:19] offset:4680
	v_add_u32_e64 v20, 64, 0
	s_waitcnt lgkmcnt(1)
	ds_write2st64_b64 v20, v[18:19], v[2:3] offset0:8 offset1:9
.LBB68_177:
	s_or_b64 exec, exec, s[6:7]
	v_mov_b32_e32 v3, 0
	v_mov_b32_e32 v2, 0
	s_waitcnt lgkmcnt(0)
	s_barrier
	s_and_saveexec_b64 s[6:7], s[22:23]
	s_cbranch_execz .LBB68_181
; %bb.178:
	v_mul_u32_u24_e32 v18, 0x208, v6
	ds_read_b64 v[2:3], v4 offset:4176
	ds_read_b64 v[18:19], v18 offset:4160
	v_cmp_gt_u32_e64 s[14:15], 2, v7
	s_waitcnt lgkmcnt(0)
	v_mul_f32_e32 v20, v19, v3
	v_mul_f32_e32 v3, v18, v3
	v_fma_f32 v18, v18, v2, -v20
	v_fmac_f32_e32 v3, v19, v2
	v_add_f32_e32 v2, 0, v18
	v_add_f32_e32 v3, 0, v3
	s_and_saveexec_b64 s[18:19], s[14:15]
	s_cbranch_execz .LBB68_180
; %bb.179:
	v_lshlrev_b32_e32 v18, 3, v0
	v_mov_b32_e32 v20, 0
	ds_read_b64 v[18:19], v18 offset:4688
	ds_read_b64 v[20:21], v20 offset:4168
	s_waitcnt lgkmcnt(0)
	v_mul_f32_e32 v22, v21, v19
	v_mul_f32_e32 v19, v20, v19
	v_fma_f32 v20, v20, v18, -v22
	v_fmac_f32_e32 v19, v21, v18
	v_add_f32_e32 v2, v2, v20
	v_add_f32_e32 v3, v3, v19
.LBB68_180:
	s_or_b64 exec, exec, s[18:19]
	v_xor_b32_e32 v2, 0x80000000, v2
	v_xor_b32_e32 v3, 0x80000000, v3
.LBB68_181:
	s_or_b64 exec, exec, s[6:7]
	s_and_saveexec_b64 s[6:7], s[38:39]
; %bb.182:
	ds_write_b64 v5, v[2:3]
; %bb.183:
	s_or_b64 exec, exec, s[6:7]
	s_waitcnt lgkmcnt(0)
	s_barrier
	s_and_saveexec_b64 s[6:7], s[30:31]
	s_cbranch_execz .LBB68_185
; %bb.184:
	v_mov_b32_e32 v18, 0
	ds_read_b64 v[18:19], v18 offset:5208
	ds_read_b64 v[20:21], v5
	s_waitcnt lgkmcnt(0)
	v_mul_f32_e32 v22, v21, v19
	v_mul_f32_e32 v19, v20, v19
	v_fma_f32 v20, v20, v18, -v22
	v_fmac_f32_e32 v19, v21, v18
	v_add_f32_e32 v2, v2, v20
	v_add_f32_e32 v3, v3, v19
.LBB68_185:
	s_or_b64 exec, exec, s[6:7]
	s_barrier
	s_and_saveexec_b64 s[6:7], s[30:31]
; %bb.186:
	ds_write_b64 v5, v[2:3]
; %bb.187:
	s_or_b64 exec, exec, s[6:7]
	s_waitcnt lgkmcnt(0)
	s_barrier
	s_barrier
	s_and_saveexec_b64 s[6:7], s[22:23]
; %bb.188:
	v_xor_b32_e32 v3, 0x80000000, v3
	v_xor_b32_e32 v2, 0x80000000, v2
	ds_write_b64 v4, v[2:3] offset:4176
; %bb.189:
	s_or_b64 exec, exec, s[6:7]
	s_waitcnt lgkmcnt(0)
	s_barrier
	s_barrier
	s_and_saveexec_b64 s[6:7], s[40:41]
	s_cbranch_execz .LBB68_191
; %bb.190:
	v_lshlrev_b32_e32 v18, 3, v0
	s_movk_i32 s14, 0x1f8
	v_mad_u32_u24 v19, v0, s14, v18
	ds_read_b64 v[2:3], v19 offset:4176
	s_waitcnt lgkmcnt(0)
	ds_write_b64 v18, v[2:3] offset:5184
	ds_read_b64 v[2:3], v19 offset:4184
	s_waitcnt lgkmcnt(0)
	ds_write_b64 v18, v[2:3] offset:5696
.LBB68_191:
	s_or_b64 exec, exec, s[6:7]
	s_waitcnt lgkmcnt(0)
	s_barrier
	s_and_saveexec_b64 s[6:7], vcc
	s_cbranch_execz .LBB68_193
; %bb.192:
	v_mov_b32_e32 v20, 0
	ds_read_b64 v[2:3], v20 offset:5208
	s_mov_b64 s[14:15], 0x3f800000
	v_mov_b32_e32 v19, s15
	v_mov_b32_e32 v18, s14
	s_movk_i32 s14, 0x50
	ds_write_b64 v20, v[18:19] offset:5720
	v_add_u32_e64 v20, s14, 0
	s_waitcnt lgkmcnt(1)
	ds_write2st64_b64 v20, v[18:19], v[2:3] offset0:10 offset1:11
.LBB68_193:
	s_or_b64 exec, exec, s[6:7]
	v_mov_b32_e32 v3, 0
	v_mov_b32_e32 v2, 0
	s_waitcnt lgkmcnt(0)
	s_barrier
	s_and_saveexec_b64 s[6:7], s[10:11]
	s_cbranch_execz .LBB68_199
; %bb.194:
	v_mul_u32_u24_e32 v18, 0x208, v12
	ds_read_b64 v[2:3], v8 offset:4192
	ds_read_b64 v[19:20], v18 offset:4160
	v_cmp_gt_u32_e64 s[14:15], 12, v7
	s_waitcnt lgkmcnt(0)
	v_mul_f32_e32 v21, v20, v3
	v_mul_f32_e32 v3, v19, v3
	v_fma_f32 v19, v19, v2, -v21
	v_fmac_f32_e32 v3, v20, v2
	v_add_f32_e32 v2, 0, v19
	v_add_f32_e32 v3, 0, v3
	s_and_saveexec_b64 s[18:19], s[14:15]
	s_cbranch_execnz .LBB68_1058
; %bb.195:
	s_or_b64 exec, exec, s[18:19]
	v_cmp_gt_u32_e64 s[14:15], 8, v7
	s_and_saveexec_b64 s[18:19], s[14:15]
	s_cbranch_execnz .LBB68_1059
.LBB68_196:
	s_or_b64 exec, exec, s[18:19]
	v_cmp_gt_u32_e64 s[14:15], 4, v7
	s_and_saveexec_b64 s[18:19], s[14:15]
	s_cbranch_execz .LBB68_198
.LBB68_197:
	v_lshlrev_b32_e32 v18, 3, v0
	v_mov_b32_e32 v20, 0
	ds_read_b64 v[18:19], v18 offset:5728
	ds_read_b64 v[20:21], v20 offset:4184
	s_waitcnt lgkmcnt(0)
	v_mul_f32_e32 v22, v21, v19
	v_mul_f32_e32 v19, v20, v19
	v_fma_f32 v20, v20, v18, -v22
	v_fmac_f32_e32 v19, v21, v18
	v_add_f32_e32 v2, v2, v20
	v_add_f32_e32 v3, v3, v19
.LBB68_198:
	s_or_b64 exec, exec, s[18:19]
	v_xor_b32_e32 v2, 0x80000000, v2
	v_xor_b32_e32 v3, 0x80000000, v3
.LBB68_199:
	s_or_b64 exec, exec, s[6:7]
	s_and_saveexec_b64 s[6:7], s[44:45]
; %bb.200:
	ds_write_b64 v10, v[2:3]
; %bb.201:
	s_or_b64 exec, exec, s[6:7]
	s_waitcnt lgkmcnt(0)
	s_barrier
	s_and_saveexec_b64 s[6:7], s[46:47]
	s_cbranch_execz .LBB68_203
; %bb.202:
	ds_read_b64 v[18:19], v9 offset:6240
	ds_read_b64 v[20:21], v10
	s_waitcnt lgkmcnt(0)
	v_mul_f32_e32 v22, v21, v19
	v_mul_f32_e32 v19, v20, v19
	v_fma_f32 v20, v20, v18, -v22
	v_fmac_f32_e32 v19, v21, v18
	v_add_f32_e32 v2, v2, v20
	v_add_f32_e32 v3, v3, v19
.LBB68_203:
	s_or_b64 exec, exec, s[6:7]
	s_barrier
	s_and_saveexec_b64 s[6:7], s[48:49]
; %bb.204:
	ds_write_b64 v10, v[2:3]
; %bb.205:
	s_or_b64 exec, exec, s[6:7]
	s_waitcnt lgkmcnt(0)
	s_barrier
	s_and_saveexec_b64 s[6:7], s[50:51]
	s_cbranch_execz .LBB68_207
; %bb.206:
	ds_read_b64 v[18:19], v9 offset:6752
	ds_read_b64 v[20:21], v10
	s_waitcnt lgkmcnt(0)
	v_mul_f32_e32 v22, v21, v19
	v_mul_f32_e32 v19, v20, v19
	v_fma_f32 v20, v20, v18, -v22
	v_fmac_f32_e32 v19, v21, v18
	v_add_f32_e32 v2, v2, v20
	v_add_f32_e32 v3, v3, v19
.LBB68_207:
	s_or_b64 exec, exec, s[6:7]
	s_barrier
	s_and_saveexec_b64 s[6:7], s[52:53]
; %bb.208:
	ds_write_b64 v10, v[2:3]
; %bb.209:
	s_or_b64 exec, exec, s[6:7]
	s_waitcnt lgkmcnt(0)
	s_barrier
	s_and_saveexec_b64 s[6:7], s[42:43]
	s_cbranch_execz .LBB68_211
; %bb.210:
	v_mov_b32_e32 v18, 0
	ds_read_b64 v[18:19], v18 offset:7288
	ds_read_b64 v[20:21], v10
	s_waitcnt lgkmcnt(0)
	v_mul_f32_e32 v22, v21, v19
	v_mul_f32_e32 v19, v20, v19
	v_fma_f32 v20, v20, v18, -v22
	v_fmac_f32_e32 v19, v21, v18
	v_add_f32_e32 v2, v2, v20
	v_add_f32_e32 v3, v3, v19
.LBB68_211:
	s_or_b64 exec, exec, s[6:7]
	s_barrier
	s_and_saveexec_b64 s[6:7], s[42:43]
; %bb.212:
	ds_write_b64 v10, v[2:3]
; %bb.213:
	s_or_b64 exec, exec, s[6:7]
	s_waitcnt lgkmcnt(0)
	s_barrier
	s_barrier
	s_and_saveexec_b64 s[6:7], s[10:11]
; %bb.214:
	v_xor_b32_e32 v2, 0x80000000, v2
	v_xor_b32_e32 v3, 0x80000000, v3
	ds_write_b64 v8, v[2:3] offset:4192
; %bb.215:
	s_or_b64 exec, exec, s[6:7]
	s_waitcnt lgkmcnt(0)
	s_barrier
	s_barrier
	s_and_saveexec_b64 s[6:7], s[54:55]
	s_cbranch_execz .LBB68_217
; %bb.216:
	v_lshlrev_b32_e32 v18, 9, v0
	ds_read_b64 v[2:3], v18 offset:4192
	s_movk_i32 s14, 0xfe08
	v_mad_i32_i24 v19, v0, s14, v18
	s_waitcnt lgkmcnt(0)
	ds_write_b64 v19, v[2:3] offset:6208
	ds_read_b64 v[2:3], v18 offset:4200
	s_waitcnt lgkmcnt(0)
	ds_write_b64 v19, v[2:3] offset:6720
	ds_read_b64 v[2:3], v18 offset:4208
	;; [unrolled: 3-line block ×3, first 2 shown]
	s_waitcnt lgkmcnt(0)
	ds_write_b64 v19, v[2:3] offset:7744
.LBB68_217:
	s_or_b64 exec, exec, s[6:7]
	s_waitcnt lgkmcnt(0)
	s_barrier
	s_and_saveexec_b64 s[6:7], vcc
	s_cbranch_execz .LBB68_219
; %bb.218:
	v_mov_b32_e32 v20, 0
	ds_read_b64 v[2:3], v20 offset:6248
	s_mov_b64 s[14:15], 0x3f800000
	v_mov_b32_e32 v19, s15
	v_mov_b32_e32 v18, s14
	s_movk_i32 s14, 0x60
	ds_write_b64 v20, v[18:19] offset:6760
	v_add_u32_e64 v20, s14, 0
	s_waitcnt lgkmcnt(1)
	ds_write2st64_b64 v20, v[18:19], v[2:3] offset0:12 offset1:13
.LBB68_219:
	s_or_b64 exec, exec, s[6:7]
	v_mov_b32_e32 v3, 0
	v_mov_b32_e32 v2, 0
	s_waitcnt lgkmcnt(0)
	s_barrier
	s_and_saveexec_b64 s[6:7], s[22:23]
	s_cbranch_execz .LBB68_223
; %bb.220:
	v_mul_u32_u24_e32 v18, 0x208, v6
	ds_read_b64 v[2:3], v4 offset:6256
	ds_read_b64 v[18:19], v18 offset:6240
	v_cmp_gt_u32_e64 s[14:15], 2, v7
	s_waitcnt lgkmcnt(0)
	v_mul_f32_e32 v20, v19, v3
	v_mul_f32_e32 v3, v18, v3
	v_fma_f32 v18, v18, v2, -v20
	v_fmac_f32_e32 v3, v19, v2
	v_add_f32_e32 v2, 0, v18
	v_add_f32_e32 v3, 0, v3
	s_and_saveexec_b64 s[18:19], s[14:15]
	s_cbranch_execz .LBB68_222
; %bb.221:
	v_lshlrev_b32_e32 v18, 3, v0
	v_mov_b32_e32 v20, 0
	ds_read_b64 v[18:19], v18 offset:6768
	ds_read_b64 v[20:21], v20 offset:6248
	s_waitcnt lgkmcnt(0)
	v_mul_f32_e32 v22, v21, v19
	v_mul_f32_e32 v19, v20, v19
	v_fma_f32 v20, v20, v18, -v22
	v_fmac_f32_e32 v19, v21, v18
	v_add_f32_e32 v2, v2, v20
	v_add_f32_e32 v3, v3, v19
.LBB68_222:
	s_or_b64 exec, exec, s[18:19]
	v_xor_b32_e32 v2, 0x80000000, v2
	v_xor_b32_e32 v3, 0x80000000, v3
.LBB68_223:
	s_or_b64 exec, exec, s[6:7]
	s_and_saveexec_b64 s[6:7], s[38:39]
; %bb.224:
	ds_write_b64 v5, v[2:3]
; %bb.225:
	s_or_b64 exec, exec, s[6:7]
	s_waitcnt lgkmcnt(0)
	s_barrier
	s_and_saveexec_b64 s[6:7], s[30:31]
	s_cbranch_execz .LBB68_227
; %bb.226:
	v_mov_b32_e32 v18, 0
	ds_read_b64 v[18:19], v18 offset:7288
	ds_read_b64 v[20:21], v5
	s_waitcnt lgkmcnt(0)
	v_mul_f32_e32 v22, v21, v19
	v_mul_f32_e32 v19, v20, v19
	v_fma_f32 v20, v20, v18, -v22
	v_fmac_f32_e32 v19, v21, v18
	v_add_f32_e32 v2, v2, v20
	v_add_f32_e32 v3, v3, v19
.LBB68_227:
	s_or_b64 exec, exec, s[6:7]
	s_barrier
	s_and_saveexec_b64 s[6:7], s[30:31]
; %bb.228:
	ds_write_b64 v5, v[2:3]
; %bb.229:
	s_or_b64 exec, exec, s[6:7]
	s_waitcnt lgkmcnt(0)
	s_barrier
	s_barrier
	s_and_saveexec_b64 s[6:7], s[22:23]
; %bb.230:
	v_xor_b32_e32 v3, 0x80000000, v3
	v_xor_b32_e32 v2, 0x80000000, v2
	ds_write_b64 v4, v[2:3] offset:6256
; %bb.231:
	s_or_b64 exec, exec, s[6:7]
	s_waitcnt lgkmcnt(0)
	s_barrier
	s_barrier
	s_and_saveexec_b64 s[6:7], s[40:41]
	s_cbranch_execz .LBB68_233
; %bb.232:
	v_lshlrev_b32_e32 v18, 3, v0
	s_movk_i32 s14, 0x1f8
	v_mad_u32_u24 v19, v0, s14, v18
	ds_read_b64 v[2:3], v19 offset:6256
	s_waitcnt lgkmcnt(0)
	ds_write_b64 v18, v[2:3] offset:7264
	ds_read_b64 v[2:3], v19 offset:6264
	s_waitcnt lgkmcnt(0)
	ds_write_b64 v18, v[2:3] offset:7776
.LBB68_233:
	s_or_b64 exec, exec, s[6:7]
	s_waitcnt lgkmcnt(0)
	s_barrier
	s_and_saveexec_b64 s[6:7], vcc
	s_cbranch_execz .LBB68_235
; %bb.234:
	v_mov_b32_e32 v20, 0
	ds_read_b64 v[2:3], v20 offset:7288
	s_mov_b64 s[14:15], 0x3f800000
	v_mov_b32_e32 v19, s15
	v_mov_b32_e32 v18, s14
	s_movk_i32 s14, 0x70
	ds_write_b64 v20, v[18:19] offset:7800
	v_add_u32_e64 v20, s14, 0
	s_waitcnt lgkmcnt(1)
	ds_write2st64_b64 v20, v[18:19], v[2:3] offset0:14 offset1:15
.LBB68_235:
	s_or_b64 exec, exec, s[6:7]
	v_lshrrev_b32_e32 v22, 4, v7
	v_and_b32_e32 v19, 15, v0
	s_movk_i32 s6, 0xff
	v_lshlrev_b32_e32 v21, 6, v22
	v_cmp_lt_u32_e64 s[18:19], s6, v7
	s_movk_i32 s6, 0x100
	v_or_b32_e32 v2, v21, v19
	v_cmp_gt_u32_e64 s[14:15], s6, v7
	v_lshlrev_b32_e32 v18, 3, v2
	v_mov_b32_e32 v3, 0
	v_mov_b32_e32 v2, 0
	s_waitcnt lgkmcnt(0)
	s_barrier
	s_and_saveexec_b64 s[6:7], s[14:15]
	s_cbranch_execz .LBB68_263
; %bb.236:
	v_mul_u32_u24_e32 v20, 0x208, v22
	ds_read_b64 v[2:3], v18 offset:128
	ds_read_b64 v[23:24], v20
	s_movk_i32 s20, 0xf0
	v_cmp_gt_u32_e64 s[20:21], s20, v7
	s_waitcnt lgkmcnt(0)
	v_mul_f32_e32 v25, v24, v3
	v_mul_f32_e32 v3, v23, v3
	v_fma_f32 v23, v23, v2, -v25
	v_fmac_f32_e32 v3, v24, v2
	v_add_f32_e32 v2, 0, v23
	v_add_f32_e32 v3, 0, v3
	s_and_saveexec_b64 s[24:25], s[20:21]
	s_cbranch_execz .LBB68_238
; %bb.237:
	v_lshlrev_b32_e32 v23, 3, v22
	v_sub_u32_e32 v23, v20, v23
	v_lshl_add_u32 v23, v19, 3, v23
	ds_read_b64 v[23:24], v23 offset:640
	ds_read_b64 v[25:26], v20 offset:8
	s_waitcnt lgkmcnt(0)
	v_mul_f32_e32 v27, v26, v24
	v_mul_f32_e32 v24, v25, v24
	v_fma_f32 v25, v25, v23, -v27
	v_fmac_f32_e32 v24, v26, v23
	v_add_f32_e32 v2, v2, v25
	v_add_f32_e32 v3, v3, v24
.LBB68_238:
	s_or_b64 exec, exec, s[24:25]
	s_movk_i32 s20, 0xe0
	v_cmp_gt_u32_e64 s[20:21], s20, v7
	s_and_saveexec_b64 s[24:25], s[20:21]
	s_cbranch_execz .LBB68_240
; %bb.239:
	v_lshlrev_b32_e32 v23, 3, v22
	v_sub_u32_e32 v23, v20, v23
	v_lshl_add_u32 v23, v19, 3, v23
	ds_read_b64 v[23:24], v23 offset:1152
	ds_read_b64 v[25:26], v20 offset:16
	s_waitcnt lgkmcnt(0)
	v_mul_f32_e32 v27, v26, v24
	v_mul_f32_e32 v24, v25, v24
	v_fma_f32 v25, v25, v23, -v27
	v_fmac_f32_e32 v24, v26, v23
	v_add_f32_e32 v2, v2, v25
	v_add_f32_e32 v3, v3, v24
.LBB68_240:
	s_or_b64 exec, exec, s[24:25]
	s_movk_i32 s20, 0xd0
	v_cmp_gt_u32_e64 s[20:21], s20, v7
	;; [unrolled: 19-line block ×7, first 2 shown]
	s_and_saveexec_b64 s[24:25], s[20:21]
	s_cbranch_execz .LBB68_252
; %bb.251:
	ds_read_b64 v[23:24], v18 offset:4224
	ds_read_b64 v[25:26], v20 offset:64
	s_waitcnt lgkmcnt(0)
	v_mul_f32_e32 v27, v26, v24
	v_mul_f32_e32 v24, v25, v24
	v_fma_f32 v25, v25, v23, -v27
	v_fmac_f32_e32 v24, v26, v23
	v_add_f32_e32 v2, v2, v25
	v_add_f32_e32 v3, v3, v24
.LBB68_252:
	s_or_b64 exec, exec, s[24:25]
	s_movk_i32 s20, 0x70
	v_cmp_gt_u32_e64 s[20:21], s20, v7
	s_and_saveexec_b64 s[24:25], s[20:21]
	s_cbranch_execz .LBB68_254
; %bb.253:
	v_lshlrev_b32_e32 v23, 3, v19
	v_lshl_add_u32 v23, v21, 3, v23
	ds_read_b64 v[23:24], v23 offset:4736
	ds_read_b64 v[25:26], v20 offset:72
	s_waitcnt lgkmcnt(0)
	v_mul_f32_e32 v27, v26, v24
	v_mul_f32_e32 v24, v25, v24
	v_fma_f32 v25, v25, v23, -v27
	v_fmac_f32_e32 v24, v26, v23
	v_add_f32_e32 v2, v2, v25
	v_add_f32_e32 v3, v3, v24
.LBB68_254:
	s_or_b64 exec, exec, s[24:25]
	s_movk_i32 s20, 0x60
	v_cmp_gt_u32_e64 s[20:21], s20, v7
	s_and_saveexec_b64 s[24:25], s[20:21]
	s_cbranch_execz .LBB68_256
; %bb.255:
	v_lshlrev_b32_e32 v23, 3, v19
	v_lshl_add_u32 v23, v21, 3, v23
	ds_read_b64 v[23:24], v23 offset:5248
	ds_read_b64 v[25:26], v20 offset:80
	s_waitcnt lgkmcnt(0)
	v_mul_f32_e32 v27, v26, v24
	v_mul_f32_e32 v24, v25, v24
	v_fma_f32 v25, v25, v23, -v27
	v_fmac_f32_e32 v24, v26, v23
	v_add_f32_e32 v2, v2, v25
	v_add_f32_e32 v3, v3, v24
.LBB68_256:
	s_or_b64 exec, exec, s[24:25]
	s_movk_i32 s20, 0x50
	v_cmp_gt_u32_e64 s[20:21], s20, v7
	s_and_saveexec_b64 s[24:25], s[20:21]
	s_cbranch_execnz .LBB68_1060
; %bb.257:
	s_or_b64 exec, exec, s[24:25]
	v_cmp_gt_u32_e64 s[20:21], 64, v7
	s_and_saveexec_b64 s[24:25], s[20:21]
	s_cbranch_execnz .LBB68_1061
.LBB68_258:
	s_or_b64 exec, exec, s[24:25]
	v_cmp_gt_u32_e64 s[20:21], 48, v7
	s_and_saveexec_b64 s[24:25], s[20:21]
	s_cbranch_execnz .LBB68_1062
.LBB68_259:
	s_or_b64 exec, exec, s[24:25]
	v_cmp_gt_u32_e64 s[20:21], 32, v7
	s_and_saveexec_b64 s[24:25], s[20:21]
	s_cbranch_execnz .LBB68_1063
.LBB68_260:
	s_or_b64 exec, exec, s[24:25]
	v_cmp_gt_u32_e64 s[20:21], 16, v7
	s_and_saveexec_b64 s[24:25], s[20:21]
	s_cbranch_execz .LBB68_262
.LBB68_261:
	v_lshlrev_b32_e32 v20, 3, v0
	v_mov_b32_e32 v25, 0
	ds_read_b64 v[23:24], v20 offset:7808
	ds_read_b64 v[25:26], v25 offset:120
	s_waitcnt lgkmcnt(0)
	v_mul_f32_e32 v20, v26, v24
	v_mul_f32_e32 v24, v25, v24
	v_fma_f32 v20, v25, v23, -v20
	v_fmac_f32_e32 v24, v26, v23
	v_add_f32_e32 v2, v2, v20
	v_add_f32_e32 v3, v3, v24
.LBB68_262:
	s_or_b64 exec, exec, s[24:25]
	v_xor_b32_e32 v2, 0x80000000, v2
	v_xor_b32_e32 v3, 0x80000000, v3
.LBB68_263:
	s_or_b64 exec, exec, s[6:7]
	v_mov_b32_e32 v20, 0x8000
	v_lshl_add_u32 v20, v22, 3, v20
	v_cmp_eq_u32_e64 s[20:21], 0, v19
	s_xor_b64 s[24:25], s[18:19], -1
	s_and_b64 s[18:19], s[20:21], s[24:25]
	s_mov_b64 s[6:7], exec
	v_writelane_b32 v34, s18, 2
	v_writelane_b32 v34, s19, 3
	s_and_b64 s[18:19], s[6:7], s[18:19]
	s_mov_b64 exec, s[18:19]
; %bb.264:
	ds_write_b64 v20, v[2:3]
; %bb.265:
	s_or_b64 exec, exec, s[6:7]
	v_cmp_ne_u32_e64 s[18:19], 0, v19
	s_waitcnt lgkmcnt(0)
	s_barrier
	s_and_b64 s[18:19], s[18:19], s[24:25]
	s_mov_b64 s[6:7], exec
	v_writelane_b32 v34, s18, 4
	v_writelane_b32 v34, s19, 5
	s_and_b64 s[18:19], s[6:7], s[18:19]
	s_mov_b64 exec, s[18:19]
	s_cbranch_execz .LBB68_267
; %bb.266:
	v_lshlrev_b32_e32 v23, 3, v19
	ds_read_b64 v[23:24], v23 offset:8320
	ds_read_b64 v[25:26], v20
	s_waitcnt lgkmcnt(0)
	v_mul_f32_e32 v27, v26, v24
	v_mul_f32_e32 v24, v25, v24
	v_fma_f32 v25, v25, v23, -v27
	v_fmac_f32_e32 v24, v26, v23
	v_add_f32_e32 v2, v2, v25
	v_add_f32_e32 v3, v3, v24
.LBB68_267:
	s_or_b64 exec, exec, s[6:7]
	v_cmp_eq_u32_e64 s[18:19], 1, v19
	s_barrier
	s_and_b64 s[18:19], s[18:19], s[24:25]
	s_mov_b64 s[6:7], exec
	v_writelane_b32 v34, s18, 6
	v_writelane_b32 v34, s19, 7
	s_and_b64 s[18:19], s[6:7], s[18:19]
	s_mov_b64 exec, s[18:19]
; %bb.268:
	ds_write_b64 v20, v[2:3]
; %bb.269:
	s_or_b64 exec, exec, s[6:7]
	v_cmp_lt_u32_e64 s[18:19], 1, v19
	s_waitcnt lgkmcnt(0)
	s_barrier
	s_and_b64 s[18:19], s[18:19], s[24:25]
	s_mov_b64 s[6:7], exec
	v_writelane_b32 v34, s18, 8
	v_writelane_b32 v34, s19, 9
	s_and_b64 s[18:19], s[6:7], s[18:19]
	s_mov_b64 exec, s[18:19]
	s_cbranch_execz .LBB68_271
; %bb.270:
	v_lshlrev_b32_e32 v23, 3, v19
	ds_read_b64 v[23:24], v23 offset:8832
	ds_read_b64 v[25:26], v20
	s_waitcnt lgkmcnt(0)
	v_mul_f32_e32 v27, v26, v24
	v_mul_f32_e32 v24, v25, v24
	v_fma_f32 v25, v25, v23, -v27
	v_fmac_f32_e32 v24, v26, v23
	v_add_f32_e32 v2, v2, v25
	v_add_f32_e32 v3, v3, v24
.LBB68_271:
	s_or_b64 exec, exec, s[6:7]
	v_cmp_eq_u32_e64 s[18:19], 2, v19
	s_barrier
	s_and_b64 s[18:19], s[18:19], s[24:25]
	s_mov_b64 s[6:7], exec
	v_writelane_b32 v34, s18, 10
	v_writelane_b32 v34, s19, 11
	s_and_b64 s[18:19], s[6:7], s[18:19]
	s_mov_b64 exec, s[18:19]
; %bb.272:
	ds_write_b64 v20, v[2:3]
; %bb.273:
	s_or_b64 exec, exec, s[6:7]
	v_cmp_lt_u32_e64 s[18:19], 2, v19
	;; [unrolled: 35-line block ×13, first 2 shown]
	s_and_b64 s[6:7], s[18:19], s[24:25]
	s_waitcnt lgkmcnt(0)
	s_barrier
	s_and_saveexec_b64 s[18:19], s[6:7]
	s_cbranch_execz .LBB68_319
; %bb.318:
	v_lshlrev_b32_e32 v23, 3, v19
	ds_read_b64 v[23:24], v23 offset:14976
	ds_read_b64 v[25:26], v20
	s_waitcnt lgkmcnt(0)
	v_mul_f32_e32 v27, v26, v24
	v_mul_f32_e32 v24, v25, v24
	v_fma_f32 v25, v25, v23, -v27
	v_fmac_f32_e32 v24, v26, v23
	v_add_f32_e32 v2, v2, v25
	v_add_f32_e32 v3, v3, v24
.LBB68_319:
	s_or_b64 exec, exec, s[18:19]
	v_cmp_eq_u32_e64 s[18:19], 14, v19
	s_and_b64 s[96:97], s[18:19], s[24:25]
	s_barrier
	s_and_saveexec_b64 s[18:19], s[96:97]
; %bb.320:
	ds_write_b64 v20, v[2:3]
; %bb.321:
	s_or_b64 exec, exec, s[18:19]
	v_cmp_eq_u32_e64 s[18:19], 15, v19
	s_and_b64 s[94:95], s[18:19], s[24:25]
	s_waitcnt lgkmcnt(0)
	s_barrier
	s_and_saveexec_b64 s[18:19], s[94:95]
	s_cbranch_execz .LBB68_323
; %bb.322:
	v_mov_b32_e32 v23, 0
	ds_read_b64 v[23:24], v23 offset:15608
	ds_read_b64 v[25:26], v20
	s_waitcnt lgkmcnt(0)
	v_mul_f32_e32 v27, v26, v24
	v_mul_f32_e32 v24, v25, v24
	v_fma_f32 v25, v25, v23, -v27
	v_fmac_f32_e32 v24, v26, v23
	v_add_f32_e32 v2, v2, v25
	v_add_f32_e32 v3, v3, v24
.LBB68_323:
	s_or_b64 exec, exec, s[18:19]
	s_barrier
	s_and_saveexec_b64 s[18:19], s[94:95]
; %bb.324:
	ds_write_b64 v20, v[2:3]
; %bb.325:
	s_or_b64 exec, exec, s[18:19]
	s_waitcnt lgkmcnt(0)
	s_barrier
	s_barrier
	s_and_saveexec_b64 s[18:19], s[14:15]
; %bb.326:
	v_xor_b32_e32 v2, 0x80000000, v2
	v_xor_b32_e32 v3, 0x80000000, v3
	ds_write_b64 v18, v[2:3] offset:128
; %bb.327:
	s_or_b64 exec, exec, s[18:19]
	v_cmp_gt_u32_e64 s[18:19], 16, v0
	s_and_b64 s[86:87], s[16:17], s[18:19]
	s_waitcnt lgkmcnt(0)
	s_barrier
	s_barrier
	s_and_saveexec_b64 s[18:19], s[86:87]
	s_cbranch_execz .LBB68_329
; %bb.328:
	v_lshlrev_b32_e32 v23, 9, v0
	ds_read_b64 v[2:3], v23 offset:128
	s_movk_i32 s20, 0xfe08
	v_mad_i32_i24 v24, v0, s20, v23
	s_waitcnt lgkmcnt(0)
	ds_write_b64 v24, v[2:3] offset:8192
	ds_read_b64 v[2:3], v23 offset:136
	s_waitcnt lgkmcnt(0)
	ds_write_b64 v24, v[2:3] offset:8704
	ds_read_b64 v[2:3], v23 offset:144
	;; [unrolled: 3-line block ×15, first 2 shown]
	s_waitcnt lgkmcnt(0)
	ds_write_b64 v24, v[2:3] offset:15872
.LBB68_329:
	s_or_b64 exec, exec, s[18:19]
	s_waitcnt lgkmcnt(0)
	s_barrier
	s_and_saveexec_b64 s[18:19], vcc
	s_cbranch_execz .LBB68_331
; %bb.330:
	v_mov_b32_e32 v25, 0
	ds_read_b64 v[2:3], v25 offset:8328
	s_mov_b64 s[20:21], 0x3f800000
	v_mov_b32_e32 v24, s21
	v_mov_b32_e32 v23, s20
	s_movk_i32 s20, 0x80
	ds_write_b64 v25, v[23:24] offset:8840
	v_add_u32_e64 v25, s20, 0
	s_waitcnt lgkmcnt(1)
	ds_write2st64_b64 v25, v[23:24], v[2:3] offset0:16 offset1:17
.LBB68_331:
	s_or_b64 exec, exec, s[18:19]
	v_mov_b32_e32 v3, 0
	v_mov_b32_e32 v2, 0
	s_waitcnt lgkmcnt(0)
	s_barrier
	s_and_saveexec_b64 s[20:21], s[22:23]
	s_cbranch_execz .LBB68_335
; %bb.332:
	v_mul_u32_u24_e32 v23, 0x208, v6
	ds_read_b64 v[2:3], v4 offset:8336
	ds_read_b64 v[23:24], v23 offset:8320
	v_cmp_gt_u32_e64 s[18:19], 2, v7
	s_waitcnt lgkmcnt(0)
	v_mul_f32_e32 v25, v24, v3
	v_mul_f32_e32 v3, v23, v3
	v_fma_f32 v23, v23, v2, -v25
	v_fmac_f32_e32 v3, v24, v2
	v_add_f32_e32 v2, 0, v23
	v_add_f32_e32 v3, 0, v3
	s_and_saveexec_b64 s[24:25], s[18:19]
	s_cbranch_execz .LBB68_334
; %bb.333:
	v_lshlrev_b32_e32 v23, 3, v0
	v_mov_b32_e32 v25, 0
	ds_read_b64 v[23:24], v23 offset:8848
	ds_read_b64 v[25:26], v25 offset:8328
	s_waitcnt lgkmcnt(0)
	v_mul_f32_e32 v27, v26, v24
	v_mul_f32_e32 v24, v25, v24
	v_fma_f32 v25, v25, v23, -v27
	v_fmac_f32_e32 v24, v26, v23
	v_add_f32_e32 v2, v2, v25
	v_add_f32_e32 v3, v3, v24
.LBB68_334:
	s_or_b64 exec, exec, s[24:25]
	v_xor_b32_e32 v2, 0x80000000, v2
	v_xor_b32_e32 v3, 0x80000000, v3
.LBB68_335:
	s_or_b64 exec, exec, s[20:21]
	s_and_saveexec_b64 s[18:19], s[38:39]
; %bb.336:
	ds_write_b64 v5, v[2:3]
; %bb.337:
	s_or_b64 exec, exec, s[18:19]
	s_waitcnt lgkmcnt(0)
	s_barrier
	s_and_saveexec_b64 s[18:19], s[30:31]
	s_cbranch_execz .LBB68_339
; %bb.338:
	v_mov_b32_e32 v23, 0
	ds_read_b64 v[23:24], v23 offset:9368
	ds_read_b64 v[25:26], v5
	s_waitcnt lgkmcnt(0)
	v_mul_f32_e32 v27, v26, v24
	v_mul_f32_e32 v24, v25, v24
	v_fma_f32 v25, v25, v23, -v27
	v_fmac_f32_e32 v24, v26, v23
	v_add_f32_e32 v2, v2, v25
	v_add_f32_e32 v3, v3, v24
.LBB68_339:
	s_or_b64 exec, exec, s[18:19]
	s_barrier
	s_and_saveexec_b64 s[18:19], s[30:31]
; %bb.340:
	ds_write_b64 v5, v[2:3]
; %bb.341:
	s_or_b64 exec, exec, s[18:19]
	s_waitcnt lgkmcnt(0)
	s_barrier
	s_barrier
	s_and_saveexec_b64 s[18:19], s[22:23]
; %bb.342:
	v_xor_b32_e32 v3, 0x80000000, v3
	v_xor_b32_e32 v2, 0x80000000, v2
	ds_write_b64 v4, v[2:3] offset:8336
; %bb.343:
	s_or_b64 exec, exec, s[18:19]
	s_waitcnt lgkmcnt(0)
	s_barrier
	s_barrier
	s_and_saveexec_b64 s[18:19], s[40:41]
	s_cbranch_execz .LBB68_345
; %bb.344:
	v_lshlrev_b32_e32 v23, 3, v0
	s_movk_i32 s20, 0x1f8
	v_mad_u32_u24 v24, v0, s20, v23
	ds_read_b64 v[2:3], v24 offset:8336
	s_waitcnt lgkmcnt(0)
	ds_write_b64 v23, v[2:3] offset:9344
	ds_read_b64 v[2:3], v24 offset:8344
	s_waitcnt lgkmcnt(0)
	ds_write_b64 v23, v[2:3] offset:9856
.LBB68_345:
	s_or_b64 exec, exec, s[18:19]
	s_waitcnt lgkmcnt(0)
	s_barrier
	s_and_saveexec_b64 s[18:19], vcc
	s_cbranch_execz .LBB68_347
; %bb.346:
	v_mov_b32_e32 v25, 0
	ds_read_b64 v[2:3], v25 offset:9368
	s_mov_b64 s[20:21], 0x3f800000
	v_mov_b32_e32 v24, s21
	v_mov_b32_e32 v23, s20
	s_movk_i32 s20, 0x90
	ds_write_b64 v25, v[23:24] offset:9880
	v_add_u32_e64 v25, s20, 0
	s_waitcnt lgkmcnt(1)
	ds_write2st64_b64 v25, v[23:24], v[2:3] offset0:18 offset1:19
.LBB68_347:
	s_or_b64 exec, exec, s[18:19]
	v_mov_b32_e32 v3, 0
	v_mov_b32_e32 v2, 0
	s_waitcnt lgkmcnt(0)
	s_barrier
	s_and_saveexec_b64 s[20:21], s[10:11]
	s_cbranch_execz .LBB68_353
; %bb.348:
	v_mul_u32_u24_e32 v23, 0x208, v12
	ds_read_b64 v[2:3], v8 offset:8352
	ds_read_b64 v[24:25], v23 offset:8320
	v_cmp_gt_u32_e64 s[18:19], 12, v7
	s_waitcnt lgkmcnt(0)
	v_mul_f32_e32 v26, v25, v3
	v_mul_f32_e32 v3, v24, v3
	v_fma_f32 v24, v24, v2, -v26
	v_fmac_f32_e32 v3, v25, v2
	v_add_f32_e32 v2, 0, v24
	v_add_f32_e32 v3, 0, v3
	s_and_saveexec_b64 s[24:25], s[18:19]
	s_cbranch_execnz .LBB68_1064
; %bb.349:
	s_or_b64 exec, exec, s[24:25]
	v_cmp_gt_u32_e64 s[18:19], 8, v7
	s_and_saveexec_b64 s[24:25], s[18:19]
	s_cbranch_execnz .LBB68_1065
.LBB68_350:
	s_or_b64 exec, exec, s[24:25]
	v_cmp_gt_u32_e64 s[18:19], 4, v7
	s_and_saveexec_b64 s[24:25], s[18:19]
	s_cbranch_execz .LBB68_352
.LBB68_351:
	v_lshlrev_b32_e32 v23, 3, v0
	v_mov_b32_e32 v25, 0
	ds_read_b64 v[23:24], v23 offset:9888
	ds_read_b64 v[25:26], v25 offset:8344
	s_waitcnt lgkmcnt(0)
	v_mul_f32_e32 v27, v26, v24
	v_mul_f32_e32 v24, v25, v24
	v_fma_f32 v25, v25, v23, -v27
	v_fmac_f32_e32 v24, v26, v23
	v_add_f32_e32 v2, v2, v25
	v_add_f32_e32 v3, v3, v24
.LBB68_352:
	s_or_b64 exec, exec, s[24:25]
	v_xor_b32_e32 v2, 0x80000000, v2
	v_xor_b32_e32 v3, 0x80000000, v3
.LBB68_353:
	s_or_b64 exec, exec, s[20:21]
	s_and_saveexec_b64 s[18:19], s[44:45]
; %bb.354:
	ds_write_b64 v10, v[2:3]
; %bb.355:
	s_or_b64 exec, exec, s[18:19]
	s_waitcnt lgkmcnt(0)
	s_barrier
	s_and_saveexec_b64 s[18:19], s[46:47]
	s_cbranch_execz .LBB68_357
; %bb.356:
	ds_read_b64 v[23:24], v9 offset:10400
	ds_read_b64 v[25:26], v10
	s_waitcnt lgkmcnt(0)
	v_mul_f32_e32 v27, v26, v24
	v_mul_f32_e32 v24, v25, v24
	v_fma_f32 v25, v25, v23, -v27
	v_fmac_f32_e32 v24, v26, v23
	v_add_f32_e32 v2, v2, v25
	v_add_f32_e32 v3, v3, v24
.LBB68_357:
	s_or_b64 exec, exec, s[18:19]
	s_barrier
	s_and_saveexec_b64 s[18:19], s[48:49]
; %bb.358:
	ds_write_b64 v10, v[2:3]
; %bb.359:
	s_or_b64 exec, exec, s[18:19]
	s_waitcnt lgkmcnt(0)
	s_barrier
	s_and_saveexec_b64 s[18:19], s[50:51]
	s_cbranch_execz .LBB68_361
; %bb.360:
	ds_read_b64 v[23:24], v9 offset:10912
	ds_read_b64 v[25:26], v10
	s_waitcnt lgkmcnt(0)
	v_mul_f32_e32 v27, v26, v24
	v_mul_f32_e32 v24, v25, v24
	v_fma_f32 v25, v25, v23, -v27
	v_fmac_f32_e32 v24, v26, v23
	v_add_f32_e32 v2, v2, v25
	v_add_f32_e32 v3, v3, v24
.LBB68_361:
	s_or_b64 exec, exec, s[18:19]
	s_barrier
	s_and_saveexec_b64 s[18:19], s[52:53]
; %bb.362:
	ds_write_b64 v10, v[2:3]
; %bb.363:
	s_or_b64 exec, exec, s[18:19]
	s_waitcnt lgkmcnt(0)
	s_barrier
	s_and_saveexec_b64 s[18:19], s[42:43]
	s_cbranch_execz .LBB68_365
; %bb.364:
	v_mov_b32_e32 v23, 0
	ds_read_b64 v[23:24], v23 offset:11448
	ds_read_b64 v[25:26], v10
	s_waitcnt lgkmcnt(0)
	v_mul_f32_e32 v27, v26, v24
	v_mul_f32_e32 v24, v25, v24
	v_fma_f32 v25, v25, v23, -v27
	v_fmac_f32_e32 v24, v26, v23
	v_add_f32_e32 v2, v2, v25
	v_add_f32_e32 v3, v3, v24
.LBB68_365:
	s_or_b64 exec, exec, s[18:19]
	s_barrier
	s_and_saveexec_b64 s[18:19], s[42:43]
; %bb.366:
	ds_write_b64 v10, v[2:3]
; %bb.367:
	s_or_b64 exec, exec, s[18:19]
	s_waitcnt lgkmcnt(0)
	s_barrier
	s_barrier
	s_and_saveexec_b64 s[18:19], s[10:11]
; %bb.368:
	v_xor_b32_e32 v2, 0x80000000, v2
	v_xor_b32_e32 v3, 0x80000000, v3
	ds_write_b64 v8, v[2:3] offset:8352
; %bb.369:
	s_or_b64 exec, exec, s[18:19]
	s_waitcnt lgkmcnt(0)
	s_barrier
	s_barrier
	s_and_saveexec_b64 s[18:19], s[54:55]
	s_cbranch_execz .LBB68_371
; %bb.370:
	v_lshlrev_b32_e32 v23, 9, v0
	ds_read_b64 v[2:3], v23 offset:8352
	s_movk_i32 s20, 0xfe08
	v_mad_i32_i24 v24, v0, s20, v23
	s_waitcnt lgkmcnt(0)
	ds_write_b64 v24, v[2:3] offset:10368
	ds_read_b64 v[2:3], v23 offset:8360
	s_waitcnt lgkmcnt(0)
	ds_write_b64 v24, v[2:3] offset:10880
	ds_read_b64 v[2:3], v23 offset:8368
	;; [unrolled: 3-line block ×3, first 2 shown]
	s_waitcnt lgkmcnt(0)
	ds_write_b64 v24, v[2:3] offset:11904
.LBB68_371:
	s_or_b64 exec, exec, s[18:19]
	s_waitcnt lgkmcnt(0)
	s_barrier
	s_and_saveexec_b64 s[18:19], vcc
	s_cbranch_execz .LBB68_373
; %bb.372:
	v_mov_b32_e32 v25, 0
	ds_read_b64 v[2:3], v25 offset:10408
	s_mov_b64 s[20:21], 0x3f800000
	v_mov_b32_e32 v24, s21
	v_mov_b32_e32 v23, s20
	s_movk_i32 s20, 0xa0
	ds_write_b64 v25, v[23:24] offset:10920
	v_add_u32_e64 v25, s20, 0
	s_waitcnt lgkmcnt(1)
	ds_write2st64_b64 v25, v[23:24], v[2:3] offset0:20 offset1:21
.LBB68_373:
	s_or_b64 exec, exec, s[18:19]
	v_mov_b32_e32 v3, 0
	v_mov_b32_e32 v2, 0
	s_waitcnt lgkmcnt(0)
	s_barrier
	s_and_saveexec_b64 s[20:21], s[22:23]
	s_cbranch_execz .LBB68_377
; %bb.374:
	v_mul_u32_u24_e32 v23, 0x208, v6
	ds_read_b64 v[2:3], v4 offset:10416
	ds_read_b64 v[23:24], v23 offset:10400
	v_cmp_gt_u32_e64 s[18:19], 2, v7
	s_waitcnt lgkmcnt(0)
	v_mul_f32_e32 v25, v24, v3
	v_mul_f32_e32 v3, v23, v3
	v_fma_f32 v23, v23, v2, -v25
	v_fmac_f32_e32 v3, v24, v2
	v_add_f32_e32 v2, 0, v23
	v_add_f32_e32 v3, 0, v3
	s_and_saveexec_b64 s[24:25], s[18:19]
	s_cbranch_execz .LBB68_376
; %bb.375:
	v_lshlrev_b32_e32 v23, 3, v0
	v_mov_b32_e32 v25, 0
	ds_read_b64 v[23:24], v23 offset:10928
	ds_read_b64 v[25:26], v25 offset:10408
	s_waitcnt lgkmcnt(0)
	v_mul_f32_e32 v27, v26, v24
	v_mul_f32_e32 v24, v25, v24
	v_fma_f32 v25, v25, v23, -v27
	v_fmac_f32_e32 v24, v26, v23
	v_add_f32_e32 v2, v2, v25
	v_add_f32_e32 v3, v3, v24
.LBB68_376:
	s_or_b64 exec, exec, s[24:25]
	v_xor_b32_e32 v2, 0x80000000, v2
	v_xor_b32_e32 v3, 0x80000000, v3
.LBB68_377:
	s_or_b64 exec, exec, s[20:21]
	s_and_saveexec_b64 s[18:19], s[38:39]
; %bb.378:
	ds_write_b64 v5, v[2:3]
; %bb.379:
	s_or_b64 exec, exec, s[18:19]
	s_waitcnt lgkmcnt(0)
	s_barrier
	s_and_saveexec_b64 s[18:19], s[30:31]
	s_cbranch_execz .LBB68_381
; %bb.380:
	v_mov_b32_e32 v23, 0
	ds_read_b64 v[23:24], v23 offset:11448
	ds_read_b64 v[25:26], v5
	s_waitcnt lgkmcnt(0)
	v_mul_f32_e32 v27, v26, v24
	v_mul_f32_e32 v24, v25, v24
	v_fma_f32 v25, v25, v23, -v27
	v_fmac_f32_e32 v24, v26, v23
	v_add_f32_e32 v2, v2, v25
	v_add_f32_e32 v3, v3, v24
.LBB68_381:
	s_or_b64 exec, exec, s[18:19]
	s_barrier
	s_and_saveexec_b64 s[18:19], s[30:31]
; %bb.382:
	ds_write_b64 v5, v[2:3]
; %bb.383:
	s_or_b64 exec, exec, s[18:19]
	s_waitcnt lgkmcnt(0)
	s_barrier
	s_barrier
	s_and_saveexec_b64 s[18:19], s[22:23]
; %bb.384:
	v_xor_b32_e32 v3, 0x80000000, v3
	v_xor_b32_e32 v2, 0x80000000, v2
	ds_write_b64 v4, v[2:3] offset:10416
; %bb.385:
	s_or_b64 exec, exec, s[18:19]
	s_waitcnt lgkmcnt(0)
	s_barrier
	s_barrier
	s_and_saveexec_b64 s[18:19], s[40:41]
	s_cbranch_execz .LBB68_387
; %bb.386:
	v_lshlrev_b32_e32 v23, 3, v0
	s_movk_i32 s20, 0x1f8
	v_mad_u32_u24 v24, v0, s20, v23
	ds_read_b64 v[2:3], v24 offset:10416
	s_waitcnt lgkmcnt(0)
	ds_write_b64 v23, v[2:3] offset:11424
	ds_read_b64 v[2:3], v24 offset:10424
	s_waitcnt lgkmcnt(0)
	ds_write_b64 v23, v[2:3] offset:11936
.LBB68_387:
	s_or_b64 exec, exec, s[18:19]
	s_waitcnt lgkmcnt(0)
	s_barrier
	s_and_saveexec_b64 s[18:19], vcc
	s_cbranch_execz .LBB68_389
; %bb.388:
	v_mov_b32_e32 v25, 0
	ds_read_b64 v[2:3], v25 offset:11448
	s_mov_b64 s[20:21], 0x3f800000
	v_mov_b32_e32 v24, s21
	v_mov_b32_e32 v23, s20
	s_movk_i32 s20, 0xb0
	ds_write_b64 v25, v[23:24] offset:11960
	v_add_u32_e64 v25, s20, 0
	s_waitcnt lgkmcnt(1)
	ds_write2st64_b64 v25, v[23:24], v[2:3] offset0:22 offset1:23
.LBB68_389:
	s_or_b64 exec, exec, s[18:19]
	v_mov_b32_e32 v3, 0
	v_mov_b32_e32 v2, 0
	s_waitcnt lgkmcnt(0)
	s_barrier
	s_and_saveexec_b64 s[20:21], s[12:13]
	s_cbranch_execz .LBB68_399
; %bb.390:
	v_mul_u32_u24_e32 v23, 0x208, v17
	ds_read_b64 v[2:3], v13 offset:8384
	ds_read_b64 v[24:25], v23 offset:8320
	v_cmp_gt_u32_e64 s[18:19], 56, v7
	s_waitcnt lgkmcnt(0)
	v_mul_f32_e32 v26, v25, v3
	v_mul_f32_e32 v3, v24, v3
	v_fma_f32 v24, v24, v2, -v26
	v_fmac_f32_e32 v3, v25, v2
	v_add_f32_e32 v2, 0, v24
	v_add_f32_e32 v3, 0, v3
	s_and_saveexec_b64 s[24:25], s[18:19]
	s_cbranch_execnz .LBB68_1066
; %bb.391:
	s_or_b64 exec, exec, s[24:25]
	v_cmp_gt_u32_e64 s[18:19], 48, v7
	s_and_saveexec_b64 s[24:25], s[18:19]
	s_cbranch_execnz .LBB68_1067
.LBB68_392:
	s_or_b64 exec, exec, s[24:25]
	v_cmp_gt_u32_e64 s[18:19], 40, v7
	s_and_saveexec_b64 s[24:25], s[18:19]
	s_cbranch_execnz .LBB68_1068
.LBB68_393:
	s_or_b64 exec, exec, s[24:25]
	v_cmp_gt_u32_e64 s[18:19], 32, v7
	s_and_saveexec_b64 s[24:25], s[18:19]
	s_cbranch_execnz .LBB68_1069
.LBB68_394:
	s_or_b64 exec, exec, s[24:25]
	v_cmp_gt_u32_e64 s[18:19], 24, v7
	s_and_saveexec_b64 s[24:25], s[18:19]
	s_cbranch_execnz .LBB68_1070
.LBB68_395:
	s_or_b64 exec, exec, s[24:25]
	v_cmp_gt_u32_e64 s[18:19], 16, v7
	s_and_saveexec_b64 s[24:25], s[18:19]
	s_cbranch_execnz .LBB68_1071
.LBB68_396:
	s_or_b64 exec, exec, s[24:25]
	v_cmp_gt_u32_e64 s[18:19], 8, v7
	s_and_saveexec_b64 s[24:25], s[18:19]
	s_cbranch_execz .LBB68_398
.LBB68_397:
	v_lshlrev_b32_e32 v23, 3, v0
	v_mov_b32_e32 v25, 0
	ds_read_b64 v[23:24], v23 offset:11968
	ds_read_b64 v[25:26], v25 offset:8376
	s_waitcnt lgkmcnt(0)
	v_mul_f32_e32 v27, v26, v24
	v_mul_f32_e32 v24, v25, v24
	v_fma_f32 v25, v25, v23, -v27
	v_fmac_f32_e32 v24, v26, v23
	v_add_f32_e32 v2, v2, v25
	v_add_f32_e32 v3, v3, v24
.LBB68_398:
	s_or_b64 exec, exec, s[24:25]
	v_xor_b32_e32 v2, 0x80000000, v2
	v_xor_b32_e32 v3, 0x80000000, v3
.LBB68_399:
	s_or_b64 exec, exec, s[20:21]
	s_and_saveexec_b64 s[18:19], s[58:59]
; %bb.400:
	ds_write_b64 v15, v[2:3]
; %bb.401:
	s_or_b64 exec, exec, s[18:19]
	s_waitcnt lgkmcnt(0)
	s_barrier
	s_and_saveexec_b64 s[18:19], s[60:61]
	s_cbranch_execz .LBB68_403
; %bb.402:
	ds_read_b64 v[23:24], v14 offset:12480
	ds_read_b64 v[25:26], v15
	s_waitcnt lgkmcnt(0)
	v_mul_f32_e32 v27, v26, v24
	v_mul_f32_e32 v24, v25, v24
	v_fma_f32 v25, v25, v23, -v27
	v_fmac_f32_e32 v24, v26, v23
	v_add_f32_e32 v2, v2, v25
	v_add_f32_e32 v3, v3, v24
.LBB68_403:
	s_or_b64 exec, exec, s[18:19]
	s_barrier
	s_and_saveexec_b64 s[18:19], s[62:63]
; %bb.404:
	ds_write_b64 v15, v[2:3]
; %bb.405:
	s_or_b64 exec, exec, s[18:19]
	s_waitcnt lgkmcnt(0)
	s_barrier
	s_and_saveexec_b64 s[18:19], s[64:65]
	s_cbranch_execz .LBB68_407
; %bb.406:
	ds_read_b64 v[23:24], v14 offset:12992
	ds_read_b64 v[25:26], v15
	s_waitcnt lgkmcnt(0)
	v_mul_f32_e32 v27, v26, v24
	v_mul_f32_e32 v24, v25, v24
	v_fma_f32 v25, v25, v23, -v27
	v_fmac_f32_e32 v24, v26, v23
	v_add_f32_e32 v2, v2, v25
	v_add_f32_e32 v3, v3, v24
.LBB68_407:
	s_or_b64 exec, exec, s[18:19]
	s_barrier
	s_and_saveexec_b64 s[18:19], s[66:67]
; %bb.408:
	ds_write_b64 v15, v[2:3]
; %bb.409:
	s_or_b64 exec, exec, s[18:19]
	s_waitcnt lgkmcnt(0)
	s_barrier
	s_and_saveexec_b64 s[18:19], s[68:69]
	s_cbranch_execz .LBB68_411
; %bb.410:
	ds_read_b64 v[23:24], v14 offset:13504
	ds_read_b64 v[25:26], v15
	s_waitcnt lgkmcnt(0)
	v_mul_f32_e32 v27, v26, v24
	v_mul_f32_e32 v24, v25, v24
	v_fma_f32 v25, v25, v23, -v27
	v_fmac_f32_e32 v24, v26, v23
	v_add_f32_e32 v2, v2, v25
	v_add_f32_e32 v3, v3, v24
.LBB68_411:
	s_or_b64 exec, exec, s[18:19]
	s_barrier
	s_and_saveexec_b64 s[18:19], s[70:71]
; %bb.412:
	ds_write_b64 v15, v[2:3]
; %bb.413:
	s_or_b64 exec, exec, s[18:19]
	s_waitcnt lgkmcnt(0)
	s_barrier
	s_and_saveexec_b64 s[18:19], s[72:73]
	s_cbranch_execz .LBB68_415
; %bb.414:
	ds_read_b64 v[23:24], v14 offset:14016
	ds_read_b64 v[25:26], v15
	s_waitcnt lgkmcnt(0)
	v_mul_f32_e32 v27, v26, v24
	v_mul_f32_e32 v24, v25, v24
	v_fma_f32 v25, v25, v23, -v27
	v_fmac_f32_e32 v24, v26, v23
	v_add_f32_e32 v2, v2, v25
	v_add_f32_e32 v3, v3, v24
.LBB68_415:
	s_or_b64 exec, exec, s[18:19]
	s_barrier
	s_and_saveexec_b64 s[18:19], s[74:75]
; %bb.416:
	ds_write_b64 v15, v[2:3]
; %bb.417:
	s_or_b64 exec, exec, s[18:19]
	s_waitcnt lgkmcnt(0)
	s_barrier
	s_and_saveexec_b64 s[18:19], s[76:77]
	s_cbranch_execz .LBB68_419
; %bb.418:
	ds_read_b64 v[23:24], v14 offset:14528
	ds_read_b64 v[25:26], v15
	s_waitcnt lgkmcnt(0)
	v_mul_f32_e32 v27, v26, v24
	v_mul_f32_e32 v24, v25, v24
	v_fma_f32 v25, v25, v23, -v27
	v_fmac_f32_e32 v24, v26, v23
	v_add_f32_e32 v2, v2, v25
	v_add_f32_e32 v3, v3, v24
.LBB68_419:
	s_or_b64 exec, exec, s[18:19]
	s_barrier
	s_and_saveexec_b64 s[18:19], s[78:79]
; %bb.420:
	ds_write_b64 v15, v[2:3]
; %bb.421:
	s_or_b64 exec, exec, s[18:19]
	s_waitcnt lgkmcnt(0)
	s_barrier
	s_and_saveexec_b64 s[18:19], s[80:81]
	s_cbranch_execz .LBB68_423
; %bb.422:
	ds_read_b64 v[23:24], v14 offset:15040
	ds_read_b64 v[25:26], v15
	s_waitcnt lgkmcnt(0)
	v_mul_f32_e32 v27, v26, v24
	v_mul_f32_e32 v24, v25, v24
	v_fma_f32 v25, v25, v23, -v27
	v_fmac_f32_e32 v24, v26, v23
	v_add_f32_e32 v2, v2, v25
	v_add_f32_e32 v3, v3, v24
.LBB68_423:
	s_or_b64 exec, exec, s[18:19]
	s_barrier
	s_and_saveexec_b64 s[18:19], s[82:83]
; %bb.424:
	ds_write_b64 v15, v[2:3]
; %bb.425:
	s_or_b64 exec, exec, s[18:19]
	s_waitcnt lgkmcnt(0)
	s_barrier
	s_and_saveexec_b64 s[18:19], s[56:57]
	s_cbranch_execz .LBB68_427
; %bb.426:
	v_mov_b32_e32 v23, 0
	ds_read_b64 v[23:24], v23 offset:15608
	ds_read_b64 v[25:26], v15
	s_waitcnt lgkmcnt(0)
	v_mul_f32_e32 v27, v26, v24
	v_mul_f32_e32 v24, v25, v24
	v_fma_f32 v25, v25, v23, -v27
	v_fmac_f32_e32 v24, v26, v23
	v_add_f32_e32 v2, v2, v25
	v_add_f32_e32 v3, v3, v24
.LBB68_427:
	s_or_b64 exec, exec, s[18:19]
	s_barrier
	s_and_saveexec_b64 s[18:19], s[56:57]
; %bb.428:
	ds_write_b64 v15, v[2:3]
; %bb.429:
	s_or_b64 exec, exec, s[18:19]
	s_waitcnt lgkmcnt(0)
	s_barrier
	s_barrier
	s_and_saveexec_b64 s[18:19], s[12:13]
; %bb.430:
	v_xor_b32_e32 v3, 0x80000000, v3
	v_xor_b32_e32 v2, 0x80000000, v2
	ds_write_b64 v13, v[2:3] offset:8384
; %bb.431:
	s_or_b64 exec, exec, s[18:19]
	s_waitcnt lgkmcnt(0)
	s_barrier
	s_barrier
	s_and_saveexec_b64 s[18:19], s[84:85]
	s_cbranch_execz .LBB68_433
; %bb.432:
	v_lshlrev_b32_e32 v23, 9, v0
	ds_read_b64 v[2:3], v23 offset:8384
	s_movk_i32 s20, 0xfe08
	v_mad_i32_i24 v24, v0, s20, v23
	s_waitcnt lgkmcnt(0)
	ds_write_b64 v24, v[2:3] offset:12416
	ds_read_b64 v[2:3], v23 offset:8392
	s_waitcnt lgkmcnt(0)
	ds_write_b64 v24, v[2:3] offset:12928
	ds_read_b64 v[2:3], v23 offset:8400
	s_waitcnt lgkmcnt(0)
	ds_write_b64 v24, v[2:3] offset:13440
	ds_read_b64 v[2:3], v23 offset:8408
	s_waitcnt lgkmcnt(0)
	ds_write_b64 v24, v[2:3] offset:13952
	ds_read_b64 v[2:3], v23 offset:8416
	s_waitcnt lgkmcnt(0)
	ds_write_b64 v24, v[2:3] offset:14464
	ds_read_b64 v[2:3], v23 offset:8424
	s_waitcnt lgkmcnt(0)
	ds_write_b64 v24, v[2:3] offset:14976
	ds_read_b64 v[2:3], v23 offset:8432
	s_waitcnt lgkmcnt(0)
	ds_write_b64 v24, v[2:3] offset:15488
	ds_read_b64 v[2:3], v23 offset:8440
	s_waitcnt lgkmcnt(0)
	ds_write_b64 v24, v[2:3] offset:16000
.LBB68_433:
	s_or_b64 exec, exec, s[18:19]
	s_waitcnt lgkmcnt(0)
	s_barrier
	s_and_saveexec_b64 s[18:19], vcc
	s_cbranch_execz .LBB68_435
; %bb.434:
	v_mov_b32_e32 v25, 0
	ds_read_b64 v[2:3], v25 offset:12488
	s_mov_b64 s[20:21], 0x3f800000
	v_mov_b32_e32 v24, s21
	v_mov_b32_e32 v23, s20
	s_movk_i32 s20, 0xc0
	ds_write_b64 v25, v[23:24] offset:13000
	v_add_u32_e64 v25, s20, 0
	s_waitcnt lgkmcnt(1)
	ds_write2st64_b64 v25, v[23:24], v[2:3] offset0:24 offset1:25
.LBB68_435:
	s_or_b64 exec, exec, s[18:19]
	v_mov_b32_e32 v3, 0
	v_mov_b32_e32 v2, 0
	s_waitcnt lgkmcnt(0)
	s_barrier
	s_and_saveexec_b64 s[20:21], s[22:23]
	s_cbranch_execz .LBB68_439
; %bb.436:
	v_mul_u32_u24_e32 v23, 0x208, v6
	ds_read_b64 v[2:3], v4 offset:12496
	ds_read_b64 v[23:24], v23 offset:12480
	v_cmp_gt_u32_e64 s[18:19], 2, v7
	s_waitcnt lgkmcnt(0)
	v_mul_f32_e32 v25, v24, v3
	v_mul_f32_e32 v3, v23, v3
	v_fma_f32 v23, v23, v2, -v25
	v_fmac_f32_e32 v3, v24, v2
	v_add_f32_e32 v2, 0, v23
	v_add_f32_e32 v3, 0, v3
	s_and_saveexec_b64 s[24:25], s[18:19]
	s_cbranch_execz .LBB68_438
; %bb.437:
	v_lshlrev_b32_e32 v23, 3, v0
	v_mov_b32_e32 v25, 0
	ds_read_b64 v[23:24], v23 offset:13008
	ds_read_b64 v[25:26], v25 offset:12488
	s_waitcnt lgkmcnt(0)
	v_mul_f32_e32 v27, v26, v24
	v_mul_f32_e32 v24, v25, v24
	v_fma_f32 v25, v25, v23, -v27
	v_fmac_f32_e32 v24, v26, v23
	v_add_f32_e32 v2, v2, v25
	v_add_f32_e32 v3, v3, v24
.LBB68_438:
	s_or_b64 exec, exec, s[24:25]
	v_xor_b32_e32 v2, 0x80000000, v2
	v_xor_b32_e32 v3, 0x80000000, v3
.LBB68_439:
	s_or_b64 exec, exec, s[20:21]
	s_and_saveexec_b64 s[18:19], s[38:39]
; %bb.440:
	ds_write_b64 v5, v[2:3]
; %bb.441:
	s_or_b64 exec, exec, s[18:19]
	s_waitcnt lgkmcnt(0)
	s_barrier
	s_and_saveexec_b64 s[18:19], s[30:31]
	s_cbranch_execz .LBB68_443
; %bb.442:
	v_mov_b32_e32 v23, 0
	ds_read_b64 v[23:24], v23 offset:13528
	ds_read_b64 v[25:26], v5
	s_waitcnt lgkmcnt(0)
	v_mul_f32_e32 v27, v26, v24
	v_mul_f32_e32 v24, v25, v24
	v_fma_f32 v25, v25, v23, -v27
	v_fmac_f32_e32 v24, v26, v23
	v_add_f32_e32 v2, v2, v25
	v_add_f32_e32 v3, v3, v24
.LBB68_443:
	s_or_b64 exec, exec, s[18:19]
	s_barrier
	s_and_saveexec_b64 s[18:19], s[30:31]
; %bb.444:
	ds_write_b64 v5, v[2:3]
; %bb.445:
	s_or_b64 exec, exec, s[18:19]
	s_waitcnt lgkmcnt(0)
	s_barrier
	s_barrier
	s_and_saveexec_b64 s[18:19], s[22:23]
; %bb.446:
	v_xor_b32_e32 v3, 0x80000000, v3
	v_xor_b32_e32 v2, 0x80000000, v2
	ds_write_b64 v4, v[2:3] offset:12496
; %bb.447:
	s_or_b64 exec, exec, s[18:19]
	s_waitcnt lgkmcnt(0)
	s_barrier
	s_barrier
	s_and_saveexec_b64 s[18:19], s[40:41]
	s_cbranch_execz .LBB68_449
; %bb.448:
	v_lshlrev_b32_e32 v23, 3, v0
	s_movk_i32 s20, 0x1f8
	v_mad_u32_u24 v24, v0, s20, v23
	ds_read_b64 v[2:3], v24 offset:12496
	s_waitcnt lgkmcnt(0)
	ds_write_b64 v23, v[2:3] offset:13504
	ds_read_b64 v[2:3], v24 offset:12504
	s_waitcnt lgkmcnt(0)
	ds_write_b64 v23, v[2:3] offset:14016
.LBB68_449:
	s_or_b64 exec, exec, s[18:19]
	s_waitcnt lgkmcnt(0)
	s_barrier
	s_and_saveexec_b64 s[18:19], vcc
	s_cbranch_execz .LBB68_451
; %bb.450:
	v_mov_b32_e32 v25, 0
	ds_read_b64 v[2:3], v25 offset:13528
	s_mov_b64 s[20:21], 0x3f800000
	v_mov_b32_e32 v24, s21
	v_mov_b32_e32 v23, s20
	s_movk_i32 s20, 0xd0
	ds_write_b64 v25, v[23:24] offset:14040
	v_add_u32_e64 v25, s20, 0
	s_waitcnt lgkmcnt(1)
	ds_write2st64_b64 v25, v[23:24], v[2:3] offset0:26 offset1:27
.LBB68_451:
	s_or_b64 exec, exec, s[18:19]
	v_mov_b32_e32 v3, 0
	v_mov_b32_e32 v2, 0
	s_waitcnt lgkmcnt(0)
	s_barrier
	s_and_saveexec_b64 s[20:21], s[10:11]
	s_cbranch_execz .LBB68_457
; %bb.452:
	v_mul_u32_u24_e32 v23, 0x208, v12
	ds_read_b64 v[2:3], v8 offset:12512
	ds_read_b64 v[24:25], v23 offset:12480
	v_cmp_gt_u32_e64 s[18:19], 12, v7
	s_waitcnt lgkmcnt(0)
	v_mul_f32_e32 v26, v25, v3
	v_mul_f32_e32 v3, v24, v3
	v_fma_f32 v24, v24, v2, -v26
	v_fmac_f32_e32 v3, v25, v2
	v_add_f32_e32 v2, 0, v24
	v_add_f32_e32 v3, 0, v3
	s_and_saveexec_b64 s[24:25], s[18:19]
	s_cbranch_execnz .LBB68_1072
; %bb.453:
	s_or_b64 exec, exec, s[24:25]
	v_cmp_gt_u32_e64 s[18:19], 8, v7
	s_and_saveexec_b64 s[24:25], s[18:19]
	s_cbranch_execnz .LBB68_1073
.LBB68_454:
	s_or_b64 exec, exec, s[24:25]
	v_cmp_gt_u32_e64 s[18:19], 4, v7
	s_and_saveexec_b64 s[24:25], s[18:19]
	s_cbranch_execz .LBB68_456
.LBB68_455:
	v_lshlrev_b32_e32 v23, 3, v0
	v_mov_b32_e32 v25, 0
	ds_read_b64 v[23:24], v23 offset:14048
	ds_read_b64 v[25:26], v25 offset:12504
	s_waitcnt lgkmcnt(0)
	v_mul_f32_e32 v27, v26, v24
	v_mul_f32_e32 v24, v25, v24
	v_fma_f32 v25, v25, v23, -v27
	v_fmac_f32_e32 v24, v26, v23
	v_add_f32_e32 v2, v2, v25
	v_add_f32_e32 v3, v3, v24
.LBB68_456:
	s_or_b64 exec, exec, s[24:25]
	v_xor_b32_e32 v2, 0x80000000, v2
	v_xor_b32_e32 v3, 0x80000000, v3
.LBB68_457:
	s_or_b64 exec, exec, s[20:21]
	s_and_saveexec_b64 s[18:19], s[44:45]
; %bb.458:
	ds_write_b64 v10, v[2:3]
; %bb.459:
	s_or_b64 exec, exec, s[18:19]
	s_waitcnt lgkmcnt(0)
	s_barrier
	s_and_saveexec_b64 s[18:19], s[46:47]
	s_cbranch_execz .LBB68_461
; %bb.460:
	ds_read_b64 v[23:24], v9 offset:14560
	ds_read_b64 v[25:26], v10
	s_waitcnt lgkmcnt(0)
	v_mul_f32_e32 v27, v26, v24
	v_mul_f32_e32 v24, v25, v24
	v_fma_f32 v25, v25, v23, -v27
	v_fmac_f32_e32 v24, v26, v23
	v_add_f32_e32 v2, v2, v25
	v_add_f32_e32 v3, v3, v24
.LBB68_461:
	s_or_b64 exec, exec, s[18:19]
	s_barrier
	s_and_saveexec_b64 s[18:19], s[48:49]
; %bb.462:
	ds_write_b64 v10, v[2:3]
; %bb.463:
	s_or_b64 exec, exec, s[18:19]
	s_waitcnt lgkmcnt(0)
	s_barrier
	s_and_saveexec_b64 s[18:19], s[50:51]
	s_cbranch_execz .LBB68_465
; %bb.464:
	ds_read_b64 v[23:24], v9 offset:15072
	ds_read_b64 v[25:26], v10
	s_waitcnt lgkmcnt(0)
	v_mul_f32_e32 v27, v26, v24
	v_mul_f32_e32 v24, v25, v24
	v_fma_f32 v25, v25, v23, -v27
	v_fmac_f32_e32 v24, v26, v23
	v_add_f32_e32 v2, v2, v25
	v_add_f32_e32 v3, v3, v24
.LBB68_465:
	s_or_b64 exec, exec, s[18:19]
	s_barrier
	s_and_saveexec_b64 s[18:19], s[52:53]
; %bb.466:
	ds_write_b64 v10, v[2:3]
; %bb.467:
	s_or_b64 exec, exec, s[18:19]
	s_waitcnt lgkmcnt(0)
	s_barrier
	s_and_saveexec_b64 s[18:19], s[42:43]
	s_cbranch_execz .LBB68_469
; %bb.468:
	v_mov_b32_e32 v23, 0
	ds_read_b64 v[23:24], v23 offset:15608
	ds_read_b64 v[25:26], v10
	s_waitcnt lgkmcnt(0)
	v_mul_f32_e32 v27, v26, v24
	v_mul_f32_e32 v24, v25, v24
	v_fma_f32 v25, v25, v23, -v27
	v_fmac_f32_e32 v24, v26, v23
	v_add_f32_e32 v2, v2, v25
	v_add_f32_e32 v3, v3, v24
.LBB68_469:
	s_or_b64 exec, exec, s[18:19]
	s_barrier
	s_and_saveexec_b64 s[18:19], s[42:43]
; %bb.470:
	ds_write_b64 v10, v[2:3]
; %bb.471:
	s_or_b64 exec, exec, s[18:19]
	s_waitcnt lgkmcnt(0)
	s_barrier
	s_barrier
	s_and_saveexec_b64 s[18:19], s[10:11]
; %bb.472:
	v_xor_b32_e32 v2, 0x80000000, v2
	v_xor_b32_e32 v3, 0x80000000, v3
	ds_write_b64 v8, v[2:3] offset:12512
; %bb.473:
	s_or_b64 exec, exec, s[18:19]
	s_waitcnt lgkmcnt(0)
	s_barrier
	s_barrier
	s_and_saveexec_b64 s[18:19], s[54:55]
	s_cbranch_execz .LBB68_475
; %bb.474:
	v_lshlrev_b32_e32 v23, 9, v0
	ds_read_b64 v[2:3], v23 offset:12512
	s_movk_i32 s20, 0xfe08
	v_mad_i32_i24 v24, v0, s20, v23
	s_waitcnt lgkmcnt(0)
	ds_write_b64 v24, v[2:3] offset:14528
	ds_read_b64 v[2:3], v23 offset:12520
	s_waitcnt lgkmcnt(0)
	ds_write_b64 v24, v[2:3] offset:15040
	ds_read_b64 v[2:3], v23 offset:12528
	;; [unrolled: 3-line block ×3, first 2 shown]
	s_waitcnt lgkmcnt(0)
	ds_write_b64 v24, v[2:3] offset:16064
.LBB68_475:
	s_or_b64 exec, exec, s[18:19]
	s_waitcnt lgkmcnt(0)
	s_barrier
	s_and_saveexec_b64 s[18:19], vcc
	s_cbranch_execz .LBB68_477
; %bb.476:
	v_mov_b32_e32 v25, 0
	ds_read_b64 v[2:3], v25 offset:14568
	s_mov_b64 s[20:21], 0x3f800000
	v_mov_b32_e32 v24, s21
	v_mov_b32_e32 v23, s20
	s_movk_i32 s20, 0xe0
	ds_write_b64 v25, v[23:24] offset:15080
	v_add_u32_e64 v25, s20, 0
	s_waitcnt lgkmcnt(1)
	ds_write2st64_b64 v25, v[23:24], v[2:3] offset0:28 offset1:29
.LBB68_477:
	s_or_b64 exec, exec, s[18:19]
	v_mov_b32_e32 v3, 0
	v_mov_b32_e32 v2, 0
	s_waitcnt lgkmcnt(0)
	s_barrier
	s_and_saveexec_b64 s[20:21], s[22:23]
	s_cbranch_execz .LBB68_481
; %bb.478:
	v_mul_u32_u24_e32 v23, 0x208, v6
	ds_read_b64 v[2:3], v4 offset:14576
	ds_read_b64 v[23:24], v23 offset:14560
	v_cmp_gt_u32_e64 s[18:19], 2, v7
	s_waitcnt lgkmcnt(0)
	v_mul_f32_e32 v25, v24, v3
	v_mul_f32_e32 v3, v23, v3
	v_fma_f32 v23, v23, v2, -v25
	v_fmac_f32_e32 v3, v24, v2
	v_add_f32_e32 v2, 0, v23
	v_add_f32_e32 v3, 0, v3
	s_and_saveexec_b64 s[24:25], s[18:19]
	s_cbranch_execz .LBB68_480
; %bb.479:
	v_lshlrev_b32_e32 v23, 3, v0
	v_mov_b32_e32 v25, 0
	ds_read_b64 v[23:24], v23 offset:15088
	ds_read_b64 v[25:26], v25 offset:14568
	s_waitcnt lgkmcnt(0)
	v_mul_f32_e32 v27, v26, v24
	v_mul_f32_e32 v24, v25, v24
	v_fma_f32 v25, v25, v23, -v27
	v_fmac_f32_e32 v24, v26, v23
	v_add_f32_e32 v2, v2, v25
	v_add_f32_e32 v3, v3, v24
.LBB68_480:
	s_or_b64 exec, exec, s[24:25]
	v_xor_b32_e32 v2, 0x80000000, v2
	v_xor_b32_e32 v3, 0x80000000, v3
.LBB68_481:
	s_or_b64 exec, exec, s[20:21]
	s_and_saveexec_b64 s[18:19], s[38:39]
; %bb.482:
	ds_write_b64 v5, v[2:3]
; %bb.483:
	s_or_b64 exec, exec, s[18:19]
	s_waitcnt lgkmcnt(0)
	s_barrier
	s_and_saveexec_b64 s[18:19], s[30:31]
	s_cbranch_execz .LBB68_485
; %bb.484:
	v_mov_b32_e32 v23, 0
	ds_read_b64 v[23:24], v23 offset:15608
	ds_read_b64 v[25:26], v5
	s_waitcnt lgkmcnt(0)
	v_mul_f32_e32 v27, v26, v24
	v_mul_f32_e32 v24, v25, v24
	v_fma_f32 v25, v25, v23, -v27
	v_fmac_f32_e32 v24, v26, v23
	v_add_f32_e32 v2, v2, v25
	v_add_f32_e32 v3, v3, v24
.LBB68_485:
	s_or_b64 exec, exec, s[18:19]
	s_barrier
	s_and_saveexec_b64 s[18:19], s[30:31]
; %bb.486:
	ds_write_b64 v5, v[2:3]
; %bb.487:
	s_or_b64 exec, exec, s[18:19]
	s_waitcnt lgkmcnt(0)
	s_barrier
	s_barrier
	s_and_saveexec_b64 s[18:19], s[22:23]
; %bb.488:
	v_xor_b32_e32 v3, 0x80000000, v3
	v_xor_b32_e32 v2, 0x80000000, v2
	ds_write_b64 v4, v[2:3] offset:14576
; %bb.489:
	s_or_b64 exec, exec, s[18:19]
	s_waitcnt lgkmcnt(0)
	s_barrier
	s_barrier
	s_and_saveexec_b64 s[18:19], s[40:41]
	s_cbranch_execz .LBB68_491
; %bb.490:
	v_lshlrev_b32_e32 v23, 3, v0
	s_movk_i32 s20, 0x1f8
	v_mad_u32_u24 v24, v0, s20, v23
	ds_read_b64 v[2:3], v24 offset:14576
	s_waitcnt lgkmcnt(0)
	ds_write_b64 v23, v[2:3] offset:15584
	ds_read_b64 v[2:3], v24 offset:14584
	s_waitcnt lgkmcnt(0)
	ds_write_b64 v23, v[2:3] offset:16096
.LBB68_491:
	s_or_b64 exec, exec, s[18:19]
	s_waitcnt lgkmcnt(0)
	s_barrier
	s_and_saveexec_b64 s[18:19], vcc
	s_cbranch_execz .LBB68_493
; %bb.492:
	v_mov_b32_e32 v25, 0
	ds_read_b64 v[2:3], v25 offset:15608
	s_mov_b64 s[20:21], 0x3f800000
	v_mov_b32_e32 v24, s21
	v_mov_b32_e32 v23, s20
	s_movk_i32 s20, 0xf0
	ds_write_b64 v25, v[23:24] offset:16120
	v_add_u32_e64 v25, s20, 0
	s_waitcnt lgkmcnt(1)
	ds_write2st64_b64 v25, v[23:24], v[2:3] offset0:30 offset1:31
.LBB68_493:
	s_or_b64 exec, exec, s[18:19]
	s_movk_i32 s18, 0x3ff
	v_lshrrev_b32_e32 v25, 5, v7
	v_cmp_lt_u32_e64 s[20:21], s18, v7
	s_movk_i32 s18, 0x400
	v_mov_b32_e32 v3, 0
	v_and_b32_e32 v23, 31, v0
	v_cmp_gt_u32_e64 s[18:19], s18, v7
	v_lshlrev_b32_e32 v24, 9, v25
	v_mov_b32_e32 v2, v3
	s_waitcnt lgkmcnt(0)
	s_barrier
	s_and_saveexec_b64 s[98:99], s[18:19]
	s_cbranch_execz .LBB68_555
; %bb.494:
	v_lshlrev_b32_e32 v26, 3, v23
	v_add_u32_e32 v28, v26, v24
	v_mul_u32_u24_e32 v27, 0x208, v25
	ds_read_b64 v[2:3], v28 offset:256
	ds_read_b64 v[29:30], v27
	s_movk_i32 s24, 0x3e0
	v_cmp_gt_u32_e64 s[24:25], s24, v7
	s_waitcnt lgkmcnt(0)
	v_mul_f32_e32 v31, v30, v3
	v_mul_f32_e32 v3, v29, v3
	v_fma_f32 v29, v29, v2, -v31
	v_fmac_f32_e32 v3, v30, v2
	v_add_f32_e32 v2, 0, v29
	v_add_f32_e32 v3, 0, v3
	s_and_saveexec_b64 s[88:89], s[24:25]
	s_cbranch_execz .LBB68_496
; %bb.495:
	ds_read_b64 v[29:30], v28 offset:768
	ds_read_b64 v[31:32], v27 offset:8
	s_waitcnt lgkmcnt(0)
	v_mul_f32_e32 v33, v32, v30
	v_mul_f32_e32 v30, v31, v30
	v_fma_f32 v31, v31, v29, -v33
	v_fmac_f32_e32 v30, v32, v29
	v_add_f32_e32 v2, v2, v31
	v_add_f32_e32 v3, v3, v30
.LBB68_496:
	s_or_b64 exec, exec, s[88:89]
	s_movk_i32 s24, 0x3c0
	v_cmp_gt_u32_e64 s[24:25], s24, v7
	s_and_saveexec_b64 s[88:89], s[24:25]
	s_cbranch_execz .LBB68_498
; %bb.497:
	ds_read_b64 v[29:30], v28 offset:1280
	ds_read_b64 v[31:32], v27 offset:16
	s_waitcnt lgkmcnt(0)
	v_mul_f32_e32 v33, v32, v30
	v_mul_f32_e32 v30, v31, v30
	v_fma_f32 v31, v31, v29, -v33
	v_fmac_f32_e32 v30, v32, v29
	v_add_f32_e32 v2, v2, v31
	v_add_f32_e32 v3, v3, v30
.LBB68_498:
	s_or_b64 exec, exec, s[88:89]
	s_movk_i32 s24, 0x3a0
	v_cmp_gt_u32_e64 s[24:25], s24, v7
	;; [unrolled: 16-line block ×28, first 2 shown]
	s_and_saveexec_b64 s[88:89], s[24:25]
	s_cbranch_execnz .LBB68_1074
; %bb.551:
	s_or_b64 exec, exec, s[88:89]
	v_cmp_gt_u32_e64 s[24:25], 64, v7
	s_and_saveexec_b64 s[88:89], s[24:25]
	s_cbranch_execnz .LBB68_1075
.LBB68_552:
	s_or_b64 exec, exec, s[88:89]
	v_cmp_gt_u32_e64 s[24:25], 32, v7
	s_and_saveexec_b64 s[88:89], s[24:25]
	s_cbranch_execz .LBB68_554
.LBB68_553:
	ds_read_b64 v[28:29], v26 offset:16128
	ds_read_b64 v[26:27], v27 offset:248
	s_waitcnt lgkmcnt(0)
	v_mul_f32_e32 v30, v27, v29
	v_mul_f32_e32 v29, v26, v29
	v_fma_f32 v26, v26, v28, -v30
	v_fmac_f32_e32 v29, v27, v28
	v_add_f32_e32 v2, v2, v26
	v_add_f32_e32 v3, v3, v29
.LBB68_554:
	s_or_b64 exec, exec, s[88:89]
	v_xor_b32_e32 v2, 0x80000000, v2
	v_xor_b32_e32 v3, 0x80000000, v3
.LBB68_555:
	s_or_b64 exec, exec, s[98:99]
	v_mov_b32_e32 v26, 0x8000
	v_lshl_or_b32 v25, v25, 3, v26
	v_mov_b32_e32 v26, 0x4100
	v_lshl_or_b32 v26, v23, 3, v26
	s_mov_b32 s88, 0
	s_xor_b64 s[24:25], s[20:21], -1
	v_mov_b32_e32 v27, v23
	s_branch .LBB68_557
.LBB68_556:                             ;   in Loop: Header=BB68_557 Depth=1
	s_or_b64 exec, exec, s[20:21]
	s_add_i32 s88, s88, 2
	v_add_u32_e32 v26, 0x400, v26
	s_cmp_eq_u32 s88, 32
	v_add_u32_e32 v27, -2, v27
	s_barrier
	s_cbranch_scc1 .LBB68_565
.LBB68_557:                             ; =>This Inner Loop Header: Depth=1
	v_cmp_eq_u32_e64 s[20:21], 0, v27
	s_and_b64 s[98:99], s[24:25], s[20:21]
	s_and_saveexec_b64 s[20:21], s[98:99]
; %bb.558:                              ;   in Loop: Header=BB68_557 Depth=1
	ds_write_b64 v25, v[2:3]
; %bb.559:                              ;   in Loop: Header=BB68_557 Depth=1
	s_or_b64 exec, exec, s[20:21]
	v_cmp_lt_u32_e64 s[20:21], s88, v23
	s_and_b64 s[98:99], s[24:25], s[20:21]
	s_waitcnt lgkmcnt(0)
	s_barrier
	s_and_saveexec_b64 s[20:21], s[98:99]
	s_cbranch_execz .LBB68_561
; %bb.560:                              ;   in Loop: Header=BB68_557 Depth=1
	ds_read_b64 v[28:29], v26
	ds_read_b64 v[30:31], v25
	s_waitcnt lgkmcnt(0)
	v_mul_f32_e32 v32, v31, v29
	v_mul_f32_e32 v29, v30, v29
	v_fma_f32 v30, v30, v28, -v32
	v_fmac_f32_e32 v29, v31, v28
	v_add_f32_e32 v2, v2, v30
	v_add_f32_e32 v3, v3, v29
.LBB68_561:                             ;   in Loop: Header=BB68_557 Depth=1
	s_or_b64 exec, exec, s[20:21]
	s_or_b32 s89, s88, 1
	v_cmp_eq_u32_e64 s[20:21], s89, v23
	s_and_b64 s[98:99], s[24:25], s[20:21]
	s_barrier
	s_and_saveexec_b64 s[20:21], s[98:99]
; %bb.562:                              ;   in Loop: Header=BB68_557 Depth=1
	ds_write_b64 v25, v[2:3]
; %bb.563:                              ;   in Loop: Header=BB68_557 Depth=1
	s_or_b64 exec, exec, s[20:21]
	v_cmp_lt_u32_e64 s[20:21], s89, v23
	s_and_b64 s[98:99], s[24:25], s[20:21]
	s_waitcnt lgkmcnt(0)
	s_barrier
	s_and_saveexec_b64 s[20:21], s[98:99]
	s_cbranch_execz .LBB68_556
; %bb.564:                              ;   in Loop: Header=BB68_557 Depth=1
	ds_read_b64 v[28:29], v26 offset:512
	ds_read_b64 v[30:31], v25
	s_waitcnt lgkmcnt(0)
	v_mul_f32_e32 v32, v31, v29
	v_mul_f32_e32 v29, v30, v29
	v_fma_f32 v30, v30, v28, -v32
	v_fmac_f32_e32 v29, v31, v28
	v_add_f32_e32 v2, v2, v30
	v_add_f32_e32 v3, v3, v29
	s_branch .LBB68_556
.LBB68_565:
	s_and_saveexec_b64 s[20:21], s[18:19]
; %bb.566:
	v_lshl_add_u32 v23, v23, 3, v24
	v_xor_b32_e32 v3, 0x80000000, v3
	v_xor_b32_e32 v2, 0x80000000, v2
	ds_write_b64 v23, v[2:3] offset:256
; %bb.567:
	s_or_b64 exec, exec, s[20:21]
	v_cmp_gt_u32_e64 s[18:19], 32, v0
	s_and_b64 s[18:19], s[16:17], s[18:19]
	s_waitcnt lgkmcnt(0)
	s_barrier
	s_barrier
	s_and_saveexec_b64 s[16:17], s[18:19]
	s_cbranch_execz .LBB68_569
; %bb.568:
	v_lshlrev_b32_e32 v23, 9, v0
	ds_read_b64 v[2:3], v23 offset:256
	s_movk_i32 s18, 0xfe08
	v_mad_i32_i24 v24, v0, s18, v23
	s_waitcnt lgkmcnt(0)
	ds_write_b64 v24, v[2:3] offset:16384
	ds_read_b64 v[2:3], v23 offset:264
	s_waitcnt lgkmcnt(0)
	ds_write_b64 v24, v[2:3] offset:16896
	ds_read_b64 v[2:3], v23 offset:272
	;; [unrolled: 3-line block ×31, first 2 shown]
	s_waitcnt lgkmcnt(0)
	ds_write_b64 v24, v[2:3] offset:32256
.LBB68_569:
	s_or_b64 exec, exec, s[16:17]
	s_waitcnt lgkmcnt(0)
	s_barrier
	s_and_saveexec_b64 s[16:17], vcc
	s_cbranch_execz .LBB68_571
; %bb.570:
	v_mov_b32_e32 v25, 0
	ds_read_b64 v[2:3], v25 offset:16648
	s_mov_b64 s[18:19], 0x3f800000
	v_mov_b32_e32 v24, s19
	v_mov_b32_e32 v23, s18
	s_movk_i32 s18, 0x100
	ds_write_b64 v25, v[23:24] offset:17160
	v_add_u32_e64 v25, s18, 0
	s_waitcnt lgkmcnt(1)
	ds_write2st64_b64 v25, v[23:24], v[2:3] offset0:32 offset1:33
.LBB68_571:
	s_or_b64 exec, exec, s[16:17]
	v_mov_b32_e32 v3, 0
	v_mov_b32_e32 v2, 0
	s_waitcnt lgkmcnt(0)
	s_barrier
	s_and_saveexec_b64 s[18:19], s[22:23]
	s_cbranch_execz .LBB68_575
; %bb.572:
	v_mul_u32_u24_e32 v23, 0x208, v6
	ds_read_b64 v[2:3], v4 offset:16656
	ds_read_b64 v[23:24], v23 offset:16640
	v_cmp_gt_u32_e64 s[16:17], 2, v7
	s_waitcnt lgkmcnt(0)
	v_mul_f32_e32 v25, v24, v3
	v_mul_f32_e32 v3, v23, v3
	v_fma_f32 v23, v23, v2, -v25
	v_fmac_f32_e32 v3, v24, v2
	v_add_f32_e32 v2, 0, v23
	v_add_f32_e32 v3, 0, v3
	s_and_saveexec_b64 s[20:21], s[16:17]
	s_cbranch_execz .LBB68_574
; %bb.573:
	v_lshlrev_b32_e32 v23, 3, v0
	v_mov_b32_e32 v25, 0
	ds_read_b64 v[23:24], v23 offset:17168
	ds_read_b64 v[25:26], v25 offset:16648
	s_waitcnt lgkmcnt(0)
	v_mul_f32_e32 v27, v26, v24
	v_mul_f32_e32 v24, v25, v24
	v_fma_f32 v25, v25, v23, -v27
	v_fmac_f32_e32 v24, v26, v23
	v_add_f32_e32 v2, v2, v25
	v_add_f32_e32 v3, v3, v24
.LBB68_574:
	s_or_b64 exec, exec, s[20:21]
	v_xor_b32_e32 v2, 0x80000000, v2
	v_xor_b32_e32 v3, 0x80000000, v3
.LBB68_575:
	s_or_b64 exec, exec, s[18:19]
	s_and_saveexec_b64 s[16:17], s[38:39]
; %bb.576:
	ds_write_b64 v5, v[2:3]
; %bb.577:
	s_or_b64 exec, exec, s[16:17]
	s_waitcnt lgkmcnt(0)
	s_barrier
	s_and_saveexec_b64 s[16:17], s[30:31]
	s_cbranch_execz .LBB68_579
; %bb.578:
	v_mov_b32_e32 v23, 0
	ds_read_b64 v[23:24], v23 offset:17688
	ds_read_b64 v[25:26], v5
	s_waitcnt lgkmcnt(0)
	v_mul_f32_e32 v27, v26, v24
	v_mul_f32_e32 v24, v25, v24
	v_fma_f32 v25, v25, v23, -v27
	v_fmac_f32_e32 v24, v26, v23
	v_add_f32_e32 v2, v2, v25
	v_add_f32_e32 v3, v3, v24
.LBB68_579:
	s_or_b64 exec, exec, s[16:17]
	s_barrier
	s_and_saveexec_b64 s[16:17], s[30:31]
; %bb.580:
	ds_write_b64 v5, v[2:3]
; %bb.581:
	s_or_b64 exec, exec, s[16:17]
	s_waitcnt lgkmcnt(0)
	s_barrier
	s_barrier
	s_and_saveexec_b64 s[16:17], s[22:23]
; %bb.582:
	v_xor_b32_e32 v3, 0x80000000, v3
	v_xor_b32_e32 v2, 0x80000000, v2
	ds_write_b64 v4, v[2:3] offset:16656
; %bb.583:
	s_or_b64 exec, exec, s[16:17]
	s_waitcnt lgkmcnt(0)
	s_barrier
	s_barrier
	s_and_saveexec_b64 s[16:17], s[40:41]
	s_cbranch_execz .LBB68_585
; %bb.584:
	v_lshlrev_b32_e32 v23, 3, v0
	s_movk_i32 s18, 0x1f8
	v_mad_u32_u24 v24, v0, s18, v23
	ds_read_b64 v[2:3], v24 offset:16656
	s_waitcnt lgkmcnt(0)
	ds_write_b64 v23, v[2:3] offset:17664
	ds_read_b64 v[2:3], v24 offset:16664
	s_waitcnt lgkmcnt(0)
	ds_write_b64 v23, v[2:3] offset:18176
.LBB68_585:
	s_or_b64 exec, exec, s[16:17]
	s_waitcnt lgkmcnt(0)
	s_barrier
	s_and_saveexec_b64 s[16:17], vcc
	s_cbranch_execz .LBB68_587
; %bb.586:
	v_mov_b32_e32 v25, 0
	ds_read_b64 v[2:3], v25 offset:17688
	s_mov_b64 s[18:19], 0x3f800000
	v_mov_b32_e32 v24, s19
	v_mov_b32_e32 v23, s18
	s_movk_i32 s18, 0x110
	ds_write_b64 v25, v[23:24] offset:18200
	v_add_u32_e64 v25, s18, 0
	s_waitcnt lgkmcnt(1)
	ds_write2st64_b64 v25, v[23:24], v[2:3] offset0:34 offset1:35
.LBB68_587:
	s_or_b64 exec, exec, s[16:17]
	v_mov_b32_e32 v3, 0
	v_mov_b32_e32 v2, 0
	s_waitcnt lgkmcnt(0)
	s_barrier
	s_and_saveexec_b64 s[18:19], s[10:11]
	s_cbranch_execz .LBB68_593
; %bb.588:
	v_mul_u32_u24_e32 v23, 0x208, v12
	ds_read_b64 v[2:3], v8 offset:16672
	ds_read_b64 v[24:25], v23 offset:16640
	v_cmp_gt_u32_e64 s[16:17], 12, v7
	s_waitcnt lgkmcnt(0)
	v_mul_f32_e32 v26, v25, v3
	v_mul_f32_e32 v3, v24, v3
	v_fma_f32 v24, v24, v2, -v26
	v_fmac_f32_e32 v3, v25, v2
	v_add_f32_e32 v2, 0, v24
	v_add_f32_e32 v3, 0, v3
	s_and_saveexec_b64 s[20:21], s[16:17]
	s_cbranch_execnz .LBB68_1076
; %bb.589:
	s_or_b64 exec, exec, s[20:21]
	v_cmp_gt_u32_e64 s[16:17], 8, v7
	s_and_saveexec_b64 s[20:21], s[16:17]
	s_cbranch_execnz .LBB68_1077
.LBB68_590:
	s_or_b64 exec, exec, s[20:21]
	v_cmp_gt_u32_e64 s[16:17], 4, v7
	s_and_saveexec_b64 s[20:21], s[16:17]
	s_cbranch_execz .LBB68_592
.LBB68_591:
	v_lshlrev_b32_e32 v23, 3, v0
	v_mov_b32_e32 v25, 0
	ds_read_b64 v[23:24], v23 offset:18208
	ds_read_b64 v[25:26], v25 offset:16664
	s_waitcnt lgkmcnt(0)
	v_mul_f32_e32 v27, v26, v24
	v_mul_f32_e32 v24, v25, v24
	v_fma_f32 v25, v25, v23, -v27
	v_fmac_f32_e32 v24, v26, v23
	v_add_f32_e32 v2, v2, v25
	v_add_f32_e32 v3, v3, v24
.LBB68_592:
	s_or_b64 exec, exec, s[20:21]
	v_xor_b32_e32 v2, 0x80000000, v2
	v_xor_b32_e32 v3, 0x80000000, v3
.LBB68_593:
	s_or_b64 exec, exec, s[18:19]
	s_and_saveexec_b64 s[16:17], s[44:45]
; %bb.594:
	ds_write_b64 v10, v[2:3]
; %bb.595:
	s_or_b64 exec, exec, s[16:17]
	s_waitcnt lgkmcnt(0)
	s_barrier
	s_and_saveexec_b64 s[16:17], s[46:47]
	s_cbranch_execz .LBB68_597
; %bb.596:
	ds_read_b64 v[23:24], v9 offset:18720
	ds_read_b64 v[25:26], v10
	s_waitcnt lgkmcnt(0)
	v_mul_f32_e32 v27, v26, v24
	v_mul_f32_e32 v24, v25, v24
	v_fma_f32 v25, v25, v23, -v27
	v_fmac_f32_e32 v24, v26, v23
	v_add_f32_e32 v2, v2, v25
	v_add_f32_e32 v3, v3, v24
.LBB68_597:
	s_or_b64 exec, exec, s[16:17]
	s_barrier
	s_and_saveexec_b64 s[16:17], s[48:49]
; %bb.598:
	ds_write_b64 v10, v[2:3]
; %bb.599:
	s_or_b64 exec, exec, s[16:17]
	s_waitcnt lgkmcnt(0)
	s_barrier
	s_and_saveexec_b64 s[16:17], s[50:51]
	s_cbranch_execz .LBB68_601
; %bb.600:
	ds_read_b64 v[23:24], v9 offset:19232
	ds_read_b64 v[25:26], v10
	s_waitcnt lgkmcnt(0)
	v_mul_f32_e32 v27, v26, v24
	v_mul_f32_e32 v24, v25, v24
	v_fma_f32 v25, v25, v23, -v27
	v_fmac_f32_e32 v24, v26, v23
	v_add_f32_e32 v2, v2, v25
	v_add_f32_e32 v3, v3, v24
.LBB68_601:
	s_or_b64 exec, exec, s[16:17]
	s_barrier
	s_and_saveexec_b64 s[16:17], s[52:53]
; %bb.602:
	ds_write_b64 v10, v[2:3]
; %bb.603:
	s_or_b64 exec, exec, s[16:17]
	s_waitcnt lgkmcnt(0)
	s_barrier
	s_and_saveexec_b64 s[16:17], s[42:43]
	s_cbranch_execz .LBB68_605
; %bb.604:
	v_mov_b32_e32 v23, 0
	ds_read_b64 v[23:24], v23 offset:19768
	ds_read_b64 v[25:26], v10
	s_waitcnt lgkmcnt(0)
	v_mul_f32_e32 v27, v26, v24
	v_mul_f32_e32 v24, v25, v24
	v_fma_f32 v25, v25, v23, -v27
	v_fmac_f32_e32 v24, v26, v23
	v_add_f32_e32 v2, v2, v25
	v_add_f32_e32 v3, v3, v24
.LBB68_605:
	s_or_b64 exec, exec, s[16:17]
	s_barrier
	s_and_saveexec_b64 s[16:17], s[42:43]
; %bb.606:
	ds_write_b64 v10, v[2:3]
; %bb.607:
	s_or_b64 exec, exec, s[16:17]
	s_waitcnt lgkmcnt(0)
	s_barrier
	s_barrier
	s_and_saveexec_b64 s[16:17], s[10:11]
; %bb.608:
	v_xor_b32_e32 v2, 0x80000000, v2
	v_xor_b32_e32 v3, 0x80000000, v3
	ds_write_b64 v8, v[2:3] offset:16672
; %bb.609:
	s_or_b64 exec, exec, s[16:17]
	s_waitcnt lgkmcnt(0)
	s_barrier
	s_barrier
	s_and_saveexec_b64 s[16:17], s[54:55]
	s_cbranch_execz .LBB68_611
; %bb.610:
	v_lshlrev_b32_e32 v23, 9, v0
	ds_read_b64 v[2:3], v23 offset:16672
	s_movk_i32 s18, 0xfe08
	v_mad_i32_i24 v24, v0, s18, v23
	s_waitcnt lgkmcnt(0)
	ds_write_b64 v24, v[2:3] offset:18688
	ds_read_b64 v[2:3], v23 offset:16680
	s_waitcnt lgkmcnt(0)
	ds_write_b64 v24, v[2:3] offset:19200
	ds_read_b64 v[2:3], v23 offset:16688
	;; [unrolled: 3-line block ×3, first 2 shown]
	s_waitcnt lgkmcnt(0)
	ds_write_b64 v24, v[2:3] offset:20224
.LBB68_611:
	s_or_b64 exec, exec, s[16:17]
	s_waitcnt lgkmcnt(0)
	s_barrier
	s_and_saveexec_b64 s[16:17], vcc
	s_cbranch_execz .LBB68_613
; %bb.612:
	v_mov_b32_e32 v25, 0
	ds_read_b64 v[2:3], v25 offset:18728
	s_mov_b64 s[18:19], 0x3f800000
	v_mov_b32_e32 v24, s19
	v_mov_b32_e32 v23, s18
	s_movk_i32 s18, 0x120
	ds_write_b64 v25, v[23:24] offset:19240
	v_add_u32_e64 v25, s18, 0
	s_waitcnt lgkmcnt(1)
	ds_write2st64_b64 v25, v[23:24], v[2:3] offset0:36 offset1:37
.LBB68_613:
	s_or_b64 exec, exec, s[16:17]
	v_mov_b32_e32 v3, 0
	v_mov_b32_e32 v2, 0
	s_waitcnt lgkmcnt(0)
	s_barrier
	s_and_saveexec_b64 s[18:19], s[22:23]
	s_cbranch_execz .LBB68_617
; %bb.614:
	v_mul_u32_u24_e32 v23, 0x208, v6
	ds_read_b64 v[2:3], v4 offset:18736
	ds_read_b64 v[23:24], v23 offset:18720
	v_cmp_gt_u32_e64 s[16:17], 2, v7
	s_waitcnt lgkmcnt(0)
	v_mul_f32_e32 v25, v24, v3
	v_mul_f32_e32 v3, v23, v3
	v_fma_f32 v23, v23, v2, -v25
	v_fmac_f32_e32 v3, v24, v2
	v_add_f32_e32 v2, 0, v23
	v_add_f32_e32 v3, 0, v3
	s_and_saveexec_b64 s[20:21], s[16:17]
	s_cbranch_execz .LBB68_616
; %bb.615:
	v_lshlrev_b32_e32 v23, 3, v0
	v_mov_b32_e32 v25, 0
	ds_read_b64 v[23:24], v23 offset:19248
	ds_read_b64 v[25:26], v25 offset:18728
	s_waitcnt lgkmcnt(0)
	v_mul_f32_e32 v27, v26, v24
	v_mul_f32_e32 v24, v25, v24
	v_fma_f32 v25, v25, v23, -v27
	v_fmac_f32_e32 v24, v26, v23
	v_add_f32_e32 v2, v2, v25
	v_add_f32_e32 v3, v3, v24
.LBB68_616:
	s_or_b64 exec, exec, s[20:21]
	v_xor_b32_e32 v2, 0x80000000, v2
	v_xor_b32_e32 v3, 0x80000000, v3
.LBB68_617:
	s_or_b64 exec, exec, s[18:19]
	s_and_saveexec_b64 s[16:17], s[38:39]
; %bb.618:
	ds_write_b64 v5, v[2:3]
; %bb.619:
	s_or_b64 exec, exec, s[16:17]
	s_waitcnt lgkmcnt(0)
	s_barrier
	s_and_saveexec_b64 s[16:17], s[30:31]
	s_cbranch_execz .LBB68_621
; %bb.620:
	v_mov_b32_e32 v23, 0
	ds_read_b64 v[23:24], v23 offset:19768
	ds_read_b64 v[25:26], v5
	s_waitcnt lgkmcnt(0)
	v_mul_f32_e32 v27, v26, v24
	v_mul_f32_e32 v24, v25, v24
	v_fma_f32 v25, v25, v23, -v27
	v_fmac_f32_e32 v24, v26, v23
	v_add_f32_e32 v2, v2, v25
	v_add_f32_e32 v3, v3, v24
.LBB68_621:
	s_or_b64 exec, exec, s[16:17]
	s_barrier
	s_and_saveexec_b64 s[16:17], s[30:31]
; %bb.622:
	ds_write_b64 v5, v[2:3]
; %bb.623:
	s_or_b64 exec, exec, s[16:17]
	s_waitcnt lgkmcnt(0)
	s_barrier
	s_barrier
	s_and_saveexec_b64 s[16:17], s[22:23]
; %bb.624:
	v_xor_b32_e32 v3, 0x80000000, v3
	v_xor_b32_e32 v2, 0x80000000, v2
	ds_write_b64 v4, v[2:3] offset:18736
; %bb.625:
	s_or_b64 exec, exec, s[16:17]
	s_waitcnt lgkmcnt(0)
	s_barrier
	s_barrier
	s_and_saveexec_b64 s[16:17], s[40:41]
	s_cbranch_execz .LBB68_627
; %bb.626:
	v_lshlrev_b32_e32 v23, 3, v0
	s_movk_i32 s18, 0x1f8
	v_mad_u32_u24 v24, v0, s18, v23
	ds_read_b64 v[2:3], v24 offset:18736
	s_waitcnt lgkmcnt(0)
	ds_write_b64 v23, v[2:3] offset:19744
	ds_read_b64 v[2:3], v24 offset:18744
	s_waitcnt lgkmcnt(0)
	ds_write_b64 v23, v[2:3] offset:20256
.LBB68_627:
	s_or_b64 exec, exec, s[16:17]
	s_waitcnt lgkmcnt(0)
	s_barrier
	s_and_saveexec_b64 s[16:17], vcc
	s_cbranch_execz .LBB68_629
; %bb.628:
	v_mov_b32_e32 v25, 0
	ds_read_b64 v[2:3], v25 offset:19768
	s_mov_b64 s[18:19], 0x3f800000
	v_mov_b32_e32 v24, s19
	v_mov_b32_e32 v23, s18
	s_movk_i32 s18, 0x130
	ds_write_b64 v25, v[23:24] offset:20280
	v_add_u32_e64 v25, s18, 0
	s_waitcnt lgkmcnt(1)
	ds_write2st64_b64 v25, v[23:24], v[2:3] offset0:38 offset1:39
.LBB68_629:
	s_or_b64 exec, exec, s[16:17]
	v_mov_b32_e32 v3, 0
	v_mov_b32_e32 v2, 0
	s_waitcnt lgkmcnt(0)
	s_barrier
	s_and_saveexec_b64 s[18:19], s[12:13]
	s_cbranch_execz .LBB68_639
; %bb.630:
	v_mul_u32_u24_e32 v23, 0x208, v17
	ds_read_b64 v[2:3], v13 offset:16704
	ds_read_b64 v[24:25], v23 offset:16640
	v_cmp_gt_u32_e64 s[16:17], 56, v7
	s_waitcnt lgkmcnt(0)
	v_mul_f32_e32 v26, v25, v3
	v_mul_f32_e32 v3, v24, v3
	v_fma_f32 v24, v24, v2, -v26
	v_fmac_f32_e32 v3, v25, v2
	v_add_f32_e32 v2, 0, v24
	v_add_f32_e32 v3, 0, v3
	s_and_saveexec_b64 s[20:21], s[16:17]
	s_cbranch_execnz .LBB68_1078
; %bb.631:
	s_or_b64 exec, exec, s[20:21]
	v_cmp_gt_u32_e64 s[16:17], 48, v7
	s_and_saveexec_b64 s[20:21], s[16:17]
	s_cbranch_execnz .LBB68_1079
.LBB68_632:
	s_or_b64 exec, exec, s[20:21]
	v_cmp_gt_u32_e64 s[16:17], 40, v7
	s_and_saveexec_b64 s[20:21], s[16:17]
	s_cbranch_execnz .LBB68_1080
.LBB68_633:
	s_or_b64 exec, exec, s[20:21]
	v_cmp_gt_u32_e64 s[16:17], 32, v7
	s_and_saveexec_b64 s[20:21], s[16:17]
	s_cbranch_execnz .LBB68_1081
.LBB68_634:
	s_or_b64 exec, exec, s[20:21]
	v_cmp_gt_u32_e64 s[16:17], 24, v7
	s_and_saveexec_b64 s[20:21], s[16:17]
	s_cbranch_execnz .LBB68_1082
.LBB68_635:
	s_or_b64 exec, exec, s[20:21]
	v_cmp_gt_u32_e64 s[16:17], 16, v7
	s_and_saveexec_b64 s[20:21], s[16:17]
	s_cbranch_execnz .LBB68_1083
.LBB68_636:
	s_or_b64 exec, exec, s[20:21]
	v_cmp_gt_u32_e64 s[16:17], 8, v7
	s_and_saveexec_b64 s[20:21], s[16:17]
	s_cbranch_execz .LBB68_638
.LBB68_637:
	v_lshlrev_b32_e32 v23, 3, v0
	v_mov_b32_e32 v25, 0
	ds_read_b64 v[23:24], v23 offset:20288
	ds_read_b64 v[25:26], v25 offset:16696
	s_waitcnt lgkmcnt(0)
	v_mul_f32_e32 v27, v26, v24
	v_mul_f32_e32 v24, v25, v24
	v_fma_f32 v25, v25, v23, -v27
	v_fmac_f32_e32 v24, v26, v23
	v_add_f32_e32 v2, v2, v25
	v_add_f32_e32 v3, v3, v24
.LBB68_638:
	s_or_b64 exec, exec, s[20:21]
	v_xor_b32_e32 v2, 0x80000000, v2
	v_xor_b32_e32 v3, 0x80000000, v3
.LBB68_639:
	s_or_b64 exec, exec, s[18:19]
	s_and_saveexec_b64 s[16:17], s[58:59]
; %bb.640:
	ds_write_b64 v15, v[2:3]
; %bb.641:
	s_or_b64 exec, exec, s[16:17]
	s_waitcnt lgkmcnt(0)
	s_barrier
	s_and_saveexec_b64 s[16:17], s[60:61]
	s_cbranch_execz .LBB68_643
; %bb.642:
	ds_read_b64 v[23:24], v14 offset:20800
	ds_read_b64 v[25:26], v15
	s_waitcnt lgkmcnt(0)
	v_mul_f32_e32 v27, v26, v24
	v_mul_f32_e32 v24, v25, v24
	v_fma_f32 v25, v25, v23, -v27
	v_fmac_f32_e32 v24, v26, v23
	v_add_f32_e32 v2, v2, v25
	v_add_f32_e32 v3, v3, v24
.LBB68_643:
	s_or_b64 exec, exec, s[16:17]
	s_barrier
	s_and_saveexec_b64 s[16:17], s[62:63]
; %bb.644:
	ds_write_b64 v15, v[2:3]
; %bb.645:
	s_or_b64 exec, exec, s[16:17]
	s_waitcnt lgkmcnt(0)
	s_barrier
	s_and_saveexec_b64 s[16:17], s[64:65]
	s_cbranch_execz .LBB68_647
; %bb.646:
	ds_read_b64 v[23:24], v14 offset:21312
	ds_read_b64 v[25:26], v15
	s_waitcnt lgkmcnt(0)
	v_mul_f32_e32 v27, v26, v24
	v_mul_f32_e32 v24, v25, v24
	v_fma_f32 v25, v25, v23, -v27
	v_fmac_f32_e32 v24, v26, v23
	v_add_f32_e32 v2, v2, v25
	v_add_f32_e32 v3, v3, v24
.LBB68_647:
	s_or_b64 exec, exec, s[16:17]
	s_barrier
	s_and_saveexec_b64 s[16:17], s[66:67]
; %bb.648:
	ds_write_b64 v15, v[2:3]
; %bb.649:
	s_or_b64 exec, exec, s[16:17]
	s_waitcnt lgkmcnt(0)
	s_barrier
	s_and_saveexec_b64 s[16:17], s[68:69]
	s_cbranch_execz .LBB68_651
; %bb.650:
	ds_read_b64 v[23:24], v14 offset:21824
	ds_read_b64 v[25:26], v15
	s_waitcnt lgkmcnt(0)
	v_mul_f32_e32 v27, v26, v24
	v_mul_f32_e32 v24, v25, v24
	v_fma_f32 v25, v25, v23, -v27
	v_fmac_f32_e32 v24, v26, v23
	v_add_f32_e32 v2, v2, v25
	v_add_f32_e32 v3, v3, v24
.LBB68_651:
	s_or_b64 exec, exec, s[16:17]
	s_barrier
	s_and_saveexec_b64 s[16:17], s[70:71]
; %bb.652:
	ds_write_b64 v15, v[2:3]
; %bb.653:
	s_or_b64 exec, exec, s[16:17]
	s_waitcnt lgkmcnt(0)
	s_barrier
	s_and_saveexec_b64 s[16:17], s[72:73]
	s_cbranch_execz .LBB68_655
; %bb.654:
	ds_read_b64 v[23:24], v14 offset:22336
	ds_read_b64 v[25:26], v15
	s_waitcnt lgkmcnt(0)
	v_mul_f32_e32 v27, v26, v24
	v_mul_f32_e32 v24, v25, v24
	v_fma_f32 v25, v25, v23, -v27
	v_fmac_f32_e32 v24, v26, v23
	v_add_f32_e32 v2, v2, v25
	v_add_f32_e32 v3, v3, v24
.LBB68_655:
	s_or_b64 exec, exec, s[16:17]
	s_barrier
	s_and_saveexec_b64 s[16:17], s[74:75]
; %bb.656:
	ds_write_b64 v15, v[2:3]
; %bb.657:
	s_or_b64 exec, exec, s[16:17]
	s_waitcnt lgkmcnt(0)
	s_barrier
	s_and_saveexec_b64 s[16:17], s[76:77]
	s_cbranch_execz .LBB68_659
; %bb.658:
	ds_read_b64 v[23:24], v14 offset:22848
	ds_read_b64 v[25:26], v15
	s_waitcnt lgkmcnt(0)
	v_mul_f32_e32 v27, v26, v24
	v_mul_f32_e32 v24, v25, v24
	v_fma_f32 v25, v25, v23, -v27
	v_fmac_f32_e32 v24, v26, v23
	v_add_f32_e32 v2, v2, v25
	v_add_f32_e32 v3, v3, v24
.LBB68_659:
	s_or_b64 exec, exec, s[16:17]
	s_barrier
	s_and_saveexec_b64 s[16:17], s[78:79]
; %bb.660:
	ds_write_b64 v15, v[2:3]
; %bb.661:
	s_or_b64 exec, exec, s[16:17]
	s_waitcnt lgkmcnt(0)
	s_barrier
	s_and_saveexec_b64 s[16:17], s[80:81]
	s_cbranch_execz .LBB68_663
; %bb.662:
	ds_read_b64 v[23:24], v14 offset:23360
	ds_read_b64 v[25:26], v15
	s_waitcnt lgkmcnt(0)
	v_mul_f32_e32 v27, v26, v24
	v_mul_f32_e32 v24, v25, v24
	v_fma_f32 v25, v25, v23, -v27
	v_fmac_f32_e32 v24, v26, v23
	v_add_f32_e32 v2, v2, v25
	v_add_f32_e32 v3, v3, v24
.LBB68_663:
	s_or_b64 exec, exec, s[16:17]
	s_barrier
	s_and_saveexec_b64 s[16:17], s[82:83]
; %bb.664:
	ds_write_b64 v15, v[2:3]
; %bb.665:
	s_or_b64 exec, exec, s[16:17]
	s_waitcnt lgkmcnt(0)
	s_barrier
	s_and_saveexec_b64 s[16:17], s[56:57]
	s_cbranch_execz .LBB68_667
; %bb.666:
	v_mov_b32_e32 v23, 0
	ds_read_b64 v[23:24], v23 offset:23928
	ds_read_b64 v[25:26], v15
	s_waitcnt lgkmcnt(0)
	v_mul_f32_e32 v27, v26, v24
	v_mul_f32_e32 v24, v25, v24
	v_fma_f32 v25, v25, v23, -v27
	v_fmac_f32_e32 v24, v26, v23
	v_add_f32_e32 v2, v2, v25
	v_add_f32_e32 v3, v3, v24
.LBB68_667:
	s_or_b64 exec, exec, s[16:17]
	s_barrier
	s_and_saveexec_b64 s[16:17], s[56:57]
; %bb.668:
	ds_write_b64 v15, v[2:3]
; %bb.669:
	s_or_b64 exec, exec, s[16:17]
	s_waitcnt lgkmcnt(0)
	s_barrier
	s_barrier
	s_and_saveexec_b64 s[16:17], s[12:13]
; %bb.670:
	v_xor_b32_e32 v3, 0x80000000, v3
	v_xor_b32_e32 v2, 0x80000000, v2
	ds_write_b64 v13, v[2:3] offset:16704
; %bb.671:
	s_or_b64 exec, exec, s[16:17]
	s_waitcnt lgkmcnt(0)
	s_barrier
	s_barrier
	s_and_saveexec_b64 s[16:17], s[84:85]
	s_cbranch_execz .LBB68_673
; %bb.672:
	v_lshlrev_b32_e32 v23, 9, v0
	ds_read_b64 v[2:3], v23 offset:16704
	s_movk_i32 s18, 0xfe08
	v_mad_i32_i24 v24, v0, s18, v23
	s_waitcnt lgkmcnt(0)
	ds_write_b64 v24, v[2:3] offset:20736
	ds_read_b64 v[2:3], v23 offset:16712
	s_waitcnt lgkmcnt(0)
	ds_write_b64 v24, v[2:3] offset:21248
	ds_read_b64 v[2:3], v23 offset:16720
	;; [unrolled: 3-line block ×7, first 2 shown]
	s_waitcnt lgkmcnt(0)
	ds_write_b64 v24, v[2:3] offset:24320
.LBB68_673:
	s_or_b64 exec, exec, s[16:17]
	s_waitcnt lgkmcnt(0)
	s_barrier
	s_and_saveexec_b64 s[16:17], vcc
	s_cbranch_execz .LBB68_675
; %bb.674:
	v_mov_b32_e32 v25, 0
	ds_read_b64 v[2:3], v25 offset:20808
	s_mov_b64 s[18:19], 0x3f800000
	v_mov_b32_e32 v24, s19
	v_mov_b32_e32 v23, s18
	s_movk_i32 s18, 0x140
	ds_write_b64 v25, v[23:24] offset:21320
	v_add_u32_e64 v25, s18, 0
	s_waitcnt lgkmcnt(1)
	ds_write2st64_b64 v25, v[23:24], v[2:3] offset0:40 offset1:41
.LBB68_675:
	s_or_b64 exec, exec, s[16:17]
	v_mov_b32_e32 v3, 0
	v_mov_b32_e32 v2, 0
	s_waitcnt lgkmcnt(0)
	s_barrier
	s_and_saveexec_b64 s[18:19], s[22:23]
	s_cbranch_execz .LBB68_679
; %bb.676:
	v_mul_u32_u24_e32 v23, 0x208, v6
	ds_read_b64 v[2:3], v4 offset:20816
	ds_read_b64 v[23:24], v23 offset:20800
	v_cmp_gt_u32_e64 s[16:17], 2, v7
	s_waitcnt lgkmcnt(0)
	v_mul_f32_e32 v25, v24, v3
	v_mul_f32_e32 v3, v23, v3
	v_fma_f32 v23, v23, v2, -v25
	v_fmac_f32_e32 v3, v24, v2
	v_add_f32_e32 v2, 0, v23
	v_add_f32_e32 v3, 0, v3
	s_and_saveexec_b64 s[20:21], s[16:17]
	s_cbranch_execz .LBB68_678
; %bb.677:
	v_lshlrev_b32_e32 v23, 3, v0
	v_mov_b32_e32 v25, 0
	ds_read_b64 v[23:24], v23 offset:21328
	ds_read_b64 v[25:26], v25 offset:20808
	s_waitcnt lgkmcnt(0)
	v_mul_f32_e32 v27, v26, v24
	v_mul_f32_e32 v24, v25, v24
	v_fma_f32 v25, v25, v23, -v27
	v_fmac_f32_e32 v24, v26, v23
	v_add_f32_e32 v2, v2, v25
	v_add_f32_e32 v3, v3, v24
.LBB68_678:
	s_or_b64 exec, exec, s[20:21]
	v_xor_b32_e32 v2, 0x80000000, v2
	v_xor_b32_e32 v3, 0x80000000, v3
.LBB68_679:
	s_or_b64 exec, exec, s[18:19]
	s_and_saveexec_b64 s[16:17], s[38:39]
; %bb.680:
	ds_write_b64 v5, v[2:3]
; %bb.681:
	s_or_b64 exec, exec, s[16:17]
	s_waitcnt lgkmcnt(0)
	s_barrier
	s_and_saveexec_b64 s[16:17], s[30:31]
	s_cbranch_execz .LBB68_683
; %bb.682:
	v_mov_b32_e32 v23, 0
	ds_read_b64 v[23:24], v23 offset:21848
	ds_read_b64 v[25:26], v5
	s_waitcnt lgkmcnt(0)
	v_mul_f32_e32 v27, v26, v24
	v_mul_f32_e32 v24, v25, v24
	v_fma_f32 v25, v25, v23, -v27
	v_fmac_f32_e32 v24, v26, v23
	v_add_f32_e32 v2, v2, v25
	v_add_f32_e32 v3, v3, v24
.LBB68_683:
	s_or_b64 exec, exec, s[16:17]
	s_barrier
	s_and_saveexec_b64 s[16:17], s[30:31]
; %bb.684:
	ds_write_b64 v5, v[2:3]
; %bb.685:
	s_or_b64 exec, exec, s[16:17]
	s_waitcnt lgkmcnt(0)
	s_barrier
	s_barrier
	s_and_saveexec_b64 s[16:17], s[22:23]
; %bb.686:
	v_xor_b32_e32 v3, 0x80000000, v3
	v_xor_b32_e32 v2, 0x80000000, v2
	ds_write_b64 v4, v[2:3] offset:20816
; %bb.687:
	s_or_b64 exec, exec, s[16:17]
	s_waitcnt lgkmcnt(0)
	s_barrier
	s_barrier
	s_and_saveexec_b64 s[16:17], s[40:41]
	s_cbranch_execz .LBB68_689
; %bb.688:
	v_lshlrev_b32_e32 v23, 3, v0
	s_movk_i32 s18, 0x1f8
	v_mad_u32_u24 v24, v0, s18, v23
	ds_read_b64 v[2:3], v24 offset:20816
	s_waitcnt lgkmcnt(0)
	ds_write_b64 v23, v[2:3] offset:21824
	ds_read_b64 v[2:3], v24 offset:20824
	s_waitcnt lgkmcnt(0)
	ds_write_b64 v23, v[2:3] offset:22336
.LBB68_689:
	s_or_b64 exec, exec, s[16:17]
	s_waitcnt lgkmcnt(0)
	s_barrier
	s_and_saveexec_b64 s[16:17], vcc
	s_cbranch_execz .LBB68_691
; %bb.690:
	v_mov_b32_e32 v25, 0
	ds_read_b64 v[2:3], v25 offset:21848
	s_mov_b64 s[18:19], 0x3f800000
	v_mov_b32_e32 v24, s19
	v_mov_b32_e32 v23, s18
	s_movk_i32 s18, 0x150
	ds_write_b64 v25, v[23:24] offset:22360
	v_add_u32_e64 v25, s18, 0
	s_waitcnt lgkmcnt(1)
	ds_write2st64_b64 v25, v[23:24], v[2:3] offset0:42 offset1:43
.LBB68_691:
	s_or_b64 exec, exec, s[16:17]
	v_mov_b32_e32 v3, 0
	v_mov_b32_e32 v2, 0
	s_waitcnt lgkmcnt(0)
	s_barrier
	s_and_saveexec_b64 s[18:19], s[10:11]
	s_cbranch_execz .LBB68_697
; %bb.692:
	v_mul_u32_u24_e32 v23, 0x208, v12
	ds_read_b64 v[2:3], v8 offset:20832
	ds_read_b64 v[24:25], v23 offset:20800
	v_cmp_gt_u32_e64 s[16:17], 12, v7
	s_waitcnt lgkmcnt(0)
	v_mul_f32_e32 v26, v25, v3
	v_mul_f32_e32 v3, v24, v3
	v_fma_f32 v24, v24, v2, -v26
	v_fmac_f32_e32 v3, v25, v2
	v_add_f32_e32 v2, 0, v24
	v_add_f32_e32 v3, 0, v3
	s_and_saveexec_b64 s[20:21], s[16:17]
	s_cbranch_execnz .LBB68_1084
; %bb.693:
	s_or_b64 exec, exec, s[20:21]
	v_cmp_gt_u32_e64 s[16:17], 8, v7
	s_and_saveexec_b64 s[20:21], s[16:17]
	s_cbranch_execnz .LBB68_1085
.LBB68_694:
	s_or_b64 exec, exec, s[20:21]
	v_cmp_gt_u32_e64 s[16:17], 4, v7
	s_and_saveexec_b64 s[20:21], s[16:17]
	s_cbranch_execz .LBB68_696
.LBB68_695:
	v_lshlrev_b32_e32 v23, 3, v0
	v_mov_b32_e32 v25, 0
	ds_read_b64 v[23:24], v23 offset:22368
	ds_read_b64 v[25:26], v25 offset:20824
	s_waitcnt lgkmcnt(0)
	v_mul_f32_e32 v27, v26, v24
	v_mul_f32_e32 v24, v25, v24
	v_fma_f32 v25, v25, v23, -v27
	v_fmac_f32_e32 v24, v26, v23
	v_add_f32_e32 v2, v2, v25
	v_add_f32_e32 v3, v3, v24
.LBB68_696:
	s_or_b64 exec, exec, s[20:21]
	v_xor_b32_e32 v2, 0x80000000, v2
	v_xor_b32_e32 v3, 0x80000000, v3
.LBB68_697:
	s_or_b64 exec, exec, s[18:19]
	s_and_saveexec_b64 s[16:17], s[44:45]
; %bb.698:
	ds_write_b64 v10, v[2:3]
; %bb.699:
	s_or_b64 exec, exec, s[16:17]
	s_waitcnt lgkmcnt(0)
	s_barrier
	s_and_saveexec_b64 s[16:17], s[46:47]
	s_cbranch_execz .LBB68_701
; %bb.700:
	ds_read_b64 v[23:24], v9 offset:22880
	ds_read_b64 v[25:26], v10
	s_waitcnt lgkmcnt(0)
	v_mul_f32_e32 v27, v26, v24
	v_mul_f32_e32 v24, v25, v24
	v_fma_f32 v25, v25, v23, -v27
	v_fmac_f32_e32 v24, v26, v23
	v_add_f32_e32 v2, v2, v25
	v_add_f32_e32 v3, v3, v24
.LBB68_701:
	s_or_b64 exec, exec, s[16:17]
	s_barrier
	s_and_saveexec_b64 s[16:17], s[48:49]
; %bb.702:
	ds_write_b64 v10, v[2:3]
; %bb.703:
	s_or_b64 exec, exec, s[16:17]
	s_waitcnt lgkmcnt(0)
	s_barrier
	s_and_saveexec_b64 s[16:17], s[50:51]
	s_cbranch_execz .LBB68_705
; %bb.704:
	ds_read_b64 v[23:24], v9 offset:23392
	ds_read_b64 v[25:26], v10
	s_waitcnt lgkmcnt(0)
	v_mul_f32_e32 v27, v26, v24
	v_mul_f32_e32 v24, v25, v24
	v_fma_f32 v25, v25, v23, -v27
	v_fmac_f32_e32 v24, v26, v23
	v_add_f32_e32 v2, v2, v25
	v_add_f32_e32 v3, v3, v24
.LBB68_705:
	s_or_b64 exec, exec, s[16:17]
	s_barrier
	s_and_saveexec_b64 s[16:17], s[52:53]
; %bb.706:
	ds_write_b64 v10, v[2:3]
; %bb.707:
	s_or_b64 exec, exec, s[16:17]
	s_waitcnt lgkmcnt(0)
	s_barrier
	s_and_saveexec_b64 s[16:17], s[42:43]
	s_cbranch_execz .LBB68_709
; %bb.708:
	v_mov_b32_e32 v23, 0
	ds_read_b64 v[23:24], v23 offset:23928
	ds_read_b64 v[25:26], v10
	s_waitcnt lgkmcnt(0)
	v_mul_f32_e32 v27, v26, v24
	v_mul_f32_e32 v24, v25, v24
	v_fma_f32 v25, v25, v23, -v27
	v_fmac_f32_e32 v24, v26, v23
	v_add_f32_e32 v2, v2, v25
	v_add_f32_e32 v3, v3, v24
.LBB68_709:
	s_or_b64 exec, exec, s[16:17]
	s_barrier
	s_and_saveexec_b64 s[16:17], s[42:43]
; %bb.710:
	ds_write_b64 v10, v[2:3]
; %bb.711:
	s_or_b64 exec, exec, s[16:17]
	s_waitcnt lgkmcnt(0)
	s_barrier
	s_barrier
	s_and_saveexec_b64 s[16:17], s[10:11]
; %bb.712:
	v_xor_b32_e32 v2, 0x80000000, v2
	v_xor_b32_e32 v3, 0x80000000, v3
	ds_write_b64 v8, v[2:3] offset:20832
; %bb.713:
	s_or_b64 exec, exec, s[16:17]
	s_waitcnt lgkmcnt(0)
	s_barrier
	s_barrier
	s_and_saveexec_b64 s[16:17], s[54:55]
	s_cbranch_execz .LBB68_715
; %bb.714:
	v_lshlrev_b32_e32 v23, 9, v0
	ds_read_b64 v[2:3], v23 offset:20832
	s_movk_i32 s18, 0xfe08
	v_mad_i32_i24 v24, v0, s18, v23
	s_waitcnt lgkmcnt(0)
	ds_write_b64 v24, v[2:3] offset:22848
	ds_read_b64 v[2:3], v23 offset:20840
	s_waitcnt lgkmcnt(0)
	ds_write_b64 v24, v[2:3] offset:23360
	ds_read_b64 v[2:3], v23 offset:20848
	;; [unrolled: 3-line block ×3, first 2 shown]
	s_waitcnt lgkmcnt(0)
	ds_write_b64 v24, v[2:3] offset:24384
.LBB68_715:
	s_or_b64 exec, exec, s[16:17]
	s_waitcnt lgkmcnt(0)
	s_barrier
	s_and_saveexec_b64 s[16:17], vcc
	s_cbranch_execz .LBB68_717
; %bb.716:
	v_mov_b32_e32 v25, 0
	ds_read_b64 v[2:3], v25 offset:22888
	s_mov_b64 s[18:19], 0x3f800000
	v_mov_b32_e32 v24, s19
	v_mov_b32_e32 v23, s18
	s_movk_i32 s18, 0x160
	ds_write_b64 v25, v[23:24] offset:23400
	v_add_u32_e64 v25, s18, 0
	s_waitcnt lgkmcnt(1)
	ds_write2st64_b64 v25, v[23:24], v[2:3] offset0:44 offset1:45
.LBB68_717:
	s_or_b64 exec, exec, s[16:17]
	v_mov_b32_e32 v3, 0
	v_mov_b32_e32 v2, 0
	s_waitcnt lgkmcnt(0)
	s_barrier
	s_and_saveexec_b64 s[18:19], s[22:23]
	s_cbranch_execz .LBB68_721
; %bb.718:
	v_mul_u32_u24_e32 v23, 0x208, v6
	ds_read_b64 v[2:3], v4 offset:22896
	ds_read_b64 v[23:24], v23 offset:22880
	v_cmp_gt_u32_e64 s[16:17], 2, v7
	s_waitcnt lgkmcnt(0)
	v_mul_f32_e32 v25, v24, v3
	v_mul_f32_e32 v3, v23, v3
	v_fma_f32 v23, v23, v2, -v25
	v_fmac_f32_e32 v3, v24, v2
	v_add_f32_e32 v2, 0, v23
	v_add_f32_e32 v3, 0, v3
	s_and_saveexec_b64 s[20:21], s[16:17]
	s_cbranch_execz .LBB68_720
; %bb.719:
	v_lshlrev_b32_e32 v23, 3, v0
	v_mov_b32_e32 v25, 0
	ds_read_b64 v[23:24], v23 offset:23408
	ds_read_b64 v[25:26], v25 offset:22888
	s_waitcnt lgkmcnt(0)
	v_mul_f32_e32 v27, v26, v24
	v_mul_f32_e32 v24, v25, v24
	v_fma_f32 v25, v25, v23, -v27
	v_fmac_f32_e32 v24, v26, v23
	v_add_f32_e32 v2, v2, v25
	v_add_f32_e32 v3, v3, v24
.LBB68_720:
	s_or_b64 exec, exec, s[20:21]
	v_xor_b32_e32 v2, 0x80000000, v2
	v_xor_b32_e32 v3, 0x80000000, v3
.LBB68_721:
	s_or_b64 exec, exec, s[18:19]
	s_and_saveexec_b64 s[16:17], s[38:39]
; %bb.722:
	ds_write_b64 v5, v[2:3]
; %bb.723:
	s_or_b64 exec, exec, s[16:17]
	s_waitcnt lgkmcnt(0)
	s_barrier
	s_and_saveexec_b64 s[16:17], s[30:31]
	s_cbranch_execz .LBB68_725
; %bb.724:
	v_mov_b32_e32 v23, 0
	ds_read_b64 v[23:24], v23 offset:23928
	ds_read_b64 v[25:26], v5
	s_waitcnt lgkmcnt(0)
	v_mul_f32_e32 v27, v26, v24
	v_mul_f32_e32 v24, v25, v24
	v_fma_f32 v25, v25, v23, -v27
	v_fmac_f32_e32 v24, v26, v23
	v_add_f32_e32 v2, v2, v25
	v_add_f32_e32 v3, v3, v24
.LBB68_725:
	s_or_b64 exec, exec, s[16:17]
	s_barrier
	s_and_saveexec_b64 s[16:17], s[30:31]
; %bb.726:
	ds_write_b64 v5, v[2:3]
; %bb.727:
	s_or_b64 exec, exec, s[16:17]
	s_waitcnt lgkmcnt(0)
	s_barrier
	s_barrier
	s_and_saveexec_b64 s[16:17], s[22:23]
; %bb.728:
	v_xor_b32_e32 v3, 0x80000000, v3
	v_xor_b32_e32 v2, 0x80000000, v2
	ds_write_b64 v4, v[2:3] offset:22896
; %bb.729:
	s_or_b64 exec, exec, s[16:17]
	s_waitcnt lgkmcnt(0)
	s_barrier
	s_barrier
	s_and_saveexec_b64 s[16:17], s[40:41]
	s_cbranch_execz .LBB68_731
; %bb.730:
	v_lshlrev_b32_e32 v23, 3, v0
	s_movk_i32 s18, 0x1f8
	v_mad_u32_u24 v24, v0, s18, v23
	ds_read_b64 v[2:3], v24 offset:22896
	s_waitcnt lgkmcnt(0)
	ds_write_b64 v23, v[2:3] offset:23904
	ds_read_b64 v[2:3], v24 offset:22904
	s_waitcnt lgkmcnt(0)
	ds_write_b64 v23, v[2:3] offset:24416
.LBB68_731:
	s_or_b64 exec, exec, s[16:17]
	s_waitcnt lgkmcnt(0)
	s_barrier
	s_and_saveexec_b64 s[16:17], vcc
	s_cbranch_execz .LBB68_733
; %bb.732:
	v_mov_b32_e32 v25, 0
	ds_read_b64 v[2:3], v25 offset:23928
	s_mov_b64 s[18:19], 0x3f800000
	v_mov_b32_e32 v24, s19
	v_mov_b32_e32 v23, s18
	s_movk_i32 s18, 0x170
	ds_write_b64 v25, v[23:24] offset:24440
	v_add_u32_e64 v25, s18, 0
	s_waitcnt lgkmcnt(1)
	ds_write2st64_b64 v25, v[23:24], v[2:3] offset0:46 offset1:47
.LBB68_733:
	s_or_b64 exec, exec, s[16:17]
	v_mov_b32_e32 v3, 0
	v_mov_b32_e32 v2, 0
	s_waitcnt lgkmcnt(0)
	s_barrier
	s_and_saveexec_b64 s[18:19], s[14:15]
	s_cbranch_execz .LBB68_761
; %bb.734:
	v_mul_u32_u24_e32 v23, 0x208, v22
	ds_read_b64 v[2:3], v18 offset:16768
	ds_read_b64 v[24:25], v23 offset:16640
	s_movk_i32 s16, 0xf0
	v_cmp_gt_u32_e64 s[16:17], s16, v7
	s_waitcnt lgkmcnt(0)
	v_mul_f32_e32 v26, v25, v3
	v_mul_f32_e32 v3, v24, v3
	v_fma_f32 v24, v24, v2, -v26
	v_fmac_f32_e32 v3, v25, v2
	v_add_f32_e32 v2, 0, v24
	v_add_f32_e32 v3, 0, v3
	s_and_saveexec_b64 s[20:21], s[16:17]
	s_cbranch_execz .LBB68_736
; %bb.735:
	v_lshlrev_b32_e32 v24, 3, v22
	v_sub_u32_e32 v24, v23, v24
	v_lshl_add_u32 v24, v19, 3, v24
	ds_read_b64 v[24:25], v24 offset:17280
	ds_read_b64 v[26:27], v23 offset:16648
	s_waitcnt lgkmcnt(0)
	v_mul_f32_e32 v28, v27, v25
	v_mul_f32_e32 v25, v26, v25
	v_fma_f32 v26, v26, v24, -v28
	v_fmac_f32_e32 v25, v27, v24
	v_add_f32_e32 v2, v2, v26
	v_add_f32_e32 v3, v3, v25
.LBB68_736:
	s_or_b64 exec, exec, s[20:21]
	s_movk_i32 s16, 0xe0
	v_cmp_gt_u32_e64 s[16:17], s16, v7
	s_and_saveexec_b64 s[20:21], s[16:17]
	s_cbranch_execz .LBB68_738
; %bb.737:
	v_lshlrev_b32_e32 v24, 3, v22
	v_sub_u32_e32 v24, v23, v24
	v_lshl_add_u32 v24, v19, 3, v24
	ds_read_b64 v[24:25], v24 offset:17792
	ds_read_b64 v[26:27], v23 offset:16656
	s_waitcnt lgkmcnt(0)
	v_mul_f32_e32 v28, v27, v25
	v_mul_f32_e32 v25, v26, v25
	v_fma_f32 v26, v26, v24, -v28
	v_fmac_f32_e32 v25, v27, v24
	v_add_f32_e32 v2, v2, v26
	v_add_f32_e32 v3, v3, v25
.LBB68_738:
	s_or_b64 exec, exec, s[20:21]
	s_movk_i32 s16, 0xd0
	v_cmp_gt_u32_e64 s[16:17], s16, v7
	;; [unrolled: 19-line block ×6, first 2 shown]
	s_and_saveexec_b64 s[20:21], s[16:17]
	s_cbranch_execz .LBB68_748
; %bb.747:
	v_lshlrev_b32_e32 v22, 3, v19
	v_lshl_add_u32 v22, v21, 3, v22
	ds_read_b64 v[24:25], v22 offset:20352
	ds_read_b64 v[26:27], v23 offset:16696
	s_waitcnt lgkmcnt(0)
	v_mul_f32_e32 v22, v27, v25
	v_mul_f32_e32 v25, v26, v25
	v_fma_f32 v22, v26, v24, -v22
	v_fmac_f32_e32 v25, v27, v24
	v_add_f32_e32 v2, v2, v22
	v_add_f32_e32 v3, v3, v25
.LBB68_748:
	s_or_b64 exec, exec, s[20:21]
	s_movk_i32 s16, 0x80
	v_cmp_gt_u32_e64 s[16:17], s16, v7
	s_and_saveexec_b64 s[20:21], s[16:17]
	s_cbranch_execz .LBB68_750
; %bb.749:
	ds_read_b64 v[24:25], v18 offset:20864
	ds_read_b64 v[26:27], v23 offset:16704
	s_waitcnt lgkmcnt(0)
	v_mul_f32_e32 v22, v27, v25
	v_mul_f32_e32 v25, v26, v25
	v_fma_f32 v22, v26, v24, -v22
	v_fmac_f32_e32 v25, v27, v24
	v_add_f32_e32 v2, v2, v22
	v_add_f32_e32 v3, v3, v25
.LBB68_750:
	s_or_b64 exec, exec, s[20:21]
	s_movk_i32 s16, 0x70
	v_cmp_gt_u32_e64 s[16:17], s16, v7
	s_and_saveexec_b64 s[20:21], s[16:17]
	s_cbranch_execz .LBB68_752
; %bb.751:
	v_lshlrev_b32_e32 v22, 3, v19
	v_lshl_add_u32 v22, v21, 3, v22
	ds_read_b64 v[24:25], v22 offset:21376
	ds_read_b64 v[26:27], v23 offset:16712
	s_waitcnt lgkmcnt(0)
	v_mul_f32_e32 v22, v27, v25
	v_mul_f32_e32 v25, v26, v25
	v_fma_f32 v22, v26, v24, -v22
	v_fmac_f32_e32 v25, v27, v24
	v_add_f32_e32 v2, v2, v22
	v_add_f32_e32 v3, v3, v25
.LBB68_752:
	s_or_b64 exec, exec, s[20:21]
	s_movk_i32 s16, 0x60
	v_cmp_gt_u32_e64 s[16:17], s16, v7
	s_and_saveexec_b64 s[20:21], s[16:17]
	s_cbranch_execz .LBB68_754
; %bb.753:
	v_lshlrev_b32_e32 v22, 3, v19
	v_lshl_add_u32 v22, v21, 3, v22
	ds_read_b64 v[24:25], v22 offset:21888
	ds_read_b64 v[26:27], v23 offset:16720
	s_waitcnt lgkmcnt(0)
	v_mul_f32_e32 v22, v27, v25
	v_mul_f32_e32 v25, v26, v25
	v_fma_f32 v22, v26, v24, -v22
	v_fmac_f32_e32 v25, v27, v24
	v_add_f32_e32 v2, v2, v22
	v_add_f32_e32 v3, v3, v25
.LBB68_754:
	s_or_b64 exec, exec, s[20:21]
	s_movk_i32 s16, 0x50
	v_cmp_gt_u32_e64 s[16:17], s16, v7
	s_and_saveexec_b64 s[20:21], s[16:17]
	s_cbranch_execnz .LBB68_1086
; %bb.755:
	s_or_b64 exec, exec, s[20:21]
	v_cmp_gt_u32_e64 s[16:17], 64, v7
	s_and_saveexec_b64 s[20:21], s[16:17]
	s_cbranch_execnz .LBB68_1087
.LBB68_756:
	s_or_b64 exec, exec, s[20:21]
	v_cmp_gt_u32_e64 s[16:17], 48, v7
	s_and_saveexec_b64 s[20:21], s[16:17]
	s_cbranch_execnz .LBB68_1088
.LBB68_757:
	s_or_b64 exec, exec, s[20:21]
	v_cmp_gt_u32_e64 s[16:17], 32, v7
	s_and_saveexec_b64 s[20:21], s[16:17]
	s_cbranch_execnz .LBB68_1089
.LBB68_758:
	s_or_b64 exec, exec, s[20:21]
	v_cmp_gt_u32_e64 s[16:17], 16, v7
	s_and_saveexec_b64 s[20:21], s[16:17]
	s_cbranch_execz .LBB68_760
.LBB68_759:
	v_lshlrev_b32_e32 v21, 3, v0
	v_mov_b32_e32 v23, 0
	ds_read_b64 v[21:22], v21 offset:24448
	ds_read_b64 v[23:24], v23 offset:16760
	s_waitcnt lgkmcnt(0)
	v_mul_f32_e32 v25, v24, v22
	v_mul_f32_e32 v22, v23, v22
	v_fma_f32 v23, v23, v21, -v25
	v_fmac_f32_e32 v22, v24, v21
	v_add_f32_e32 v2, v2, v23
	v_add_f32_e32 v3, v3, v22
.LBB68_760:
	s_or_b64 exec, exec, s[20:21]
	v_xor_b32_e32 v2, 0x80000000, v2
	v_xor_b32_e32 v3, 0x80000000, v3
.LBB68_761:
	s_or_b64 exec, exec, s[18:19]
	s_mov_b64 s[16:17], exec
	v_readlane_b32 s18, v34, 2
	v_readlane_b32 s19, v34, 3
	s_and_b64 s[18:19], s[16:17], s[18:19]
	s_mov_b64 exec, s[18:19]
; %bb.762:
	ds_write_b64 v20, v[2:3]
; %bb.763:
	s_or_b64 exec, exec, s[16:17]
	s_waitcnt lgkmcnt(0)
	s_barrier
	s_mov_b64 s[16:17], exec
	v_readlane_b32 s18, v34, 4
	v_readlane_b32 s19, v34, 5
	s_and_b64 s[18:19], s[16:17], s[18:19]
	s_mov_b64 exec, s[18:19]
	s_cbranch_execz .LBB68_765
; %bb.764:
	v_lshlrev_b32_e32 v21, 3, v19
	ds_read_b64 v[21:22], v21 offset:24960
	ds_read_b64 v[23:24], v20
	s_waitcnt lgkmcnt(0)
	v_mul_f32_e32 v25, v24, v22
	v_mul_f32_e32 v22, v23, v22
	v_fma_f32 v23, v23, v21, -v25
	v_fmac_f32_e32 v22, v24, v21
	v_add_f32_e32 v2, v2, v23
	v_add_f32_e32 v3, v3, v22
.LBB68_765:
	s_or_b64 exec, exec, s[16:17]
	s_barrier
	s_mov_b64 s[16:17], exec
	v_readlane_b32 s18, v34, 6
	v_readlane_b32 s19, v34, 7
	s_and_b64 s[18:19], s[16:17], s[18:19]
	s_mov_b64 exec, s[18:19]
; %bb.766:
	ds_write_b64 v20, v[2:3]
; %bb.767:
	s_or_b64 exec, exec, s[16:17]
	s_waitcnt lgkmcnt(0)
	s_barrier
	s_mov_b64 s[16:17], exec
	v_readlane_b32 s18, v34, 8
	v_readlane_b32 s19, v34, 9
	s_and_b64 s[18:19], s[16:17], s[18:19]
	s_mov_b64 exec, s[18:19]
	s_cbranch_execz .LBB68_769
; %bb.768:
	v_lshlrev_b32_e32 v21, 3, v19
	ds_read_b64 v[21:22], v21 offset:25472
	ds_read_b64 v[23:24], v20
	s_waitcnt lgkmcnt(0)
	v_mul_f32_e32 v25, v24, v22
	v_mul_f32_e32 v22, v23, v22
	v_fma_f32 v23, v23, v21, -v25
	v_fmac_f32_e32 v22, v24, v21
	v_add_f32_e32 v2, v2, v23
	v_add_f32_e32 v3, v3, v22
.LBB68_769:
	s_or_b64 exec, exec, s[16:17]
	s_barrier
	;; [unrolled: 31-line block ×13, first 2 shown]
	s_mov_b64 s[16:17], exec
	v_readlane_b32 s18, v34, 54
	v_readlane_b32 s19, v34, 55
	s_and_b64 s[18:19], s[16:17], s[18:19]
	s_mov_b64 exec, s[18:19]
; %bb.814:
	ds_write_b64 v20, v[2:3]
; %bb.815:
	s_or_b64 exec, exec, s[16:17]
	s_waitcnt lgkmcnt(0)
	s_barrier
	s_and_saveexec_b64 s[16:17], s[6:7]
	s_cbranch_execz .LBB68_817
; %bb.816:
	v_lshlrev_b32_e32 v19, 3, v19
	ds_read_b64 v[21:22], v19 offset:31616
	ds_read_b64 v[23:24], v20
	s_waitcnt lgkmcnt(0)
	v_mul_f32_e32 v19, v24, v22
	v_mul_f32_e32 v22, v23, v22
	v_fma_f32 v19, v23, v21, -v19
	v_fmac_f32_e32 v22, v24, v21
	v_add_f32_e32 v2, v2, v19
	v_add_f32_e32 v3, v3, v22
.LBB68_817:
	s_or_b64 exec, exec, s[16:17]
	s_barrier
	s_and_saveexec_b64 s[6:7], s[96:97]
; %bb.818:
	ds_write_b64 v20, v[2:3]
; %bb.819:
	s_or_b64 exec, exec, s[6:7]
	s_waitcnt lgkmcnt(0)
	s_barrier
	s_and_saveexec_b64 s[6:7], s[94:95]
	s_cbranch_execz .LBB68_821
; %bb.820:
	v_mov_b32_e32 v19, 0
	ds_read_b64 v[21:22], v19 offset:32248
	ds_read_b64 v[23:24], v20
	s_waitcnt lgkmcnt(0)
	v_mul_f32_e32 v19, v24, v22
	v_mul_f32_e32 v22, v23, v22
	v_fma_f32 v19, v23, v21, -v19
	v_fmac_f32_e32 v22, v24, v21
	v_add_f32_e32 v2, v2, v19
	v_add_f32_e32 v3, v3, v22
.LBB68_821:
	s_or_b64 exec, exec, s[6:7]
	s_barrier
	s_and_saveexec_b64 s[6:7], s[94:95]
; %bb.822:
	ds_write_b64 v20, v[2:3]
; %bb.823:
	s_or_b64 exec, exec, s[6:7]
	s_waitcnt lgkmcnt(0)
	s_barrier
	s_barrier
	s_and_saveexec_b64 s[6:7], s[14:15]
; %bb.824:
	v_xor_b32_e32 v2, 0x80000000, v2
	v_xor_b32_e32 v3, 0x80000000, v3
	ds_write_b64 v18, v[2:3] offset:16768
; %bb.825:
	s_or_b64 exec, exec, s[6:7]
	s_waitcnt lgkmcnt(0)
	s_barrier
	s_barrier
	s_and_saveexec_b64 s[6:7], s[86:87]
	s_cbranch_execz .LBB68_827
; %bb.826:
	v_lshlrev_b32_e32 v18, 9, v0
	ds_read_b64 v[2:3], v18 offset:16768
	s_movk_i32 s14, 0xfe08
	v_mad_i32_i24 v19, v0, s14, v18
	s_waitcnt lgkmcnt(0)
	ds_write_b64 v19, v[2:3] offset:24832
	ds_read_b64 v[2:3], v18 offset:16776
	s_waitcnt lgkmcnt(0)
	ds_write_b64 v19, v[2:3] offset:25344
	ds_read_b64 v[2:3], v18 offset:16784
	;; [unrolled: 3-line block ×15, first 2 shown]
	s_waitcnt lgkmcnt(0)
	ds_write_b64 v19, v[2:3] offset:32512
.LBB68_827:
	s_or_b64 exec, exec, s[6:7]
	s_waitcnt lgkmcnt(0)
	s_barrier
	s_and_saveexec_b64 s[6:7], vcc
	s_cbranch_execz .LBB68_829
; %bb.828:
	v_mov_b32_e32 v20, 0
	ds_read_b64 v[2:3], v20 offset:24968
	s_mov_b64 s[14:15], 0x3f800000
	v_mov_b32_e32 v19, s15
	v_mov_b32_e32 v18, s14
	s_movk_i32 s14, 0x180
	ds_write_b64 v20, v[18:19] offset:25480
	v_add_u32_e64 v20, s14, 0
	s_waitcnt lgkmcnt(1)
	ds_write2st64_b64 v20, v[18:19], v[2:3] offset0:48 offset1:49
.LBB68_829:
	s_or_b64 exec, exec, s[6:7]
	v_mov_b32_e32 v3, 0
	v_mov_b32_e32 v2, 0
	s_waitcnt lgkmcnt(0)
	s_barrier
	s_and_saveexec_b64 s[6:7], s[22:23]
	s_cbranch_execz .LBB68_833
; %bb.830:
	v_mul_u32_u24_e32 v18, 0x208, v6
	ds_read_b64 v[2:3], v4 offset:24976
	ds_read_b64 v[18:19], v18 offset:24960
	v_cmp_gt_u32_e64 s[14:15], 2, v7
	s_waitcnt lgkmcnt(0)
	v_mul_f32_e32 v20, v19, v3
	v_mul_f32_e32 v3, v18, v3
	v_fma_f32 v18, v18, v2, -v20
	v_fmac_f32_e32 v3, v19, v2
	v_add_f32_e32 v2, 0, v18
	v_add_f32_e32 v3, 0, v3
	s_and_saveexec_b64 s[16:17], s[14:15]
	s_cbranch_execz .LBB68_832
; %bb.831:
	v_lshlrev_b32_e32 v18, 3, v0
	v_mov_b32_e32 v20, 0
	ds_read_b64 v[18:19], v18 offset:25488
	ds_read_b64 v[20:21], v20 offset:24968
	s_waitcnt lgkmcnt(0)
	v_mul_f32_e32 v22, v21, v19
	v_mul_f32_e32 v19, v20, v19
	v_fma_f32 v20, v20, v18, -v22
	v_fmac_f32_e32 v19, v21, v18
	v_add_f32_e32 v2, v2, v20
	v_add_f32_e32 v3, v3, v19
.LBB68_832:
	s_or_b64 exec, exec, s[16:17]
	v_xor_b32_e32 v2, 0x80000000, v2
	v_xor_b32_e32 v3, 0x80000000, v3
.LBB68_833:
	s_or_b64 exec, exec, s[6:7]
	s_and_saveexec_b64 s[6:7], s[38:39]
; %bb.834:
	ds_write_b64 v5, v[2:3]
; %bb.835:
	s_or_b64 exec, exec, s[6:7]
	s_waitcnt lgkmcnt(0)
	s_barrier
	s_and_saveexec_b64 s[6:7], s[30:31]
	s_cbranch_execz .LBB68_837
; %bb.836:
	v_mov_b32_e32 v18, 0
	ds_read_b64 v[18:19], v18 offset:26008
	ds_read_b64 v[20:21], v5
	s_waitcnt lgkmcnt(0)
	v_mul_f32_e32 v22, v21, v19
	v_mul_f32_e32 v19, v20, v19
	v_fma_f32 v20, v20, v18, -v22
	v_fmac_f32_e32 v19, v21, v18
	v_add_f32_e32 v2, v2, v20
	v_add_f32_e32 v3, v3, v19
.LBB68_837:
	s_or_b64 exec, exec, s[6:7]
	s_barrier
	s_and_saveexec_b64 s[6:7], s[30:31]
; %bb.838:
	ds_write_b64 v5, v[2:3]
; %bb.839:
	s_or_b64 exec, exec, s[6:7]
	s_waitcnt lgkmcnt(0)
	s_barrier
	s_barrier
	s_and_saveexec_b64 s[6:7], s[22:23]
; %bb.840:
	v_xor_b32_e32 v3, 0x80000000, v3
	v_xor_b32_e32 v2, 0x80000000, v2
	ds_write_b64 v4, v[2:3] offset:24976
; %bb.841:
	s_or_b64 exec, exec, s[6:7]
	s_waitcnt lgkmcnt(0)
	s_barrier
	s_barrier
	s_and_saveexec_b64 s[6:7], s[40:41]
	s_cbranch_execz .LBB68_843
; %bb.842:
	v_lshlrev_b32_e32 v18, 3, v0
	s_movk_i32 s14, 0x1f8
	v_mad_u32_u24 v19, v0, s14, v18
	ds_read_b64 v[2:3], v19 offset:24976
	s_waitcnt lgkmcnt(0)
	ds_write_b64 v18, v[2:3] offset:25984
	ds_read_b64 v[2:3], v19 offset:24984
	s_waitcnt lgkmcnt(0)
	ds_write_b64 v18, v[2:3] offset:26496
.LBB68_843:
	s_or_b64 exec, exec, s[6:7]
	s_waitcnt lgkmcnt(0)
	s_barrier
	s_and_saveexec_b64 s[6:7], vcc
	s_cbranch_execz .LBB68_845
; %bb.844:
	v_mov_b32_e32 v20, 0
	ds_read_b64 v[2:3], v20 offset:26008
	s_mov_b64 s[14:15], 0x3f800000
	v_mov_b32_e32 v19, s15
	v_mov_b32_e32 v18, s14
	s_movk_i32 s14, 0x190
	ds_write_b64 v20, v[18:19] offset:26520
	v_add_u32_e64 v20, s14, 0
	s_waitcnt lgkmcnt(1)
	ds_write2st64_b64 v20, v[18:19], v[2:3] offset0:50 offset1:51
.LBB68_845:
	s_or_b64 exec, exec, s[6:7]
	v_mov_b32_e32 v3, 0
	v_mov_b32_e32 v2, 0
	s_waitcnt lgkmcnt(0)
	s_barrier
	s_and_saveexec_b64 s[6:7], s[10:11]
	s_cbranch_execz .LBB68_851
; %bb.846:
	v_mul_u32_u24_e32 v18, 0x208, v12
	ds_read_b64 v[2:3], v8 offset:24992
	ds_read_b64 v[19:20], v18 offset:24960
	v_cmp_gt_u32_e64 s[14:15], 12, v7
	s_waitcnt lgkmcnt(0)
	v_mul_f32_e32 v21, v20, v3
	v_mul_f32_e32 v3, v19, v3
	v_fma_f32 v19, v19, v2, -v21
	v_fmac_f32_e32 v3, v20, v2
	v_add_f32_e32 v2, 0, v19
	v_add_f32_e32 v3, 0, v3
	s_and_saveexec_b64 s[16:17], s[14:15]
	s_cbranch_execnz .LBB68_1090
; %bb.847:
	s_or_b64 exec, exec, s[16:17]
	v_cmp_gt_u32_e64 s[14:15], 8, v7
	s_and_saveexec_b64 s[16:17], s[14:15]
	s_cbranch_execnz .LBB68_1091
.LBB68_848:
	s_or_b64 exec, exec, s[16:17]
	v_cmp_gt_u32_e64 s[14:15], 4, v7
	s_and_saveexec_b64 s[16:17], s[14:15]
	s_cbranch_execz .LBB68_850
.LBB68_849:
	v_lshlrev_b32_e32 v18, 3, v0
	v_mov_b32_e32 v20, 0
	ds_read_b64 v[18:19], v18 offset:26528
	ds_read_b64 v[20:21], v20 offset:24984
	s_waitcnt lgkmcnt(0)
	v_mul_f32_e32 v22, v21, v19
	v_mul_f32_e32 v19, v20, v19
	v_fma_f32 v20, v20, v18, -v22
	v_fmac_f32_e32 v19, v21, v18
	v_add_f32_e32 v2, v2, v20
	v_add_f32_e32 v3, v3, v19
.LBB68_850:
	s_or_b64 exec, exec, s[16:17]
	v_xor_b32_e32 v2, 0x80000000, v2
	v_xor_b32_e32 v3, 0x80000000, v3
.LBB68_851:
	s_or_b64 exec, exec, s[6:7]
	s_and_saveexec_b64 s[6:7], s[44:45]
; %bb.852:
	ds_write_b64 v10, v[2:3]
; %bb.853:
	s_or_b64 exec, exec, s[6:7]
	s_waitcnt lgkmcnt(0)
	s_barrier
	s_and_saveexec_b64 s[6:7], s[46:47]
	s_cbranch_execz .LBB68_855
; %bb.854:
	ds_read_b64 v[18:19], v9 offset:27040
	ds_read_b64 v[20:21], v10
	s_waitcnt lgkmcnt(0)
	v_mul_f32_e32 v22, v21, v19
	v_mul_f32_e32 v19, v20, v19
	v_fma_f32 v20, v20, v18, -v22
	v_fmac_f32_e32 v19, v21, v18
	v_add_f32_e32 v2, v2, v20
	v_add_f32_e32 v3, v3, v19
.LBB68_855:
	s_or_b64 exec, exec, s[6:7]
	s_barrier
	s_and_saveexec_b64 s[6:7], s[48:49]
; %bb.856:
	ds_write_b64 v10, v[2:3]
; %bb.857:
	s_or_b64 exec, exec, s[6:7]
	s_waitcnt lgkmcnt(0)
	s_barrier
	s_and_saveexec_b64 s[6:7], s[50:51]
	s_cbranch_execz .LBB68_859
; %bb.858:
	ds_read_b64 v[18:19], v9 offset:27552
	ds_read_b64 v[20:21], v10
	s_waitcnt lgkmcnt(0)
	v_mul_f32_e32 v22, v21, v19
	v_mul_f32_e32 v19, v20, v19
	v_fma_f32 v20, v20, v18, -v22
	v_fmac_f32_e32 v19, v21, v18
	v_add_f32_e32 v2, v2, v20
	v_add_f32_e32 v3, v3, v19
.LBB68_859:
	s_or_b64 exec, exec, s[6:7]
	s_barrier
	s_and_saveexec_b64 s[6:7], s[52:53]
; %bb.860:
	ds_write_b64 v10, v[2:3]
; %bb.861:
	s_or_b64 exec, exec, s[6:7]
	s_waitcnt lgkmcnt(0)
	s_barrier
	s_and_saveexec_b64 s[6:7], s[42:43]
	s_cbranch_execz .LBB68_863
; %bb.862:
	v_mov_b32_e32 v18, 0
	ds_read_b64 v[18:19], v18 offset:28088
	ds_read_b64 v[20:21], v10
	s_waitcnt lgkmcnt(0)
	v_mul_f32_e32 v22, v21, v19
	v_mul_f32_e32 v19, v20, v19
	v_fma_f32 v20, v20, v18, -v22
	v_fmac_f32_e32 v19, v21, v18
	v_add_f32_e32 v2, v2, v20
	v_add_f32_e32 v3, v3, v19
.LBB68_863:
	s_or_b64 exec, exec, s[6:7]
	s_barrier
	s_and_saveexec_b64 s[6:7], s[42:43]
; %bb.864:
	ds_write_b64 v10, v[2:3]
; %bb.865:
	s_or_b64 exec, exec, s[6:7]
	s_waitcnt lgkmcnt(0)
	s_barrier
	s_barrier
	s_and_saveexec_b64 s[6:7], s[10:11]
; %bb.866:
	v_xor_b32_e32 v2, 0x80000000, v2
	v_xor_b32_e32 v3, 0x80000000, v3
	ds_write_b64 v8, v[2:3] offset:24992
; %bb.867:
	s_or_b64 exec, exec, s[6:7]
	s_waitcnt lgkmcnt(0)
	s_barrier
	s_barrier
	s_and_saveexec_b64 s[6:7], s[54:55]
	s_cbranch_execz .LBB68_869
; %bb.868:
	v_lshlrev_b32_e32 v18, 9, v0
	ds_read_b64 v[2:3], v18 offset:24992
	s_movk_i32 s14, 0xfe08
	v_mad_i32_i24 v19, v0, s14, v18
	s_waitcnt lgkmcnt(0)
	ds_write_b64 v19, v[2:3] offset:27008
	ds_read_b64 v[2:3], v18 offset:25000
	s_waitcnt lgkmcnt(0)
	ds_write_b64 v19, v[2:3] offset:27520
	ds_read_b64 v[2:3], v18 offset:25008
	s_waitcnt lgkmcnt(0)
	ds_write_b64 v19, v[2:3] offset:28032
	ds_read_b64 v[2:3], v18 offset:25016
	s_waitcnt lgkmcnt(0)
	ds_write_b64 v19, v[2:3] offset:28544
.LBB68_869:
	s_or_b64 exec, exec, s[6:7]
	s_waitcnt lgkmcnt(0)
	s_barrier
	s_and_saveexec_b64 s[6:7], vcc
	s_cbranch_execz .LBB68_871
; %bb.870:
	v_mov_b32_e32 v20, 0
	ds_read_b64 v[2:3], v20 offset:27048
	s_mov_b64 s[14:15], 0x3f800000
	v_mov_b32_e32 v19, s15
	v_mov_b32_e32 v18, s14
	s_movk_i32 s14, 0x1a0
	ds_write_b64 v20, v[18:19] offset:27560
	v_add_u32_e64 v20, s14, 0
	s_waitcnt lgkmcnt(1)
	ds_write2st64_b64 v20, v[18:19], v[2:3] offset0:52 offset1:53
.LBB68_871:
	s_or_b64 exec, exec, s[6:7]
	v_mov_b32_e32 v3, 0
	v_mov_b32_e32 v2, 0
	s_waitcnt lgkmcnt(0)
	s_barrier
	s_and_saveexec_b64 s[6:7], s[22:23]
	s_cbranch_execz .LBB68_875
; %bb.872:
	v_mul_u32_u24_e32 v18, 0x208, v6
	ds_read_b64 v[2:3], v4 offset:27056
	ds_read_b64 v[18:19], v18 offset:27040
	v_cmp_gt_u32_e64 s[14:15], 2, v7
	s_waitcnt lgkmcnt(0)
	v_mul_f32_e32 v20, v19, v3
	v_mul_f32_e32 v3, v18, v3
	v_fma_f32 v18, v18, v2, -v20
	v_fmac_f32_e32 v3, v19, v2
	v_add_f32_e32 v2, 0, v18
	v_add_f32_e32 v3, 0, v3
	s_and_saveexec_b64 s[16:17], s[14:15]
	s_cbranch_execz .LBB68_874
; %bb.873:
	v_lshlrev_b32_e32 v18, 3, v0
	v_mov_b32_e32 v20, 0
	ds_read_b64 v[18:19], v18 offset:27568
	ds_read_b64 v[20:21], v20 offset:27048
	s_waitcnt lgkmcnt(0)
	v_mul_f32_e32 v22, v21, v19
	v_mul_f32_e32 v19, v20, v19
	v_fma_f32 v20, v20, v18, -v22
	v_fmac_f32_e32 v19, v21, v18
	v_add_f32_e32 v2, v2, v20
	v_add_f32_e32 v3, v3, v19
.LBB68_874:
	s_or_b64 exec, exec, s[16:17]
	v_xor_b32_e32 v2, 0x80000000, v2
	v_xor_b32_e32 v3, 0x80000000, v3
.LBB68_875:
	s_or_b64 exec, exec, s[6:7]
	s_and_saveexec_b64 s[6:7], s[38:39]
; %bb.876:
	ds_write_b64 v5, v[2:3]
; %bb.877:
	s_or_b64 exec, exec, s[6:7]
	s_waitcnt lgkmcnt(0)
	s_barrier
	s_and_saveexec_b64 s[6:7], s[30:31]
	s_cbranch_execz .LBB68_879
; %bb.878:
	v_mov_b32_e32 v18, 0
	ds_read_b64 v[18:19], v18 offset:28088
	ds_read_b64 v[20:21], v5
	s_waitcnt lgkmcnt(0)
	v_mul_f32_e32 v22, v21, v19
	v_mul_f32_e32 v19, v20, v19
	v_fma_f32 v20, v20, v18, -v22
	v_fmac_f32_e32 v19, v21, v18
	v_add_f32_e32 v2, v2, v20
	v_add_f32_e32 v3, v3, v19
.LBB68_879:
	s_or_b64 exec, exec, s[6:7]
	s_barrier
	s_and_saveexec_b64 s[6:7], s[30:31]
; %bb.880:
	ds_write_b64 v5, v[2:3]
; %bb.881:
	s_or_b64 exec, exec, s[6:7]
	s_waitcnt lgkmcnt(0)
	s_barrier
	s_barrier
	s_and_saveexec_b64 s[6:7], s[22:23]
; %bb.882:
	v_xor_b32_e32 v3, 0x80000000, v3
	v_xor_b32_e32 v2, 0x80000000, v2
	ds_write_b64 v4, v[2:3] offset:27056
; %bb.883:
	s_or_b64 exec, exec, s[6:7]
	s_waitcnt lgkmcnt(0)
	s_barrier
	s_barrier
	s_and_saveexec_b64 s[6:7], s[40:41]
	s_cbranch_execz .LBB68_885
; %bb.884:
	v_lshlrev_b32_e32 v18, 3, v0
	s_movk_i32 s14, 0x1f8
	v_mad_u32_u24 v19, v0, s14, v18
	ds_read_b64 v[2:3], v19 offset:27056
	s_waitcnt lgkmcnt(0)
	ds_write_b64 v18, v[2:3] offset:28064
	ds_read_b64 v[2:3], v19 offset:27064
	s_waitcnt lgkmcnt(0)
	ds_write_b64 v18, v[2:3] offset:28576
.LBB68_885:
	s_or_b64 exec, exec, s[6:7]
	s_waitcnt lgkmcnt(0)
	s_barrier
	s_and_saveexec_b64 s[6:7], vcc
	s_cbranch_execz .LBB68_887
; %bb.886:
	v_mov_b32_e32 v20, 0
	ds_read_b64 v[2:3], v20 offset:28088
	s_mov_b64 s[14:15], 0x3f800000
	v_mov_b32_e32 v19, s15
	v_mov_b32_e32 v18, s14
	s_movk_i32 s14, 0x1b0
	ds_write_b64 v20, v[18:19] offset:28600
	v_add_u32_e64 v20, s14, 0
	s_waitcnt lgkmcnt(1)
	ds_write2st64_b64 v20, v[18:19], v[2:3] offset0:54 offset1:55
.LBB68_887:
	s_or_b64 exec, exec, s[6:7]
	v_mov_b32_e32 v3, 0
	v_mov_b32_e32 v2, 0
	s_waitcnt lgkmcnt(0)
	s_barrier
	s_and_saveexec_b64 s[6:7], s[12:13]
	s_cbranch_execz .LBB68_897
; %bb.888:
	v_mul_u32_u24_e32 v18, 0x208, v17
	ds_read_b64 v[2:3], v13 offset:25024
	ds_read_b64 v[19:20], v18 offset:24960
	v_cmp_gt_u32_e64 s[14:15], 56, v7
	s_waitcnt lgkmcnt(0)
	v_mul_f32_e32 v21, v20, v3
	v_mul_f32_e32 v3, v19, v3
	v_fma_f32 v19, v19, v2, -v21
	v_fmac_f32_e32 v3, v20, v2
	v_add_f32_e32 v2, 0, v19
	v_add_f32_e32 v3, 0, v3
	s_and_saveexec_b64 s[16:17], s[14:15]
	s_cbranch_execnz .LBB68_1092
; %bb.889:
	s_or_b64 exec, exec, s[16:17]
	v_cmp_gt_u32_e64 s[14:15], 48, v7
	s_and_saveexec_b64 s[16:17], s[14:15]
	s_cbranch_execnz .LBB68_1093
.LBB68_890:
	s_or_b64 exec, exec, s[16:17]
	v_cmp_gt_u32_e64 s[14:15], 40, v7
	s_and_saveexec_b64 s[16:17], s[14:15]
	s_cbranch_execnz .LBB68_1094
.LBB68_891:
	s_or_b64 exec, exec, s[16:17]
	v_cmp_gt_u32_e64 s[14:15], 32, v7
	s_and_saveexec_b64 s[16:17], s[14:15]
	s_cbranch_execnz .LBB68_1095
.LBB68_892:
	s_or_b64 exec, exec, s[16:17]
	v_cmp_gt_u32_e64 s[14:15], 24, v7
	s_and_saveexec_b64 s[16:17], s[14:15]
	s_cbranch_execnz .LBB68_1096
.LBB68_893:
	s_or_b64 exec, exec, s[16:17]
	v_cmp_gt_u32_e64 s[14:15], 16, v7
	s_and_saveexec_b64 s[16:17], s[14:15]
	s_cbranch_execnz .LBB68_1097
.LBB68_894:
	s_or_b64 exec, exec, s[16:17]
	v_cmp_gt_u32_e64 s[14:15], 8, v7
	s_and_saveexec_b64 s[16:17], s[14:15]
	s_cbranch_execz .LBB68_896
.LBB68_895:
	v_lshlrev_b32_e32 v16, 3, v0
	v_mov_b32_e32 v18, 0
	ds_read_b64 v[16:17], v16 offset:28608
	ds_read_b64 v[18:19], v18 offset:25016
	s_waitcnt lgkmcnt(0)
	v_mul_f32_e32 v20, v19, v17
	v_mul_f32_e32 v17, v18, v17
	v_fma_f32 v18, v18, v16, -v20
	v_fmac_f32_e32 v17, v19, v16
	v_add_f32_e32 v2, v2, v18
	v_add_f32_e32 v3, v3, v17
.LBB68_896:
	s_or_b64 exec, exec, s[16:17]
	v_xor_b32_e32 v2, 0x80000000, v2
	v_xor_b32_e32 v3, 0x80000000, v3
.LBB68_897:
	s_or_b64 exec, exec, s[6:7]
	s_and_saveexec_b64 s[6:7], s[58:59]
; %bb.898:
	ds_write_b64 v15, v[2:3]
; %bb.899:
	s_or_b64 exec, exec, s[6:7]
	s_waitcnt lgkmcnt(0)
	s_barrier
	s_and_saveexec_b64 s[6:7], s[60:61]
	s_cbranch_execz .LBB68_901
; %bb.900:
	ds_read_b64 v[16:17], v14 offset:29120
	ds_read_b64 v[18:19], v15
	s_waitcnt lgkmcnt(0)
	v_mul_f32_e32 v20, v19, v17
	v_mul_f32_e32 v17, v18, v17
	v_fma_f32 v18, v18, v16, -v20
	v_fmac_f32_e32 v17, v19, v16
	v_add_f32_e32 v2, v2, v18
	v_add_f32_e32 v3, v3, v17
.LBB68_901:
	s_or_b64 exec, exec, s[6:7]
	s_barrier
	s_and_saveexec_b64 s[6:7], s[62:63]
; %bb.902:
	ds_write_b64 v15, v[2:3]
; %bb.903:
	s_or_b64 exec, exec, s[6:7]
	s_waitcnt lgkmcnt(0)
	s_barrier
	s_and_saveexec_b64 s[6:7], s[64:65]
	s_cbranch_execz .LBB68_905
; %bb.904:
	ds_read_b64 v[16:17], v14 offset:29632
	ds_read_b64 v[18:19], v15
	s_waitcnt lgkmcnt(0)
	v_mul_f32_e32 v20, v19, v17
	v_mul_f32_e32 v17, v18, v17
	v_fma_f32 v18, v18, v16, -v20
	v_fmac_f32_e32 v17, v19, v16
	v_add_f32_e32 v2, v2, v18
	v_add_f32_e32 v3, v3, v17
.LBB68_905:
	s_or_b64 exec, exec, s[6:7]
	s_barrier
	;; [unrolled: 22-line block ×6, first 2 shown]
	s_and_saveexec_b64 s[6:7], s[82:83]
; %bb.922:
	ds_write_b64 v15, v[2:3]
; %bb.923:
	s_or_b64 exec, exec, s[6:7]
	s_waitcnt lgkmcnt(0)
	s_barrier
	s_and_saveexec_b64 s[6:7], s[56:57]
	s_cbranch_execz .LBB68_925
; %bb.924:
	v_mov_b32_e32 v14, 0
	ds_read_b64 v[16:17], v14 offset:32248
	ds_read_b64 v[18:19], v15
	s_waitcnt lgkmcnt(0)
	v_mul_f32_e32 v14, v19, v17
	v_mul_f32_e32 v17, v18, v17
	v_fma_f32 v14, v18, v16, -v14
	v_fmac_f32_e32 v17, v19, v16
	v_add_f32_e32 v2, v2, v14
	v_add_f32_e32 v3, v3, v17
.LBB68_925:
	s_or_b64 exec, exec, s[6:7]
	s_barrier
	s_and_saveexec_b64 s[6:7], s[56:57]
; %bb.926:
	ds_write_b64 v15, v[2:3]
; %bb.927:
	s_or_b64 exec, exec, s[6:7]
	s_waitcnt lgkmcnt(0)
	s_barrier
	s_barrier
	s_and_saveexec_b64 s[6:7], s[12:13]
; %bb.928:
	v_xor_b32_e32 v3, 0x80000000, v3
	v_xor_b32_e32 v2, 0x80000000, v2
	ds_write_b64 v13, v[2:3] offset:25024
; %bb.929:
	s_or_b64 exec, exec, s[6:7]
	s_waitcnt lgkmcnt(0)
	s_barrier
	s_barrier
	s_and_saveexec_b64 s[6:7], s[84:85]
	s_cbranch_execz .LBB68_931
; %bb.930:
	v_lshlrev_b32_e32 v13, 9, v0
	ds_read_b64 v[2:3], v13 offset:25024
	s_movk_i32 s12, 0xfe08
	v_mad_i32_i24 v14, v0, s12, v13
	s_waitcnt lgkmcnt(0)
	ds_write_b64 v14, v[2:3] offset:29056
	ds_read_b64 v[2:3], v13 offset:25032
	s_waitcnt lgkmcnt(0)
	ds_write_b64 v14, v[2:3] offset:29568
	ds_read_b64 v[2:3], v13 offset:25040
	;; [unrolled: 3-line block ×7, first 2 shown]
	s_waitcnt lgkmcnt(0)
	ds_write_b64 v14, v[2:3] offset:32640
.LBB68_931:
	s_or_b64 exec, exec, s[6:7]
	s_waitcnt lgkmcnt(0)
	s_barrier
	s_and_saveexec_b64 s[6:7], vcc
	s_cbranch_execz .LBB68_933
; %bb.932:
	v_mov_b32_e32 v15, 0
	ds_read_b64 v[2:3], v15 offset:29128
	s_mov_b64 s[12:13], 0x3f800000
	v_mov_b32_e32 v14, s13
	v_mov_b32_e32 v13, s12
	s_movk_i32 s12, 0x1c0
	ds_write_b64 v15, v[13:14] offset:29640
	v_add_u32_e64 v15, s12, 0
	s_waitcnt lgkmcnt(1)
	ds_write2st64_b64 v15, v[13:14], v[2:3] offset0:56 offset1:57
.LBB68_933:
	s_or_b64 exec, exec, s[6:7]
	v_mov_b32_e32 v3, 0
	v_mov_b32_e32 v2, 0
	s_waitcnt lgkmcnt(0)
	s_barrier
	s_and_saveexec_b64 s[6:7], s[22:23]
	s_cbranch_execz .LBB68_937
; %bb.934:
	v_mul_u32_u24_e32 v13, 0x208, v6
	ds_read_b64 v[2:3], v4 offset:29136
	ds_read_b64 v[13:14], v13 offset:29120
	v_cmp_gt_u32_e64 s[12:13], 2, v7
	s_waitcnt lgkmcnt(0)
	v_mul_f32_e32 v15, v14, v3
	v_mul_f32_e32 v3, v13, v3
	v_fma_f32 v13, v13, v2, -v15
	v_fmac_f32_e32 v3, v14, v2
	v_add_f32_e32 v2, 0, v13
	v_add_f32_e32 v3, 0, v3
	s_and_saveexec_b64 s[14:15], s[12:13]
	s_cbranch_execz .LBB68_936
; %bb.935:
	v_lshlrev_b32_e32 v13, 3, v0
	v_mov_b32_e32 v15, 0
	ds_read_b64 v[13:14], v13 offset:29648
	ds_read_b64 v[15:16], v15 offset:29128
	s_waitcnt lgkmcnt(0)
	v_mul_f32_e32 v17, v16, v14
	v_mul_f32_e32 v14, v15, v14
	v_fma_f32 v15, v15, v13, -v17
	v_fmac_f32_e32 v14, v16, v13
	v_add_f32_e32 v2, v2, v15
	v_add_f32_e32 v3, v3, v14
.LBB68_936:
	s_or_b64 exec, exec, s[14:15]
	v_xor_b32_e32 v2, 0x80000000, v2
	v_xor_b32_e32 v3, 0x80000000, v3
.LBB68_937:
	s_or_b64 exec, exec, s[6:7]
	s_and_saveexec_b64 s[6:7], s[38:39]
; %bb.938:
	ds_write_b64 v5, v[2:3]
; %bb.939:
	s_or_b64 exec, exec, s[6:7]
	s_waitcnt lgkmcnt(0)
	s_barrier
	s_and_saveexec_b64 s[6:7], s[30:31]
	s_cbranch_execz .LBB68_941
; %bb.940:
	v_mov_b32_e32 v13, 0
	ds_read_b64 v[13:14], v13 offset:30168
	ds_read_b64 v[15:16], v5
	s_waitcnt lgkmcnt(0)
	v_mul_f32_e32 v17, v16, v14
	v_mul_f32_e32 v14, v15, v14
	v_fma_f32 v15, v15, v13, -v17
	v_fmac_f32_e32 v14, v16, v13
	v_add_f32_e32 v2, v2, v15
	v_add_f32_e32 v3, v3, v14
.LBB68_941:
	s_or_b64 exec, exec, s[6:7]
	s_barrier
	s_and_saveexec_b64 s[6:7], s[30:31]
; %bb.942:
	ds_write_b64 v5, v[2:3]
; %bb.943:
	s_or_b64 exec, exec, s[6:7]
	s_waitcnt lgkmcnt(0)
	s_barrier
	s_barrier
	s_and_saveexec_b64 s[6:7], s[22:23]
; %bb.944:
	v_xor_b32_e32 v3, 0x80000000, v3
	v_xor_b32_e32 v2, 0x80000000, v2
	ds_write_b64 v4, v[2:3] offset:29136
; %bb.945:
	s_or_b64 exec, exec, s[6:7]
	s_waitcnt lgkmcnt(0)
	s_barrier
	s_barrier
	s_and_saveexec_b64 s[6:7], s[40:41]
	s_cbranch_execz .LBB68_947
; %bb.946:
	v_lshlrev_b32_e32 v13, 3, v0
	s_movk_i32 s12, 0x1f8
	v_mad_u32_u24 v14, v0, s12, v13
	ds_read_b64 v[2:3], v14 offset:29136
	s_waitcnt lgkmcnt(0)
	ds_write_b64 v13, v[2:3] offset:30144
	ds_read_b64 v[2:3], v14 offset:29144
	s_waitcnt lgkmcnt(0)
	ds_write_b64 v13, v[2:3] offset:30656
.LBB68_947:
	s_or_b64 exec, exec, s[6:7]
	s_waitcnt lgkmcnt(0)
	s_barrier
	s_and_saveexec_b64 s[6:7], vcc
	s_cbranch_execz .LBB68_949
; %bb.948:
	v_mov_b32_e32 v15, 0
	ds_read_b64 v[2:3], v15 offset:30168
	s_mov_b64 s[12:13], 0x3f800000
	v_mov_b32_e32 v14, s13
	v_mov_b32_e32 v13, s12
	s_movk_i32 s12, 0x1d0
	ds_write_b64 v15, v[13:14] offset:30680
	v_add_u32_e64 v15, s12, 0
	s_waitcnt lgkmcnt(1)
	ds_write2st64_b64 v15, v[13:14], v[2:3] offset0:58 offset1:59
.LBB68_949:
	s_or_b64 exec, exec, s[6:7]
	v_mov_b32_e32 v3, 0
	v_mov_b32_e32 v2, 0
	s_waitcnt lgkmcnt(0)
	s_barrier
	s_and_saveexec_b64 s[6:7], s[10:11]
	s_cbranch_execz .LBB68_955
; %bb.950:
	v_mul_u32_u24_e32 v13, 0x208, v12
	ds_read_b64 v[2:3], v8 offset:29152
	ds_read_b64 v[14:15], v13 offset:29120
	v_cmp_gt_u32_e64 s[12:13], 12, v7
	s_waitcnt lgkmcnt(0)
	v_mul_f32_e32 v16, v15, v3
	v_mul_f32_e32 v3, v14, v3
	v_fma_f32 v14, v14, v2, -v16
	v_fmac_f32_e32 v3, v15, v2
	v_add_f32_e32 v2, 0, v14
	v_add_f32_e32 v3, 0, v3
	s_and_saveexec_b64 s[14:15], s[12:13]
	s_cbranch_execnz .LBB68_1098
; %bb.951:
	s_or_b64 exec, exec, s[14:15]
	v_cmp_gt_u32_e64 s[12:13], 8, v7
	s_and_saveexec_b64 s[14:15], s[12:13]
	s_cbranch_execnz .LBB68_1099
.LBB68_952:
	s_or_b64 exec, exec, s[14:15]
	v_cmp_gt_u32_e64 s[12:13], 4, v7
	s_and_saveexec_b64 s[14:15], s[12:13]
	s_cbranch_execz .LBB68_954
.LBB68_953:
	v_lshlrev_b32_e32 v11, 3, v0
	v_mov_b32_e32 v13, 0
	ds_read_b64 v[11:12], v11 offset:30688
	ds_read_b64 v[13:14], v13 offset:29144
	s_waitcnt lgkmcnt(0)
	v_mul_f32_e32 v15, v14, v12
	v_mul_f32_e32 v12, v13, v12
	v_fma_f32 v13, v13, v11, -v15
	v_fmac_f32_e32 v12, v14, v11
	v_add_f32_e32 v2, v2, v13
	v_add_f32_e32 v3, v3, v12
.LBB68_954:
	s_or_b64 exec, exec, s[14:15]
	v_xor_b32_e32 v2, 0x80000000, v2
	v_xor_b32_e32 v3, 0x80000000, v3
.LBB68_955:
	s_or_b64 exec, exec, s[6:7]
	s_and_saveexec_b64 s[6:7], s[44:45]
; %bb.956:
	ds_write_b64 v10, v[2:3]
; %bb.957:
	s_or_b64 exec, exec, s[6:7]
	s_waitcnt lgkmcnt(0)
	s_barrier
	s_and_saveexec_b64 s[6:7], s[46:47]
	v_readlane_b32 s44, v34, 0
	v_readlane_b32 s45, v34, 1
	s_cbranch_execz .LBB68_959
; %bb.958:
	ds_read_b64 v[11:12], v9 offset:31200
	ds_read_b64 v[13:14], v10
	s_waitcnt lgkmcnt(0)
	v_mul_f32_e32 v15, v14, v12
	v_mul_f32_e32 v12, v13, v12
	v_fma_f32 v13, v13, v11, -v15
	v_fmac_f32_e32 v12, v14, v11
	v_add_f32_e32 v2, v2, v13
	v_add_f32_e32 v3, v3, v12
.LBB68_959:
	s_or_b64 exec, exec, s[6:7]
	s_barrier
	s_and_saveexec_b64 s[6:7], s[48:49]
; %bb.960:
	ds_write_b64 v10, v[2:3]
; %bb.961:
	s_or_b64 exec, exec, s[6:7]
	s_waitcnt lgkmcnt(0)
	s_barrier
	s_and_saveexec_b64 s[6:7], s[50:51]
	s_cbranch_execz .LBB68_963
; %bb.962:
	ds_read_b64 v[11:12], v9 offset:31712
	ds_read_b64 v[13:14], v10
	s_waitcnt lgkmcnt(0)
	v_mul_f32_e32 v9, v14, v12
	v_mul_f32_e32 v12, v13, v12
	v_fma_f32 v9, v13, v11, -v9
	v_fmac_f32_e32 v12, v14, v11
	v_add_f32_e32 v2, v2, v9
	v_add_f32_e32 v3, v3, v12
.LBB68_963:
	s_or_b64 exec, exec, s[6:7]
	s_barrier
	s_and_saveexec_b64 s[6:7], s[52:53]
; %bb.964:
	ds_write_b64 v10, v[2:3]
; %bb.965:
	s_or_b64 exec, exec, s[6:7]
	s_waitcnt lgkmcnt(0)
	s_barrier
	s_and_saveexec_b64 s[6:7], s[42:43]
	s_cbranch_execz .LBB68_967
; %bb.966:
	v_mov_b32_e32 v9, 0
	ds_read_b64 v[11:12], v9 offset:32248
	ds_read_b64 v[13:14], v10
	s_waitcnt lgkmcnt(0)
	v_mul_f32_e32 v9, v14, v12
	v_mul_f32_e32 v12, v13, v12
	v_fma_f32 v9, v13, v11, -v9
	v_fmac_f32_e32 v12, v14, v11
	v_add_f32_e32 v2, v2, v9
	v_add_f32_e32 v3, v3, v12
.LBB68_967:
	s_or_b64 exec, exec, s[6:7]
	s_barrier
	s_and_saveexec_b64 s[6:7], s[42:43]
; %bb.968:
	ds_write_b64 v10, v[2:3]
; %bb.969:
	s_or_b64 exec, exec, s[6:7]
	s_waitcnt lgkmcnt(0)
	s_barrier
	s_barrier
	s_and_saveexec_b64 s[6:7], s[10:11]
; %bb.970:
	v_xor_b32_e32 v2, 0x80000000, v2
	v_xor_b32_e32 v3, 0x80000000, v3
	ds_write_b64 v8, v[2:3] offset:29152
; %bb.971:
	s_or_b64 exec, exec, s[6:7]
	s_waitcnt lgkmcnt(0)
	s_barrier
	s_barrier
	s_and_saveexec_b64 s[6:7], s[54:55]
	s_cbranch_execz .LBB68_973
; %bb.972:
	v_lshlrev_b32_e32 v8, 9, v0
	ds_read_b64 v[2:3], v8 offset:29152
	s_movk_i32 s10, 0xfe08
	v_mad_i32_i24 v9, v0, s10, v8
	s_waitcnt lgkmcnt(0)
	ds_write_b64 v9, v[2:3] offset:31168
	ds_read_b64 v[2:3], v8 offset:29160
	s_waitcnt lgkmcnt(0)
	ds_write_b64 v9, v[2:3] offset:31680
	ds_read_b64 v[2:3], v8 offset:29168
	;; [unrolled: 3-line block ×3, first 2 shown]
	s_waitcnt lgkmcnt(0)
	ds_write_b64 v9, v[2:3] offset:32704
.LBB68_973:
	s_or_b64 exec, exec, s[6:7]
	s_waitcnt lgkmcnt(0)
	s_barrier
	s_and_saveexec_b64 s[6:7], vcc
	s_cbranch_execz .LBB68_975
; %bb.974:
	v_mov_b32_e32 v10, 0
	ds_read_b64 v[2:3], v10 offset:31208
	s_mov_b64 s[10:11], 0x3f800000
	v_mov_b32_e32 v8, s10
	v_mov_b32_e32 v9, s11
	s_movk_i32 s10, 0x1e0
	ds_write_b64 v10, v[8:9] offset:31720
	v_add_u32_e64 v10, s10, 0
	s_waitcnt lgkmcnt(1)
	ds_write2st64_b64 v10, v[8:9], v[2:3] offset0:60 offset1:61
.LBB68_975:
	s_or_b64 exec, exec, s[6:7]
	v_mov_b32_e32 v3, 0
	v_mov_b32_e32 v2, 0
	s_waitcnt lgkmcnt(0)
	s_barrier
	s_and_saveexec_b64 s[6:7], s[22:23]
	s_cbranch_execz .LBB68_979
; %bb.976:
	v_mul_u32_u24_e32 v6, 0x208, v6
	ds_read_b64 v[2:3], v4 offset:31216
	ds_read_b64 v[8:9], v6 offset:31200
	v_cmp_gt_u32_e64 s[10:11], 2, v7
	s_waitcnt lgkmcnt(0)
	v_mul_f32_e32 v6, v9, v3
	v_mul_f32_e32 v3, v8, v3
	v_fma_f32 v6, v8, v2, -v6
	v_fmac_f32_e32 v3, v9, v2
	v_add_f32_e32 v2, 0, v6
	v_add_f32_e32 v3, 0, v3
	s_and_saveexec_b64 s[12:13], s[10:11]
	s_cbranch_execz .LBB68_978
; %bb.977:
	v_lshlrev_b32_e32 v6, 3, v0
	v_mov_b32_e32 v10, 0
	ds_read_b64 v[8:9], v6 offset:31728
	ds_read_b64 v[10:11], v10 offset:31208
	s_waitcnt lgkmcnt(0)
	v_mul_f32_e32 v6, v11, v9
	v_mul_f32_e32 v9, v10, v9
	v_fma_f32 v6, v10, v8, -v6
	v_fmac_f32_e32 v9, v11, v8
	v_add_f32_e32 v2, v2, v6
	v_add_f32_e32 v3, v3, v9
.LBB68_978:
	s_or_b64 exec, exec, s[12:13]
	v_xor_b32_e32 v2, 0x80000000, v2
	v_xor_b32_e32 v3, 0x80000000, v3
.LBB68_979:
	s_or_b64 exec, exec, s[6:7]
	s_and_saveexec_b64 s[6:7], s[38:39]
; %bb.980:
	ds_write_b64 v5, v[2:3]
; %bb.981:
	s_or_b64 exec, exec, s[6:7]
	s_waitcnt lgkmcnt(0)
	s_barrier
	s_and_saveexec_b64 s[6:7], s[30:31]
	s_cbranch_execz .LBB68_983
; %bb.982:
	v_mov_b32_e32 v6, 0
	ds_read_b64 v[8:9], v6 offset:32248
	ds_read_b64 v[10:11], v5
	s_waitcnt lgkmcnt(0)
	v_mul_f32_e32 v6, v11, v9
	v_mul_f32_e32 v9, v10, v9
	v_fma_f32 v6, v10, v8, -v6
	v_fmac_f32_e32 v9, v11, v8
	v_add_f32_e32 v2, v2, v6
	v_add_f32_e32 v3, v3, v9
.LBB68_983:
	s_or_b64 exec, exec, s[6:7]
	s_barrier
	s_and_saveexec_b64 s[6:7], s[30:31]
; %bb.984:
	ds_write_b64 v5, v[2:3]
; %bb.985:
	s_or_b64 exec, exec, s[6:7]
	s_waitcnt lgkmcnt(0)
	s_barrier
	s_barrier
	s_and_saveexec_b64 s[6:7], s[22:23]
; %bb.986:
	v_xor_b32_e32 v3, 0x80000000, v3
	v_xor_b32_e32 v2, 0x80000000, v2
	ds_write_b64 v4, v[2:3] offset:31216
; %bb.987:
	s_or_b64 exec, exec, s[6:7]
	s_waitcnt lgkmcnt(0)
	s_barrier
	s_barrier
	s_and_saveexec_b64 s[6:7], s[40:41]
	s_cbranch_execz .LBB68_989
; %bb.988:
	v_lshlrev_b32_e32 v4, 3, v0
	s_movk_i32 s10, 0x1f8
	v_mad_u32_u24 v5, v0, s10, v4
	ds_read_b64 v[2:3], v5 offset:31216
	s_waitcnt lgkmcnt(0)
	ds_write_b64 v4, v[2:3] offset:32224
	ds_read_b64 v[2:3], v5 offset:31224
	s_waitcnt lgkmcnt(0)
	ds_write_b64 v4, v[2:3] offset:32736
.LBB68_989:
	s_or_b64 exec, exec, s[6:7]
	s_waitcnt lgkmcnt(0)
	s_barrier
	s_and_saveexec_b64 s[6:7], vcc
	s_cbranch_execz .LBB68_991
; %bb.990:
	v_mov_b32_e32 v6, 0
	ds_read_b64 v[2:3], v6 offset:32248
	s_mov_b64 s[10:11], 0x3f800000
	v_mov_b32_e32 v4, s10
	v_mov_b32_e32 v5, s11
	s_movk_i32 s10, 0x1f0
	ds_write_b64 v6, v[4:5] offset:32760
	v_add_u32_e64 v6, s10, 0
	s_waitcnt lgkmcnt(1)
	ds_write2st64_b64 v6, v[4:5], v[2:3] offset0:62 offset1:63
.LBB68_991:
	s_or_b64 exec, exec, s[6:7]
.LBB68_992:
	s_load_dwordx8 s[16:23], s[4:5], 0x30
	s_load_dwordx2 s[6:7], s[4:5], 0x50
	v_cmp_le_i32_e32 vcc, s90, v0
	v_mov_b32_e32 v2, 0
	v_lshl_add_u32 v4, s33, 6, v0
	s_waitcnt lgkmcnt(0)
	s_mul_i32 s11, s23, s34
	s_mul_hi_u32 s12, s22, s34
	s_mul_i32 s10, s22, s34
	s_add_i32 s11, s12, s11
	s_lshl_b64 s[10:11], s[10:11], 3
	s_add_u32 s12, s16, s10
	s_addc_u32 s13, s17, s11
	s_lshl_b64 s[10:11], s[18:19], 3
	s_add_u32 s30, s12, s10
	s_addc_u32 s31, s13, s11
	s_and_b64 s[18:19], vcc, s[26:27]
	v_cmp_eq_u32_e64 s[16:17], 0, v1
	s_xor_b64 s[10:11], s[18:19], -1
	s_and_b64 s[12:13], s[16:17], s[10:11]
	v_mov_b32_e32 v3, v2
	s_barrier
	s_and_saveexec_b64 s[10:11], s[12:13]
	s_cbranch_execz .LBB68_994
; %bb.993:
	v_ashrrev_i32_e32 v5, 31, v4
	v_mul_lo_u32 v6, s21, v4
	v_mad_u64_u32 v[2:3], s[12:13], s20, v4, 0
	v_mul_lo_u32 v5, s20, v5
	s_load_dwordx2 s[12:13], s[4:5], 0x28
	v_add3_u32 v3, v3, v5, v6
	v_lshlrev_b64 v[2:3], 3, v[2:3]
	v_mov_b32_e32 v5, s31
	v_add_co_u32_e32 v2, vcc, s30, v2
	v_addc_co_u32_e32 v3, vcc, v5, v3, vcc
	global_load_dwordx2 v[5:6], v[2:3], off
	s_waitcnt vmcnt(0) lgkmcnt(0)
	v_mul_f32_e32 v2, s12, v5
	v_mul_f32_e32 v3, s12, v6
	v_fma_f32 v2, s13, v6, -v2
	v_fma_f32 v3, v5, -s13, -v3
.LBB68_994:
	s_or_b64 exec, exec, s[10:11]
	s_and_b32 s4, 0xffff, s93
	v_mad_u32_u24 v8, v1, s4, v0
	s_cmp_lt_i32 s8, 1
	v_cmp_eq_u32_e64 s[4:5], 0, v8
	s_cbranch_scc1 .LBB68_1013
; %bb.995:
	v_ashrrev_i32_e32 v5, 31, v4
	v_mul_lo_u32 v9, s28, v5
	v_mul_lo_u32 v10, s29, v4
	v_mad_u64_u32 v[5:6], s[10:11], s28, v4, 0
	v_cmp_gt_i32_e64 s[12:13], s36, v4
	s_lshl_b64 s[10:11], s[34:35], 2
	v_add3_u32 v6, v6, v9, v10
	v_lshlrev_b64 v[4:5], 3, v[5:6]
	s_mov_b64 s[22:23], src_private_base
	s_add_u32 s24, s6, s10
	v_mov_b32_e32 v10, 0xa000
	v_mov_b32_e32 v6, s92
	v_add_co_u32_e32 v11, vcc, s91, v4
	s_mov_b32 s22, 0
	s_addc_u32 s25, s7, s11
	v_cmp_gt_u32_e64 s[10:11], 64, v8
	v_lshl_add_u32 v9, v8, 3, v10
	v_lshl_or_b32 v10, v1, 3, v10
	s_add_i32 s38, s33, 1
	v_addc_co_u32_e32 v12, vcc, v6, v5, vcc
	v_mov_b32_e32 v15, -1
	v_mov_b32_e32 v4, 0
	v_mov_b32_e32 v13, 0
	;; [unrolled: 1-line block ×5, first 2 shown]
	s_branch .LBB68_997
.LBB68_996:                             ;   in Loop: Header=BB68_997 Depth=1
	s_or_b64 exec, exec, s[28:29]
	s_add_i32 s22, s22, 1
	s_cmp_eq_u32 s22, s8
	s_cbranch_scc1 .LBB68_1013
.LBB68_997:                             ; =>This Loop Header: Depth=1
                                        ;     Child Loop BB68_999 Depth 2
	v_cmp_gt_i32_e32 vcc, s22, v15
	s_and_b64 s[28:29], s[4:5], vcc
	s_and_saveexec_b64 s[14:15], s[28:29]
	s_cbranch_execz .LBB68_1000
; %bb.998:                              ;   in Loop: Header=BB68_997 Depth=1
	global_load_dword v15, v4, s[24:25]
	s_waitcnt vmcnt(0)
	v_cmp_le_i32_e32 vcc, s22, v15
	s_cbranch_vccnz .LBB68_1000
.LBB68_999:                             ;   Parent Loop BB68_997 Depth=1
                                        ; =>  This Inner Loop Header: Depth=2
	buffer_wbinvl1_vol
	global_load_dword v15, v4, s[24:25]
	s_waitcnt vmcnt(0)
	v_cmp_gt_i32_e32 vcc, s22, v15
	s_cbranch_vccnz .LBB68_999
.LBB68_1000:                            ;   in Loop: Header=BB68_997 Depth=1
	s_or_b64 exec, exec, s[14:15]
	s_sub_i32 s39, s9, s22
	s_lshl_b32 s40, s39, 6
	buffer_wbinvl1_vol
	s_barrier
	s_and_saveexec_b64 s[14:15], s[10:11]
	s_cbranch_execz .LBB68_1005
; %bb.1001:                             ;   in Loop: Header=BB68_997 Depth=1
	s_ashr_i32 s28, s40, 31
	v_mov_b32_e32 v6, s28
	v_or_b32_e32 v5, s40, v8
	v_cmp_le_i64_e32 vcc, s[36:37], v[5:6]
	s_and_saveexec_b64 s[28:29], vcc
	s_xor_b64 s[28:29], exec, s[28:29]
; %bb.1002:                             ;   in Loop: Header=BB68_997 Depth=1
	v_mov_b32_e32 v5, v4
	ds_write_b64 v9, v[4:5]
                                        ; implicit-def: $vgpr5_vgpr6
; %bb.1003:                             ;   in Loop: Header=BB68_997 Depth=1
	s_andn2_saveexec_b64 s[28:29], s[28:29]
	s_cbranch_execz .LBB68_1005
; %bb.1004:                             ;   in Loop: Header=BB68_997 Depth=1
	v_mul_lo_u32 v18, v6, s20
	v_mul_lo_u32 v19, v5, s21
	v_mad_u64_u32 v[5:6], s[28:29], v5, s20, 0
	v_add3_u32 v6, v6, v19, v18
	v_lshlrev_b64 v[5:6], 3, v[5:6]
	v_mov_b32_e32 v18, s31
	v_add_co_u32_e32 v5, vcc, s30, v5
	v_addc_co_u32_e32 v6, vcc, v18, v6, vcc
	global_load_dwordx2 v[5:6], v[5:6], off
	s_waitcnt vmcnt(0)
	ds_write_b64 v9, v[5:6]
.LBB68_1005:                            ;   in Loop: Header=BB68_997 Depth=1
	s_or_b64 exec, exec, s[14:15]
	v_add_u32_e32 v5, s40, v1
	v_ashrrev_i32_e32 v6, 31, v5
	v_lshlrev_b64 v[18:19], 3, v[5:6]
	s_cmp_eq_u32 s39, s38
	v_add_co_u32_e32 v18, vcc, v11, v18
	v_addc_co_u32_e32 v6, vcc, v12, v19, vcc
	v_cmp_gt_i32_e32 vcc, s36, v5
	s_cselect_b64 s[14:15], -1, 0
	s_and_b64 s[40:41], vcc, s[12:13]
	s_waitcnt lgkmcnt(0)
	s_barrier
	s_and_saveexec_b64 s[28:29], s[40:41]
	s_cbranch_execz .LBB68_1007
; %bb.1006:                             ;   in Loop: Header=BB68_997 Depth=1
	v_mov_b32_e32 v19, s23
	v_cndmask_b32_e64 v20, v6, v19, s[14:15]
	v_cndmask_b32_e64 v19, v18, v13, s[14:15]
	flat_load_dwordx2 v[19:20], v[19:20]
	ds_read_b64 v[21:22], v10
	s_waitcnt vmcnt(0) lgkmcnt(0)
	v_mul_f32_e32 v23, v22, v20
	v_mul_f32_e32 v20, v21, v20
	v_fma_f32 v21, v21, v19, -v23
	v_fmac_f32_e32 v20, v22, v19
	v_add_f32_e32 v2, v2, v21
	v_add_f32_e32 v3, v3, v20
.LBB68_1007:                            ;   in Loop: Header=BB68_997 Depth=1
	s_or_b64 exec, exec, s[28:29]
	v_add_u32_e32 v19, 16, v5
	v_cmp_gt_i32_e32 vcc, s36, v19
	s_and_b64 s[40:41], vcc, s[12:13]
	s_and_saveexec_b64 s[28:29], s[40:41]
	s_cbranch_execz .LBB68_1009
; %bb.1008:                             ;   in Loop: Header=BB68_997 Depth=1
	v_add_co_u32_e32 v19, vcc, 0x80, v18
	v_addc_co_u32_e32 v20, vcc, 0, v6, vcc
	v_mov_b32_e32 v21, s23
	v_cndmask_b32_e64 v20, v20, v21, s[14:15]
	v_cndmask_b32_e64 v19, v19, v14, s[14:15]
	flat_load_dwordx2 v[19:20], v[19:20]
	ds_read_b64 v[21:22], v10 offset:128
	s_waitcnt vmcnt(0) lgkmcnt(0)
	v_mul_f32_e32 v23, v22, v20
	v_mul_f32_e32 v20, v21, v20
	v_fma_f32 v21, v21, v19, -v23
	v_fmac_f32_e32 v20, v22, v19
	v_add_f32_e32 v2, v2, v21
	v_add_f32_e32 v3, v3, v20
.LBB68_1009:                            ;   in Loop: Header=BB68_997 Depth=1
	s_or_b64 exec, exec, s[28:29]
	v_add_u32_e32 v19, 32, v5
	v_cmp_gt_i32_e32 vcc, s36, v19
	s_and_b64 s[40:41], vcc, s[12:13]
	s_and_saveexec_b64 s[28:29], s[40:41]
	s_cbranch_execz .LBB68_1011
; %bb.1010:                             ;   in Loop: Header=BB68_997 Depth=1
	v_add_co_u32_e32 v19, vcc, 0x100, v18
	v_addc_co_u32_e32 v20, vcc, 0, v6, vcc
	v_mov_b32_e32 v21, s23
	v_cndmask_b32_e64 v20, v20, v21, s[14:15]
	v_cndmask_b32_e64 v19, v19, v16, s[14:15]
	flat_load_dwordx2 v[19:20], v[19:20]
	ds_read_b64 v[21:22], v10 offset:256
	s_waitcnt vmcnt(0) lgkmcnt(0)
	v_mul_f32_e32 v23, v22, v20
	v_mul_f32_e32 v20, v21, v20
	v_fma_f32 v21, v21, v19, -v23
	v_fmac_f32_e32 v20, v22, v19
	v_add_f32_e32 v2, v2, v21
	v_add_f32_e32 v3, v3, v20
.LBB68_1011:                            ;   in Loop: Header=BB68_997 Depth=1
	s_or_b64 exec, exec, s[28:29]
	v_add_u32_e32 v5, 48, v5
	v_cmp_gt_i32_e32 vcc, s36, v5
	s_and_b64 s[40:41], vcc, s[12:13]
	s_and_saveexec_b64 s[28:29], s[40:41]
	s_cbranch_execz .LBB68_996
; %bb.1012:                             ;   in Loop: Header=BB68_997 Depth=1
	v_add_co_u32_e32 v5, vcc, 0x180, v18
	v_addc_co_u32_e32 v6, vcc, 0, v6, vcc
	v_mov_b32_e32 v18, s23
	v_cndmask_b32_e64 v6, v6, v18, s[14:15]
	v_cndmask_b32_e64 v5, v5, v17, s[14:15]
	flat_load_dwordx2 v[5:6], v[5:6]
	ds_read_b64 v[18:19], v10 offset:384
	s_waitcnt vmcnt(0) lgkmcnt(0)
	v_mul_f32_e32 v20, v19, v6
	v_mul_f32_e32 v6, v18, v6
	v_fma_f32 v18, v18, v5, -v20
	v_fmac_f32_e32 v6, v19, v5
	v_add_f32_e32 v2, v2, v18
	v_add_f32_e32 v3, v3, v6
	s_branch .LBB68_996
.LBB68_1013:
	s_xor_b64 s[4:5], s[26:27], -1
	v_lshlrev_b32_e32 v6, 3, v7
	ds_write_b64 v6, v[2:3] offset:32768
	s_waitcnt lgkmcnt(0)
	s_barrier
	s_and_saveexec_b64 s[8:9], s[16:17]
	s_cbranch_execz .LBB68_1015
; %bb.1014:
	v_lshlrev_b32_e32 v7, 3, v0
	ds_read2st64_b64 v[9:12], v7 offset0:65 offset1:66
	ds_read2st64_b64 v[13:16], v7 offset0:67 offset1:68
	ds_read_b64 v[17:18], v7 offset:40448
	s_waitcnt lgkmcnt(2)
	v_add_f32_e32 v2, v2, v9
	v_add_f32_e32 v3, v3, v10
	;; [unrolled: 1-line block ×4, first 2 shown]
	ds_read2st64_b64 v[2:5], v7 offset0:69 offset1:70
	s_waitcnt lgkmcnt(2)
	v_add_f32_e32 v9, v9, v13
	v_add_f32_e32 v10, v10, v14
	;; [unrolled: 1-line block ×4, first 2 shown]
	s_waitcnt lgkmcnt(0)
	v_add_f32_e32 v2, v9, v2
	ds_read2st64_b64 v[9:12], v7 offset0:71 offset1:72
	v_add_f32_e32 v3, v13, v3
	v_add_f32_e32 v13, v2, v4
	;; [unrolled: 1-line block ×3, first 2 shown]
	ds_read2st64_b64 v[2:5], v7 offset0:73 offset1:74
	s_waitcnt lgkmcnt(1)
	v_add_f32_e32 v9, v13, v9
	v_add_f32_e32 v10, v14, v10
	;; [unrolled: 1-line block ×4, first 2 shown]
	s_waitcnt lgkmcnt(0)
	v_add_f32_e32 v2, v9, v2
	ds_read2st64_b64 v[9:12], v7 offset0:75 offset1:76
	v_add_f32_e32 v3, v13, v3
	v_add_f32_e32 v13, v2, v4
	;; [unrolled: 1-line block ×3, first 2 shown]
	ds_read2st64_b64 v[2:5], v7 offset0:77 offset1:78
	s_waitcnt lgkmcnt(1)
	v_add_f32_e32 v7, v13, v9
	v_add_f32_e32 v9, v14, v10
	;; [unrolled: 1-line block ×4, first 2 shown]
	s_waitcnt lgkmcnt(0)
	v_add_f32_e32 v2, v7, v2
	v_add_f32_e32 v3, v9, v3
	;; [unrolled: 1-line block ×6, first 2 shown]
	v_cndmask_b32_e64 v2, -v2, 0, s[18:19]
	v_cndmask_b32_e64 v3, -v3, 0, s[18:19]
.LBB68_1015:
	s_or_b64 exec, exec, s[8:9]
	s_and_b64 vcc, exec, s[44:45]
	s_cbranch_vccnz .LBB68_1028
; %bb.1016:
	v_mov_b32_e32 v4, 0xa000
	v_lshl_or_b32 v7, v1, 3, v4
	s_and_saveexec_b64 s[8:9], s[16:17]
; %bb.1017:
	v_lshl_add_u32 v4, v0, 3, v7
	ds_write_b64 v4, v[2:3]
; %bb.1018:
	s_or_b64 exec, exec, s[8:9]
	v_cmp_le_u32_e32 vcc, v0, v1
	v_mov_b32_e32 v4, 0
	v_mov_b32_e32 v5, 0
	s_waitcnt lgkmcnt(0)
	s_barrier
	s_and_saveexec_b64 s[8:9], vcc
	s_cbranch_execz .LBB68_1020
; %bb.1019:
	ds_read_b64 v[4:5], v6
	ds_read_b64 v[9:10], v7
	s_waitcnt lgkmcnt(0)
	v_mul_f32_e32 v11, v10, v5
	v_mul_f32_e32 v5, v9, v5
	v_fma_f32 v9, v9, v4, -v11
	v_fmac_f32_e32 v5, v10, v4
	v_add_f32_e32 v4, 0, v9
	v_add_f32_e32 v5, 0, v5
.LBB68_1020:
	s_or_b64 exec, exec, s[8:9]
	v_add_u32_e32 v9, 16, v1
	v_cmp_le_u32_e32 vcc, v0, v9
	s_and_saveexec_b64 s[8:9], vcc
	s_cbranch_execz .LBB68_1022
; %bb.1021:
	ds_read_b64 v[9:10], v6 offset:8192
	ds_read_b64 v[11:12], v7 offset:128
	s_waitcnt lgkmcnt(0)
	v_mul_f32_e32 v13, v12, v10
	v_mul_f32_e32 v10, v11, v10
	v_fma_f32 v11, v11, v9, -v13
	v_fmac_f32_e32 v10, v12, v9
	v_add_f32_e32 v4, v4, v11
	v_add_f32_e32 v5, v5, v10
.LBB68_1022:
	s_or_b64 exec, exec, s[8:9]
	v_add_u32_e32 v9, 32, v1
	v_cmp_le_u32_e32 vcc, v0, v9
	s_and_saveexec_b64 s[8:9], vcc
	s_cbranch_execz .LBB68_1024
; %bb.1023:
	ds_read_b64 v[9:10], v6 offset:16384
	ds_read_b64 v[11:12], v7 offset:256
	s_waitcnt lgkmcnt(0)
	v_mul_f32_e32 v13, v12, v10
	v_mul_f32_e32 v10, v11, v10
	v_fma_f32 v11, v11, v9, -v13
	v_fmac_f32_e32 v10, v12, v9
	v_add_f32_e32 v4, v4, v11
	v_add_f32_e32 v5, v5, v10
.LBB68_1024:
	s_or_b64 exec, exec, s[8:9]
	v_add_u32_e32 v1, 48, v1
	v_add_u32_e32 v9, 0x8000, v6
	v_cmp_le_u32_e32 vcc, v0, v1
	s_and_saveexec_b64 s[8:9], vcc
	s_cbranch_execz .LBB68_1026
; %bb.1025:
	ds_read_b64 v[10:11], v6 offset:24576
	ds_read_b64 v[6:7], v7 offset:384
	s_waitcnt lgkmcnt(0)
	v_mul_f32_e32 v1, v7, v11
	v_mul_f32_e32 v11, v6, v11
	v_fma_f32 v1, v6, v10, -v1
	v_fmac_f32_e32 v11, v7, v10
	v_add_f32_e32 v4, v4, v1
	v_add_f32_e32 v5, v5, v11
.LBB68_1026:
	s_or_b64 exec, exec, s[8:9]
	s_mov_b64 s[10:11], 0
	s_mov_b64 s[8:9], 0
	ds_write_b64 v9, v[4:5]
	s_waitcnt lgkmcnt(0)
	s_barrier
                                        ; implicit-def: $vgpr1
                                        ; implicit-def: $vgpr6
	s_and_saveexec_b64 s[12:13], s[16:17]
	s_cbranch_execz .LBB68_1046
; %bb.1027:
	v_lshlrev_b32_e32 v1, 3, v0
	ds_read2st64_b64 v[9:12], v1 offset0:65 offset1:66
	ds_read2st64_b64 v[13:16], v1 offset0:67 offset1:68
	ds_read_b64 v[17:18], v1 offset:40448
	s_mov_b64 s[8:9], exec
	s_waitcnt lgkmcnt(2)
	v_add_f32_e32 v4, v4, v9
	v_add_f32_e32 v5, v5, v10
	;; [unrolled: 1-line block ×4, first 2 shown]
	ds_read2st64_b64 v[4:7], v1 offset0:69 offset1:70
	s_waitcnt lgkmcnt(2)
	v_add_f32_e32 v9, v9, v13
	v_add_f32_e32 v10, v10, v14
	;; [unrolled: 1-line block ×4, first 2 shown]
	s_waitcnt lgkmcnt(0)
	v_add_f32_e32 v4, v9, v4
	ds_read2st64_b64 v[9:12], v1 offset0:71 offset1:72
	v_add_f32_e32 v5, v13, v5
	v_add_f32_e32 v13, v4, v6
	;; [unrolled: 1-line block ×3, first 2 shown]
	ds_read2st64_b64 v[4:7], v1 offset0:73 offset1:74
	s_waitcnt lgkmcnt(1)
	v_add_f32_e32 v9, v13, v9
	v_add_f32_e32 v10, v14, v10
	;; [unrolled: 1-line block ×4, first 2 shown]
	s_waitcnt lgkmcnt(0)
	v_add_f32_e32 v4, v9, v4
	ds_read2st64_b64 v[9:12], v1 offset0:75 offset1:76
	v_add_f32_e32 v5, v13, v5
	v_add_f32_e32 v13, v4, v6
	;; [unrolled: 1-line block ×3, first 2 shown]
	ds_read2st64_b64 v[4:7], v1 offset0:77 offset1:78
	s_waitcnt lgkmcnt(1)
	v_add_f32_e32 v1, v13, v9
	v_add_f32_e32 v9, v14, v10
	;; [unrolled: 1-line block ×4, first 2 shown]
	s_waitcnt lgkmcnt(0)
	v_add_f32_e32 v1, v1, v4
	v_add_f32_e32 v4, v9, v5
	;; [unrolled: 1-line block ×6, first 2 shown]
	s_or_b64 exec, exec, s[12:13]
	s_and_b64 vcc, exec, s[10:11]
	s_cbranch_vccnz .LBB68_1029
	s_branch .LBB68_1047
.LBB68_1028:
	s_mov_b64 s[8:9], 0
                                        ; implicit-def: $vgpr1
                                        ; implicit-def: $vgpr6
	s_cbranch_execz .LBB68_1047
.LBB68_1029:
	v_mov_b32_e32 v1, 0x7c00
	v_lshl_add_u32 v1, v0, 3, v1
	v_mov_b32_e32 v5, 63
	v_mov_b32_e32 v4, 0
	s_branch .LBB68_1031
.LBB68_1030:                            ;   in Loop: Header=BB68_1031 Depth=1
	s_or_b64 exec, exec, s[10:11]
	v_subrev_co_u32_e32 v5, vcc, 1, v5
	s_andn2_b64 vcc, exec, vcc
	v_add_u32_e32 v1, 0xfffffc00, v1
	s_barrier
	s_cbranch_vccz .LBB68_1039
.LBB68_1031:                            ; =>This Inner Loop Header: Depth=1
	v_cmp_eq_u32_e32 vcc, v0, v5
	s_and_b64 s[12:13], s[16:17], vcc
	s_and_saveexec_b64 s[10:11], s[12:13]
; %bb.1032:                             ;   in Loop: Header=BB68_1031 Depth=1
	ds_write_b64 v4, v[2:3] offset:41472
; %bb.1033:                             ;   in Loop: Header=BB68_1031 Depth=1
	s_or_b64 exec, exec, s[10:11]
	v_cmp_lt_u32_e32 vcc, v0, v5
	s_and_b64 s[12:13], s[16:17], vcc
	s_waitcnt lgkmcnt(0)
	s_barrier
	s_and_saveexec_b64 s[10:11], s[12:13]
	s_cbranch_execz .LBB68_1035
; %bb.1034:                             ;   in Loop: Header=BB68_1031 Depth=1
	ds_read_b64 v[6:7], v1 offset:512
	ds_read_b64 v[9:10], v4 offset:41472
	s_waitcnt lgkmcnt(0)
	v_mul_f32_e32 v11, v10, v7
	v_mul_f32_e32 v7, v9, v7
	v_fma_f32 v9, v9, v6, -v11
	v_fmac_f32_e32 v7, v10, v6
	v_add_f32_e32 v2, v2, v9
	v_add_f32_e32 v3, v3, v7
.LBB68_1035:                            ;   in Loop: Header=BB68_1031 Depth=1
	s_or_b64 exec, exec, s[10:11]
	v_add_u32_e32 v5, -1, v5
	v_cmp_eq_u32_e32 vcc, v0, v5
	s_and_b64 s[12:13], s[16:17], vcc
	s_barrier
	s_and_saveexec_b64 s[10:11], s[12:13]
; %bb.1036:                             ;   in Loop: Header=BB68_1031 Depth=1
	ds_write_b64 v4, v[2:3] offset:41472
; %bb.1037:                             ;   in Loop: Header=BB68_1031 Depth=1
	s_or_b64 exec, exec, s[10:11]
	v_cmp_lt_u32_e32 vcc, v0, v5
	s_and_b64 s[12:13], s[16:17], vcc
	s_waitcnt lgkmcnt(0)
	s_barrier
	s_and_saveexec_b64 s[10:11], s[12:13]
	s_cbranch_execz .LBB68_1030
; %bb.1038:                             ;   in Loop: Header=BB68_1031 Depth=1
	ds_read_b64 v[6:7], v1
	ds_read_b64 v[9:10], v4 offset:41472
	s_waitcnt lgkmcnt(0)
	v_mul_f32_e32 v11, v10, v7
	v_mul_f32_e32 v7, v9, v7
	v_fma_f32 v9, v9, v6, -v11
	v_fmac_f32_e32 v7, v10, v6
	v_add_f32_e32 v2, v2, v9
	v_add_f32_e32 v3, v3, v7
	s_branch .LBB68_1030
.LBB68_1039:
	s_mov_b64 s[10:11], -1
	s_and_b64 vcc, exec, s[4:5]
	s_cbranch_vccnz .LBB68_1048
; %bb.1040:
	s_andn2_b64 vcc, exec, s[10:11]
	s_cbranch_vccz .LBB68_1049
.LBB68_1041:
	s_and_saveexec_b64 s[4:5], s[8:9]
	s_cbranch_execz .LBB68_1043
.LBB68_1042:
	s_lshl_b32 s8, s33, 6
	s_ashr_i32 s9, s8, 31
	v_mov_b32_e32 v0, s9
	v_add_co_u32_e32 v1, vcc, s8, v8
	v_addc_co_u32_e32 v0, vcc, 0, v0, vcc
	v_mul_lo_u32 v4, v0, s20
	v_mul_lo_u32 v5, v1, s21
	v_mad_u64_u32 v[0:1], s[8:9], v1, s20, 0
	v_add3_u32 v1, v1, v5, v4
	v_lshlrev_b64 v[0:1], 3, v[0:1]
	v_mov_b32_e32 v4, s31
	v_add_co_u32_e32 v0, vcc, s30, v0
	v_addc_co_u32_e32 v1, vcc, v4, v1, vcc
	global_store_dwordx2 v[0:1], v[2:3], off
.LBB68_1043:
	s_or_b64 exec, exec, s[4:5]
	v_cmp_eq_u32_e32 vcc, 0, v8
	s_waitcnt vmcnt(0)
	buffer_wbinvl1_vol
	s_barrier
	s_and_saveexec_b64 s[4:5], vcc
	s_cbranch_execz .LBB68_1045
; %bb.1044:
	s_lshl_b64 s[8:9], s[34:35], 2
	s_add_u32 s6, s6, s8
	s_addc_u32 s7, s7, s9
	v_mov_b32_e32 v0, 0
	global_load_dword v1, v0, s[6:7]
	s_waitcnt vmcnt(0)
	v_add_u32_e32 v1, 1, v1
	global_store_dword v0, v1, s[6:7]
.LBB68_1045:
	s_or_b64 exec, exec, s[4:5]
	s_waitcnt vmcnt(0)
	buffer_wbinvl1_vol
	s_endpgm
.LBB68_1046:
	s_or_b64 exec, exec, s[12:13]
	s_and_b64 vcc, exec, s[10:11]
	s_cbranch_vccnz .LBB68_1029
.LBB68_1047:
	v_mov_b32_e32 v3, v1
	v_mov_b32_e32 v2, v6
	s_and_saveexec_b64 s[4:5], s[8:9]
	s_cbranch_execnz .LBB68_1042
	s_branch .LBB68_1043
.LBB68_1048:
	s_andn2_b64 s[4:5], s[8:9], exec
	s_and_b64 s[8:9], s[16:17], exec
	s_or_b64 s[8:9], s[4:5], s[8:9]
	s_cbranch_execnz .LBB68_1041
.LBB68_1049:
	v_cmp_gt_i32_e32 vcc, s90, v0
	s_and_b64 s[4:5], s[16:17], vcc
	s_andn2_b64 s[8:9], s[8:9], exec
	s_and_b64 s[4:5], s[4:5], exec
	s_or_b64 s[8:9], s[8:9], s[4:5]
	s_and_saveexec_b64 s[4:5], s[8:9]
	s_cbranch_execnz .LBB68_1042
	s_branch .LBB68_1043
.LBB68_1050:
	v_lshlrev_b32_e32 v13, 3, v12
	v_sub_u32_e32 v13, v10, v13
	v_lshl_add_u32 v13, v11, 3, v13
	ds_read_b64 v[13:14], v13 offset:544
	ds_read_b64 v[15:16], v10 offset:8
	s_waitcnt lgkmcnt(0)
	v_mul_f32_e32 v17, v16, v14
	v_mul_f32_e32 v14, v15, v14
	v_fma_f32 v15, v15, v13, -v17
	v_fmac_f32_e32 v14, v16, v13
	v_add_f32_e32 v2, v2, v15
	v_add_f32_e32 v3, v3, v14
	s_or_b64 exec, exec, s[18:19]
	v_cmp_gt_u32_e64 s[14:15], 8, v7
	s_and_saveexec_b64 s[18:19], s[14:15]
	s_cbranch_execz .LBB68_92
.LBB68_1051:
	ds_read_b64 v[13:14], v8 offset:1056
	ds_read_b64 v[15:16], v10 offset:16
	s_waitcnt lgkmcnt(0)
	v_mul_f32_e32 v10, v16, v14
	v_mul_f32_e32 v14, v15, v14
	v_fma_f32 v10, v15, v13, -v10
	v_fmac_f32_e32 v14, v16, v13
	v_add_f32_e32 v2, v2, v10
	v_add_f32_e32 v3, v3, v14
	s_or_b64 exec, exec, s[18:19]
	v_cmp_gt_u32_e64 s[14:15], 4, v7
	s_and_saveexec_b64 s[18:19], s[14:15]
	s_cbranch_execnz .LBB68_93
	s_branch .LBB68_94
.LBB68_1052:
	v_lshlrev_b32_e32 v18, 3, v17
	v_sub_u32_e32 v18, v15, v18
	v_lshl_add_u32 v18, v16, 3, v18
	ds_read_b64 v[18:19], v18 offset:576
	ds_read_b64 v[20:21], v15 offset:8
	s_waitcnt lgkmcnt(0)
	v_mul_f32_e32 v22, v21, v19
	v_mul_f32_e32 v19, v20, v19
	v_fma_f32 v20, v20, v18, -v22
	v_fmac_f32_e32 v19, v21, v18
	v_add_f32_e32 v2, v2, v20
	v_add_f32_e32 v3, v3, v19
	s_or_b64 exec, exec, s[20:21]
	v_cmp_gt_u32_e64 s[18:19], 48, v7
	s_and_saveexec_b64 s[20:21], s[18:19]
	s_cbranch_execz .LBB68_134
.LBB68_1053:
	v_lshlrev_b32_e32 v18, 3, v17
	v_sub_u32_e32 v18, v15, v18
	v_lshl_add_u32 v18, v16, 3, v18
	ds_read_b64 v[18:19], v18 offset:1088
	ds_read_b64 v[20:21], v15 offset:16
	s_waitcnt lgkmcnt(0)
	v_mul_f32_e32 v22, v21, v19
	v_mul_f32_e32 v19, v20, v19
	v_fma_f32 v20, v20, v18, -v22
	v_fmac_f32_e32 v19, v21, v18
	v_add_f32_e32 v2, v2, v20
	v_add_f32_e32 v3, v3, v19
	s_or_b64 exec, exec, s[20:21]
	v_cmp_gt_u32_e64 s[18:19], 40, v7
	s_and_saveexec_b64 s[20:21], s[18:19]
	s_cbranch_execz .LBB68_135
.LBB68_1054:
	v_lshlrev_b32_e32 v18, 3, v17
	v_sub_u32_e32 v18, v15, v18
	v_lshl_add_u32 v18, v16, 3, v18
	ds_read_b64 v[18:19], v18 offset:1600
	ds_read_b64 v[20:21], v15 offset:24
	s_waitcnt lgkmcnt(0)
	v_mul_f32_e32 v22, v21, v19
	v_mul_f32_e32 v19, v20, v19
	v_fma_f32 v20, v20, v18, -v22
	v_fmac_f32_e32 v19, v21, v18
	v_add_f32_e32 v2, v2, v20
	v_add_f32_e32 v3, v3, v19
	s_or_b64 exec, exec, s[20:21]
	v_cmp_gt_u32_e64 s[18:19], 32, v7
	s_and_saveexec_b64 s[20:21], s[18:19]
	s_cbranch_execz .LBB68_136
.LBB68_1055:
	ds_read_b64 v[18:19], v13 offset:2112
	ds_read_b64 v[20:21], v15 offset:32
	s_waitcnt lgkmcnt(0)
	v_mul_f32_e32 v22, v21, v19
	v_mul_f32_e32 v19, v20, v19
	v_fma_f32 v20, v20, v18, -v22
	v_fmac_f32_e32 v19, v21, v18
	v_add_f32_e32 v2, v2, v20
	v_add_f32_e32 v3, v3, v19
	s_or_b64 exec, exec, s[20:21]
	v_cmp_gt_u32_e64 s[18:19], 24, v7
	s_and_saveexec_b64 s[20:21], s[18:19]
	s_cbranch_execz .LBB68_137
.LBB68_1056:
	v_lshlrev_b32_e32 v18, 3, v17
	v_sub_u32_e32 v18, v15, v18
	v_lshl_add_u32 v18, v16, 3, v18
	ds_read_b64 v[18:19], v18 offset:2624
	ds_read_b64 v[20:21], v15 offset:40
	s_waitcnt lgkmcnt(0)
	v_mul_f32_e32 v22, v21, v19
	v_mul_f32_e32 v19, v20, v19
	v_fma_f32 v20, v20, v18, -v22
	v_fmac_f32_e32 v19, v21, v18
	v_add_f32_e32 v2, v2, v20
	v_add_f32_e32 v3, v3, v19
	s_or_b64 exec, exec, s[20:21]
	v_cmp_gt_u32_e64 s[18:19], 16, v7
	s_and_saveexec_b64 s[20:21], s[18:19]
	s_cbranch_execz .LBB68_138
.LBB68_1057:
	ds_read_b64 v[18:19], v13 offset:3136
	ds_read_b64 v[20:21], v15 offset:48
	s_waitcnt lgkmcnt(0)
	v_mul_f32_e32 v15, v21, v19
	v_mul_f32_e32 v19, v20, v19
	v_fma_f32 v15, v20, v18, -v15
	v_fmac_f32_e32 v19, v21, v18
	v_add_f32_e32 v2, v2, v15
	v_add_f32_e32 v3, v3, v19
	s_or_b64 exec, exec, s[20:21]
	v_cmp_gt_u32_e64 s[18:19], 8, v7
	s_and_saveexec_b64 s[20:21], s[18:19]
	s_cbranch_execnz .LBB68_139
	s_branch .LBB68_140
.LBB68_1058:
	v_lshlrev_b32_e32 v19, 3, v12
	v_sub_u32_e32 v19, v18, v19
	v_lshl_add_u32 v19, v11, 3, v19
	ds_read_b64 v[19:20], v19 offset:4704
	ds_read_b64 v[21:22], v18 offset:4168
	s_waitcnt lgkmcnt(0)
	v_mul_f32_e32 v23, v22, v20
	v_mul_f32_e32 v20, v21, v20
	v_fma_f32 v21, v21, v19, -v23
	v_fmac_f32_e32 v20, v22, v19
	v_add_f32_e32 v2, v2, v21
	v_add_f32_e32 v3, v3, v20
	s_or_b64 exec, exec, s[18:19]
	v_cmp_gt_u32_e64 s[14:15], 8, v7
	s_and_saveexec_b64 s[18:19], s[14:15]
	s_cbranch_execz .LBB68_196
.LBB68_1059:
	ds_read_b64 v[19:20], v8 offset:5216
	ds_read_b64 v[21:22], v18 offset:4176
	s_waitcnt lgkmcnt(0)
	v_mul_f32_e32 v18, v22, v20
	v_mul_f32_e32 v20, v21, v20
	v_fma_f32 v18, v21, v19, -v18
	v_fmac_f32_e32 v20, v22, v19
	v_add_f32_e32 v2, v2, v18
	v_add_f32_e32 v3, v3, v20
	s_or_b64 exec, exec, s[18:19]
	v_cmp_gt_u32_e64 s[14:15], 4, v7
	s_and_saveexec_b64 s[18:19], s[14:15]
	s_cbranch_execnz .LBB68_197
	s_branch .LBB68_198
.LBB68_1060:
	v_lshlrev_b32_e32 v23, 3, v19
	v_lshl_add_u32 v23, v21, 3, v23
	ds_read_b64 v[23:24], v23 offset:5760
	ds_read_b64 v[25:26], v20 offset:88
	s_waitcnt lgkmcnt(0)
	v_mul_f32_e32 v27, v26, v24
	v_mul_f32_e32 v24, v25, v24
	v_fma_f32 v25, v25, v23, -v27
	v_fmac_f32_e32 v24, v26, v23
	v_add_f32_e32 v2, v2, v25
	v_add_f32_e32 v3, v3, v24
	s_or_b64 exec, exec, s[24:25]
	v_cmp_gt_u32_e64 s[20:21], 64, v7
	s_and_saveexec_b64 s[24:25], s[20:21]
	s_cbranch_execz .LBB68_258
.LBB68_1061:
	ds_read_b64 v[23:24], v18 offset:6272
	ds_read_b64 v[25:26], v20 offset:96
	s_waitcnt lgkmcnt(0)
	v_mul_f32_e32 v27, v26, v24
	v_mul_f32_e32 v24, v25, v24
	v_fma_f32 v25, v25, v23, -v27
	v_fmac_f32_e32 v24, v26, v23
	v_add_f32_e32 v2, v2, v25
	v_add_f32_e32 v3, v3, v24
	s_or_b64 exec, exec, s[24:25]
	v_cmp_gt_u32_e64 s[20:21], 48, v7
	s_and_saveexec_b64 s[24:25], s[20:21]
	s_cbranch_execz .LBB68_259
.LBB68_1062:
	v_lshlrev_b32_e32 v23, 3, v19
	v_lshl_add_u32 v23, v21, 3, v23
	ds_read_b64 v[23:24], v23 offset:6784
	ds_read_b64 v[25:26], v20 offset:104
	s_waitcnt lgkmcnt(0)
	v_mul_f32_e32 v27, v26, v24
	v_mul_f32_e32 v24, v25, v24
	v_fma_f32 v25, v25, v23, -v27
	v_fmac_f32_e32 v24, v26, v23
	v_add_f32_e32 v2, v2, v25
	v_add_f32_e32 v3, v3, v24
	s_or_b64 exec, exec, s[24:25]
	v_cmp_gt_u32_e64 s[20:21], 32, v7
	s_and_saveexec_b64 s[24:25], s[20:21]
	s_cbranch_execz .LBB68_260
.LBB68_1063:
	ds_read_b64 v[23:24], v18 offset:7296
	ds_read_b64 v[25:26], v20 offset:112
	s_waitcnt lgkmcnt(0)
	v_mul_f32_e32 v20, v26, v24
	v_mul_f32_e32 v24, v25, v24
	v_fma_f32 v20, v25, v23, -v20
	v_fmac_f32_e32 v24, v26, v23
	v_add_f32_e32 v2, v2, v20
	v_add_f32_e32 v3, v3, v24
	s_or_b64 exec, exec, s[24:25]
	v_cmp_gt_u32_e64 s[20:21], 16, v7
	s_and_saveexec_b64 s[24:25], s[20:21]
	s_cbranch_execnz .LBB68_261
	s_branch .LBB68_262
.LBB68_1064:
	v_lshlrev_b32_e32 v24, 3, v12
	v_sub_u32_e32 v24, v23, v24
	v_lshl_add_u32 v24, v11, 3, v24
	ds_read_b64 v[24:25], v24 offset:8864
	ds_read_b64 v[26:27], v23 offset:8328
	s_waitcnt lgkmcnt(0)
	v_mul_f32_e32 v28, v27, v25
	v_mul_f32_e32 v25, v26, v25
	v_fma_f32 v26, v26, v24, -v28
	v_fmac_f32_e32 v25, v27, v24
	v_add_f32_e32 v2, v2, v26
	v_add_f32_e32 v3, v3, v25
	s_or_b64 exec, exec, s[24:25]
	v_cmp_gt_u32_e64 s[18:19], 8, v7
	s_and_saveexec_b64 s[24:25], s[18:19]
	s_cbranch_execz .LBB68_350
.LBB68_1065:
	ds_read_b64 v[24:25], v8 offset:9376
	ds_read_b64 v[26:27], v23 offset:8336
	s_waitcnt lgkmcnt(0)
	v_mul_f32_e32 v23, v27, v25
	v_mul_f32_e32 v25, v26, v25
	v_fma_f32 v23, v26, v24, -v23
	v_fmac_f32_e32 v25, v27, v24
	v_add_f32_e32 v2, v2, v23
	v_add_f32_e32 v3, v3, v25
	s_or_b64 exec, exec, s[24:25]
	v_cmp_gt_u32_e64 s[18:19], 4, v7
	s_and_saveexec_b64 s[24:25], s[18:19]
	s_cbranch_execnz .LBB68_351
	s_branch .LBB68_352
.LBB68_1066:
	v_lshlrev_b32_e32 v24, 3, v17
	v_sub_u32_e32 v24, v23, v24
	v_lshl_add_u32 v24, v16, 3, v24
	ds_read_b64 v[24:25], v24 offset:8896
	ds_read_b64 v[26:27], v23 offset:8328
	s_waitcnt lgkmcnt(0)
	v_mul_f32_e32 v28, v27, v25
	v_mul_f32_e32 v25, v26, v25
	v_fma_f32 v26, v26, v24, -v28
	v_fmac_f32_e32 v25, v27, v24
	v_add_f32_e32 v2, v2, v26
	v_add_f32_e32 v3, v3, v25
	s_or_b64 exec, exec, s[24:25]
	v_cmp_gt_u32_e64 s[18:19], 48, v7
	s_and_saveexec_b64 s[24:25], s[18:19]
	s_cbranch_execz .LBB68_392
.LBB68_1067:
	v_lshlrev_b32_e32 v24, 3, v17
	v_sub_u32_e32 v24, v23, v24
	v_lshl_add_u32 v24, v16, 3, v24
	ds_read_b64 v[24:25], v24 offset:9408
	ds_read_b64 v[26:27], v23 offset:8336
	s_waitcnt lgkmcnt(0)
	v_mul_f32_e32 v28, v27, v25
	v_mul_f32_e32 v25, v26, v25
	v_fma_f32 v26, v26, v24, -v28
	v_fmac_f32_e32 v25, v27, v24
	v_add_f32_e32 v2, v2, v26
	v_add_f32_e32 v3, v3, v25
	s_or_b64 exec, exec, s[24:25]
	v_cmp_gt_u32_e64 s[18:19], 40, v7
	s_and_saveexec_b64 s[24:25], s[18:19]
	s_cbranch_execz .LBB68_393
.LBB68_1068:
	v_lshlrev_b32_e32 v24, 3, v17
	v_sub_u32_e32 v24, v23, v24
	v_lshl_add_u32 v24, v16, 3, v24
	ds_read_b64 v[24:25], v24 offset:9920
	ds_read_b64 v[26:27], v23 offset:8344
	s_waitcnt lgkmcnt(0)
	v_mul_f32_e32 v28, v27, v25
	v_mul_f32_e32 v25, v26, v25
	v_fma_f32 v26, v26, v24, -v28
	v_fmac_f32_e32 v25, v27, v24
	v_add_f32_e32 v2, v2, v26
	v_add_f32_e32 v3, v3, v25
	s_or_b64 exec, exec, s[24:25]
	v_cmp_gt_u32_e64 s[18:19], 32, v7
	s_and_saveexec_b64 s[24:25], s[18:19]
	s_cbranch_execz .LBB68_394
.LBB68_1069:
	ds_read_b64 v[24:25], v13 offset:10432
	ds_read_b64 v[26:27], v23 offset:8352
	s_waitcnt lgkmcnt(0)
	v_mul_f32_e32 v28, v27, v25
	v_mul_f32_e32 v25, v26, v25
	v_fma_f32 v26, v26, v24, -v28
	v_fmac_f32_e32 v25, v27, v24
	v_add_f32_e32 v2, v2, v26
	v_add_f32_e32 v3, v3, v25
	s_or_b64 exec, exec, s[24:25]
	v_cmp_gt_u32_e64 s[18:19], 24, v7
	s_and_saveexec_b64 s[24:25], s[18:19]
	s_cbranch_execz .LBB68_395
.LBB68_1070:
	v_lshlrev_b32_e32 v24, 3, v17
	v_sub_u32_e32 v24, v23, v24
	v_lshl_add_u32 v24, v16, 3, v24
	ds_read_b64 v[24:25], v24 offset:10944
	ds_read_b64 v[26:27], v23 offset:8360
	s_waitcnt lgkmcnt(0)
	v_mul_f32_e32 v28, v27, v25
	v_mul_f32_e32 v25, v26, v25
	v_fma_f32 v26, v26, v24, -v28
	v_fmac_f32_e32 v25, v27, v24
	v_add_f32_e32 v2, v2, v26
	v_add_f32_e32 v3, v3, v25
	s_or_b64 exec, exec, s[24:25]
	v_cmp_gt_u32_e64 s[18:19], 16, v7
	s_and_saveexec_b64 s[24:25], s[18:19]
	s_cbranch_execz .LBB68_396
.LBB68_1071:
	ds_read_b64 v[24:25], v13 offset:11456
	ds_read_b64 v[26:27], v23 offset:8368
	s_waitcnt lgkmcnt(0)
	v_mul_f32_e32 v23, v27, v25
	v_mul_f32_e32 v25, v26, v25
	v_fma_f32 v23, v26, v24, -v23
	v_fmac_f32_e32 v25, v27, v24
	v_add_f32_e32 v2, v2, v23
	v_add_f32_e32 v3, v3, v25
	s_or_b64 exec, exec, s[24:25]
	v_cmp_gt_u32_e64 s[18:19], 8, v7
	s_and_saveexec_b64 s[24:25], s[18:19]
	s_cbranch_execnz .LBB68_397
	s_branch .LBB68_398
.LBB68_1072:
	v_lshlrev_b32_e32 v24, 3, v12
	v_sub_u32_e32 v24, v23, v24
	v_lshl_add_u32 v24, v11, 3, v24
	ds_read_b64 v[24:25], v24 offset:13024
	ds_read_b64 v[26:27], v23 offset:12488
	s_waitcnt lgkmcnt(0)
	v_mul_f32_e32 v28, v27, v25
	v_mul_f32_e32 v25, v26, v25
	v_fma_f32 v26, v26, v24, -v28
	v_fmac_f32_e32 v25, v27, v24
	v_add_f32_e32 v2, v2, v26
	v_add_f32_e32 v3, v3, v25
	s_or_b64 exec, exec, s[24:25]
	v_cmp_gt_u32_e64 s[18:19], 8, v7
	s_and_saveexec_b64 s[24:25], s[18:19]
	s_cbranch_execz .LBB68_454
.LBB68_1073:
	ds_read_b64 v[24:25], v8 offset:13536
	ds_read_b64 v[26:27], v23 offset:12496
	s_waitcnt lgkmcnt(0)
	v_mul_f32_e32 v23, v27, v25
	v_mul_f32_e32 v25, v26, v25
	v_fma_f32 v23, v26, v24, -v23
	v_fmac_f32_e32 v25, v27, v24
	v_add_f32_e32 v2, v2, v23
	v_add_f32_e32 v3, v3, v25
	s_or_b64 exec, exec, s[24:25]
	v_cmp_gt_u32_e64 s[18:19], 4, v7
	s_and_saveexec_b64 s[24:25], s[18:19]
	s_cbranch_execnz .LBB68_455
	s_branch .LBB68_456
.LBB68_1074:
	ds_read_b64 v[29:30], v28 offset:15104
	ds_read_b64 v[31:32], v27 offset:232
	s_waitcnt lgkmcnt(0)
	v_mul_f32_e32 v33, v32, v30
	v_mul_f32_e32 v30, v31, v30
	v_fma_f32 v31, v31, v29, -v33
	v_fmac_f32_e32 v30, v32, v29
	v_add_f32_e32 v2, v2, v31
	v_add_f32_e32 v3, v3, v30
	s_or_b64 exec, exec, s[88:89]
	v_cmp_gt_u32_e64 s[24:25], 64, v7
	s_and_saveexec_b64 s[88:89], s[24:25]
	s_cbranch_execz .LBB68_552
.LBB68_1075:
	ds_read_b64 v[28:29], v28 offset:15616
	ds_read_b64 v[30:31], v27 offset:240
	s_waitcnt lgkmcnt(0)
	v_mul_f32_e32 v32, v31, v29
	v_mul_f32_e32 v29, v30, v29
	v_fma_f32 v30, v30, v28, -v32
	v_fmac_f32_e32 v29, v31, v28
	v_add_f32_e32 v2, v2, v30
	v_add_f32_e32 v3, v3, v29
	s_or_b64 exec, exec, s[88:89]
	v_cmp_gt_u32_e64 s[24:25], 32, v7
	s_and_saveexec_b64 s[88:89], s[24:25]
	s_cbranch_execnz .LBB68_553
	s_branch .LBB68_554
.LBB68_1076:
	v_lshlrev_b32_e32 v24, 3, v12
	v_sub_u32_e32 v24, v23, v24
	v_lshl_add_u32 v24, v11, 3, v24
	ds_read_b64 v[24:25], v24 offset:17184
	ds_read_b64 v[26:27], v23 offset:16648
	s_waitcnt lgkmcnt(0)
	v_mul_f32_e32 v28, v27, v25
	v_mul_f32_e32 v25, v26, v25
	v_fma_f32 v26, v26, v24, -v28
	v_fmac_f32_e32 v25, v27, v24
	v_add_f32_e32 v2, v2, v26
	v_add_f32_e32 v3, v3, v25
	s_or_b64 exec, exec, s[20:21]
	v_cmp_gt_u32_e64 s[16:17], 8, v7
	s_and_saveexec_b64 s[20:21], s[16:17]
	s_cbranch_execz .LBB68_590
.LBB68_1077:
	ds_read_b64 v[24:25], v8 offset:17696
	ds_read_b64 v[26:27], v23 offset:16656
	s_waitcnt lgkmcnt(0)
	v_mul_f32_e32 v23, v27, v25
	v_mul_f32_e32 v25, v26, v25
	v_fma_f32 v23, v26, v24, -v23
	v_fmac_f32_e32 v25, v27, v24
	v_add_f32_e32 v2, v2, v23
	v_add_f32_e32 v3, v3, v25
	s_or_b64 exec, exec, s[20:21]
	v_cmp_gt_u32_e64 s[16:17], 4, v7
	s_and_saveexec_b64 s[20:21], s[16:17]
	s_cbranch_execnz .LBB68_591
	s_branch .LBB68_592
.LBB68_1078:
	v_lshlrev_b32_e32 v24, 3, v17
	v_sub_u32_e32 v24, v23, v24
	v_lshl_add_u32 v24, v16, 3, v24
	ds_read_b64 v[24:25], v24 offset:17216
	ds_read_b64 v[26:27], v23 offset:16648
	s_waitcnt lgkmcnt(0)
	v_mul_f32_e32 v28, v27, v25
	v_mul_f32_e32 v25, v26, v25
	v_fma_f32 v26, v26, v24, -v28
	v_fmac_f32_e32 v25, v27, v24
	v_add_f32_e32 v2, v2, v26
	v_add_f32_e32 v3, v3, v25
	s_or_b64 exec, exec, s[20:21]
	v_cmp_gt_u32_e64 s[16:17], 48, v7
	s_and_saveexec_b64 s[20:21], s[16:17]
	s_cbranch_execz .LBB68_632
.LBB68_1079:
	v_lshlrev_b32_e32 v24, 3, v17
	v_sub_u32_e32 v24, v23, v24
	v_lshl_add_u32 v24, v16, 3, v24
	ds_read_b64 v[24:25], v24 offset:17728
	ds_read_b64 v[26:27], v23 offset:16656
	s_waitcnt lgkmcnt(0)
	v_mul_f32_e32 v28, v27, v25
	v_mul_f32_e32 v25, v26, v25
	v_fma_f32 v26, v26, v24, -v28
	v_fmac_f32_e32 v25, v27, v24
	v_add_f32_e32 v2, v2, v26
	v_add_f32_e32 v3, v3, v25
	s_or_b64 exec, exec, s[20:21]
	v_cmp_gt_u32_e64 s[16:17], 40, v7
	s_and_saveexec_b64 s[20:21], s[16:17]
	s_cbranch_execz .LBB68_633
.LBB68_1080:
	v_lshlrev_b32_e32 v24, 3, v17
	v_sub_u32_e32 v24, v23, v24
	v_lshl_add_u32 v24, v16, 3, v24
	ds_read_b64 v[24:25], v24 offset:18240
	ds_read_b64 v[26:27], v23 offset:16664
	s_waitcnt lgkmcnt(0)
	v_mul_f32_e32 v28, v27, v25
	v_mul_f32_e32 v25, v26, v25
	v_fma_f32 v26, v26, v24, -v28
	v_fmac_f32_e32 v25, v27, v24
	v_add_f32_e32 v2, v2, v26
	v_add_f32_e32 v3, v3, v25
	s_or_b64 exec, exec, s[20:21]
	v_cmp_gt_u32_e64 s[16:17], 32, v7
	s_and_saveexec_b64 s[20:21], s[16:17]
	s_cbranch_execz .LBB68_634
.LBB68_1081:
	ds_read_b64 v[24:25], v13 offset:18752
	ds_read_b64 v[26:27], v23 offset:16672
	s_waitcnt lgkmcnt(0)
	v_mul_f32_e32 v28, v27, v25
	v_mul_f32_e32 v25, v26, v25
	v_fma_f32 v26, v26, v24, -v28
	v_fmac_f32_e32 v25, v27, v24
	v_add_f32_e32 v2, v2, v26
	v_add_f32_e32 v3, v3, v25
	s_or_b64 exec, exec, s[20:21]
	v_cmp_gt_u32_e64 s[16:17], 24, v7
	s_and_saveexec_b64 s[20:21], s[16:17]
	s_cbranch_execz .LBB68_635
.LBB68_1082:
	v_lshlrev_b32_e32 v24, 3, v17
	v_sub_u32_e32 v24, v23, v24
	v_lshl_add_u32 v24, v16, 3, v24
	ds_read_b64 v[24:25], v24 offset:19264
	ds_read_b64 v[26:27], v23 offset:16680
	s_waitcnt lgkmcnt(0)
	v_mul_f32_e32 v28, v27, v25
	v_mul_f32_e32 v25, v26, v25
	v_fma_f32 v26, v26, v24, -v28
	v_fmac_f32_e32 v25, v27, v24
	v_add_f32_e32 v2, v2, v26
	v_add_f32_e32 v3, v3, v25
	s_or_b64 exec, exec, s[20:21]
	v_cmp_gt_u32_e64 s[16:17], 16, v7
	s_and_saveexec_b64 s[20:21], s[16:17]
	s_cbranch_execz .LBB68_636
.LBB68_1083:
	ds_read_b64 v[24:25], v13 offset:19776
	ds_read_b64 v[26:27], v23 offset:16688
	s_waitcnt lgkmcnt(0)
	v_mul_f32_e32 v23, v27, v25
	v_mul_f32_e32 v25, v26, v25
	v_fma_f32 v23, v26, v24, -v23
	v_fmac_f32_e32 v25, v27, v24
	v_add_f32_e32 v2, v2, v23
	v_add_f32_e32 v3, v3, v25
	s_or_b64 exec, exec, s[20:21]
	v_cmp_gt_u32_e64 s[16:17], 8, v7
	s_and_saveexec_b64 s[20:21], s[16:17]
	s_cbranch_execnz .LBB68_637
	s_branch .LBB68_638
.LBB68_1084:
	v_lshlrev_b32_e32 v24, 3, v12
	v_sub_u32_e32 v24, v23, v24
	v_lshl_add_u32 v24, v11, 3, v24
	ds_read_b64 v[24:25], v24 offset:21344
	ds_read_b64 v[26:27], v23 offset:20808
	s_waitcnt lgkmcnt(0)
	v_mul_f32_e32 v28, v27, v25
	v_mul_f32_e32 v25, v26, v25
	v_fma_f32 v26, v26, v24, -v28
	v_fmac_f32_e32 v25, v27, v24
	v_add_f32_e32 v2, v2, v26
	v_add_f32_e32 v3, v3, v25
	s_or_b64 exec, exec, s[20:21]
	v_cmp_gt_u32_e64 s[16:17], 8, v7
	s_and_saveexec_b64 s[20:21], s[16:17]
	s_cbranch_execz .LBB68_694
.LBB68_1085:
	ds_read_b64 v[24:25], v8 offset:21856
	ds_read_b64 v[26:27], v23 offset:20816
	s_waitcnt lgkmcnt(0)
	v_mul_f32_e32 v23, v27, v25
	v_mul_f32_e32 v25, v26, v25
	v_fma_f32 v23, v26, v24, -v23
	v_fmac_f32_e32 v25, v27, v24
	v_add_f32_e32 v2, v2, v23
	v_add_f32_e32 v3, v3, v25
	s_or_b64 exec, exec, s[20:21]
	v_cmp_gt_u32_e64 s[16:17], 4, v7
	s_and_saveexec_b64 s[20:21], s[16:17]
	s_cbranch_execnz .LBB68_695
	s_branch .LBB68_696
.LBB68_1086:
	v_lshlrev_b32_e32 v22, 3, v19
	v_lshl_add_u32 v22, v21, 3, v22
	ds_read_b64 v[24:25], v22 offset:22400
	ds_read_b64 v[26:27], v23 offset:16728
	s_waitcnt lgkmcnt(0)
	v_mul_f32_e32 v22, v27, v25
	v_mul_f32_e32 v25, v26, v25
	v_fma_f32 v22, v26, v24, -v22
	v_fmac_f32_e32 v25, v27, v24
	v_add_f32_e32 v2, v2, v22
	v_add_f32_e32 v3, v3, v25
	s_or_b64 exec, exec, s[20:21]
	v_cmp_gt_u32_e64 s[16:17], 64, v7
	s_and_saveexec_b64 s[20:21], s[16:17]
	s_cbranch_execz .LBB68_756
.LBB68_1087:
	ds_read_b64 v[24:25], v18 offset:22912
	ds_read_b64 v[26:27], v23 offset:16736
	s_waitcnt lgkmcnt(0)
	v_mul_f32_e32 v22, v27, v25
	v_mul_f32_e32 v25, v26, v25
	v_fma_f32 v22, v26, v24, -v22
	v_fmac_f32_e32 v25, v27, v24
	v_add_f32_e32 v2, v2, v22
	v_add_f32_e32 v3, v3, v25
	s_or_b64 exec, exec, s[20:21]
	v_cmp_gt_u32_e64 s[16:17], 48, v7
	s_and_saveexec_b64 s[20:21], s[16:17]
	s_cbranch_execz .LBB68_757
.LBB68_1088:
	v_lshlrev_b32_e32 v22, 3, v19
	v_lshl_add_u32 v21, v21, 3, v22
	ds_read_b64 v[21:22], v21 offset:23424
	ds_read_b64 v[24:25], v23 offset:16744
	s_waitcnt lgkmcnt(0)
	v_mul_f32_e32 v26, v25, v22
	v_mul_f32_e32 v22, v24, v22
	v_fma_f32 v24, v24, v21, -v26
	v_fmac_f32_e32 v22, v25, v21
	v_add_f32_e32 v2, v2, v24
	v_add_f32_e32 v3, v3, v22
	s_or_b64 exec, exec, s[20:21]
	v_cmp_gt_u32_e64 s[16:17], 32, v7
	s_and_saveexec_b64 s[20:21], s[16:17]
	s_cbranch_execz .LBB68_758
.LBB68_1089:
	ds_read_b64 v[21:22], v18 offset:23936
	ds_read_b64 v[23:24], v23 offset:16752
	s_waitcnt lgkmcnt(0)
	v_mul_f32_e32 v25, v24, v22
	v_mul_f32_e32 v22, v23, v22
	v_fma_f32 v23, v23, v21, -v25
	v_fmac_f32_e32 v22, v24, v21
	v_add_f32_e32 v2, v2, v23
	v_add_f32_e32 v3, v3, v22
	s_or_b64 exec, exec, s[20:21]
	v_cmp_gt_u32_e64 s[16:17], 16, v7
	s_and_saveexec_b64 s[20:21], s[16:17]
	s_cbranch_execnz .LBB68_759
	s_branch .LBB68_760
.LBB68_1090:
	v_lshlrev_b32_e32 v19, 3, v12
	v_sub_u32_e32 v19, v18, v19
	v_lshl_add_u32 v19, v11, 3, v19
	ds_read_b64 v[19:20], v19 offset:25504
	ds_read_b64 v[21:22], v18 offset:24968
	s_waitcnt lgkmcnt(0)
	v_mul_f32_e32 v23, v22, v20
	v_mul_f32_e32 v20, v21, v20
	v_fma_f32 v21, v21, v19, -v23
	v_fmac_f32_e32 v20, v22, v19
	v_add_f32_e32 v2, v2, v21
	v_add_f32_e32 v3, v3, v20
	s_or_b64 exec, exec, s[16:17]
	v_cmp_gt_u32_e64 s[14:15], 8, v7
	s_and_saveexec_b64 s[16:17], s[14:15]
	s_cbranch_execz .LBB68_848
.LBB68_1091:
	ds_read_b64 v[19:20], v8 offset:26016
	ds_read_b64 v[21:22], v18 offset:24976
	s_waitcnt lgkmcnt(0)
	v_mul_f32_e32 v18, v22, v20
	v_mul_f32_e32 v20, v21, v20
	v_fma_f32 v18, v21, v19, -v18
	v_fmac_f32_e32 v20, v22, v19
	v_add_f32_e32 v2, v2, v18
	v_add_f32_e32 v3, v3, v20
	s_or_b64 exec, exec, s[16:17]
	v_cmp_gt_u32_e64 s[14:15], 4, v7
	s_and_saveexec_b64 s[16:17], s[14:15]
	s_cbranch_execnz .LBB68_849
	s_branch .LBB68_850
.LBB68_1092:
	v_lshlrev_b32_e32 v19, 3, v17
	v_sub_u32_e32 v19, v18, v19
	v_lshl_add_u32 v19, v16, 3, v19
	ds_read_b64 v[19:20], v19 offset:25536
	ds_read_b64 v[21:22], v18 offset:24968
	s_waitcnt lgkmcnt(0)
	v_mul_f32_e32 v23, v22, v20
	v_mul_f32_e32 v20, v21, v20
	v_fma_f32 v21, v21, v19, -v23
	v_fmac_f32_e32 v20, v22, v19
	v_add_f32_e32 v2, v2, v21
	v_add_f32_e32 v3, v3, v20
	s_or_b64 exec, exec, s[16:17]
	v_cmp_gt_u32_e64 s[14:15], 48, v7
	s_and_saveexec_b64 s[16:17], s[14:15]
	s_cbranch_execz .LBB68_890
.LBB68_1093:
	v_lshlrev_b32_e32 v19, 3, v17
	v_sub_u32_e32 v19, v18, v19
	v_lshl_add_u32 v19, v16, 3, v19
	ds_read_b64 v[19:20], v19 offset:26048
	ds_read_b64 v[21:22], v18 offset:24976
	s_waitcnt lgkmcnt(0)
	v_mul_f32_e32 v23, v22, v20
	v_mul_f32_e32 v20, v21, v20
	v_fma_f32 v21, v21, v19, -v23
	v_fmac_f32_e32 v20, v22, v19
	v_add_f32_e32 v2, v2, v21
	v_add_f32_e32 v3, v3, v20
	s_or_b64 exec, exec, s[16:17]
	v_cmp_gt_u32_e64 s[14:15], 40, v7
	s_and_saveexec_b64 s[16:17], s[14:15]
	s_cbranch_execz .LBB68_891
.LBB68_1094:
	v_lshlrev_b32_e32 v19, 3, v17
	v_sub_u32_e32 v19, v18, v19
	v_lshl_add_u32 v19, v16, 3, v19
	ds_read_b64 v[19:20], v19 offset:26560
	ds_read_b64 v[21:22], v18 offset:24984
	s_waitcnt lgkmcnt(0)
	v_mul_f32_e32 v23, v22, v20
	v_mul_f32_e32 v20, v21, v20
	v_fma_f32 v21, v21, v19, -v23
	v_fmac_f32_e32 v20, v22, v19
	v_add_f32_e32 v2, v2, v21
	v_add_f32_e32 v3, v3, v20
	s_or_b64 exec, exec, s[16:17]
	v_cmp_gt_u32_e64 s[14:15], 32, v7
	s_and_saveexec_b64 s[16:17], s[14:15]
	s_cbranch_execz .LBB68_892
.LBB68_1095:
	ds_read_b64 v[19:20], v13 offset:27072
	ds_read_b64 v[21:22], v18 offset:24992
	s_waitcnt lgkmcnt(0)
	v_mul_f32_e32 v23, v22, v20
	v_mul_f32_e32 v20, v21, v20
	v_fma_f32 v21, v21, v19, -v23
	v_fmac_f32_e32 v20, v22, v19
	v_add_f32_e32 v2, v2, v21
	v_add_f32_e32 v3, v3, v20
	s_or_b64 exec, exec, s[16:17]
	v_cmp_gt_u32_e64 s[14:15], 24, v7
	s_and_saveexec_b64 s[16:17], s[14:15]
	s_cbranch_execz .LBB68_893
.LBB68_1096:
	v_lshlrev_b32_e32 v17, 3, v17
	v_sub_u32_e32 v17, v18, v17
	v_lshl_add_u32 v16, v16, 3, v17
	ds_read_b64 v[16:17], v16 offset:27584
	ds_read_b64 v[19:20], v18 offset:25000
	s_waitcnt lgkmcnt(0)
	v_mul_f32_e32 v21, v20, v17
	v_mul_f32_e32 v17, v19, v17
	v_fma_f32 v19, v19, v16, -v21
	v_fmac_f32_e32 v17, v20, v16
	v_add_f32_e32 v2, v2, v19
	v_add_f32_e32 v3, v3, v17
	s_or_b64 exec, exec, s[16:17]
	v_cmp_gt_u32_e64 s[14:15], 16, v7
	s_and_saveexec_b64 s[16:17], s[14:15]
	s_cbranch_execz .LBB68_894
.LBB68_1097:
	ds_read_b64 v[16:17], v13 offset:28096
	ds_read_b64 v[18:19], v18 offset:25008
	s_waitcnt lgkmcnt(0)
	v_mul_f32_e32 v20, v19, v17
	v_mul_f32_e32 v17, v18, v17
	v_fma_f32 v18, v18, v16, -v20
	v_fmac_f32_e32 v17, v19, v16
	v_add_f32_e32 v2, v2, v18
	v_add_f32_e32 v3, v3, v17
	s_or_b64 exec, exec, s[16:17]
	v_cmp_gt_u32_e64 s[14:15], 8, v7
	s_and_saveexec_b64 s[16:17], s[14:15]
	s_cbranch_execnz .LBB68_895
	s_branch .LBB68_896
.LBB68_1098:
	v_lshlrev_b32_e32 v12, 3, v12
	v_sub_u32_e32 v12, v13, v12
	v_lshl_add_u32 v11, v11, 3, v12
	ds_read_b64 v[11:12], v11 offset:29664
	ds_read_b64 v[14:15], v13 offset:29128
	s_waitcnt lgkmcnt(0)
	v_mul_f32_e32 v16, v15, v12
	v_mul_f32_e32 v12, v14, v12
	v_fma_f32 v14, v14, v11, -v16
	v_fmac_f32_e32 v12, v15, v11
	v_add_f32_e32 v2, v2, v14
	v_add_f32_e32 v3, v3, v12
	s_or_b64 exec, exec, s[14:15]
	v_cmp_gt_u32_e64 s[12:13], 8, v7
	s_and_saveexec_b64 s[14:15], s[12:13]
	s_cbranch_execz .LBB68_952
.LBB68_1099:
	ds_read_b64 v[11:12], v8 offset:30176
	ds_read_b64 v[13:14], v13 offset:29136
	s_waitcnt lgkmcnt(0)
	v_mul_f32_e32 v15, v14, v12
	v_mul_f32_e32 v12, v13, v12
	v_fma_f32 v13, v13, v11, -v15
	v_fmac_f32_e32 v12, v14, v11
	v_add_f32_e32 v2, v2, v13
	v_add_f32_e32 v3, v3, v12
	s_or_b64 exec, exec, s[14:15]
	v_cmp_gt_u32_e64 s[12:13], 4, v7
	s_and_saveexec_b64 s[14:15], s[12:13]
	s_cbranch_execnz .LBB68_953
	s_branch .LBB68_954
	.section	.rodata,"a",@progbits
	.p2align	6, 0x0
	.amdhsa_kernel _ZL19rocblas_trsv_deviceILi64ELi16ELb1ELb1ELb0ELb1E19rocblas_complex_numIfES1_PKS1_PS1_EviT7_lllT6_T8_lllPii
		.amdhsa_group_segment_fixed_size 41480
		.amdhsa_private_segment_fixed_size 48
		.amdhsa_kernarg_size 352
		.amdhsa_user_sgpr_count 8
		.amdhsa_user_sgpr_private_segment_buffer 1
		.amdhsa_user_sgpr_dispatch_ptr 0
		.amdhsa_user_sgpr_queue_ptr 0
		.amdhsa_user_sgpr_kernarg_segment_ptr 1
		.amdhsa_user_sgpr_dispatch_id 0
		.amdhsa_user_sgpr_flat_scratch_init 1
		.amdhsa_user_sgpr_private_segment_size 0
		.amdhsa_uses_dynamic_stack 0
		.amdhsa_system_sgpr_private_segment_wavefront_offset 1
		.amdhsa_system_sgpr_workgroup_id_x 1
		.amdhsa_system_sgpr_workgroup_id_y 0
		.amdhsa_system_sgpr_workgroup_id_z 1
		.amdhsa_system_sgpr_workgroup_info 0
		.amdhsa_system_vgpr_workitem_id 1
		.amdhsa_next_free_vgpr 49
		.amdhsa_next_free_sgpr 100
		.amdhsa_reserve_vcc 1
		.amdhsa_reserve_flat_scratch 1
		.amdhsa_float_round_mode_32 0
		.amdhsa_float_round_mode_16_64 0
		.amdhsa_float_denorm_mode_32 3
		.amdhsa_float_denorm_mode_16_64 3
		.amdhsa_dx10_clamp 1
		.amdhsa_ieee_mode 1
		.amdhsa_fp16_overflow 0
		.amdhsa_exception_fp_ieee_invalid_op 0
		.amdhsa_exception_fp_denorm_src 0
		.amdhsa_exception_fp_ieee_div_zero 0
		.amdhsa_exception_fp_ieee_overflow 0
		.amdhsa_exception_fp_ieee_underflow 0
		.amdhsa_exception_fp_ieee_inexact 0
		.amdhsa_exception_int_div_zero 0
	.end_amdhsa_kernel
	.section	.text._ZL19rocblas_trsv_deviceILi64ELi16ELb1ELb1ELb0ELb1E19rocblas_complex_numIfES1_PKS1_PS1_EviT7_lllT6_T8_lllPii,"axG",@progbits,_ZL19rocblas_trsv_deviceILi64ELi16ELb1ELb1ELb0ELb1E19rocblas_complex_numIfES1_PKS1_PS1_EviT7_lllT6_T8_lllPii,comdat
.Lfunc_end68:
	.size	_ZL19rocblas_trsv_deviceILi64ELi16ELb1ELb1ELb0ELb1E19rocblas_complex_numIfES1_PKS1_PS1_EviT7_lllT6_T8_lllPii, .Lfunc_end68-_ZL19rocblas_trsv_deviceILi64ELi16ELb1ELb1ELb0ELb1E19rocblas_complex_numIfES1_PKS1_PS1_EviT7_lllT6_T8_lllPii
                                        ; -- End function
	.set _ZL19rocblas_trsv_deviceILi64ELi16ELb1ELb1ELb0ELb1E19rocblas_complex_numIfES1_PKS1_PS1_EviT7_lllT6_T8_lllPii.num_vgpr, 35
	.set _ZL19rocblas_trsv_deviceILi64ELi16ELb1ELb1ELb0ELb1E19rocblas_complex_numIfES1_PKS1_PS1_EviT7_lllT6_T8_lllPii.num_agpr, 0
	.set _ZL19rocblas_trsv_deviceILi64ELi16ELb1ELb1ELb0ELb1E19rocblas_complex_numIfES1_PKS1_PS1_EviT7_lllT6_T8_lllPii.numbered_sgpr, 100
	.set _ZL19rocblas_trsv_deviceILi64ELi16ELb1ELb1ELb0ELb1E19rocblas_complex_numIfES1_PKS1_PS1_EviT7_lllT6_T8_lllPii.num_named_barrier, 0
	.set _ZL19rocblas_trsv_deviceILi64ELi16ELb1ELb1ELb0ELb1E19rocblas_complex_numIfES1_PKS1_PS1_EviT7_lllT6_T8_lllPii.private_seg_size, 48
	.set _ZL19rocblas_trsv_deviceILi64ELi16ELb1ELb1ELb0ELb1E19rocblas_complex_numIfES1_PKS1_PS1_EviT7_lllT6_T8_lllPii.uses_vcc, 1
	.set _ZL19rocblas_trsv_deviceILi64ELi16ELb1ELb1ELb0ELb1E19rocblas_complex_numIfES1_PKS1_PS1_EviT7_lllT6_T8_lllPii.uses_flat_scratch, 1
	.set _ZL19rocblas_trsv_deviceILi64ELi16ELb1ELb1ELb0ELb1E19rocblas_complex_numIfES1_PKS1_PS1_EviT7_lllT6_T8_lllPii.has_dyn_sized_stack, 0
	.set _ZL19rocblas_trsv_deviceILi64ELi16ELb1ELb1ELb0ELb1E19rocblas_complex_numIfES1_PKS1_PS1_EviT7_lllT6_T8_lllPii.has_recursion, 0
	.set _ZL19rocblas_trsv_deviceILi64ELi16ELb1ELb1ELb0ELb1E19rocblas_complex_numIfES1_PKS1_PS1_EviT7_lllT6_T8_lllPii.has_indirect_call, 0
	.section	.AMDGPU.csdata,"",@progbits
; Kernel info:
; codeLenInByte = 39112
; TotalNumSgprs: 106
; NumVgprs: 35
; ScratchSize: 48
; MemoryBound: 1
; FloatMode: 240
; IeeeMode: 1
; LDSByteSize: 41480 bytes/workgroup (compile time only)
; SGPRBlocks: 13
; VGPRBlocks: 12
; NumSGPRsForWavesPerEU: 106
; NumVGPRsForWavesPerEU: 49
; Occupancy: 4
; WaveLimiterHint : 0
; COMPUTE_PGM_RSRC2:SCRATCH_EN: 1
; COMPUTE_PGM_RSRC2:USER_SGPR: 8
; COMPUTE_PGM_RSRC2:TRAP_HANDLER: 0
; COMPUTE_PGM_RSRC2:TGID_X_EN: 1
; COMPUTE_PGM_RSRC2:TGID_Y_EN: 0
; COMPUTE_PGM_RSRC2:TGID_Z_EN: 1
; COMPUTE_PGM_RSRC2:TIDIG_COMP_CNT: 1
	.section	.text._ZL19rocblas_trsv_deviceILi64ELi16ELb1ELb1ELb1ELb1E19rocblas_complex_numIfES1_PKS1_PS1_EviT7_lllT6_T8_lllPii,"axG",@progbits,_ZL19rocblas_trsv_deviceILi64ELi16ELb1ELb1ELb1ELb1E19rocblas_complex_numIfES1_PKS1_PS1_EviT7_lllT6_T8_lllPii,comdat
	.globl	_ZL19rocblas_trsv_deviceILi64ELi16ELb1ELb1ELb1ELb1E19rocblas_complex_numIfES1_PKS1_PS1_EviT7_lllT6_T8_lllPii ; -- Begin function _ZL19rocblas_trsv_deviceILi64ELi16ELb1ELb1ELb1ELb1E19rocblas_complex_numIfES1_PKS1_PS1_EviT7_lllT6_T8_lllPii
	.p2align	8
	.type	_ZL19rocblas_trsv_deviceILi64ELi16ELb1ELb1ELb1ELb1E19rocblas_complex_numIfES1_PKS1_PS1_EviT7_lllT6_T8_lllPii,@function
_ZL19rocblas_trsv_deviceILi64ELi16ELb1ELb1ELb1ELb1E19rocblas_complex_numIfES1_PKS1_PS1_EviT7_lllT6_T8_lllPii: ; @_ZL19rocblas_trsv_deviceILi64ELi16ELb1ELb1ELb1ELb1E19rocblas_complex_numIfES1_PKS1_PS1_EviT7_lllT6_T8_lllPii
; %bb.0:
	s_load_dwordx8 s[20:27], s[4:5], 0x8
	s_load_dword s30, s[4:5], 0x0
	s_mov_b32 s28, s7
	s_mov_b32 s29, 0
	s_waitcnt lgkmcnt(0)
	s_mul_i32 s0, s27, s7
	s_mul_hi_u32 s1, s26, s7
	s_add_i32 s1, s1, s0
	s_mul_i32 s0, s26, s7
	s_load_dword s7, s[4:5], 0x60
	s_lshl_b64 s[0:1], s[0:1], 3
	s_add_u32 s2, s20, s0
	s_addc_u32 s3, s21, s1
	s_lshl_b64 s[0:1], s[22:23], 3
	s_load_dwordx2 s[26:27], s[4:5], 0x28
	s_load_dword s87, s[4:5], 0x6c
	s_add_u32 s85, s2, s0
	s_addc_u32 s86, s3, s1
	s_waitcnt lgkmcnt(0)
	s_add_i32 s7, s7, -1
	s_sub_i32 s33, s7, s6
	s_cmp_eq_u32 s6, 0
	s_cbranch_scc1 .LBB69_10
; %bb.1:
	s_lshl_b32 s2, s33, 6
	v_add_u32_e32 v4, s2, v0
	v_ashrrev_i32_e32 v2, 31, v4
	v_mul_lo_u32 v5, s24, v2
	v_mul_lo_u32 v8, s25, v4
	v_mad_u64_u32 v[2:3], s[0:1], s24, v4, 0
	v_add3_u32 v6, v1, s2, 64
	v_ashrrev_i32_e32 v7, 31, v6
	v_add3_u32 v3, v3, v5, v8
	v_lshlrev_b64 v[2:3], 3, v[2:3]
	v_cmp_gt_i32_e32 vcc, s30, v4
	v_mov_b32_e32 v4, s86
	v_add_co_u32_e64 v5, s[0:1], s85, v2
	v_addc_co_u32_e64 v4, s[0:1], v4, v3, s[0:1]
	v_lshlrev_b64 v[2:3], 3, v[6:7]
	v_add_co_u32_e64 v10, s[0:1], v5, v2
	v_addc_co_u32_e64 v11, s[0:1], v4, v3, s[0:1]
	v_cmp_gt_i32_e64 s[0:1], s30, v6
	s_and_b64 s[2:3], s[0:1], vcc
	v_mov_b32_e32 v2, 0
	v_mov_b32_e32 v4, 0
	;; [unrolled: 1-line block ×3, first 2 shown]
	s_barrier
	s_and_saveexec_b64 s[0:1], s[2:3]
	s_cbranch_execz .LBB69_3
; %bb.2:
	global_load_dwordx2 v[4:5], v[10:11], off
.LBB69_3:
	s_or_b64 exec, exec, s[0:1]
	v_add_u32_e32 v3, 16, v6
	v_cmp_gt_i32_e64 s[0:1], s30, v3
	s_and_b64 s[2:3], s[0:1], vcc
	v_mov_b32_e32 v3, 0
	s_waitcnt vmcnt(0)
	s_barrier
	s_and_saveexec_b64 s[0:1], s[2:3]
	s_cbranch_execz .LBB69_5
; %bb.4:
	global_load_dwordx2 v[2:3], v[10:11], off offset:128
.LBB69_5:
	s_or_b64 exec, exec, s[0:1]
	v_add_u32_e32 v7, 32, v6
	v_cmp_gt_i32_e64 s[0:1], s30, v7
	s_and_b64 s[2:3], s[0:1], vcc
	v_mov_b32_e32 v7, 0
	v_mov_b32_e32 v8, 0
	;; [unrolled: 1-line block ×3, first 2 shown]
	s_waitcnt vmcnt(0)
	s_barrier
	s_and_saveexec_b64 s[0:1], s[2:3]
	s_cbranch_execz .LBB69_7
; %bb.6:
	global_load_dwordx2 v[8:9], v[10:11], off offset:256
.LBB69_7:
	s_or_b64 exec, exec, s[0:1]
	v_add_u32_e32 v6, 48, v6
	v_cmp_gt_i32_e64 s[0:1], s30, v6
	s_and_b64 s[2:3], s[0:1], vcc
	v_mov_b32_e32 v6, 0
	s_waitcnt vmcnt(0)
	s_barrier
	s_and_saveexec_b64 s[0:1], s[2:3]
	s_cbranch_execz .LBB69_9
; %bb.8:
	global_load_dwordx2 v[6:7], v[10:11], off offset:384
.LBB69_9:
	s_or_b64 exec, exec, s[0:1]
	s_branch .LBB69_11
.LBB69_10:
                                        ; implicit-def: $vgpr7
                                        ; implicit-def: $vgpr9
                                        ; implicit-def: $vgpr3
                                        ; implicit-def: $vgpr5
.LBB69_11:
	s_ashr_i32 s31, s30, 31
	s_lshr_b32 s0, s31, 26
	s_add_i32 s0, s30, s0
	s_andn2_b32 s0, s0, 63
	s_sub_i32 s84, s30, s0
	s_add_i32 s0, s30, -1
	s_ashr_i32 s1, s0, 31
	s_lshr_b32 s1, s1, 26
	s_add_i32 s0, s0, s1
	s_ashr_i32 s0, s0, 6
	s_cmp_eq_u32 s0, s33
	s_cselect_b64 s[0:1], -1, 0
	s_cmp_lg_u32 s84, 0
	s_cselect_b64 s[2:3], -1, 0
	s_and_b64 s[22:23], s[2:3], s[0:1]
	s_cmp_lt_i32 s6, 5
	s_cselect_b64 s[2:3], -1, 0
	v_lshlrev_b32_e32 v10, 6, v0
	s_mov_b64 s[12:13], -1
	s_or_b64 s[0:1], s[2:3], s[22:23]
	s_and_b64 vcc, exec, s[22:23]
	v_add_u32_e32 v11, v1, v10
	v_cmp_le_u32_e64 s[8:9], v0, v1
	v_lshl_add_u32 v17, v1, 6, v0
	s_cbranch_vccnz .LBB69_37
; %bb.12:
	s_add_u32 s10, s24, 1
	s_addc_u32 s11, s25, 0
	s_lshl_b32 s12, s33, 6
	s_ashr_i32 s13, s12, 31
	s_mul_hi_u32 s14, s10, s12
	s_mul_i32 s13, s10, s13
	s_add_i32 s13, s14, s13
	s_mul_i32 s11, s11, s12
	s_add_i32 s11, s13, s11
	s_mul_i32 s10, s10, s12
	s_lshl_b64 s[10:11], s[10:11], 3
	s_add_u32 s10, s85, s10
	s_addc_u32 s11, s86, s11
	v_lshlrev_b32_e32 v12, 3, v0
	v_mov_b32_e32 v13, s11
	v_add_co_u32_e32 v12, vcc, s10, v12
	v_addc_co_u32_e32 v13, vcc, 0, v13, vcc
	v_cndmask_b32_e64 v14, v17, v11, s[2:3]
	s_and_saveexec_b64 s[2:3], s[8:9]
	s_xor_b64 s[2:3], exec, s[2:3]
	s_cbranch_execz .LBB69_16
; %bb.13:
	v_or_b32_e32 v15, v1, v0
	v_cmp_gt_u32_e32 vcc, 64, v15
	s_and_saveexec_b64 s[8:9], vcc
; %bb.14:
	v_lshlrev_b32_e32 v16, 3, v14
	v_mov_b32_e32 v14, 0
	v_mov_b32_e32 v15, v14
	ds_write_b64 v16, v[14:15]
; %bb.15:
	s_or_b64 exec, exec, s[8:9]
                                        ; implicit-def: $vgpr14
.LBB69_16:
	s_andn2_saveexec_b64 s[2:3], s[2:3]
	s_cbranch_execz .LBB69_18
; %bb.17:
	v_mad_u64_u32 v[15:16], s[8:9], s24, v1, 0
	v_lshlrev_b32_e32 v14, 3, v14
	v_mad_u64_u32 v[18:19], s[8:9], s25, v1, v[16:17]
	v_mov_b32_e32 v16, v18
	v_lshlrev_b64 v[15:16], 3, v[15:16]
	v_add_co_u32_e32 v15, vcc, v12, v15
	v_addc_co_u32_e32 v16, vcc, v13, v16, vcc
	global_load_dwordx2 v[15:16], v[15:16], off
	s_waitcnt vmcnt(0)
	v_xor_b32_e32 v15, 0x80000000, v15
	ds_write_b64 v14, v[15:16]
.LBB69_18:
	s_or_b64 exec, exec, s[2:3]
	v_add_u32_e32 v15, 16, v1
	v_add_u32_e32 v14, v15, v10
	v_lshl_add_u32 v16, v15, 6, v0
	v_cndmask_b32_e64 v14, v16, v14, s[0:1]
	v_cmp_le_u32_e32 vcc, v0, v15
	s_and_saveexec_b64 s[2:3], vcc
	s_xor_b64 s[2:3], exec, s[2:3]
	s_cbranch_execz .LBB69_22
; %bb.19:
	v_or_b32_e32 v15, v15, v0
	v_cmp_gt_u32_e32 vcc, 64, v15
	s_and_saveexec_b64 s[8:9], vcc
; %bb.20:
	v_lshlrev_b32_e32 v16, 3, v14
	v_mov_b32_e32 v14, 0
	v_mov_b32_e32 v15, v14
	ds_write_b64 v16, v[14:15]
; %bb.21:
	s_or_b64 exec, exec, s[8:9]
                                        ; implicit-def: $vgpr15
                                        ; implicit-def: $vgpr14
.LBB69_22:
	s_andn2_saveexec_b64 s[2:3], s[2:3]
	s_cbranch_execz .LBB69_24
; %bb.23:
	v_mad_u64_u32 v[18:19], s[8:9], s24, v15, 0
	v_lshlrev_b32_e32 v14, 3, v14
	v_mov_b32_e32 v16, v19
	v_mad_u64_u32 v[15:16], s[8:9], s25, v15, v[16:17]
	v_mov_b32_e32 v19, v15
	v_lshlrev_b64 v[15:16], 3, v[18:19]
	v_add_co_u32_e32 v15, vcc, v12, v15
	v_addc_co_u32_e32 v16, vcc, v13, v16, vcc
	global_load_dwordx2 v[15:16], v[15:16], off
	s_waitcnt vmcnt(0)
	v_xor_b32_e32 v15, 0x80000000, v15
	ds_write_b64 v14, v[15:16]
.LBB69_24:
	s_or_b64 exec, exec, s[2:3]
	v_add_u32_e32 v15, 32, v1
	v_add_u32_e32 v14, v15, v10
	v_lshl_add_u32 v16, v15, 6, v0
	v_cndmask_b32_e64 v14, v16, v14, s[0:1]
	v_cmp_le_u32_e32 vcc, v0, v15
	s_and_saveexec_b64 s[2:3], vcc
	s_xor_b64 s[2:3], exec, s[2:3]
	s_cbranch_execz .LBB69_28
; %bb.25:
	v_or_b32_e32 v15, v15, v0
	v_cmp_gt_u32_e32 vcc, 64, v15
	s_and_saveexec_b64 s[8:9], vcc
; %bb.26:
	v_lshlrev_b32_e32 v16, 3, v14
	v_mov_b32_e32 v14, 0
	v_mov_b32_e32 v15, v14
	ds_write_b64 v16, v[14:15]
; %bb.27:
	s_or_b64 exec, exec, s[8:9]
                                        ; implicit-def: $vgpr15
                                        ; implicit-def: $vgpr14
.LBB69_28:
	s_andn2_saveexec_b64 s[2:3], s[2:3]
	s_cbranch_execz .LBB69_30
; %bb.29:
	v_mad_u64_u32 v[18:19], s[8:9], s24, v15, 0
	v_lshlrev_b32_e32 v14, 3, v14
	v_mov_b32_e32 v16, v19
	v_mad_u64_u32 v[15:16], s[8:9], s25, v15, v[16:17]
	v_mov_b32_e32 v19, v15
	v_lshlrev_b64 v[15:16], 3, v[18:19]
	v_add_co_u32_e32 v15, vcc, v12, v15
	v_addc_co_u32_e32 v16, vcc, v13, v16, vcc
	global_load_dwordx2 v[15:16], v[15:16], off
	s_waitcnt vmcnt(0)
	v_xor_b32_e32 v15, 0x80000000, v15
	ds_write_b64 v14, v[15:16]
.LBB69_30:
	s_or_b64 exec, exec, s[2:3]
	v_add_u32_e32 v15, 48, v1
	v_add_u32_e32 v14, v15, v10
	v_lshl_add_u32 v16, v15, 6, v0
	v_cndmask_b32_e64 v14, v16, v14, s[0:1]
	v_cmp_le_u32_e32 vcc, v0, v15
	s_and_saveexec_b64 s[2:3], vcc
	s_xor_b64 s[2:3], exec, s[2:3]
	s_cbranch_execz .LBB69_34
; %bb.31:
	v_or_b32_e32 v12, v15, v0
	v_cmp_gt_u32_e32 vcc, 64, v12
	s_and_saveexec_b64 s[8:9], vcc
; %bb.32:
	v_mov_b32_e32 v12, 0
	v_lshlrev_b32_e32 v14, 3, v14
	v_mov_b32_e32 v13, v12
	ds_write_b64 v14, v[12:13]
; %bb.33:
	s_or_b64 exec, exec, s[8:9]
                                        ; implicit-def: $vgpr15
                                        ; implicit-def: $vgpr12
                                        ; implicit-def: $vgpr13
                                        ; implicit-def: $vgpr14
.LBB69_34:
	s_andn2_saveexec_b64 s[2:3], s[2:3]
	s_cbranch_execz .LBB69_36
; %bb.35:
	v_mad_u64_u32 v[18:19], s[8:9], s24, v15, 0
	v_lshlrev_b32_e32 v14, 3, v14
	v_mov_b32_e32 v16, v19
	v_mad_u64_u32 v[15:16], s[8:9], s25, v15, v[16:17]
	v_mov_b32_e32 v19, v15
	v_lshlrev_b64 v[15:16], 3, v[18:19]
	v_add_co_u32_e32 v12, vcc, v12, v15
	v_addc_co_u32_e32 v13, vcc, v13, v16, vcc
	global_load_dwordx2 v[12:13], v[12:13], off
	s_waitcnt vmcnt(0)
	v_xor_b32_e32 v12, 0x80000000, v12
	ds_write_b64 v14, v[12:13]
.LBB69_36:
	s_or_b64 exec, exec, s[2:3]
	s_mov_b64 s[12:13], 0
.LBB69_37:
	s_xor_b64 s[10:11], s[0:1], -1
	s_and_b64 vcc, exec, s[12:13]
	s_cbranch_vccz .LBB69_63
; %bb.38:
	s_add_u32 s2, s24, 1
	s_addc_u32 s3, s25, 0
	s_lshl_b32 s8, s33, 6
	s_ashr_i32 s9, s8, 31
	s_mul_hi_u32 s12, s2, s8
	s_mul_i32 s9, s2, s9
	s_add_i32 s9, s12, s9
	s_mul_i32 s3, s3, s8
	s_add_i32 s3, s9, s3
	s_mul_i32 s2, s2, s8
	s_lshl_b64 s[2:3], s[2:3], 3
	s_add_u32 s2, s85, s2
	s_addc_u32 s3, s86, s3
	v_lshlrev_b32_e32 v12, 3, v0
	v_mov_b32_e32 v13, s3
	v_add_co_u32_e64 v12, s[2:3], s2, v12
	v_addc_co_u32_e64 v13, s[2:3], 0, v13, s[2:3]
	v_max_i32_e32 v14, v1, v0
	v_cmp_le_u32_e64 s[2:3], v0, v1
	v_cmp_le_i32_e64 s[8:9], s84, v14
	v_cmp_gt_i32_e32 vcc, s84, v0
	s_or_b64 s[2:3], s[8:9], s[2:3]
	s_and_saveexec_b64 s[8:9], s[2:3]
	s_xor_b64 s[8:9], exec, s[8:9]
	s_cbranch_execz .LBB69_42
; %bb.39:
	v_or_b32_e32 v14, v1, v0
	v_cmp_gt_u32_e64 s[2:3], 64, v14
	s_and_saveexec_b64 s[12:13], s[2:3]
; %bb.40:
	v_mov_b32_e32 v14, 0
	v_lshlrev_b32_e32 v11, 3, v11
	v_mov_b32_e32 v15, v14
	ds_write_b64 v11, v[14:15]
; %bb.41:
	s_or_b64 exec, exec, s[12:13]
                                        ; implicit-def: $vgpr11
.LBB69_42:
	s_andn2_saveexec_b64 s[8:9], s[8:9]
	s_cbranch_execz .LBB69_44
; %bb.43:
	v_mad_u64_u32 v[14:15], s[2:3], s24, v1, 0
	v_lshlrev_b32_e32 v11, 3, v11
	v_mad_u64_u32 v[15:16], s[2:3], s25, v1, v[15:16]
	v_lshlrev_b64 v[14:15], 3, v[14:15]
	v_add_co_u32_e64 v14, s[2:3], v12, v14
	v_addc_co_u32_e64 v15, s[2:3], v13, v15, s[2:3]
	global_load_dwordx2 v[14:15], v[14:15], off
	s_waitcnt vmcnt(0)
	v_xor_b32_e32 v14, 0x80000000, v14
	ds_write_b64 v11, v[14:15]
.LBB69_44:
	s_or_b64 exec, exec, s[8:9]
	v_add_u32_e32 v14, 16, v1
	v_cmp_gt_u32_e64 s[2:3], v0, v14
	v_cmp_gt_i32_e64 s[8:9], s84, v14
	s_and_b64 s[2:3], s[2:3], s[8:9]
	v_add_u32_e32 v11, v14, v10
	v_lshl_add_u32 v15, v14, 6, v0
	s_and_b64 s[2:3], s[2:3], vcc
	v_cndmask_b32_e64 v11, v15, v11, s[0:1]
	s_xor_b64 s[2:3], s[2:3], -1
	s_and_saveexec_b64 s[8:9], s[2:3]
	s_xor_b64 s[8:9], exec, s[8:9]
	s_cbranch_execz .LBB69_48
; %bb.45:
	v_or_b32_e32 v14, v14, v0
	v_cmp_gt_u32_e64 s[2:3], 64, v14
	s_and_saveexec_b64 s[12:13], s[2:3]
; %bb.46:
	v_mov_b32_e32 v14, 0
	v_lshlrev_b32_e32 v11, 3, v11
	v_mov_b32_e32 v15, v14
	ds_write_b64 v11, v[14:15]
; %bb.47:
	s_or_b64 exec, exec, s[12:13]
                                        ; implicit-def: $vgpr14
                                        ; implicit-def: $vgpr11
.LBB69_48:
	s_andn2_saveexec_b64 s[8:9], s[8:9]
	s_cbranch_execz .LBB69_50
; %bb.49:
	v_mad_u64_u32 v[15:16], s[2:3], s24, v14, 0
	v_lshlrev_b32_e32 v11, 3, v11
	v_mad_u64_u32 v[18:19], s[2:3], s25, v14, v[16:17]
	v_mov_b32_e32 v16, v18
	v_lshlrev_b64 v[14:15], 3, v[15:16]
	v_add_co_u32_e64 v14, s[2:3], v12, v14
	v_addc_co_u32_e64 v15, s[2:3], v13, v15, s[2:3]
	global_load_dwordx2 v[14:15], v[14:15], off
	s_waitcnt vmcnt(0)
	v_xor_b32_e32 v14, 0x80000000, v14
	ds_write_b64 v11, v[14:15]
.LBB69_50:
	s_or_b64 exec, exec, s[8:9]
	v_add_u32_e32 v14, 32, v1
	v_cmp_gt_u32_e64 s[2:3], v0, v14
	v_cmp_gt_i32_e64 s[8:9], s84, v14
	s_and_b64 s[2:3], s[2:3], s[8:9]
	v_add_u32_e32 v11, v14, v10
	v_lshl_add_u32 v15, v14, 6, v0
	s_and_b64 s[2:3], s[2:3], vcc
	v_cndmask_b32_e64 v11, v15, v11, s[0:1]
	s_xor_b64 s[2:3], s[2:3], -1
	s_and_saveexec_b64 s[8:9], s[2:3]
	s_xor_b64 s[8:9], exec, s[8:9]
	s_cbranch_execz .LBB69_54
; %bb.51:
	v_or_b32_e32 v14, v14, v0
	v_cmp_gt_u32_e64 s[2:3], 64, v14
	s_and_saveexec_b64 s[12:13], s[2:3]
; %bb.52:
	v_mov_b32_e32 v14, 0
	v_lshlrev_b32_e32 v11, 3, v11
	v_mov_b32_e32 v15, v14
	ds_write_b64 v11, v[14:15]
; %bb.53:
	s_or_b64 exec, exec, s[12:13]
                                        ; implicit-def: $vgpr14
                                        ; implicit-def: $vgpr11
.LBB69_54:
	s_andn2_saveexec_b64 s[8:9], s[8:9]
	s_cbranch_execz .LBB69_56
; %bb.55:
	v_mad_u64_u32 v[15:16], s[2:3], s24, v14, 0
	v_lshlrev_b32_e32 v11, 3, v11
	v_mad_u64_u32 v[18:19], s[2:3], s25, v14, v[16:17]
	v_mov_b32_e32 v16, v18
	v_lshlrev_b64 v[14:15], 3, v[15:16]
	v_add_co_u32_e64 v14, s[2:3], v12, v14
	v_addc_co_u32_e64 v15, s[2:3], v13, v15, s[2:3]
	global_load_dwordx2 v[14:15], v[14:15], off
	s_waitcnt vmcnt(0)
	v_xor_b32_e32 v14, 0x80000000, v14
	ds_write_b64 v11, v[14:15]
.LBB69_56:
	s_or_b64 exec, exec, s[8:9]
	v_add_u32_e32 v11, 48, v1
	v_add_u32_e32 v10, v11, v10
	v_lshl_add_u32 v14, v11, 6, v0
	v_cndmask_b32_e64 v10, v14, v10, s[0:1]
	v_cmp_gt_u32_e64 s[0:1], v0, v11
	v_cmp_gt_i32_e64 s[2:3], s84, v11
	s_and_b64 s[0:1], s[0:1], s[2:3]
	s_and_b64 s[0:1], s[0:1], vcc
	s_xor_b64 s[0:1], s[0:1], -1
	s_and_saveexec_b64 s[2:3], s[0:1]
	s_xor_b64 s[0:1], exec, s[2:3]
	s_cbranch_execz .LBB69_60
; %bb.57:
	v_or_b32_e32 v11, v11, v0
	v_cmp_gt_u32_e32 vcc, 64, v11
	s_and_saveexec_b64 s[2:3], vcc
; %bb.58:
	v_lshlrev_b32_e32 v12, 3, v10
	v_mov_b32_e32 v10, 0
	v_mov_b32_e32 v11, v10
	ds_write_b64 v12, v[10:11]
; %bb.59:
	s_or_b64 exec, exec, s[2:3]
                                        ; implicit-def: $vgpr11
                                        ; implicit-def: $vgpr12
                                        ; implicit-def: $vgpr13
                                        ; implicit-def: $vgpr10
.LBB69_60:
	s_andn2_saveexec_b64 s[0:1], s[0:1]
	s_cbranch_execz .LBB69_62
; %bb.61:
	v_mad_u64_u32 v[14:15], s[2:3], s24, v11, 0
	v_lshlrev_b32_e32 v10, 3, v10
	v_mad_u64_u32 v[15:16], s[2:3], s25, v11, v[15:16]
	v_lshlrev_b64 v[14:15], 3, v[14:15]
	v_add_co_u32_e32 v11, vcc, v12, v14
	v_addc_co_u32_e32 v12, vcc, v13, v15, vcc
	global_load_dwordx2 v[11:12], v[11:12], off
	s_waitcnt vmcnt(0)
	v_xor_b32_e32 v11, 0x80000000, v11
	ds_write_b64 v10, v[11:12]
.LBB69_62:
	s_or_b64 exec, exec, s[0:1]
.LBB69_63:
	v_cndmask_b32_e64 v10, 0, 1, s[10:11]
	v_cmp_ne_u32_e64 s[42:43], 1, v10
	s_andn2_b64 vcc, exec, s[10:11]
	s_waitcnt vmcnt(0) lgkmcnt(0)
	s_barrier
	s_cbranch_vccnz .LBB69_985
; %bb.64:
	v_or_b32_e32 v10, v0, v1
	s_mov_b32 s3, 0
	v_cmp_eq_u32_e32 vcc, 0, v10
	s_and_saveexec_b64 s[0:1], vcc
	s_cbranch_execz .LBB69_66
; %bb.65:
	v_mov_b32_e32 v14, 0
	ds_read_b64 v[10:11], v14 offset:8
	s_mov_b32 s2, 1.0
	v_mov_b32_e32 v13, s3
	v_mov_b32_e32 v12, s2
	ds_write_b64 v14, v[12:13] offset:520
	s_waitcnt lgkmcnt(1)
	ds_write2st64_b64 v14, v[12:13], v[10:11] offset1:1
.LBB69_66:
	s_or_b64 exec, exec, s[0:1]
	v_and_b32_e32 v15, 1, v0
	v_lshrrev_b32_e32 v14, 1, v17
	v_lshlrev_b32_e32 v10, 3, v15
	v_cmp_lt_u32_e64 s[8:9], 3, v17
	v_cmp_gt_u32_e64 s[2:3], 4, v17
	v_lshl_or_b32 v12, v14, 9, v10
	v_mov_b32_e32 v11, 0
	v_mov_b32_e32 v10, 0
	s_waitcnt lgkmcnt(0)
	s_barrier
	s_and_saveexec_b64 s[0:1], s[2:3]
	s_cbranch_execz .LBB69_70
; %bb.67:
	v_mul_u32_u24_e32 v13, 0x208, v14
	ds_read_b64 v[10:11], v12 offset:16
	ds_read_b64 v[18:19], v13
	v_cmp_gt_u32_e64 s[10:11], 2, v17
	s_waitcnt lgkmcnt(0)
	v_mul_f32_e32 v13, v19, v11
	v_mul_f32_e32 v11, v18, v11
	v_fma_f32 v13, v18, v10, -v13
	v_fmac_f32_e32 v11, v19, v10
	v_add_f32_e32 v10, 0, v13
	v_add_f32_e32 v11, 0, v11
	s_and_saveexec_b64 s[12:13], s[10:11]
	s_cbranch_execz .LBB69_69
; %bb.68:
	v_lshlrev_b32_e32 v13, 3, v0
	v_mov_b32_e32 v16, 0
	ds_read_b64 v[18:19], v13 offset:528
	ds_read_b64 v[20:21], v16 offset:8
	s_waitcnt lgkmcnt(0)
	v_mul_f32_e32 v13, v21, v19
	v_mul_f32_e32 v16, v20, v19
	v_fma_f32 v13, v20, v18, -v13
	v_fmac_f32_e32 v16, v21, v18
	v_add_f32_e32 v10, v10, v13
	v_add_f32_e32 v11, v11, v16
.LBB69_69:
	s_or_b64 exec, exec, s[12:13]
	v_xor_b32_e32 v10, 0x80000000, v10
	v_xor_b32_e32 v11, 0x80000000, v11
.LBB69_70:
	s_or_b64 exec, exec, s[0:1]
	v_mov_b32_e32 v13, 0x8000
	v_cmp_eq_u32_e64 s[10:11], 0, v15
	s_xor_b64 s[0:1], s[8:9], -1
	v_lshl_add_u32 v13, v14, 3, v13
	s_and_b64 s[36:37], s[10:11], s[0:1]
	s_and_saveexec_b64 s[8:9], s[36:37]
; %bb.71:
	ds_write_b64 v13, v[10:11]
; %bb.72:
	s_or_b64 exec, exec, s[8:9]
	v_cmp_ne_u32_e64 s[8:9], 0, v15
	s_and_b64 s[34:35], s[8:9], s[0:1]
	s_waitcnt lgkmcnt(0)
	s_barrier
	s_and_saveexec_b64 s[0:1], s[34:35]
	s_cbranch_execz .LBB69_74
; %bb.73:
	v_mov_b32_e32 v15, 0
	ds_read_b64 v[15:16], v15 offset:1048
	ds_read_b64 v[18:19], v13
	s_waitcnt lgkmcnt(0)
	v_mul_f32_e32 v20, v19, v16
	v_mul_f32_e32 v16, v18, v16
	v_fma_f32 v18, v18, v15, -v20
	v_fmac_f32_e32 v16, v19, v15
	v_add_f32_e32 v10, v10, v18
	v_add_f32_e32 v11, v11, v16
.LBB69_74:
	s_or_b64 exec, exec, s[0:1]
	s_barrier
	s_and_saveexec_b64 s[0:1], s[34:35]
; %bb.75:
	ds_write_b64 v13, v[10:11]
; %bb.76:
	s_or_b64 exec, exec, s[0:1]
	s_waitcnt lgkmcnt(0)
	s_barrier
	s_barrier
	s_and_saveexec_b64 s[0:1], s[2:3]
; %bb.77:
	v_xor_b32_e32 v11, 0x80000000, v11
	v_xor_b32_e32 v10, 0x80000000, v10
	ds_write_b64 v12, v[10:11] offset:16
; %bb.78:
	s_or_b64 exec, exec, s[0:1]
	v_cmp_eq_u32_e64 s[12:13], 0, v1
	v_cmp_gt_u32_e64 s[8:9], 2, v0
	s_and_b64 s[38:39], s[12:13], s[8:9]
	s_waitcnt lgkmcnt(0)
	s_barrier
	s_barrier
	s_and_saveexec_b64 s[0:1], s[38:39]
	s_cbranch_execz .LBB69_80
; %bb.79:
	v_lshlrev_b32_e32 v15, 3, v0
	s_movk_i32 s8, 0x1f8
	v_mad_u32_u24 v16, v0, s8, v15
	ds_read_b64 v[10:11], v16 offset:16
	s_waitcnt lgkmcnt(0)
	ds_write_b64 v15, v[10:11] offset:1024
	ds_read_b64 v[10:11], v16 offset:24
	s_waitcnt lgkmcnt(0)
	ds_write_b64 v15, v[10:11] offset:1536
.LBB69_80:
	s_or_b64 exec, exec, s[0:1]
	s_waitcnt lgkmcnt(0)
	s_barrier
	s_and_saveexec_b64 s[0:1], vcc
	s_cbranch_execz .LBB69_82
; %bb.81:
	v_mov_b32_e32 v18, 0
	ds_read_b64 v[10:11], v18 offset:1048
	s_mov_b64 s[8:9], 0x3f800000
	v_mov_b32_e32 v16, s9
	v_mov_b32_e32 v15, s8
	ds_write_b64 v18, v[15:16] offset:1560
	s_waitcnt lgkmcnt(1)
	ds_write2_b64 v18, v[15:16], v[10:11] offset0:130 offset1:194
.LBB69_82:
	s_or_b64 exec, exec, s[0:1]
	v_and_b32_e32 v19, 3, v0
	v_lshrrev_b32_e32 v20, 2, v17
	v_lshlrev_b32_e32 v16, 3, v19
	v_cmp_lt_u32_e64 s[8:9], 15, v17
	v_cmp_gt_u32_e64 s[18:19], 16, v17
	v_lshl_or_b32 v15, v20, 9, v16
	v_mov_b32_e32 v11, 0
	v_mov_b32_e32 v10, 0
	s_waitcnt lgkmcnt(0)
	s_barrier
	s_and_saveexec_b64 s[0:1], s[18:19]
	s_cbranch_execz .LBB69_88
; %bb.83:
	v_mul_u32_u24_e32 v18, 0x208, v20
	ds_read_b64 v[10:11], v15 offset:32
	ds_read_b64 v[21:22], v18
	v_cmp_gt_u32_e64 s[10:11], 12, v17
	s_waitcnt lgkmcnt(0)
	v_mul_f32_e32 v23, v22, v11
	v_mul_f32_e32 v11, v21, v11
	v_fma_f32 v21, v21, v10, -v23
	v_fmac_f32_e32 v11, v22, v10
	v_add_f32_e32 v10, 0, v21
	v_add_f32_e32 v11, 0, v11
	s_and_saveexec_b64 s[14:15], s[10:11]
	s_cbranch_execnz .LBB69_1059
; %bb.84:
	s_or_b64 exec, exec, s[14:15]
	v_cmp_gt_u32_e64 s[10:11], 8, v17
	s_and_saveexec_b64 s[14:15], s[10:11]
	s_cbranch_execnz .LBB69_1060
.LBB69_85:
	s_or_b64 exec, exec, s[14:15]
	v_cmp_gt_u32_e64 s[10:11], 4, v17
	s_and_saveexec_b64 s[14:15], s[10:11]
	s_cbranch_execz .LBB69_87
.LBB69_86:
	v_lshlrev_b32_e32 v18, 3, v0
	v_mov_b32_e32 v23, 0
	ds_read_b64 v[21:22], v18 offset:1568
	ds_read_b64 v[23:24], v23 offset:24
	s_waitcnt lgkmcnt(0)
	v_mul_f32_e32 v18, v24, v22
	v_mul_f32_e32 v22, v23, v22
	v_fma_f32 v18, v23, v21, -v18
	v_fmac_f32_e32 v22, v24, v21
	v_add_f32_e32 v10, v10, v18
	v_add_f32_e32 v11, v11, v22
.LBB69_87:
	s_or_b64 exec, exec, s[14:15]
	v_xor_b32_e32 v10, 0x80000000, v10
	v_xor_b32_e32 v11, 0x80000000, v11
.LBB69_88:
                                        ; implicit-def: $vgpr42 : SGPR spill to VGPR lane
	v_writelane_b32 v42, s42, 0
	v_writelane_b32 v42, s43, 1
	s_or_b64 exec, exec, s[0:1]
	v_mov_b32_e32 v18, 0x8000
	v_cmp_eq_u32_e64 s[10:11], 0, v19
	s_xor_b64 s[0:1], s[8:9], -1
	v_lshl_add_u32 v18, v20, 3, v18
	s_and_b64 s[42:43], s[10:11], s[0:1]
	s_and_saveexec_b64 s[8:9], s[42:43]
; %bb.89:
	ds_write_b64 v18, v[10:11]
; %bb.90:
	s_or_b64 exec, exec, s[8:9]
	v_cmp_ne_u32_e64 s[8:9], 0, v19
	s_and_b64 s[44:45], s[8:9], s[0:1]
	s_waitcnt lgkmcnt(0)
	s_barrier
	s_and_saveexec_b64 s[8:9], s[44:45]
	s_cbranch_execz .LBB69_92
; %bb.91:
	ds_read_b64 v[21:22], v16 offset:2080
	ds_read_b64 v[23:24], v18
	s_waitcnt lgkmcnt(0)
	v_mul_f32_e32 v25, v24, v22
	v_mul_f32_e32 v22, v23, v22
	v_fma_f32 v23, v23, v21, -v25
	v_fmac_f32_e32 v22, v24, v21
	v_add_f32_e32 v10, v10, v23
	v_add_f32_e32 v11, v11, v22
.LBB69_92:
	s_or_b64 exec, exec, s[8:9]
	v_cmp_eq_u32_e64 s[8:9], 1, v19
	s_and_b64 s[46:47], s[8:9], s[0:1]
	s_barrier
	s_and_saveexec_b64 s[8:9], s[46:47]
; %bb.93:
	ds_write_b64 v18, v[10:11]
; %bb.94:
	s_or_b64 exec, exec, s[8:9]
	v_cmp_lt_u32_e64 s[8:9], 1, v19
	s_and_b64 s[48:49], s[8:9], s[0:1]
	s_waitcnt lgkmcnt(0)
	s_barrier
	s_and_saveexec_b64 s[8:9], s[48:49]
	s_cbranch_execz .LBB69_96
; %bb.95:
	ds_read_b64 v[21:22], v16 offset:2592
	ds_read_b64 v[23:24], v18
	s_waitcnt lgkmcnt(0)
	v_mul_f32_e32 v25, v24, v22
	v_mul_f32_e32 v22, v23, v22
	v_fma_f32 v23, v23, v21, -v25
	v_fmac_f32_e32 v22, v24, v21
	v_add_f32_e32 v10, v10, v23
	v_add_f32_e32 v11, v11, v22
.LBB69_96:
	s_or_b64 exec, exec, s[8:9]
	v_cmp_eq_u32_e64 s[8:9], 2, v19
	s_and_b64 s[50:51], s[8:9], s[0:1]
	s_barrier
	s_and_saveexec_b64 s[8:9], s[50:51]
; %bb.97:
	ds_write_b64 v18, v[10:11]
; %bb.98:
	s_or_b64 exec, exec, s[8:9]
	v_cmp_eq_u32_e64 s[8:9], 3, v19
	s_and_b64 s[40:41], s[8:9], s[0:1]
	s_waitcnt lgkmcnt(0)
	s_barrier
	s_and_saveexec_b64 s[0:1], s[40:41]
	s_cbranch_execz .LBB69_100
; %bb.99:
	v_mov_b32_e32 v21, 0
	ds_read_b64 v[21:22], v21 offset:3128
	ds_read_b64 v[23:24], v18
	s_waitcnt lgkmcnt(0)
	v_mul_f32_e32 v25, v24, v22
	v_mul_f32_e32 v22, v23, v22
	v_fma_f32 v23, v23, v21, -v25
	v_fmac_f32_e32 v22, v24, v21
	v_add_f32_e32 v10, v10, v23
	v_add_f32_e32 v11, v11, v22
.LBB69_100:
	s_or_b64 exec, exec, s[0:1]
	s_barrier
	s_and_saveexec_b64 s[0:1], s[40:41]
; %bb.101:
	ds_write_b64 v18, v[10:11]
; %bb.102:
	s_or_b64 exec, exec, s[0:1]
	s_waitcnt lgkmcnt(0)
	s_barrier
	s_barrier
	s_and_saveexec_b64 s[0:1], s[18:19]
; %bb.103:
	v_xor_b32_e32 v10, 0x80000000, v10
	v_xor_b32_e32 v11, 0x80000000, v11
	ds_write_b64 v15, v[10:11] offset:32
; %bb.104:
	s_or_b64 exec, exec, s[0:1]
	v_cmp_gt_u32_e64 s[8:9], 4, v0
	s_and_b64 s[52:53], s[12:13], s[8:9]
	s_waitcnt lgkmcnt(0)
	s_barrier
	s_barrier
	s_and_saveexec_b64 s[0:1], s[52:53]
	s_cbranch_execz .LBB69_106
; %bb.105:
	v_lshlrev_b32_e32 v21, 9, v0
	ds_read_b64 v[10:11], v21 offset:32
	s_movk_i32 s8, 0xfe08
	v_mad_i32_i24 v22, v0, s8, v21
	s_waitcnt lgkmcnt(0)
	ds_write_b64 v22, v[10:11] offset:2048
	ds_read_b64 v[10:11], v21 offset:40
	s_waitcnt lgkmcnt(0)
	ds_write_b64 v22, v[10:11] offset:2560
	ds_read_b64 v[10:11], v21 offset:48
	;; [unrolled: 3-line block ×3, first 2 shown]
	s_waitcnt lgkmcnt(0)
	ds_write_b64 v22, v[10:11] offset:3584
.LBB69_106:
	s_or_b64 exec, exec, s[0:1]
	s_waitcnt lgkmcnt(0)
	s_barrier
	s_and_saveexec_b64 s[0:1], vcc
	s_cbranch_execz .LBB69_108
; %bb.107:
	v_mov_b32_e32 v23, 0
	ds_read_b64 v[10:11], v23 offset:2088
	s_mov_b64 s[8:9], 0x3f800000
	v_mov_b32_e32 v22, s9
	v_mov_b32_e32 v21, s8
	ds_write_b64 v23, v[21:22] offset:2600
	v_add_u32_e64 v23, 32, 0
	s_waitcnt lgkmcnt(1)
	ds_write2st64_b64 v23, v[21:22], v[10:11] offset0:4 offset1:5
.LBB69_108:
	s_or_b64 exec, exec, s[0:1]
	v_mov_b32_e32 v11, 0
	v_mov_b32_e32 v10, 0
	s_waitcnt lgkmcnt(0)
	s_barrier
	s_and_saveexec_b64 s[0:1], s[2:3]
	s_cbranch_execz .LBB69_112
; %bb.109:
	v_mul_u32_u24_e32 v21, 0x208, v14
	ds_read_b64 v[10:11], v12 offset:2096
	ds_read_b64 v[21:22], v21 offset:2080
	v_cmp_gt_u32_e64 s[8:9], 2, v17
	s_waitcnt lgkmcnt(0)
	v_mul_f32_e32 v23, v22, v11
	v_mul_f32_e32 v11, v21, v11
	v_fma_f32 v21, v21, v10, -v23
	v_fmac_f32_e32 v11, v22, v10
	v_add_f32_e32 v10, 0, v21
	v_add_f32_e32 v11, 0, v11
	s_and_saveexec_b64 s[10:11], s[8:9]
	s_cbranch_execz .LBB69_111
; %bb.110:
	v_lshlrev_b32_e32 v21, 3, v0
	v_mov_b32_e32 v23, 0
	ds_read_b64 v[21:22], v21 offset:2608
	ds_read_b64 v[23:24], v23 offset:2088
	s_waitcnt lgkmcnt(0)
	v_mul_f32_e32 v25, v24, v22
	v_mul_f32_e32 v22, v23, v22
	v_fma_f32 v23, v23, v21, -v25
	v_fmac_f32_e32 v22, v24, v21
	v_add_f32_e32 v10, v10, v23
	v_add_f32_e32 v11, v11, v22
.LBB69_111:
	s_or_b64 exec, exec, s[10:11]
	v_xor_b32_e32 v10, 0x80000000, v10
	v_xor_b32_e32 v11, 0x80000000, v11
.LBB69_112:
	s_or_b64 exec, exec, s[0:1]
	s_and_saveexec_b64 s[0:1], s[36:37]
; %bb.113:
	ds_write_b64 v13, v[10:11]
; %bb.114:
	s_or_b64 exec, exec, s[0:1]
	s_waitcnt lgkmcnt(0)
	s_barrier
	s_and_saveexec_b64 s[0:1], s[34:35]
	s_cbranch_execz .LBB69_116
; %bb.115:
	v_mov_b32_e32 v21, 0
	ds_read_b64 v[21:22], v21 offset:3128
	ds_read_b64 v[23:24], v13
	s_waitcnt lgkmcnt(0)
	v_mul_f32_e32 v25, v24, v22
	v_mul_f32_e32 v22, v23, v22
	v_fma_f32 v23, v23, v21, -v25
	v_fmac_f32_e32 v22, v24, v21
	v_add_f32_e32 v10, v10, v23
	v_add_f32_e32 v11, v11, v22
.LBB69_116:
	s_or_b64 exec, exec, s[0:1]
	s_barrier
	s_and_saveexec_b64 s[0:1], s[34:35]
; %bb.117:
	ds_write_b64 v13, v[10:11]
; %bb.118:
	s_or_b64 exec, exec, s[0:1]
	s_waitcnt lgkmcnt(0)
	s_barrier
	s_barrier
	s_and_saveexec_b64 s[0:1], s[2:3]
; %bb.119:
	v_xor_b32_e32 v11, 0x80000000, v11
	v_xor_b32_e32 v10, 0x80000000, v10
	ds_write_b64 v12, v[10:11] offset:2096
; %bb.120:
	s_or_b64 exec, exec, s[0:1]
	s_waitcnt lgkmcnt(0)
	s_barrier
	s_barrier
	s_and_saveexec_b64 s[0:1], s[38:39]
	s_cbranch_execz .LBB69_122
; %bb.121:
	v_lshlrev_b32_e32 v21, 3, v0
	s_movk_i32 s8, 0x1f8
	v_mad_u32_u24 v22, v0, s8, v21
	ds_read_b64 v[10:11], v22 offset:2096
	s_waitcnt lgkmcnt(0)
	ds_write_b64 v21, v[10:11] offset:3104
	ds_read_b64 v[10:11], v22 offset:2104
	s_waitcnt lgkmcnt(0)
	ds_write_b64 v21, v[10:11] offset:3616
.LBB69_122:
	s_or_b64 exec, exec, s[0:1]
	s_waitcnt lgkmcnt(0)
	s_barrier
	s_and_saveexec_b64 s[0:1], vcc
	s_cbranch_execz .LBB69_124
; %bb.123:
	v_mov_b32_e32 v23, 0
	ds_read_b64 v[10:11], v23 offset:3128
	s_mov_b64 s[8:9], 0x3f800000
	v_mov_b32_e32 v22, s9
	v_mov_b32_e32 v21, s8
	ds_write_b64 v23, v[21:22] offset:3640
	v_add_u32_e64 v23, 48, 0
	s_waitcnt lgkmcnt(1)
	ds_write2st64_b64 v23, v[21:22], v[10:11] offset0:6 offset1:7
.LBB69_124:
	s_or_b64 exec, exec, s[0:1]
	v_and_b32_e32 v24, 7, v0
	v_lshrrev_b32_e32 v25, 3, v17
	v_lshlrev_b32_e32 v22, 3, v24
	v_cmp_lt_u32_e64 s[10:11], 63, v17
	v_cmp_gt_u32_e64 s[8:9], 64, v17
	v_lshl_or_b32 v21, v25, 9, v22
	v_mov_b32_e32 v11, 0
	v_mov_b32_e32 v10, 0
	s_waitcnt lgkmcnt(0)
	s_barrier
	s_and_saveexec_b64 s[0:1], s[8:9]
	s_cbranch_execz .LBB69_134
; %bb.125:
	v_mul_u32_u24_e32 v23, 0x208, v25
	ds_read_b64 v[10:11], v21 offset:64
	ds_read_b64 v[26:27], v23
	v_cmp_gt_u32_e64 s[14:15], 56, v17
	s_waitcnt lgkmcnt(0)
	v_mul_f32_e32 v28, v27, v11
	v_mul_f32_e32 v11, v26, v11
	v_fma_f32 v26, v26, v10, -v28
	v_fmac_f32_e32 v11, v27, v10
	v_add_f32_e32 v10, 0, v26
	v_add_f32_e32 v11, 0, v11
	s_and_saveexec_b64 s[16:17], s[14:15]
	s_cbranch_execnz .LBB69_1061
; %bb.126:
	s_or_b64 exec, exec, s[16:17]
	v_cmp_gt_u32_e64 s[14:15], 48, v17
	s_and_saveexec_b64 s[16:17], s[14:15]
	s_cbranch_execnz .LBB69_1062
.LBB69_127:
	s_or_b64 exec, exec, s[16:17]
	v_cmp_gt_u32_e64 s[14:15], 40, v17
	s_and_saveexec_b64 s[16:17], s[14:15]
	s_cbranch_execnz .LBB69_1063
.LBB69_128:
	s_or_b64 exec, exec, s[16:17]
	v_cmp_gt_u32_e64 s[14:15], 32, v17
	s_and_saveexec_b64 s[16:17], s[14:15]
	s_cbranch_execnz .LBB69_1064
.LBB69_129:
	s_or_b64 exec, exec, s[16:17]
	v_cmp_gt_u32_e64 s[14:15], 24, v17
	s_and_saveexec_b64 s[16:17], s[14:15]
	s_cbranch_execnz .LBB69_1065
.LBB69_130:
	s_or_b64 exec, exec, s[16:17]
	v_cmp_gt_u32_e64 s[14:15], 16, v17
	s_and_saveexec_b64 s[16:17], s[14:15]
	s_cbranch_execnz .LBB69_1066
.LBB69_131:
	s_or_b64 exec, exec, s[16:17]
	v_cmp_gt_u32_e64 s[14:15], 8, v17
	s_and_saveexec_b64 s[16:17], s[14:15]
	s_cbranch_execz .LBB69_133
.LBB69_132:
	v_lshlrev_b32_e32 v23, 3, v0
	v_mov_b32_e32 v28, 0
	ds_read_b64 v[26:27], v23 offset:3648
	ds_read_b64 v[28:29], v28 offset:56
	s_waitcnt lgkmcnt(0)
	v_mul_f32_e32 v23, v29, v27
	v_mul_f32_e32 v27, v28, v27
	v_fma_f32 v23, v28, v26, -v23
	v_fmac_f32_e32 v27, v29, v26
	v_add_f32_e32 v10, v10, v23
	v_add_f32_e32 v11, v11, v27
.LBB69_133:
	s_or_b64 exec, exec, s[16:17]
	v_xor_b32_e32 v10, 0x80000000, v10
	v_xor_b32_e32 v11, 0x80000000, v11
.LBB69_134:
	s_or_b64 exec, exec, s[0:1]
	v_mov_b32_e32 v23, 0x8000
	v_cmp_eq_u32_e64 s[14:15], 0, v24
	s_xor_b64 s[0:1], s[10:11], -1
	v_lshl_add_u32 v23, v25, 3, v23
	s_and_b64 s[56:57], s[14:15], s[0:1]
	s_and_saveexec_b64 s[10:11], s[56:57]
; %bb.135:
	ds_write_b64 v23, v[10:11]
; %bb.136:
	s_or_b64 exec, exec, s[10:11]
	v_cmp_ne_u32_e64 s[10:11], 0, v24
	s_and_b64 s[58:59], s[10:11], s[0:1]
	s_waitcnt lgkmcnt(0)
	s_barrier
	s_and_saveexec_b64 s[10:11], s[58:59]
	s_cbranch_execz .LBB69_138
; %bb.137:
	ds_read_b64 v[26:27], v22 offset:4160
	ds_read_b64 v[28:29], v23
	s_waitcnt lgkmcnt(0)
	v_mul_f32_e32 v30, v29, v27
	v_mul_f32_e32 v27, v28, v27
	v_fma_f32 v28, v28, v26, -v30
	v_fmac_f32_e32 v27, v29, v26
	v_add_f32_e32 v10, v10, v28
	v_add_f32_e32 v11, v11, v27
.LBB69_138:
	s_or_b64 exec, exec, s[10:11]
	v_cmp_eq_u32_e64 s[10:11], 1, v24
	s_and_b64 s[60:61], s[10:11], s[0:1]
	s_barrier
	s_and_saveexec_b64 s[10:11], s[60:61]
; %bb.139:
	ds_write_b64 v23, v[10:11]
; %bb.140:
	s_or_b64 exec, exec, s[10:11]
	v_cmp_lt_u32_e64 s[10:11], 1, v24
	s_and_b64 s[62:63], s[10:11], s[0:1]
	s_waitcnt lgkmcnt(0)
	s_barrier
	s_and_saveexec_b64 s[10:11], s[62:63]
	s_cbranch_execz .LBB69_142
; %bb.141:
	ds_read_b64 v[26:27], v22 offset:4672
	ds_read_b64 v[28:29], v23
	s_waitcnt lgkmcnt(0)
	v_mul_f32_e32 v30, v29, v27
	v_mul_f32_e32 v27, v28, v27
	v_fma_f32 v28, v28, v26, -v30
	v_fmac_f32_e32 v27, v29, v26
	v_add_f32_e32 v10, v10, v28
	v_add_f32_e32 v11, v11, v27
.LBB69_142:
	s_or_b64 exec, exec, s[10:11]
	v_cmp_eq_u32_e64 s[10:11], 2, v24
	s_and_b64 s[64:65], s[10:11], s[0:1]
	s_barrier
	s_and_saveexec_b64 s[10:11], s[64:65]
; %bb.143:
	ds_write_b64 v23, v[10:11]
; %bb.144:
	s_or_b64 exec, exec, s[10:11]
	v_cmp_lt_u32_e64 s[10:11], 2, v24
	s_and_b64 s[66:67], s[10:11], s[0:1]
	s_waitcnt lgkmcnt(0)
	s_barrier
	s_and_saveexec_b64 s[10:11], s[66:67]
	s_cbranch_execz .LBB69_146
; %bb.145:
	ds_read_b64 v[26:27], v22 offset:5184
	ds_read_b64 v[28:29], v23
	s_waitcnt lgkmcnt(0)
	v_mul_f32_e32 v30, v29, v27
	v_mul_f32_e32 v27, v28, v27
	v_fma_f32 v28, v28, v26, -v30
	v_fmac_f32_e32 v27, v29, v26
	v_add_f32_e32 v10, v10, v28
	v_add_f32_e32 v11, v11, v27
.LBB69_146:
	s_or_b64 exec, exec, s[10:11]
	v_cmp_eq_u32_e64 s[10:11], 3, v24
	s_and_b64 s[68:69], s[10:11], s[0:1]
	s_barrier
	s_and_saveexec_b64 s[10:11], s[68:69]
; %bb.147:
	ds_write_b64 v23, v[10:11]
; %bb.148:
	s_or_b64 exec, exec, s[10:11]
	v_cmp_lt_u32_e64 s[10:11], 3, v24
	s_and_b64 s[70:71], s[10:11], s[0:1]
	s_waitcnt lgkmcnt(0)
	s_barrier
	s_and_saveexec_b64 s[10:11], s[70:71]
	s_cbranch_execz .LBB69_150
; %bb.149:
	ds_read_b64 v[26:27], v22 offset:5696
	ds_read_b64 v[28:29], v23
	s_waitcnt lgkmcnt(0)
	v_mul_f32_e32 v30, v29, v27
	v_mul_f32_e32 v27, v28, v27
	v_fma_f32 v28, v28, v26, -v30
	v_fmac_f32_e32 v27, v29, v26
	v_add_f32_e32 v10, v10, v28
	v_add_f32_e32 v11, v11, v27
.LBB69_150:
	s_or_b64 exec, exec, s[10:11]
	v_cmp_eq_u32_e64 s[10:11], 4, v24
	s_and_b64 s[72:73], s[10:11], s[0:1]
	s_barrier
	s_and_saveexec_b64 s[10:11], s[72:73]
; %bb.151:
	ds_write_b64 v23, v[10:11]
; %bb.152:
	s_or_b64 exec, exec, s[10:11]
	v_cmp_lt_u32_e64 s[10:11], 4, v24
	s_and_b64 s[74:75], s[10:11], s[0:1]
	s_waitcnt lgkmcnt(0)
	s_barrier
	s_and_saveexec_b64 s[10:11], s[74:75]
	s_cbranch_execz .LBB69_154
; %bb.153:
	ds_read_b64 v[26:27], v22 offset:6208
	ds_read_b64 v[28:29], v23
	s_waitcnt lgkmcnt(0)
	v_mul_f32_e32 v30, v29, v27
	v_mul_f32_e32 v27, v28, v27
	v_fma_f32 v28, v28, v26, -v30
	v_fmac_f32_e32 v27, v29, v26
	v_add_f32_e32 v10, v10, v28
	v_add_f32_e32 v11, v11, v27
.LBB69_154:
	s_or_b64 exec, exec, s[10:11]
	v_cmp_eq_u32_e64 s[10:11], 5, v24
	s_and_b64 s[76:77], s[10:11], s[0:1]
	s_barrier
	s_and_saveexec_b64 s[10:11], s[76:77]
; %bb.155:
	ds_write_b64 v23, v[10:11]
; %bb.156:
	s_or_b64 exec, exec, s[10:11]
	v_cmp_lt_u32_e64 s[10:11], 5, v24
	s_and_b64 s[78:79], s[10:11], s[0:1]
	s_waitcnt lgkmcnt(0)
	s_barrier
	s_and_saveexec_b64 s[10:11], s[78:79]
	s_cbranch_execz .LBB69_158
; %bb.157:
	ds_read_b64 v[26:27], v22 offset:6720
	ds_read_b64 v[28:29], v23
	s_waitcnt lgkmcnt(0)
	v_mul_f32_e32 v30, v29, v27
	v_mul_f32_e32 v27, v28, v27
	v_fma_f32 v28, v28, v26, -v30
	v_fmac_f32_e32 v27, v29, v26
	v_add_f32_e32 v10, v10, v28
	v_add_f32_e32 v11, v11, v27
.LBB69_158:
	s_or_b64 exec, exec, s[10:11]
	v_cmp_eq_u32_e64 s[10:11], 6, v24
	s_and_b64 s[80:81], s[10:11], s[0:1]
	s_barrier
	s_and_saveexec_b64 s[10:11], s[80:81]
; %bb.159:
	ds_write_b64 v23, v[10:11]
; %bb.160:
	s_or_b64 exec, exec, s[10:11]
	v_cmp_eq_u32_e64 s[10:11], 7, v24
	s_and_b64 s[54:55], s[10:11], s[0:1]
	s_waitcnt lgkmcnt(0)
	s_barrier
	s_and_saveexec_b64 s[0:1], s[54:55]
	s_cbranch_execz .LBB69_162
; %bb.161:
	v_mov_b32_e32 v26, 0
	ds_read_b64 v[26:27], v26 offset:7288
	ds_read_b64 v[28:29], v23
	s_waitcnt lgkmcnt(0)
	v_mul_f32_e32 v30, v29, v27
	v_mul_f32_e32 v27, v28, v27
	v_fma_f32 v28, v28, v26, -v30
	v_fmac_f32_e32 v27, v29, v26
	v_add_f32_e32 v10, v10, v28
	v_add_f32_e32 v11, v11, v27
.LBB69_162:
	s_or_b64 exec, exec, s[0:1]
	s_barrier
	s_and_saveexec_b64 s[0:1], s[54:55]
; %bb.163:
	ds_write_b64 v23, v[10:11]
; %bb.164:
	s_or_b64 exec, exec, s[0:1]
	s_waitcnt lgkmcnt(0)
	s_barrier
	s_barrier
	s_and_saveexec_b64 s[0:1], s[8:9]
; %bb.165:
	v_xor_b32_e32 v11, 0x80000000, v11
	v_xor_b32_e32 v10, 0x80000000, v10
	ds_write_b64 v21, v[10:11] offset:64
; %bb.166:
	s_or_b64 exec, exec, s[0:1]
	v_cmp_gt_u32_e64 s[10:11], 8, v0
	s_and_b64 s[82:83], s[12:13], s[10:11]
	s_waitcnt lgkmcnt(0)
	s_barrier
	s_barrier
	s_and_saveexec_b64 s[0:1], s[82:83]
	s_cbranch_execz .LBB69_168
; %bb.167:
	v_lshlrev_b32_e32 v26, 9, v0
	ds_read_b64 v[10:11], v26 offset:64
	s_movk_i32 s10, 0xfe08
	v_mad_i32_i24 v27, v0, s10, v26
	s_waitcnt lgkmcnt(0)
	ds_write_b64 v27, v[10:11] offset:4096
	ds_read_b64 v[10:11], v26 offset:72
	s_waitcnt lgkmcnt(0)
	ds_write_b64 v27, v[10:11] offset:4608
	ds_read_b64 v[10:11], v26 offset:80
	;; [unrolled: 3-line block ×7, first 2 shown]
	s_waitcnt lgkmcnt(0)
	ds_write_b64 v27, v[10:11] offset:7680
.LBB69_168:
	s_or_b64 exec, exec, s[0:1]
	s_waitcnt lgkmcnt(0)
	s_barrier
	s_and_saveexec_b64 s[0:1], vcc
	s_cbranch_execz .LBB69_170
; %bb.169:
	v_mov_b32_e32 v28, 0
	ds_read_b64 v[10:11], v28 offset:4168
	s_mov_b64 s[10:11], 0x3f800000
	v_mov_b32_e32 v27, s11
	v_mov_b32_e32 v26, s10
	ds_write_b64 v28, v[26:27] offset:4680
	v_add_u32_e64 v28, 64, 0
	s_waitcnt lgkmcnt(1)
	ds_write2st64_b64 v28, v[26:27], v[10:11] offset0:8 offset1:9
.LBB69_170:
	s_or_b64 exec, exec, s[0:1]
	v_mov_b32_e32 v11, 0
	v_mov_b32_e32 v10, 0
	s_waitcnt lgkmcnt(0)
	s_barrier
	s_and_saveexec_b64 s[0:1], s[2:3]
	s_cbranch_execz .LBB69_174
; %bb.171:
	v_mul_u32_u24_e32 v26, 0x208, v14
	ds_read_b64 v[10:11], v12 offset:4176
	ds_read_b64 v[26:27], v26 offset:4160
	v_cmp_gt_u32_e64 s[10:11], 2, v17
	s_waitcnt lgkmcnt(0)
	v_mul_f32_e32 v28, v27, v11
	v_mul_f32_e32 v11, v26, v11
	v_fma_f32 v26, v26, v10, -v28
	v_fmac_f32_e32 v11, v27, v10
	v_add_f32_e32 v10, 0, v26
	v_add_f32_e32 v11, 0, v11
	s_and_saveexec_b64 s[14:15], s[10:11]
	s_cbranch_execz .LBB69_173
; %bb.172:
	v_lshlrev_b32_e32 v26, 3, v0
	v_mov_b32_e32 v28, 0
	ds_read_b64 v[26:27], v26 offset:4688
	ds_read_b64 v[28:29], v28 offset:4168
	s_waitcnt lgkmcnt(0)
	v_mul_f32_e32 v30, v29, v27
	v_mul_f32_e32 v27, v28, v27
	v_fma_f32 v28, v28, v26, -v30
	v_fmac_f32_e32 v27, v29, v26
	v_add_f32_e32 v10, v10, v28
	v_add_f32_e32 v11, v11, v27
.LBB69_173:
	s_or_b64 exec, exec, s[14:15]
	v_xor_b32_e32 v10, 0x80000000, v10
	v_xor_b32_e32 v11, 0x80000000, v11
.LBB69_174:
	s_or_b64 exec, exec, s[0:1]
	s_and_saveexec_b64 s[0:1], s[36:37]
; %bb.175:
	ds_write_b64 v13, v[10:11]
; %bb.176:
	s_or_b64 exec, exec, s[0:1]
	s_waitcnt lgkmcnt(0)
	s_barrier
	s_and_saveexec_b64 s[0:1], s[34:35]
	s_cbranch_execz .LBB69_178
; %bb.177:
	v_mov_b32_e32 v26, 0
	ds_read_b64 v[26:27], v26 offset:5208
	ds_read_b64 v[28:29], v13
	s_waitcnt lgkmcnt(0)
	v_mul_f32_e32 v30, v29, v27
	v_mul_f32_e32 v27, v28, v27
	v_fma_f32 v28, v28, v26, -v30
	v_fmac_f32_e32 v27, v29, v26
	v_add_f32_e32 v10, v10, v28
	v_add_f32_e32 v11, v11, v27
.LBB69_178:
	s_or_b64 exec, exec, s[0:1]
	s_barrier
	s_and_saveexec_b64 s[0:1], s[34:35]
; %bb.179:
	ds_write_b64 v13, v[10:11]
; %bb.180:
	s_or_b64 exec, exec, s[0:1]
	s_waitcnt lgkmcnt(0)
	s_barrier
	s_barrier
	s_and_saveexec_b64 s[0:1], s[2:3]
; %bb.181:
	v_xor_b32_e32 v11, 0x80000000, v11
	v_xor_b32_e32 v10, 0x80000000, v10
	ds_write_b64 v12, v[10:11] offset:4176
; %bb.182:
	s_or_b64 exec, exec, s[0:1]
	s_waitcnt lgkmcnt(0)
	s_barrier
	s_barrier
	s_and_saveexec_b64 s[0:1], s[38:39]
	s_cbranch_execz .LBB69_184
; %bb.183:
	v_lshlrev_b32_e32 v26, 3, v0
	s_movk_i32 s10, 0x1f8
	v_mad_u32_u24 v27, v0, s10, v26
	ds_read_b64 v[10:11], v27 offset:4176
	s_waitcnt lgkmcnt(0)
	ds_write_b64 v26, v[10:11] offset:5184
	ds_read_b64 v[10:11], v27 offset:4184
	s_waitcnt lgkmcnt(0)
	ds_write_b64 v26, v[10:11] offset:5696
.LBB69_184:
	s_or_b64 exec, exec, s[0:1]
	s_waitcnt lgkmcnt(0)
	s_barrier
	s_and_saveexec_b64 s[0:1], vcc
	s_cbranch_execz .LBB69_186
; %bb.185:
	v_mov_b32_e32 v28, 0
	ds_read_b64 v[10:11], v28 offset:5208
	s_mov_b64 s[10:11], 0x3f800000
	v_mov_b32_e32 v27, s11
	v_mov_b32_e32 v26, s10
	s_movk_i32 s10, 0x50
	ds_write_b64 v28, v[26:27] offset:5720
	v_add_u32_e64 v28, s10, 0
	s_waitcnt lgkmcnt(1)
	ds_write2st64_b64 v28, v[26:27], v[10:11] offset0:10 offset1:11
.LBB69_186:
	s_or_b64 exec, exec, s[0:1]
	v_mov_b32_e32 v11, 0
	v_mov_b32_e32 v10, 0
	s_waitcnt lgkmcnt(0)
	s_barrier
	s_and_saveexec_b64 s[0:1], s[18:19]
	s_cbranch_execz .LBB69_192
; %bb.187:
	v_mul_u32_u24_e32 v26, 0x208, v20
	ds_read_b64 v[10:11], v15 offset:4192
	ds_read_b64 v[27:28], v26 offset:4160
	v_cmp_gt_u32_e64 s[10:11], 12, v17
	s_waitcnt lgkmcnt(0)
	v_mul_f32_e32 v29, v28, v11
	v_mul_f32_e32 v11, v27, v11
	v_fma_f32 v27, v27, v10, -v29
	v_fmac_f32_e32 v11, v28, v10
	v_add_f32_e32 v10, 0, v27
	v_add_f32_e32 v11, 0, v11
	s_and_saveexec_b64 s[14:15], s[10:11]
	s_cbranch_execnz .LBB69_1067
; %bb.188:
	s_or_b64 exec, exec, s[14:15]
	v_cmp_gt_u32_e64 s[10:11], 8, v17
	s_and_saveexec_b64 s[14:15], s[10:11]
	s_cbranch_execnz .LBB69_1068
.LBB69_189:
	s_or_b64 exec, exec, s[14:15]
	v_cmp_gt_u32_e64 s[10:11], 4, v17
	s_and_saveexec_b64 s[14:15], s[10:11]
	s_cbranch_execz .LBB69_191
.LBB69_190:
	v_lshlrev_b32_e32 v26, 3, v0
	v_mov_b32_e32 v28, 0
	ds_read_b64 v[26:27], v26 offset:5728
	ds_read_b64 v[28:29], v28 offset:4184
	s_waitcnt lgkmcnt(0)
	v_mul_f32_e32 v30, v29, v27
	v_mul_f32_e32 v27, v28, v27
	v_fma_f32 v28, v28, v26, -v30
	v_fmac_f32_e32 v27, v29, v26
	v_add_f32_e32 v10, v10, v28
	v_add_f32_e32 v11, v11, v27
.LBB69_191:
	s_or_b64 exec, exec, s[14:15]
	v_xor_b32_e32 v10, 0x80000000, v10
	v_xor_b32_e32 v11, 0x80000000, v11
.LBB69_192:
	s_or_b64 exec, exec, s[0:1]
	s_and_saveexec_b64 s[0:1], s[42:43]
; %bb.193:
	ds_write_b64 v18, v[10:11]
; %bb.194:
	s_or_b64 exec, exec, s[0:1]
	s_waitcnt lgkmcnt(0)
	s_barrier
	s_and_saveexec_b64 s[0:1], s[44:45]
	s_cbranch_execz .LBB69_196
; %bb.195:
	ds_read_b64 v[26:27], v16 offset:6240
	ds_read_b64 v[28:29], v18
	s_waitcnt lgkmcnt(0)
	v_mul_f32_e32 v30, v29, v27
	v_mul_f32_e32 v27, v28, v27
	v_fma_f32 v28, v28, v26, -v30
	v_fmac_f32_e32 v27, v29, v26
	v_add_f32_e32 v10, v10, v28
	v_add_f32_e32 v11, v11, v27
.LBB69_196:
	s_or_b64 exec, exec, s[0:1]
	s_barrier
	s_and_saveexec_b64 s[0:1], s[46:47]
; %bb.197:
	ds_write_b64 v18, v[10:11]
; %bb.198:
	s_or_b64 exec, exec, s[0:1]
	s_waitcnt lgkmcnt(0)
	s_barrier
	s_and_saveexec_b64 s[0:1], s[48:49]
	s_cbranch_execz .LBB69_200
; %bb.199:
	ds_read_b64 v[26:27], v16 offset:6752
	ds_read_b64 v[28:29], v18
	s_waitcnt lgkmcnt(0)
	v_mul_f32_e32 v30, v29, v27
	v_mul_f32_e32 v27, v28, v27
	v_fma_f32 v28, v28, v26, -v30
	v_fmac_f32_e32 v27, v29, v26
	v_add_f32_e32 v10, v10, v28
	v_add_f32_e32 v11, v11, v27
.LBB69_200:
	s_or_b64 exec, exec, s[0:1]
	s_barrier
	s_and_saveexec_b64 s[0:1], s[50:51]
; %bb.201:
	ds_write_b64 v18, v[10:11]
; %bb.202:
	s_or_b64 exec, exec, s[0:1]
	s_waitcnt lgkmcnt(0)
	s_barrier
	s_and_saveexec_b64 s[0:1], s[40:41]
	s_cbranch_execz .LBB69_204
; %bb.203:
	v_mov_b32_e32 v26, 0
	ds_read_b64 v[26:27], v26 offset:7288
	ds_read_b64 v[28:29], v18
	s_waitcnt lgkmcnt(0)
	v_mul_f32_e32 v30, v29, v27
	v_mul_f32_e32 v27, v28, v27
	v_fma_f32 v28, v28, v26, -v30
	v_fmac_f32_e32 v27, v29, v26
	v_add_f32_e32 v10, v10, v28
	v_add_f32_e32 v11, v11, v27
.LBB69_204:
	s_or_b64 exec, exec, s[0:1]
	s_barrier
	s_and_saveexec_b64 s[0:1], s[40:41]
; %bb.205:
	ds_write_b64 v18, v[10:11]
; %bb.206:
	s_or_b64 exec, exec, s[0:1]
	s_waitcnt lgkmcnt(0)
	s_barrier
	s_barrier
	s_and_saveexec_b64 s[0:1], s[18:19]
; %bb.207:
	v_xor_b32_e32 v10, 0x80000000, v10
	v_xor_b32_e32 v11, 0x80000000, v11
	ds_write_b64 v15, v[10:11] offset:4192
; %bb.208:
	s_or_b64 exec, exec, s[0:1]
	s_waitcnt lgkmcnt(0)
	s_barrier
	s_barrier
	s_and_saveexec_b64 s[0:1], s[52:53]
	s_cbranch_execz .LBB69_210
; %bb.209:
	v_lshlrev_b32_e32 v26, 9, v0
	ds_read_b64 v[10:11], v26 offset:4192
	s_movk_i32 s10, 0xfe08
	v_mad_i32_i24 v27, v0, s10, v26
	s_waitcnt lgkmcnt(0)
	ds_write_b64 v27, v[10:11] offset:6208
	ds_read_b64 v[10:11], v26 offset:4200
	s_waitcnt lgkmcnt(0)
	ds_write_b64 v27, v[10:11] offset:6720
	ds_read_b64 v[10:11], v26 offset:4208
	;; [unrolled: 3-line block ×3, first 2 shown]
	s_waitcnt lgkmcnt(0)
	ds_write_b64 v27, v[10:11] offset:7744
.LBB69_210:
	s_or_b64 exec, exec, s[0:1]
	s_waitcnt lgkmcnt(0)
	s_barrier
	s_and_saveexec_b64 s[0:1], vcc
	s_cbranch_execz .LBB69_212
; %bb.211:
	v_mov_b32_e32 v28, 0
	ds_read_b64 v[10:11], v28 offset:6248
	s_mov_b64 s[10:11], 0x3f800000
	v_mov_b32_e32 v27, s11
	v_mov_b32_e32 v26, s10
	s_movk_i32 s10, 0x60
	ds_write_b64 v28, v[26:27] offset:6760
	v_add_u32_e64 v28, s10, 0
	s_waitcnt lgkmcnt(1)
	ds_write2st64_b64 v28, v[26:27], v[10:11] offset0:12 offset1:13
.LBB69_212:
	s_or_b64 exec, exec, s[0:1]
	v_mov_b32_e32 v11, 0
	v_mov_b32_e32 v10, 0
	s_waitcnt lgkmcnt(0)
	s_barrier
	s_and_saveexec_b64 s[0:1], s[2:3]
	s_cbranch_execz .LBB69_216
; %bb.213:
	v_mul_u32_u24_e32 v26, 0x208, v14
	ds_read_b64 v[10:11], v12 offset:6256
	ds_read_b64 v[26:27], v26 offset:6240
	v_cmp_gt_u32_e64 s[10:11], 2, v17
	s_waitcnt lgkmcnt(0)
	v_mul_f32_e32 v28, v27, v11
	v_mul_f32_e32 v11, v26, v11
	v_fma_f32 v26, v26, v10, -v28
	v_fmac_f32_e32 v11, v27, v10
	v_add_f32_e32 v10, 0, v26
	v_add_f32_e32 v11, 0, v11
	s_and_saveexec_b64 s[14:15], s[10:11]
	s_cbranch_execz .LBB69_215
; %bb.214:
	v_lshlrev_b32_e32 v26, 3, v0
	v_mov_b32_e32 v28, 0
	ds_read_b64 v[26:27], v26 offset:6768
	ds_read_b64 v[28:29], v28 offset:6248
	s_waitcnt lgkmcnt(0)
	v_mul_f32_e32 v30, v29, v27
	v_mul_f32_e32 v27, v28, v27
	v_fma_f32 v28, v28, v26, -v30
	v_fmac_f32_e32 v27, v29, v26
	v_add_f32_e32 v10, v10, v28
	v_add_f32_e32 v11, v11, v27
.LBB69_215:
	s_or_b64 exec, exec, s[14:15]
	v_xor_b32_e32 v10, 0x80000000, v10
	v_xor_b32_e32 v11, 0x80000000, v11
.LBB69_216:
	s_or_b64 exec, exec, s[0:1]
	s_and_saveexec_b64 s[0:1], s[36:37]
; %bb.217:
	ds_write_b64 v13, v[10:11]
; %bb.218:
	s_or_b64 exec, exec, s[0:1]
	s_waitcnt lgkmcnt(0)
	s_barrier
	s_and_saveexec_b64 s[0:1], s[34:35]
	s_cbranch_execz .LBB69_220
; %bb.219:
	v_mov_b32_e32 v26, 0
	ds_read_b64 v[26:27], v26 offset:7288
	ds_read_b64 v[28:29], v13
	s_waitcnt lgkmcnt(0)
	v_mul_f32_e32 v30, v29, v27
	v_mul_f32_e32 v27, v28, v27
	v_fma_f32 v28, v28, v26, -v30
	v_fmac_f32_e32 v27, v29, v26
	v_add_f32_e32 v10, v10, v28
	v_add_f32_e32 v11, v11, v27
.LBB69_220:
	s_or_b64 exec, exec, s[0:1]
	s_barrier
	s_and_saveexec_b64 s[0:1], s[34:35]
; %bb.221:
	ds_write_b64 v13, v[10:11]
; %bb.222:
	s_or_b64 exec, exec, s[0:1]
	s_waitcnt lgkmcnt(0)
	s_barrier
	s_barrier
	s_and_saveexec_b64 s[0:1], s[2:3]
; %bb.223:
	v_xor_b32_e32 v11, 0x80000000, v11
	v_xor_b32_e32 v10, 0x80000000, v10
	ds_write_b64 v12, v[10:11] offset:6256
; %bb.224:
	s_or_b64 exec, exec, s[0:1]
	s_waitcnt lgkmcnt(0)
	s_barrier
	s_barrier
	s_and_saveexec_b64 s[0:1], s[38:39]
	s_cbranch_execz .LBB69_226
; %bb.225:
	v_lshlrev_b32_e32 v26, 3, v0
	s_movk_i32 s10, 0x1f8
	v_mad_u32_u24 v27, v0, s10, v26
	ds_read_b64 v[10:11], v27 offset:6256
	s_waitcnt lgkmcnt(0)
	ds_write_b64 v26, v[10:11] offset:7264
	ds_read_b64 v[10:11], v27 offset:6264
	s_waitcnt lgkmcnt(0)
	ds_write_b64 v26, v[10:11] offset:7776
.LBB69_226:
	s_or_b64 exec, exec, s[0:1]
	s_waitcnt lgkmcnt(0)
	s_barrier
	s_and_saveexec_b64 s[0:1], vcc
	s_cbranch_execz .LBB69_228
; %bb.227:
	v_mov_b32_e32 v28, 0
	ds_read_b64 v[10:11], v28 offset:7288
	s_mov_b64 s[10:11], 0x3f800000
	v_mov_b32_e32 v27, s11
	v_mov_b32_e32 v26, s10
	s_movk_i32 s10, 0x70
	ds_write_b64 v28, v[26:27] offset:7800
	v_add_u32_e64 v28, s10, 0
	s_waitcnt lgkmcnt(1)
	ds_write2st64_b64 v28, v[26:27], v[10:11] offset0:14 offset1:15
.LBB69_228:
	s_or_b64 exec, exec, s[0:1]
	v_lshrrev_b32_e32 v30, 4, v17
	v_and_b32_e32 v27, 15, v0
	s_movk_i32 s0, 0xff
	v_lshlrev_b32_e32 v29, 6, v30
	v_cmp_lt_u32_e64 s[14:15], s0, v17
	s_movk_i32 s0, 0x100
	v_or_b32_e32 v10, v29, v27
	v_cmp_gt_u32_e64 s[10:11], s0, v17
	v_lshlrev_b32_e32 v26, 3, v10
	v_mov_b32_e32 v11, 0
	v_mov_b32_e32 v10, 0
	s_waitcnt lgkmcnt(0)
	s_barrier
	s_and_saveexec_b64 s[0:1], s[10:11]
	s_cbranch_execz .LBB69_256
; %bb.229:
	v_mul_u32_u24_e32 v28, 0x208, v30
	ds_read_b64 v[10:11], v26 offset:128
	ds_read_b64 v[31:32], v28
	s_movk_i32 s16, 0xf0
	v_cmp_gt_u32_e64 s[16:17], s16, v17
	s_waitcnt lgkmcnt(0)
	v_mul_f32_e32 v33, v32, v11
	v_mul_f32_e32 v11, v31, v11
	v_fma_f32 v31, v31, v10, -v33
	v_fmac_f32_e32 v11, v32, v10
	v_add_f32_e32 v10, 0, v31
	v_add_f32_e32 v11, 0, v11
	s_and_saveexec_b64 s[20:21], s[16:17]
	s_cbranch_execz .LBB69_231
; %bb.230:
	v_lshlrev_b32_e32 v31, 3, v30
	v_sub_u32_e32 v31, v28, v31
	v_lshl_add_u32 v31, v27, 3, v31
	ds_read_b64 v[31:32], v31 offset:640
	ds_read_b64 v[33:34], v28 offset:8
	s_waitcnt lgkmcnt(0)
	v_mul_f32_e32 v35, v34, v32
	v_mul_f32_e32 v32, v33, v32
	v_fma_f32 v33, v33, v31, -v35
	v_fmac_f32_e32 v32, v34, v31
	v_add_f32_e32 v10, v10, v33
	v_add_f32_e32 v11, v11, v32
.LBB69_231:
	s_or_b64 exec, exec, s[20:21]
	s_movk_i32 s16, 0xe0
	v_cmp_gt_u32_e64 s[16:17], s16, v17
	s_and_saveexec_b64 s[20:21], s[16:17]
	s_cbranch_execz .LBB69_233
; %bb.232:
	v_lshlrev_b32_e32 v31, 3, v30
	v_sub_u32_e32 v31, v28, v31
	v_lshl_add_u32 v31, v27, 3, v31
	ds_read_b64 v[31:32], v31 offset:1152
	ds_read_b64 v[33:34], v28 offset:16
	s_waitcnt lgkmcnt(0)
	v_mul_f32_e32 v35, v34, v32
	v_mul_f32_e32 v32, v33, v32
	v_fma_f32 v33, v33, v31, -v35
	v_fmac_f32_e32 v32, v34, v31
	v_add_f32_e32 v10, v10, v33
	v_add_f32_e32 v11, v11, v32
.LBB69_233:
	s_or_b64 exec, exec, s[20:21]
	s_movk_i32 s16, 0xd0
	v_cmp_gt_u32_e64 s[16:17], s16, v17
	;; [unrolled: 19-line block ×7, first 2 shown]
	s_and_saveexec_b64 s[20:21], s[16:17]
	s_cbranch_execz .LBB69_245
; %bb.244:
	ds_read_b64 v[31:32], v26 offset:4224
	ds_read_b64 v[33:34], v28 offset:64
	s_waitcnt lgkmcnt(0)
	v_mul_f32_e32 v35, v34, v32
	v_mul_f32_e32 v32, v33, v32
	v_fma_f32 v33, v33, v31, -v35
	v_fmac_f32_e32 v32, v34, v31
	v_add_f32_e32 v10, v10, v33
	v_add_f32_e32 v11, v11, v32
.LBB69_245:
	s_or_b64 exec, exec, s[20:21]
	s_movk_i32 s16, 0x70
	v_cmp_gt_u32_e64 s[16:17], s16, v17
	s_and_saveexec_b64 s[20:21], s[16:17]
	s_cbranch_execz .LBB69_247
; %bb.246:
	v_lshlrev_b32_e32 v31, 3, v27
	v_lshl_add_u32 v31, v29, 3, v31
	ds_read_b64 v[31:32], v31 offset:4736
	ds_read_b64 v[33:34], v28 offset:72
	s_waitcnt lgkmcnt(0)
	v_mul_f32_e32 v35, v34, v32
	v_mul_f32_e32 v32, v33, v32
	v_fma_f32 v33, v33, v31, -v35
	v_fmac_f32_e32 v32, v34, v31
	v_add_f32_e32 v10, v10, v33
	v_add_f32_e32 v11, v11, v32
.LBB69_247:
	s_or_b64 exec, exec, s[20:21]
	s_movk_i32 s16, 0x60
	v_cmp_gt_u32_e64 s[16:17], s16, v17
	s_and_saveexec_b64 s[20:21], s[16:17]
	s_cbranch_execz .LBB69_249
; %bb.248:
	v_lshlrev_b32_e32 v31, 3, v27
	v_lshl_add_u32 v31, v29, 3, v31
	ds_read_b64 v[31:32], v31 offset:5248
	ds_read_b64 v[33:34], v28 offset:80
	s_waitcnt lgkmcnt(0)
	v_mul_f32_e32 v35, v34, v32
	v_mul_f32_e32 v32, v33, v32
	v_fma_f32 v33, v33, v31, -v35
	v_fmac_f32_e32 v32, v34, v31
	v_add_f32_e32 v10, v10, v33
	v_add_f32_e32 v11, v11, v32
.LBB69_249:
	s_or_b64 exec, exec, s[20:21]
	s_movk_i32 s16, 0x50
	v_cmp_gt_u32_e64 s[16:17], s16, v17
	s_and_saveexec_b64 s[20:21], s[16:17]
	s_cbranch_execnz .LBB69_1069
; %bb.250:
	s_or_b64 exec, exec, s[20:21]
	v_cmp_gt_u32_e64 s[16:17], 64, v17
	s_and_saveexec_b64 s[20:21], s[16:17]
	s_cbranch_execnz .LBB69_1070
.LBB69_251:
	s_or_b64 exec, exec, s[20:21]
	v_cmp_gt_u32_e64 s[16:17], 48, v17
	s_and_saveexec_b64 s[20:21], s[16:17]
	s_cbranch_execnz .LBB69_1071
.LBB69_252:
	s_or_b64 exec, exec, s[20:21]
	v_cmp_gt_u32_e64 s[16:17], 32, v17
	s_and_saveexec_b64 s[20:21], s[16:17]
	s_cbranch_execnz .LBB69_1072
.LBB69_253:
	s_or_b64 exec, exec, s[20:21]
	v_cmp_gt_u32_e64 s[16:17], 16, v17
	s_and_saveexec_b64 s[20:21], s[16:17]
	s_cbranch_execz .LBB69_255
.LBB69_254:
	v_lshlrev_b32_e32 v28, 3, v0
	v_mov_b32_e32 v33, 0
	ds_read_b64 v[31:32], v28 offset:7808
	ds_read_b64 v[33:34], v33 offset:120
	s_waitcnt lgkmcnt(0)
	v_mul_f32_e32 v28, v34, v32
	v_mul_f32_e32 v32, v33, v32
	v_fma_f32 v28, v33, v31, -v28
	v_fmac_f32_e32 v32, v34, v31
	v_add_f32_e32 v10, v10, v28
	v_add_f32_e32 v11, v11, v32
.LBB69_255:
	s_or_b64 exec, exec, s[20:21]
	v_xor_b32_e32 v10, 0x80000000, v10
	v_xor_b32_e32 v11, 0x80000000, v11
.LBB69_256:
	s_or_b64 exec, exec, s[0:1]
	v_mov_b32_e32 v28, 0x8000
	v_lshl_add_u32 v28, v30, 3, v28
	v_cmp_eq_u32_e64 s[16:17], 0, v27
	s_xor_b64 s[0:1], s[14:15], -1
	s_and_b64 s[16:17], s[16:17], s[0:1]
	s_mov_b64 s[14:15], exec
	v_writelane_b32 v42, s16, 2
	v_writelane_b32 v42, s17, 3
	s_and_b64 s[16:17], s[14:15], s[16:17]
	s_mov_b64 exec, s[16:17]
; %bb.257:
	ds_write_b64 v28, v[10:11]
; %bb.258:
	s_or_b64 exec, exec, s[14:15]
	v_cmp_ne_u32_e64 s[14:15], 0, v27
	s_waitcnt lgkmcnt(0)
	s_barrier
	s_and_b64 s[16:17], s[14:15], s[0:1]
	s_mov_b64 s[14:15], exec
	v_writelane_b32 v42, s16, 4
	v_writelane_b32 v42, s17, 5
	s_and_b64 s[16:17], s[14:15], s[16:17]
	s_mov_b64 exec, s[16:17]
	s_cbranch_execz .LBB69_260
; %bb.259:
	v_lshlrev_b32_e32 v31, 3, v27
	ds_read_b64 v[31:32], v31 offset:8320
	ds_read_b64 v[33:34], v28
	s_waitcnt lgkmcnt(0)
	v_mul_f32_e32 v35, v34, v32
	v_mul_f32_e32 v32, v33, v32
	v_fma_f32 v33, v33, v31, -v35
	v_fmac_f32_e32 v32, v34, v31
	v_add_f32_e32 v10, v10, v33
	v_add_f32_e32 v11, v11, v32
.LBB69_260:
	s_or_b64 exec, exec, s[14:15]
	v_cmp_eq_u32_e64 s[14:15], 1, v27
	s_barrier
	s_and_b64 s[16:17], s[14:15], s[0:1]
	s_mov_b64 s[14:15], exec
	v_writelane_b32 v42, s16, 6
	v_writelane_b32 v42, s17, 7
	s_and_b64 s[16:17], s[14:15], s[16:17]
	s_mov_b64 exec, s[16:17]
; %bb.261:
	ds_write_b64 v28, v[10:11]
; %bb.262:
	s_or_b64 exec, exec, s[14:15]
	v_cmp_lt_u32_e64 s[14:15], 1, v27
	s_waitcnt lgkmcnt(0)
	s_barrier
	s_and_b64 s[16:17], s[14:15], s[0:1]
	s_mov_b64 s[14:15], exec
	v_writelane_b32 v42, s16, 8
	v_writelane_b32 v42, s17, 9
	s_and_b64 s[16:17], s[14:15], s[16:17]
	s_mov_b64 exec, s[16:17]
	s_cbranch_execz .LBB69_264
; %bb.263:
	v_lshlrev_b32_e32 v31, 3, v27
	ds_read_b64 v[31:32], v31 offset:8832
	ds_read_b64 v[33:34], v28
	s_waitcnt lgkmcnt(0)
	v_mul_f32_e32 v35, v34, v32
	v_mul_f32_e32 v32, v33, v32
	v_fma_f32 v33, v33, v31, -v35
	v_fmac_f32_e32 v32, v34, v31
	v_add_f32_e32 v10, v10, v33
	v_add_f32_e32 v11, v11, v32
.LBB69_264:
	s_or_b64 exec, exec, s[14:15]
	v_cmp_eq_u32_e64 s[14:15], 2, v27
	s_barrier
	s_and_b64 s[16:17], s[14:15], s[0:1]
	s_mov_b64 s[14:15], exec
	v_writelane_b32 v42, s16, 10
	v_writelane_b32 v42, s17, 11
	s_and_b64 s[16:17], s[14:15], s[16:17]
	s_mov_b64 exec, s[16:17]
; %bb.265:
	ds_write_b64 v28, v[10:11]
; %bb.266:
	s_or_b64 exec, exec, s[14:15]
	v_cmp_lt_u32_e64 s[14:15], 2, v27
	;; [unrolled: 35-line block ×13, first 2 shown]
	s_waitcnt lgkmcnt(0)
	s_barrier
	s_and_b64 s[16:17], s[14:15], s[0:1]
	s_mov_b64 s[14:15], exec
	v_writelane_b32 v42, s16, 56
	v_writelane_b32 v42, s17, 57
	s_and_b64 s[16:17], s[14:15], s[16:17]
	s_mov_b64 exec, s[16:17]
	s_cbranch_execz .LBB69_312
; %bb.311:
	v_lshlrev_b32_e32 v31, 3, v27
	ds_read_b64 v[31:32], v31 offset:14976
	ds_read_b64 v[33:34], v28
	s_waitcnt lgkmcnt(0)
	v_mul_f32_e32 v35, v34, v32
	v_mul_f32_e32 v32, v33, v32
	v_fma_f32 v33, v33, v31, -v35
	v_fmac_f32_e32 v32, v34, v31
	v_add_f32_e32 v10, v10, v33
	v_add_f32_e32 v11, v11, v32
.LBB69_312:
	s_or_b64 exec, exec, s[14:15]
	v_cmp_eq_u32_e64 s[14:15], 14, v27
	s_and_b64 s[88:89], s[14:15], s[0:1]
	s_barrier
	s_and_saveexec_b64 s[14:15], s[88:89]
; %bb.313:
	ds_write_b64 v28, v[10:11]
; %bb.314:
	s_or_b64 exec, exec, s[14:15]
	v_cmp_eq_u32_e64 s[14:15], 15, v27
	s_and_b64 s[94:95], s[14:15], s[0:1]
	s_waitcnt lgkmcnt(0)
	s_barrier
	s_and_saveexec_b64 s[0:1], s[94:95]
	s_cbranch_execz .LBB69_316
; %bb.315:
	v_mov_b32_e32 v31, 0
	ds_read_b64 v[31:32], v31 offset:15608
	ds_read_b64 v[33:34], v28
	s_waitcnt lgkmcnt(0)
	v_mul_f32_e32 v35, v34, v32
	v_mul_f32_e32 v32, v33, v32
	v_fma_f32 v33, v33, v31, -v35
	v_fmac_f32_e32 v32, v34, v31
	v_add_f32_e32 v10, v10, v33
	v_add_f32_e32 v11, v11, v32
.LBB69_316:
	s_or_b64 exec, exec, s[0:1]
	s_barrier
	s_and_saveexec_b64 s[0:1], s[94:95]
; %bb.317:
	ds_write_b64 v28, v[10:11]
; %bb.318:
	s_or_b64 exec, exec, s[0:1]
	s_waitcnt lgkmcnt(0)
	s_barrier
	s_barrier
	s_and_saveexec_b64 s[0:1], s[10:11]
; %bb.319:
	v_xor_b32_e32 v10, 0x80000000, v10
	v_xor_b32_e32 v11, 0x80000000, v11
	ds_write_b64 v26, v[10:11] offset:128
; %bb.320:
	s_or_b64 exec, exec, s[0:1]
	v_cmp_gt_u32_e64 s[14:15], 16, v0
	s_and_b64 s[90:91], s[12:13], s[14:15]
	s_waitcnt lgkmcnt(0)
	s_barrier
	s_barrier
	s_and_saveexec_b64 s[0:1], s[90:91]
	s_cbranch_execz .LBB69_322
; %bb.321:
	v_lshlrev_b32_e32 v31, 9, v0
	ds_read_b64 v[10:11], v31 offset:128
	s_movk_i32 s14, 0xfe08
	v_mad_i32_i24 v32, v0, s14, v31
	s_waitcnt lgkmcnt(0)
	ds_write_b64 v32, v[10:11] offset:8192
	ds_read_b64 v[10:11], v31 offset:136
	s_waitcnt lgkmcnt(0)
	ds_write_b64 v32, v[10:11] offset:8704
	ds_read_b64 v[10:11], v31 offset:144
	;; [unrolled: 3-line block ×15, first 2 shown]
	s_waitcnt lgkmcnt(0)
	ds_write_b64 v32, v[10:11] offset:15872
.LBB69_322:
	s_or_b64 exec, exec, s[0:1]
	s_waitcnt lgkmcnt(0)
	s_barrier
	s_and_saveexec_b64 s[0:1], vcc
	s_cbranch_execz .LBB69_324
; %bb.323:
	v_mov_b32_e32 v33, 0
	ds_read_b64 v[10:11], v33 offset:8328
	s_mov_b64 s[14:15], 0x3f800000
	v_mov_b32_e32 v32, s15
	v_mov_b32_e32 v31, s14
	s_movk_i32 s14, 0x80
	ds_write_b64 v33, v[31:32] offset:8840
	v_add_u32_e64 v33, s14, 0
	s_waitcnt lgkmcnt(1)
	ds_write2st64_b64 v33, v[31:32], v[10:11] offset0:16 offset1:17
.LBB69_324:
	s_or_b64 exec, exec, s[0:1]
	v_mov_b32_e32 v11, 0
	v_mov_b32_e32 v10, 0
	s_waitcnt lgkmcnt(0)
	s_barrier
	s_and_saveexec_b64 s[0:1], s[2:3]
	s_cbranch_execz .LBB69_328
; %bb.325:
	v_mul_u32_u24_e32 v31, 0x208, v14
	ds_read_b64 v[10:11], v12 offset:8336
	ds_read_b64 v[31:32], v31 offset:8320
	v_cmp_gt_u32_e64 s[14:15], 2, v17
	s_waitcnt lgkmcnt(0)
	v_mul_f32_e32 v33, v32, v11
	v_mul_f32_e32 v11, v31, v11
	v_fma_f32 v31, v31, v10, -v33
	v_fmac_f32_e32 v11, v32, v10
	v_add_f32_e32 v10, 0, v31
	v_add_f32_e32 v11, 0, v11
	s_and_saveexec_b64 s[16:17], s[14:15]
	s_cbranch_execz .LBB69_327
; %bb.326:
	v_lshlrev_b32_e32 v31, 3, v0
	v_mov_b32_e32 v33, 0
	ds_read_b64 v[31:32], v31 offset:8848
	ds_read_b64 v[33:34], v33 offset:8328
	s_waitcnt lgkmcnt(0)
	v_mul_f32_e32 v35, v34, v32
	v_mul_f32_e32 v32, v33, v32
	v_fma_f32 v33, v33, v31, -v35
	v_fmac_f32_e32 v32, v34, v31
	v_add_f32_e32 v10, v10, v33
	v_add_f32_e32 v11, v11, v32
.LBB69_327:
	s_or_b64 exec, exec, s[16:17]
	v_xor_b32_e32 v10, 0x80000000, v10
	v_xor_b32_e32 v11, 0x80000000, v11
.LBB69_328:
	s_or_b64 exec, exec, s[0:1]
	s_and_saveexec_b64 s[0:1], s[36:37]
; %bb.329:
	ds_write_b64 v13, v[10:11]
; %bb.330:
	s_or_b64 exec, exec, s[0:1]
	s_waitcnt lgkmcnt(0)
	s_barrier
	s_and_saveexec_b64 s[0:1], s[34:35]
	s_cbranch_execz .LBB69_332
; %bb.331:
	v_mov_b32_e32 v31, 0
	ds_read_b64 v[31:32], v31 offset:9368
	ds_read_b64 v[33:34], v13
	s_waitcnt lgkmcnt(0)
	v_mul_f32_e32 v35, v34, v32
	v_mul_f32_e32 v32, v33, v32
	v_fma_f32 v33, v33, v31, -v35
	v_fmac_f32_e32 v32, v34, v31
	v_add_f32_e32 v10, v10, v33
	v_add_f32_e32 v11, v11, v32
.LBB69_332:
	s_or_b64 exec, exec, s[0:1]
	s_barrier
	s_and_saveexec_b64 s[0:1], s[34:35]
; %bb.333:
	ds_write_b64 v13, v[10:11]
; %bb.334:
	s_or_b64 exec, exec, s[0:1]
	s_waitcnt lgkmcnt(0)
	s_barrier
	s_barrier
	s_and_saveexec_b64 s[0:1], s[2:3]
; %bb.335:
	v_xor_b32_e32 v11, 0x80000000, v11
	v_xor_b32_e32 v10, 0x80000000, v10
	ds_write_b64 v12, v[10:11] offset:8336
; %bb.336:
	s_or_b64 exec, exec, s[0:1]
	s_waitcnt lgkmcnt(0)
	s_barrier
	s_barrier
	s_and_saveexec_b64 s[0:1], s[38:39]
	s_cbranch_execz .LBB69_338
; %bb.337:
	v_lshlrev_b32_e32 v31, 3, v0
	s_movk_i32 s14, 0x1f8
	v_mad_u32_u24 v32, v0, s14, v31
	ds_read_b64 v[10:11], v32 offset:8336
	s_waitcnt lgkmcnt(0)
	ds_write_b64 v31, v[10:11] offset:9344
	ds_read_b64 v[10:11], v32 offset:8344
	s_waitcnt lgkmcnt(0)
	ds_write_b64 v31, v[10:11] offset:9856
.LBB69_338:
	s_or_b64 exec, exec, s[0:1]
	s_waitcnt lgkmcnt(0)
	s_barrier
	s_and_saveexec_b64 s[0:1], vcc
	s_cbranch_execz .LBB69_340
; %bb.339:
	v_mov_b32_e32 v33, 0
	ds_read_b64 v[10:11], v33 offset:9368
	s_mov_b64 s[14:15], 0x3f800000
	v_mov_b32_e32 v32, s15
	v_mov_b32_e32 v31, s14
	s_movk_i32 s14, 0x90
	ds_write_b64 v33, v[31:32] offset:9880
	v_add_u32_e64 v33, s14, 0
	s_waitcnt lgkmcnt(1)
	ds_write2st64_b64 v33, v[31:32], v[10:11] offset0:18 offset1:19
.LBB69_340:
	s_or_b64 exec, exec, s[0:1]
	v_mov_b32_e32 v11, 0
	v_mov_b32_e32 v10, 0
	s_waitcnt lgkmcnt(0)
	s_barrier
	s_and_saveexec_b64 s[0:1], s[18:19]
	s_cbranch_execz .LBB69_346
; %bb.341:
	v_mul_u32_u24_e32 v31, 0x208, v20
	ds_read_b64 v[10:11], v15 offset:8352
	ds_read_b64 v[32:33], v31 offset:8320
	v_cmp_gt_u32_e64 s[14:15], 12, v17
	s_waitcnt lgkmcnt(0)
	v_mul_f32_e32 v34, v33, v11
	v_mul_f32_e32 v11, v32, v11
	v_fma_f32 v32, v32, v10, -v34
	v_fmac_f32_e32 v11, v33, v10
	v_add_f32_e32 v10, 0, v32
	v_add_f32_e32 v11, 0, v11
	s_and_saveexec_b64 s[16:17], s[14:15]
	s_cbranch_execnz .LBB69_1073
; %bb.342:
	s_or_b64 exec, exec, s[16:17]
	v_cmp_gt_u32_e64 s[14:15], 8, v17
	s_and_saveexec_b64 s[16:17], s[14:15]
	s_cbranch_execnz .LBB69_1074
.LBB69_343:
	s_or_b64 exec, exec, s[16:17]
	v_cmp_gt_u32_e64 s[14:15], 4, v17
	s_and_saveexec_b64 s[16:17], s[14:15]
	s_cbranch_execz .LBB69_345
.LBB69_344:
	v_lshlrev_b32_e32 v31, 3, v0
	v_mov_b32_e32 v33, 0
	ds_read_b64 v[31:32], v31 offset:9888
	ds_read_b64 v[33:34], v33 offset:8344
	s_waitcnt lgkmcnt(0)
	v_mul_f32_e32 v35, v34, v32
	v_mul_f32_e32 v32, v33, v32
	v_fma_f32 v33, v33, v31, -v35
	v_fmac_f32_e32 v32, v34, v31
	v_add_f32_e32 v10, v10, v33
	v_add_f32_e32 v11, v11, v32
.LBB69_345:
	s_or_b64 exec, exec, s[16:17]
	v_xor_b32_e32 v10, 0x80000000, v10
	v_xor_b32_e32 v11, 0x80000000, v11
.LBB69_346:
	s_or_b64 exec, exec, s[0:1]
	s_and_saveexec_b64 s[0:1], s[42:43]
; %bb.347:
	ds_write_b64 v18, v[10:11]
; %bb.348:
	s_or_b64 exec, exec, s[0:1]
	s_waitcnt lgkmcnt(0)
	s_barrier
	s_and_saveexec_b64 s[0:1], s[44:45]
	s_cbranch_execz .LBB69_350
; %bb.349:
	ds_read_b64 v[31:32], v16 offset:10400
	ds_read_b64 v[33:34], v18
	s_waitcnt lgkmcnt(0)
	v_mul_f32_e32 v35, v34, v32
	v_mul_f32_e32 v32, v33, v32
	v_fma_f32 v33, v33, v31, -v35
	v_fmac_f32_e32 v32, v34, v31
	v_add_f32_e32 v10, v10, v33
	v_add_f32_e32 v11, v11, v32
.LBB69_350:
	s_or_b64 exec, exec, s[0:1]
	s_barrier
	s_and_saveexec_b64 s[0:1], s[46:47]
; %bb.351:
	ds_write_b64 v18, v[10:11]
; %bb.352:
	s_or_b64 exec, exec, s[0:1]
	s_waitcnt lgkmcnt(0)
	s_barrier
	s_and_saveexec_b64 s[0:1], s[48:49]
	s_cbranch_execz .LBB69_354
; %bb.353:
	ds_read_b64 v[31:32], v16 offset:10912
	ds_read_b64 v[33:34], v18
	s_waitcnt lgkmcnt(0)
	v_mul_f32_e32 v35, v34, v32
	v_mul_f32_e32 v32, v33, v32
	v_fma_f32 v33, v33, v31, -v35
	v_fmac_f32_e32 v32, v34, v31
	v_add_f32_e32 v10, v10, v33
	v_add_f32_e32 v11, v11, v32
.LBB69_354:
	s_or_b64 exec, exec, s[0:1]
	s_barrier
	s_and_saveexec_b64 s[0:1], s[50:51]
; %bb.355:
	ds_write_b64 v18, v[10:11]
; %bb.356:
	s_or_b64 exec, exec, s[0:1]
	s_waitcnt lgkmcnt(0)
	s_barrier
	s_and_saveexec_b64 s[0:1], s[40:41]
	s_cbranch_execz .LBB69_358
; %bb.357:
	v_mov_b32_e32 v31, 0
	ds_read_b64 v[31:32], v31 offset:11448
	ds_read_b64 v[33:34], v18
	s_waitcnt lgkmcnt(0)
	v_mul_f32_e32 v35, v34, v32
	v_mul_f32_e32 v32, v33, v32
	v_fma_f32 v33, v33, v31, -v35
	v_fmac_f32_e32 v32, v34, v31
	v_add_f32_e32 v10, v10, v33
	v_add_f32_e32 v11, v11, v32
.LBB69_358:
	s_or_b64 exec, exec, s[0:1]
	s_barrier
	s_and_saveexec_b64 s[0:1], s[40:41]
; %bb.359:
	ds_write_b64 v18, v[10:11]
; %bb.360:
	s_or_b64 exec, exec, s[0:1]
	s_waitcnt lgkmcnt(0)
	s_barrier
	s_barrier
	s_and_saveexec_b64 s[0:1], s[18:19]
; %bb.361:
	v_xor_b32_e32 v10, 0x80000000, v10
	v_xor_b32_e32 v11, 0x80000000, v11
	ds_write_b64 v15, v[10:11] offset:8352
; %bb.362:
	s_or_b64 exec, exec, s[0:1]
	s_waitcnt lgkmcnt(0)
	s_barrier
	s_barrier
	s_and_saveexec_b64 s[0:1], s[52:53]
	s_cbranch_execz .LBB69_364
; %bb.363:
	v_lshlrev_b32_e32 v31, 9, v0
	ds_read_b64 v[10:11], v31 offset:8352
	s_movk_i32 s14, 0xfe08
	v_mad_i32_i24 v32, v0, s14, v31
	s_waitcnt lgkmcnt(0)
	ds_write_b64 v32, v[10:11] offset:10368
	ds_read_b64 v[10:11], v31 offset:8360
	s_waitcnt lgkmcnt(0)
	ds_write_b64 v32, v[10:11] offset:10880
	ds_read_b64 v[10:11], v31 offset:8368
	s_waitcnt lgkmcnt(0)
	ds_write_b64 v32, v[10:11] offset:11392
	ds_read_b64 v[10:11], v31 offset:8376
	s_waitcnt lgkmcnt(0)
	ds_write_b64 v32, v[10:11] offset:11904
.LBB69_364:
	s_or_b64 exec, exec, s[0:1]
	s_waitcnt lgkmcnt(0)
	s_barrier
	s_and_saveexec_b64 s[0:1], vcc
	s_cbranch_execz .LBB69_366
; %bb.365:
	v_mov_b32_e32 v33, 0
	ds_read_b64 v[10:11], v33 offset:10408
	s_mov_b64 s[14:15], 0x3f800000
	v_mov_b32_e32 v32, s15
	v_mov_b32_e32 v31, s14
	s_movk_i32 s14, 0xa0
	ds_write_b64 v33, v[31:32] offset:10920
	v_add_u32_e64 v33, s14, 0
	s_waitcnt lgkmcnt(1)
	ds_write2st64_b64 v33, v[31:32], v[10:11] offset0:20 offset1:21
.LBB69_366:
	s_or_b64 exec, exec, s[0:1]
	v_mov_b32_e32 v11, 0
	v_mov_b32_e32 v10, 0
	s_waitcnt lgkmcnt(0)
	s_barrier
	s_and_saveexec_b64 s[0:1], s[2:3]
	s_cbranch_execz .LBB69_370
; %bb.367:
	v_mul_u32_u24_e32 v31, 0x208, v14
	ds_read_b64 v[10:11], v12 offset:10416
	ds_read_b64 v[31:32], v31 offset:10400
	v_cmp_gt_u32_e64 s[14:15], 2, v17
	s_waitcnt lgkmcnt(0)
	v_mul_f32_e32 v33, v32, v11
	v_mul_f32_e32 v11, v31, v11
	v_fma_f32 v31, v31, v10, -v33
	v_fmac_f32_e32 v11, v32, v10
	v_add_f32_e32 v10, 0, v31
	v_add_f32_e32 v11, 0, v11
	s_and_saveexec_b64 s[16:17], s[14:15]
	s_cbranch_execz .LBB69_369
; %bb.368:
	v_lshlrev_b32_e32 v31, 3, v0
	v_mov_b32_e32 v33, 0
	ds_read_b64 v[31:32], v31 offset:10928
	ds_read_b64 v[33:34], v33 offset:10408
	s_waitcnt lgkmcnt(0)
	v_mul_f32_e32 v35, v34, v32
	v_mul_f32_e32 v32, v33, v32
	v_fma_f32 v33, v33, v31, -v35
	v_fmac_f32_e32 v32, v34, v31
	v_add_f32_e32 v10, v10, v33
	v_add_f32_e32 v11, v11, v32
.LBB69_369:
	s_or_b64 exec, exec, s[16:17]
	v_xor_b32_e32 v10, 0x80000000, v10
	v_xor_b32_e32 v11, 0x80000000, v11
.LBB69_370:
	s_or_b64 exec, exec, s[0:1]
	s_and_saveexec_b64 s[0:1], s[36:37]
; %bb.371:
	ds_write_b64 v13, v[10:11]
; %bb.372:
	s_or_b64 exec, exec, s[0:1]
	s_waitcnt lgkmcnt(0)
	s_barrier
	s_and_saveexec_b64 s[0:1], s[34:35]
	s_cbranch_execz .LBB69_374
; %bb.373:
	v_mov_b32_e32 v31, 0
	ds_read_b64 v[31:32], v31 offset:11448
	ds_read_b64 v[33:34], v13
	s_waitcnt lgkmcnt(0)
	v_mul_f32_e32 v35, v34, v32
	v_mul_f32_e32 v32, v33, v32
	v_fma_f32 v33, v33, v31, -v35
	v_fmac_f32_e32 v32, v34, v31
	v_add_f32_e32 v10, v10, v33
	v_add_f32_e32 v11, v11, v32
.LBB69_374:
	s_or_b64 exec, exec, s[0:1]
	s_barrier
	s_and_saveexec_b64 s[0:1], s[34:35]
; %bb.375:
	ds_write_b64 v13, v[10:11]
; %bb.376:
	s_or_b64 exec, exec, s[0:1]
	s_waitcnt lgkmcnt(0)
	s_barrier
	s_barrier
	s_and_saveexec_b64 s[0:1], s[2:3]
; %bb.377:
	v_xor_b32_e32 v11, 0x80000000, v11
	v_xor_b32_e32 v10, 0x80000000, v10
	ds_write_b64 v12, v[10:11] offset:10416
; %bb.378:
	s_or_b64 exec, exec, s[0:1]
	s_waitcnt lgkmcnt(0)
	s_barrier
	s_barrier
	s_and_saveexec_b64 s[0:1], s[38:39]
	s_cbranch_execz .LBB69_380
; %bb.379:
	v_lshlrev_b32_e32 v31, 3, v0
	s_movk_i32 s14, 0x1f8
	v_mad_u32_u24 v32, v0, s14, v31
	ds_read_b64 v[10:11], v32 offset:10416
	s_waitcnt lgkmcnt(0)
	ds_write_b64 v31, v[10:11] offset:11424
	ds_read_b64 v[10:11], v32 offset:10424
	s_waitcnt lgkmcnt(0)
	ds_write_b64 v31, v[10:11] offset:11936
.LBB69_380:
	s_or_b64 exec, exec, s[0:1]
	s_waitcnt lgkmcnt(0)
	s_barrier
	s_and_saveexec_b64 s[0:1], vcc
	s_cbranch_execz .LBB69_382
; %bb.381:
	v_mov_b32_e32 v33, 0
	ds_read_b64 v[10:11], v33 offset:11448
	s_mov_b64 s[14:15], 0x3f800000
	v_mov_b32_e32 v32, s15
	v_mov_b32_e32 v31, s14
	s_movk_i32 s14, 0xb0
	ds_write_b64 v33, v[31:32] offset:11960
	v_add_u32_e64 v33, s14, 0
	s_waitcnt lgkmcnt(1)
	ds_write2st64_b64 v33, v[31:32], v[10:11] offset0:22 offset1:23
.LBB69_382:
	s_or_b64 exec, exec, s[0:1]
	v_mov_b32_e32 v11, 0
	v_mov_b32_e32 v10, 0
	s_waitcnt lgkmcnt(0)
	s_barrier
	s_and_saveexec_b64 s[0:1], s[8:9]
	s_cbranch_execz .LBB69_392
; %bb.383:
	v_mul_u32_u24_e32 v31, 0x208, v25
	ds_read_b64 v[10:11], v21 offset:8384
	ds_read_b64 v[32:33], v31 offset:8320
	v_cmp_gt_u32_e64 s[14:15], 56, v17
	s_waitcnt lgkmcnt(0)
	v_mul_f32_e32 v34, v33, v11
	v_mul_f32_e32 v11, v32, v11
	v_fma_f32 v32, v32, v10, -v34
	v_fmac_f32_e32 v11, v33, v10
	v_add_f32_e32 v10, 0, v32
	v_add_f32_e32 v11, 0, v11
	s_and_saveexec_b64 s[16:17], s[14:15]
	s_cbranch_execnz .LBB69_1075
; %bb.384:
	s_or_b64 exec, exec, s[16:17]
	v_cmp_gt_u32_e64 s[14:15], 48, v17
	s_and_saveexec_b64 s[16:17], s[14:15]
	s_cbranch_execnz .LBB69_1076
.LBB69_385:
	s_or_b64 exec, exec, s[16:17]
	v_cmp_gt_u32_e64 s[14:15], 40, v17
	s_and_saveexec_b64 s[16:17], s[14:15]
	s_cbranch_execnz .LBB69_1077
.LBB69_386:
	s_or_b64 exec, exec, s[16:17]
	v_cmp_gt_u32_e64 s[14:15], 32, v17
	s_and_saveexec_b64 s[16:17], s[14:15]
	s_cbranch_execnz .LBB69_1078
.LBB69_387:
	s_or_b64 exec, exec, s[16:17]
	v_cmp_gt_u32_e64 s[14:15], 24, v17
	s_and_saveexec_b64 s[16:17], s[14:15]
	s_cbranch_execnz .LBB69_1079
.LBB69_388:
	s_or_b64 exec, exec, s[16:17]
	v_cmp_gt_u32_e64 s[14:15], 16, v17
	s_and_saveexec_b64 s[16:17], s[14:15]
	s_cbranch_execnz .LBB69_1080
.LBB69_389:
	s_or_b64 exec, exec, s[16:17]
	v_cmp_gt_u32_e64 s[14:15], 8, v17
	s_and_saveexec_b64 s[16:17], s[14:15]
	s_cbranch_execz .LBB69_391
.LBB69_390:
	v_lshlrev_b32_e32 v31, 3, v0
	v_mov_b32_e32 v33, 0
	ds_read_b64 v[31:32], v31 offset:11968
	ds_read_b64 v[33:34], v33 offset:8376
	s_waitcnt lgkmcnt(0)
	v_mul_f32_e32 v35, v34, v32
	v_mul_f32_e32 v32, v33, v32
	v_fma_f32 v33, v33, v31, -v35
	v_fmac_f32_e32 v32, v34, v31
	v_add_f32_e32 v10, v10, v33
	v_add_f32_e32 v11, v11, v32
.LBB69_391:
	s_or_b64 exec, exec, s[16:17]
	v_xor_b32_e32 v10, 0x80000000, v10
	v_xor_b32_e32 v11, 0x80000000, v11
.LBB69_392:
	s_or_b64 exec, exec, s[0:1]
	s_and_saveexec_b64 s[0:1], s[56:57]
; %bb.393:
	ds_write_b64 v23, v[10:11]
; %bb.394:
	s_or_b64 exec, exec, s[0:1]
	s_waitcnt lgkmcnt(0)
	s_barrier
	s_and_saveexec_b64 s[0:1], s[58:59]
	s_cbranch_execz .LBB69_396
; %bb.395:
	ds_read_b64 v[31:32], v22 offset:12480
	ds_read_b64 v[33:34], v23
	s_waitcnt lgkmcnt(0)
	v_mul_f32_e32 v35, v34, v32
	v_mul_f32_e32 v32, v33, v32
	v_fma_f32 v33, v33, v31, -v35
	v_fmac_f32_e32 v32, v34, v31
	v_add_f32_e32 v10, v10, v33
	v_add_f32_e32 v11, v11, v32
.LBB69_396:
	s_or_b64 exec, exec, s[0:1]
	s_barrier
	s_and_saveexec_b64 s[0:1], s[60:61]
; %bb.397:
	ds_write_b64 v23, v[10:11]
; %bb.398:
	s_or_b64 exec, exec, s[0:1]
	s_waitcnt lgkmcnt(0)
	s_barrier
	s_and_saveexec_b64 s[0:1], s[62:63]
	s_cbranch_execz .LBB69_400
; %bb.399:
	ds_read_b64 v[31:32], v22 offset:12992
	ds_read_b64 v[33:34], v23
	s_waitcnt lgkmcnt(0)
	v_mul_f32_e32 v35, v34, v32
	v_mul_f32_e32 v32, v33, v32
	v_fma_f32 v33, v33, v31, -v35
	v_fmac_f32_e32 v32, v34, v31
	v_add_f32_e32 v10, v10, v33
	v_add_f32_e32 v11, v11, v32
.LBB69_400:
	s_or_b64 exec, exec, s[0:1]
	s_barrier
	s_and_saveexec_b64 s[0:1], s[64:65]
; %bb.401:
	ds_write_b64 v23, v[10:11]
; %bb.402:
	s_or_b64 exec, exec, s[0:1]
	s_waitcnt lgkmcnt(0)
	s_barrier
	s_and_saveexec_b64 s[0:1], s[66:67]
	s_cbranch_execz .LBB69_404
; %bb.403:
	ds_read_b64 v[31:32], v22 offset:13504
	ds_read_b64 v[33:34], v23
	s_waitcnt lgkmcnt(0)
	v_mul_f32_e32 v35, v34, v32
	v_mul_f32_e32 v32, v33, v32
	v_fma_f32 v33, v33, v31, -v35
	v_fmac_f32_e32 v32, v34, v31
	v_add_f32_e32 v10, v10, v33
	v_add_f32_e32 v11, v11, v32
.LBB69_404:
	s_or_b64 exec, exec, s[0:1]
	s_barrier
	s_and_saveexec_b64 s[0:1], s[68:69]
; %bb.405:
	ds_write_b64 v23, v[10:11]
; %bb.406:
	s_or_b64 exec, exec, s[0:1]
	s_waitcnt lgkmcnt(0)
	s_barrier
	s_and_saveexec_b64 s[0:1], s[70:71]
	s_cbranch_execz .LBB69_408
; %bb.407:
	ds_read_b64 v[31:32], v22 offset:14016
	ds_read_b64 v[33:34], v23
	s_waitcnt lgkmcnt(0)
	v_mul_f32_e32 v35, v34, v32
	v_mul_f32_e32 v32, v33, v32
	v_fma_f32 v33, v33, v31, -v35
	v_fmac_f32_e32 v32, v34, v31
	v_add_f32_e32 v10, v10, v33
	v_add_f32_e32 v11, v11, v32
.LBB69_408:
	s_or_b64 exec, exec, s[0:1]
	s_barrier
	s_and_saveexec_b64 s[0:1], s[72:73]
; %bb.409:
	ds_write_b64 v23, v[10:11]
; %bb.410:
	s_or_b64 exec, exec, s[0:1]
	s_waitcnt lgkmcnt(0)
	s_barrier
	s_and_saveexec_b64 s[0:1], s[74:75]
	s_cbranch_execz .LBB69_412
; %bb.411:
	ds_read_b64 v[31:32], v22 offset:14528
	ds_read_b64 v[33:34], v23
	s_waitcnt lgkmcnt(0)
	v_mul_f32_e32 v35, v34, v32
	v_mul_f32_e32 v32, v33, v32
	v_fma_f32 v33, v33, v31, -v35
	v_fmac_f32_e32 v32, v34, v31
	v_add_f32_e32 v10, v10, v33
	v_add_f32_e32 v11, v11, v32
.LBB69_412:
	s_or_b64 exec, exec, s[0:1]
	s_barrier
	s_and_saveexec_b64 s[0:1], s[76:77]
; %bb.413:
	ds_write_b64 v23, v[10:11]
; %bb.414:
	s_or_b64 exec, exec, s[0:1]
	s_waitcnt lgkmcnt(0)
	s_barrier
	s_and_saveexec_b64 s[0:1], s[78:79]
	s_cbranch_execz .LBB69_416
; %bb.415:
	ds_read_b64 v[31:32], v22 offset:15040
	ds_read_b64 v[33:34], v23
	s_waitcnt lgkmcnt(0)
	v_mul_f32_e32 v35, v34, v32
	v_mul_f32_e32 v32, v33, v32
	v_fma_f32 v33, v33, v31, -v35
	v_fmac_f32_e32 v32, v34, v31
	v_add_f32_e32 v10, v10, v33
	v_add_f32_e32 v11, v11, v32
.LBB69_416:
	s_or_b64 exec, exec, s[0:1]
	s_barrier
	s_and_saveexec_b64 s[0:1], s[80:81]
; %bb.417:
	ds_write_b64 v23, v[10:11]
; %bb.418:
	s_or_b64 exec, exec, s[0:1]
	s_waitcnt lgkmcnt(0)
	s_barrier
	s_and_saveexec_b64 s[0:1], s[54:55]
	s_cbranch_execz .LBB69_420
; %bb.419:
	v_mov_b32_e32 v31, 0
	ds_read_b64 v[31:32], v31 offset:15608
	ds_read_b64 v[33:34], v23
	s_waitcnt lgkmcnt(0)
	v_mul_f32_e32 v35, v34, v32
	v_mul_f32_e32 v32, v33, v32
	v_fma_f32 v33, v33, v31, -v35
	v_fmac_f32_e32 v32, v34, v31
	v_add_f32_e32 v10, v10, v33
	v_add_f32_e32 v11, v11, v32
.LBB69_420:
	s_or_b64 exec, exec, s[0:1]
	s_barrier
	s_and_saveexec_b64 s[0:1], s[54:55]
; %bb.421:
	ds_write_b64 v23, v[10:11]
; %bb.422:
	s_or_b64 exec, exec, s[0:1]
	s_waitcnt lgkmcnt(0)
	s_barrier
	s_barrier
	s_and_saveexec_b64 s[0:1], s[8:9]
; %bb.423:
	v_xor_b32_e32 v11, 0x80000000, v11
	v_xor_b32_e32 v10, 0x80000000, v10
	ds_write_b64 v21, v[10:11] offset:8384
; %bb.424:
	s_or_b64 exec, exec, s[0:1]
	s_waitcnt lgkmcnt(0)
	s_barrier
	s_barrier
	s_and_saveexec_b64 s[0:1], s[82:83]
	s_cbranch_execz .LBB69_426
; %bb.425:
	v_lshlrev_b32_e32 v31, 9, v0
	ds_read_b64 v[10:11], v31 offset:8384
	s_movk_i32 s14, 0xfe08
	v_mad_i32_i24 v32, v0, s14, v31
	s_waitcnt lgkmcnt(0)
	ds_write_b64 v32, v[10:11] offset:12416
	ds_read_b64 v[10:11], v31 offset:8392
	s_waitcnt lgkmcnt(0)
	ds_write_b64 v32, v[10:11] offset:12928
	ds_read_b64 v[10:11], v31 offset:8400
	;; [unrolled: 3-line block ×7, first 2 shown]
	s_waitcnt lgkmcnt(0)
	ds_write_b64 v32, v[10:11] offset:16000
.LBB69_426:
	s_or_b64 exec, exec, s[0:1]
	s_waitcnt lgkmcnt(0)
	s_barrier
	s_and_saveexec_b64 s[0:1], vcc
	s_cbranch_execz .LBB69_428
; %bb.427:
	v_mov_b32_e32 v33, 0
	ds_read_b64 v[10:11], v33 offset:12488
	s_mov_b64 s[14:15], 0x3f800000
	v_mov_b32_e32 v32, s15
	v_mov_b32_e32 v31, s14
	s_movk_i32 s14, 0xc0
	ds_write_b64 v33, v[31:32] offset:13000
	v_add_u32_e64 v33, s14, 0
	s_waitcnt lgkmcnt(1)
	ds_write2st64_b64 v33, v[31:32], v[10:11] offset0:24 offset1:25
.LBB69_428:
	s_or_b64 exec, exec, s[0:1]
	v_mov_b32_e32 v11, 0
	v_mov_b32_e32 v10, 0
	s_waitcnt lgkmcnt(0)
	s_barrier
	s_and_saveexec_b64 s[0:1], s[2:3]
	s_cbranch_execz .LBB69_432
; %bb.429:
	v_mul_u32_u24_e32 v31, 0x208, v14
	ds_read_b64 v[10:11], v12 offset:12496
	ds_read_b64 v[31:32], v31 offset:12480
	v_cmp_gt_u32_e64 s[14:15], 2, v17
	s_waitcnt lgkmcnt(0)
	v_mul_f32_e32 v33, v32, v11
	v_mul_f32_e32 v11, v31, v11
	v_fma_f32 v31, v31, v10, -v33
	v_fmac_f32_e32 v11, v32, v10
	v_add_f32_e32 v10, 0, v31
	v_add_f32_e32 v11, 0, v11
	s_and_saveexec_b64 s[16:17], s[14:15]
	s_cbranch_execz .LBB69_431
; %bb.430:
	v_lshlrev_b32_e32 v31, 3, v0
	v_mov_b32_e32 v33, 0
	ds_read_b64 v[31:32], v31 offset:13008
	ds_read_b64 v[33:34], v33 offset:12488
	s_waitcnt lgkmcnt(0)
	v_mul_f32_e32 v35, v34, v32
	v_mul_f32_e32 v32, v33, v32
	v_fma_f32 v33, v33, v31, -v35
	v_fmac_f32_e32 v32, v34, v31
	v_add_f32_e32 v10, v10, v33
	v_add_f32_e32 v11, v11, v32
.LBB69_431:
	s_or_b64 exec, exec, s[16:17]
	v_xor_b32_e32 v10, 0x80000000, v10
	v_xor_b32_e32 v11, 0x80000000, v11
.LBB69_432:
	s_or_b64 exec, exec, s[0:1]
	s_and_saveexec_b64 s[0:1], s[36:37]
; %bb.433:
	ds_write_b64 v13, v[10:11]
; %bb.434:
	s_or_b64 exec, exec, s[0:1]
	s_waitcnt lgkmcnt(0)
	s_barrier
	s_and_saveexec_b64 s[0:1], s[34:35]
	s_cbranch_execz .LBB69_436
; %bb.435:
	v_mov_b32_e32 v31, 0
	ds_read_b64 v[31:32], v31 offset:13528
	ds_read_b64 v[33:34], v13
	s_waitcnt lgkmcnt(0)
	v_mul_f32_e32 v35, v34, v32
	v_mul_f32_e32 v32, v33, v32
	v_fma_f32 v33, v33, v31, -v35
	v_fmac_f32_e32 v32, v34, v31
	v_add_f32_e32 v10, v10, v33
	v_add_f32_e32 v11, v11, v32
.LBB69_436:
	s_or_b64 exec, exec, s[0:1]
	s_barrier
	s_and_saveexec_b64 s[0:1], s[34:35]
; %bb.437:
	ds_write_b64 v13, v[10:11]
; %bb.438:
	s_or_b64 exec, exec, s[0:1]
	s_waitcnt lgkmcnt(0)
	s_barrier
	s_barrier
	s_and_saveexec_b64 s[0:1], s[2:3]
; %bb.439:
	v_xor_b32_e32 v11, 0x80000000, v11
	v_xor_b32_e32 v10, 0x80000000, v10
	ds_write_b64 v12, v[10:11] offset:12496
; %bb.440:
	s_or_b64 exec, exec, s[0:1]
	s_waitcnt lgkmcnt(0)
	s_barrier
	s_barrier
	s_and_saveexec_b64 s[0:1], s[38:39]
	s_cbranch_execz .LBB69_442
; %bb.441:
	v_lshlrev_b32_e32 v31, 3, v0
	s_movk_i32 s14, 0x1f8
	v_mad_u32_u24 v32, v0, s14, v31
	ds_read_b64 v[10:11], v32 offset:12496
	s_waitcnt lgkmcnt(0)
	ds_write_b64 v31, v[10:11] offset:13504
	ds_read_b64 v[10:11], v32 offset:12504
	s_waitcnt lgkmcnt(0)
	ds_write_b64 v31, v[10:11] offset:14016
.LBB69_442:
	s_or_b64 exec, exec, s[0:1]
	s_waitcnt lgkmcnt(0)
	s_barrier
	s_and_saveexec_b64 s[0:1], vcc
	s_cbranch_execz .LBB69_444
; %bb.443:
	v_mov_b32_e32 v33, 0
	ds_read_b64 v[10:11], v33 offset:13528
	s_mov_b64 s[14:15], 0x3f800000
	v_mov_b32_e32 v32, s15
	v_mov_b32_e32 v31, s14
	s_movk_i32 s14, 0xd0
	ds_write_b64 v33, v[31:32] offset:14040
	v_add_u32_e64 v33, s14, 0
	s_waitcnt lgkmcnt(1)
	ds_write2st64_b64 v33, v[31:32], v[10:11] offset0:26 offset1:27
.LBB69_444:
	s_or_b64 exec, exec, s[0:1]
	v_mov_b32_e32 v11, 0
	v_mov_b32_e32 v10, 0
	s_waitcnt lgkmcnt(0)
	s_barrier
	s_and_saveexec_b64 s[0:1], s[18:19]
	s_cbranch_execz .LBB69_450
; %bb.445:
	v_mul_u32_u24_e32 v31, 0x208, v20
	ds_read_b64 v[10:11], v15 offset:12512
	ds_read_b64 v[32:33], v31 offset:12480
	v_cmp_gt_u32_e64 s[14:15], 12, v17
	s_waitcnt lgkmcnt(0)
	v_mul_f32_e32 v34, v33, v11
	v_mul_f32_e32 v11, v32, v11
	v_fma_f32 v32, v32, v10, -v34
	v_fmac_f32_e32 v11, v33, v10
	v_add_f32_e32 v10, 0, v32
	v_add_f32_e32 v11, 0, v11
	s_and_saveexec_b64 s[16:17], s[14:15]
	s_cbranch_execnz .LBB69_1081
; %bb.446:
	s_or_b64 exec, exec, s[16:17]
	v_cmp_gt_u32_e64 s[14:15], 8, v17
	s_and_saveexec_b64 s[16:17], s[14:15]
	s_cbranch_execnz .LBB69_1082
.LBB69_447:
	s_or_b64 exec, exec, s[16:17]
	v_cmp_gt_u32_e64 s[14:15], 4, v17
	s_and_saveexec_b64 s[16:17], s[14:15]
	s_cbranch_execz .LBB69_449
.LBB69_448:
	v_lshlrev_b32_e32 v31, 3, v0
	v_mov_b32_e32 v33, 0
	ds_read_b64 v[31:32], v31 offset:14048
	ds_read_b64 v[33:34], v33 offset:12504
	s_waitcnt lgkmcnt(0)
	v_mul_f32_e32 v35, v34, v32
	v_mul_f32_e32 v32, v33, v32
	v_fma_f32 v33, v33, v31, -v35
	v_fmac_f32_e32 v32, v34, v31
	v_add_f32_e32 v10, v10, v33
	v_add_f32_e32 v11, v11, v32
.LBB69_449:
	s_or_b64 exec, exec, s[16:17]
	v_xor_b32_e32 v10, 0x80000000, v10
	v_xor_b32_e32 v11, 0x80000000, v11
.LBB69_450:
	s_or_b64 exec, exec, s[0:1]
	s_and_saveexec_b64 s[0:1], s[42:43]
; %bb.451:
	ds_write_b64 v18, v[10:11]
; %bb.452:
	s_or_b64 exec, exec, s[0:1]
	s_waitcnt lgkmcnt(0)
	s_barrier
	s_and_saveexec_b64 s[0:1], s[44:45]
	s_cbranch_execz .LBB69_454
; %bb.453:
	ds_read_b64 v[31:32], v16 offset:14560
	ds_read_b64 v[33:34], v18
	s_waitcnt lgkmcnt(0)
	v_mul_f32_e32 v35, v34, v32
	v_mul_f32_e32 v32, v33, v32
	v_fma_f32 v33, v33, v31, -v35
	v_fmac_f32_e32 v32, v34, v31
	v_add_f32_e32 v10, v10, v33
	v_add_f32_e32 v11, v11, v32
.LBB69_454:
	s_or_b64 exec, exec, s[0:1]
	s_barrier
	s_and_saveexec_b64 s[0:1], s[46:47]
; %bb.455:
	ds_write_b64 v18, v[10:11]
; %bb.456:
	s_or_b64 exec, exec, s[0:1]
	s_waitcnt lgkmcnt(0)
	s_barrier
	s_and_saveexec_b64 s[0:1], s[48:49]
	s_cbranch_execz .LBB69_458
; %bb.457:
	ds_read_b64 v[31:32], v16 offset:15072
	ds_read_b64 v[33:34], v18
	s_waitcnt lgkmcnt(0)
	v_mul_f32_e32 v35, v34, v32
	v_mul_f32_e32 v32, v33, v32
	v_fma_f32 v33, v33, v31, -v35
	v_fmac_f32_e32 v32, v34, v31
	v_add_f32_e32 v10, v10, v33
	v_add_f32_e32 v11, v11, v32
.LBB69_458:
	s_or_b64 exec, exec, s[0:1]
	s_barrier
	s_and_saveexec_b64 s[0:1], s[50:51]
; %bb.459:
	ds_write_b64 v18, v[10:11]
; %bb.460:
	s_or_b64 exec, exec, s[0:1]
	s_waitcnt lgkmcnt(0)
	s_barrier
	s_and_saveexec_b64 s[0:1], s[40:41]
	s_cbranch_execz .LBB69_462
; %bb.461:
	v_mov_b32_e32 v31, 0
	ds_read_b64 v[31:32], v31 offset:15608
	ds_read_b64 v[33:34], v18
	s_waitcnt lgkmcnt(0)
	v_mul_f32_e32 v35, v34, v32
	v_mul_f32_e32 v32, v33, v32
	v_fma_f32 v33, v33, v31, -v35
	v_fmac_f32_e32 v32, v34, v31
	v_add_f32_e32 v10, v10, v33
	v_add_f32_e32 v11, v11, v32
.LBB69_462:
	s_or_b64 exec, exec, s[0:1]
	s_barrier
	s_and_saveexec_b64 s[0:1], s[40:41]
; %bb.463:
	ds_write_b64 v18, v[10:11]
; %bb.464:
	s_or_b64 exec, exec, s[0:1]
	s_waitcnt lgkmcnt(0)
	s_barrier
	s_barrier
	s_and_saveexec_b64 s[0:1], s[18:19]
; %bb.465:
	v_xor_b32_e32 v10, 0x80000000, v10
	v_xor_b32_e32 v11, 0x80000000, v11
	ds_write_b64 v15, v[10:11] offset:12512
; %bb.466:
	s_or_b64 exec, exec, s[0:1]
	s_waitcnt lgkmcnt(0)
	s_barrier
	s_barrier
	s_and_saveexec_b64 s[0:1], s[52:53]
	s_cbranch_execz .LBB69_468
; %bb.467:
	v_lshlrev_b32_e32 v31, 9, v0
	ds_read_b64 v[10:11], v31 offset:12512
	s_movk_i32 s14, 0xfe08
	v_mad_i32_i24 v32, v0, s14, v31
	s_waitcnt lgkmcnt(0)
	ds_write_b64 v32, v[10:11] offset:14528
	ds_read_b64 v[10:11], v31 offset:12520
	s_waitcnt lgkmcnt(0)
	ds_write_b64 v32, v[10:11] offset:15040
	ds_read_b64 v[10:11], v31 offset:12528
	;; [unrolled: 3-line block ×3, first 2 shown]
	s_waitcnt lgkmcnt(0)
	ds_write_b64 v32, v[10:11] offset:16064
.LBB69_468:
	s_or_b64 exec, exec, s[0:1]
	s_waitcnt lgkmcnt(0)
	s_barrier
	s_and_saveexec_b64 s[0:1], vcc
	s_cbranch_execz .LBB69_470
; %bb.469:
	v_mov_b32_e32 v33, 0
	ds_read_b64 v[10:11], v33 offset:14568
	s_mov_b64 s[14:15], 0x3f800000
	v_mov_b32_e32 v32, s15
	v_mov_b32_e32 v31, s14
	s_movk_i32 s14, 0xe0
	ds_write_b64 v33, v[31:32] offset:15080
	v_add_u32_e64 v33, s14, 0
	s_waitcnt lgkmcnt(1)
	ds_write2st64_b64 v33, v[31:32], v[10:11] offset0:28 offset1:29
.LBB69_470:
	s_or_b64 exec, exec, s[0:1]
	v_mov_b32_e32 v11, 0
	v_mov_b32_e32 v10, 0
	s_waitcnt lgkmcnt(0)
	s_barrier
	s_and_saveexec_b64 s[0:1], s[2:3]
	s_cbranch_execz .LBB69_474
; %bb.471:
	v_mul_u32_u24_e32 v31, 0x208, v14
	ds_read_b64 v[10:11], v12 offset:14576
	ds_read_b64 v[31:32], v31 offset:14560
	v_cmp_gt_u32_e64 s[14:15], 2, v17
	s_waitcnt lgkmcnt(0)
	v_mul_f32_e32 v33, v32, v11
	v_mul_f32_e32 v11, v31, v11
	v_fma_f32 v31, v31, v10, -v33
	v_fmac_f32_e32 v11, v32, v10
	v_add_f32_e32 v10, 0, v31
	v_add_f32_e32 v11, 0, v11
	s_and_saveexec_b64 s[16:17], s[14:15]
	s_cbranch_execz .LBB69_473
; %bb.472:
	v_lshlrev_b32_e32 v31, 3, v0
	v_mov_b32_e32 v33, 0
	ds_read_b64 v[31:32], v31 offset:15088
	ds_read_b64 v[33:34], v33 offset:14568
	s_waitcnt lgkmcnt(0)
	v_mul_f32_e32 v35, v34, v32
	v_mul_f32_e32 v32, v33, v32
	v_fma_f32 v33, v33, v31, -v35
	v_fmac_f32_e32 v32, v34, v31
	v_add_f32_e32 v10, v10, v33
	v_add_f32_e32 v11, v11, v32
.LBB69_473:
	s_or_b64 exec, exec, s[16:17]
	v_xor_b32_e32 v10, 0x80000000, v10
	v_xor_b32_e32 v11, 0x80000000, v11
.LBB69_474:
	s_or_b64 exec, exec, s[0:1]
	s_and_saveexec_b64 s[0:1], s[36:37]
; %bb.475:
	ds_write_b64 v13, v[10:11]
; %bb.476:
	s_or_b64 exec, exec, s[0:1]
	s_waitcnt lgkmcnt(0)
	s_barrier
	s_and_saveexec_b64 s[0:1], s[34:35]
	s_cbranch_execz .LBB69_478
; %bb.477:
	v_mov_b32_e32 v31, 0
	ds_read_b64 v[31:32], v31 offset:15608
	ds_read_b64 v[33:34], v13
	s_waitcnt lgkmcnt(0)
	v_mul_f32_e32 v35, v34, v32
	v_mul_f32_e32 v32, v33, v32
	v_fma_f32 v33, v33, v31, -v35
	v_fmac_f32_e32 v32, v34, v31
	v_add_f32_e32 v10, v10, v33
	v_add_f32_e32 v11, v11, v32
.LBB69_478:
	s_or_b64 exec, exec, s[0:1]
	s_barrier
	s_and_saveexec_b64 s[0:1], s[34:35]
; %bb.479:
	ds_write_b64 v13, v[10:11]
; %bb.480:
	s_or_b64 exec, exec, s[0:1]
	s_waitcnt lgkmcnt(0)
	s_barrier
	s_barrier
	s_and_saveexec_b64 s[0:1], s[2:3]
; %bb.481:
	v_xor_b32_e32 v11, 0x80000000, v11
	v_xor_b32_e32 v10, 0x80000000, v10
	ds_write_b64 v12, v[10:11] offset:14576
; %bb.482:
	s_or_b64 exec, exec, s[0:1]
	s_waitcnt lgkmcnt(0)
	s_barrier
	s_barrier
	s_and_saveexec_b64 s[0:1], s[38:39]
	s_cbranch_execz .LBB69_484
; %bb.483:
	v_lshlrev_b32_e32 v31, 3, v0
	s_movk_i32 s14, 0x1f8
	v_mad_u32_u24 v32, v0, s14, v31
	ds_read_b64 v[10:11], v32 offset:14576
	s_waitcnt lgkmcnt(0)
	ds_write_b64 v31, v[10:11] offset:15584
	ds_read_b64 v[10:11], v32 offset:14584
	s_waitcnt lgkmcnt(0)
	ds_write_b64 v31, v[10:11] offset:16096
.LBB69_484:
	s_or_b64 exec, exec, s[0:1]
	s_waitcnt lgkmcnt(0)
	s_barrier
	s_and_saveexec_b64 s[0:1], vcc
	s_cbranch_execz .LBB69_486
; %bb.485:
	v_mov_b32_e32 v33, 0
	ds_read_b64 v[10:11], v33 offset:15608
	s_mov_b64 s[14:15], 0x3f800000
	v_mov_b32_e32 v32, s15
	v_mov_b32_e32 v31, s14
	s_movk_i32 s14, 0xf0
	ds_write_b64 v33, v[31:32] offset:16120
	v_add_u32_e64 v33, s14, 0
	s_waitcnt lgkmcnt(1)
	ds_write2st64_b64 v33, v[31:32], v[10:11] offset0:30 offset1:31
.LBB69_486:
	s_or_b64 exec, exec, s[0:1]
	s_movk_i32 s0, 0x3ff
	v_lshrrev_b32_e32 v33, 5, v17
	v_cmp_lt_u32_e64 s[16:17], s0, v17
	s_movk_i32 s0, 0x400
	v_mov_b32_e32 v11, 0
	v_and_b32_e32 v31, 31, v0
	v_cmp_gt_u32_e64 s[14:15], s0, v17
	v_lshlrev_b32_e32 v32, 9, v33
	v_mov_b32_e32 v10, v11
	s_waitcnt lgkmcnt(0)
	s_barrier
	s_and_saveexec_b64 s[0:1], s[14:15]
	s_cbranch_execz .LBB69_548
; %bb.487:
	v_lshlrev_b32_e32 v34, 3, v31
	v_add_u32_e32 v36, v34, v32
	v_mul_u32_u24_e32 v35, 0x208, v33
	ds_read_b64 v[10:11], v36 offset:256
	ds_read_b64 v[37:38], v35
	s_movk_i32 s20, 0x3e0
	v_cmp_gt_u32_e64 s[20:21], s20, v17
	s_waitcnt lgkmcnt(0)
	v_mul_f32_e32 v39, v38, v11
	v_mul_f32_e32 v11, v37, v11
	v_fma_f32 v37, v37, v10, -v39
	v_fmac_f32_e32 v11, v38, v10
	v_add_f32_e32 v10, 0, v37
	v_add_f32_e32 v11, 0, v11
	s_and_saveexec_b64 s[92:93], s[20:21]
	s_cbranch_execz .LBB69_489
; %bb.488:
	ds_read_b64 v[37:38], v36 offset:768
	ds_read_b64 v[39:40], v35 offset:8
	s_waitcnt lgkmcnt(0)
	v_mul_f32_e32 v41, v40, v38
	v_mul_f32_e32 v38, v39, v38
	v_fma_f32 v39, v39, v37, -v41
	v_fmac_f32_e32 v38, v40, v37
	v_add_f32_e32 v10, v10, v39
	v_add_f32_e32 v11, v11, v38
.LBB69_489:
	s_or_b64 exec, exec, s[92:93]
	s_movk_i32 s20, 0x3c0
	v_cmp_gt_u32_e64 s[20:21], s20, v17
	s_and_saveexec_b64 s[92:93], s[20:21]
	s_cbranch_execz .LBB69_491
; %bb.490:
	ds_read_b64 v[37:38], v36 offset:1280
	ds_read_b64 v[39:40], v35 offset:16
	s_waitcnt lgkmcnt(0)
	v_mul_f32_e32 v41, v40, v38
	v_mul_f32_e32 v38, v39, v38
	v_fma_f32 v39, v39, v37, -v41
	v_fmac_f32_e32 v38, v40, v37
	v_add_f32_e32 v10, v10, v39
	v_add_f32_e32 v11, v11, v38
.LBB69_491:
	s_or_b64 exec, exec, s[92:93]
	s_movk_i32 s20, 0x3a0
	v_cmp_gt_u32_e64 s[20:21], s20, v17
	;; [unrolled: 16-line block ×28, first 2 shown]
	s_and_saveexec_b64 s[92:93], s[20:21]
	s_cbranch_execnz .LBB69_1083
; %bb.544:
	s_or_b64 exec, exec, s[92:93]
	v_cmp_gt_u32_e64 s[20:21], 64, v17
	s_and_saveexec_b64 s[92:93], s[20:21]
	s_cbranch_execnz .LBB69_1084
.LBB69_545:
	s_or_b64 exec, exec, s[92:93]
	v_cmp_gt_u32_e64 s[20:21], 32, v17
	s_and_saveexec_b64 s[92:93], s[20:21]
	s_cbranch_execz .LBB69_547
.LBB69_546:
	ds_read_b64 v[36:37], v34 offset:16128
	ds_read_b64 v[34:35], v35 offset:248
	s_waitcnt lgkmcnt(0)
	v_mul_f32_e32 v38, v35, v37
	v_mul_f32_e32 v37, v34, v37
	v_fma_f32 v34, v34, v36, -v38
	v_fmac_f32_e32 v37, v35, v36
	v_add_f32_e32 v10, v10, v34
	v_add_f32_e32 v11, v11, v37
.LBB69_547:
	s_or_b64 exec, exec, s[92:93]
	v_xor_b32_e32 v10, 0x80000000, v10
	v_xor_b32_e32 v11, 0x80000000, v11
.LBB69_548:
	s_or_b64 exec, exec, s[0:1]
	v_mov_b32_e32 v34, 0x8000
	v_lshl_or_b32 v33, v33, 3, v34
	v_mov_b32_e32 v34, 0x4100
	v_lshl_or_b32 v34, v31, 3, v34
	s_mov_b32 s20, 0
	s_xor_b64 s[0:1], s[16:17], -1
	v_mov_b32_e32 v35, v31
	s_branch .LBB69_550
.LBB69_549:                             ;   in Loop: Header=BB69_550 Depth=1
	s_or_b64 exec, exec, s[16:17]
	s_add_i32 s20, s20, 2
	v_add_u32_e32 v34, 0x400, v34
	s_cmp_eq_u32 s20, 32
	v_add_u32_e32 v35, -2, v35
	s_barrier
	s_cbranch_scc1 .LBB69_558
.LBB69_550:                             ; =>This Inner Loop Header: Depth=1
	v_cmp_eq_u32_e64 s[16:17], 0, v35
	s_and_b64 s[92:93], s[0:1], s[16:17]
	s_and_saveexec_b64 s[16:17], s[92:93]
; %bb.551:                              ;   in Loop: Header=BB69_550 Depth=1
	ds_write_b64 v33, v[10:11]
; %bb.552:                              ;   in Loop: Header=BB69_550 Depth=1
	s_or_b64 exec, exec, s[16:17]
	v_cmp_lt_u32_e64 s[16:17], s20, v31
	s_and_b64 s[92:93], s[0:1], s[16:17]
	s_waitcnt lgkmcnt(0)
	s_barrier
	s_and_saveexec_b64 s[16:17], s[92:93]
	s_cbranch_execz .LBB69_554
; %bb.553:                              ;   in Loop: Header=BB69_550 Depth=1
	ds_read_b64 v[36:37], v34
	ds_read_b64 v[38:39], v33
	s_waitcnt lgkmcnt(0)
	v_mul_f32_e32 v40, v39, v37
	v_mul_f32_e32 v37, v38, v37
	v_fma_f32 v38, v38, v36, -v40
	v_fmac_f32_e32 v37, v39, v36
	v_add_f32_e32 v10, v10, v38
	v_add_f32_e32 v11, v11, v37
.LBB69_554:                             ;   in Loop: Header=BB69_550 Depth=1
	s_or_b64 exec, exec, s[16:17]
	s_or_b32 s21, s20, 1
	v_cmp_eq_u32_e64 s[16:17], s21, v31
	s_and_b64 s[92:93], s[0:1], s[16:17]
	s_barrier
	s_and_saveexec_b64 s[16:17], s[92:93]
; %bb.555:                              ;   in Loop: Header=BB69_550 Depth=1
	ds_write_b64 v33, v[10:11]
; %bb.556:                              ;   in Loop: Header=BB69_550 Depth=1
	s_or_b64 exec, exec, s[16:17]
	v_cmp_lt_u32_e64 s[16:17], s21, v31
	s_and_b64 s[92:93], s[0:1], s[16:17]
	s_waitcnt lgkmcnt(0)
	s_barrier
	s_and_saveexec_b64 s[16:17], s[92:93]
	s_cbranch_execz .LBB69_549
; %bb.557:                              ;   in Loop: Header=BB69_550 Depth=1
	ds_read_b64 v[36:37], v34 offset:512
	ds_read_b64 v[38:39], v33
	s_waitcnt lgkmcnt(0)
	v_mul_f32_e32 v40, v39, v37
	v_mul_f32_e32 v37, v38, v37
	v_fma_f32 v38, v38, v36, -v40
	v_fmac_f32_e32 v37, v39, v36
	v_add_f32_e32 v10, v10, v38
	v_add_f32_e32 v11, v11, v37
	s_branch .LBB69_549
.LBB69_558:
	s_and_saveexec_b64 s[0:1], s[14:15]
; %bb.559:
	v_lshl_add_u32 v31, v31, 3, v32
	v_xor_b32_e32 v11, 0x80000000, v11
	v_xor_b32_e32 v10, 0x80000000, v10
	ds_write_b64 v31, v[10:11] offset:256
; %bb.560:
	s_or_b64 exec, exec, s[0:1]
	v_cmp_gt_u32_e64 s[14:15], 32, v0
	s_and_b64 s[12:13], s[12:13], s[14:15]
	s_waitcnt lgkmcnt(0)
	s_barrier
	s_barrier
	s_and_saveexec_b64 s[0:1], s[12:13]
	s_cbranch_execz .LBB69_562
; %bb.561:
	v_lshlrev_b32_e32 v31, 9, v0
	ds_read_b64 v[10:11], v31 offset:256
	s_movk_i32 s12, 0xfe08
	v_mad_i32_i24 v32, v0, s12, v31
	s_waitcnt lgkmcnt(0)
	ds_write_b64 v32, v[10:11] offset:16384
	ds_read_b64 v[10:11], v31 offset:264
	s_waitcnt lgkmcnt(0)
	ds_write_b64 v32, v[10:11] offset:16896
	ds_read_b64 v[10:11], v31 offset:272
	;; [unrolled: 3-line block ×31, first 2 shown]
	s_waitcnt lgkmcnt(0)
	ds_write_b64 v32, v[10:11] offset:32256
.LBB69_562:
	s_or_b64 exec, exec, s[0:1]
	s_waitcnt lgkmcnt(0)
	s_barrier
	s_and_saveexec_b64 s[0:1], vcc
	s_cbranch_execz .LBB69_564
; %bb.563:
	v_mov_b32_e32 v33, 0
	ds_read_b64 v[10:11], v33 offset:16648
	s_mov_b64 s[12:13], 0x3f800000
	v_mov_b32_e32 v32, s13
	v_mov_b32_e32 v31, s12
	s_movk_i32 s12, 0x100
	ds_write_b64 v33, v[31:32] offset:17160
	v_add_u32_e64 v33, s12, 0
	s_waitcnt lgkmcnt(1)
	ds_write2st64_b64 v33, v[31:32], v[10:11] offset0:32 offset1:33
.LBB69_564:
	s_or_b64 exec, exec, s[0:1]
	v_mov_b32_e32 v11, 0
	v_mov_b32_e32 v10, 0
	s_waitcnt lgkmcnt(0)
	s_barrier
	s_and_saveexec_b64 s[0:1], s[2:3]
	s_cbranch_execz .LBB69_568
; %bb.565:
	v_mul_u32_u24_e32 v31, 0x208, v14
	ds_read_b64 v[10:11], v12 offset:16656
	ds_read_b64 v[31:32], v31 offset:16640
	v_cmp_gt_u32_e64 s[12:13], 2, v17
	s_waitcnt lgkmcnt(0)
	v_mul_f32_e32 v33, v32, v11
	v_mul_f32_e32 v11, v31, v11
	v_fma_f32 v31, v31, v10, -v33
	v_fmac_f32_e32 v11, v32, v10
	v_add_f32_e32 v10, 0, v31
	v_add_f32_e32 v11, 0, v11
	s_and_saveexec_b64 s[14:15], s[12:13]
	s_cbranch_execz .LBB69_567
; %bb.566:
	v_lshlrev_b32_e32 v31, 3, v0
	v_mov_b32_e32 v33, 0
	ds_read_b64 v[31:32], v31 offset:17168
	ds_read_b64 v[33:34], v33 offset:16648
	s_waitcnt lgkmcnt(0)
	v_mul_f32_e32 v35, v34, v32
	v_mul_f32_e32 v32, v33, v32
	v_fma_f32 v33, v33, v31, -v35
	v_fmac_f32_e32 v32, v34, v31
	v_add_f32_e32 v10, v10, v33
	v_add_f32_e32 v11, v11, v32
.LBB69_567:
	s_or_b64 exec, exec, s[14:15]
	v_xor_b32_e32 v10, 0x80000000, v10
	v_xor_b32_e32 v11, 0x80000000, v11
.LBB69_568:
	s_or_b64 exec, exec, s[0:1]
	s_and_saveexec_b64 s[0:1], s[36:37]
; %bb.569:
	ds_write_b64 v13, v[10:11]
; %bb.570:
	s_or_b64 exec, exec, s[0:1]
	s_waitcnt lgkmcnt(0)
	s_barrier
	s_and_saveexec_b64 s[0:1], s[34:35]
	s_cbranch_execz .LBB69_572
; %bb.571:
	v_mov_b32_e32 v31, 0
	ds_read_b64 v[31:32], v31 offset:17688
	ds_read_b64 v[33:34], v13
	s_waitcnt lgkmcnt(0)
	v_mul_f32_e32 v35, v34, v32
	v_mul_f32_e32 v32, v33, v32
	v_fma_f32 v33, v33, v31, -v35
	v_fmac_f32_e32 v32, v34, v31
	v_add_f32_e32 v10, v10, v33
	v_add_f32_e32 v11, v11, v32
.LBB69_572:
	s_or_b64 exec, exec, s[0:1]
	s_barrier
	s_and_saveexec_b64 s[0:1], s[34:35]
; %bb.573:
	ds_write_b64 v13, v[10:11]
; %bb.574:
	s_or_b64 exec, exec, s[0:1]
	s_waitcnt lgkmcnt(0)
	s_barrier
	s_barrier
	s_and_saveexec_b64 s[0:1], s[2:3]
; %bb.575:
	v_xor_b32_e32 v11, 0x80000000, v11
	v_xor_b32_e32 v10, 0x80000000, v10
	ds_write_b64 v12, v[10:11] offset:16656
; %bb.576:
	s_or_b64 exec, exec, s[0:1]
	s_waitcnt lgkmcnt(0)
	s_barrier
	s_barrier
	s_and_saveexec_b64 s[0:1], s[38:39]
	s_cbranch_execz .LBB69_578
; %bb.577:
	v_lshlrev_b32_e32 v31, 3, v0
	s_movk_i32 s12, 0x1f8
	v_mad_u32_u24 v32, v0, s12, v31
	ds_read_b64 v[10:11], v32 offset:16656
	s_waitcnt lgkmcnt(0)
	ds_write_b64 v31, v[10:11] offset:17664
	ds_read_b64 v[10:11], v32 offset:16664
	s_waitcnt lgkmcnt(0)
	ds_write_b64 v31, v[10:11] offset:18176
.LBB69_578:
	s_or_b64 exec, exec, s[0:1]
	s_waitcnt lgkmcnt(0)
	s_barrier
	s_and_saveexec_b64 s[0:1], vcc
	s_cbranch_execz .LBB69_580
; %bb.579:
	v_mov_b32_e32 v33, 0
	ds_read_b64 v[10:11], v33 offset:17688
	s_mov_b64 s[12:13], 0x3f800000
	v_mov_b32_e32 v32, s13
	v_mov_b32_e32 v31, s12
	s_movk_i32 s12, 0x110
	ds_write_b64 v33, v[31:32] offset:18200
	v_add_u32_e64 v33, s12, 0
	s_waitcnt lgkmcnt(1)
	ds_write2st64_b64 v33, v[31:32], v[10:11] offset0:34 offset1:35
.LBB69_580:
	s_or_b64 exec, exec, s[0:1]
	v_mov_b32_e32 v11, 0
	v_mov_b32_e32 v10, 0
	s_waitcnt lgkmcnt(0)
	s_barrier
	s_and_saveexec_b64 s[0:1], s[18:19]
	s_cbranch_execz .LBB69_586
; %bb.581:
	v_mul_u32_u24_e32 v31, 0x208, v20
	ds_read_b64 v[10:11], v15 offset:16672
	ds_read_b64 v[32:33], v31 offset:16640
	v_cmp_gt_u32_e64 s[12:13], 12, v17
	s_waitcnt lgkmcnt(0)
	v_mul_f32_e32 v34, v33, v11
	v_mul_f32_e32 v11, v32, v11
	v_fma_f32 v32, v32, v10, -v34
	v_fmac_f32_e32 v11, v33, v10
	v_add_f32_e32 v10, 0, v32
	v_add_f32_e32 v11, 0, v11
	s_and_saveexec_b64 s[14:15], s[12:13]
	s_cbranch_execnz .LBB69_1085
; %bb.582:
	s_or_b64 exec, exec, s[14:15]
	v_cmp_gt_u32_e64 s[12:13], 8, v17
	s_and_saveexec_b64 s[14:15], s[12:13]
	s_cbranch_execnz .LBB69_1086
.LBB69_583:
	s_or_b64 exec, exec, s[14:15]
	v_cmp_gt_u32_e64 s[12:13], 4, v17
	s_and_saveexec_b64 s[14:15], s[12:13]
	s_cbranch_execz .LBB69_585
.LBB69_584:
	v_lshlrev_b32_e32 v31, 3, v0
	v_mov_b32_e32 v33, 0
	ds_read_b64 v[31:32], v31 offset:18208
	ds_read_b64 v[33:34], v33 offset:16664
	s_waitcnt lgkmcnt(0)
	v_mul_f32_e32 v35, v34, v32
	v_mul_f32_e32 v32, v33, v32
	v_fma_f32 v33, v33, v31, -v35
	v_fmac_f32_e32 v32, v34, v31
	v_add_f32_e32 v10, v10, v33
	v_add_f32_e32 v11, v11, v32
.LBB69_585:
	s_or_b64 exec, exec, s[14:15]
	v_xor_b32_e32 v10, 0x80000000, v10
	v_xor_b32_e32 v11, 0x80000000, v11
.LBB69_586:
	s_or_b64 exec, exec, s[0:1]
	s_and_saveexec_b64 s[0:1], s[42:43]
; %bb.587:
	ds_write_b64 v18, v[10:11]
; %bb.588:
	s_or_b64 exec, exec, s[0:1]
	s_waitcnt lgkmcnt(0)
	s_barrier
	s_and_saveexec_b64 s[0:1], s[44:45]
	s_cbranch_execz .LBB69_590
; %bb.589:
	ds_read_b64 v[31:32], v16 offset:18720
	ds_read_b64 v[33:34], v18
	s_waitcnt lgkmcnt(0)
	v_mul_f32_e32 v35, v34, v32
	v_mul_f32_e32 v32, v33, v32
	v_fma_f32 v33, v33, v31, -v35
	v_fmac_f32_e32 v32, v34, v31
	v_add_f32_e32 v10, v10, v33
	v_add_f32_e32 v11, v11, v32
.LBB69_590:
	s_or_b64 exec, exec, s[0:1]
	s_barrier
	s_and_saveexec_b64 s[0:1], s[46:47]
; %bb.591:
	ds_write_b64 v18, v[10:11]
; %bb.592:
	s_or_b64 exec, exec, s[0:1]
	s_waitcnt lgkmcnt(0)
	s_barrier
	s_and_saveexec_b64 s[0:1], s[48:49]
	s_cbranch_execz .LBB69_594
; %bb.593:
	ds_read_b64 v[31:32], v16 offset:19232
	ds_read_b64 v[33:34], v18
	s_waitcnt lgkmcnt(0)
	v_mul_f32_e32 v35, v34, v32
	v_mul_f32_e32 v32, v33, v32
	v_fma_f32 v33, v33, v31, -v35
	v_fmac_f32_e32 v32, v34, v31
	v_add_f32_e32 v10, v10, v33
	v_add_f32_e32 v11, v11, v32
.LBB69_594:
	s_or_b64 exec, exec, s[0:1]
	s_barrier
	s_and_saveexec_b64 s[0:1], s[50:51]
; %bb.595:
	ds_write_b64 v18, v[10:11]
; %bb.596:
	s_or_b64 exec, exec, s[0:1]
	s_waitcnt lgkmcnt(0)
	s_barrier
	s_and_saveexec_b64 s[0:1], s[40:41]
	s_cbranch_execz .LBB69_598
; %bb.597:
	v_mov_b32_e32 v31, 0
	ds_read_b64 v[31:32], v31 offset:19768
	ds_read_b64 v[33:34], v18
	s_waitcnt lgkmcnt(0)
	v_mul_f32_e32 v35, v34, v32
	v_mul_f32_e32 v32, v33, v32
	v_fma_f32 v33, v33, v31, -v35
	v_fmac_f32_e32 v32, v34, v31
	v_add_f32_e32 v10, v10, v33
	v_add_f32_e32 v11, v11, v32
.LBB69_598:
	s_or_b64 exec, exec, s[0:1]
	s_barrier
	s_and_saveexec_b64 s[0:1], s[40:41]
; %bb.599:
	ds_write_b64 v18, v[10:11]
; %bb.600:
	s_or_b64 exec, exec, s[0:1]
	s_waitcnt lgkmcnt(0)
	s_barrier
	s_barrier
	s_and_saveexec_b64 s[0:1], s[18:19]
; %bb.601:
	v_xor_b32_e32 v10, 0x80000000, v10
	v_xor_b32_e32 v11, 0x80000000, v11
	ds_write_b64 v15, v[10:11] offset:16672
; %bb.602:
	s_or_b64 exec, exec, s[0:1]
	s_waitcnt lgkmcnt(0)
	s_barrier
	s_barrier
	s_and_saveexec_b64 s[0:1], s[52:53]
	s_cbranch_execz .LBB69_604
; %bb.603:
	v_lshlrev_b32_e32 v31, 9, v0
	ds_read_b64 v[10:11], v31 offset:16672
	s_movk_i32 s12, 0xfe08
	v_mad_i32_i24 v32, v0, s12, v31
	s_waitcnt lgkmcnt(0)
	ds_write_b64 v32, v[10:11] offset:18688
	ds_read_b64 v[10:11], v31 offset:16680
	s_waitcnt lgkmcnt(0)
	ds_write_b64 v32, v[10:11] offset:19200
	ds_read_b64 v[10:11], v31 offset:16688
	;; [unrolled: 3-line block ×3, first 2 shown]
	s_waitcnt lgkmcnt(0)
	ds_write_b64 v32, v[10:11] offset:20224
.LBB69_604:
	s_or_b64 exec, exec, s[0:1]
	s_waitcnt lgkmcnt(0)
	s_barrier
	s_and_saveexec_b64 s[0:1], vcc
	s_cbranch_execz .LBB69_606
; %bb.605:
	v_mov_b32_e32 v33, 0
	ds_read_b64 v[10:11], v33 offset:18728
	s_mov_b64 s[12:13], 0x3f800000
	v_mov_b32_e32 v32, s13
	v_mov_b32_e32 v31, s12
	s_movk_i32 s12, 0x120
	ds_write_b64 v33, v[31:32] offset:19240
	v_add_u32_e64 v33, s12, 0
	s_waitcnt lgkmcnt(1)
	ds_write2st64_b64 v33, v[31:32], v[10:11] offset0:36 offset1:37
.LBB69_606:
	s_or_b64 exec, exec, s[0:1]
	v_mov_b32_e32 v11, 0
	v_mov_b32_e32 v10, 0
	s_waitcnt lgkmcnt(0)
	s_barrier
	s_and_saveexec_b64 s[0:1], s[2:3]
	s_cbranch_execz .LBB69_610
; %bb.607:
	v_mul_u32_u24_e32 v31, 0x208, v14
	ds_read_b64 v[10:11], v12 offset:18736
	ds_read_b64 v[31:32], v31 offset:18720
	v_cmp_gt_u32_e64 s[12:13], 2, v17
	s_waitcnt lgkmcnt(0)
	v_mul_f32_e32 v33, v32, v11
	v_mul_f32_e32 v11, v31, v11
	v_fma_f32 v31, v31, v10, -v33
	v_fmac_f32_e32 v11, v32, v10
	v_add_f32_e32 v10, 0, v31
	v_add_f32_e32 v11, 0, v11
	s_and_saveexec_b64 s[14:15], s[12:13]
	s_cbranch_execz .LBB69_609
; %bb.608:
	v_lshlrev_b32_e32 v31, 3, v0
	v_mov_b32_e32 v33, 0
	ds_read_b64 v[31:32], v31 offset:19248
	ds_read_b64 v[33:34], v33 offset:18728
	s_waitcnt lgkmcnt(0)
	v_mul_f32_e32 v35, v34, v32
	v_mul_f32_e32 v32, v33, v32
	v_fma_f32 v33, v33, v31, -v35
	v_fmac_f32_e32 v32, v34, v31
	v_add_f32_e32 v10, v10, v33
	v_add_f32_e32 v11, v11, v32
.LBB69_609:
	s_or_b64 exec, exec, s[14:15]
	v_xor_b32_e32 v10, 0x80000000, v10
	v_xor_b32_e32 v11, 0x80000000, v11
.LBB69_610:
	s_or_b64 exec, exec, s[0:1]
	s_and_saveexec_b64 s[0:1], s[36:37]
; %bb.611:
	ds_write_b64 v13, v[10:11]
; %bb.612:
	s_or_b64 exec, exec, s[0:1]
	s_waitcnt lgkmcnt(0)
	s_barrier
	s_and_saveexec_b64 s[0:1], s[34:35]
	s_cbranch_execz .LBB69_614
; %bb.613:
	v_mov_b32_e32 v31, 0
	ds_read_b64 v[31:32], v31 offset:19768
	ds_read_b64 v[33:34], v13
	s_waitcnt lgkmcnt(0)
	v_mul_f32_e32 v35, v34, v32
	v_mul_f32_e32 v32, v33, v32
	v_fma_f32 v33, v33, v31, -v35
	v_fmac_f32_e32 v32, v34, v31
	v_add_f32_e32 v10, v10, v33
	v_add_f32_e32 v11, v11, v32
.LBB69_614:
	s_or_b64 exec, exec, s[0:1]
	s_barrier
	s_and_saveexec_b64 s[0:1], s[34:35]
; %bb.615:
	ds_write_b64 v13, v[10:11]
; %bb.616:
	s_or_b64 exec, exec, s[0:1]
	s_waitcnt lgkmcnt(0)
	s_barrier
	s_barrier
	s_and_saveexec_b64 s[0:1], s[2:3]
; %bb.617:
	v_xor_b32_e32 v11, 0x80000000, v11
	v_xor_b32_e32 v10, 0x80000000, v10
	ds_write_b64 v12, v[10:11] offset:18736
; %bb.618:
	s_or_b64 exec, exec, s[0:1]
	s_waitcnt lgkmcnt(0)
	s_barrier
	s_barrier
	s_and_saveexec_b64 s[0:1], s[38:39]
	s_cbranch_execz .LBB69_620
; %bb.619:
	v_lshlrev_b32_e32 v31, 3, v0
	s_movk_i32 s12, 0x1f8
	v_mad_u32_u24 v32, v0, s12, v31
	ds_read_b64 v[10:11], v32 offset:18736
	s_waitcnt lgkmcnt(0)
	ds_write_b64 v31, v[10:11] offset:19744
	ds_read_b64 v[10:11], v32 offset:18744
	s_waitcnt lgkmcnt(0)
	ds_write_b64 v31, v[10:11] offset:20256
.LBB69_620:
	s_or_b64 exec, exec, s[0:1]
	s_waitcnt lgkmcnt(0)
	s_barrier
	s_and_saveexec_b64 s[0:1], vcc
	s_cbranch_execz .LBB69_622
; %bb.621:
	v_mov_b32_e32 v33, 0
	ds_read_b64 v[10:11], v33 offset:19768
	s_mov_b64 s[12:13], 0x3f800000
	v_mov_b32_e32 v32, s13
	v_mov_b32_e32 v31, s12
	s_movk_i32 s12, 0x130
	ds_write_b64 v33, v[31:32] offset:20280
	v_add_u32_e64 v33, s12, 0
	s_waitcnt lgkmcnt(1)
	ds_write2st64_b64 v33, v[31:32], v[10:11] offset0:38 offset1:39
.LBB69_622:
	s_or_b64 exec, exec, s[0:1]
	v_mov_b32_e32 v11, 0
	v_mov_b32_e32 v10, 0
	s_waitcnt lgkmcnt(0)
	s_barrier
	s_and_saveexec_b64 s[0:1], s[8:9]
	s_cbranch_execz .LBB69_632
; %bb.623:
	v_mul_u32_u24_e32 v31, 0x208, v25
	ds_read_b64 v[10:11], v21 offset:16704
	ds_read_b64 v[32:33], v31 offset:16640
	v_cmp_gt_u32_e64 s[12:13], 56, v17
	s_waitcnt lgkmcnt(0)
	v_mul_f32_e32 v34, v33, v11
	v_mul_f32_e32 v11, v32, v11
	v_fma_f32 v32, v32, v10, -v34
	v_fmac_f32_e32 v11, v33, v10
	v_add_f32_e32 v10, 0, v32
	v_add_f32_e32 v11, 0, v11
	s_and_saveexec_b64 s[14:15], s[12:13]
	s_cbranch_execnz .LBB69_1087
; %bb.624:
	s_or_b64 exec, exec, s[14:15]
	v_cmp_gt_u32_e64 s[12:13], 48, v17
	s_and_saveexec_b64 s[14:15], s[12:13]
	s_cbranch_execnz .LBB69_1088
.LBB69_625:
	s_or_b64 exec, exec, s[14:15]
	v_cmp_gt_u32_e64 s[12:13], 40, v17
	s_and_saveexec_b64 s[14:15], s[12:13]
	s_cbranch_execnz .LBB69_1089
.LBB69_626:
	s_or_b64 exec, exec, s[14:15]
	v_cmp_gt_u32_e64 s[12:13], 32, v17
	s_and_saveexec_b64 s[14:15], s[12:13]
	s_cbranch_execnz .LBB69_1090
.LBB69_627:
	s_or_b64 exec, exec, s[14:15]
	v_cmp_gt_u32_e64 s[12:13], 24, v17
	s_and_saveexec_b64 s[14:15], s[12:13]
	s_cbranch_execnz .LBB69_1091
.LBB69_628:
	s_or_b64 exec, exec, s[14:15]
	v_cmp_gt_u32_e64 s[12:13], 16, v17
	s_and_saveexec_b64 s[14:15], s[12:13]
	s_cbranch_execnz .LBB69_1092
.LBB69_629:
	s_or_b64 exec, exec, s[14:15]
	v_cmp_gt_u32_e64 s[12:13], 8, v17
	s_and_saveexec_b64 s[14:15], s[12:13]
	s_cbranch_execz .LBB69_631
.LBB69_630:
	v_lshlrev_b32_e32 v31, 3, v0
	v_mov_b32_e32 v33, 0
	ds_read_b64 v[31:32], v31 offset:20288
	ds_read_b64 v[33:34], v33 offset:16696
	s_waitcnt lgkmcnt(0)
	v_mul_f32_e32 v35, v34, v32
	v_mul_f32_e32 v32, v33, v32
	v_fma_f32 v33, v33, v31, -v35
	v_fmac_f32_e32 v32, v34, v31
	v_add_f32_e32 v10, v10, v33
	v_add_f32_e32 v11, v11, v32
.LBB69_631:
	s_or_b64 exec, exec, s[14:15]
	v_xor_b32_e32 v10, 0x80000000, v10
	v_xor_b32_e32 v11, 0x80000000, v11
.LBB69_632:
	s_or_b64 exec, exec, s[0:1]
	s_and_saveexec_b64 s[0:1], s[56:57]
; %bb.633:
	ds_write_b64 v23, v[10:11]
; %bb.634:
	s_or_b64 exec, exec, s[0:1]
	s_waitcnt lgkmcnt(0)
	s_barrier
	s_and_saveexec_b64 s[0:1], s[58:59]
	s_cbranch_execz .LBB69_636
; %bb.635:
	ds_read_b64 v[31:32], v22 offset:20800
	ds_read_b64 v[33:34], v23
	s_waitcnt lgkmcnt(0)
	v_mul_f32_e32 v35, v34, v32
	v_mul_f32_e32 v32, v33, v32
	v_fma_f32 v33, v33, v31, -v35
	v_fmac_f32_e32 v32, v34, v31
	v_add_f32_e32 v10, v10, v33
	v_add_f32_e32 v11, v11, v32
.LBB69_636:
	s_or_b64 exec, exec, s[0:1]
	s_barrier
	s_and_saveexec_b64 s[0:1], s[60:61]
; %bb.637:
	ds_write_b64 v23, v[10:11]
; %bb.638:
	s_or_b64 exec, exec, s[0:1]
	s_waitcnt lgkmcnt(0)
	s_barrier
	s_and_saveexec_b64 s[0:1], s[62:63]
	s_cbranch_execz .LBB69_640
; %bb.639:
	ds_read_b64 v[31:32], v22 offset:21312
	ds_read_b64 v[33:34], v23
	s_waitcnt lgkmcnt(0)
	v_mul_f32_e32 v35, v34, v32
	v_mul_f32_e32 v32, v33, v32
	v_fma_f32 v33, v33, v31, -v35
	v_fmac_f32_e32 v32, v34, v31
	v_add_f32_e32 v10, v10, v33
	v_add_f32_e32 v11, v11, v32
.LBB69_640:
	s_or_b64 exec, exec, s[0:1]
	s_barrier
	;; [unrolled: 22-line block ×6, first 2 shown]
	s_and_saveexec_b64 s[0:1], s[80:81]
; %bb.657:
	ds_write_b64 v23, v[10:11]
; %bb.658:
	s_or_b64 exec, exec, s[0:1]
	s_waitcnt lgkmcnt(0)
	s_barrier
	s_and_saveexec_b64 s[0:1], s[54:55]
	s_cbranch_execz .LBB69_660
; %bb.659:
	v_mov_b32_e32 v31, 0
	ds_read_b64 v[31:32], v31 offset:23928
	ds_read_b64 v[33:34], v23
	s_waitcnt lgkmcnt(0)
	v_mul_f32_e32 v35, v34, v32
	v_mul_f32_e32 v32, v33, v32
	v_fma_f32 v33, v33, v31, -v35
	v_fmac_f32_e32 v32, v34, v31
	v_add_f32_e32 v10, v10, v33
	v_add_f32_e32 v11, v11, v32
.LBB69_660:
	s_or_b64 exec, exec, s[0:1]
	s_barrier
	s_and_saveexec_b64 s[0:1], s[54:55]
; %bb.661:
	ds_write_b64 v23, v[10:11]
; %bb.662:
	s_or_b64 exec, exec, s[0:1]
	s_waitcnt lgkmcnt(0)
	s_barrier
	s_barrier
	s_and_saveexec_b64 s[0:1], s[8:9]
; %bb.663:
	v_xor_b32_e32 v11, 0x80000000, v11
	v_xor_b32_e32 v10, 0x80000000, v10
	ds_write_b64 v21, v[10:11] offset:16704
; %bb.664:
	s_or_b64 exec, exec, s[0:1]
	s_waitcnt lgkmcnt(0)
	s_barrier
	s_barrier
	s_and_saveexec_b64 s[0:1], s[82:83]
	s_cbranch_execz .LBB69_666
; %bb.665:
	v_lshlrev_b32_e32 v31, 9, v0
	ds_read_b64 v[10:11], v31 offset:16704
	s_movk_i32 s12, 0xfe08
	v_mad_i32_i24 v32, v0, s12, v31
	s_waitcnt lgkmcnt(0)
	ds_write_b64 v32, v[10:11] offset:20736
	ds_read_b64 v[10:11], v31 offset:16712
	s_waitcnt lgkmcnt(0)
	ds_write_b64 v32, v[10:11] offset:21248
	ds_read_b64 v[10:11], v31 offset:16720
	;; [unrolled: 3-line block ×7, first 2 shown]
	s_waitcnt lgkmcnt(0)
	ds_write_b64 v32, v[10:11] offset:24320
.LBB69_666:
	s_or_b64 exec, exec, s[0:1]
	s_waitcnt lgkmcnt(0)
	s_barrier
	s_and_saveexec_b64 s[0:1], vcc
	s_cbranch_execz .LBB69_668
; %bb.667:
	v_mov_b32_e32 v33, 0
	ds_read_b64 v[10:11], v33 offset:20808
	s_mov_b64 s[12:13], 0x3f800000
	v_mov_b32_e32 v32, s13
	v_mov_b32_e32 v31, s12
	s_movk_i32 s12, 0x140
	ds_write_b64 v33, v[31:32] offset:21320
	v_add_u32_e64 v33, s12, 0
	s_waitcnt lgkmcnt(1)
	ds_write2st64_b64 v33, v[31:32], v[10:11] offset0:40 offset1:41
.LBB69_668:
	s_or_b64 exec, exec, s[0:1]
	v_mov_b32_e32 v11, 0
	v_mov_b32_e32 v10, 0
	s_waitcnt lgkmcnt(0)
	s_barrier
	s_and_saveexec_b64 s[0:1], s[2:3]
	s_cbranch_execz .LBB69_672
; %bb.669:
	v_mul_u32_u24_e32 v31, 0x208, v14
	ds_read_b64 v[10:11], v12 offset:20816
	ds_read_b64 v[31:32], v31 offset:20800
	v_cmp_gt_u32_e64 s[12:13], 2, v17
	s_waitcnt lgkmcnt(0)
	v_mul_f32_e32 v33, v32, v11
	v_mul_f32_e32 v11, v31, v11
	v_fma_f32 v31, v31, v10, -v33
	v_fmac_f32_e32 v11, v32, v10
	v_add_f32_e32 v10, 0, v31
	v_add_f32_e32 v11, 0, v11
	s_and_saveexec_b64 s[14:15], s[12:13]
	s_cbranch_execz .LBB69_671
; %bb.670:
	v_lshlrev_b32_e32 v31, 3, v0
	v_mov_b32_e32 v33, 0
	ds_read_b64 v[31:32], v31 offset:21328
	ds_read_b64 v[33:34], v33 offset:20808
	s_waitcnt lgkmcnt(0)
	v_mul_f32_e32 v35, v34, v32
	v_mul_f32_e32 v32, v33, v32
	v_fma_f32 v33, v33, v31, -v35
	v_fmac_f32_e32 v32, v34, v31
	v_add_f32_e32 v10, v10, v33
	v_add_f32_e32 v11, v11, v32
.LBB69_671:
	s_or_b64 exec, exec, s[14:15]
	v_xor_b32_e32 v10, 0x80000000, v10
	v_xor_b32_e32 v11, 0x80000000, v11
.LBB69_672:
	s_or_b64 exec, exec, s[0:1]
	s_and_saveexec_b64 s[0:1], s[36:37]
; %bb.673:
	ds_write_b64 v13, v[10:11]
; %bb.674:
	s_or_b64 exec, exec, s[0:1]
	s_waitcnt lgkmcnt(0)
	s_barrier
	s_and_saveexec_b64 s[0:1], s[34:35]
	s_cbranch_execz .LBB69_676
; %bb.675:
	v_mov_b32_e32 v31, 0
	ds_read_b64 v[31:32], v31 offset:21848
	ds_read_b64 v[33:34], v13
	s_waitcnt lgkmcnt(0)
	v_mul_f32_e32 v35, v34, v32
	v_mul_f32_e32 v32, v33, v32
	v_fma_f32 v33, v33, v31, -v35
	v_fmac_f32_e32 v32, v34, v31
	v_add_f32_e32 v10, v10, v33
	v_add_f32_e32 v11, v11, v32
.LBB69_676:
	s_or_b64 exec, exec, s[0:1]
	s_barrier
	s_and_saveexec_b64 s[0:1], s[34:35]
; %bb.677:
	ds_write_b64 v13, v[10:11]
; %bb.678:
	s_or_b64 exec, exec, s[0:1]
	s_waitcnt lgkmcnt(0)
	s_barrier
	s_barrier
	s_and_saveexec_b64 s[0:1], s[2:3]
; %bb.679:
	v_xor_b32_e32 v11, 0x80000000, v11
	v_xor_b32_e32 v10, 0x80000000, v10
	ds_write_b64 v12, v[10:11] offset:20816
; %bb.680:
	s_or_b64 exec, exec, s[0:1]
	s_waitcnt lgkmcnt(0)
	s_barrier
	s_barrier
	s_and_saveexec_b64 s[0:1], s[38:39]
	s_cbranch_execz .LBB69_682
; %bb.681:
	v_lshlrev_b32_e32 v31, 3, v0
	s_movk_i32 s12, 0x1f8
	v_mad_u32_u24 v32, v0, s12, v31
	ds_read_b64 v[10:11], v32 offset:20816
	s_waitcnt lgkmcnt(0)
	ds_write_b64 v31, v[10:11] offset:21824
	ds_read_b64 v[10:11], v32 offset:20824
	s_waitcnt lgkmcnt(0)
	ds_write_b64 v31, v[10:11] offset:22336
.LBB69_682:
	s_or_b64 exec, exec, s[0:1]
	s_waitcnt lgkmcnt(0)
	s_barrier
	s_and_saveexec_b64 s[0:1], vcc
	s_cbranch_execz .LBB69_684
; %bb.683:
	v_mov_b32_e32 v33, 0
	ds_read_b64 v[10:11], v33 offset:21848
	s_mov_b64 s[12:13], 0x3f800000
	v_mov_b32_e32 v32, s13
	v_mov_b32_e32 v31, s12
	s_movk_i32 s12, 0x150
	ds_write_b64 v33, v[31:32] offset:22360
	v_add_u32_e64 v33, s12, 0
	s_waitcnt lgkmcnt(1)
	ds_write2st64_b64 v33, v[31:32], v[10:11] offset0:42 offset1:43
.LBB69_684:
	s_or_b64 exec, exec, s[0:1]
	v_mov_b32_e32 v11, 0
	v_mov_b32_e32 v10, 0
	s_waitcnt lgkmcnt(0)
	s_barrier
	s_and_saveexec_b64 s[0:1], s[18:19]
	s_cbranch_execz .LBB69_690
; %bb.685:
	v_mul_u32_u24_e32 v31, 0x208, v20
	ds_read_b64 v[10:11], v15 offset:20832
	ds_read_b64 v[32:33], v31 offset:20800
	v_cmp_gt_u32_e64 s[12:13], 12, v17
	s_waitcnt lgkmcnt(0)
	v_mul_f32_e32 v34, v33, v11
	v_mul_f32_e32 v11, v32, v11
	v_fma_f32 v32, v32, v10, -v34
	v_fmac_f32_e32 v11, v33, v10
	v_add_f32_e32 v10, 0, v32
	v_add_f32_e32 v11, 0, v11
	s_and_saveexec_b64 s[14:15], s[12:13]
	s_cbranch_execnz .LBB69_1093
; %bb.686:
	s_or_b64 exec, exec, s[14:15]
	v_cmp_gt_u32_e64 s[12:13], 8, v17
	s_and_saveexec_b64 s[14:15], s[12:13]
	s_cbranch_execnz .LBB69_1094
.LBB69_687:
	s_or_b64 exec, exec, s[14:15]
	v_cmp_gt_u32_e64 s[12:13], 4, v17
	s_and_saveexec_b64 s[14:15], s[12:13]
	s_cbranch_execz .LBB69_689
.LBB69_688:
	v_lshlrev_b32_e32 v31, 3, v0
	v_mov_b32_e32 v33, 0
	ds_read_b64 v[31:32], v31 offset:22368
	ds_read_b64 v[33:34], v33 offset:20824
	s_waitcnt lgkmcnt(0)
	v_mul_f32_e32 v35, v34, v32
	v_mul_f32_e32 v32, v33, v32
	v_fma_f32 v33, v33, v31, -v35
	v_fmac_f32_e32 v32, v34, v31
	v_add_f32_e32 v10, v10, v33
	v_add_f32_e32 v11, v11, v32
.LBB69_689:
	s_or_b64 exec, exec, s[14:15]
	v_xor_b32_e32 v10, 0x80000000, v10
	v_xor_b32_e32 v11, 0x80000000, v11
.LBB69_690:
	s_or_b64 exec, exec, s[0:1]
	s_and_saveexec_b64 s[0:1], s[42:43]
; %bb.691:
	ds_write_b64 v18, v[10:11]
; %bb.692:
	s_or_b64 exec, exec, s[0:1]
	s_waitcnt lgkmcnt(0)
	s_barrier
	s_and_saveexec_b64 s[0:1], s[44:45]
	s_cbranch_execz .LBB69_694
; %bb.693:
	ds_read_b64 v[31:32], v16 offset:22880
	ds_read_b64 v[33:34], v18
	s_waitcnt lgkmcnt(0)
	v_mul_f32_e32 v35, v34, v32
	v_mul_f32_e32 v32, v33, v32
	v_fma_f32 v33, v33, v31, -v35
	v_fmac_f32_e32 v32, v34, v31
	v_add_f32_e32 v10, v10, v33
	v_add_f32_e32 v11, v11, v32
.LBB69_694:
	s_or_b64 exec, exec, s[0:1]
	s_barrier
	s_and_saveexec_b64 s[0:1], s[46:47]
; %bb.695:
	ds_write_b64 v18, v[10:11]
; %bb.696:
	s_or_b64 exec, exec, s[0:1]
	s_waitcnt lgkmcnt(0)
	s_barrier
	s_and_saveexec_b64 s[0:1], s[48:49]
	s_cbranch_execz .LBB69_698
; %bb.697:
	ds_read_b64 v[31:32], v16 offset:23392
	ds_read_b64 v[33:34], v18
	s_waitcnt lgkmcnt(0)
	v_mul_f32_e32 v35, v34, v32
	v_mul_f32_e32 v32, v33, v32
	v_fma_f32 v33, v33, v31, -v35
	v_fmac_f32_e32 v32, v34, v31
	v_add_f32_e32 v10, v10, v33
	v_add_f32_e32 v11, v11, v32
.LBB69_698:
	s_or_b64 exec, exec, s[0:1]
	s_barrier
	s_and_saveexec_b64 s[0:1], s[50:51]
; %bb.699:
	ds_write_b64 v18, v[10:11]
; %bb.700:
	s_or_b64 exec, exec, s[0:1]
	s_waitcnt lgkmcnt(0)
	s_barrier
	s_and_saveexec_b64 s[0:1], s[40:41]
	s_cbranch_execz .LBB69_702
; %bb.701:
	v_mov_b32_e32 v31, 0
	ds_read_b64 v[31:32], v31 offset:23928
	ds_read_b64 v[33:34], v18
	s_waitcnt lgkmcnt(0)
	v_mul_f32_e32 v35, v34, v32
	v_mul_f32_e32 v32, v33, v32
	v_fma_f32 v33, v33, v31, -v35
	v_fmac_f32_e32 v32, v34, v31
	v_add_f32_e32 v10, v10, v33
	v_add_f32_e32 v11, v11, v32
.LBB69_702:
	s_or_b64 exec, exec, s[0:1]
	s_barrier
	s_and_saveexec_b64 s[0:1], s[40:41]
; %bb.703:
	ds_write_b64 v18, v[10:11]
; %bb.704:
	s_or_b64 exec, exec, s[0:1]
	s_waitcnt lgkmcnt(0)
	s_barrier
	s_barrier
	s_and_saveexec_b64 s[0:1], s[18:19]
; %bb.705:
	v_xor_b32_e32 v10, 0x80000000, v10
	v_xor_b32_e32 v11, 0x80000000, v11
	ds_write_b64 v15, v[10:11] offset:20832
; %bb.706:
	s_or_b64 exec, exec, s[0:1]
	s_waitcnt lgkmcnt(0)
	s_barrier
	s_barrier
	s_and_saveexec_b64 s[0:1], s[52:53]
	s_cbranch_execz .LBB69_708
; %bb.707:
	v_lshlrev_b32_e32 v31, 9, v0
	ds_read_b64 v[10:11], v31 offset:20832
	s_movk_i32 s12, 0xfe08
	v_mad_i32_i24 v32, v0, s12, v31
	s_waitcnt lgkmcnt(0)
	ds_write_b64 v32, v[10:11] offset:22848
	ds_read_b64 v[10:11], v31 offset:20840
	s_waitcnt lgkmcnt(0)
	ds_write_b64 v32, v[10:11] offset:23360
	ds_read_b64 v[10:11], v31 offset:20848
	;; [unrolled: 3-line block ×3, first 2 shown]
	s_waitcnt lgkmcnt(0)
	ds_write_b64 v32, v[10:11] offset:24384
.LBB69_708:
	s_or_b64 exec, exec, s[0:1]
	s_waitcnt lgkmcnt(0)
	s_barrier
	s_and_saveexec_b64 s[0:1], vcc
	s_cbranch_execz .LBB69_710
; %bb.709:
	v_mov_b32_e32 v33, 0
	ds_read_b64 v[10:11], v33 offset:22888
	s_mov_b64 s[12:13], 0x3f800000
	v_mov_b32_e32 v32, s13
	v_mov_b32_e32 v31, s12
	s_movk_i32 s12, 0x160
	ds_write_b64 v33, v[31:32] offset:23400
	v_add_u32_e64 v33, s12, 0
	s_waitcnt lgkmcnt(1)
	ds_write2st64_b64 v33, v[31:32], v[10:11] offset0:44 offset1:45
.LBB69_710:
	s_or_b64 exec, exec, s[0:1]
	v_mov_b32_e32 v11, 0
	v_mov_b32_e32 v10, 0
	s_waitcnt lgkmcnt(0)
	s_barrier
	s_and_saveexec_b64 s[0:1], s[2:3]
	s_cbranch_execz .LBB69_714
; %bb.711:
	v_mul_u32_u24_e32 v31, 0x208, v14
	ds_read_b64 v[10:11], v12 offset:22896
	ds_read_b64 v[31:32], v31 offset:22880
	v_cmp_gt_u32_e64 s[12:13], 2, v17
	s_waitcnt lgkmcnt(0)
	v_mul_f32_e32 v33, v32, v11
	v_mul_f32_e32 v11, v31, v11
	v_fma_f32 v31, v31, v10, -v33
	v_fmac_f32_e32 v11, v32, v10
	v_add_f32_e32 v10, 0, v31
	v_add_f32_e32 v11, 0, v11
	s_and_saveexec_b64 s[14:15], s[12:13]
	s_cbranch_execz .LBB69_713
; %bb.712:
	v_lshlrev_b32_e32 v31, 3, v0
	v_mov_b32_e32 v33, 0
	ds_read_b64 v[31:32], v31 offset:23408
	ds_read_b64 v[33:34], v33 offset:22888
	s_waitcnt lgkmcnt(0)
	v_mul_f32_e32 v35, v34, v32
	v_mul_f32_e32 v32, v33, v32
	v_fma_f32 v33, v33, v31, -v35
	v_fmac_f32_e32 v32, v34, v31
	v_add_f32_e32 v10, v10, v33
	v_add_f32_e32 v11, v11, v32
.LBB69_713:
	s_or_b64 exec, exec, s[14:15]
	v_xor_b32_e32 v10, 0x80000000, v10
	v_xor_b32_e32 v11, 0x80000000, v11
.LBB69_714:
	s_or_b64 exec, exec, s[0:1]
	s_and_saveexec_b64 s[0:1], s[36:37]
; %bb.715:
	ds_write_b64 v13, v[10:11]
; %bb.716:
	s_or_b64 exec, exec, s[0:1]
	s_waitcnt lgkmcnt(0)
	s_barrier
	s_and_saveexec_b64 s[0:1], s[34:35]
	s_cbranch_execz .LBB69_718
; %bb.717:
	v_mov_b32_e32 v31, 0
	ds_read_b64 v[31:32], v31 offset:23928
	ds_read_b64 v[33:34], v13
	s_waitcnt lgkmcnt(0)
	v_mul_f32_e32 v35, v34, v32
	v_mul_f32_e32 v32, v33, v32
	v_fma_f32 v33, v33, v31, -v35
	v_fmac_f32_e32 v32, v34, v31
	v_add_f32_e32 v10, v10, v33
	v_add_f32_e32 v11, v11, v32
.LBB69_718:
	s_or_b64 exec, exec, s[0:1]
	s_barrier
	s_and_saveexec_b64 s[0:1], s[34:35]
; %bb.719:
	ds_write_b64 v13, v[10:11]
; %bb.720:
	s_or_b64 exec, exec, s[0:1]
	s_waitcnt lgkmcnt(0)
	s_barrier
	s_barrier
	s_and_saveexec_b64 s[0:1], s[2:3]
; %bb.721:
	v_xor_b32_e32 v11, 0x80000000, v11
	v_xor_b32_e32 v10, 0x80000000, v10
	ds_write_b64 v12, v[10:11] offset:22896
; %bb.722:
	s_or_b64 exec, exec, s[0:1]
	s_waitcnt lgkmcnt(0)
	s_barrier
	s_barrier
	s_and_saveexec_b64 s[0:1], s[38:39]
	s_cbranch_execz .LBB69_724
; %bb.723:
	v_lshlrev_b32_e32 v31, 3, v0
	s_movk_i32 s12, 0x1f8
	v_mad_u32_u24 v32, v0, s12, v31
	ds_read_b64 v[10:11], v32 offset:22896
	s_waitcnt lgkmcnt(0)
	ds_write_b64 v31, v[10:11] offset:23904
	ds_read_b64 v[10:11], v32 offset:22904
	s_waitcnt lgkmcnt(0)
	ds_write_b64 v31, v[10:11] offset:24416
.LBB69_724:
	s_or_b64 exec, exec, s[0:1]
	s_waitcnt lgkmcnt(0)
	s_barrier
	s_and_saveexec_b64 s[0:1], vcc
	s_cbranch_execz .LBB69_726
; %bb.725:
	v_mov_b32_e32 v33, 0
	ds_read_b64 v[10:11], v33 offset:23928
	s_mov_b64 s[12:13], 0x3f800000
	v_mov_b32_e32 v32, s13
	v_mov_b32_e32 v31, s12
	s_movk_i32 s12, 0x170
	ds_write_b64 v33, v[31:32] offset:24440
	v_add_u32_e64 v33, s12, 0
	s_waitcnt lgkmcnt(1)
	ds_write2st64_b64 v33, v[31:32], v[10:11] offset0:46 offset1:47
.LBB69_726:
	s_or_b64 exec, exec, s[0:1]
	v_mov_b32_e32 v11, 0
	v_mov_b32_e32 v10, 0
	s_waitcnt lgkmcnt(0)
	s_barrier
	s_and_saveexec_b64 s[0:1], s[10:11]
	s_cbranch_execz .LBB69_754
; %bb.727:
	v_mul_u32_u24_e32 v31, 0x208, v30
	ds_read_b64 v[10:11], v26 offset:16768
	ds_read_b64 v[32:33], v31 offset:16640
	s_movk_i32 s12, 0xf0
	v_cmp_gt_u32_e64 s[12:13], s12, v17
	s_waitcnt lgkmcnt(0)
	v_mul_f32_e32 v34, v33, v11
	v_mul_f32_e32 v11, v32, v11
	v_fma_f32 v32, v32, v10, -v34
	v_fmac_f32_e32 v11, v33, v10
	v_add_f32_e32 v10, 0, v32
	v_add_f32_e32 v11, 0, v11
	s_and_saveexec_b64 s[14:15], s[12:13]
	s_cbranch_execz .LBB69_729
; %bb.728:
	v_lshlrev_b32_e32 v32, 3, v30
	v_sub_u32_e32 v32, v31, v32
	v_lshl_add_u32 v32, v27, 3, v32
	ds_read_b64 v[32:33], v32 offset:17280
	ds_read_b64 v[34:35], v31 offset:16648
	s_waitcnt lgkmcnt(0)
	v_mul_f32_e32 v36, v35, v33
	v_mul_f32_e32 v33, v34, v33
	v_fma_f32 v34, v34, v32, -v36
	v_fmac_f32_e32 v33, v35, v32
	v_add_f32_e32 v10, v10, v34
	v_add_f32_e32 v11, v11, v33
.LBB69_729:
	s_or_b64 exec, exec, s[14:15]
	s_movk_i32 s12, 0xe0
	v_cmp_gt_u32_e64 s[12:13], s12, v17
	s_and_saveexec_b64 s[14:15], s[12:13]
	s_cbranch_execz .LBB69_731
; %bb.730:
	v_lshlrev_b32_e32 v32, 3, v30
	v_sub_u32_e32 v32, v31, v32
	v_lshl_add_u32 v32, v27, 3, v32
	ds_read_b64 v[32:33], v32 offset:17792
	ds_read_b64 v[34:35], v31 offset:16656
	s_waitcnt lgkmcnt(0)
	v_mul_f32_e32 v36, v35, v33
	v_mul_f32_e32 v33, v34, v33
	v_fma_f32 v34, v34, v32, -v36
	v_fmac_f32_e32 v33, v35, v32
	v_add_f32_e32 v10, v10, v34
	v_add_f32_e32 v11, v11, v33
.LBB69_731:
	s_or_b64 exec, exec, s[14:15]
	s_movk_i32 s12, 0xd0
	v_cmp_gt_u32_e64 s[12:13], s12, v17
	;; [unrolled: 19-line block ×6, first 2 shown]
	s_and_saveexec_b64 s[14:15], s[12:13]
	s_cbranch_execz .LBB69_741
; %bb.740:
	v_lshlrev_b32_e32 v30, 3, v27
	v_lshl_add_u32 v30, v29, 3, v30
	ds_read_b64 v[32:33], v30 offset:20352
	ds_read_b64 v[34:35], v31 offset:16696
	s_waitcnt lgkmcnt(0)
	v_mul_f32_e32 v30, v35, v33
	v_mul_f32_e32 v33, v34, v33
	v_fma_f32 v30, v34, v32, -v30
	v_fmac_f32_e32 v33, v35, v32
	v_add_f32_e32 v10, v10, v30
	v_add_f32_e32 v11, v11, v33
.LBB69_741:
	s_or_b64 exec, exec, s[14:15]
	s_movk_i32 s12, 0x80
	v_cmp_gt_u32_e64 s[12:13], s12, v17
	s_and_saveexec_b64 s[14:15], s[12:13]
	s_cbranch_execz .LBB69_743
; %bb.742:
	ds_read_b64 v[32:33], v26 offset:20864
	ds_read_b64 v[34:35], v31 offset:16704
	s_waitcnt lgkmcnt(0)
	v_mul_f32_e32 v30, v35, v33
	v_mul_f32_e32 v33, v34, v33
	v_fma_f32 v30, v34, v32, -v30
	v_fmac_f32_e32 v33, v35, v32
	v_add_f32_e32 v10, v10, v30
	v_add_f32_e32 v11, v11, v33
.LBB69_743:
	s_or_b64 exec, exec, s[14:15]
	s_movk_i32 s12, 0x70
	v_cmp_gt_u32_e64 s[12:13], s12, v17
	s_and_saveexec_b64 s[14:15], s[12:13]
	s_cbranch_execz .LBB69_745
; %bb.744:
	v_lshlrev_b32_e32 v30, 3, v27
	v_lshl_add_u32 v30, v29, 3, v30
	ds_read_b64 v[32:33], v30 offset:21376
	ds_read_b64 v[34:35], v31 offset:16712
	s_waitcnt lgkmcnt(0)
	v_mul_f32_e32 v30, v35, v33
	v_mul_f32_e32 v33, v34, v33
	v_fma_f32 v30, v34, v32, -v30
	v_fmac_f32_e32 v33, v35, v32
	v_add_f32_e32 v10, v10, v30
	v_add_f32_e32 v11, v11, v33
.LBB69_745:
	s_or_b64 exec, exec, s[14:15]
	s_movk_i32 s12, 0x60
	v_cmp_gt_u32_e64 s[12:13], s12, v17
	s_and_saveexec_b64 s[14:15], s[12:13]
	s_cbranch_execz .LBB69_747
; %bb.746:
	v_lshlrev_b32_e32 v30, 3, v27
	v_lshl_add_u32 v30, v29, 3, v30
	ds_read_b64 v[32:33], v30 offset:21888
	ds_read_b64 v[34:35], v31 offset:16720
	s_waitcnt lgkmcnt(0)
	v_mul_f32_e32 v30, v35, v33
	v_mul_f32_e32 v33, v34, v33
	v_fma_f32 v30, v34, v32, -v30
	v_fmac_f32_e32 v33, v35, v32
	v_add_f32_e32 v10, v10, v30
	v_add_f32_e32 v11, v11, v33
.LBB69_747:
	s_or_b64 exec, exec, s[14:15]
	s_movk_i32 s12, 0x50
	v_cmp_gt_u32_e64 s[12:13], s12, v17
	s_and_saveexec_b64 s[14:15], s[12:13]
	s_cbranch_execnz .LBB69_1095
; %bb.748:
	s_or_b64 exec, exec, s[14:15]
	v_cmp_gt_u32_e64 s[12:13], 64, v17
	s_and_saveexec_b64 s[14:15], s[12:13]
	s_cbranch_execnz .LBB69_1096
.LBB69_749:
	s_or_b64 exec, exec, s[14:15]
	v_cmp_gt_u32_e64 s[12:13], 48, v17
	s_and_saveexec_b64 s[14:15], s[12:13]
	s_cbranch_execnz .LBB69_1097
.LBB69_750:
	s_or_b64 exec, exec, s[14:15]
	v_cmp_gt_u32_e64 s[12:13], 32, v17
	s_and_saveexec_b64 s[14:15], s[12:13]
	s_cbranch_execnz .LBB69_1098
.LBB69_751:
	s_or_b64 exec, exec, s[14:15]
	v_cmp_gt_u32_e64 s[12:13], 16, v17
	s_and_saveexec_b64 s[14:15], s[12:13]
	s_cbranch_execz .LBB69_753
.LBB69_752:
	v_lshlrev_b32_e32 v29, 3, v0
	v_mov_b32_e32 v31, 0
	ds_read_b64 v[29:30], v29 offset:24448
	ds_read_b64 v[31:32], v31 offset:16760
	s_waitcnt lgkmcnt(0)
	v_mul_f32_e32 v33, v32, v30
	v_mul_f32_e32 v30, v31, v30
	v_fma_f32 v31, v31, v29, -v33
	v_fmac_f32_e32 v30, v32, v29
	v_add_f32_e32 v10, v10, v31
	v_add_f32_e32 v11, v11, v30
.LBB69_753:
	s_or_b64 exec, exec, s[14:15]
	v_xor_b32_e32 v10, 0x80000000, v10
	v_xor_b32_e32 v11, 0x80000000, v11
.LBB69_754:
	s_or_b64 exec, exec, s[0:1]
	s_mov_b64 s[0:1], exec
	v_readlane_b32 s12, v42, 2
	v_readlane_b32 s13, v42, 3
	s_and_b64 s[12:13], s[0:1], s[12:13]
	s_mov_b64 exec, s[12:13]
; %bb.755:
	ds_write_b64 v28, v[10:11]
; %bb.756:
	s_or_b64 exec, exec, s[0:1]
	s_waitcnt lgkmcnt(0)
	s_barrier
	s_mov_b64 s[0:1], exec
	v_readlane_b32 s12, v42, 4
	v_readlane_b32 s13, v42, 5
	s_and_b64 s[12:13], s[0:1], s[12:13]
	s_mov_b64 exec, s[12:13]
	s_cbranch_execz .LBB69_758
; %bb.757:
	v_lshlrev_b32_e32 v29, 3, v27
	ds_read_b64 v[29:30], v29 offset:24960
	ds_read_b64 v[31:32], v28
	s_waitcnt lgkmcnt(0)
	v_mul_f32_e32 v33, v32, v30
	v_mul_f32_e32 v30, v31, v30
	v_fma_f32 v31, v31, v29, -v33
	v_fmac_f32_e32 v30, v32, v29
	v_add_f32_e32 v10, v10, v31
	v_add_f32_e32 v11, v11, v30
.LBB69_758:
	s_or_b64 exec, exec, s[0:1]
	s_barrier
	s_mov_b64 s[0:1], exec
	v_readlane_b32 s12, v42, 6
	v_readlane_b32 s13, v42, 7
	s_and_b64 s[12:13], s[0:1], s[12:13]
	s_mov_b64 exec, s[12:13]
; %bb.759:
	ds_write_b64 v28, v[10:11]
; %bb.760:
	s_or_b64 exec, exec, s[0:1]
	s_waitcnt lgkmcnt(0)
	s_barrier
	s_mov_b64 s[0:1], exec
	v_readlane_b32 s12, v42, 8
	v_readlane_b32 s13, v42, 9
	s_and_b64 s[12:13], s[0:1], s[12:13]
	s_mov_b64 exec, s[12:13]
	s_cbranch_execz .LBB69_762
; %bb.761:
	v_lshlrev_b32_e32 v29, 3, v27
	ds_read_b64 v[29:30], v29 offset:25472
	ds_read_b64 v[31:32], v28
	s_waitcnt lgkmcnt(0)
	v_mul_f32_e32 v33, v32, v30
	v_mul_f32_e32 v30, v31, v30
	v_fma_f32 v31, v31, v29, -v33
	v_fmac_f32_e32 v30, v32, v29
	v_add_f32_e32 v10, v10, v31
	v_add_f32_e32 v11, v11, v30
.LBB69_762:
	s_or_b64 exec, exec, s[0:1]
	s_barrier
	;; [unrolled: 31-line block ×14, first 2 shown]
	s_and_saveexec_b64 s[0:1], s[88:89]
; %bb.811:
	ds_write_b64 v28, v[10:11]
; %bb.812:
	s_or_b64 exec, exec, s[0:1]
	s_waitcnt lgkmcnt(0)
	s_barrier
	s_and_saveexec_b64 s[0:1], s[94:95]
	s_cbranch_execz .LBB69_814
; %bb.813:
	v_mov_b32_e32 v27, 0
	ds_read_b64 v[29:30], v27 offset:32248
	ds_read_b64 v[31:32], v28
	s_waitcnt lgkmcnt(0)
	v_mul_f32_e32 v27, v32, v30
	v_mul_f32_e32 v30, v31, v30
	v_fma_f32 v27, v31, v29, -v27
	v_fmac_f32_e32 v30, v32, v29
	v_add_f32_e32 v10, v10, v27
	v_add_f32_e32 v11, v11, v30
.LBB69_814:
	s_or_b64 exec, exec, s[0:1]
	s_barrier
	s_and_saveexec_b64 s[0:1], s[94:95]
; %bb.815:
	ds_write_b64 v28, v[10:11]
; %bb.816:
	s_or_b64 exec, exec, s[0:1]
	s_waitcnt lgkmcnt(0)
	s_barrier
	s_barrier
	s_and_saveexec_b64 s[0:1], s[10:11]
; %bb.817:
	v_xor_b32_e32 v10, 0x80000000, v10
	v_xor_b32_e32 v11, 0x80000000, v11
	ds_write_b64 v26, v[10:11] offset:16768
; %bb.818:
	s_or_b64 exec, exec, s[0:1]
	s_waitcnt lgkmcnt(0)
	s_barrier
	s_barrier
	s_and_saveexec_b64 s[0:1], s[90:91]
	s_cbranch_execz .LBB69_820
; %bb.819:
	v_lshlrev_b32_e32 v26, 9, v0
	ds_read_b64 v[10:11], v26 offset:16768
	s_movk_i32 s10, 0xfe08
	v_mad_i32_i24 v27, v0, s10, v26
	s_waitcnt lgkmcnt(0)
	ds_write_b64 v27, v[10:11] offset:24832
	ds_read_b64 v[10:11], v26 offset:16776
	s_waitcnt lgkmcnt(0)
	ds_write_b64 v27, v[10:11] offset:25344
	ds_read_b64 v[10:11], v26 offset:16784
	;; [unrolled: 3-line block ×15, first 2 shown]
	s_waitcnt lgkmcnt(0)
	ds_write_b64 v27, v[10:11] offset:32512
.LBB69_820:
	s_or_b64 exec, exec, s[0:1]
	s_waitcnt lgkmcnt(0)
	s_barrier
	s_and_saveexec_b64 s[0:1], vcc
	s_cbranch_execz .LBB69_822
; %bb.821:
	v_mov_b32_e32 v28, 0
	ds_read_b64 v[10:11], v28 offset:24968
	s_mov_b64 s[10:11], 0x3f800000
	v_mov_b32_e32 v27, s11
	v_mov_b32_e32 v26, s10
	s_movk_i32 s10, 0x180
	ds_write_b64 v28, v[26:27] offset:25480
	v_add_u32_e64 v28, s10, 0
	s_waitcnt lgkmcnt(1)
	ds_write2st64_b64 v28, v[26:27], v[10:11] offset0:48 offset1:49
.LBB69_822:
	s_or_b64 exec, exec, s[0:1]
	v_mov_b32_e32 v11, 0
	v_mov_b32_e32 v10, 0
	s_waitcnt lgkmcnt(0)
	s_barrier
	s_and_saveexec_b64 s[0:1], s[2:3]
	s_cbranch_execz .LBB69_826
; %bb.823:
	v_mul_u32_u24_e32 v26, 0x208, v14
	ds_read_b64 v[10:11], v12 offset:24976
	ds_read_b64 v[26:27], v26 offset:24960
	v_cmp_gt_u32_e64 s[10:11], 2, v17
	s_waitcnt lgkmcnt(0)
	v_mul_f32_e32 v28, v27, v11
	v_mul_f32_e32 v11, v26, v11
	v_fma_f32 v26, v26, v10, -v28
	v_fmac_f32_e32 v11, v27, v10
	v_add_f32_e32 v10, 0, v26
	v_add_f32_e32 v11, 0, v11
	s_and_saveexec_b64 s[12:13], s[10:11]
	s_cbranch_execz .LBB69_825
; %bb.824:
	v_lshlrev_b32_e32 v26, 3, v0
	v_mov_b32_e32 v28, 0
	ds_read_b64 v[26:27], v26 offset:25488
	ds_read_b64 v[28:29], v28 offset:24968
	s_waitcnt lgkmcnt(0)
	v_mul_f32_e32 v30, v29, v27
	v_mul_f32_e32 v27, v28, v27
	v_fma_f32 v28, v28, v26, -v30
	v_fmac_f32_e32 v27, v29, v26
	v_add_f32_e32 v10, v10, v28
	v_add_f32_e32 v11, v11, v27
.LBB69_825:
	s_or_b64 exec, exec, s[12:13]
	v_xor_b32_e32 v10, 0x80000000, v10
	v_xor_b32_e32 v11, 0x80000000, v11
.LBB69_826:
	s_or_b64 exec, exec, s[0:1]
	s_and_saveexec_b64 s[0:1], s[36:37]
; %bb.827:
	ds_write_b64 v13, v[10:11]
; %bb.828:
	s_or_b64 exec, exec, s[0:1]
	s_waitcnt lgkmcnt(0)
	s_barrier
	s_and_saveexec_b64 s[0:1], s[34:35]
	s_cbranch_execz .LBB69_830
; %bb.829:
	v_mov_b32_e32 v26, 0
	ds_read_b64 v[26:27], v26 offset:26008
	ds_read_b64 v[28:29], v13
	s_waitcnt lgkmcnt(0)
	v_mul_f32_e32 v30, v29, v27
	v_mul_f32_e32 v27, v28, v27
	v_fma_f32 v28, v28, v26, -v30
	v_fmac_f32_e32 v27, v29, v26
	v_add_f32_e32 v10, v10, v28
	v_add_f32_e32 v11, v11, v27
.LBB69_830:
	s_or_b64 exec, exec, s[0:1]
	s_barrier
	s_and_saveexec_b64 s[0:1], s[34:35]
; %bb.831:
	ds_write_b64 v13, v[10:11]
; %bb.832:
	s_or_b64 exec, exec, s[0:1]
	s_waitcnt lgkmcnt(0)
	s_barrier
	s_barrier
	s_and_saveexec_b64 s[0:1], s[2:3]
; %bb.833:
	v_xor_b32_e32 v11, 0x80000000, v11
	v_xor_b32_e32 v10, 0x80000000, v10
	ds_write_b64 v12, v[10:11] offset:24976
; %bb.834:
	s_or_b64 exec, exec, s[0:1]
	s_waitcnt lgkmcnt(0)
	s_barrier
	s_barrier
	s_and_saveexec_b64 s[0:1], s[38:39]
	s_cbranch_execz .LBB69_836
; %bb.835:
	v_lshlrev_b32_e32 v26, 3, v0
	s_movk_i32 s10, 0x1f8
	v_mad_u32_u24 v27, v0, s10, v26
	ds_read_b64 v[10:11], v27 offset:24976
	s_waitcnt lgkmcnt(0)
	ds_write_b64 v26, v[10:11] offset:25984
	ds_read_b64 v[10:11], v27 offset:24984
	s_waitcnt lgkmcnt(0)
	ds_write_b64 v26, v[10:11] offset:26496
.LBB69_836:
	s_or_b64 exec, exec, s[0:1]
	s_waitcnt lgkmcnt(0)
	s_barrier
	s_and_saveexec_b64 s[0:1], vcc
	s_cbranch_execz .LBB69_838
; %bb.837:
	v_mov_b32_e32 v28, 0
	ds_read_b64 v[10:11], v28 offset:26008
	s_mov_b64 s[10:11], 0x3f800000
	v_mov_b32_e32 v27, s11
	v_mov_b32_e32 v26, s10
	s_movk_i32 s10, 0x190
	ds_write_b64 v28, v[26:27] offset:26520
	v_add_u32_e64 v28, s10, 0
	s_waitcnt lgkmcnt(1)
	ds_write2st64_b64 v28, v[26:27], v[10:11] offset0:50 offset1:51
.LBB69_838:
	s_or_b64 exec, exec, s[0:1]
	v_mov_b32_e32 v11, 0
	v_mov_b32_e32 v10, 0
	s_waitcnt lgkmcnt(0)
	s_barrier
	s_and_saveexec_b64 s[0:1], s[18:19]
	s_cbranch_execz .LBB69_844
; %bb.839:
	v_mul_u32_u24_e32 v26, 0x208, v20
	ds_read_b64 v[10:11], v15 offset:24992
	ds_read_b64 v[27:28], v26 offset:24960
	v_cmp_gt_u32_e64 s[10:11], 12, v17
	s_waitcnt lgkmcnt(0)
	v_mul_f32_e32 v29, v28, v11
	v_mul_f32_e32 v11, v27, v11
	v_fma_f32 v27, v27, v10, -v29
	v_fmac_f32_e32 v11, v28, v10
	v_add_f32_e32 v10, 0, v27
	v_add_f32_e32 v11, 0, v11
	s_and_saveexec_b64 s[12:13], s[10:11]
	s_cbranch_execnz .LBB69_1099
; %bb.840:
	s_or_b64 exec, exec, s[12:13]
	v_cmp_gt_u32_e64 s[10:11], 8, v17
	s_and_saveexec_b64 s[12:13], s[10:11]
	s_cbranch_execnz .LBB69_1100
.LBB69_841:
	s_or_b64 exec, exec, s[12:13]
	v_cmp_gt_u32_e64 s[10:11], 4, v17
	s_and_saveexec_b64 s[12:13], s[10:11]
	s_cbranch_execz .LBB69_843
.LBB69_842:
	v_lshlrev_b32_e32 v26, 3, v0
	v_mov_b32_e32 v28, 0
	ds_read_b64 v[26:27], v26 offset:26528
	ds_read_b64 v[28:29], v28 offset:24984
	s_waitcnt lgkmcnt(0)
	v_mul_f32_e32 v30, v29, v27
	v_mul_f32_e32 v27, v28, v27
	v_fma_f32 v28, v28, v26, -v30
	v_fmac_f32_e32 v27, v29, v26
	v_add_f32_e32 v10, v10, v28
	v_add_f32_e32 v11, v11, v27
.LBB69_843:
	s_or_b64 exec, exec, s[12:13]
	v_xor_b32_e32 v10, 0x80000000, v10
	v_xor_b32_e32 v11, 0x80000000, v11
.LBB69_844:
	s_or_b64 exec, exec, s[0:1]
	s_and_saveexec_b64 s[0:1], s[42:43]
; %bb.845:
	ds_write_b64 v18, v[10:11]
; %bb.846:
	s_or_b64 exec, exec, s[0:1]
	s_waitcnt lgkmcnt(0)
	s_barrier
	s_and_saveexec_b64 s[0:1], s[44:45]
	s_cbranch_execz .LBB69_848
; %bb.847:
	ds_read_b64 v[26:27], v16 offset:27040
	ds_read_b64 v[28:29], v18
	s_waitcnt lgkmcnt(0)
	v_mul_f32_e32 v30, v29, v27
	v_mul_f32_e32 v27, v28, v27
	v_fma_f32 v28, v28, v26, -v30
	v_fmac_f32_e32 v27, v29, v26
	v_add_f32_e32 v10, v10, v28
	v_add_f32_e32 v11, v11, v27
.LBB69_848:
	s_or_b64 exec, exec, s[0:1]
	s_barrier
	s_and_saveexec_b64 s[0:1], s[46:47]
; %bb.849:
	ds_write_b64 v18, v[10:11]
; %bb.850:
	s_or_b64 exec, exec, s[0:1]
	s_waitcnt lgkmcnt(0)
	s_barrier
	s_and_saveexec_b64 s[0:1], s[48:49]
	s_cbranch_execz .LBB69_852
; %bb.851:
	ds_read_b64 v[26:27], v16 offset:27552
	ds_read_b64 v[28:29], v18
	s_waitcnt lgkmcnt(0)
	v_mul_f32_e32 v30, v29, v27
	v_mul_f32_e32 v27, v28, v27
	v_fma_f32 v28, v28, v26, -v30
	v_fmac_f32_e32 v27, v29, v26
	v_add_f32_e32 v10, v10, v28
	v_add_f32_e32 v11, v11, v27
.LBB69_852:
	s_or_b64 exec, exec, s[0:1]
	s_barrier
	s_and_saveexec_b64 s[0:1], s[50:51]
; %bb.853:
	ds_write_b64 v18, v[10:11]
; %bb.854:
	s_or_b64 exec, exec, s[0:1]
	s_waitcnt lgkmcnt(0)
	s_barrier
	s_and_saveexec_b64 s[0:1], s[40:41]
	s_cbranch_execz .LBB69_856
; %bb.855:
	v_mov_b32_e32 v26, 0
	ds_read_b64 v[26:27], v26 offset:28088
	ds_read_b64 v[28:29], v18
	s_waitcnt lgkmcnt(0)
	v_mul_f32_e32 v30, v29, v27
	v_mul_f32_e32 v27, v28, v27
	v_fma_f32 v28, v28, v26, -v30
	v_fmac_f32_e32 v27, v29, v26
	v_add_f32_e32 v10, v10, v28
	v_add_f32_e32 v11, v11, v27
.LBB69_856:
	s_or_b64 exec, exec, s[0:1]
	s_barrier
	s_and_saveexec_b64 s[0:1], s[40:41]
; %bb.857:
	ds_write_b64 v18, v[10:11]
; %bb.858:
	s_or_b64 exec, exec, s[0:1]
	s_waitcnt lgkmcnt(0)
	s_barrier
	s_barrier
	s_and_saveexec_b64 s[0:1], s[18:19]
; %bb.859:
	v_xor_b32_e32 v10, 0x80000000, v10
	v_xor_b32_e32 v11, 0x80000000, v11
	ds_write_b64 v15, v[10:11] offset:24992
; %bb.860:
	s_or_b64 exec, exec, s[0:1]
	s_waitcnt lgkmcnt(0)
	s_barrier
	s_barrier
	s_and_saveexec_b64 s[0:1], s[52:53]
	s_cbranch_execz .LBB69_862
; %bb.861:
	v_lshlrev_b32_e32 v26, 9, v0
	ds_read_b64 v[10:11], v26 offset:24992
	s_movk_i32 s10, 0xfe08
	v_mad_i32_i24 v27, v0, s10, v26
	s_waitcnt lgkmcnt(0)
	ds_write_b64 v27, v[10:11] offset:27008
	ds_read_b64 v[10:11], v26 offset:25000
	s_waitcnt lgkmcnt(0)
	ds_write_b64 v27, v[10:11] offset:27520
	ds_read_b64 v[10:11], v26 offset:25008
	;; [unrolled: 3-line block ×3, first 2 shown]
	s_waitcnt lgkmcnt(0)
	ds_write_b64 v27, v[10:11] offset:28544
.LBB69_862:
	s_or_b64 exec, exec, s[0:1]
	s_waitcnt lgkmcnt(0)
	s_barrier
	s_and_saveexec_b64 s[0:1], vcc
	s_cbranch_execz .LBB69_864
; %bb.863:
	v_mov_b32_e32 v28, 0
	ds_read_b64 v[10:11], v28 offset:27048
	s_mov_b64 s[10:11], 0x3f800000
	v_mov_b32_e32 v27, s11
	v_mov_b32_e32 v26, s10
	s_movk_i32 s10, 0x1a0
	ds_write_b64 v28, v[26:27] offset:27560
	v_add_u32_e64 v28, s10, 0
	s_waitcnt lgkmcnt(1)
	ds_write2st64_b64 v28, v[26:27], v[10:11] offset0:52 offset1:53
.LBB69_864:
	s_or_b64 exec, exec, s[0:1]
	v_mov_b32_e32 v11, 0
	v_mov_b32_e32 v10, 0
	s_waitcnt lgkmcnt(0)
	s_barrier
	s_and_saveexec_b64 s[0:1], s[2:3]
	s_cbranch_execz .LBB69_868
; %bb.865:
	v_mul_u32_u24_e32 v26, 0x208, v14
	ds_read_b64 v[10:11], v12 offset:27056
	ds_read_b64 v[26:27], v26 offset:27040
	v_cmp_gt_u32_e64 s[10:11], 2, v17
	s_waitcnt lgkmcnt(0)
	v_mul_f32_e32 v28, v27, v11
	v_mul_f32_e32 v11, v26, v11
	v_fma_f32 v26, v26, v10, -v28
	v_fmac_f32_e32 v11, v27, v10
	v_add_f32_e32 v10, 0, v26
	v_add_f32_e32 v11, 0, v11
	s_and_saveexec_b64 s[12:13], s[10:11]
	s_cbranch_execz .LBB69_867
; %bb.866:
	v_lshlrev_b32_e32 v26, 3, v0
	v_mov_b32_e32 v28, 0
	ds_read_b64 v[26:27], v26 offset:27568
	ds_read_b64 v[28:29], v28 offset:27048
	s_waitcnt lgkmcnt(0)
	v_mul_f32_e32 v30, v29, v27
	v_mul_f32_e32 v27, v28, v27
	v_fma_f32 v28, v28, v26, -v30
	v_fmac_f32_e32 v27, v29, v26
	v_add_f32_e32 v10, v10, v28
	v_add_f32_e32 v11, v11, v27
.LBB69_867:
	s_or_b64 exec, exec, s[12:13]
	v_xor_b32_e32 v10, 0x80000000, v10
	v_xor_b32_e32 v11, 0x80000000, v11
.LBB69_868:
	s_or_b64 exec, exec, s[0:1]
	s_and_saveexec_b64 s[0:1], s[36:37]
; %bb.869:
	ds_write_b64 v13, v[10:11]
; %bb.870:
	s_or_b64 exec, exec, s[0:1]
	s_waitcnt lgkmcnt(0)
	s_barrier
	s_and_saveexec_b64 s[0:1], s[34:35]
	s_cbranch_execz .LBB69_872
; %bb.871:
	v_mov_b32_e32 v26, 0
	ds_read_b64 v[26:27], v26 offset:28088
	ds_read_b64 v[28:29], v13
	s_waitcnt lgkmcnt(0)
	v_mul_f32_e32 v30, v29, v27
	v_mul_f32_e32 v27, v28, v27
	v_fma_f32 v28, v28, v26, -v30
	v_fmac_f32_e32 v27, v29, v26
	v_add_f32_e32 v10, v10, v28
	v_add_f32_e32 v11, v11, v27
.LBB69_872:
	s_or_b64 exec, exec, s[0:1]
	s_barrier
	s_and_saveexec_b64 s[0:1], s[34:35]
; %bb.873:
	ds_write_b64 v13, v[10:11]
; %bb.874:
	s_or_b64 exec, exec, s[0:1]
	s_waitcnt lgkmcnt(0)
	s_barrier
	s_barrier
	s_and_saveexec_b64 s[0:1], s[2:3]
; %bb.875:
	v_xor_b32_e32 v11, 0x80000000, v11
	v_xor_b32_e32 v10, 0x80000000, v10
	ds_write_b64 v12, v[10:11] offset:27056
; %bb.876:
	s_or_b64 exec, exec, s[0:1]
	s_waitcnt lgkmcnt(0)
	s_barrier
	s_barrier
	s_and_saveexec_b64 s[0:1], s[38:39]
	s_cbranch_execz .LBB69_878
; %bb.877:
	v_lshlrev_b32_e32 v26, 3, v0
	s_movk_i32 s10, 0x1f8
	v_mad_u32_u24 v27, v0, s10, v26
	ds_read_b64 v[10:11], v27 offset:27056
	s_waitcnt lgkmcnt(0)
	ds_write_b64 v26, v[10:11] offset:28064
	ds_read_b64 v[10:11], v27 offset:27064
	s_waitcnt lgkmcnt(0)
	ds_write_b64 v26, v[10:11] offset:28576
.LBB69_878:
	s_or_b64 exec, exec, s[0:1]
	s_waitcnt lgkmcnt(0)
	s_barrier
	s_and_saveexec_b64 s[0:1], vcc
	s_cbranch_execz .LBB69_880
; %bb.879:
	v_mov_b32_e32 v28, 0
	ds_read_b64 v[10:11], v28 offset:28088
	s_mov_b64 s[10:11], 0x3f800000
	v_mov_b32_e32 v27, s11
	v_mov_b32_e32 v26, s10
	s_movk_i32 s10, 0x1b0
	ds_write_b64 v28, v[26:27] offset:28600
	v_add_u32_e64 v28, s10, 0
	s_waitcnt lgkmcnt(1)
	ds_write2st64_b64 v28, v[26:27], v[10:11] offset0:54 offset1:55
.LBB69_880:
	s_or_b64 exec, exec, s[0:1]
	v_mov_b32_e32 v11, 0
	v_mov_b32_e32 v10, 0
	s_waitcnt lgkmcnt(0)
	s_barrier
	s_and_saveexec_b64 s[0:1], s[8:9]
	s_cbranch_execz .LBB69_890
; %bb.881:
	v_mul_u32_u24_e32 v26, 0x208, v25
	ds_read_b64 v[10:11], v21 offset:25024
	ds_read_b64 v[27:28], v26 offset:24960
	v_cmp_gt_u32_e64 s[10:11], 56, v17
	s_waitcnt lgkmcnt(0)
	v_mul_f32_e32 v29, v28, v11
	v_mul_f32_e32 v11, v27, v11
	v_fma_f32 v27, v27, v10, -v29
	v_fmac_f32_e32 v11, v28, v10
	v_add_f32_e32 v10, 0, v27
	v_add_f32_e32 v11, 0, v11
	s_and_saveexec_b64 s[12:13], s[10:11]
	s_cbranch_execnz .LBB69_1101
; %bb.882:
	s_or_b64 exec, exec, s[12:13]
	v_cmp_gt_u32_e64 s[10:11], 48, v17
	s_and_saveexec_b64 s[12:13], s[10:11]
	s_cbranch_execnz .LBB69_1102
.LBB69_883:
	s_or_b64 exec, exec, s[12:13]
	v_cmp_gt_u32_e64 s[10:11], 40, v17
	s_and_saveexec_b64 s[12:13], s[10:11]
	s_cbranch_execnz .LBB69_1103
.LBB69_884:
	s_or_b64 exec, exec, s[12:13]
	v_cmp_gt_u32_e64 s[10:11], 32, v17
	s_and_saveexec_b64 s[12:13], s[10:11]
	s_cbranch_execnz .LBB69_1104
.LBB69_885:
	s_or_b64 exec, exec, s[12:13]
	v_cmp_gt_u32_e64 s[10:11], 24, v17
	s_and_saveexec_b64 s[12:13], s[10:11]
	s_cbranch_execnz .LBB69_1105
.LBB69_886:
	s_or_b64 exec, exec, s[12:13]
	v_cmp_gt_u32_e64 s[10:11], 16, v17
	s_and_saveexec_b64 s[12:13], s[10:11]
	s_cbranch_execnz .LBB69_1106
.LBB69_887:
	s_or_b64 exec, exec, s[12:13]
	v_cmp_gt_u32_e64 s[10:11], 8, v17
	s_and_saveexec_b64 s[12:13], s[10:11]
	s_cbranch_execz .LBB69_889
.LBB69_888:
	v_lshlrev_b32_e32 v24, 3, v0
	v_mov_b32_e32 v26, 0
	ds_read_b64 v[24:25], v24 offset:28608
	ds_read_b64 v[26:27], v26 offset:25016
	s_waitcnt lgkmcnt(0)
	v_mul_f32_e32 v28, v27, v25
	v_mul_f32_e32 v25, v26, v25
	v_fma_f32 v26, v26, v24, -v28
	v_fmac_f32_e32 v25, v27, v24
	v_add_f32_e32 v10, v10, v26
	v_add_f32_e32 v11, v11, v25
.LBB69_889:
	s_or_b64 exec, exec, s[12:13]
	v_xor_b32_e32 v10, 0x80000000, v10
	v_xor_b32_e32 v11, 0x80000000, v11
.LBB69_890:
	s_or_b64 exec, exec, s[0:1]
	s_and_saveexec_b64 s[0:1], s[56:57]
; %bb.891:
	ds_write_b64 v23, v[10:11]
; %bb.892:
	s_or_b64 exec, exec, s[0:1]
	s_waitcnt lgkmcnt(0)
	s_barrier
	s_and_saveexec_b64 s[0:1], s[58:59]
	s_cbranch_execz .LBB69_894
; %bb.893:
	ds_read_b64 v[24:25], v22 offset:29120
	ds_read_b64 v[26:27], v23
	s_waitcnt lgkmcnt(0)
	v_mul_f32_e32 v28, v27, v25
	v_mul_f32_e32 v25, v26, v25
	v_fma_f32 v26, v26, v24, -v28
	v_fmac_f32_e32 v25, v27, v24
	v_add_f32_e32 v10, v10, v26
	v_add_f32_e32 v11, v11, v25
.LBB69_894:
	s_or_b64 exec, exec, s[0:1]
	s_barrier
	s_and_saveexec_b64 s[0:1], s[60:61]
; %bb.895:
	ds_write_b64 v23, v[10:11]
; %bb.896:
	s_or_b64 exec, exec, s[0:1]
	s_waitcnt lgkmcnt(0)
	s_barrier
	s_and_saveexec_b64 s[0:1], s[62:63]
	s_cbranch_execz .LBB69_898
; %bb.897:
	ds_read_b64 v[24:25], v22 offset:29632
	ds_read_b64 v[26:27], v23
	s_waitcnt lgkmcnt(0)
	v_mul_f32_e32 v28, v27, v25
	v_mul_f32_e32 v25, v26, v25
	v_fma_f32 v26, v26, v24, -v28
	v_fmac_f32_e32 v25, v27, v24
	v_add_f32_e32 v10, v10, v26
	v_add_f32_e32 v11, v11, v25
.LBB69_898:
	s_or_b64 exec, exec, s[0:1]
	s_barrier
	;; [unrolled: 22-line block ×6, first 2 shown]
	s_and_saveexec_b64 s[0:1], s[80:81]
; %bb.915:
	ds_write_b64 v23, v[10:11]
; %bb.916:
	s_or_b64 exec, exec, s[0:1]
	s_waitcnt lgkmcnt(0)
	s_barrier
	s_and_saveexec_b64 s[0:1], s[54:55]
	s_cbranch_execz .LBB69_918
; %bb.917:
	v_mov_b32_e32 v22, 0
	ds_read_b64 v[24:25], v22 offset:32248
	ds_read_b64 v[26:27], v23
	s_waitcnt lgkmcnt(0)
	v_mul_f32_e32 v22, v27, v25
	v_mul_f32_e32 v25, v26, v25
	v_fma_f32 v22, v26, v24, -v22
	v_fmac_f32_e32 v25, v27, v24
	v_add_f32_e32 v10, v10, v22
	v_add_f32_e32 v11, v11, v25
.LBB69_918:
	s_or_b64 exec, exec, s[0:1]
	s_barrier
	s_and_saveexec_b64 s[0:1], s[54:55]
; %bb.919:
	ds_write_b64 v23, v[10:11]
; %bb.920:
	s_or_b64 exec, exec, s[0:1]
	s_waitcnt lgkmcnt(0)
	s_barrier
	s_barrier
	s_and_saveexec_b64 s[0:1], s[8:9]
; %bb.921:
	v_xor_b32_e32 v11, 0x80000000, v11
	v_xor_b32_e32 v10, 0x80000000, v10
	ds_write_b64 v21, v[10:11] offset:25024
; %bb.922:
	s_or_b64 exec, exec, s[0:1]
	s_waitcnt lgkmcnt(0)
	s_barrier
	s_barrier
	s_and_saveexec_b64 s[0:1], s[82:83]
	s_cbranch_execz .LBB69_924
; %bb.923:
	v_lshlrev_b32_e32 v21, 9, v0
	ds_read_b64 v[10:11], v21 offset:25024
	s_movk_i32 s8, 0xfe08
	v_mad_i32_i24 v22, v0, s8, v21
	s_waitcnt lgkmcnt(0)
	ds_write_b64 v22, v[10:11] offset:29056
	ds_read_b64 v[10:11], v21 offset:25032
	s_waitcnt lgkmcnt(0)
	ds_write_b64 v22, v[10:11] offset:29568
	ds_read_b64 v[10:11], v21 offset:25040
	;; [unrolled: 3-line block ×7, first 2 shown]
	s_waitcnt lgkmcnt(0)
	ds_write_b64 v22, v[10:11] offset:32640
.LBB69_924:
	s_or_b64 exec, exec, s[0:1]
	s_waitcnt lgkmcnt(0)
	s_barrier
	s_and_saveexec_b64 s[0:1], vcc
	s_cbranch_execz .LBB69_926
; %bb.925:
	v_mov_b32_e32 v23, 0
	ds_read_b64 v[10:11], v23 offset:29128
	s_mov_b64 s[8:9], 0x3f800000
	v_mov_b32_e32 v22, s9
	v_mov_b32_e32 v21, s8
	s_movk_i32 s8, 0x1c0
	ds_write_b64 v23, v[21:22] offset:29640
	v_add_u32_e64 v23, s8, 0
	s_waitcnt lgkmcnt(1)
	ds_write2st64_b64 v23, v[21:22], v[10:11] offset0:56 offset1:57
.LBB69_926:
	s_or_b64 exec, exec, s[0:1]
	v_mov_b32_e32 v11, 0
	v_mov_b32_e32 v10, 0
	s_waitcnt lgkmcnt(0)
	s_barrier
	s_and_saveexec_b64 s[0:1], s[2:3]
	s_cbranch_execz .LBB69_930
; %bb.927:
	v_mul_u32_u24_e32 v21, 0x208, v14
	ds_read_b64 v[10:11], v12 offset:29136
	ds_read_b64 v[21:22], v21 offset:29120
	v_cmp_gt_u32_e64 s[8:9], 2, v17
	s_waitcnt lgkmcnt(0)
	v_mul_f32_e32 v23, v22, v11
	v_mul_f32_e32 v11, v21, v11
	v_fma_f32 v21, v21, v10, -v23
	v_fmac_f32_e32 v11, v22, v10
	v_add_f32_e32 v10, 0, v21
	v_add_f32_e32 v11, 0, v11
	s_and_saveexec_b64 s[10:11], s[8:9]
	s_cbranch_execz .LBB69_929
; %bb.928:
	v_lshlrev_b32_e32 v21, 3, v0
	v_mov_b32_e32 v23, 0
	ds_read_b64 v[21:22], v21 offset:29648
	ds_read_b64 v[23:24], v23 offset:29128
	s_waitcnt lgkmcnt(0)
	v_mul_f32_e32 v25, v24, v22
	v_mul_f32_e32 v22, v23, v22
	v_fma_f32 v23, v23, v21, -v25
	v_fmac_f32_e32 v22, v24, v21
	v_add_f32_e32 v10, v10, v23
	v_add_f32_e32 v11, v11, v22
.LBB69_929:
	s_or_b64 exec, exec, s[10:11]
	v_xor_b32_e32 v10, 0x80000000, v10
	v_xor_b32_e32 v11, 0x80000000, v11
.LBB69_930:
	s_or_b64 exec, exec, s[0:1]
	s_and_saveexec_b64 s[0:1], s[36:37]
; %bb.931:
	ds_write_b64 v13, v[10:11]
; %bb.932:
	s_or_b64 exec, exec, s[0:1]
	s_waitcnt lgkmcnt(0)
	s_barrier
	s_and_saveexec_b64 s[0:1], s[34:35]
	s_cbranch_execz .LBB69_934
; %bb.933:
	v_mov_b32_e32 v21, 0
	ds_read_b64 v[21:22], v21 offset:30168
	ds_read_b64 v[23:24], v13
	s_waitcnt lgkmcnt(0)
	v_mul_f32_e32 v25, v24, v22
	v_mul_f32_e32 v22, v23, v22
	v_fma_f32 v23, v23, v21, -v25
	v_fmac_f32_e32 v22, v24, v21
	v_add_f32_e32 v10, v10, v23
	v_add_f32_e32 v11, v11, v22
.LBB69_934:
	s_or_b64 exec, exec, s[0:1]
	s_barrier
	s_and_saveexec_b64 s[0:1], s[34:35]
; %bb.935:
	ds_write_b64 v13, v[10:11]
; %bb.936:
	s_or_b64 exec, exec, s[0:1]
	s_waitcnt lgkmcnt(0)
	s_barrier
	s_barrier
	s_and_saveexec_b64 s[0:1], s[2:3]
; %bb.937:
	v_xor_b32_e32 v11, 0x80000000, v11
	v_xor_b32_e32 v10, 0x80000000, v10
	ds_write_b64 v12, v[10:11] offset:29136
; %bb.938:
	s_or_b64 exec, exec, s[0:1]
	s_waitcnt lgkmcnt(0)
	s_barrier
	s_barrier
	s_and_saveexec_b64 s[0:1], s[38:39]
	s_cbranch_execz .LBB69_940
; %bb.939:
	v_lshlrev_b32_e32 v21, 3, v0
	s_movk_i32 s8, 0x1f8
	v_mad_u32_u24 v22, v0, s8, v21
	ds_read_b64 v[10:11], v22 offset:29136
	s_waitcnt lgkmcnt(0)
	ds_write_b64 v21, v[10:11] offset:30144
	ds_read_b64 v[10:11], v22 offset:29144
	s_waitcnt lgkmcnt(0)
	ds_write_b64 v21, v[10:11] offset:30656
.LBB69_940:
	s_or_b64 exec, exec, s[0:1]
	s_waitcnt lgkmcnt(0)
	s_barrier
	s_and_saveexec_b64 s[0:1], vcc
	s_cbranch_execz .LBB69_942
; %bb.941:
	v_mov_b32_e32 v23, 0
	ds_read_b64 v[10:11], v23 offset:30168
	s_mov_b64 s[8:9], 0x3f800000
	v_mov_b32_e32 v22, s9
	v_mov_b32_e32 v21, s8
	s_movk_i32 s8, 0x1d0
	ds_write_b64 v23, v[21:22] offset:30680
	v_add_u32_e64 v23, s8, 0
	s_waitcnt lgkmcnt(1)
	ds_write2st64_b64 v23, v[21:22], v[10:11] offset0:58 offset1:59
.LBB69_942:
	s_or_b64 exec, exec, s[0:1]
	v_mov_b32_e32 v11, 0
	v_mov_b32_e32 v10, 0
	s_waitcnt lgkmcnt(0)
	s_barrier
	s_and_saveexec_b64 s[0:1], s[18:19]
	s_cbranch_execz .LBB69_948
; %bb.943:
	v_mul_u32_u24_e32 v21, 0x208, v20
	ds_read_b64 v[10:11], v15 offset:29152
	ds_read_b64 v[22:23], v21 offset:29120
	v_cmp_gt_u32_e64 s[8:9], 12, v17
	s_waitcnt lgkmcnt(0)
	v_mul_f32_e32 v24, v23, v11
	v_mul_f32_e32 v11, v22, v11
	v_fma_f32 v22, v22, v10, -v24
	v_fmac_f32_e32 v11, v23, v10
	v_add_f32_e32 v10, 0, v22
	v_add_f32_e32 v11, 0, v11
	s_and_saveexec_b64 s[10:11], s[8:9]
	s_cbranch_execnz .LBB69_1107
; %bb.944:
	s_or_b64 exec, exec, s[10:11]
	v_cmp_gt_u32_e64 s[8:9], 8, v17
	s_and_saveexec_b64 s[10:11], s[8:9]
	s_cbranch_execnz .LBB69_1108
.LBB69_945:
	s_or_b64 exec, exec, s[10:11]
	v_cmp_gt_u32_e64 s[8:9], 4, v17
	s_and_saveexec_b64 s[10:11], s[8:9]
	s_cbranch_execz .LBB69_947
.LBB69_946:
	v_lshlrev_b32_e32 v19, 3, v0
	v_mov_b32_e32 v21, 0
	ds_read_b64 v[19:20], v19 offset:30688
	ds_read_b64 v[21:22], v21 offset:29144
	s_waitcnt lgkmcnt(0)
	v_mul_f32_e32 v23, v22, v20
	v_mul_f32_e32 v20, v21, v20
	v_fma_f32 v21, v21, v19, -v23
	v_fmac_f32_e32 v20, v22, v19
	v_add_f32_e32 v10, v10, v21
	v_add_f32_e32 v11, v11, v20
.LBB69_947:
	s_or_b64 exec, exec, s[10:11]
	v_xor_b32_e32 v10, 0x80000000, v10
	v_xor_b32_e32 v11, 0x80000000, v11
.LBB69_948:
	s_or_b64 exec, exec, s[0:1]
	s_and_saveexec_b64 s[0:1], s[42:43]
; %bb.949:
	ds_write_b64 v18, v[10:11]
; %bb.950:
	s_or_b64 exec, exec, s[0:1]
	s_waitcnt lgkmcnt(0)
	s_barrier
	s_and_saveexec_b64 s[0:1], s[44:45]
	v_readlane_b32 s42, v42, 0
	v_readlane_b32 s43, v42, 1
	s_cbranch_execz .LBB69_952
; %bb.951:
	ds_read_b64 v[19:20], v16 offset:31200
	ds_read_b64 v[21:22], v18
	s_waitcnt lgkmcnt(0)
	v_mul_f32_e32 v23, v22, v20
	v_mul_f32_e32 v20, v21, v20
	v_fma_f32 v21, v21, v19, -v23
	v_fmac_f32_e32 v20, v22, v19
	v_add_f32_e32 v10, v10, v21
	v_add_f32_e32 v11, v11, v20
.LBB69_952:
	s_or_b64 exec, exec, s[0:1]
	s_barrier
	s_and_saveexec_b64 s[0:1], s[46:47]
; %bb.953:
	ds_write_b64 v18, v[10:11]
; %bb.954:
	s_or_b64 exec, exec, s[0:1]
	s_waitcnt lgkmcnt(0)
	s_barrier
	s_and_saveexec_b64 s[0:1], s[48:49]
	s_cbranch_execz .LBB69_956
; %bb.955:
	ds_read_b64 v[19:20], v16 offset:31712
	ds_read_b64 v[21:22], v18
	s_waitcnt lgkmcnt(0)
	v_mul_f32_e32 v16, v22, v20
	v_mul_f32_e32 v20, v21, v20
	v_fma_f32 v16, v21, v19, -v16
	v_fmac_f32_e32 v20, v22, v19
	v_add_f32_e32 v10, v10, v16
	v_add_f32_e32 v11, v11, v20
.LBB69_956:
	s_or_b64 exec, exec, s[0:1]
	s_barrier
	s_and_saveexec_b64 s[0:1], s[50:51]
; %bb.957:
	ds_write_b64 v18, v[10:11]
; %bb.958:
	s_or_b64 exec, exec, s[0:1]
	s_waitcnt lgkmcnt(0)
	s_barrier
	s_and_saveexec_b64 s[0:1], s[40:41]
	s_cbranch_execz .LBB69_960
; %bb.959:
	v_mov_b32_e32 v16, 0
	ds_read_b64 v[19:20], v16 offset:32248
	ds_read_b64 v[21:22], v18
	s_waitcnt lgkmcnt(0)
	v_mul_f32_e32 v16, v22, v20
	v_mul_f32_e32 v20, v21, v20
	v_fma_f32 v16, v21, v19, -v16
	v_fmac_f32_e32 v20, v22, v19
	v_add_f32_e32 v10, v10, v16
	v_add_f32_e32 v11, v11, v20
.LBB69_960:
	s_or_b64 exec, exec, s[0:1]
	s_barrier
	s_and_saveexec_b64 s[0:1], s[40:41]
; %bb.961:
	ds_write_b64 v18, v[10:11]
; %bb.962:
	s_or_b64 exec, exec, s[0:1]
	s_waitcnt lgkmcnt(0)
	s_barrier
	s_barrier
	s_and_saveexec_b64 s[0:1], s[18:19]
; %bb.963:
	v_xor_b32_e32 v10, 0x80000000, v10
	v_xor_b32_e32 v11, 0x80000000, v11
	ds_write_b64 v15, v[10:11] offset:29152
; %bb.964:
	s_or_b64 exec, exec, s[0:1]
	s_waitcnt lgkmcnt(0)
	s_barrier
	s_barrier
	s_and_saveexec_b64 s[0:1], s[52:53]
	s_cbranch_execz .LBB69_966
; %bb.965:
	v_lshlrev_b32_e32 v15, 9, v0
	ds_read_b64 v[10:11], v15 offset:29152
	s_movk_i32 s8, 0xfe08
	v_mad_i32_i24 v16, v0, s8, v15
	s_waitcnt lgkmcnt(0)
	ds_write_b64 v16, v[10:11] offset:31168
	ds_read_b64 v[10:11], v15 offset:29160
	s_waitcnt lgkmcnt(0)
	ds_write_b64 v16, v[10:11] offset:31680
	ds_read_b64 v[10:11], v15 offset:29168
	;; [unrolled: 3-line block ×3, first 2 shown]
	s_waitcnt lgkmcnt(0)
	ds_write_b64 v16, v[10:11] offset:32704
.LBB69_966:
	s_or_b64 exec, exec, s[0:1]
	s_waitcnt lgkmcnt(0)
	s_barrier
	s_and_saveexec_b64 s[0:1], vcc
	s_cbranch_execz .LBB69_968
; %bb.967:
	v_mov_b32_e32 v18, 0
	ds_read_b64 v[10:11], v18 offset:31208
	s_mov_b64 s[8:9], 0x3f800000
	v_mov_b32_e32 v16, s9
	v_mov_b32_e32 v15, s8
	s_movk_i32 s8, 0x1e0
	ds_write_b64 v18, v[15:16] offset:31720
	v_add_u32_e64 v18, s8, 0
	s_waitcnt lgkmcnt(1)
	ds_write2st64_b64 v18, v[15:16], v[10:11] offset0:60 offset1:61
.LBB69_968:
	s_or_b64 exec, exec, s[0:1]
	v_mov_b32_e32 v11, 0
	v_mov_b32_e32 v10, 0
	s_waitcnt lgkmcnt(0)
	s_barrier
	s_and_saveexec_b64 s[0:1], s[2:3]
	s_cbranch_execz .LBB69_972
; %bb.969:
	v_mul_u32_u24_e32 v14, 0x208, v14
	ds_read_b64 v[10:11], v12 offset:31216
	ds_read_b64 v[14:15], v14 offset:31200
	v_cmp_gt_u32_e64 s[8:9], 2, v17
	s_waitcnt lgkmcnt(0)
	v_mul_f32_e32 v16, v15, v11
	v_mul_f32_e32 v11, v14, v11
	v_fma_f32 v14, v14, v10, -v16
	v_fmac_f32_e32 v11, v15, v10
	v_add_f32_e32 v10, 0, v14
	v_add_f32_e32 v11, 0, v11
	s_and_saveexec_b64 s[10:11], s[8:9]
	s_cbranch_execz .LBB69_971
; %bb.970:
	v_lshlrev_b32_e32 v14, 3, v0
	v_mov_b32_e32 v16, 0
	ds_read_b64 v[14:15], v14 offset:31728
	ds_read_b64 v[18:19], v16 offset:31208
	s_waitcnt lgkmcnt(0)
	v_mul_f32_e32 v16, v19, v15
	v_mul_f32_e32 v15, v18, v15
	v_fma_f32 v16, v18, v14, -v16
	v_fmac_f32_e32 v15, v19, v14
	v_add_f32_e32 v10, v10, v16
	v_add_f32_e32 v11, v11, v15
.LBB69_971:
	s_or_b64 exec, exec, s[10:11]
	v_xor_b32_e32 v10, 0x80000000, v10
	v_xor_b32_e32 v11, 0x80000000, v11
.LBB69_972:
	s_or_b64 exec, exec, s[0:1]
	s_and_saveexec_b64 s[0:1], s[36:37]
; %bb.973:
	ds_write_b64 v13, v[10:11]
; %bb.974:
	s_or_b64 exec, exec, s[0:1]
	s_waitcnt lgkmcnt(0)
	s_barrier
	s_and_saveexec_b64 s[0:1], s[34:35]
	s_cbranch_execz .LBB69_976
; %bb.975:
	v_mov_b32_e32 v14, 0
	ds_read_b64 v[14:15], v14 offset:32248
	ds_read_b64 v[18:19], v13
	s_waitcnt lgkmcnt(0)
	v_mul_f32_e32 v16, v19, v15
	v_mul_f32_e32 v15, v18, v15
	v_fma_f32 v16, v18, v14, -v16
	v_fmac_f32_e32 v15, v19, v14
	v_add_f32_e32 v10, v10, v16
	v_add_f32_e32 v11, v11, v15
.LBB69_976:
	s_or_b64 exec, exec, s[0:1]
	s_barrier
	s_and_saveexec_b64 s[0:1], s[34:35]
; %bb.977:
	ds_write_b64 v13, v[10:11]
; %bb.978:
	s_or_b64 exec, exec, s[0:1]
	s_waitcnt lgkmcnt(0)
	s_barrier
	s_barrier
	s_and_saveexec_b64 s[0:1], s[2:3]
; %bb.979:
	v_xor_b32_e32 v11, 0x80000000, v11
	v_xor_b32_e32 v10, 0x80000000, v10
	ds_write_b64 v12, v[10:11] offset:31216
; %bb.980:
	s_or_b64 exec, exec, s[0:1]
	s_waitcnt lgkmcnt(0)
	s_barrier
	s_barrier
	s_and_saveexec_b64 s[0:1], s[38:39]
	s_cbranch_execz .LBB69_982
; %bb.981:
	v_lshlrev_b32_e32 v12, 3, v0
	s_movk_i32 s2, 0x1f8
	v_mad_u32_u24 v13, v0, s2, v12
	ds_read_b64 v[10:11], v13 offset:31216
	s_waitcnt lgkmcnt(0)
	ds_write_b64 v12, v[10:11] offset:32224
	ds_read_b64 v[10:11], v13 offset:31224
	s_waitcnt lgkmcnt(0)
	ds_write_b64 v12, v[10:11] offset:32736
.LBB69_982:
	s_or_b64 exec, exec, s[0:1]
	s_waitcnt lgkmcnt(0)
	s_barrier
	s_and_saveexec_b64 s[0:1], vcc
	s_cbranch_execz .LBB69_984
; %bb.983:
	v_mov_b32_e32 v14, 0
	ds_read_b64 v[10:11], v14 offset:32248
	s_mov_b64 s[2:3], 0x3f800000
	v_mov_b32_e32 v13, s3
	v_mov_b32_e32 v12, s2
	s_movk_i32 s2, 0x1f0
	ds_write_b64 v14, v[12:13] offset:32760
	v_add_u32_e64 v14, s2, 0
	s_waitcnt lgkmcnt(1)
	ds_write2st64_b64 v14, v[12:13], v[10:11] offset0:62 offset1:63
.LBB69_984:
	s_or_b64 exec, exec, s[0:1]
.LBB69_985:
	s_load_dwordx8 s[12:19], s[4:5], 0x30
	s_load_dwordx2 s[0:1], s[4:5], 0x50
	v_cmp_le_i32_e32 vcc, s84, v0
	v_mov_b32_e32 v10, 0
	v_lshl_add_u32 v12, s33, 6, v0
	s_waitcnt lgkmcnt(0)
	s_mul_i32 s3, s19, s28
	s_mul_hi_u32 s4, s18, s28
	s_mul_i32 s2, s18, s28
	s_add_i32 s3, s4, s3
	s_lshl_b64 s[2:3], s[2:3], 3
	s_add_u32 s4, s12, s2
	s_addc_u32 s5, s13, s3
	s_lshl_b64 s[2:3], s[14:15], 3
	s_add_u32 s34, s4, s2
	s_addc_u32 s35, s5, s3
	s_and_b64 s[14:15], vcc, s[22:23]
	v_cmp_eq_u32_e64 s[2:3], 0, v1
	s_xor_b64 s[4:5], s[14:15], -1
	s_and_b64 s[8:9], s[2:3], s[4:5]
	v_mov_b32_e32 v11, v10
	s_barrier
	s_and_saveexec_b64 s[4:5], s[8:9]
	s_cbranch_execz .LBB69_987
; %bb.986:
	v_ashrrev_i32_e32 v13, 31, v12
	v_mul_lo_u32 v14, s17, v12
	v_mad_u64_u32 v[10:11], s[8:9], s16, v12, 0
	v_mul_lo_u32 v13, s16, v13
	v_add3_u32 v11, v11, v13, v14
	v_lshlrev_b64 v[10:11], 3, v[10:11]
	v_mov_b32_e32 v13, s35
	v_add_co_u32_e32 v10, vcc, s34, v10
	v_addc_co_u32_e32 v11, vcc, v13, v11, vcc
	global_load_dwordx2 v[13:14], v[10:11], off
	s_waitcnt vmcnt(0)
	v_mul_f32_e32 v10, s26, v13
	v_mul_f32_e32 v11, s26, v14
	v_fma_f32 v10, s27, v14, -v10
	v_fma_f32 v11, v13, -s27, -v11
.LBB69_987:
	s_or_b64 exec, exec, s[4:5]
	s_and_b32 s4, 0xffff, s87
	v_mad_u32_u24 v18, v1, s4, v0
	s_cmp_lt_i32 s6, 1
	v_cmp_eq_u32_e64 s[4:5], 0, v18
	s_cbranch_scc1 .LBB69_1022
; %bb.988:
	v_ashrrev_i32_e32 v15, 31, v12
	v_mul_lo_u32 v16, s25, v12
	v_mad_u64_u32 v[13:14], s[8:9], s24, v12, 0
	v_mul_lo_u32 v15, s24, v15
	s_lshl_b64 s[8:9], s[28:29], 2
	s_add_u32 s18, s0, s8
	s_addc_u32 s19, s1, s9
	v_add3_u32 v14, v14, v15, v16
	v_cmp_gt_i32_e64 s[8:9], s30, v12
	v_lshlrev_b64 v[12:13], 3, v[13:14]
	v_mov_b32_e32 v15, 0xa000
	v_mov_b32_e32 v14, s86
	v_add_co_u32_e32 v21, vcc, s85, v12
	s_mov_b32 s24, 0
	v_cmp_gt_u32_e64 s[12:13], 64, v18
	v_lshl_add_u32 v19, v18, 3, v15
	v_lshl_or_b32 v20, v1, 3, v15
	s_add_i32 s25, s33, 1
	v_addc_co_u32_e32 v22, vcc, v14, v13, vcc
	v_mov_b32_e32 v23, -1
	v_mov_b32_e32 v12, 0
	s_branch .LBB69_991
.LBB69_989:                             ;   in Loop: Header=BB69_991 Depth=1
	ds_read_b64 v[13:14], v20 offset:384
	s_waitcnt vmcnt(0) lgkmcnt(0)
	v_mul_f32_e32 v24, v16, v14
	v_mul_f32_e32 v16, v16, v13
	v_fmac_f32_e32 v24, v15, v13
	v_fma_f32 v13, v15, v14, -v16
	v_add_f32_e32 v10, v10, v24
	v_add_f32_e32 v11, v11, v13
.LBB69_990:                             ;   in Loop: Header=BB69_991 Depth=1
	s_or_b64 exec, exec, s[20:21]
	s_add_i32 s24, s24, 1
	s_cmp_eq_u32 s24, s6
	s_cbranch_scc1 .LBB69_1022
.LBB69_991:                             ; =>This Loop Header: Depth=1
                                        ;     Child Loop BB69_993 Depth 2
	v_cmp_gt_i32_e32 vcc, s24, v23
	s_and_b64 s[20:21], s[4:5], vcc
	s_and_saveexec_b64 s[10:11], s[20:21]
	s_cbranch_execz .LBB69_994
; %bb.992:                              ;   in Loop: Header=BB69_991 Depth=1
	global_load_dword v23, v12, s[18:19]
	s_waitcnt vmcnt(0)
	v_cmp_le_i32_e32 vcc, s24, v23
	s_cbranch_vccnz .LBB69_994
.LBB69_993:                             ;   Parent Loop BB69_991 Depth=1
                                        ; =>  This Inner Loop Header: Depth=2
	buffer_wbinvl1_vol
	global_load_dword v23, v12, s[18:19]
	s_waitcnt vmcnt(0)
	v_cmp_gt_i32_e32 vcc, s24, v23
	s_cbranch_vccnz .LBB69_993
.LBB69_994:                             ;   in Loop: Header=BB69_991 Depth=1
	s_or_b64 exec, exec, s[10:11]
	s_sub_i32 s26, s7, s24
	s_lshl_b32 s27, s26, 6
	buffer_wbinvl1_vol
	s_barrier
	s_and_saveexec_b64 s[10:11], s[12:13]
	s_cbranch_execz .LBB69_999
; %bb.995:                              ;   in Loop: Header=BB69_991 Depth=1
	s_ashr_i32 s20, s27, 31
	v_mov_b32_e32 v14, s20
	v_or_b32_e32 v13, s27, v18
	v_cmp_le_i64_e32 vcc, s[30:31], v[13:14]
	s_and_saveexec_b64 s[20:21], vcc
	s_xor_b64 s[20:21], exec, s[20:21]
; %bb.996:                              ;   in Loop: Header=BB69_991 Depth=1
	v_mov_b32_e32 v13, v12
	ds_write_b64 v19, v[12:13]
                                        ; implicit-def: $vgpr13_vgpr14
; %bb.997:                              ;   in Loop: Header=BB69_991 Depth=1
	s_andn2_saveexec_b64 s[20:21], s[20:21]
	s_cbranch_execz .LBB69_999
; %bb.998:                              ;   in Loop: Header=BB69_991 Depth=1
	v_mul_lo_u32 v15, v14, s16
	v_mul_lo_u32 v16, v13, s17
	v_mad_u64_u32 v[13:14], s[20:21], v13, s16, 0
	v_add3_u32 v14, v14, v16, v15
	v_lshlrev_b64 v[13:14], 3, v[13:14]
	v_mov_b32_e32 v15, s35
	v_add_co_u32_e32 v13, vcc, s34, v13
	v_addc_co_u32_e32 v14, vcc, v15, v14, vcc
	global_load_dwordx2 v[13:14], v[13:14], off
	s_waitcnt vmcnt(0)
	ds_write_b64 v19, v[13:14]
.LBB69_999:                             ;   in Loop: Header=BB69_991 Depth=1
	s_or_b64 exec, exec, s[10:11]
	v_add_u32_e32 v15, s27, v1
	v_ashrrev_i32_e32 v16, 31, v15
	v_lshlrev_b64 v[13:14], 3, v[15:16]
	s_cmp_lg_u32 s26, s25
	v_add_co_u32_e32 v13, vcc, v21, v13
	s_cselect_b64 s[10:11], -1, 0
	v_addc_co_u32_e32 v14, vcc, v22, v14, vcc
	v_cmp_gt_i32_e32 vcc, s30, v15
	v_cndmask_b32_e64 v16, 0, 1, s[10:11]
	s_and_b64 s[26:27], vcc, s[8:9]
	v_cmp_ne_u32_e64 s[10:11], 1, v16
	s_waitcnt lgkmcnt(0)
	s_barrier
	s_and_saveexec_b64 s[20:21], s[26:27]
	s_cbranch_execz .LBB69_1005
; %bb.1000:                             ;   in Loop: Header=BB69_991 Depth=1
	s_and_b64 vcc, exec, s[10:11]
	v_mov_b32_e32 v16, v4
	s_cbranch_vccnz .LBB69_1002
; %bb.1001:                             ;   in Loop: Header=BB69_991 Depth=1
	global_load_dword v16, v[13:14], off
.LBB69_1002:                            ;   in Loop: Header=BB69_991 Depth=1
	s_and_b64 vcc, exec, s[10:11]
	v_mov_b32_e32 v24, v5
	s_cbranch_vccnz .LBB69_1004
; %bb.1003:                             ;   in Loop: Header=BB69_991 Depth=1
	global_load_dword v24, v[13:14], off offset:4
.LBB69_1004:                            ;   in Loop: Header=BB69_991 Depth=1
	ds_read_b64 v[25:26], v20
	s_waitcnt vmcnt(0) lgkmcnt(0)
	v_mul_f32_e32 v27, v24, v26
	v_mul_f32_e32 v24, v24, v25
	v_fmac_f32_e32 v27, v16, v25
	v_fma_f32 v16, v16, v26, -v24
	v_add_f32_e32 v10, v10, v27
	v_add_f32_e32 v11, v11, v16
.LBB69_1005:                            ;   in Loop: Header=BB69_991 Depth=1
	s_or_b64 exec, exec, s[20:21]
	v_add_u32_e32 v16, 16, v15
	v_cmp_gt_i32_e32 vcc, s30, v16
	s_and_b64 s[26:27], vcc, s[8:9]
	s_and_saveexec_b64 s[20:21], s[26:27]
	s_cbranch_execz .LBB69_1011
; %bb.1006:                             ;   in Loop: Header=BB69_991 Depth=1
	s_and_b64 vcc, exec, s[10:11]
	v_mov_b32_e32 v16, v2
	s_cbranch_vccnz .LBB69_1008
; %bb.1007:                             ;   in Loop: Header=BB69_991 Depth=1
	global_load_dword v16, v[13:14], off offset:128
.LBB69_1008:                            ;   in Loop: Header=BB69_991 Depth=1
	s_and_b64 vcc, exec, s[10:11]
	v_mov_b32_e32 v24, v3
	s_cbranch_vccnz .LBB69_1010
; %bb.1009:                             ;   in Loop: Header=BB69_991 Depth=1
	global_load_dword v24, v[13:14], off offset:132
.LBB69_1010:                            ;   in Loop: Header=BB69_991 Depth=1
	ds_read_b64 v[25:26], v20 offset:128
	s_waitcnt vmcnt(0) lgkmcnt(0)
	v_mul_f32_e32 v27, v24, v26
	v_mul_f32_e32 v24, v24, v25
	v_fmac_f32_e32 v27, v16, v25
	v_fma_f32 v16, v16, v26, -v24
	v_add_f32_e32 v10, v10, v27
	v_add_f32_e32 v11, v11, v16
.LBB69_1011:                            ;   in Loop: Header=BB69_991 Depth=1
	s_or_b64 exec, exec, s[20:21]
	v_add_u32_e32 v16, 32, v15
	v_cmp_gt_i32_e32 vcc, s30, v16
	s_and_b64 s[26:27], vcc, s[8:9]
	s_and_saveexec_b64 s[20:21], s[26:27]
	s_cbranch_execz .LBB69_1017
; %bb.1012:                             ;   in Loop: Header=BB69_991 Depth=1
	s_and_b64 vcc, exec, s[10:11]
	v_mov_b32_e32 v16, v8
	s_cbranch_vccnz .LBB69_1014
; %bb.1013:                             ;   in Loop: Header=BB69_991 Depth=1
	global_load_dword v16, v[13:14], off offset:256
.LBB69_1014:                            ;   in Loop: Header=BB69_991 Depth=1
	s_and_b64 vcc, exec, s[10:11]
	v_mov_b32_e32 v24, v9
	s_cbranch_vccnz .LBB69_1016
; %bb.1015:                             ;   in Loop: Header=BB69_991 Depth=1
	global_load_dword v24, v[13:14], off offset:260
.LBB69_1016:                            ;   in Loop: Header=BB69_991 Depth=1
	ds_read_b64 v[25:26], v20 offset:256
	s_waitcnt vmcnt(0) lgkmcnt(0)
	v_mul_f32_e32 v27, v24, v26
	v_mul_f32_e32 v24, v24, v25
	v_fmac_f32_e32 v27, v16, v25
	v_fma_f32 v16, v16, v26, -v24
	v_add_f32_e32 v10, v10, v27
	v_add_f32_e32 v11, v11, v16
.LBB69_1017:                            ;   in Loop: Header=BB69_991 Depth=1
	s_or_b64 exec, exec, s[20:21]
	v_add_u32_e32 v15, 48, v15
	v_cmp_gt_i32_e32 vcc, s30, v15
	s_and_b64 s[26:27], vcc, s[8:9]
	s_and_saveexec_b64 s[20:21], s[26:27]
	s_cbranch_execz .LBB69_990
; %bb.1018:                             ;   in Loop: Header=BB69_991 Depth=1
	s_and_b64 vcc, exec, s[10:11]
	v_mov_b32_e32 v15, v6
	s_cbranch_vccnz .LBB69_1020
; %bb.1019:                             ;   in Loop: Header=BB69_991 Depth=1
	global_load_dword v15, v[13:14], off offset:384
.LBB69_1020:                            ;   in Loop: Header=BB69_991 Depth=1
	s_and_b64 vcc, exec, s[10:11]
	v_mov_b32_e32 v16, v7
	s_cbranch_vccnz .LBB69_989
; %bb.1021:                             ;   in Loop: Header=BB69_991 Depth=1
	global_load_dword v16, v[13:14], off offset:388
	s_branch .LBB69_989
.LBB69_1022:
	s_xor_b64 s[4:5], s[22:23], -1
	v_lshlrev_b32_e32 v4, 3, v17
	ds_write_b64 v4, v[10:11] offset:32768
	s_waitcnt lgkmcnt(0)
	s_barrier
	s_and_saveexec_b64 s[6:7], s[2:3]
	s_cbranch_execz .LBB69_1024
; %bb.1023:
	v_lshlrev_b32_e32 v16, 3, v0
	ds_read2st64_b64 v[5:8], v16 offset0:65 offset1:66
	ds_read2st64_b64 v[12:15], v16 offset0:67 offset1:68
	ds_read_b64 v[2:3], v16 offset:40448
	s_waitcnt lgkmcnt(2)
	v_add_f32_e32 v5, v10, v5
	v_add_f32_e32 v6, v11, v6
	;; [unrolled: 1-line block ×4, first 2 shown]
	ds_read2st64_b64 v[5:8], v16 offset0:69 offset1:70
	s_waitcnt lgkmcnt(2)
	v_add_f32_e32 v9, v9, v12
	v_add_f32_e32 v10, v10, v13
	;; [unrolled: 1-line block ×4, first 2 shown]
	s_waitcnt lgkmcnt(0)
	v_add_f32_e32 v5, v9, v5
	ds_read2st64_b64 v[9:12], v16 offset0:71 offset1:72
	v_add_f32_e32 v6, v13, v6
	v_add_f32_e32 v13, v5, v7
	;; [unrolled: 1-line block ×3, first 2 shown]
	ds_read2st64_b64 v[5:8], v16 offset0:73 offset1:74
	s_waitcnt lgkmcnt(1)
	v_add_f32_e32 v9, v13, v9
	v_add_f32_e32 v10, v14, v10
	v_add_f32_e32 v9, v9, v11
	v_add_f32_e32 v13, v10, v12
	s_waitcnt lgkmcnt(0)
	v_add_f32_e32 v5, v9, v5
	ds_read2st64_b64 v[9:12], v16 offset0:75 offset1:76
	v_add_f32_e32 v6, v13, v6
	v_add_f32_e32 v13, v5, v7
	v_add_f32_e32 v14, v6, v8
	ds_read2st64_b64 v[5:8], v16 offset0:77 offset1:78
	s_waitcnt lgkmcnt(1)
	v_add_f32_e32 v9, v13, v9
	v_add_f32_e32 v10, v14, v10
	;; [unrolled: 1-line block ×4, first 2 shown]
	s_waitcnt lgkmcnt(0)
	v_add_f32_e32 v5, v9, v5
	v_add_f32_e32 v6, v10, v6
	;; [unrolled: 1-line block ×6, first 2 shown]
	v_cndmask_b32_e64 v10, -v2, 0, s[14:15]
	v_cndmask_b32_e64 v11, -v3, 0, s[14:15]
.LBB69_1024:
	s_or_b64 exec, exec, s[6:7]
	s_and_b64 vcc, exec, s[42:43]
	s_cbranch_vccnz .LBB69_1037
; %bb.1025:
	v_mov_b32_e32 v2, 0xa000
	v_lshl_or_b32 v5, v1, 3, v2
	s_and_saveexec_b64 s[6:7], s[2:3]
; %bb.1026:
	v_lshl_add_u32 v2, v0, 3, v5
	ds_write_b64 v2, v[10:11]
; %bb.1027:
	s_or_b64 exec, exec, s[6:7]
	v_cmp_le_u32_e32 vcc, v0, v1
	v_mov_b32_e32 v2, 0
	v_mov_b32_e32 v3, 0
	s_waitcnt lgkmcnt(0)
	s_barrier
	s_and_saveexec_b64 s[6:7], vcc
	s_cbranch_execz .LBB69_1029
; %bb.1028:
	ds_read_b64 v[2:3], v4
	ds_read_b64 v[6:7], v5
	s_waitcnt lgkmcnt(0)
	v_mul_f32_e32 v8, v7, v3
	v_mul_f32_e32 v3, v6, v3
	v_fma_f32 v6, v6, v2, -v8
	v_fmac_f32_e32 v3, v7, v2
	v_add_f32_e32 v2, 0, v6
	v_add_f32_e32 v3, 0, v3
.LBB69_1029:
	s_or_b64 exec, exec, s[6:7]
	v_add_u32_e32 v6, 16, v1
	v_cmp_le_u32_e32 vcc, v0, v6
	s_and_saveexec_b64 s[6:7], vcc
	s_cbranch_execz .LBB69_1031
; %bb.1030:
	ds_read_b64 v[6:7], v4 offset:8192
	ds_read_b64 v[8:9], v5 offset:128
	s_waitcnt lgkmcnt(0)
	v_mul_f32_e32 v12, v9, v7
	v_mul_f32_e32 v7, v8, v7
	v_fma_f32 v8, v8, v6, -v12
	v_fmac_f32_e32 v7, v9, v6
	v_add_f32_e32 v2, v2, v8
	v_add_f32_e32 v3, v3, v7
.LBB69_1031:
	s_or_b64 exec, exec, s[6:7]
	v_add_u32_e32 v6, 32, v1
	v_cmp_le_u32_e32 vcc, v0, v6
	s_and_saveexec_b64 s[6:7], vcc
	s_cbranch_execz .LBB69_1033
; %bb.1032:
	ds_read_b64 v[6:7], v4 offset:16384
	ds_read_b64 v[8:9], v5 offset:256
	s_waitcnt lgkmcnt(0)
	v_mul_f32_e32 v12, v9, v7
	v_mul_f32_e32 v7, v8, v7
	v_fma_f32 v8, v8, v6, -v12
	v_fmac_f32_e32 v7, v9, v6
	v_add_f32_e32 v2, v2, v8
	v_add_f32_e32 v3, v3, v7
.LBB69_1033:
	s_or_b64 exec, exec, s[6:7]
	v_add_u32_e32 v1, 48, v1
	v_add_u32_e32 v6, 0x8000, v4
	v_cmp_le_u32_e32 vcc, v0, v1
	s_and_saveexec_b64 s[6:7], vcc
	s_cbranch_execz .LBB69_1035
; %bb.1034:
	ds_read_b64 v[7:8], v4 offset:24576
	ds_read_b64 v[4:5], v5 offset:384
	s_waitcnt lgkmcnt(0)
	v_mul_f32_e32 v1, v5, v8
	v_mul_f32_e32 v8, v4, v8
	v_fma_f32 v1, v4, v7, -v1
	v_fmac_f32_e32 v8, v5, v7
	v_add_f32_e32 v2, v2, v1
	v_add_f32_e32 v3, v3, v8
.LBB69_1035:
	s_or_b64 exec, exec, s[6:7]
	s_mov_b64 s[8:9], 0
	s_mov_b64 s[6:7], 0
	ds_write_b64 v6, v[2:3]
	s_waitcnt lgkmcnt(0)
	s_barrier
                                        ; implicit-def: $vgpr1
                                        ; implicit-def: $vgpr4
	s_and_saveexec_b64 s[10:11], s[2:3]
	s_cbranch_execz .LBB69_1055
; %bb.1036:
	v_lshlrev_b32_e32 v9, 3, v0
	ds_read2st64_b64 v[4:7], v9 offset0:65 offset1:66
	ds_read2st64_b64 v[12:15], v9 offset0:67 offset1:68
	ds_read_b64 v[16:17], v9 offset:40448
	s_mov_b64 s[6:7], exec
	s_waitcnt lgkmcnt(2)
	v_add_f32_e32 v1, v2, v4
	v_add_f32_e32 v2, v3, v5
	;; [unrolled: 1-line block ×4, first 2 shown]
	ds_read2st64_b64 v[1:4], v9 offset0:69 offset1:70
	s_waitcnt lgkmcnt(2)
	v_add_f32_e32 v5, v5, v12
	v_add_f32_e32 v6, v6, v13
	;; [unrolled: 1-line block ×4, first 2 shown]
	s_waitcnt lgkmcnt(0)
	v_add_f32_e32 v1, v5, v1
	ds_read2st64_b64 v[5:8], v9 offset0:71 offset1:72
	v_add_f32_e32 v2, v12, v2
	v_add_f32_e32 v12, v1, v3
	;; [unrolled: 1-line block ×3, first 2 shown]
	ds_read2st64_b64 v[1:4], v9 offset0:73 offset1:74
	s_waitcnt lgkmcnt(1)
	v_add_f32_e32 v5, v12, v5
	v_add_f32_e32 v6, v13, v6
	;; [unrolled: 1-line block ×4, first 2 shown]
	s_waitcnt lgkmcnt(0)
	v_add_f32_e32 v1, v5, v1
	ds_read2st64_b64 v[5:8], v9 offset0:75 offset1:76
	v_add_f32_e32 v2, v12, v2
	v_add_f32_e32 v12, v1, v3
	;; [unrolled: 1-line block ×3, first 2 shown]
	ds_read2st64_b64 v[1:4], v9 offset0:77 offset1:78
	s_waitcnt lgkmcnt(1)
	v_add_f32_e32 v5, v12, v5
	v_add_f32_e32 v6, v13, v6
	;; [unrolled: 1-line block ×4, first 2 shown]
	s_waitcnt lgkmcnt(0)
	v_add_f32_e32 v1, v5, v1
	v_add_f32_e32 v2, v6, v2
	;; [unrolled: 1-line block ×6, first 2 shown]
	s_or_b64 exec, exec, s[10:11]
	s_and_b64 vcc, exec, s[8:9]
	s_cbranch_vccnz .LBB69_1038
	s_branch .LBB69_1056
.LBB69_1037:
	s_mov_b64 s[6:7], 0
                                        ; implicit-def: $vgpr1
                                        ; implicit-def: $vgpr4
	s_cbranch_execz .LBB69_1056
.LBB69_1038:
	v_mov_b32_e32 v1, 0x7c00
	v_lshl_add_u32 v1, v0, 3, v1
	v_mov_b32_e32 v3, 63
	v_mov_b32_e32 v2, 0
	s_branch .LBB69_1040
.LBB69_1039:                            ;   in Loop: Header=BB69_1040 Depth=1
	s_or_b64 exec, exec, s[8:9]
	v_subrev_co_u32_e32 v3, vcc, 1, v3
	s_andn2_b64 vcc, exec, vcc
	v_add_u32_e32 v1, 0xfffffc00, v1
	s_barrier
	s_cbranch_vccz .LBB69_1048
.LBB69_1040:                            ; =>This Inner Loop Header: Depth=1
	v_cmp_eq_u32_e32 vcc, v0, v3
	s_and_b64 s[10:11], s[2:3], vcc
	s_and_saveexec_b64 s[8:9], s[10:11]
; %bb.1041:                             ;   in Loop: Header=BB69_1040 Depth=1
	ds_write_b64 v2, v[10:11] offset:41472
; %bb.1042:                             ;   in Loop: Header=BB69_1040 Depth=1
	s_or_b64 exec, exec, s[8:9]
	v_cmp_lt_u32_e32 vcc, v0, v3
	s_and_b64 s[10:11], s[2:3], vcc
	s_waitcnt lgkmcnt(0)
	s_barrier
	s_and_saveexec_b64 s[8:9], s[10:11]
	s_cbranch_execz .LBB69_1044
; %bb.1043:                             ;   in Loop: Header=BB69_1040 Depth=1
	ds_read_b64 v[4:5], v1 offset:512
	ds_read_b64 v[6:7], v2 offset:41472
	s_waitcnt lgkmcnt(0)
	v_mul_f32_e32 v8, v7, v5
	v_mul_f32_e32 v5, v6, v5
	v_fma_f32 v6, v6, v4, -v8
	v_fmac_f32_e32 v5, v7, v4
	v_add_f32_e32 v10, v10, v6
	v_add_f32_e32 v11, v11, v5
.LBB69_1044:                            ;   in Loop: Header=BB69_1040 Depth=1
	s_or_b64 exec, exec, s[8:9]
	v_add_u32_e32 v3, -1, v3
	v_cmp_eq_u32_e32 vcc, v0, v3
	s_and_b64 s[10:11], s[2:3], vcc
	s_barrier
	s_and_saveexec_b64 s[8:9], s[10:11]
; %bb.1045:                             ;   in Loop: Header=BB69_1040 Depth=1
	ds_write_b64 v2, v[10:11] offset:41472
; %bb.1046:                             ;   in Loop: Header=BB69_1040 Depth=1
	s_or_b64 exec, exec, s[8:9]
	v_cmp_lt_u32_e32 vcc, v0, v3
	s_and_b64 s[10:11], s[2:3], vcc
	s_waitcnt lgkmcnt(0)
	s_barrier
	s_and_saveexec_b64 s[8:9], s[10:11]
	s_cbranch_execz .LBB69_1039
; %bb.1047:                             ;   in Loop: Header=BB69_1040 Depth=1
	ds_read_b64 v[4:5], v1
	ds_read_b64 v[6:7], v2 offset:41472
	s_waitcnt lgkmcnt(0)
	v_mul_f32_e32 v8, v7, v5
	v_mul_f32_e32 v5, v6, v5
	v_fma_f32 v6, v6, v4, -v8
	v_fmac_f32_e32 v5, v7, v4
	v_add_f32_e32 v10, v10, v6
	v_add_f32_e32 v11, v11, v5
	s_branch .LBB69_1039
.LBB69_1048:
	s_mov_b64 s[8:9], -1
	s_and_b64 vcc, exec, s[4:5]
	s_cbranch_vccnz .LBB69_1057
; %bb.1049:
	s_andn2_b64 vcc, exec, s[8:9]
	s_cbranch_vccz .LBB69_1058
.LBB69_1050:
	s_and_saveexec_b64 s[2:3], s[6:7]
	s_cbranch_execz .LBB69_1052
.LBB69_1051:
	s_lshl_b32 s4, s33, 6
	s_ashr_i32 s5, s4, 31
	v_mov_b32_e32 v0, s5
	v_add_co_u32_e32 v1, vcc, s4, v18
	v_addc_co_u32_e32 v0, vcc, 0, v0, vcc
	v_mul_lo_u32 v2, v0, s16
	v_mul_lo_u32 v3, v1, s17
	v_mad_u64_u32 v[0:1], s[4:5], v1, s16, 0
	v_add3_u32 v1, v1, v3, v2
	v_lshlrev_b64 v[0:1], 3, v[0:1]
	v_mov_b32_e32 v2, s35
	v_add_co_u32_e32 v0, vcc, s34, v0
	v_addc_co_u32_e32 v1, vcc, v2, v1, vcc
	global_store_dwordx2 v[0:1], v[10:11], off
.LBB69_1052:
	s_or_b64 exec, exec, s[2:3]
	v_cmp_eq_u32_e32 vcc, 0, v18
	s_waitcnt vmcnt(0)
	buffer_wbinvl1_vol
	s_barrier
	s_and_saveexec_b64 s[2:3], vcc
	s_cbranch_execz .LBB69_1054
; %bb.1053:
	s_lshl_b64 s[4:5], s[28:29], 2
	s_add_u32 s0, s0, s4
	s_addc_u32 s1, s1, s5
	v_mov_b32_e32 v0, 0
	global_load_dword v1, v0, s[0:1]
	s_waitcnt vmcnt(0)
	v_add_u32_e32 v1, 1, v1
	global_store_dword v0, v1, s[0:1]
.LBB69_1054:
	s_or_b64 exec, exec, s[2:3]
	s_waitcnt vmcnt(0)
	buffer_wbinvl1_vol
	s_endpgm
.LBB69_1055:
	s_or_b64 exec, exec, s[10:11]
	s_and_b64 vcc, exec, s[8:9]
	s_cbranch_vccnz .LBB69_1038
.LBB69_1056:
	v_mov_b32_e32 v11, v1
	v_mov_b32_e32 v10, v4
	s_and_saveexec_b64 s[2:3], s[6:7]
	s_cbranch_execnz .LBB69_1051
	s_branch .LBB69_1052
.LBB69_1057:
	s_andn2_b64 s[4:5], s[6:7], exec
	s_and_b64 s[6:7], s[2:3], exec
	s_or_b64 s[6:7], s[4:5], s[6:7]
	s_cbranch_execnz .LBB69_1050
.LBB69_1058:
	v_cmp_gt_i32_e32 vcc, s84, v0
	s_and_b64 s[2:3], s[2:3], vcc
	s_andn2_b64 s[4:5], s[6:7], exec
	s_and_b64 s[2:3], s[2:3], exec
	s_or_b64 s[6:7], s[4:5], s[2:3]
	s_and_saveexec_b64 s[2:3], s[6:7]
	s_cbranch_execnz .LBB69_1051
	s_branch .LBB69_1052
.LBB69_1059:
	v_lshlrev_b32_e32 v21, 3, v20
	v_sub_u32_e32 v21, v18, v21
	v_lshl_add_u32 v21, v19, 3, v21
	ds_read_b64 v[21:22], v21 offset:544
	ds_read_b64 v[23:24], v18 offset:8
	s_waitcnt lgkmcnt(0)
	v_mul_f32_e32 v25, v24, v22
	v_mul_f32_e32 v22, v23, v22
	v_fma_f32 v23, v23, v21, -v25
	v_fmac_f32_e32 v22, v24, v21
	v_add_f32_e32 v10, v10, v23
	v_add_f32_e32 v11, v11, v22
	s_or_b64 exec, exec, s[14:15]
	v_cmp_gt_u32_e64 s[10:11], 8, v17
	s_and_saveexec_b64 s[14:15], s[10:11]
	s_cbranch_execz .LBB69_85
.LBB69_1060:
	ds_read_b64 v[21:22], v15 offset:1056
	ds_read_b64 v[23:24], v18 offset:16
	s_waitcnt lgkmcnt(0)
	v_mul_f32_e32 v18, v24, v22
	v_mul_f32_e32 v22, v23, v22
	v_fma_f32 v18, v23, v21, -v18
	v_fmac_f32_e32 v22, v24, v21
	v_add_f32_e32 v10, v10, v18
	v_add_f32_e32 v11, v11, v22
	s_or_b64 exec, exec, s[14:15]
	v_cmp_gt_u32_e64 s[10:11], 4, v17
	s_and_saveexec_b64 s[14:15], s[10:11]
	s_cbranch_execnz .LBB69_86
	s_branch .LBB69_87
.LBB69_1061:
	v_lshlrev_b32_e32 v26, 3, v25
	v_sub_u32_e32 v26, v23, v26
	v_lshl_add_u32 v26, v24, 3, v26
	ds_read_b64 v[26:27], v26 offset:576
	ds_read_b64 v[28:29], v23 offset:8
	s_waitcnt lgkmcnt(0)
	v_mul_f32_e32 v30, v29, v27
	v_mul_f32_e32 v27, v28, v27
	v_fma_f32 v28, v28, v26, -v30
	v_fmac_f32_e32 v27, v29, v26
	v_add_f32_e32 v10, v10, v28
	v_add_f32_e32 v11, v11, v27
	s_or_b64 exec, exec, s[16:17]
	v_cmp_gt_u32_e64 s[14:15], 48, v17
	s_and_saveexec_b64 s[16:17], s[14:15]
	s_cbranch_execz .LBB69_127
.LBB69_1062:
	v_lshlrev_b32_e32 v26, 3, v25
	v_sub_u32_e32 v26, v23, v26
	v_lshl_add_u32 v26, v24, 3, v26
	ds_read_b64 v[26:27], v26 offset:1088
	ds_read_b64 v[28:29], v23 offset:16
	s_waitcnt lgkmcnt(0)
	v_mul_f32_e32 v30, v29, v27
	v_mul_f32_e32 v27, v28, v27
	v_fma_f32 v28, v28, v26, -v30
	v_fmac_f32_e32 v27, v29, v26
	v_add_f32_e32 v10, v10, v28
	v_add_f32_e32 v11, v11, v27
	s_or_b64 exec, exec, s[16:17]
	v_cmp_gt_u32_e64 s[14:15], 40, v17
	s_and_saveexec_b64 s[16:17], s[14:15]
	s_cbranch_execz .LBB69_128
.LBB69_1063:
	v_lshlrev_b32_e32 v26, 3, v25
	v_sub_u32_e32 v26, v23, v26
	v_lshl_add_u32 v26, v24, 3, v26
	ds_read_b64 v[26:27], v26 offset:1600
	ds_read_b64 v[28:29], v23 offset:24
	s_waitcnt lgkmcnt(0)
	v_mul_f32_e32 v30, v29, v27
	v_mul_f32_e32 v27, v28, v27
	v_fma_f32 v28, v28, v26, -v30
	v_fmac_f32_e32 v27, v29, v26
	v_add_f32_e32 v10, v10, v28
	v_add_f32_e32 v11, v11, v27
	s_or_b64 exec, exec, s[16:17]
	v_cmp_gt_u32_e64 s[14:15], 32, v17
	s_and_saveexec_b64 s[16:17], s[14:15]
	s_cbranch_execz .LBB69_129
.LBB69_1064:
	ds_read_b64 v[26:27], v21 offset:2112
	ds_read_b64 v[28:29], v23 offset:32
	s_waitcnt lgkmcnt(0)
	v_mul_f32_e32 v30, v29, v27
	v_mul_f32_e32 v27, v28, v27
	v_fma_f32 v28, v28, v26, -v30
	v_fmac_f32_e32 v27, v29, v26
	v_add_f32_e32 v10, v10, v28
	v_add_f32_e32 v11, v11, v27
	s_or_b64 exec, exec, s[16:17]
	v_cmp_gt_u32_e64 s[14:15], 24, v17
	s_and_saveexec_b64 s[16:17], s[14:15]
	s_cbranch_execz .LBB69_130
.LBB69_1065:
	v_lshlrev_b32_e32 v26, 3, v25
	v_sub_u32_e32 v26, v23, v26
	v_lshl_add_u32 v26, v24, 3, v26
	ds_read_b64 v[26:27], v26 offset:2624
	ds_read_b64 v[28:29], v23 offset:40
	s_waitcnt lgkmcnt(0)
	v_mul_f32_e32 v30, v29, v27
	v_mul_f32_e32 v27, v28, v27
	v_fma_f32 v28, v28, v26, -v30
	v_fmac_f32_e32 v27, v29, v26
	v_add_f32_e32 v10, v10, v28
	v_add_f32_e32 v11, v11, v27
	s_or_b64 exec, exec, s[16:17]
	v_cmp_gt_u32_e64 s[14:15], 16, v17
	s_and_saveexec_b64 s[16:17], s[14:15]
	s_cbranch_execz .LBB69_131
.LBB69_1066:
	ds_read_b64 v[26:27], v21 offset:3136
	ds_read_b64 v[28:29], v23 offset:48
	s_waitcnt lgkmcnt(0)
	v_mul_f32_e32 v23, v29, v27
	v_mul_f32_e32 v27, v28, v27
	v_fma_f32 v23, v28, v26, -v23
	v_fmac_f32_e32 v27, v29, v26
	v_add_f32_e32 v10, v10, v23
	v_add_f32_e32 v11, v11, v27
	s_or_b64 exec, exec, s[16:17]
	v_cmp_gt_u32_e64 s[14:15], 8, v17
	s_and_saveexec_b64 s[16:17], s[14:15]
	s_cbranch_execnz .LBB69_132
	s_branch .LBB69_133
.LBB69_1067:
	v_lshlrev_b32_e32 v27, 3, v20
	v_sub_u32_e32 v27, v26, v27
	v_lshl_add_u32 v27, v19, 3, v27
	ds_read_b64 v[27:28], v27 offset:4704
	ds_read_b64 v[29:30], v26 offset:4168
	s_waitcnt lgkmcnt(0)
	v_mul_f32_e32 v31, v30, v28
	v_mul_f32_e32 v28, v29, v28
	v_fma_f32 v29, v29, v27, -v31
	v_fmac_f32_e32 v28, v30, v27
	v_add_f32_e32 v10, v10, v29
	v_add_f32_e32 v11, v11, v28
	s_or_b64 exec, exec, s[14:15]
	v_cmp_gt_u32_e64 s[10:11], 8, v17
	s_and_saveexec_b64 s[14:15], s[10:11]
	s_cbranch_execz .LBB69_189
.LBB69_1068:
	ds_read_b64 v[27:28], v15 offset:5216
	ds_read_b64 v[29:30], v26 offset:4176
	s_waitcnt lgkmcnt(0)
	v_mul_f32_e32 v26, v30, v28
	v_mul_f32_e32 v28, v29, v28
	v_fma_f32 v26, v29, v27, -v26
	v_fmac_f32_e32 v28, v30, v27
	v_add_f32_e32 v10, v10, v26
	v_add_f32_e32 v11, v11, v28
	s_or_b64 exec, exec, s[14:15]
	v_cmp_gt_u32_e64 s[10:11], 4, v17
	s_and_saveexec_b64 s[14:15], s[10:11]
	s_cbranch_execnz .LBB69_190
	s_branch .LBB69_191
.LBB69_1069:
	v_lshlrev_b32_e32 v31, 3, v27
	v_lshl_add_u32 v31, v29, 3, v31
	ds_read_b64 v[31:32], v31 offset:5760
	ds_read_b64 v[33:34], v28 offset:88
	s_waitcnt lgkmcnt(0)
	v_mul_f32_e32 v35, v34, v32
	v_mul_f32_e32 v32, v33, v32
	v_fma_f32 v33, v33, v31, -v35
	v_fmac_f32_e32 v32, v34, v31
	v_add_f32_e32 v10, v10, v33
	v_add_f32_e32 v11, v11, v32
	s_or_b64 exec, exec, s[20:21]
	v_cmp_gt_u32_e64 s[16:17], 64, v17
	s_and_saveexec_b64 s[20:21], s[16:17]
	s_cbranch_execz .LBB69_251
.LBB69_1070:
	ds_read_b64 v[31:32], v26 offset:6272
	ds_read_b64 v[33:34], v28 offset:96
	s_waitcnt lgkmcnt(0)
	v_mul_f32_e32 v35, v34, v32
	v_mul_f32_e32 v32, v33, v32
	v_fma_f32 v33, v33, v31, -v35
	v_fmac_f32_e32 v32, v34, v31
	v_add_f32_e32 v10, v10, v33
	v_add_f32_e32 v11, v11, v32
	s_or_b64 exec, exec, s[20:21]
	v_cmp_gt_u32_e64 s[16:17], 48, v17
	s_and_saveexec_b64 s[20:21], s[16:17]
	s_cbranch_execz .LBB69_252
.LBB69_1071:
	v_lshlrev_b32_e32 v31, 3, v27
	v_lshl_add_u32 v31, v29, 3, v31
	ds_read_b64 v[31:32], v31 offset:6784
	ds_read_b64 v[33:34], v28 offset:104
	s_waitcnt lgkmcnt(0)
	v_mul_f32_e32 v35, v34, v32
	v_mul_f32_e32 v32, v33, v32
	v_fma_f32 v33, v33, v31, -v35
	v_fmac_f32_e32 v32, v34, v31
	v_add_f32_e32 v10, v10, v33
	v_add_f32_e32 v11, v11, v32
	s_or_b64 exec, exec, s[20:21]
	v_cmp_gt_u32_e64 s[16:17], 32, v17
	s_and_saveexec_b64 s[20:21], s[16:17]
	s_cbranch_execz .LBB69_253
.LBB69_1072:
	ds_read_b64 v[31:32], v26 offset:7296
	ds_read_b64 v[33:34], v28 offset:112
	s_waitcnt lgkmcnt(0)
	v_mul_f32_e32 v28, v34, v32
	v_mul_f32_e32 v32, v33, v32
	v_fma_f32 v28, v33, v31, -v28
	v_fmac_f32_e32 v32, v34, v31
	v_add_f32_e32 v10, v10, v28
	v_add_f32_e32 v11, v11, v32
	s_or_b64 exec, exec, s[20:21]
	v_cmp_gt_u32_e64 s[16:17], 16, v17
	s_and_saveexec_b64 s[20:21], s[16:17]
	s_cbranch_execnz .LBB69_254
	s_branch .LBB69_255
.LBB69_1073:
	v_lshlrev_b32_e32 v32, 3, v20
	v_sub_u32_e32 v32, v31, v32
	v_lshl_add_u32 v32, v19, 3, v32
	ds_read_b64 v[32:33], v32 offset:8864
	ds_read_b64 v[34:35], v31 offset:8328
	s_waitcnt lgkmcnt(0)
	v_mul_f32_e32 v36, v35, v33
	v_mul_f32_e32 v33, v34, v33
	v_fma_f32 v34, v34, v32, -v36
	v_fmac_f32_e32 v33, v35, v32
	v_add_f32_e32 v10, v10, v34
	v_add_f32_e32 v11, v11, v33
	s_or_b64 exec, exec, s[16:17]
	v_cmp_gt_u32_e64 s[14:15], 8, v17
	s_and_saveexec_b64 s[16:17], s[14:15]
	s_cbranch_execz .LBB69_343
.LBB69_1074:
	ds_read_b64 v[32:33], v15 offset:9376
	ds_read_b64 v[34:35], v31 offset:8336
	s_waitcnt lgkmcnt(0)
	v_mul_f32_e32 v31, v35, v33
	v_mul_f32_e32 v33, v34, v33
	v_fma_f32 v31, v34, v32, -v31
	v_fmac_f32_e32 v33, v35, v32
	v_add_f32_e32 v10, v10, v31
	v_add_f32_e32 v11, v11, v33
	s_or_b64 exec, exec, s[16:17]
	v_cmp_gt_u32_e64 s[14:15], 4, v17
	s_and_saveexec_b64 s[16:17], s[14:15]
	s_cbranch_execnz .LBB69_344
	s_branch .LBB69_345
.LBB69_1075:
	v_lshlrev_b32_e32 v32, 3, v25
	v_sub_u32_e32 v32, v31, v32
	v_lshl_add_u32 v32, v24, 3, v32
	ds_read_b64 v[32:33], v32 offset:8896
	ds_read_b64 v[34:35], v31 offset:8328
	s_waitcnt lgkmcnt(0)
	v_mul_f32_e32 v36, v35, v33
	v_mul_f32_e32 v33, v34, v33
	v_fma_f32 v34, v34, v32, -v36
	v_fmac_f32_e32 v33, v35, v32
	v_add_f32_e32 v10, v10, v34
	v_add_f32_e32 v11, v11, v33
	s_or_b64 exec, exec, s[16:17]
	v_cmp_gt_u32_e64 s[14:15], 48, v17
	s_and_saveexec_b64 s[16:17], s[14:15]
	s_cbranch_execz .LBB69_385
.LBB69_1076:
	v_lshlrev_b32_e32 v32, 3, v25
	v_sub_u32_e32 v32, v31, v32
	v_lshl_add_u32 v32, v24, 3, v32
	ds_read_b64 v[32:33], v32 offset:9408
	ds_read_b64 v[34:35], v31 offset:8336
	s_waitcnt lgkmcnt(0)
	v_mul_f32_e32 v36, v35, v33
	v_mul_f32_e32 v33, v34, v33
	v_fma_f32 v34, v34, v32, -v36
	v_fmac_f32_e32 v33, v35, v32
	v_add_f32_e32 v10, v10, v34
	v_add_f32_e32 v11, v11, v33
	s_or_b64 exec, exec, s[16:17]
	v_cmp_gt_u32_e64 s[14:15], 40, v17
	s_and_saveexec_b64 s[16:17], s[14:15]
	s_cbranch_execz .LBB69_386
.LBB69_1077:
	v_lshlrev_b32_e32 v32, 3, v25
	v_sub_u32_e32 v32, v31, v32
	v_lshl_add_u32 v32, v24, 3, v32
	ds_read_b64 v[32:33], v32 offset:9920
	ds_read_b64 v[34:35], v31 offset:8344
	s_waitcnt lgkmcnt(0)
	v_mul_f32_e32 v36, v35, v33
	v_mul_f32_e32 v33, v34, v33
	v_fma_f32 v34, v34, v32, -v36
	v_fmac_f32_e32 v33, v35, v32
	v_add_f32_e32 v10, v10, v34
	v_add_f32_e32 v11, v11, v33
	s_or_b64 exec, exec, s[16:17]
	v_cmp_gt_u32_e64 s[14:15], 32, v17
	s_and_saveexec_b64 s[16:17], s[14:15]
	s_cbranch_execz .LBB69_387
.LBB69_1078:
	ds_read_b64 v[32:33], v21 offset:10432
	ds_read_b64 v[34:35], v31 offset:8352
	s_waitcnt lgkmcnt(0)
	v_mul_f32_e32 v36, v35, v33
	v_mul_f32_e32 v33, v34, v33
	v_fma_f32 v34, v34, v32, -v36
	v_fmac_f32_e32 v33, v35, v32
	v_add_f32_e32 v10, v10, v34
	v_add_f32_e32 v11, v11, v33
	s_or_b64 exec, exec, s[16:17]
	v_cmp_gt_u32_e64 s[14:15], 24, v17
	s_and_saveexec_b64 s[16:17], s[14:15]
	s_cbranch_execz .LBB69_388
.LBB69_1079:
	v_lshlrev_b32_e32 v32, 3, v25
	v_sub_u32_e32 v32, v31, v32
	v_lshl_add_u32 v32, v24, 3, v32
	ds_read_b64 v[32:33], v32 offset:10944
	ds_read_b64 v[34:35], v31 offset:8360
	s_waitcnt lgkmcnt(0)
	v_mul_f32_e32 v36, v35, v33
	v_mul_f32_e32 v33, v34, v33
	v_fma_f32 v34, v34, v32, -v36
	v_fmac_f32_e32 v33, v35, v32
	v_add_f32_e32 v10, v10, v34
	v_add_f32_e32 v11, v11, v33
	s_or_b64 exec, exec, s[16:17]
	v_cmp_gt_u32_e64 s[14:15], 16, v17
	s_and_saveexec_b64 s[16:17], s[14:15]
	s_cbranch_execz .LBB69_389
.LBB69_1080:
	ds_read_b64 v[32:33], v21 offset:11456
	ds_read_b64 v[34:35], v31 offset:8368
	s_waitcnt lgkmcnt(0)
	v_mul_f32_e32 v31, v35, v33
	v_mul_f32_e32 v33, v34, v33
	v_fma_f32 v31, v34, v32, -v31
	v_fmac_f32_e32 v33, v35, v32
	v_add_f32_e32 v10, v10, v31
	v_add_f32_e32 v11, v11, v33
	s_or_b64 exec, exec, s[16:17]
	v_cmp_gt_u32_e64 s[14:15], 8, v17
	s_and_saveexec_b64 s[16:17], s[14:15]
	s_cbranch_execnz .LBB69_390
	s_branch .LBB69_391
.LBB69_1081:
	v_lshlrev_b32_e32 v32, 3, v20
	v_sub_u32_e32 v32, v31, v32
	v_lshl_add_u32 v32, v19, 3, v32
	ds_read_b64 v[32:33], v32 offset:13024
	ds_read_b64 v[34:35], v31 offset:12488
	s_waitcnt lgkmcnt(0)
	v_mul_f32_e32 v36, v35, v33
	v_mul_f32_e32 v33, v34, v33
	v_fma_f32 v34, v34, v32, -v36
	v_fmac_f32_e32 v33, v35, v32
	v_add_f32_e32 v10, v10, v34
	v_add_f32_e32 v11, v11, v33
	s_or_b64 exec, exec, s[16:17]
	v_cmp_gt_u32_e64 s[14:15], 8, v17
	s_and_saveexec_b64 s[16:17], s[14:15]
	s_cbranch_execz .LBB69_447
.LBB69_1082:
	ds_read_b64 v[32:33], v15 offset:13536
	ds_read_b64 v[34:35], v31 offset:12496
	s_waitcnt lgkmcnt(0)
	v_mul_f32_e32 v31, v35, v33
	v_mul_f32_e32 v33, v34, v33
	v_fma_f32 v31, v34, v32, -v31
	v_fmac_f32_e32 v33, v35, v32
	v_add_f32_e32 v10, v10, v31
	v_add_f32_e32 v11, v11, v33
	s_or_b64 exec, exec, s[16:17]
	v_cmp_gt_u32_e64 s[14:15], 4, v17
	s_and_saveexec_b64 s[16:17], s[14:15]
	s_cbranch_execnz .LBB69_448
	s_branch .LBB69_449
.LBB69_1083:
	ds_read_b64 v[37:38], v36 offset:15104
	ds_read_b64 v[39:40], v35 offset:232
	s_waitcnt lgkmcnt(0)
	v_mul_f32_e32 v41, v40, v38
	v_mul_f32_e32 v38, v39, v38
	v_fma_f32 v39, v39, v37, -v41
	v_fmac_f32_e32 v38, v40, v37
	v_add_f32_e32 v10, v10, v39
	v_add_f32_e32 v11, v11, v38
	s_or_b64 exec, exec, s[92:93]
	v_cmp_gt_u32_e64 s[20:21], 64, v17
	s_and_saveexec_b64 s[92:93], s[20:21]
	s_cbranch_execz .LBB69_545
.LBB69_1084:
	ds_read_b64 v[36:37], v36 offset:15616
	ds_read_b64 v[38:39], v35 offset:240
	s_waitcnt lgkmcnt(0)
	v_mul_f32_e32 v40, v39, v37
	v_mul_f32_e32 v37, v38, v37
	v_fma_f32 v38, v38, v36, -v40
	v_fmac_f32_e32 v37, v39, v36
	v_add_f32_e32 v10, v10, v38
	v_add_f32_e32 v11, v11, v37
	s_or_b64 exec, exec, s[92:93]
	v_cmp_gt_u32_e64 s[20:21], 32, v17
	s_and_saveexec_b64 s[92:93], s[20:21]
	s_cbranch_execnz .LBB69_546
	s_branch .LBB69_547
.LBB69_1085:
	v_lshlrev_b32_e32 v32, 3, v20
	v_sub_u32_e32 v32, v31, v32
	v_lshl_add_u32 v32, v19, 3, v32
	ds_read_b64 v[32:33], v32 offset:17184
	ds_read_b64 v[34:35], v31 offset:16648
	s_waitcnt lgkmcnt(0)
	v_mul_f32_e32 v36, v35, v33
	v_mul_f32_e32 v33, v34, v33
	v_fma_f32 v34, v34, v32, -v36
	v_fmac_f32_e32 v33, v35, v32
	v_add_f32_e32 v10, v10, v34
	v_add_f32_e32 v11, v11, v33
	s_or_b64 exec, exec, s[14:15]
	v_cmp_gt_u32_e64 s[12:13], 8, v17
	s_and_saveexec_b64 s[14:15], s[12:13]
	s_cbranch_execz .LBB69_583
.LBB69_1086:
	ds_read_b64 v[32:33], v15 offset:17696
	ds_read_b64 v[34:35], v31 offset:16656
	s_waitcnt lgkmcnt(0)
	v_mul_f32_e32 v31, v35, v33
	v_mul_f32_e32 v33, v34, v33
	v_fma_f32 v31, v34, v32, -v31
	v_fmac_f32_e32 v33, v35, v32
	v_add_f32_e32 v10, v10, v31
	v_add_f32_e32 v11, v11, v33
	s_or_b64 exec, exec, s[14:15]
	v_cmp_gt_u32_e64 s[12:13], 4, v17
	s_and_saveexec_b64 s[14:15], s[12:13]
	s_cbranch_execnz .LBB69_584
	s_branch .LBB69_585
.LBB69_1087:
	v_lshlrev_b32_e32 v32, 3, v25
	v_sub_u32_e32 v32, v31, v32
	v_lshl_add_u32 v32, v24, 3, v32
	ds_read_b64 v[32:33], v32 offset:17216
	ds_read_b64 v[34:35], v31 offset:16648
	s_waitcnt lgkmcnt(0)
	v_mul_f32_e32 v36, v35, v33
	v_mul_f32_e32 v33, v34, v33
	v_fma_f32 v34, v34, v32, -v36
	v_fmac_f32_e32 v33, v35, v32
	v_add_f32_e32 v10, v10, v34
	v_add_f32_e32 v11, v11, v33
	s_or_b64 exec, exec, s[14:15]
	v_cmp_gt_u32_e64 s[12:13], 48, v17
	s_and_saveexec_b64 s[14:15], s[12:13]
	s_cbranch_execz .LBB69_625
.LBB69_1088:
	v_lshlrev_b32_e32 v32, 3, v25
	v_sub_u32_e32 v32, v31, v32
	v_lshl_add_u32 v32, v24, 3, v32
	ds_read_b64 v[32:33], v32 offset:17728
	ds_read_b64 v[34:35], v31 offset:16656
	s_waitcnt lgkmcnt(0)
	v_mul_f32_e32 v36, v35, v33
	v_mul_f32_e32 v33, v34, v33
	v_fma_f32 v34, v34, v32, -v36
	v_fmac_f32_e32 v33, v35, v32
	v_add_f32_e32 v10, v10, v34
	v_add_f32_e32 v11, v11, v33
	s_or_b64 exec, exec, s[14:15]
	v_cmp_gt_u32_e64 s[12:13], 40, v17
	s_and_saveexec_b64 s[14:15], s[12:13]
	s_cbranch_execz .LBB69_626
.LBB69_1089:
	v_lshlrev_b32_e32 v32, 3, v25
	v_sub_u32_e32 v32, v31, v32
	v_lshl_add_u32 v32, v24, 3, v32
	ds_read_b64 v[32:33], v32 offset:18240
	ds_read_b64 v[34:35], v31 offset:16664
	s_waitcnt lgkmcnt(0)
	v_mul_f32_e32 v36, v35, v33
	v_mul_f32_e32 v33, v34, v33
	v_fma_f32 v34, v34, v32, -v36
	v_fmac_f32_e32 v33, v35, v32
	v_add_f32_e32 v10, v10, v34
	v_add_f32_e32 v11, v11, v33
	s_or_b64 exec, exec, s[14:15]
	v_cmp_gt_u32_e64 s[12:13], 32, v17
	s_and_saveexec_b64 s[14:15], s[12:13]
	s_cbranch_execz .LBB69_627
.LBB69_1090:
	ds_read_b64 v[32:33], v21 offset:18752
	ds_read_b64 v[34:35], v31 offset:16672
	s_waitcnt lgkmcnt(0)
	v_mul_f32_e32 v36, v35, v33
	v_mul_f32_e32 v33, v34, v33
	v_fma_f32 v34, v34, v32, -v36
	v_fmac_f32_e32 v33, v35, v32
	v_add_f32_e32 v10, v10, v34
	v_add_f32_e32 v11, v11, v33
	s_or_b64 exec, exec, s[14:15]
	v_cmp_gt_u32_e64 s[12:13], 24, v17
	s_and_saveexec_b64 s[14:15], s[12:13]
	s_cbranch_execz .LBB69_628
.LBB69_1091:
	v_lshlrev_b32_e32 v32, 3, v25
	v_sub_u32_e32 v32, v31, v32
	v_lshl_add_u32 v32, v24, 3, v32
	ds_read_b64 v[32:33], v32 offset:19264
	ds_read_b64 v[34:35], v31 offset:16680
	s_waitcnt lgkmcnt(0)
	v_mul_f32_e32 v36, v35, v33
	v_mul_f32_e32 v33, v34, v33
	v_fma_f32 v34, v34, v32, -v36
	v_fmac_f32_e32 v33, v35, v32
	v_add_f32_e32 v10, v10, v34
	v_add_f32_e32 v11, v11, v33
	s_or_b64 exec, exec, s[14:15]
	v_cmp_gt_u32_e64 s[12:13], 16, v17
	s_and_saveexec_b64 s[14:15], s[12:13]
	s_cbranch_execz .LBB69_629
.LBB69_1092:
	ds_read_b64 v[32:33], v21 offset:19776
	ds_read_b64 v[34:35], v31 offset:16688
	s_waitcnt lgkmcnt(0)
	v_mul_f32_e32 v31, v35, v33
	v_mul_f32_e32 v33, v34, v33
	v_fma_f32 v31, v34, v32, -v31
	v_fmac_f32_e32 v33, v35, v32
	v_add_f32_e32 v10, v10, v31
	v_add_f32_e32 v11, v11, v33
	s_or_b64 exec, exec, s[14:15]
	v_cmp_gt_u32_e64 s[12:13], 8, v17
	s_and_saveexec_b64 s[14:15], s[12:13]
	s_cbranch_execnz .LBB69_630
	s_branch .LBB69_631
.LBB69_1093:
	v_lshlrev_b32_e32 v32, 3, v20
	v_sub_u32_e32 v32, v31, v32
	v_lshl_add_u32 v32, v19, 3, v32
	ds_read_b64 v[32:33], v32 offset:21344
	ds_read_b64 v[34:35], v31 offset:20808
	s_waitcnt lgkmcnt(0)
	v_mul_f32_e32 v36, v35, v33
	v_mul_f32_e32 v33, v34, v33
	v_fma_f32 v34, v34, v32, -v36
	v_fmac_f32_e32 v33, v35, v32
	v_add_f32_e32 v10, v10, v34
	v_add_f32_e32 v11, v11, v33
	s_or_b64 exec, exec, s[14:15]
	v_cmp_gt_u32_e64 s[12:13], 8, v17
	s_and_saveexec_b64 s[14:15], s[12:13]
	s_cbranch_execz .LBB69_687
.LBB69_1094:
	ds_read_b64 v[32:33], v15 offset:21856
	ds_read_b64 v[34:35], v31 offset:20816
	s_waitcnt lgkmcnt(0)
	v_mul_f32_e32 v31, v35, v33
	v_mul_f32_e32 v33, v34, v33
	v_fma_f32 v31, v34, v32, -v31
	v_fmac_f32_e32 v33, v35, v32
	v_add_f32_e32 v10, v10, v31
	v_add_f32_e32 v11, v11, v33
	s_or_b64 exec, exec, s[14:15]
	v_cmp_gt_u32_e64 s[12:13], 4, v17
	s_and_saveexec_b64 s[14:15], s[12:13]
	s_cbranch_execnz .LBB69_688
	s_branch .LBB69_689
.LBB69_1095:
	v_lshlrev_b32_e32 v30, 3, v27
	v_lshl_add_u32 v30, v29, 3, v30
	ds_read_b64 v[32:33], v30 offset:22400
	ds_read_b64 v[34:35], v31 offset:16728
	s_waitcnt lgkmcnt(0)
	v_mul_f32_e32 v30, v35, v33
	v_mul_f32_e32 v33, v34, v33
	v_fma_f32 v30, v34, v32, -v30
	v_fmac_f32_e32 v33, v35, v32
	v_add_f32_e32 v10, v10, v30
	v_add_f32_e32 v11, v11, v33
	s_or_b64 exec, exec, s[14:15]
	v_cmp_gt_u32_e64 s[12:13], 64, v17
	s_and_saveexec_b64 s[14:15], s[12:13]
	s_cbranch_execz .LBB69_749
.LBB69_1096:
	ds_read_b64 v[32:33], v26 offset:22912
	ds_read_b64 v[34:35], v31 offset:16736
	s_waitcnt lgkmcnt(0)
	v_mul_f32_e32 v30, v35, v33
	v_mul_f32_e32 v33, v34, v33
	v_fma_f32 v30, v34, v32, -v30
	v_fmac_f32_e32 v33, v35, v32
	v_add_f32_e32 v10, v10, v30
	v_add_f32_e32 v11, v11, v33
	s_or_b64 exec, exec, s[14:15]
	v_cmp_gt_u32_e64 s[12:13], 48, v17
	s_and_saveexec_b64 s[14:15], s[12:13]
	s_cbranch_execz .LBB69_750
.LBB69_1097:
	v_lshlrev_b32_e32 v30, 3, v27
	v_lshl_add_u32 v29, v29, 3, v30
	ds_read_b64 v[29:30], v29 offset:23424
	ds_read_b64 v[32:33], v31 offset:16744
	s_waitcnt lgkmcnt(0)
	v_mul_f32_e32 v34, v33, v30
	v_mul_f32_e32 v30, v32, v30
	v_fma_f32 v32, v32, v29, -v34
	v_fmac_f32_e32 v30, v33, v29
	v_add_f32_e32 v10, v10, v32
	v_add_f32_e32 v11, v11, v30
	s_or_b64 exec, exec, s[14:15]
	v_cmp_gt_u32_e64 s[12:13], 32, v17
	s_and_saveexec_b64 s[14:15], s[12:13]
	s_cbranch_execz .LBB69_751
.LBB69_1098:
	ds_read_b64 v[29:30], v26 offset:23936
	ds_read_b64 v[31:32], v31 offset:16752
	s_waitcnt lgkmcnt(0)
	v_mul_f32_e32 v33, v32, v30
	v_mul_f32_e32 v30, v31, v30
	v_fma_f32 v31, v31, v29, -v33
	v_fmac_f32_e32 v30, v32, v29
	v_add_f32_e32 v10, v10, v31
	v_add_f32_e32 v11, v11, v30
	s_or_b64 exec, exec, s[14:15]
	v_cmp_gt_u32_e64 s[12:13], 16, v17
	s_and_saveexec_b64 s[14:15], s[12:13]
	s_cbranch_execnz .LBB69_752
	s_branch .LBB69_753
.LBB69_1099:
	v_lshlrev_b32_e32 v27, 3, v20
	v_sub_u32_e32 v27, v26, v27
	v_lshl_add_u32 v27, v19, 3, v27
	ds_read_b64 v[27:28], v27 offset:25504
	ds_read_b64 v[29:30], v26 offset:24968
	s_waitcnt lgkmcnt(0)
	v_mul_f32_e32 v31, v30, v28
	v_mul_f32_e32 v28, v29, v28
	v_fma_f32 v29, v29, v27, -v31
	v_fmac_f32_e32 v28, v30, v27
	v_add_f32_e32 v10, v10, v29
	v_add_f32_e32 v11, v11, v28
	s_or_b64 exec, exec, s[12:13]
	v_cmp_gt_u32_e64 s[10:11], 8, v17
	s_and_saveexec_b64 s[12:13], s[10:11]
	s_cbranch_execz .LBB69_841
.LBB69_1100:
	ds_read_b64 v[27:28], v15 offset:26016
	ds_read_b64 v[29:30], v26 offset:24976
	s_waitcnt lgkmcnt(0)
	v_mul_f32_e32 v26, v30, v28
	v_mul_f32_e32 v28, v29, v28
	v_fma_f32 v26, v29, v27, -v26
	v_fmac_f32_e32 v28, v30, v27
	v_add_f32_e32 v10, v10, v26
	v_add_f32_e32 v11, v11, v28
	s_or_b64 exec, exec, s[12:13]
	v_cmp_gt_u32_e64 s[10:11], 4, v17
	s_and_saveexec_b64 s[12:13], s[10:11]
	s_cbranch_execnz .LBB69_842
	s_branch .LBB69_843
.LBB69_1101:
	v_lshlrev_b32_e32 v27, 3, v25
	v_sub_u32_e32 v27, v26, v27
	v_lshl_add_u32 v27, v24, 3, v27
	ds_read_b64 v[27:28], v27 offset:25536
	ds_read_b64 v[29:30], v26 offset:24968
	s_waitcnt lgkmcnt(0)
	v_mul_f32_e32 v31, v30, v28
	v_mul_f32_e32 v28, v29, v28
	v_fma_f32 v29, v29, v27, -v31
	v_fmac_f32_e32 v28, v30, v27
	v_add_f32_e32 v10, v10, v29
	v_add_f32_e32 v11, v11, v28
	s_or_b64 exec, exec, s[12:13]
	v_cmp_gt_u32_e64 s[10:11], 48, v17
	s_and_saveexec_b64 s[12:13], s[10:11]
	s_cbranch_execz .LBB69_883
.LBB69_1102:
	v_lshlrev_b32_e32 v27, 3, v25
	v_sub_u32_e32 v27, v26, v27
	v_lshl_add_u32 v27, v24, 3, v27
	ds_read_b64 v[27:28], v27 offset:26048
	ds_read_b64 v[29:30], v26 offset:24976
	s_waitcnt lgkmcnt(0)
	v_mul_f32_e32 v31, v30, v28
	v_mul_f32_e32 v28, v29, v28
	v_fma_f32 v29, v29, v27, -v31
	v_fmac_f32_e32 v28, v30, v27
	v_add_f32_e32 v10, v10, v29
	v_add_f32_e32 v11, v11, v28
	s_or_b64 exec, exec, s[12:13]
	v_cmp_gt_u32_e64 s[10:11], 40, v17
	s_and_saveexec_b64 s[12:13], s[10:11]
	s_cbranch_execz .LBB69_884
.LBB69_1103:
	v_lshlrev_b32_e32 v27, 3, v25
	v_sub_u32_e32 v27, v26, v27
	v_lshl_add_u32 v27, v24, 3, v27
	ds_read_b64 v[27:28], v27 offset:26560
	ds_read_b64 v[29:30], v26 offset:24984
	s_waitcnt lgkmcnt(0)
	v_mul_f32_e32 v31, v30, v28
	v_mul_f32_e32 v28, v29, v28
	v_fma_f32 v29, v29, v27, -v31
	v_fmac_f32_e32 v28, v30, v27
	v_add_f32_e32 v10, v10, v29
	v_add_f32_e32 v11, v11, v28
	s_or_b64 exec, exec, s[12:13]
	v_cmp_gt_u32_e64 s[10:11], 32, v17
	s_and_saveexec_b64 s[12:13], s[10:11]
	s_cbranch_execz .LBB69_885
.LBB69_1104:
	ds_read_b64 v[27:28], v21 offset:27072
	ds_read_b64 v[29:30], v26 offset:24992
	s_waitcnt lgkmcnt(0)
	v_mul_f32_e32 v31, v30, v28
	v_mul_f32_e32 v28, v29, v28
	v_fma_f32 v29, v29, v27, -v31
	v_fmac_f32_e32 v28, v30, v27
	v_add_f32_e32 v10, v10, v29
	v_add_f32_e32 v11, v11, v28
	s_or_b64 exec, exec, s[12:13]
	v_cmp_gt_u32_e64 s[10:11], 24, v17
	s_and_saveexec_b64 s[12:13], s[10:11]
	s_cbranch_execz .LBB69_886
.LBB69_1105:
	v_lshlrev_b32_e32 v25, 3, v25
	v_sub_u32_e32 v25, v26, v25
	v_lshl_add_u32 v24, v24, 3, v25
	ds_read_b64 v[24:25], v24 offset:27584
	ds_read_b64 v[27:28], v26 offset:25000
	s_waitcnt lgkmcnt(0)
	v_mul_f32_e32 v29, v28, v25
	v_mul_f32_e32 v25, v27, v25
	v_fma_f32 v27, v27, v24, -v29
	v_fmac_f32_e32 v25, v28, v24
	v_add_f32_e32 v10, v10, v27
	v_add_f32_e32 v11, v11, v25
	s_or_b64 exec, exec, s[12:13]
	v_cmp_gt_u32_e64 s[10:11], 16, v17
	s_and_saveexec_b64 s[12:13], s[10:11]
	s_cbranch_execz .LBB69_887
.LBB69_1106:
	ds_read_b64 v[24:25], v21 offset:28096
	ds_read_b64 v[26:27], v26 offset:25008
	s_waitcnt lgkmcnt(0)
	v_mul_f32_e32 v28, v27, v25
	v_mul_f32_e32 v25, v26, v25
	v_fma_f32 v26, v26, v24, -v28
	v_fmac_f32_e32 v25, v27, v24
	v_add_f32_e32 v10, v10, v26
	v_add_f32_e32 v11, v11, v25
	s_or_b64 exec, exec, s[12:13]
	v_cmp_gt_u32_e64 s[10:11], 8, v17
	s_and_saveexec_b64 s[12:13], s[10:11]
	s_cbranch_execnz .LBB69_888
	s_branch .LBB69_889
.LBB69_1107:
	v_lshlrev_b32_e32 v20, 3, v20
	v_sub_u32_e32 v20, v21, v20
	v_lshl_add_u32 v19, v19, 3, v20
	ds_read_b64 v[19:20], v19 offset:29664
	ds_read_b64 v[22:23], v21 offset:29128
	s_waitcnt lgkmcnt(0)
	v_mul_f32_e32 v24, v23, v20
	v_mul_f32_e32 v20, v22, v20
	v_fma_f32 v22, v22, v19, -v24
	v_fmac_f32_e32 v20, v23, v19
	v_add_f32_e32 v10, v10, v22
	v_add_f32_e32 v11, v11, v20
	s_or_b64 exec, exec, s[10:11]
	v_cmp_gt_u32_e64 s[8:9], 8, v17
	s_and_saveexec_b64 s[10:11], s[8:9]
	s_cbranch_execz .LBB69_945
.LBB69_1108:
	ds_read_b64 v[19:20], v15 offset:30176
	ds_read_b64 v[21:22], v21 offset:29136
	s_waitcnt lgkmcnt(0)
	v_mul_f32_e32 v23, v22, v20
	v_mul_f32_e32 v20, v21, v20
	v_fma_f32 v21, v21, v19, -v23
	v_fmac_f32_e32 v20, v22, v19
	v_add_f32_e32 v10, v10, v21
	v_add_f32_e32 v11, v11, v20
	s_or_b64 exec, exec, s[10:11]
	v_cmp_gt_u32_e64 s[8:9], 4, v17
	s_and_saveexec_b64 s[10:11], s[8:9]
	s_cbranch_execnz .LBB69_946
	s_branch .LBB69_947
	.section	.rodata,"a",@progbits
	.p2align	6, 0x0
	.amdhsa_kernel _ZL19rocblas_trsv_deviceILi64ELi16ELb1ELb1ELb1ELb1E19rocblas_complex_numIfES1_PKS1_PS1_EviT7_lllT6_T8_lllPii
		.amdhsa_group_segment_fixed_size 41480
		.amdhsa_private_segment_fixed_size 0
		.amdhsa_kernarg_size 352
		.amdhsa_user_sgpr_count 6
		.amdhsa_user_sgpr_private_segment_buffer 1
		.amdhsa_user_sgpr_dispatch_ptr 0
		.amdhsa_user_sgpr_queue_ptr 0
		.amdhsa_user_sgpr_kernarg_segment_ptr 1
		.amdhsa_user_sgpr_dispatch_id 0
		.amdhsa_user_sgpr_flat_scratch_init 0
		.amdhsa_user_sgpr_private_segment_size 0
		.amdhsa_uses_dynamic_stack 0
		.amdhsa_system_sgpr_private_segment_wavefront_offset 0
		.amdhsa_system_sgpr_workgroup_id_x 1
		.amdhsa_system_sgpr_workgroup_id_y 0
		.amdhsa_system_sgpr_workgroup_id_z 1
		.amdhsa_system_sgpr_workgroup_info 0
		.amdhsa_system_vgpr_workitem_id 1
		.amdhsa_next_free_vgpr 49
		.amdhsa_next_free_sgpr 98
		.amdhsa_reserve_vcc 1
		.amdhsa_reserve_flat_scratch 0
		.amdhsa_float_round_mode_32 0
		.amdhsa_float_round_mode_16_64 0
		.amdhsa_float_denorm_mode_32 3
		.amdhsa_float_denorm_mode_16_64 3
		.amdhsa_dx10_clamp 1
		.amdhsa_ieee_mode 1
		.amdhsa_fp16_overflow 0
		.amdhsa_exception_fp_ieee_invalid_op 0
		.amdhsa_exception_fp_denorm_src 0
		.amdhsa_exception_fp_ieee_div_zero 0
		.amdhsa_exception_fp_ieee_overflow 0
		.amdhsa_exception_fp_ieee_underflow 0
		.amdhsa_exception_fp_ieee_inexact 0
		.amdhsa_exception_int_div_zero 0
	.end_amdhsa_kernel
	.section	.text._ZL19rocblas_trsv_deviceILi64ELi16ELb1ELb1ELb1ELb1E19rocblas_complex_numIfES1_PKS1_PS1_EviT7_lllT6_T8_lllPii,"axG",@progbits,_ZL19rocblas_trsv_deviceILi64ELi16ELb1ELb1ELb1ELb1E19rocblas_complex_numIfES1_PKS1_PS1_EviT7_lllT6_T8_lllPii,comdat
.Lfunc_end69:
	.size	_ZL19rocblas_trsv_deviceILi64ELi16ELb1ELb1ELb1ELb1E19rocblas_complex_numIfES1_PKS1_PS1_EviT7_lllT6_T8_lllPii, .Lfunc_end69-_ZL19rocblas_trsv_deviceILi64ELi16ELb1ELb1ELb1ELb1E19rocblas_complex_numIfES1_PKS1_PS1_EviT7_lllT6_T8_lllPii
                                        ; -- End function
	.set _ZL19rocblas_trsv_deviceILi64ELi16ELb1ELb1ELb1ELb1E19rocblas_complex_numIfES1_PKS1_PS1_EviT7_lllT6_T8_lllPii.num_vgpr, 43
	.set _ZL19rocblas_trsv_deviceILi64ELi16ELb1ELb1ELb1ELb1E19rocblas_complex_numIfES1_PKS1_PS1_EviT7_lllT6_T8_lllPii.num_agpr, 0
	.set _ZL19rocblas_trsv_deviceILi64ELi16ELb1ELb1ELb1ELb1E19rocblas_complex_numIfES1_PKS1_PS1_EviT7_lllT6_T8_lllPii.numbered_sgpr, 96
	.set _ZL19rocblas_trsv_deviceILi64ELi16ELb1ELb1ELb1ELb1E19rocblas_complex_numIfES1_PKS1_PS1_EviT7_lllT6_T8_lllPii.num_named_barrier, 0
	.set _ZL19rocblas_trsv_deviceILi64ELi16ELb1ELb1ELb1ELb1E19rocblas_complex_numIfES1_PKS1_PS1_EviT7_lllT6_T8_lllPii.private_seg_size, 0
	.set _ZL19rocblas_trsv_deviceILi64ELi16ELb1ELb1ELb1ELb1E19rocblas_complex_numIfES1_PKS1_PS1_EviT7_lllT6_T8_lllPii.uses_vcc, 1
	.set _ZL19rocblas_trsv_deviceILi64ELi16ELb1ELb1ELb1ELb1E19rocblas_complex_numIfES1_PKS1_PS1_EviT7_lllT6_T8_lllPii.uses_flat_scratch, 0
	.set _ZL19rocblas_trsv_deviceILi64ELi16ELb1ELb1ELb1ELb1E19rocblas_complex_numIfES1_PKS1_PS1_EviT7_lllT6_T8_lllPii.has_dyn_sized_stack, 0
	.set _ZL19rocblas_trsv_deviceILi64ELi16ELb1ELb1ELb1ELb1E19rocblas_complex_numIfES1_PKS1_PS1_EviT7_lllT6_T8_lllPii.has_recursion, 0
	.set _ZL19rocblas_trsv_deviceILi64ELi16ELb1ELb1ELb1ELb1E19rocblas_complex_numIfES1_PKS1_PS1_EviT7_lllT6_T8_lllPii.has_indirect_call, 0
	.section	.AMDGPU.csdata,"",@progbits
; Kernel info:
; codeLenInByte = 38948
; TotalNumSgprs: 100
; NumVgprs: 43
; ScratchSize: 0
; MemoryBound: 0
; FloatMode: 240
; IeeeMode: 1
; LDSByteSize: 41480 bytes/workgroup (compile time only)
; SGPRBlocks: 12
; VGPRBlocks: 12
; NumSGPRsForWavesPerEU: 102
; NumVGPRsForWavesPerEU: 49
; Occupancy: 4
; WaveLimiterHint : 0
; COMPUTE_PGM_RSRC2:SCRATCH_EN: 0
; COMPUTE_PGM_RSRC2:USER_SGPR: 6
; COMPUTE_PGM_RSRC2:TRAP_HANDLER: 0
; COMPUTE_PGM_RSRC2:TGID_X_EN: 1
; COMPUTE_PGM_RSRC2:TGID_Y_EN: 0
; COMPUTE_PGM_RSRC2:TGID_Z_EN: 1
; COMPUTE_PGM_RSRC2:TIDIG_COMP_CNT: 1
	.section	.text._ZL19rocblas_trsv_deviceILi64ELi16ELb1ELb0ELb0ELb0E19rocblas_complex_numIfES1_PKS1_PS1_EviT7_lllT6_T8_lllPii,"axG",@progbits,_ZL19rocblas_trsv_deviceILi64ELi16ELb1ELb0ELb0ELb0E19rocblas_complex_numIfES1_PKS1_PS1_EviT7_lllT6_T8_lllPii,comdat
	.globl	_ZL19rocblas_trsv_deviceILi64ELi16ELb1ELb0ELb0ELb0E19rocblas_complex_numIfES1_PKS1_PS1_EviT7_lllT6_T8_lllPii ; -- Begin function _ZL19rocblas_trsv_deviceILi64ELi16ELb1ELb0ELb0ELb0E19rocblas_complex_numIfES1_PKS1_PS1_EviT7_lllT6_T8_lllPii
	.p2align	8
	.type	_ZL19rocblas_trsv_deviceILi64ELi16ELb1ELb0ELb0ELb0E19rocblas_complex_numIfES1_PKS1_PS1_EviT7_lllT6_T8_lllPii,@function
_ZL19rocblas_trsv_deviceILi64ELi16ELb1ELb0ELb0ELb0E19rocblas_complex_numIfES1_PKS1_PS1_EviT7_lllT6_T8_lllPii: ; @_ZL19rocblas_trsv_deviceILi64ELi16ELb1ELb0ELb0ELb0E19rocblas_complex_numIfES1_PKS1_PS1_EviT7_lllT6_T8_lllPii
; %bb.0:
	s_mov_b32 s28, s9
	s_load_dwordx8 s[20:27], s[4:5], 0x8
	s_load_dword s9, s[4:5], 0x0
	s_add_u32 flat_scratch_lo, s6, s10
	s_addc_u32 flat_scratch_hi, s7, 0
	s_add_u32 s0, s0, s10
	s_waitcnt lgkmcnt(0)
	s_mul_i32 s6, s27, s28
	s_mul_hi_u32 s7, s26, s28
	s_addc_u32 s1, s1, 0
	s_add_i32 s7, s7, s6
	s_mul_i32 s6, s26, s28
	s_lshl_b64 s[6:7], s[6:7], 3
	s_add_u32 s10, s20, s6
	s_load_dwordx2 s[26:27], s[4:5], 0x28
	s_load_dword s99, s[4:5], 0x6c
	s_addc_u32 s11, s21, s7
	s_lshl_b64 s[6:7], s[22:23], 3
	s_add_u32 s97, s10, s6
	s_mov_b32 s29, 0
	s_addc_u32 s98, s11, s7
	v_mov_b32_e32 v2, v1
	s_cmp_eq_u32 s8, 0
	s_mov_b32 s33, s29
	s_cbranch_scc1 .LBB70_18
; %bb.1:
	s_lshl_b32 s33, s8, 6
	v_add_u32_e32 v1, s33, v2
	v_subrev_u32_e32 v1, 64, v1
	v_ashrrev_i32_e32 v3, 31, v1
	v_mul_lo_u32 v7, s24, v3
	v_mul_lo_u32 v8, s25, v1
	v_mad_u64_u32 v[3:4], s[6:7], s24, v1, 0
	v_add_u32_e32 v5, s33, v0
	v_ashrrev_i32_e32 v6, 31, v5
	v_add3_u32 v4, v4, v7, v8
	v_lshlrev_b64 v[3:4], 3, v[3:4]
	v_mov_b32_e32 v7, s98
	v_add_co_u32_e64 v8, s[6:7], s97, v3
	v_addc_co_u32_e64 v7, s[6:7], v7, v4, s[6:7]
	v_lshlrev_b64 v[3:4], 3, v[5:6]
	v_cmp_gt_i32_e32 vcc, s9, v5
	v_add_co_u32_e64 v3, s[6:7], v8, v3
	v_addc_co_u32_e64 v4, s[6:7], v7, v4, s[6:7]
	v_max_i32_e32 v5, v5, v1
	v_cmp_le_i32_e64 s[6:7], s9, v5
	s_waitcnt lgkmcnt(0)
	s_barrier
	s_and_saveexec_b64 s[10:11], s[6:7]
	s_xor_b64 s[6:7], exec, s[10:11]
	s_cbranch_execz .LBB70_3
; %bb.2:
	v_mov_b32_e32 v5, 0
	buffer_store_dword v5, off, s[0:3], 0
	buffer_store_dword v5, off, s[0:3], 0 offset:4
.LBB70_3:
	s_andn2_saveexec_b64 s[6:7], s[6:7]
	s_cbranch_execz .LBB70_5
; %bb.4:
	global_load_dwordx2 v[5:6], v[3:4], off
	s_waitcnt vmcnt(0)
	buffer_store_dword v6, off, s[0:3], 0 offset:4
	buffer_store_dword v5, off, s[0:3], 0
.LBB70_5:
	s_or_b64 exec, exec, s[6:7]
	v_add_u32_e32 v5, 16, v1
	v_cmp_le_i32_e64 s[6:7], s9, v5
	s_xor_b64 s[10:11], vcc, -1
	s_or_b64 s[6:7], s[10:11], s[6:7]
	s_waitcnt vmcnt(0)
	s_barrier
	s_and_saveexec_b64 s[12:13], s[6:7]
	s_xor_b64 s[6:7], exec, s[12:13]
	s_cbranch_execz .LBB70_7
; %bb.6:
	v_mov_b32_e32 v5, 0
	buffer_store_dword v5, off, s[0:3], 0 offset:8
	buffer_store_dword v5, off, s[0:3], 0 offset:12
.LBB70_7:
	s_andn2_saveexec_b64 s[6:7], s[6:7]
	s_cbranch_execz .LBB70_9
; %bb.8:
	s_lshl_b64 s[12:13], s[24:25], 7
	v_mov_b32_e32 v6, s13
	v_add_co_u32_e32 v5, vcc, s12, v3
	v_addc_co_u32_e32 v6, vcc, v4, v6, vcc
	global_load_dwordx2 v[5:6], v[5:6], off
	s_waitcnt vmcnt(0)
	buffer_store_dword v6, off, s[0:3], 0 offset:12
	buffer_store_dword v5, off, s[0:3], 0 offset:8
.LBB70_9:
	s_or_b64 exec, exec, s[6:7]
	v_add_u32_e32 v5, 32, v1
	v_cmp_le_i32_e32 vcc, s9, v5
	s_or_b64 s[6:7], s[10:11], vcc
	s_waitcnt vmcnt(0)
	s_barrier
	s_and_saveexec_b64 s[12:13], s[6:7]
	s_xor_b64 s[6:7], exec, s[12:13]
	s_cbranch_execz .LBB70_11
; %bb.10:
	v_mov_b32_e32 v5, 0
	buffer_store_dword v5, off, s[0:3], 0 offset:16
	buffer_store_dword v5, off, s[0:3], 0 offset:20
.LBB70_11:
	s_andn2_saveexec_b64 s[6:7], s[6:7]
	s_cbranch_execz .LBB70_13
; %bb.12:
	s_lshl_b64 s[12:13], s[24:25], 8
	v_mov_b32_e32 v6, s13
	v_add_co_u32_e32 v5, vcc, s12, v3
	v_addc_co_u32_e32 v6, vcc, v4, v6, vcc
	global_load_dwordx2 v[5:6], v[5:6], off
	s_waitcnt vmcnt(0)
	buffer_store_dword v6, off, s[0:3], 0 offset:20
	buffer_store_dword v5, off, s[0:3], 0 offset:16
.LBB70_13:
	s_or_b64 exec, exec, s[6:7]
	v_add_u32_e32 v1, 48, v1
	v_cmp_le_i32_e32 vcc, s9, v1
	s_or_b64 s[6:7], s[10:11], vcc
	s_waitcnt vmcnt(0)
	s_barrier
	s_and_saveexec_b64 s[10:11], s[6:7]
	s_xor_b64 s[6:7], exec, s[10:11]
	s_cbranch_execz .LBB70_15
; %bb.14:
	v_mov_b32_e32 v1, 0
	buffer_store_dword v1, off, s[0:3], 0 offset:24
	buffer_store_dword v1, off, s[0:3], 0 offset:28
                                        ; implicit-def: $vgpr3_vgpr4
.LBB70_15:
	s_andn2_saveexec_b64 s[6:7], s[6:7]
	s_cbranch_execz .LBB70_17
; %bb.16:
	v_mov_b32_e32 v1, 0x180
	v_mad_u64_u32 v[3:4], s[10:11], s24, v1, v[3:4]
	s_mul_i32 s10, s25, 0x180
	v_add_u32_e32 v4, s10, v4
	global_load_dwordx2 v[3:4], v[3:4], off
	s_waitcnt vmcnt(0)
	buffer_store_dword v4, off, s[0:3], 0 offset:28
	buffer_store_dword v3, off, s[0:3], 0 offset:24
.LBB70_17:
	s_or_b64 exec, exec, s[6:7]
.LBB70_18:
	s_ashr_i32 s6, s9, 31
	s_lshr_b32 s6, s6, 26
	s_add_i32 s6, s9, s6
	s_andn2_b32 s6, s6, 63
	s_sub_i32 s96, s9, s6
	s_add_i32 s6, s9, -1
	s_ashr_i32 s7, s6, 31
	s_lshr_b32 s7, s7, 26
	s_add_i32 s6, s6, s7
	s_ashr_i32 s6, s6, 6
	s_cmp_eq_u32 s6, s8
	s_cselect_b64 s[6:7], -1, 0
	s_cmp_lg_u32 s96, 0
	s_cselect_b64 s[10:11], -1, 0
	s_and_b64 s[22:23], s[10:11], s[6:7]
	s_ashr_i32 s52, s33, 31
	s_add_u32 s12, s24, 1
	v_mov_b32_e32 v1, 0
	v_mov_b32_e32 v3, s33
	v_mad_u64_u32 v[3:4], s[6:7], s12, v3, v[0:1]
	s_addc_u32 s13, s25, 0
	s_mul_i32 s6, s12, s52
	s_mul_i32 s13, s13, s33
	s_add_i32 s6, s6, s13
	s_mov_b64 s[10:11], -1
	v_add_u32_e32 v4, s6, v4
	s_and_b64 vcc, exec, s[22:23]
	v_cmp_le_u32_e64 s[6:7], v0, v2
	v_lshl_add_u32 v1, v2, 6, v0
	s_cbranch_vccnz .LBB70_76
; %bb.19:
	v_mad_u64_u32 v[5:6], s[10:11], s24, v2, v[3:4]
	v_mad_u64_u32 v[6:7], s[10:11], s25, v2, v[6:7]
	s_and_saveexec_b64 s[10:11], s[6:7]
	s_xor_b64 s[6:7], exec, s[10:11]
	s_cbranch_execz .LBB70_31
; %bb.20:
	v_cmp_ne_u32_e32 vcc, v0, v2
	s_and_saveexec_b64 s[10:11], vcc
	s_xor_b64 s[10:11], exec, s[10:11]
	s_cbranch_execz .LBB70_24
; %bb.21:
	v_or_b32_e32 v5, v2, v0
	v_cmp_gt_u32_e32 vcc, 64, v5
	s_and_saveexec_b64 s[12:13], vcc
; %bb.22:
	v_mov_b32_e32 v5, 0
	v_lshlrev_b32_e32 v7, 3, v1
	v_mov_b32_e32 v6, v5
	ds_write_b64 v7, v[5:6]
; %bb.23:
	s_or_b64 exec, exec, s[12:13]
                                        ; implicit-def: $vgpr5_vgpr6
.LBB70_24:
	s_andn2_saveexec_b64 s[10:11], s[10:11]
	s_cbranch_execz .LBB70_30
; %bb.25:
	v_lshlrev_b64 v[5:6], 3, v[5:6]
	v_mov_b32_e32 v7, s98
	v_add_co_u32_e32 v5, vcc, s97, v5
	v_addc_co_u32_e32 v6, vcc, v7, v6, vcc
	global_load_dwordx2 v[5:6], v[5:6], off
                                        ; implicit-def: $vgpr7
	s_waitcnt vmcnt(0)
	v_cmp_ngt_f32_e64 s[12:13], |v5|, |v6|
	s_and_saveexec_b64 s[14:15], s[12:13]
	s_xor_b64 s[12:13], exec, s[14:15]
	s_cbranch_execz .LBB70_27
; %bb.26:
	v_div_scale_f32 v7, s[14:15], v6, v6, v5
	v_div_scale_f32 v8, vcc, v5, v6, v5
	v_rcp_f32_e32 v9, v7
	v_fma_f32 v10, -v7, v9, 1.0
	v_fmac_f32_e32 v9, v10, v9
	v_mul_f32_e32 v10, v8, v9
	v_fma_f32 v11, -v7, v10, v8
	v_fmac_f32_e32 v10, v11, v9
	v_fma_f32 v7, -v7, v10, v8
	v_div_fmas_f32 v7, v7, v9, v10
	v_div_fixup_f32 v7, v7, v6, v5
	v_fmac_f32_e32 v6, v5, v7
	v_div_scale_f32 v5, s[14:15], v6, v6, 1.0
	v_div_scale_f32 v8, vcc, 1.0, v6, 1.0
	v_rcp_f32_e32 v9, v5
	v_fma_f32 v10, -v5, v9, 1.0
	v_fmac_f32_e32 v9, v10, v9
	v_mul_f32_e32 v10, v8, v9
	v_fma_f32 v11, -v5, v10, v8
	v_fmac_f32_e32 v10, v11, v9
	v_fma_f32 v5, -v5, v10, v8
	v_div_fmas_f32 v5, v5, v9, v10
	v_div_fixup_f32 v5, v5, v6, 1.0
	v_mul_f32_e32 v7, v7, v5
	v_xor_b32_e32 v8, 0x80000000, v5
                                        ; implicit-def: $vgpr5_vgpr6
.LBB70_27:
	s_andn2_saveexec_b64 s[12:13], s[12:13]
	s_cbranch_execz .LBB70_29
; %bb.28:
	v_div_scale_f32 v7, s[14:15], v5, v5, v6
	v_div_scale_f32 v8, vcc, v6, v5, v6
	v_rcp_f32_e32 v9, v7
	v_fma_f32 v10, -v7, v9, 1.0
	v_fmac_f32_e32 v9, v10, v9
	v_mul_f32_e32 v10, v8, v9
	v_fma_f32 v11, -v7, v10, v8
	v_fmac_f32_e32 v10, v11, v9
	v_fma_f32 v7, -v7, v10, v8
	v_div_fmas_f32 v7, v7, v9, v10
	v_div_fixup_f32 v8, v7, v5, v6
	v_fmac_f32_e32 v5, v6, v8
	v_div_scale_f32 v6, s[14:15], v5, v5, 1.0
	v_div_scale_f32 v7, vcc, 1.0, v5, 1.0
	v_rcp_f32_e32 v9, v6
	v_fma_f32 v10, -v6, v9, 1.0
	v_fmac_f32_e32 v9, v10, v9
	v_mul_f32_e32 v10, v7, v9
	v_fma_f32 v11, -v6, v10, v7
	v_fmac_f32_e32 v10, v11, v9
	v_fma_f32 v6, -v6, v10, v7
	v_div_fmas_f32 v6, v6, v9, v10
	v_div_fixup_f32 v7, v6, v5, 1.0
	v_mul_f32_e64 v8, v8, -v7
.LBB70_29:
	s_or_b64 exec, exec, s[12:13]
	v_lshlrev_b32_e32 v5, 3, v1
	ds_write_b64 v5, v[7:8]
.LBB70_30:
	s_or_b64 exec, exec, s[10:11]
                                        ; implicit-def: $vgpr5_vgpr6
.LBB70_31:
	s_andn2_saveexec_b64 s[6:7], s[6:7]
	s_cbranch_execz .LBB70_33
; %bb.32:
	v_lshlrev_b64 v[5:6], 3, v[5:6]
	v_mov_b32_e32 v7, s98
	v_add_co_u32_e32 v5, vcc, s97, v5
	v_addc_co_u32_e32 v6, vcc, v7, v6, vcc
	global_load_dwordx2 v[5:6], v[5:6], off
	v_lshlrev_b32_e32 v7, 3, v1
	s_waitcnt vmcnt(0)
	v_xor_b32_e32 v5, 0x80000000, v5
	v_xor_b32_e32 v6, 0x80000000, v6
	ds_write_b64 v7, v[5:6]
.LBB70_33:
	s_or_b64 exec, exec, s[6:7]
	v_add_u32_e32 v7, 16, v2
	v_mad_u64_u32 v[5:6], s[6:7], s24, v7, v[3:4]
	v_cmp_le_u32_e32 vcc, v0, v7
	v_mad_u64_u32 v[8:9], s[6:7], s25, v7, v[6:7]
	v_lshl_add_u32 v9, v7, 6, v0
	v_mov_b32_e32 v6, v8
	s_and_saveexec_b64 s[6:7], vcc
	s_xor_b64 s[6:7], exec, s[6:7]
	s_cbranch_execz .LBB70_45
; %bb.34:
	v_cmp_ne_u32_e32 vcc, v0, v7
	s_and_saveexec_b64 s[10:11], vcc
	s_xor_b64 s[10:11], exec, s[10:11]
	s_cbranch_execz .LBB70_38
; %bb.35:
	v_or_b32_e32 v5, v7, v0
	v_cmp_gt_u32_e32 vcc, 64, v5
	s_and_saveexec_b64 s[12:13], vcc
; %bb.36:
	v_mov_b32_e32 v5, 0
	v_lshlrev_b32_e32 v7, 3, v9
	v_mov_b32_e32 v6, v5
	ds_write_b64 v7, v[5:6]
; %bb.37:
	s_or_b64 exec, exec, s[12:13]
                                        ; implicit-def: $vgpr9
                                        ; implicit-def: $vgpr5_vgpr6
.LBB70_38:
	s_andn2_saveexec_b64 s[10:11], s[10:11]
	s_cbranch_execz .LBB70_44
; %bb.39:
	v_lshlrev_b64 v[5:6], 3, v[5:6]
	v_mov_b32_e32 v7, s98
	v_add_co_u32_e32 v5, vcc, s97, v5
	v_addc_co_u32_e32 v6, vcc, v7, v6, vcc
	global_load_dwordx2 v[5:6], v[5:6], off
                                        ; implicit-def: $vgpr7
	s_waitcnt vmcnt(0)
	v_cmp_ngt_f32_e64 s[12:13], |v5|, |v6|
	s_and_saveexec_b64 s[14:15], s[12:13]
	s_xor_b64 s[12:13], exec, s[14:15]
	s_cbranch_execz .LBB70_41
; %bb.40:
	v_div_scale_f32 v7, s[14:15], v6, v6, v5
	v_div_scale_f32 v8, vcc, v5, v6, v5
	v_rcp_f32_e32 v10, v7
	v_fma_f32 v11, -v7, v10, 1.0
	v_fmac_f32_e32 v10, v11, v10
	v_mul_f32_e32 v11, v8, v10
	v_fma_f32 v12, -v7, v11, v8
	v_fmac_f32_e32 v11, v12, v10
	v_fma_f32 v7, -v7, v11, v8
	v_div_fmas_f32 v7, v7, v10, v11
	v_div_fixup_f32 v7, v7, v6, v5
	v_fmac_f32_e32 v6, v5, v7
	v_div_scale_f32 v5, s[14:15], v6, v6, 1.0
	v_div_scale_f32 v8, vcc, 1.0, v6, 1.0
	v_rcp_f32_e32 v10, v5
	v_fma_f32 v11, -v5, v10, 1.0
	v_fmac_f32_e32 v10, v11, v10
	v_mul_f32_e32 v11, v8, v10
	v_fma_f32 v12, -v5, v11, v8
	v_fmac_f32_e32 v11, v12, v10
	v_fma_f32 v5, -v5, v11, v8
	v_div_fmas_f32 v5, v5, v10, v11
	v_div_fixup_f32 v5, v5, v6, 1.0
	v_mul_f32_e32 v7, v7, v5
	v_xor_b32_e32 v8, 0x80000000, v5
                                        ; implicit-def: $vgpr5_vgpr6
.LBB70_41:
	s_andn2_saveexec_b64 s[12:13], s[12:13]
	s_cbranch_execz .LBB70_43
; %bb.42:
	v_div_scale_f32 v7, s[14:15], v5, v5, v6
	v_div_scale_f32 v8, vcc, v6, v5, v6
	v_rcp_f32_e32 v10, v7
	v_fma_f32 v11, -v7, v10, 1.0
	v_fmac_f32_e32 v10, v11, v10
	v_mul_f32_e32 v11, v8, v10
	v_fma_f32 v12, -v7, v11, v8
	v_fmac_f32_e32 v11, v12, v10
	v_fma_f32 v7, -v7, v11, v8
	v_div_fmas_f32 v7, v7, v10, v11
	v_div_fixup_f32 v8, v7, v5, v6
	v_fmac_f32_e32 v5, v6, v8
	v_div_scale_f32 v6, s[14:15], v5, v5, 1.0
	v_div_scale_f32 v7, vcc, 1.0, v5, 1.0
	v_rcp_f32_e32 v10, v6
	v_fma_f32 v11, -v6, v10, 1.0
	v_fmac_f32_e32 v10, v11, v10
	v_mul_f32_e32 v11, v7, v10
	v_fma_f32 v12, -v6, v11, v7
	v_fmac_f32_e32 v11, v12, v10
	v_fma_f32 v6, -v6, v11, v7
	v_div_fmas_f32 v6, v6, v10, v11
	v_div_fixup_f32 v7, v6, v5, 1.0
	v_mul_f32_e64 v8, v8, -v7
.LBB70_43:
	s_or_b64 exec, exec, s[12:13]
	v_lshlrev_b32_e32 v5, 3, v9
	ds_write_b64 v5, v[7:8]
.LBB70_44:
	s_or_b64 exec, exec, s[10:11]
                                        ; implicit-def: $vgpr5_vgpr6
                                        ; implicit-def: $vgpr9
.LBB70_45:
	s_andn2_saveexec_b64 s[6:7], s[6:7]
	s_cbranch_execz .LBB70_47
; %bb.46:
	v_lshlrev_b64 v[5:6], 3, v[5:6]
	v_mov_b32_e32 v7, s98
	v_add_co_u32_e32 v5, vcc, s97, v5
	v_addc_co_u32_e32 v6, vcc, v7, v6, vcc
	global_load_dwordx2 v[5:6], v[5:6], off
	v_lshlrev_b32_e32 v7, 3, v9
	s_waitcnt vmcnt(0)
	v_xor_b32_e32 v5, 0x80000000, v5
	v_xor_b32_e32 v6, 0x80000000, v6
	ds_write_b64 v7, v[5:6]
.LBB70_47:
	s_or_b64 exec, exec, s[6:7]
	v_add_u32_e32 v7, 32, v2
	v_mad_u64_u32 v[5:6], s[6:7], s24, v7, v[3:4]
	v_cmp_le_u32_e32 vcc, v0, v7
	v_mad_u64_u32 v[8:9], s[6:7], s25, v7, v[6:7]
	v_lshl_add_u32 v9, v7, 6, v0
	v_mov_b32_e32 v6, v8
	s_and_saveexec_b64 s[6:7], vcc
	s_xor_b64 s[6:7], exec, s[6:7]
	s_cbranch_execz .LBB70_59
; %bb.48:
	v_cmp_ne_u32_e32 vcc, v0, v7
	s_and_saveexec_b64 s[10:11], vcc
	s_xor_b64 s[10:11], exec, s[10:11]
	s_cbranch_execz .LBB70_52
; %bb.49:
	v_or_b32_e32 v5, v7, v0
	v_cmp_gt_u32_e32 vcc, 64, v5
	s_and_saveexec_b64 s[12:13], vcc
; %bb.50:
	v_mov_b32_e32 v5, 0
	v_lshlrev_b32_e32 v7, 3, v9
	v_mov_b32_e32 v6, v5
	ds_write_b64 v7, v[5:6]
; %bb.51:
	s_or_b64 exec, exec, s[12:13]
                                        ; implicit-def: $vgpr9
                                        ; implicit-def: $vgpr5_vgpr6
.LBB70_52:
	s_andn2_saveexec_b64 s[10:11], s[10:11]
	s_cbranch_execz .LBB70_58
; %bb.53:
	v_lshlrev_b64 v[5:6], 3, v[5:6]
	v_mov_b32_e32 v7, s98
	v_add_co_u32_e32 v5, vcc, s97, v5
	v_addc_co_u32_e32 v6, vcc, v7, v6, vcc
	global_load_dwordx2 v[5:6], v[5:6], off
                                        ; implicit-def: $vgpr7
	s_waitcnt vmcnt(0)
	v_cmp_ngt_f32_e64 s[12:13], |v5|, |v6|
	s_and_saveexec_b64 s[14:15], s[12:13]
	s_xor_b64 s[12:13], exec, s[14:15]
	s_cbranch_execz .LBB70_55
; %bb.54:
	v_div_scale_f32 v7, s[14:15], v6, v6, v5
	v_div_scale_f32 v8, vcc, v5, v6, v5
	v_rcp_f32_e32 v10, v7
	v_fma_f32 v11, -v7, v10, 1.0
	v_fmac_f32_e32 v10, v11, v10
	v_mul_f32_e32 v11, v8, v10
	v_fma_f32 v12, -v7, v11, v8
	v_fmac_f32_e32 v11, v12, v10
	v_fma_f32 v7, -v7, v11, v8
	v_div_fmas_f32 v7, v7, v10, v11
	v_div_fixup_f32 v7, v7, v6, v5
	v_fmac_f32_e32 v6, v5, v7
	v_div_scale_f32 v5, s[14:15], v6, v6, 1.0
	v_div_scale_f32 v8, vcc, 1.0, v6, 1.0
	v_rcp_f32_e32 v10, v5
	v_fma_f32 v11, -v5, v10, 1.0
	v_fmac_f32_e32 v10, v11, v10
	v_mul_f32_e32 v11, v8, v10
	v_fma_f32 v12, -v5, v11, v8
	v_fmac_f32_e32 v11, v12, v10
	v_fma_f32 v5, -v5, v11, v8
	v_div_fmas_f32 v5, v5, v10, v11
	v_div_fixup_f32 v5, v5, v6, 1.0
	v_mul_f32_e32 v7, v7, v5
	v_xor_b32_e32 v8, 0x80000000, v5
                                        ; implicit-def: $vgpr5_vgpr6
.LBB70_55:
	s_andn2_saveexec_b64 s[12:13], s[12:13]
	s_cbranch_execz .LBB70_57
; %bb.56:
	v_div_scale_f32 v7, s[14:15], v5, v5, v6
	v_div_scale_f32 v8, vcc, v6, v5, v6
	v_rcp_f32_e32 v10, v7
	v_fma_f32 v11, -v7, v10, 1.0
	v_fmac_f32_e32 v10, v11, v10
	v_mul_f32_e32 v11, v8, v10
	v_fma_f32 v12, -v7, v11, v8
	v_fmac_f32_e32 v11, v12, v10
	v_fma_f32 v7, -v7, v11, v8
	v_div_fmas_f32 v7, v7, v10, v11
	v_div_fixup_f32 v8, v7, v5, v6
	v_fmac_f32_e32 v5, v6, v8
	v_div_scale_f32 v6, s[14:15], v5, v5, 1.0
	v_div_scale_f32 v7, vcc, 1.0, v5, 1.0
	v_rcp_f32_e32 v10, v6
	v_fma_f32 v11, -v6, v10, 1.0
	v_fmac_f32_e32 v10, v11, v10
	v_mul_f32_e32 v11, v7, v10
	v_fma_f32 v12, -v6, v11, v7
	v_fmac_f32_e32 v11, v12, v10
	v_fma_f32 v6, -v6, v11, v7
	v_div_fmas_f32 v6, v6, v10, v11
	v_div_fixup_f32 v7, v6, v5, 1.0
	v_mul_f32_e64 v8, v8, -v7
.LBB70_57:
	s_or_b64 exec, exec, s[12:13]
	v_lshlrev_b32_e32 v5, 3, v9
	ds_write_b64 v5, v[7:8]
.LBB70_58:
	s_or_b64 exec, exec, s[10:11]
                                        ; implicit-def: $vgpr5_vgpr6
                                        ; implicit-def: $vgpr9
.LBB70_59:
	s_andn2_saveexec_b64 s[6:7], s[6:7]
	s_cbranch_execz .LBB70_61
; %bb.60:
	v_lshlrev_b64 v[5:6], 3, v[5:6]
	v_mov_b32_e32 v7, s98
	v_add_co_u32_e32 v5, vcc, s97, v5
	v_addc_co_u32_e32 v6, vcc, v7, v6, vcc
	global_load_dwordx2 v[5:6], v[5:6], off
	v_lshlrev_b32_e32 v7, 3, v9
	s_waitcnt vmcnt(0)
	v_xor_b32_e32 v5, 0x80000000, v5
	v_xor_b32_e32 v6, 0x80000000, v6
	ds_write_b64 v7, v[5:6]
.LBB70_61:
	s_or_b64 exec, exec, s[6:7]
	v_add_u32_e32 v7, 48, v2
	v_mad_u64_u32 v[5:6], s[6:7], s24, v7, v[3:4]
	v_cmp_le_u32_e32 vcc, v0, v7
	v_mad_u64_u32 v[8:9], s[6:7], s25, v7, v[6:7]
	v_lshl_add_u32 v9, v7, 6, v0
	v_mov_b32_e32 v6, v8
	s_and_saveexec_b64 s[6:7], vcc
	s_xor_b64 s[6:7], exec, s[6:7]
	s_cbranch_execz .LBB70_73
; %bb.62:
	v_cmp_ne_u32_e32 vcc, v0, v7
	s_and_saveexec_b64 s[10:11], vcc
	s_xor_b64 s[10:11], exec, s[10:11]
	s_cbranch_execz .LBB70_66
; %bb.63:
	v_or_b32_e32 v5, v7, v0
	v_cmp_gt_u32_e32 vcc, 64, v5
	s_and_saveexec_b64 s[12:13], vcc
; %bb.64:
	v_mov_b32_e32 v5, 0
	v_lshlrev_b32_e32 v7, 3, v9
	v_mov_b32_e32 v6, v5
	ds_write_b64 v7, v[5:6]
; %bb.65:
	s_or_b64 exec, exec, s[12:13]
                                        ; implicit-def: $vgpr9
                                        ; implicit-def: $vgpr5_vgpr6
.LBB70_66:
	s_andn2_saveexec_b64 s[10:11], s[10:11]
	s_cbranch_execz .LBB70_72
; %bb.67:
	v_lshlrev_b64 v[5:6], 3, v[5:6]
	v_mov_b32_e32 v7, s98
	v_add_co_u32_e32 v5, vcc, s97, v5
	v_addc_co_u32_e32 v6, vcc, v7, v6, vcc
	global_load_dwordx2 v[5:6], v[5:6], off
                                        ; implicit-def: $vgpr7
	s_waitcnt vmcnt(0)
	v_cmp_ngt_f32_e64 s[12:13], |v5|, |v6|
	s_and_saveexec_b64 s[14:15], s[12:13]
	s_xor_b64 s[12:13], exec, s[14:15]
	s_cbranch_execz .LBB70_69
; %bb.68:
	v_div_scale_f32 v7, s[14:15], v6, v6, v5
	v_div_scale_f32 v8, vcc, v5, v6, v5
	v_rcp_f32_e32 v10, v7
	v_fma_f32 v11, -v7, v10, 1.0
	v_fmac_f32_e32 v10, v11, v10
	v_mul_f32_e32 v11, v8, v10
	v_fma_f32 v12, -v7, v11, v8
	v_fmac_f32_e32 v11, v12, v10
	v_fma_f32 v7, -v7, v11, v8
	v_div_fmas_f32 v7, v7, v10, v11
	v_div_fixup_f32 v7, v7, v6, v5
	v_fmac_f32_e32 v6, v5, v7
	v_div_scale_f32 v5, s[14:15], v6, v6, 1.0
	v_div_scale_f32 v8, vcc, 1.0, v6, 1.0
	v_rcp_f32_e32 v10, v5
	v_fma_f32 v11, -v5, v10, 1.0
	v_fmac_f32_e32 v10, v11, v10
	v_mul_f32_e32 v11, v8, v10
	v_fma_f32 v12, -v5, v11, v8
	v_fmac_f32_e32 v11, v12, v10
	v_fma_f32 v5, -v5, v11, v8
	v_div_fmas_f32 v5, v5, v10, v11
	v_div_fixup_f32 v5, v5, v6, 1.0
	v_mul_f32_e32 v7, v7, v5
	v_xor_b32_e32 v8, 0x80000000, v5
                                        ; implicit-def: $vgpr5_vgpr6
.LBB70_69:
	s_andn2_saveexec_b64 s[12:13], s[12:13]
	s_cbranch_execz .LBB70_71
; %bb.70:
	v_div_scale_f32 v7, s[14:15], v5, v5, v6
	v_div_scale_f32 v8, vcc, v6, v5, v6
	v_rcp_f32_e32 v10, v7
	v_fma_f32 v11, -v7, v10, 1.0
	v_fmac_f32_e32 v10, v11, v10
	v_mul_f32_e32 v11, v8, v10
	v_fma_f32 v12, -v7, v11, v8
	v_fmac_f32_e32 v11, v12, v10
	v_fma_f32 v7, -v7, v11, v8
	v_div_fmas_f32 v7, v7, v10, v11
	v_div_fixup_f32 v8, v7, v5, v6
	v_fmac_f32_e32 v5, v6, v8
	v_div_scale_f32 v6, s[14:15], v5, v5, 1.0
	v_div_scale_f32 v7, vcc, 1.0, v5, 1.0
	v_rcp_f32_e32 v10, v6
	v_fma_f32 v11, -v6, v10, 1.0
	v_fmac_f32_e32 v10, v11, v10
	v_mul_f32_e32 v11, v7, v10
	v_fma_f32 v12, -v6, v11, v7
	v_fmac_f32_e32 v11, v12, v10
	v_fma_f32 v6, -v6, v11, v7
	v_div_fmas_f32 v6, v6, v10, v11
	v_div_fixup_f32 v7, v6, v5, 1.0
	v_mul_f32_e64 v8, v8, -v7
.LBB70_71:
	s_or_b64 exec, exec, s[12:13]
	v_lshlrev_b32_e32 v5, 3, v9
	ds_write_b64 v5, v[7:8]
.LBB70_72:
	s_or_b64 exec, exec, s[10:11]
                                        ; implicit-def: $vgpr5_vgpr6
                                        ; implicit-def: $vgpr9
.LBB70_73:
	s_andn2_saveexec_b64 s[6:7], s[6:7]
	s_cbranch_execz .LBB70_75
; %bb.74:
	v_lshlrev_b64 v[5:6], 3, v[5:6]
	v_mov_b32_e32 v7, s98
	v_add_co_u32_e32 v5, vcc, s97, v5
	v_addc_co_u32_e32 v6, vcc, v7, v6, vcc
	global_load_dwordx2 v[5:6], v[5:6], off
	v_lshlrev_b32_e32 v7, 3, v9
	s_waitcnt vmcnt(0)
	v_xor_b32_e32 v5, 0x80000000, v5
	v_xor_b32_e32 v6, 0x80000000, v6
	ds_write_b64 v7, v[5:6]
.LBB70_75:
	s_or_b64 exec, exec, s[6:7]
	s_mov_b64 s[10:11], 0
.LBB70_76:
	s_and_b64 vcc, exec, s[10:11]
	s_cbranch_vccz .LBB70_134
; %bb.77:
	v_mad_u64_u32 v[5:6], s[6:7], s24, v2, v[3:4]
	v_cmp_le_u32_e32 vcc, v0, v2
	v_cmp_gt_i32_e64 s[6:7], s96, v0
	v_mad_u64_u32 v[6:7], s[10:11], s25, v2, v[6:7]
	v_max_i32_e32 v7, v2, v0
	v_cmp_le_i32_e64 s[10:11], s96, v7
	s_or_b64 s[10:11], s[10:11], vcc
	s_and_saveexec_b64 s[12:13], s[10:11]
	s_xor_b64 s[10:11], exec, s[12:13]
	s_cbranch_execz .LBB70_89
; %bb.78:
	v_cmp_ne_u32_e32 vcc, v0, v2
	s_xor_b64 s[12:13], s[6:7], -1
	s_or_b64 s[12:13], s[12:13], vcc
	s_and_saveexec_b64 s[14:15], s[12:13]
	s_xor_b64 s[12:13], exec, s[14:15]
	s_cbranch_execz .LBB70_82
; %bb.79:
	v_or_b32_e32 v5, v2, v0
	v_cmp_gt_u32_e32 vcc, 64, v5
	s_and_saveexec_b64 s[14:15], vcc
; %bb.80:
	v_mov_b32_e32 v5, 0
	v_lshlrev_b32_e32 v7, 3, v1
	v_mov_b32_e32 v6, v5
	ds_write_b64 v7, v[5:6]
; %bb.81:
	s_or_b64 exec, exec, s[14:15]
                                        ; implicit-def: $vgpr5_vgpr6
.LBB70_82:
	s_andn2_saveexec_b64 s[12:13], s[12:13]
	s_cbranch_execz .LBB70_88
; %bb.83:
	v_lshlrev_b64 v[5:6], 3, v[5:6]
	v_mov_b32_e32 v7, s98
	v_add_co_u32_e32 v5, vcc, s97, v5
	v_addc_co_u32_e32 v6, vcc, v7, v6, vcc
	global_load_dwordx2 v[5:6], v[5:6], off
                                        ; implicit-def: $vgpr7
	s_waitcnt vmcnt(0)
	v_cmp_ngt_f32_e64 s[14:15], |v5|, |v6|
	s_and_saveexec_b64 s[16:17], s[14:15]
	s_xor_b64 s[14:15], exec, s[16:17]
	s_cbranch_execz .LBB70_85
; %bb.84:
	v_div_scale_f32 v7, s[16:17], v6, v6, v5
	v_div_scale_f32 v8, vcc, v5, v6, v5
	v_rcp_f32_e32 v9, v7
	v_fma_f32 v10, -v7, v9, 1.0
	v_fmac_f32_e32 v9, v10, v9
	v_mul_f32_e32 v10, v8, v9
	v_fma_f32 v11, -v7, v10, v8
	v_fmac_f32_e32 v10, v11, v9
	v_fma_f32 v7, -v7, v10, v8
	v_div_fmas_f32 v7, v7, v9, v10
	v_div_fixup_f32 v7, v7, v6, v5
	v_fmac_f32_e32 v6, v5, v7
	v_div_scale_f32 v5, s[16:17], v6, v6, 1.0
	v_div_scale_f32 v8, vcc, 1.0, v6, 1.0
	v_rcp_f32_e32 v9, v5
	v_fma_f32 v10, -v5, v9, 1.0
	v_fmac_f32_e32 v9, v10, v9
	v_mul_f32_e32 v10, v8, v9
	v_fma_f32 v11, -v5, v10, v8
	v_fmac_f32_e32 v10, v11, v9
	v_fma_f32 v5, -v5, v10, v8
	v_div_fmas_f32 v5, v5, v9, v10
	v_div_fixup_f32 v5, v5, v6, 1.0
	v_mul_f32_e32 v7, v7, v5
	v_xor_b32_e32 v8, 0x80000000, v5
                                        ; implicit-def: $vgpr5_vgpr6
.LBB70_85:
	s_andn2_saveexec_b64 s[14:15], s[14:15]
	s_cbranch_execz .LBB70_87
; %bb.86:
	v_div_scale_f32 v7, s[16:17], v5, v5, v6
	v_div_scale_f32 v8, vcc, v6, v5, v6
	v_rcp_f32_e32 v9, v7
	v_fma_f32 v10, -v7, v9, 1.0
	v_fmac_f32_e32 v9, v10, v9
	v_mul_f32_e32 v10, v8, v9
	v_fma_f32 v11, -v7, v10, v8
	v_fmac_f32_e32 v10, v11, v9
	v_fma_f32 v7, -v7, v10, v8
	v_div_fmas_f32 v7, v7, v9, v10
	v_div_fixup_f32 v8, v7, v5, v6
	v_fmac_f32_e32 v5, v6, v8
	v_div_scale_f32 v6, s[16:17], v5, v5, 1.0
	v_div_scale_f32 v7, vcc, 1.0, v5, 1.0
	v_rcp_f32_e32 v9, v6
	v_fma_f32 v10, -v6, v9, 1.0
	v_fmac_f32_e32 v9, v10, v9
	v_mul_f32_e32 v10, v7, v9
	v_fma_f32 v11, -v6, v10, v7
	v_fmac_f32_e32 v10, v11, v9
	v_fma_f32 v6, -v6, v10, v7
	v_div_fmas_f32 v6, v6, v9, v10
	v_div_fixup_f32 v7, v6, v5, 1.0
	v_mul_f32_e64 v8, v8, -v7
.LBB70_87:
	s_or_b64 exec, exec, s[14:15]
	v_lshlrev_b32_e32 v5, 3, v1
	ds_write_b64 v5, v[7:8]
.LBB70_88:
	s_or_b64 exec, exec, s[12:13]
                                        ; implicit-def: $vgpr5_vgpr6
.LBB70_89:
	s_andn2_saveexec_b64 s[10:11], s[10:11]
	s_cbranch_execz .LBB70_91
; %bb.90:
	v_lshlrev_b64 v[5:6], 3, v[5:6]
	v_mov_b32_e32 v7, s98
	v_add_co_u32_e32 v5, vcc, s97, v5
	v_addc_co_u32_e32 v6, vcc, v7, v6, vcc
	global_load_dwordx2 v[5:6], v[5:6], off
	v_lshlrev_b32_e32 v7, 3, v1
	s_waitcnt vmcnt(0)
	v_xor_b32_e32 v5, 0x80000000, v5
	v_xor_b32_e32 v6, 0x80000000, v6
	ds_write_b64 v7, v[5:6]
.LBB70_91:
	s_or_b64 exec, exec, s[10:11]
	v_add_u32_e32 v7, 16, v2
	v_mad_u64_u32 v[5:6], s[10:11], s24, v7, v[3:4]
	v_cmp_gt_u32_e32 vcc, v0, v7
	v_lshl_add_u32 v9, v7, 6, v0
	v_mad_u64_u32 v[10:11], s[10:11], s25, v7, v[6:7]
	v_cmp_gt_i32_e64 s[10:11], s96, v7
	s_and_b64 s[10:11], vcc, s[10:11]
	s_and_b64 s[10:11], s[6:7], s[10:11]
	v_mov_b32_e32 v6, v10
	s_xor_b64 s[10:11], s[10:11], -1
	s_and_saveexec_b64 s[12:13], s[10:11]
	s_xor_b64 s[10:11], exec, s[12:13]
	s_cbranch_execz .LBB70_103
; %bb.92:
	v_cmp_ne_u32_e32 vcc, v0, v7
	s_xor_b64 s[12:13], s[6:7], -1
	s_or_b64 s[12:13], s[12:13], vcc
	s_and_saveexec_b64 s[14:15], s[12:13]
	s_xor_b64 s[12:13], exec, s[14:15]
	s_cbranch_execz .LBB70_96
; %bb.93:
	v_or_b32_e32 v5, v7, v0
	v_cmp_gt_u32_e32 vcc, 64, v5
	s_and_saveexec_b64 s[14:15], vcc
; %bb.94:
	v_mov_b32_e32 v5, 0
	v_lshlrev_b32_e32 v7, 3, v9
	v_mov_b32_e32 v6, v5
	ds_write_b64 v7, v[5:6]
; %bb.95:
	s_or_b64 exec, exec, s[14:15]
                                        ; implicit-def: $vgpr9
                                        ; implicit-def: $vgpr5_vgpr6
.LBB70_96:
	s_andn2_saveexec_b64 s[12:13], s[12:13]
	s_cbranch_execz .LBB70_102
; %bb.97:
	v_lshlrev_b64 v[5:6], 3, v[5:6]
	v_mov_b32_e32 v7, s98
	v_add_co_u32_e32 v5, vcc, s97, v5
	v_addc_co_u32_e32 v6, vcc, v7, v6, vcc
	global_load_dwordx2 v[5:6], v[5:6], off
                                        ; implicit-def: $vgpr7
	s_waitcnt vmcnt(0)
	v_cmp_ngt_f32_e64 s[14:15], |v5|, |v6|
	s_and_saveexec_b64 s[16:17], s[14:15]
	s_xor_b64 s[14:15], exec, s[16:17]
	s_cbranch_execz .LBB70_99
; %bb.98:
	v_div_scale_f32 v7, s[16:17], v6, v6, v5
	v_div_scale_f32 v8, vcc, v5, v6, v5
	v_rcp_f32_e32 v10, v7
	v_fma_f32 v11, -v7, v10, 1.0
	v_fmac_f32_e32 v10, v11, v10
	v_mul_f32_e32 v11, v8, v10
	v_fma_f32 v12, -v7, v11, v8
	v_fmac_f32_e32 v11, v12, v10
	v_fma_f32 v7, -v7, v11, v8
	v_div_fmas_f32 v7, v7, v10, v11
	v_div_fixup_f32 v7, v7, v6, v5
	v_fmac_f32_e32 v6, v5, v7
	v_div_scale_f32 v5, s[16:17], v6, v6, 1.0
	v_div_scale_f32 v8, vcc, 1.0, v6, 1.0
	v_rcp_f32_e32 v10, v5
	v_fma_f32 v11, -v5, v10, 1.0
	v_fmac_f32_e32 v10, v11, v10
	v_mul_f32_e32 v11, v8, v10
	v_fma_f32 v12, -v5, v11, v8
	v_fmac_f32_e32 v11, v12, v10
	v_fma_f32 v5, -v5, v11, v8
	v_div_fmas_f32 v5, v5, v10, v11
	v_div_fixup_f32 v5, v5, v6, 1.0
	v_mul_f32_e32 v7, v7, v5
	v_xor_b32_e32 v8, 0x80000000, v5
                                        ; implicit-def: $vgpr5_vgpr6
.LBB70_99:
	s_andn2_saveexec_b64 s[14:15], s[14:15]
	s_cbranch_execz .LBB70_101
; %bb.100:
	v_div_scale_f32 v7, s[16:17], v5, v5, v6
	v_div_scale_f32 v8, vcc, v6, v5, v6
	v_rcp_f32_e32 v10, v7
	v_fma_f32 v11, -v7, v10, 1.0
	v_fmac_f32_e32 v10, v11, v10
	v_mul_f32_e32 v11, v8, v10
	v_fma_f32 v12, -v7, v11, v8
	v_fmac_f32_e32 v11, v12, v10
	v_fma_f32 v7, -v7, v11, v8
	v_div_fmas_f32 v7, v7, v10, v11
	v_div_fixup_f32 v8, v7, v5, v6
	v_fmac_f32_e32 v5, v6, v8
	v_div_scale_f32 v6, s[16:17], v5, v5, 1.0
	v_div_scale_f32 v7, vcc, 1.0, v5, 1.0
	v_rcp_f32_e32 v10, v6
	v_fma_f32 v11, -v6, v10, 1.0
	v_fmac_f32_e32 v10, v11, v10
	v_mul_f32_e32 v11, v7, v10
	v_fma_f32 v12, -v6, v11, v7
	v_fmac_f32_e32 v11, v12, v10
	v_fma_f32 v6, -v6, v11, v7
	v_div_fmas_f32 v6, v6, v10, v11
	v_div_fixup_f32 v7, v6, v5, 1.0
	v_mul_f32_e64 v8, v8, -v7
.LBB70_101:
	s_or_b64 exec, exec, s[14:15]
	v_lshlrev_b32_e32 v5, 3, v9
	ds_write_b64 v5, v[7:8]
.LBB70_102:
	s_or_b64 exec, exec, s[12:13]
                                        ; implicit-def: $vgpr5_vgpr6
                                        ; implicit-def: $vgpr9
.LBB70_103:
	s_andn2_saveexec_b64 s[10:11], s[10:11]
	s_cbranch_execz .LBB70_105
; %bb.104:
	v_lshlrev_b64 v[5:6], 3, v[5:6]
	v_mov_b32_e32 v7, s98
	v_add_co_u32_e32 v5, vcc, s97, v5
	v_addc_co_u32_e32 v6, vcc, v7, v6, vcc
	global_load_dwordx2 v[5:6], v[5:6], off
	v_lshlrev_b32_e32 v7, 3, v9
	s_waitcnt vmcnt(0)
	v_xor_b32_e32 v5, 0x80000000, v5
	v_xor_b32_e32 v6, 0x80000000, v6
	ds_write_b64 v7, v[5:6]
.LBB70_105:
	s_or_b64 exec, exec, s[10:11]
	v_add_u32_e32 v7, 32, v2
	v_mad_u64_u32 v[5:6], s[10:11], s24, v7, v[3:4]
	v_cmp_gt_u32_e32 vcc, v0, v7
	v_lshl_add_u32 v9, v7, 6, v0
	v_mad_u64_u32 v[10:11], s[10:11], s25, v7, v[6:7]
	v_cmp_gt_i32_e64 s[10:11], s96, v7
	s_and_b64 s[10:11], vcc, s[10:11]
	s_and_b64 s[10:11], s[6:7], s[10:11]
	v_mov_b32_e32 v6, v10
	s_xor_b64 s[10:11], s[10:11], -1
	s_and_saveexec_b64 s[12:13], s[10:11]
	s_xor_b64 s[10:11], exec, s[12:13]
	s_cbranch_execz .LBB70_117
; %bb.106:
	v_cmp_ne_u32_e32 vcc, v0, v7
	s_xor_b64 s[12:13], s[6:7], -1
	s_or_b64 s[12:13], s[12:13], vcc
	s_and_saveexec_b64 s[14:15], s[12:13]
	s_xor_b64 s[12:13], exec, s[14:15]
	s_cbranch_execz .LBB70_110
; %bb.107:
	v_or_b32_e32 v5, v7, v0
	v_cmp_gt_u32_e32 vcc, 64, v5
	s_and_saveexec_b64 s[14:15], vcc
; %bb.108:
	v_mov_b32_e32 v5, 0
	v_lshlrev_b32_e32 v7, 3, v9
	v_mov_b32_e32 v6, v5
	ds_write_b64 v7, v[5:6]
; %bb.109:
	s_or_b64 exec, exec, s[14:15]
                                        ; implicit-def: $vgpr9
                                        ; implicit-def: $vgpr5_vgpr6
.LBB70_110:
	s_andn2_saveexec_b64 s[12:13], s[12:13]
	s_cbranch_execz .LBB70_116
; %bb.111:
	v_lshlrev_b64 v[5:6], 3, v[5:6]
	v_mov_b32_e32 v7, s98
	v_add_co_u32_e32 v5, vcc, s97, v5
	v_addc_co_u32_e32 v6, vcc, v7, v6, vcc
	global_load_dwordx2 v[5:6], v[5:6], off
                                        ; implicit-def: $vgpr7
	s_waitcnt vmcnt(0)
	v_cmp_ngt_f32_e64 s[14:15], |v5|, |v6|
	s_and_saveexec_b64 s[16:17], s[14:15]
	s_xor_b64 s[14:15], exec, s[16:17]
	s_cbranch_execz .LBB70_113
; %bb.112:
	v_div_scale_f32 v7, s[16:17], v6, v6, v5
	v_div_scale_f32 v8, vcc, v5, v6, v5
	v_rcp_f32_e32 v10, v7
	v_fma_f32 v11, -v7, v10, 1.0
	v_fmac_f32_e32 v10, v11, v10
	v_mul_f32_e32 v11, v8, v10
	v_fma_f32 v12, -v7, v11, v8
	v_fmac_f32_e32 v11, v12, v10
	v_fma_f32 v7, -v7, v11, v8
	v_div_fmas_f32 v7, v7, v10, v11
	v_div_fixup_f32 v7, v7, v6, v5
	v_fmac_f32_e32 v6, v5, v7
	v_div_scale_f32 v5, s[16:17], v6, v6, 1.0
	v_div_scale_f32 v8, vcc, 1.0, v6, 1.0
	v_rcp_f32_e32 v10, v5
	v_fma_f32 v11, -v5, v10, 1.0
	v_fmac_f32_e32 v10, v11, v10
	v_mul_f32_e32 v11, v8, v10
	v_fma_f32 v12, -v5, v11, v8
	v_fmac_f32_e32 v11, v12, v10
	v_fma_f32 v5, -v5, v11, v8
	v_div_fmas_f32 v5, v5, v10, v11
	v_div_fixup_f32 v5, v5, v6, 1.0
	v_mul_f32_e32 v7, v7, v5
	v_xor_b32_e32 v8, 0x80000000, v5
                                        ; implicit-def: $vgpr5_vgpr6
.LBB70_113:
	s_andn2_saveexec_b64 s[14:15], s[14:15]
	s_cbranch_execz .LBB70_115
; %bb.114:
	v_div_scale_f32 v7, s[16:17], v5, v5, v6
	v_div_scale_f32 v8, vcc, v6, v5, v6
	v_rcp_f32_e32 v10, v7
	v_fma_f32 v11, -v7, v10, 1.0
	v_fmac_f32_e32 v10, v11, v10
	v_mul_f32_e32 v11, v8, v10
	v_fma_f32 v12, -v7, v11, v8
	v_fmac_f32_e32 v11, v12, v10
	v_fma_f32 v7, -v7, v11, v8
	v_div_fmas_f32 v7, v7, v10, v11
	v_div_fixup_f32 v8, v7, v5, v6
	v_fmac_f32_e32 v5, v6, v8
	v_div_scale_f32 v6, s[16:17], v5, v5, 1.0
	v_div_scale_f32 v7, vcc, 1.0, v5, 1.0
	v_rcp_f32_e32 v10, v6
	v_fma_f32 v11, -v6, v10, 1.0
	v_fmac_f32_e32 v10, v11, v10
	v_mul_f32_e32 v11, v7, v10
	v_fma_f32 v12, -v6, v11, v7
	v_fmac_f32_e32 v11, v12, v10
	v_fma_f32 v6, -v6, v11, v7
	v_div_fmas_f32 v6, v6, v10, v11
	v_div_fixup_f32 v7, v6, v5, 1.0
	v_mul_f32_e64 v8, v8, -v7
.LBB70_115:
	s_or_b64 exec, exec, s[14:15]
	v_lshlrev_b32_e32 v5, 3, v9
	ds_write_b64 v5, v[7:8]
.LBB70_116:
	s_or_b64 exec, exec, s[12:13]
                                        ; implicit-def: $vgpr5_vgpr6
                                        ; implicit-def: $vgpr9
.LBB70_117:
	s_andn2_saveexec_b64 s[10:11], s[10:11]
	s_cbranch_execz .LBB70_119
; %bb.118:
	v_lshlrev_b64 v[5:6], 3, v[5:6]
	v_mov_b32_e32 v7, s98
	v_add_co_u32_e32 v5, vcc, s97, v5
	v_addc_co_u32_e32 v6, vcc, v7, v6, vcc
	global_load_dwordx2 v[5:6], v[5:6], off
	v_lshlrev_b32_e32 v7, 3, v9
	s_waitcnt vmcnt(0)
	v_xor_b32_e32 v5, 0x80000000, v5
	v_xor_b32_e32 v6, 0x80000000, v6
	ds_write_b64 v7, v[5:6]
.LBB70_119:
	s_or_b64 exec, exec, s[10:11]
	v_add_u32_e32 v5, 48, v2
	v_mad_u64_u32 v[3:4], s[10:11], s24, v5, v[3:4]
	v_cmp_gt_u32_e32 vcc, v0, v5
	v_lshl_add_u32 v7, v5, 6, v0
	v_mad_u64_u32 v[8:9], s[10:11], s25, v5, v[4:5]
	v_cmp_gt_i32_e64 s[10:11], s96, v5
	s_and_b64 s[10:11], vcc, s[10:11]
	s_and_b64 s[10:11], s[6:7], s[10:11]
	v_mov_b32_e32 v4, v8
	s_xor_b64 s[10:11], s[10:11], -1
	s_and_saveexec_b64 s[12:13], s[10:11]
	s_xor_b64 s[10:11], exec, s[12:13]
	s_cbranch_execz .LBB70_131
; %bb.120:
	v_cmp_ne_u32_e32 vcc, v0, v5
	s_xor_b64 s[6:7], s[6:7], -1
	s_or_b64 s[6:7], s[6:7], vcc
	s_and_saveexec_b64 s[12:13], s[6:7]
	s_xor_b64 s[6:7], exec, s[12:13]
	s_cbranch_execz .LBB70_124
; %bb.121:
	v_or_b32_e32 v3, v5, v0
	v_cmp_gt_u32_e32 vcc, 64, v3
	s_and_saveexec_b64 s[12:13], vcc
; %bb.122:
	v_mov_b32_e32 v3, 0
	v_lshlrev_b32_e32 v5, 3, v7
	v_mov_b32_e32 v4, v3
	ds_write_b64 v5, v[3:4]
; %bb.123:
	s_or_b64 exec, exec, s[12:13]
                                        ; implicit-def: $vgpr7
                                        ; implicit-def: $vgpr3_vgpr4
.LBB70_124:
	s_andn2_saveexec_b64 s[6:7], s[6:7]
	s_cbranch_execz .LBB70_130
; %bb.125:
	v_lshlrev_b64 v[3:4], 3, v[3:4]
	v_mov_b32_e32 v5, s98
	v_add_co_u32_e32 v3, vcc, s97, v3
	v_addc_co_u32_e32 v4, vcc, v5, v4, vcc
	global_load_dwordx2 v[3:4], v[3:4], off
                                        ; implicit-def: $vgpr5
	s_waitcnt vmcnt(0)
	v_cmp_ngt_f32_e64 s[12:13], |v3|, |v4|
	s_and_saveexec_b64 s[14:15], s[12:13]
	s_xor_b64 s[12:13], exec, s[14:15]
	s_cbranch_execz .LBB70_127
; %bb.126:
	v_div_scale_f32 v5, s[14:15], v4, v4, v3
	v_div_scale_f32 v6, vcc, v3, v4, v3
	v_rcp_f32_e32 v8, v5
	v_fma_f32 v9, -v5, v8, 1.0
	v_fmac_f32_e32 v8, v9, v8
	v_mul_f32_e32 v9, v6, v8
	v_fma_f32 v10, -v5, v9, v6
	v_fmac_f32_e32 v9, v10, v8
	v_fma_f32 v5, -v5, v9, v6
	v_div_fmas_f32 v5, v5, v8, v9
	v_div_fixup_f32 v5, v5, v4, v3
	v_fmac_f32_e32 v4, v3, v5
	v_div_scale_f32 v3, s[14:15], v4, v4, 1.0
	v_div_scale_f32 v6, vcc, 1.0, v4, 1.0
	v_rcp_f32_e32 v8, v3
	v_fma_f32 v9, -v3, v8, 1.0
	v_fmac_f32_e32 v8, v9, v8
	v_mul_f32_e32 v9, v6, v8
	v_fma_f32 v10, -v3, v9, v6
	v_fmac_f32_e32 v9, v10, v8
	v_fma_f32 v3, -v3, v9, v6
	v_div_fmas_f32 v3, v3, v8, v9
	v_div_fixup_f32 v3, v3, v4, 1.0
	v_mul_f32_e32 v5, v5, v3
	v_xor_b32_e32 v6, 0x80000000, v3
                                        ; implicit-def: $vgpr3_vgpr4
.LBB70_127:
	s_andn2_saveexec_b64 s[12:13], s[12:13]
	s_cbranch_execz .LBB70_129
; %bb.128:
	v_div_scale_f32 v5, s[14:15], v3, v3, v4
	v_div_scale_f32 v6, vcc, v4, v3, v4
	v_rcp_f32_e32 v8, v5
	v_fma_f32 v9, -v5, v8, 1.0
	v_fmac_f32_e32 v8, v9, v8
	v_mul_f32_e32 v9, v6, v8
	v_fma_f32 v10, -v5, v9, v6
	v_fmac_f32_e32 v9, v10, v8
	v_fma_f32 v5, -v5, v9, v6
	v_div_fmas_f32 v5, v5, v8, v9
	v_div_fixup_f32 v6, v5, v3, v4
	v_fmac_f32_e32 v3, v4, v6
	v_div_scale_f32 v4, s[14:15], v3, v3, 1.0
	v_div_scale_f32 v5, vcc, 1.0, v3, 1.0
	v_rcp_f32_e32 v8, v4
	v_fma_f32 v9, -v4, v8, 1.0
	v_fmac_f32_e32 v8, v9, v8
	v_mul_f32_e32 v9, v5, v8
	v_fma_f32 v10, -v4, v9, v5
	v_fmac_f32_e32 v9, v10, v8
	v_fma_f32 v4, -v4, v9, v5
	v_div_fmas_f32 v4, v4, v8, v9
	v_div_fixup_f32 v5, v4, v3, 1.0
	v_mul_f32_e64 v6, v6, -v5
.LBB70_129:
	s_or_b64 exec, exec, s[12:13]
	v_lshlrev_b32_e32 v3, 3, v7
	ds_write_b64 v3, v[5:6]
.LBB70_130:
	s_or_b64 exec, exec, s[6:7]
                                        ; implicit-def: $vgpr3_vgpr4
                                        ; implicit-def: $vgpr7
.LBB70_131:
	s_andn2_saveexec_b64 s[6:7], s[10:11]
	s_cbranch_execz .LBB70_133
; %bb.132:
	v_lshlrev_b64 v[3:4], 3, v[3:4]
	v_mov_b32_e32 v5, s98
	v_add_co_u32_e32 v3, vcc, s97, v3
	v_addc_co_u32_e32 v4, vcc, v5, v4, vcc
	global_load_dwordx2 v[3:4], v[3:4], off
	v_lshlrev_b32_e32 v5, 3, v7
	s_waitcnt vmcnt(0)
	v_xor_b32_e32 v3, 0x80000000, v3
	v_xor_b32_e32 v4, 0x80000000, v4
	ds_write_b64 v5, v[3:4]
.LBB70_133:
	s_or_b64 exec, exec, s[6:7]
.LBB70_134:
	s_cmp_lt_i32 s8, 5
	s_cselect_b64 s[6:7], -1, 0
	s_or_b64 s[30:31], s[6:7], s[22:23]
	s_and_b64 vcc, exec, s[30:31]
	s_waitcnt vmcnt(0) lgkmcnt(0)
	s_barrier
	s_cbranch_vccnz .LBB70_994
; %bb.135:
	v_or_b32_e32 v3, v0, v2
	v_cmp_eq_u32_e32 vcc, 0, v3
	s_and_saveexec_b64 s[6:7], vcc
	s_cbranch_execz .LBB70_137
; %bb.136:
	v_mov_b32_e32 v9, 0
	ds_read_b128 v[3:6], v9
	ds_read_b64 v[7:8], v9 offset:520
	s_waitcnt lgkmcnt(0)
	v_mul_f32_e32 v10, v8, v4
	v_mul_f32_e32 v11, v7, v4
	v_fma_f32 v7, v7, v3, -v10
	v_fmac_f32_e32 v11, v8, v3
	v_mul_f32_e32 v3, v11, v6
	v_mul_f32_e32 v4, v7, v6
	v_fma_f32 v3, v7, v5, -v3
	v_fmac_f32_e32 v4, v11, v5
	ds_write_b64 v9, v[3:4] offset:8
.LBB70_137:
	s_or_b64 exec, exec, s[6:7]
	v_and_b32_e32 v8, 1, v0
	v_lshrrev_b32_e32 v5, 1, v1
	v_lshlrev_b32_e32 v3, 3, v8
	v_cmp_lt_u32_e64 s[10:11], 3, v1
	v_cmp_gt_u32_e64 s[6:7], 4, v1
	v_lshl_or_b32 v3, v5, 9, v3
	v_mov_b32_e32 v6, 0
	v_mov_b32_e32 v7, 0
	s_waitcnt lgkmcnt(0)
	s_barrier
	s_and_saveexec_b64 s[14:15], s[6:7]
	s_cbranch_execz .LBB70_141
; %bb.138:
	v_mul_u32_u24_e32 v4, 0x208, v5
	ds_read_b64 v[6:7], v3 offset:16
	ds_read_b64 v[9:10], v4
	v_cmp_gt_u32_e64 s[12:13], 2, v1
	s_waitcnt lgkmcnt(0)
	v_mul_f32_e32 v4, v10, v7
	v_mul_f32_e32 v7, v9, v7
	v_fma_f32 v4, v9, v6, -v4
	v_fmac_f32_e32 v7, v10, v6
	v_add_f32_e32 v4, 0, v4
	v_add_f32_e32 v6, 0, v7
	s_and_saveexec_b64 s[16:17], s[12:13]
	s_cbranch_execz .LBB70_140
; %bb.139:
	v_lshlrev_b32_e32 v7, 3, v0
	v_mov_b32_e32 v11, 0
	ds_read_b64 v[9:10], v7 offset:528
	ds_read_b64 v[11:12], v11 offset:8
	s_waitcnt lgkmcnt(0)
	v_mul_f32_e32 v7, v12, v10
	v_mul_f32_e32 v10, v11, v10
	v_fma_f32 v7, v11, v9, -v7
	v_fmac_f32_e32 v10, v12, v9
	v_add_f32_e32 v4, v4, v7
	v_add_f32_e32 v6, v6, v10
.LBB70_140:
	s_or_b64 exec, exec, s[16:17]
	v_xor_b32_e32 v7, 0x80000000, v4
	v_xor_b32_e32 v6, 0x80000000, v6
.LBB70_141:
	s_or_b64 exec, exec, s[14:15]
	v_mov_b32_e32 v4, 0x8000
	v_cmp_eq_u32_e64 s[12:13], 0, v8
	s_xor_b64 s[14:15], s[10:11], -1
	v_lshl_add_u32 v4, v5, 3, v4
	s_and_b64 s[36:37], s[12:13], s[14:15]
	s_and_saveexec_b64 s[10:11], s[36:37]
	s_cbranch_execz .LBB70_143
; %bb.142:
	v_mov_b32_e32 v9, 0
	ds_read_b64 v[9:10], v9 offset:1040
	s_waitcnt lgkmcnt(0)
	v_mul_f32_e32 v12, v6, v10
	v_mul_f32_e32 v11, v7, v10
	v_fma_f32 v10, v7, v9, -v12
	v_fmac_f32_e32 v11, v6, v9
	v_mov_b32_e32 v7, v10
	v_mov_b32_e32 v6, v11
	ds_write_b64 v4, v[10:11]
.LBB70_143:
	s_or_b64 exec, exec, s[10:11]
	v_cmp_ne_u32_e64 s[10:11], 0, v8
	s_and_b64 s[34:35], s[10:11], s[14:15]
	s_waitcnt lgkmcnt(0)
	s_barrier
	s_and_saveexec_b64 s[10:11], s[34:35]
	s_cbranch_execz .LBB70_145
; %bb.144:
	v_mov_b32_e32 v8, 0
	ds_read_b64 v[8:9], v8 offset:1048
	ds_read_b64 v[10:11], v4
	s_waitcnt lgkmcnt(0)
	v_mul_f32_e32 v12, v11, v9
	v_mul_f32_e32 v9, v10, v9
	v_fma_f32 v10, v10, v8, -v12
	v_fmac_f32_e32 v9, v11, v8
	v_add_f32_e32 v7, v7, v10
	v_add_f32_e32 v6, v6, v9
.LBB70_145:
	s_or_b64 exec, exec, s[10:11]
	s_barrier
	s_and_saveexec_b64 s[10:11], s[34:35]
	s_cbranch_execz .LBB70_147
; %bb.146:
	v_mov_b32_e32 v8, 0
	ds_read_b64 v[8:9], v8 offset:1560
	s_waitcnt lgkmcnt(0)
	v_mul_f32_e32 v11, v6, v9
	v_mul_f32_e32 v10, v7, v9
	v_fma_f32 v9, v7, v8, -v11
	v_fmac_f32_e32 v10, v6, v8
	v_mov_b32_e32 v7, v9
	v_mov_b32_e32 v6, v10
	ds_write_b64 v4, v[9:10]
.LBB70_147:
	s_or_b64 exec, exec, s[10:11]
	s_waitcnt lgkmcnt(0)
	s_barrier
	s_barrier
	s_and_saveexec_b64 s[10:11], s[6:7]
; %bb.148:
	v_xor_b32_e32 v8, 0x80000000, v6
	v_xor_b32_e32 v7, 0x80000000, v7
	ds_write_b64 v3, v[7:8] offset:16
; %bb.149:
	s_or_b64 exec, exec, s[10:11]
	s_waitcnt lgkmcnt(0)
	s_barrier
	s_barrier
	s_and_saveexec_b64 s[10:11], vcc
	s_cbranch_execz .LBB70_151
; %bb.150:
	v_mov_b32_e32 v12, 0
	ds_read_b128 v[6:9], v12 offset:1040
	ds_read_b64 v[10:11], v12 offset:1560
	s_waitcnt lgkmcnt(0)
	v_mul_f32_e32 v13, v11, v7
	v_mul_f32_e32 v14, v10, v7
	v_fma_f32 v10, v10, v6, -v13
	v_fmac_f32_e32 v14, v11, v6
	v_mul_f32_e32 v6, v14, v9
	v_mul_f32_e32 v7, v10, v9
	v_fma_f32 v6, v10, v8, -v6
	v_fmac_f32_e32 v7, v14, v8
	ds_write_b64 v12, v[6:7] offset:1048
.LBB70_151:
	s_or_b64 exec, exec, s[10:11]
	v_and_b32_e32 v9, 3, v0
	v_lshrrev_b32_e32 v10, 2, v1
	v_lshlrev_b32_e32 v7, 3, v9
	v_cmp_lt_u32_e64 s[10:11], 15, v1
	v_cmp_gt_u32_e64 s[18:19], 16, v1
	v_lshl_or_b32 v6, v10, 9, v7
	v_mov_b32_e32 v11, 0
	v_mov_b32_e32 v12, 0
	s_waitcnt lgkmcnt(0)
	s_barrier
	s_and_saveexec_b64 s[14:15], s[18:19]
	s_cbranch_execz .LBB70_157
; %bb.152:
	v_mul_u32_u24_e32 v12, 0x208, v10
	ds_read_b64 v[13:14], v6 offset:32
	ds_read_b64 v[15:16], v12
	v_cmp_gt_u32_e64 s[12:13], 12, v1
	s_waitcnt lgkmcnt(0)
	v_mul_f32_e32 v8, v16, v14
	v_mul_f32_e32 v11, v15, v14
	v_fma_f32 v8, v15, v13, -v8
	v_fmac_f32_e32 v11, v16, v13
	v_add_f32_e32 v8, 0, v8
	v_add_f32_e32 v11, 0, v11
	s_and_saveexec_b64 s[16:17], s[12:13]
	s_cbranch_execnz .LBB70_1054
; %bb.153:
	s_or_b64 exec, exec, s[16:17]
	v_cmp_gt_u32_e64 s[12:13], 8, v1
	s_and_saveexec_b64 s[16:17], s[12:13]
	s_cbranch_execnz .LBB70_1055
.LBB70_154:
	s_or_b64 exec, exec, s[16:17]
	v_cmp_gt_u32_e64 s[12:13], 4, v1
	s_and_saveexec_b64 s[16:17], s[12:13]
	s_cbranch_execz .LBB70_156
.LBB70_155:
	v_lshlrev_b32_e32 v12, 3, v0
	v_mov_b32_e32 v14, 0
	ds_read_b64 v[12:13], v12 offset:1568
	ds_read_b64 v[14:15], v14 offset:24
	s_waitcnt lgkmcnt(0)
	v_mul_f32_e32 v16, v15, v13
	v_mul_f32_e32 v13, v14, v13
	v_fma_f32 v14, v14, v12, -v16
	v_fmac_f32_e32 v13, v15, v12
	v_add_f32_e32 v8, v8, v14
	v_add_f32_e32 v11, v11, v13
.LBB70_156:
	s_or_b64 exec, exec, s[16:17]
	v_xor_b32_e32 v12, 0x80000000, v8
	v_xor_b32_e32 v11, 0x80000000, v11
.LBB70_157:
	s_or_b64 exec, exec, s[14:15]
	v_mov_b32_e32 v8, 0x8000
	v_cmp_eq_u32_e64 s[12:13], 0, v9
	s_xor_b64 s[14:15], s[10:11], -1
	v_lshl_add_u32 v8, v10, 3, v8
	s_and_b64 s[40:41], s[12:13], s[14:15]
	s_and_saveexec_b64 s[10:11], s[40:41]
	s_cbranch_execz .LBB70_159
; %bb.158:
	v_mov_b32_e32 v13, 0
	ds_read_b64 v[13:14], v13 offset:2080
	s_waitcnt lgkmcnt(0)
	v_mul_f32_e32 v16, v11, v14
	v_mul_f32_e32 v15, v12, v14
	v_fma_f32 v14, v12, v13, -v16
	v_fmac_f32_e32 v15, v11, v13
	v_mov_b32_e32 v12, v14
	v_mov_b32_e32 v11, v15
	ds_write_b64 v8, v[14:15]
.LBB70_159:
	s_or_b64 exec, exec, s[10:11]
	v_cmp_ne_u32_e64 s[10:11], 0, v9
	s_and_b64 s[42:43], s[10:11], s[14:15]
	s_waitcnt lgkmcnt(0)
	s_barrier
	s_and_saveexec_b64 s[10:11], s[42:43]
	s_cbranch_execz .LBB70_161
; %bb.160:
	ds_read_b64 v[13:14], v7 offset:2080
	ds_read_b64 v[15:16], v8
	s_waitcnt lgkmcnt(0)
	v_mul_f32_e32 v17, v16, v14
	v_mul_f32_e32 v14, v15, v14
	v_fma_f32 v15, v15, v13, -v17
	v_fmac_f32_e32 v14, v16, v13
	v_add_f32_e32 v12, v12, v15
	v_add_f32_e32 v11, v11, v14
.LBB70_161:
	s_or_b64 exec, exec, s[10:11]
	v_cmp_eq_u32_e64 s[10:11], 1, v9
	s_and_b64 s[44:45], s[10:11], s[14:15]
	s_barrier
	s_and_saveexec_b64 s[10:11], s[44:45]
	s_cbranch_execz .LBB70_163
; %bb.162:
	v_mov_b32_e32 v13, 0
	ds_read_b64 v[13:14], v13 offset:2600
	s_waitcnt lgkmcnt(0)
	v_mul_f32_e32 v16, v11, v14
	v_mul_f32_e32 v15, v12, v14
	v_fma_f32 v14, v12, v13, -v16
	v_fmac_f32_e32 v15, v11, v13
	v_mov_b32_e32 v12, v14
	v_mov_b32_e32 v11, v15
	ds_write_b64 v8, v[14:15]
.LBB70_163:
	s_or_b64 exec, exec, s[10:11]
	v_cmp_lt_u32_e64 s[10:11], 1, v9
	s_and_b64 s[46:47], s[10:11], s[14:15]
	s_waitcnt lgkmcnt(0)
	s_barrier
	s_and_saveexec_b64 s[10:11], s[46:47]
	s_cbranch_execz .LBB70_165
; %bb.164:
	ds_read_b64 v[13:14], v7 offset:2592
	ds_read_b64 v[15:16], v8
	s_waitcnt lgkmcnt(0)
	v_mul_f32_e32 v17, v16, v14
	v_mul_f32_e32 v14, v15, v14
	v_fma_f32 v15, v15, v13, -v17
	v_fmac_f32_e32 v14, v16, v13
	v_add_f32_e32 v12, v12, v15
	v_add_f32_e32 v11, v11, v14
.LBB70_165:
	s_or_b64 exec, exec, s[10:11]
	v_cmp_eq_u32_e64 s[10:11], 2, v9
	s_and_b64 s[48:49], s[10:11], s[14:15]
	s_barrier
	s_and_saveexec_b64 s[10:11], s[48:49]
	s_cbranch_execz .LBB70_167
; %bb.166:
	v_mov_b32_e32 v13, 0
	ds_read_b64 v[13:14], v13 offset:3120
	s_waitcnt lgkmcnt(0)
	v_mul_f32_e32 v16, v11, v14
	v_mul_f32_e32 v15, v12, v14
	v_fma_f32 v14, v12, v13, -v16
	v_fmac_f32_e32 v15, v11, v13
	v_mov_b32_e32 v12, v14
	v_mov_b32_e32 v11, v15
	ds_write_b64 v8, v[14:15]
.LBB70_167:
	s_or_b64 exec, exec, s[10:11]
	v_cmp_eq_u32_e64 s[10:11], 3, v9
	s_and_b64 s[38:39], s[10:11], s[14:15]
	s_waitcnt lgkmcnt(0)
	s_barrier
	s_and_saveexec_b64 s[10:11], s[38:39]
	s_cbranch_execz .LBB70_169
; %bb.168:
	v_mov_b32_e32 v13, 0
	ds_read_b64 v[13:14], v13 offset:3128
	ds_read_b64 v[15:16], v8
	s_waitcnt lgkmcnt(0)
	v_mul_f32_e32 v17, v16, v14
	v_mul_f32_e32 v14, v15, v14
	v_fma_f32 v15, v15, v13, -v17
	v_fmac_f32_e32 v14, v16, v13
	v_add_f32_e32 v12, v12, v15
	v_add_f32_e32 v11, v11, v14
.LBB70_169:
	s_or_b64 exec, exec, s[10:11]
	s_barrier
	s_and_saveexec_b64 s[10:11], s[38:39]
	s_cbranch_execz .LBB70_171
; %bb.170:
	v_mov_b32_e32 v13, 0
	ds_read_b64 v[13:14], v13 offset:3640
	s_waitcnt lgkmcnt(0)
	v_mul_f32_e32 v16, v11, v14
	v_mul_f32_e32 v15, v12, v14
	v_fma_f32 v14, v12, v13, -v16
	v_fmac_f32_e32 v15, v11, v13
	v_mov_b32_e32 v12, v14
	v_mov_b32_e32 v11, v15
	ds_write_b64 v8, v[14:15]
.LBB70_171:
	s_or_b64 exec, exec, s[10:11]
	s_waitcnt lgkmcnt(0)
	s_barrier
	s_barrier
	s_and_saveexec_b64 s[10:11], s[18:19]
; %bb.172:
	v_xor_b32_e32 v12, 0x80000000, v12
	v_xor_b32_e32 v13, 0x80000000, v11
	ds_write_b64 v6, v[12:13] offset:32
; %bb.173:
	s_or_b64 exec, exec, s[10:11]
	s_waitcnt lgkmcnt(0)
	s_barrier
	s_barrier
	s_and_saveexec_b64 s[10:11], vcc
	s_cbranch_execz .LBB70_175
; %bb.174:
	v_mov_b32_e32 v17, 0
	ds_read_b128 v[11:14], v17 offset:2080
	ds_read_b64 v[15:16], v17 offset:2600
	s_waitcnt lgkmcnt(0)
	v_mul_f32_e32 v18, v16, v12
	v_mul_f32_e32 v19, v15, v12
	v_fma_f32 v15, v15, v11, -v18
	v_fmac_f32_e32 v19, v16, v11
	v_mul_f32_e32 v11, v19, v14
	v_mul_f32_e32 v12, v15, v14
	v_fma_f32 v11, v15, v13, -v11
	v_fmac_f32_e32 v12, v19, v13
	ds_write_b64 v17, v[11:12] offset:2088
.LBB70_175:
	s_or_b64 exec, exec, s[10:11]
	v_mov_b32_e32 v11, 0
	v_mov_b32_e32 v12, 0
	s_waitcnt lgkmcnt(0)
	s_barrier
	s_and_saveexec_b64 s[12:13], s[6:7]
	s_cbranch_execz .LBB70_179
; %bb.176:
	v_mul_u32_u24_e32 v13, 0x208, v5
	ds_read_b64 v[11:12], v3 offset:2096
	ds_read_b64 v[13:14], v13 offset:2080
	v_cmp_gt_u32_e64 s[10:11], 2, v1
	s_waitcnt lgkmcnt(0)
	v_mul_f32_e32 v15, v14, v12
	v_mul_f32_e32 v12, v13, v12
	v_fma_f32 v13, v13, v11, -v15
	v_fmac_f32_e32 v12, v14, v11
	v_add_f32_e32 v11, 0, v13
	v_add_f32_e32 v13, 0, v12
	s_and_saveexec_b64 s[14:15], s[10:11]
	s_cbranch_execz .LBB70_178
; %bb.177:
	v_lshlrev_b32_e32 v12, 3, v0
	v_mov_b32_e32 v16, 0
	ds_read_b64 v[14:15], v12 offset:2608
	ds_read_b64 v[16:17], v16 offset:2088
	s_waitcnt lgkmcnt(0)
	v_mul_f32_e32 v12, v17, v15
	v_mul_f32_e32 v15, v16, v15
	v_fma_f32 v12, v16, v14, -v12
	v_fmac_f32_e32 v15, v17, v14
	v_add_f32_e32 v11, v11, v12
	v_add_f32_e32 v13, v13, v15
.LBB70_178:
	s_or_b64 exec, exec, s[14:15]
	v_xor_b32_e32 v12, 0x80000000, v11
	v_xor_b32_e32 v11, 0x80000000, v13
.LBB70_179:
	s_or_b64 exec, exec, s[12:13]
	s_and_saveexec_b64 s[10:11], s[36:37]
	s_cbranch_execz .LBB70_181
; %bb.180:
	v_mov_b32_e32 v13, 0
	ds_read_b64 v[13:14], v13 offset:3120
	s_waitcnt lgkmcnt(0)
	v_mul_f32_e32 v16, v11, v14
	v_mul_f32_e32 v15, v12, v14
	v_fma_f32 v14, v12, v13, -v16
	v_fmac_f32_e32 v15, v11, v13
	v_mov_b32_e32 v12, v14
	v_mov_b32_e32 v11, v15
	ds_write_b64 v4, v[14:15]
.LBB70_181:
	s_or_b64 exec, exec, s[10:11]
	s_waitcnt lgkmcnt(0)
	s_barrier
	s_and_saveexec_b64 s[10:11], s[34:35]
	s_cbranch_execz .LBB70_183
; %bb.182:
	v_mov_b32_e32 v13, 0
	ds_read_b64 v[13:14], v13 offset:3128
	ds_read_b64 v[15:16], v4
	s_waitcnt lgkmcnt(0)
	v_mul_f32_e32 v17, v16, v14
	v_mul_f32_e32 v14, v15, v14
	v_fma_f32 v15, v15, v13, -v17
	v_fmac_f32_e32 v14, v16, v13
	v_add_f32_e32 v12, v12, v15
	v_add_f32_e32 v11, v11, v14
.LBB70_183:
	s_or_b64 exec, exec, s[10:11]
	s_barrier
	s_and_saveexec_b64 s[10:11], s[34:35]
	s_cbranch_execz .LBB70_185
; %bb.184:
	v_mov_b32_e32 v13, 0
	ds_read_b64 v[13:14], v13 offset:3640
	s_waitcnt lgkmcnt(0)
	v_mul_f32_e32 v16, v11, v14
	v_mul_f32_e32 v15, v12, v14
	v_fma_f32 v14, v12, v13, -v16
	v_fmac_f32_e32 v15, v11, v13
	v_mov_b32_e32 v12, v14
	v_mov_b32_e32 v11, v15
	ds_write_b64 v4, v[14:15]
.LBB70_185:
	s_or_b64 exec, exec, s[10:11]
	s_waitcnt lgkmcnt(0)
	s_barrier
	s_barrier
	s_and_saveexec_b64 s[10:11], s[6:7]
; %bb.186:
	v_xor_b32_e32 v13, 0x80000000, v11
	v_xor_b32_e32 v12, 0x80000000, v12
	ds_write_b64 v3, v[12:13] offset:2096
; %bb.187:
	s_or_b64 exec, exec, s[10:11]
	s_waitcnt lgkmcnt(0)
	s_barrier
	s_barrier
	s_and_saveexec_b64 s[10:11], vcc
	s_cbranch_execz .LBB70_189
; %bb.188:
	v_mov_b32_e32 v17, 0
	ds_read_b128 v[11:14], v17 offset:3120
	ds_read_b64 v[15:16], v17 offset:3640
	s_waitcnt lgkmcnt(0)
	v_mul_f32_e32 v18, v16, v12
	v_mul_f32_e32 v19, v15, v12
	v_fma_f32 v15, v15, v11, -v18
	v_fmac_f32_e32 v19, v16, v11
	v_mul_f32_e32 v11, v19, v14
	v_mul_f32_e32 v12, v15, v14
	v_fma_f32 v11, v15, v13, -v11
	v_fmac_f32_e32 v12, v19, v13
	ds_write_b64 v17, v[11:12] offset:3128
.LBB70_189:
	s_or_b64 exec, exec, s[10:11]
	v_and_b32_e32 v14, 7, v0
	v_lshrrev_b32_e32 v15, 3, v1
	v_lshlrev_b32_e32 v12, 3, v14
	v_cmp_lt_u32_e64 s[12:13], 63, v1
	v_cmp_gt_u32_e64 s[10:11], 64, v1
	v_lshl_or_b32 v11, v15, 9, v12
	v_mov_b32_e32 v16, 0
	v_mov_b32_e32 v17, 0
	s_waitcnt lgkmcnt(0)
	s_barrier
	s_and_saveexec_b64 s[16:17], s[10:11]
	s_cbranch_execz .LBB70_199
; %bb.190:
	v_mul_u32_u24_e32 v17, 0x208, v15
	ds_read_b64 v[18:19], v11 offset:64
	ds_read_b64 v[20:21], v17
	v_cmp_gt_u32_e64 s[14:15], 56, v1
	s_waitcnt lgkmcnt(0)
	v_mul_f32_e32 v13, v21, v19
	v_mul_f32_e32 v16, v20, v19
	v_fma_f32 v13, v20, v18, -v13
	v_fmac_f32_e32 v16, v21, v18
	v_add_f32_e32 v13, 0, v13
	v_add_f32_e32 v16, 0, v16
	s_and_saveexec_b64 s[20:21], s[14:15]
	s_cbranch_execnz .LBB70_1056
; %bb.191:
	s_or_b64 exec, exec, s[20:21]
	v_cmp_gt_u32_e64 s[14:15], 48, v1
	s_and_saveexec_b64 s[20:21], s[14:15]
	s_cbranch_execnz .LBB70_1057
.LBB70_192:
	s_or_b64 exec, exec, s[20:21]
	v_cmp_gt_u32_e64 s[14:15], 40, v1
	s_and_saveexec_b64 s[20:21], s[14:15]
	s_cbranch_execnz .LBB70_1058
.LBB70_193:
	s_or_b64 exec, exec, s[20:21]
	v_cmp_gt_u32_e64 s[14:15], 32, v1
	s_and_saveexec_b64 s[20:21], s[14:15]
	s_cbranch_execnz .LBB70_1059
.LBB70_194:
	s_or_b64 exec, exec, s[20:21]
	v_cmp_gt_u32_e64 s[14:15], 24, v1
	s_and_saveexec_b64 s[20:21], s[14:15]
	s_cbranch_execnz .LBB70_1060
.LBB70_195:
	s_or_b64 exec, exec, s[20:21]
	v_cmp_gt_u32_e64 s[14:15], 16, v1
	s_and_saveexec_b64 s[20:21], s[14:15]
	s_cbranch_execnz .LBB70_1061
.LBB70_196:
	s_or_b64 exec, exec, s[20:21]
	v_cmp_gt_u32_e64 s[14:15], 8, v1
	s_and_saveexec_b64 s[20:21], s[14:15]
	s_cbranch_execz .LBB70_198
.LBB70_197:
	v_lshlrev_b32_e32 v17, 3, v0
	v_mov_b32_e32 v19, 0
	ds_read_b64 v[17:18], v17 offset:3648
	ds_read_b64 v[19:20], v19 offset:56
	s_waitcnt lgkmcnt(0)
	v_mul_f32_e32 v21, v20, v18
	v_mul_f32_e32 v18, v19, v18
	v_fma_f32 v19, v19, v17, -v21
	v_fmac_f32_e32 v18, v20, v17
	v_add_f32_e32 v13, v13, v19
	v_add_f32_e32 v16, v16, v18
.LBB70_198:
	s_or_b64 exec, exec, s[20:21]
	v_xor_b32_e32 v17, 0x80000000, v13
	v_xor_b32_e32 v16, 0x80000000, v16
.LBB70_199:
                                        ; implicit-def: $vgpr34 : SGPR spill to VGPR lane
	v_writelane_b32 v34, s52, 0
	s_or_b64 exec, exec, s[16:17]
	v_mov_b32_e32 v13, 0x8000
	v_cmp_eq_u32_e64 s[14:15], 0, v14
	s_xor_b64 s[16:17], s[12:13], -1
	v_lshl_add_u32 v13, v15, 3, v13
	s_and_b64 s[52:53], s[14:15], s[16:17]
	s_and_saveexec_b64 s[12:13], s[52:53]
	s_cbranch_execz .LBB70_201
; %bb.200:
	v_mov_b32_e32 v18, 0
	ds_read_b64 v[18:19], v18 offset:4160
	s_waitcnt lgkmcnt(0)
	v_mul_f32_e32 v21, v16, v19
	v_mul_f32_e32 v20, v17, v19
	v_fma_f32 v19, v17, v18, -v21
	v_fmac_f32_e32 v20, v16, v18
	v_mov_b32_e32 v17, v19
	v_mov_b32_e32 v16, v20
	ds_write_b64 v13, v[19:20]
.LBB70_201:
	s_or_b64 exec, exec, s[12:13]
	v_cmp_ne_u32_e64 s[12:13], 0, v14
	s_and_b64 s[54:55], s[12:13], s[16:17]
	s_waitcnt lgkmcnt(0)
	s_barrier
	s_and_saveexec_b64 s[12:13], s[54:55]
	s_cbranch_execz .LBB70_203
; %bb.202:
	ds_read_b64 v[18:19], v12 offset:4160
	ds_read_b64 v[20:21], v13
	s_waitcnt lgkmcnt(0)
	v_mul_f32_e32 v22, v21, v19
	v_mul_f32_e32 v19, v20, v19
	v_fma_f32 v20, v20, v18, -v22
	v_fmac_f32_e32 v19, v21, v18
	v_add_f32_e32 v17, v17, v20
	v_add_f32_e32 v16, v16, v19
.LBB70_203:
	s_or_b64 exec, exec, s[12:13]
	v_cmp_eq_u32_e64 s[12:13], 1, v14
	s_and_b64 s[56:57], s[12:13], s[16:17]
	s_barrier
	s_and_saveexec_b64 s[12:13], s[56:57]
	s_cbranch_execz .LBB70_205
; %bb.204:
	v_mov_b32_e32 v18, 0
	ds_read_b64 v[18:19], v18 offset:4680
	s_waitcnt lgkmcnt(0)
	v_mul_f32_e32 v21, v16, v19
	v_mul_f32_e32 v20, v17, v19
	v_fma_f32 v19, v17, v18, -v21
	v_fmac_f32_e32 v20, v16, v18
	v_mov_b32_e32 v17, v19
	v_mov_b32_e32 v16, v20
	ds_write_b64 v13, v[19:20]
.LBB70_205:
	s_or_b64 exec, exec, s[12:13]
	v_cmp_lt_u32_e64 s[12:13], 1, v14
	s_and_b64 s[58:59], s[12:13], s[16:17]
	s_waitcnt lgkmcnt(0)
	s_barrier
	s_and_saveexec_b64 s[12:13], s[58:59]
	s_cbranch_execz .LBB70_207
; %bb.206:
	ds_read_b64 v[18:19], v12 offset:4672
	ds_read_b64 v[20:21], v13
	s_waitcnt lgkmcnt(0)
	v_mul_f32_e32 v22, v21, v19
	v_mul_f32_e32 v19, v20, v19
	v_fma_f32 v20, v20, v18, -v22
	v_fmac_f32_e32 v19, v21, v18
	v_add_f32_e32 v17, v17, v20
	v_add_f32_e32 v16, v16, v19
.LBB70_207:
	s_or_b64 exec, exec, s[12:13]
	v_cmp_eq_u32_e64 s[12:13], 2, v14
	s_and_b64 s[60:61], s[12:13], s[16:17]
	s_barrier
	s_and_saveexec_b64 s[12:13], s[60:61]
	s_cbranch_execz .LBB70_209
; %bb.208:
	v_mov_b32_e32 v18, 0
	ds_read_b64 v[18:19], v18 offset:5200
	s_waitcnt lgkmcnt(0)
	v_mul_f32_e32 v21, v16, v19
	v_mul_f32_e32 v20, v17, v19
	v_fma_f32 v19, v17, v18, -v21
	v_fmac_f32_e32 v20, v16, v18
	v_mov_b32_e32 v17, v19
	v_mov_b32_e32 v16, v20
	ds_write_b64 v13, v[19:20]
.LBB70_209:
	s_or_b64 exec, exec, s[12:13]
	v_cmp_lt_u32_e64 s[12:13], 2, v14
	;; [unrolled: 36-line block ×5, first 2 shown]
	s_and_b64 s[74:75], s[12:13], s[16:17]
	s_waitcnt lgkmcnt(0)
	s_barrier
	s_and_saveexec_b64 s[12:13], s[74:75]
	s_cbranch_execz .LBB70_223
; %bb.222:
	ds_read_b64 v[18:19], v12 offset:6720
	ds_read_b64 v[20:21], v13
	s_waitcnt lgkmcnt(0)
	v_mul_f32_e32 v22, v21, v19
	v_mul_f32_e32 v19, v20, v19
	v_fma_f32 v20, v20, v18, -v22
	v_fmac_f32_e32 v19, v21, v18
	v_add_f32_e32 v17, v17, v20
	v_add_f32_e32 v16, v16, v19
.LBB70_223:
	s_or_b64 exec, exec, s[12:13]
	v_cmp_eq_u32_e64 s[12:13], 6, v14
	s_and_b64 s[76:77], s[12:13], s[16:17]
	s_barrier
	s_and_saveexec_b64 s[12:13], s[76:77]
	s_cbranch_execz .LBB70_225
; %bb.224:
	v_mov_b32_e32 v18, 0
	ds_read_b64 v[18:19], v18 offset:7280
	s_waitcnt lgkmcnt(0)
	v_mul_f32_e32 v21, v16, v19
	v_mul_f32_e32 v20, v17, v19
	v_fma_f32 v19, v17, v18, -v21
	v_fmac_f32_e32 v20, v16, v18
	v_mov_b32_e32 v17, v19
	v_mov_b32_e32 v16, v20
	ds_write_b64 v13, v[19:20]
.LBB70_225:
	s_or_b64 exec, exec, s[12:13]
	v_cmp_eq_u32_e64 s[12:13], 7, v14
	s_and_b64 s[50:51], s[12:13], s[16:17]
	s_waitcnt lgkmcnt(0)
	s_barrier
	s_and_saveexec_b64 s[12:13], s[50:51]
	s_cbranch_execz .LBB70_227
; %bb.226:
	v_mov_b32_e32 v18, 0
	ds_read_b64 v[18:19], v18 offset:7288
	ds_read_b64 v[20:21], v13
	s_waitcnt lgkmcnt(0)
	v_mul_f32_e32 v22, v21, v19
	v_mul_f32_e32 v19, v20, v19
	v_fma_f32 v20, v20, v18, -v22
	v_fmac_f32_e32 v19, v21, v18
	v_add_f32_e32 v17, v17, v20
	v_add_f32_e32 v16, v16, v19
.LBB70_227:
	s_or_b64 exec, exec, s[12:13]
	s_barrier
	s_and_saveexec_b64 s[12:13], s[50:51]
	s_cbranch_execz .LBB70_229
; %bb.228:
	v_mov_b32_e32 v18, 0
	ds_read_b64 v[18:19], v18 offset:7800
	s_waitcnt lgkmcnt(0)
	v_mul_f32_e32 v21, v16, v19
	v_mul_f32_e32 v20, v17, v19
	v_fma_f32 v19, v17, v18, -v21
	v_fmac_f32_e32 v20, v16, v18
	v_mov_b32_e32 v17, v19
	v_mov_b32_e32 v16, v20
	ds_write_b64 v13, v[19:20]
.LBB70_229:
	s_or_b64 exec, exec, s[12:13]
	s_waitcnt lgkmcnt(0)
	s_barrier
	s_barrier
	s_and_saveexec_b64 s[12:13], s[10:11]
; %bb.230:
	v_xor_b32_e32 v18, 0x80000000, v16
	v_xor_b32_e32 v17, 0x80000000, v17
	ds_write_b64 v11, v[17:18] offset:64
; %bb.231:
	s_or_b64 exec, exec, s[12:13]
	s_waitcnt lgkmcnt(0)
	s_barrier
	s_barrier
	s_and_saveexec_b64 s[12:13], vcc
	s_cbranch_execz .LBB70_233
; %bb.232:
	v_mov_b32_e32 v22, 0
	ds_read_b128 v[16:19], v22 offset:4160
	ds_read_b64 v[20:21], v22 offset:4680
	s_waitcnt lgkmcnt(0)
	v_mul_f32_e32 v23, v21, v17
	v_mul_f32_e32 v24, v20, v17
	v_fma_f32 v20, v20, v16, -v23
	v_fmac_f32_e32 v24, v21, v16
	v_mul_f32_e32 v16, v24, v19
	v_mul_f32_e32 v17, v20, v19
	v_fma_f32 v16, v20, v18, -v16
	v_fmac_f32_e32 v17, v24, v18
	ds_write_b64 v22, v[16:17] offset:4168
.LBB70_233:
	s_or_b64 exec, exec, s[12:13]
	v_mov_b32_e32 v16, 0
	v_mov_b32_e32 v17, 0
	s_waitcnt lgkmcnt(0)
	s_barrier
	s_and_saveexec_b64 s[14:15], s[6:7]
	s_cbranch_execz .LBB70_237
; %bb.234:
	v_mul_u32_u24_e32 v18, 0x208, v5
	ds_read_b64 v[16:17], v3 offset:4176
	ds_read_b64 v[18:19], v18 offset:4160
	v_cmp_gt_u32_e64 s[12:13], 2, v1
	s_waitcnt lgkmcnt(0)
	v_mul_f32_e32 v20, v19, v17
	v_mul_f32_e32 v17, v18, v17
	v_fma_f32 v18, v18, v16, -v20
	v_fmac_f32_e32 v17, v19, v16
	v_add_f32_e32 v16, 0, v18
	v_add_f32_e32 v18, 0, v17
	s_and_saveexec_b64 s[16:17], s[12:13]
	s_cbranch_execz .LBB70_236
; %bb.235:
	v_lshlrev_b32_e32 v17, 3, v0
	v_mov_b32_e32 v21, 0
	ds_read_b64 v[19:20], v17 offset:4688
	ds_read_b64 v[21:22], v21 offset:4168
	s_waitcnt lgkmcnt(0)
	v_mul_f32_e32 v17, v22, v20
	v_mul_f32_e32 v20, v21, v20
	v_fma_f32 v17, v21, v19, -v17
	v_fmac_f32_e32 v20, v22, v19
	v_add_f32_e32 v16, v16, v17
	v_add_f32_e32 v18, v18, v20
.LBB70_236:
	s_or_b64 exec, exec, s[16:17]
	v_xor_b32_e32 v17, 0x80000000, v16
	v_xor_b32_e32 v16, 0x80000000, v18
.LBB70_237:
	s_or_b64 exec, exec, s[14:15]
	s_and_saveexec_b64 s[12:13], s[36:37]
	s_cbranch_execz .LBB70_239
; %bb.238:
	v_mov_b32_e32 v18, 0
	ds_read_b64 v[18:19], v18 offset:5200
	s_waitcnt lgkmcnt(0)
	v_mul_f32_e32 v21, v16, v19
	v_mul_f32_e32 v20, v17, v19
	v_fma_f32 v19, v17, v18, -v21
	v_fmac_f32_e32 v20, v16, v18
	v_mov_b32_e32 v17, v19
	v_mov_b32_e32 v16, v20
	ds_write_b64 v4, v[19:20]
.LBB70_239:
	s_or_b64 exec, exec, s[12:13]
	s_waitcnt lgkmcnt(0)
	s_barrier
	s_and_saveexec_b64 s[12:13], s[34:35]
	s_cbranch_execz .LBB70_241
; %bb.240:
	v_mov_b32_e32 v18, 0
	ds_read_b64 v[18:19], v18 offset:5208
	ds_read_b64 v[20:21], v4
	s_waitcnt lgkmcnt(0)
	v_mul_f32_e32 v22, v21, v19
	v_mul_f32_e32 v19, v20, v19
	v_fma_f32 v20, v20, v18, -v22
	v_fmac_f32_e32 v19, v21, v18
	v_add_f32_e32 v17, v17, v20
	v_add_f32_e32 v16, v16, v19
.LBB70_241:
	s_or_b64 exec, exec, s[12:13]
	s_barrier
	s_and_saveexec_b64 s[12:13], s[34:35]
	s_cbranch_execz .LBB70_243
; %bb.242:
	v_mov_b32_e32 v18, 0
	ds_read_b64 v[18:19], v18 offset:5720
	s_waitcnt lgkmcnt(0)
	v_mul_f32_e32 v21, v16, v19
	v_mul_f32_e32 v20, v17, v19
	v_fma_f32 v19, v17, v18, -v21
	v_fmac_f32_e32 v20, v16, v18
	v_mov_b32_e32 v17, v19
	v_mov_b32_e32 v16, v20
	ds_write_b64 v4, v[19:20]
.LBB70_243:
	s_or_b64 exec, exec, s[12:13]
	s_waitcnt lgkmcnt(0)
	s_barrier
	s_barrier
	s_and_saveexec_b64 s[12:13], s[6:7]
; %bb.244:
	v_xor_b32_e32 v18, 0x80000000, v16
	v_xor_b32_e32 v17, 0x80000000, v17
	ds_write_b64 v3, v[17:18] offset:4176
; %bb.245:
	s_or_b64 exec, exec, s[12:13]
	s_waitcnt lgkmcnt(0)
	s_barrier
	s_barrier
	s_and_saveexec_b64 s[12:13], vcc
	s_cbranch_execz .LBB70_247
; %bb.246:
	v_mov_b32_e32 v22, 0
	ds_read_b128 v[16:19], v22 offset:5200
	ds_read_b64 v[20:21], v22 offset:5720
	s_waitcnt lgkmcnt(0)
	v_mul_f32_e32 v23, v21, v17
	v_mul_f32_e32 v24, v20, v17
	v_fma_f32 v20, v20, v16, -v23
	v_fmac_f32_e32 v24, v21, v16
	v_mul_f32_e32 v16, v24, v19
	v_mul_f32_e32 v17, v20, v19
	v_fma_f32 v16, v20, v18, -v16
	v_fmac_f32_e32 v17, v24, v18
	ds_write_b64 v22, v[16:17] offset:5208
.LBB70_247:
	s_or_b64 exec, exec, s[12:13]
	v_mov_b32_e32 v16, 0
	v_mov_b32_e32 v17, 0
	s_waitcnt lgkmcnt(0)
	s_barrier
	s_and_saveexec_b64 s[14:15], s[18:19]
	s_cbranch_execz .LBB70_253
; %bb.248:
	v_mul_u32_u24_e32 v17, 0x208, v10
	ds_read_b64 v[18:19], v6 offset:4192
	ds_read_b64 v[20:21], v17 offset:4160
	v_cmp_gt_u32_e64 s[12:13], 12, v1
	s_waitcnt lgkmcnt(0)
	v_mul_f32_e32 v16, v21, v19
	v_mul_f32_e32 v19, v20, v19
	v_fma_f32 v16, v20, v18, -v16
	v_fmac_f32_e32 v19, v21, v18
	v_add_f32_e32 v16, 0, v16
	v_add_f32_e32 v18, 0, v19
	s_and_saveexec_b64 s[16:17], s[12:13]
	s_cbranch_execnz .LBB70_1062
; %bb.249:
	s_or_b64 exec, exec, s[16:17]
	v_cmp_gt_u32_e64 s[12:13], 8, v1
	s_and_saveexec_b64 s[16:17], s[12:13]
	s_cbranch_execnz .LBB70_1063
.LBB70_250:
	s_or_b64 exec, exec, s[16:17]
	v_cmp_gt_u32_e64 s[12:13], 4, v1
	s_and_saveexec_b64 s[16:17], s[12:13]
	s_cbranch_execz .LBB70_252
.LBB70_251:
	v_lshlrev_b32_e32 v17, 3, v0
	v_mov_b32_e32 v21, 0
	ds_read_b64 v[19:20], v17 offset:5728
	ds_read_b64 v[21:22], v21 offset:4184
	s_waitcnt lgkmcnt(0)
	v_mul_f32_e32 v17, v22, v20
	v_mul_f32_e32 v20, v21, v20
	v_fma_f32 v17, v21, v19, -v17
	v_fmac_f32_e32 v20, v22, v19
	v_add_f32_e32 v16, v16, v17
	v_add_f32_e32 v18, v18, v20
.LBB70_252:
	s_or_b64 exec, exec, s[16:17]
	v_xor_b32_e32 v17, 0x80000000, v16
	v_xor_b32_e32 v16, 0x80000000, v18
.LBB70_253:
	s_or_b64 exec, exec, s[14:15]
	s_and_saveexec_b64 s[12:13], s[40:41]
	s_cbranch_execz .LBB70_255
; %bb.254:
	v_mov_b32_e32 v18, 0
	ds_read_b64 v[18:19], v18 offset:6240
	s_waitcnt lgkmcnt(0)
	v_mul_f32_e32 v21, v16, v19
	v_mul_f32_e32 v20, v17, v19
	v_fma_f32 v19, v17, v18, -v21
	v_fmac_f32_e32 v20, v16, v18
	v_mov_b32_e32 v17, v19
	v_mov_b32_e32 v16, v20
	ds_write_b64 v8, v[19:20]
.LBB70_255:
	s_or_b64 exec, exec, s[12:13]
	s_waitcnt lgkmcnt(0)
	s_barrier
	s_and_saveexec_b64 s[12:13], s[42:43]
	s_cbranch_execz .LBB70_257
; %bb.256:
	ds_read_b64 v[18:19], v7 offset:6240
	ds_read_b64 v[20:21], v8
	s_waitcnt lgkmcnt(0)
	v_mul_f32_e32 v22, v21, v19
	v_mul_f32_e32 v19, v20, v19
	v_fma_f32 v20, v20, v18, -v22
	v_fmac_f32_e32 v19, v21, v18
	v_add_f32_e32 v17, v17, v20
	v_add_f32_e32 v16, v16, v19
.LBB70_257:
	s_or_b64 exec, exec, s[12:13]
	s_barrier
	s_and_saveexec_b64 s[12:13], s[44:45]
	s_cbranch_execz .LBB70_259
; %bb.258:
	v_mov_b32_e32 v18, 0
	ds_read_b64 v[18:19], v18 offset:6760
	s_waitcnt lgkmcnt(0)
	v_mul_f32_e32 v21, v16, v19
	v_mul_f32_e32 v20, v17, v19
	v_fma_f32 v19, v17, v18, -v21
	v_fmac_f32_e32 v20, v16, v18
	v_mov_b32_e32 v17, v19
	v_mov_b32_e32 v16, v20
	ds_write_b64 v8, v[19:20]
.LBB70_259:
	s_or_b64 exec, exec, s[12:13]
	s_waitcnt lgkmcnt(0)
	s_barrier
	s_and_saveexec_b64 s[12:13], s[46:47]
	s_cbranch_execz .LBB70_261
; %bb.260:
	ds_read_b64 v[18:19], v7 offset:6752
	ds_read_b64 v[20:21], v8
	s_waitcnt lgkmcnt(0)
	v_mul_f32_e32 v22, v21, v19
	v_mul_f32_e32 v19, v20, v19
	v_fma_f32 v20, v20, v18, -v22
	v_fmac_f32_e32 v19, v21, v18
	v_add_f32_e32 v17, v17, v20
	v_add_f32_e32 v16, v16, v19
.LBB70_261:
	s_or_b64 exec, exec, s[12:13]
	s_barrier
	s_and_saveexec_b64 s[12:13], s[48:49]
	s_cbranch_execz .LBB70_263
; %bb.262:
	v_mov_b32_e32 v18, 0
	ds_read_b64 v[18:19], v18 offset:7280
	s_waitcnt lgkmcnt(0)
	v_mul_f32_e32 v21, v16, v19
	v_mul_f32_e32 v20, v17, v19
	v_fma_f32 v19, v17, v18, -v21
	v_fmac_f32_e32 v20, v16, v18
	v_mov_b32_e32 v17, v19
	v_mov_b32_e32 v16, v20
	ds_write_b64 v8, v[19:20]
.LBB70_263:
	s_or_b64 exec, exec, s[12:13]
	s_waitcnt lgkmcnt(0)
	s_barrier
	s_and_saveexec_b64 s[12:13], s[38:39]
	s_cbranch_execz .LBB70_265
; %bb.264:
	v_mov_b32_e32 v18, 0
	ds_read_b64 v[18:19], v18 offset:7288
	ds_read_b64 v[20:21], v8
	s_waitcnt lgkmcnt(0)
	v_mul_f32_e32 v22, v21, v19
	v_mul_f32_e32 v19, v20, v19
	v_fma_f32 v20, v20, v18, -v22
	v_fmac_f32_e32 v19, v21, v18
	v_add_f32_e32 v17, v17, v20
	v_add_f32_e32 v16, v16, v19
.LBB70_265:
	s_or_b64 exec, exec, s[12:13]
	s_barrier
	s_and_saveexec_b64 s[12:13], s[38:39]
	s_cbranch_execz .LBB70_267
; %bb.266:
	v_mov_b32_e32 v18, 0
	ds_read_b64 v[18:19], v18 offset:7800
	s_waitcnt lgkmcnt(0)
	v_mul_f32_e32 v21, v16, v19
	v_mul_f32_e32 v20, v17, v19
	v_fma_f32 v19, v17, v18, -v21
	v_fmac_f32_e32 v20, v16, v18
	v_mov_b32_e32 v17, v19
	v_mov_b32_e32 v16, v20
	ds_write_b64 v8, v[19:20]
.LBB70_267:
	s_or_b64 exec, exec, s[12:13]
	s_waitcnt lgkmcnt(0)
	s_barrier
	s_barrier
	s_and_saveexec_b64 s[12:13], s[18:19]
; %bb.268:
	v_xor_b32_e32 v17, 0x80000000, v17
	v_xor_b32_e32 v18, 0x80000000, v16
	ds_write_b64 v6, v[17:18] offset:4192
; %bb.269:
	s_or_b64 exec, exec, s[12:13]
	s_waitcnt lgkmcnt(0)
	s_barrier
	s_barrier
	s_and_saveexec_b64 s[12:13], vcc
	s_cbranch_execz .LBB70_271
; %bb.270:
	v_mov_b32_e32 v22, 0
	ds_read_b128 v[16:19], v22 offset:6240
	ds_read_b64 v[20:21], v22 offset:6760
	s_waitcnt lgkmcnt(0)
	v_mul_f32_e32 v23, v21, v17
	v_mul_f32_e32 v24, v20, v17
	v_fma_f32 v20, v20, v16, -v23
	v_fmac_f32_e32 v24, v21, v16
	v_mul_f32_e32 v16, v24, v19
	v_mul_f32_e32 v17, v20, v19
	v_fma_f32 v16, v20, v18, -v16
	v_fmac_f32_e32 v17, v24, v18
	ds_write_b64 v22, v[16:17] offset:6248
.LBB70_271:
	s_or_b64 exec, exec, s[12:13]
	v_mov_b32_e32 v16, 0
	v_mov_b32_e32 v17, 0
	s_waitcnt lgkmcnt(0)
	s_barrier
	s_and_saveexec_b64 s[14:15], s[6:7]
	s_cbranch_execz .LBB70_275
; %bb.272:
	v_mul_u32_u24_e32 v18, 0x208, v5
	ds_read_b64 v[16:17], v3 offset:6256
	ds_read_b64 v[18:19], v18 offset:6240
	v_cmp_gt_u32_e64 s[12:13], 2, v1
	s_waitcnt lgkmcnt(0)
	v_mul_f32_e32 v20, v19, v17
	v_mul_f32_e32 v17, v18, v17
	v_fma_f32 v18, v18, v16, -v20
	v_fmac_f32_e32 v17, v19, v16
	v_add_f32_e32 v16, 0, v18
	v_add_f32_e32 v18, 0, v17
	s_and_saveexec_b64 s[16:17], s[12:13]
	s_cbranch_execz .LBB70_274
; %bb.273:
	v_lshlrev_b32_e32 v17, 3, v0
	v_mov_b32_e32 v21, 0
	ds_read_b64 v[19:20], v17 offset:6768
	ds_read_b64 v[21:22], v21 offset:6248
	s_waitcnt lgkmcnt(0)
	v_mul_f32_e32 v17, v22, v20
	v_mul_f32_e32 v20, v21, v20
	v_fma_f32 v17, v21, v19, -v17
	v_fmac_f32_e32 v20, v22, v19
	v_add_f32_e32 v16, v16, v17
	v_add_f32_e32 v18, v18, v20
.LBB70_274:
	s_or_b64 exec, exec, s[16:17]
	v_xor_b32_e32 v17, 0x80000000, v16
	v_xor_b32_e32 v16, 0x80000000, v18
.LBB70_275:
	s_or_b64 exec, exec, s[14:15]
	s_and_saveexec_b64 s[12:13], s[36:37]
	s_cbranch_execz .LBB70_277
; %bb.276:
	v_mov_b32_e32 v18, 0
	ds_read_b64 v[18:19], v18 offset:7280
	s_waitcnt lgkmcnt(0)
	v_mul_f32_e32 v21, v16, v19
	v_mul_f32_e32 v20, v17, v19
	v_fma_f32 v19, v17, v18, -v21
	v_fmac_f32_e32 v20, v16, v18
	v_mov_b32_e32 v17, v19
	v_mov_b32_e32 v16, v20
	ds_write_b64 v4, v[19:20]
.LBB70_277:
	s_or_b64 exec, exec, s[12:13]
	s_waitcnt lgkmcnt(0)
	s_barrier
	s_and_saveexec_b64 s[12:13], s[34:35]
	s_cbranch_execz .LBB70_279
; %bb.278:
	v_mov_b32_e32 v18, 0
	ds_read_b64 v[18:19], v18 offset:7288
	ds_read_b64 v[20:21], v4
	s_waitcnt lgkmcnt(0)
	v_mul_f32_e32 v22, v21, v19
	v_mul_f32_e32 v19, v20, v19
	v_fma_f32 v20, v20, v18, -v22
	v_fmac_f32_e32 v19, v21, v18
	v_add_f32_e32 v17, v17, v20
	v_add_f32_e32 v16, v16, v19
.LBB70_279:
	s_or_b64 exec, exec, s[12:13]
	s_barrier
	s_and_saveexec_b64 s[12:13], s[34:35]
	s_cbranch_execz .LBB70_281
; %bb.280:
	v_mov_b32_e32 v18, 0
	ds_read_b64 v[18:19], v18 offset:7800
	s_waitcnt lgkmcnt(0)
	v_mul_f32_e32 v21, v16, v19
	v_mul_f32_e32 v20, v17, v19
	v_fma_f32 v19, v17, v18, -v21
	v_fmac_f32_e32 v20, v16, v18
	v_mov_b32_e32 v17, v19
	v_mov_b32_e32 v16, v20
	ds_write_b64 v4, v[19:20]
.LBB70_281:
	s_or_b64 exec, exec, s[12:13]
	s_waitcnt lgkmcnt(0)
	s_barrier
	s_barrier
	s_and_saveexec_b64 s[12:13], s[6:7]
; %bb.282:
	v_xor_b32_e32 v18, 0x80000000, v16
	v_xor_b32_e32 v17, 0x80000000, v17
	ds_write_b64 v3, v[17:18] offset:6256
; %bb.283:
	s_or_b64 exec, exec, s[12:13]
	s_waitcnt lgkmcnt(0)
	s_barrier
	s_barrier
	s_and_saveexec_b64 s[12:13], vcc
	s_cbranch_execz .LBB70_285
; %bb.284:
	v_mov_b32_e32 v22, 0
	ds_read_b128 v[16:19], v22 offset:7280
	ds_read_b64 v[20:21], v22 offset:7800
	s_waitcnt lgkmcnt(0)
	v_mul_f32_e32 v23, v21, v17
	v_mul_f32_e32 v24, v20, v17
	v_fma_f32 v20, v20, v16, -v23
	v_fmac_f32_e32 v24, v21, v16
	v_mul_f32_e32 v16, v24, v19
	v_mul_f32_e32 v17, v20, v19
	v_fma_f32 v16, v20, v18, -v16
	v_fmac_f32_e32 v17, v24, v18
	ds_write_b64 v22, v[16:17] offset:7288
.LBB70_285:
	s_or_b64 exec, exec, s[12:13]
	v_lshrrev_b32_e32 v20, 4, v1
	v_and_b32_e32 v17, 15, v0
	s_movk_i32 s12, 0xff
	v_lshlrev_b32_e32 v19, 6, v20
	v_cmp_lt_u32_e64 s[14:15], s12, v1
	s_movk_i32 s12, 0x100
	v_or_b32_e32 v16, v19, v17
	v_cmp_gt_u32_e64 s[12:13], s12, v1
	v_lshlrev_b32_e32 v16, 3, v16
	v_mov_b32_e32 v21, 0
	v_mov_b32_e32 v22, 0
	s_waitcnt lgkmcnt(0)
	s_barrier
	s_and_saveexec_b64 s[20:21], s[12:13]
	s_cbranch_execz .LBB70_313
; %bb.286:
	v_mul_u32_u24_e32 v22, 0x208, v20
	ds_read_b64 v[23:24], v16 offset:128
	ds_read_b64 v[25:26], v22
	s_movk_i32 s16, 0xf0
	v_cmp_gt_u32_e64 s[16:17], s16, v1
	s_waitcnt lgkmcnt(0)
	v_mul_f32_e32 v18, v26, v24
	v_mul_f32_e32 v21, v25, v24
	v_fma_f32 v18, v25, v23, -v18
	v_fmac_f32_e32 v21, v26, v23
	v_add_f32_e32 v18, 0, v18
	v_add_f32_e32 v21, 0, v21
	s_and_saveexec_b64 s[26:27], s[16:17]
	s_cbranch_execz .LBB70_288
; %bb.287:
	v_lshlrev_b32_e32 v23, 3, v20
	v_sub_u32_e32 v23, v22, v23
	v_lshl_add_u32 v23, v17, 3, v23
	ds_read_b64 v[23:24], v23 offset:640
	ds_read_b64 v[25:26], v22 offset:8
	s_waitcnt lgkmcnt(0)
	v_mul_f32_e32 v27, v26, v24
	v_mul_f32_e32 v24, v25, v24
	v_fma_f32 v25, v25, v23, -v27
	v_fmac_f32_e32 v24, v26, v23
	v_add_f32_e32 v18, v18, v25
	v_add_f32_e32 v21, v21, v24
.LBB70_288:
	s_or_b64 exec, exec, s[26:27]
	s_movk_i32 s16, 0xe0
	v_cmp_gt_u32_e64 s[16:17], s16, v1
	s_and_saveexec_b64 s[26:27], s[16:17]
	s_cbranch_execz .LBB70_290
; %bb.289:
	v_lshlrev_b32_e32 v23, 3, v20
	v_sub_u32_e32 v23, v22, v23
	v_lshl_add_u32 v23, v17, 3, v23
	ds_read_b64 v[23:24], v23 offset:1152
	ds_read_b64 v[25:26], v22 offset:16
	s_waitcnt lgkmcnt(0)
	v_mul_f32_e32 v27, v26, v24
	v_mul_f32_e32 v24, v25, v24
	v_fma_f32 v25, v25, v23, -v27
	v_fmac_f32_e32 v24, v26, v23
	v_add_f32_e32 v18, v18, v25
	v_add_f32_e32 v21, v21, v24
.LBB70_290:
	s_or_b64 exec, exec, s[26:27]
	s_movk_i32 s16, 0xd0
	v_cmp_gt_u32_e64 s[16:17], s16, v1
	s_and_saveexec_b64 s[26:27], s[16:17]
	s_cbranch_execz .LBB70_292
; %bb.291:
	v_lshlrev_b32_e32 v23, 3, v20
	v_sub_u32_e32 v23, v22, v23
	v_lshl_add_u32 v23, v17, 3, v23
	ds_read_b64 v[23:24], v23 offset:1664
	ds_read_b64 v[25:26], v22 offset:24
	s_waitcnt lgkmcnt(0)
	v_mul_f32_e32 v27, v26, v24
	v_mul_f32_e32 v24, v25, v24
	v_fma_f32 v25, v25, v23, -v27
	v_fmac_f32_e32 v24, v26, v23
	v_add_f32_e32 v18, v18, v25
	v_add_f32_e32 v21, v21, v24
.LBB70_292:
	s_or_b64 exec, exec, s[26:27]
	s_movk_i32 s16, 0xc0
	v_cmp_gt_u32_e64 s[16:17], s16, v1
	s_and_saveexec_b64 s[26:27], s[16:17]
	s_cbranch_execz .LBB70_294
; %bb.293:
	v_lshlrev_b32_e32 v23, 3, v20
	v_sub_u32_e32 v23, v22, v23
	v_lshl_add_u32 v23, v17, 3, v23
	ds_read_b64 v[23:24], v23 offset:2176
	ds_read_b64 v[25:26], v22 offset:32
	s_waitcnt lgkmcnt(0)
	v_mul_f32_e32 v27, v26, v24
	v_mul_f32_e32 v24, v25, v24
	v_fma_f32 v25, v25, v23, -v27
	v_fmac_f32_e32 v24, v26, v23
	v_add_f32_e32 v18, v18, v25
	v_add_f32_e32 v21, v21, v24
.LBB70_294:
	s_or_b64 exec, exec, s[26:27]
	s_movk_i32 s16, 0xb0
	v_cmp_gt_u32_e64 s[16:17], s16, v1
	s_and_saveexec_b64 s[26:27], s[16:17]
	s_cbranch_execz .LBB70_296
; %bb.295:
	v_lshlrev_b32_e32 v23, 3, v20
	v_sub_u32_e32 v23, v22, v23
	v_lshl_add_u32 v23, v17, 3, v23
	ds_read_b64 v[23:24], v23 offset:2688
	ds_read_b64 v[25:26], v22 offset:40
	s_waitcnt lgkmcnt(0)
	v_mul_f32_e32 v27, v26, v24
	v_mul_f32_e32 v24, v25, v24
	v_fma_f32 v25, v25, v23, -v27
	v_fmac_f32_e32 v24, v26, v23
	v_add_f32_e32 v18, v18, v25
	v_add_f32_e32 v21, v21, v24
.LBB70_296:
	s_or_b64 exec, exec, s[26:27]
	s_movk_i32 s16, 0xa0
	v_cmp_gt_u32_e64 s[16:17], s16, v1
	s_and_saveexec_b64 s[26:27], s[16:17]
	s_cbranch_execz .LBB70_298
; %bb.297:
	v_lshlrev_b32_e32 v23, 3, v20
	v_sub_u32_e32 v23, v22, v23
	v_lshl_add_u32 v23, v17, 3, v23
	ds_read_b64 v[23:24], v23 offset:3200
	ds_read_b64 v[25:26], v22 offset:48
	s_waitcnt lgkmcnt(0)
	v_mul_f32_e32 v27, v26, v24
	v_mul_f32_e32 v24, v25, v24
	v_fma_f32 v25, v25, v23, -v27
	v_fmac_f32_e32 v24, v26, v23
	v_add_f32_e32 v18, v18, v25
	v_add_f32_e32 v21, v21, v24
.LBB70_298:
	s_or_b64 exec, exec, s[26:27]
	s_movk_i32 s16, 0x90
	v_cmp_gt_u32_e64 s[16:17], s16, v1
	s_and_saveexec_b64 s[26:27], s[16:17]
	s_cbranch_execz .LBB70_300
; %bb.299:
	v_lshlrev_b32_e32 v23, 3, v20
	v_sub_u32_e32 v23, v22, v23
	v_lshl_add_u32 v23, v17, 3, v23
	ds_read_b64 v[23:24], v23 offset:3712
	ds_read_b64 v[25:26], v22 offset:56
	s_waitcnt lgkmcnt(0)
	v_mul_f32_e32 v27, v26, v24
	v_mul_f32_e32 v24, v25, v24
	v_fma_f32 v25, v25, v23, -v27
	v_fmac_f32_e32 v24, v26, v23
	v_add_f32_e32 v18, v18, v25
	v_add_f32_e32 v21, v21, v24
.LBB70_300:
	s_or_b64 exec, exec, s[26:27]
	s_movk_i32 s16, 0x80
	v_cmp_gt_u32_e64 s[16:17], s16, v1
	s_and_saveexec_b64 s[26:27], s[16:17]
	s_cbranch_execz .LBB70_302
; %bb.301:
	ds_read_b64 v[23:24], v16 offset:4224
	ds_read_b64 v[25:26], v22 offset:64
	s_waitcnt lgkmcnt(0)
	v_mul_f32_e32 v27, v26, v24
	v_mul_f32_e32 v24, v25, v24
	v_fma_f32 v25, v25, v23, -v27
	v_fmac_f32_e32 v24, v26, v23
	v_add_f32_e32 v18, v18, v25
	v_add_f32_e32 v21, v21, v24
.LBB70_302:
	s_or_b64 exec, exec, s[26:27]
	s_movk_i32 s16, 0x70
	v_cmp_gt_u32_e64 s[16:17], s16, v1
	s_and_saveexec_b64 s[26:27], s[16:17]
	s_cbranch_execz .LBB70_304
; %bb.303:
	v_lshlrev_b32_e32 v23, 3, v17
	v_lshl_add_u32 v23, v19, 3, v23
	ds_read_b64 v[23:24], v23 offset:4736
	ds_read_b64 v[25:26], v22 offset:72
	s_waitcnt lgkmcnt(0)
	v_mul_f32_e32 v27, v26, v24
	v_mul_f32_e32 v24, v25, v24
	v_fma_f32 v25, v25, v23, -v27
	v_fmac_f32_e32 v24, v26, v23
	v_add_f32_e32 v18, v18, v25
	v_add_f32_e32 v21, v21, v24
.LBB70_304:
	s_or_b64 exec, exec, s[26:27]
	s_movk_i32 s16, 0x60
	v_cmp_gt_u32_e64 s[16:17], s16, v1
	s_and_saveexec_b64 s[26:27], s[16:17]
	s_cbranch_execz .LBB70_306
; %bb.305:
	v_lshlrev_b32_e32 v23, 3, v17
	v_lshl_add_u32 v23, v19, 3, v23
	ds_read_b64 v[23:24], v23 offset:5248
	ds_read_b64 v[25:26], v22 offset:80
	s_waitcnt lgkmcnt(0)
	v_mul_f32_e32 v27, v26, v24
	v_mul_f32_e32 v24, v25, v24
	v_fma_f32 v25, v25, v23, -v27
	v_fmac_f32_e32 v24, v26, v23
	v_add_f32_e32 v18, v18, v25
	v_add_f32_e32 v21, v21, v24
.LBB70_306:
	s_or_b64 exec, exec, s[26:27]
	s_movk_i32 s16, 0x50
	v_cmp_gt_u32_e64 s[16:17], s16, v1
	s_and_saveexec_b64 s[26:27], s[16:17]
	s_cbranch_execnz .LBB70_1064
; %bb.307:
	s_or_b64 exec, exec, s[26:27]
	v_cmp_gt_u32_e64 s[16:17], 64, v1
	s_and_saveexec_b64 s[26:27], s[16:17]
	s_cbranch_execnz .LBB70_1065
.LBB70_308:
	s_or_b64 exec, exec, s[26:27]
	v_cmp_gt_u32_e64 s[16:17], 48, v1
	s_and_saveexec_b64 s[26:27], s[16:17]
	s_cbranch_execnz .LBB70_1066
.LBB70_309:
	s_or_b64 exec, exec, s[26:27]
	v_cmp_gt_u32_e64 s[16:17], 32, v1
	s_and_saveexec_b64 s[26:27], s[16:17]
	s_cbranch_execnz .LBB70_1067
.LBB70_310:
	s_or_b64 exec, exec, s[26:27]
	v_cmp_gt_u32_e64 s[16:17], 16, v1
	s_and_saveexec_b64 s[26:27], s[16:17]
	s_cbranch_execz .LBB70_312
.LBB70_311:
	v_lshlrev_b32_e32 v22, 3, v0
	v_mov_b32_e32 v24, 0
	ds_read_b64 v[22:23], v22 offset:7808
	ds_read_b64 v[24:25], v24 offset:120
	s_waitcnt lgkmcnt(0)
	v_mul_f32_e32 v26, v25, v23
	v_mul_f32_e32 v23, v24, v23
	v_fma_f32 v24, v24, v22, -v26
	v_fmac_f32_e32 v23, v25, v22
	v_add_f32_e32 v18, v18, v24
	v_add_f32_e32 v21, v21, v23
.LBB70_312:
	s_or_b64 exec, exec, s[26:27]
	v_xor_b32_e32 v22, 0x80000000, v18
	v_xor_b32_e32 v21, 0x80000000, v21
.LBB70_313:
	s_or_b64 exec, exec, s[20:21]
	v_mov_b32_e32 v18, 0x8000
	v_lshl_add_u32 v18, v20, 3, v18
	v_cmp_eq_u32_e64 s[16:17], 0, v17
	s_xor_b64 s[20:21], s[14:15], -1
	s_and_b64 s[16:17], s[16:17], s[20:21]
	s_mov_b64 s[14:15], exec
	v_writelane_b32 v34, s16, 1
	v_writelane_b32 v34, s17, 2
	s_and_b64 s[16:17], s[14:15], s[16:17]
	s_mov_b64 exec, s[16:17]
	s_cbranch_execz .LBB70_315
; %bb.314:
	v_mov_b32_e32 v23, 0
	ds_read_b64 v[23:24], v23 offset:8320
	s_waitcnt lgkmcnt(0)
	v_mul_f32_e32 v26, v21, v24
	v_mul_f32_e32 v25, v22, v24
	v_fma_f32 v24, v22, v23, -v26
	v_fmac_f32_e32 v25, v21, v23
	v_mov_b32_e32 v22, v24
	v_mov_b32_e32 v21, v25
	ds_write_b64 v18, v[24:25]
.LBB70_315:
	s_or_b64 exec, exec, s[14:15]
	v_cmp_ne_u32_e64 s[14:15], 0, v17
	s_waitcnt lgkmcnt(0)
	s_barrier
	s_and_b64 s[16:17], s[14:15], s[20:21]
	s_mov_b64 s[14:15], exec
	v_writelane_b32 v34, s16, 3
	v_writelane_b32 v34, s17, 4
	s_and_b64 s[16:17], s[14:15], s[16:17]
	s_mov_b64 exec, s[16:17]
	s_cbranch_execz .LBB70_317
; %bb.316:
	v_lshlrev_b32_e32 v23, 3, v17
	ds_read_b64 v[23:24], v23 offset:8320
	ds_read_b64 v[25:26], v18
	s_waitcnt lgkmcnt(0)
	v_mul_f32_e32 v27, v26, v24
	v_mul_f32_e32 v24, v25, v24
	v_fma_f32 v25, v25, v23, -v27
	v_fmac_f32_e32 v24, v26, v23
	v_add_f32_e32 v22, v22, v25
	v_add_f32_e32 v21, v21, v24
.LBB70_317:
	s_or_b64 exec, exec, s[14:15]
	v_cmp_eq_u32_e64 s[14:15], 1, v17
	s_barrier
	s_and_b64 s[16:17], s[14:15], s[20:21]
	s_mov_b64 s[14:15], exec
	v_writelane_b32 v34, s16, 5
	v_writelane_b32 v34, s17, 6
	s_and_b64 s[16:17], s[14:15], s[16:17]
	s_mov_b64 exec, s[16:17]
	s_cbranch_execz .LBB70_319
; %bb.318:
	v_mov_b32_e32 v23, 0
	ds_read_b64 v[23:24], v23 offset:8840
	s_waitcnt lgkmcnt(0)
	v_mul_f32_e32 v26, v21, v24
	v_mul_f32_e32 v25, v22, v24
	v_fma_f32 v24, v22, v23, -v26
	v_fmac_f32_e32 v25, v21, v23
	v_mov_b32_e32 v22, v24
	v_mov_b32_e32 v21, v25
	ds_write_b64 v18, v[24:25]
.LBB70_319:
	s_or_b64 exec, exec, s[14:15]
	v_cmp_lt_u32_e64 s[14:15], 1, v17
	s_waitcnt lgkmcnt(0)
	s_barrier
	s_and_b64 s[16:17], s[14:15], s[20:21]
	s_mov_b64 s[14:15], exec
	v_writelane_b32 v34, s16, 7
	v_writelane_b32 v34, s17, 8
	s_and_b64 s[16:17], s[14:15], s[16:17]
	s_mov_b64 exec, s[16:17]
	s_cbranch_execz .LBB70_321
; %bb.320:
	v_lshlrev_b32_e32 v23, 3, v17
	ds_read_b64 v[23:24], v23 offset:8832
	ds_read_b64 v[25:26], v18
	s_waitcnt lgkmcnt(0)
	v_mul_f32_e32 v27, v26, v24
	v_mul_f32_e32 v24, v25, v24
	v_fma_f32 v25, v25, v23, -v27
	v_fmac_f32_e32 v24, v26, v23
	v_add_f32_e32 v22, v22, v25
	v_add_f32_e32 v21, v21, v24
.LBB70_321:
	s_or_b64 exec, exec, s[14:15]
	v_cmp_eq_u32_e64 s[14:15], 2, v17
	s_barrier
	s_and_b64 s[16:17], s[14:15], s[20:21]
	s_mov_b64 s[14:15], exec
	v_writelane_b32 v34, s16, 9
	v_writelane_b32 v34, s17, 10
	s_and_b64 s[16:17], s[14:15], s[16:17]
	s_mov_b64 exec, s[16:17]
	s_cbranch_execz .LBB70_323
; %bb.322:
	v_mov_b32_e32 v23, 0
	ds_read_b64 v[23:24], v23 offset:9360
	s_waitcnt lgkmcnt(0)
	v_mul_f32_e32 v26, v21, v24
	v_mul_f32_e32 v25, v22, v24
	v_fma_f32 v24, v22, v23, -v26
	v_fmac_f32_e32 v25, v21, v23
	v_mov_b32_e32 v22, v24
	v_mov_b32_e32 v21, v25
	ds_write_b64 v18, v[24:25]
.LBB70_323:
	s_or_b64 exec, exec, s[14:15]
	v_cmp_lt_u32_e64 s[14:15], 2, v17
	;; [unrolled: 45-line block ×10, first 2 shown]
	s_waitcnt lgkmcnt(0)
	s_barrier
	s_and_b64 s[16:17], s[14:15], s[20:21]
	s_mov_b64 s[14:15], exec
	v_writelane_b32 v34, s16, 43
	v_writelane_b32 v34, s17, 44
	s_and_b64 s[16:17], s[14:15], s[16:17]
	s_mov_b64 exec, s[16:17]
	s_cbranch_execz .LBB70_357
; %bb.356:
	v_lshlrev_b32_e32 v23, 3, v17
	ds_read_b64 v[23:24], v23 offset:13440
	ds_read_b64 v[25:26], v18
	s_waitcnt lgkmcnt(0)
	v_mul_f32_e32 v27, v26, v24
	v_mul_f32_e32 v24, v25, v24
	v_fma_f32 v25, v25, v23, -v27
	v_fmac_f32_e32 v24, v26, v23
	v_add_f32_e32 v22, v22, v25
	v_add_f32_e32 v21, v21, v24
.LBB70_357:
	s_or_b64 exec, exec, s[14:15]
	v_cmp_eq_u32_e64 s[14:15], 11, v17
	s_and_b64 s[26:27], s[14:15], s[20:21]
	s_barrier
	s_and_saveexec_b64 s[14:15], s[26:27]
	s_cbranch_execz .LBB70_359
; %bb.358:
	v_mov_b32_e32 v23, 0
	ds_read_b64 v[23:24], v23 offset:14040
	s_waitcnt lgkmcnt(0)
	v_mul_f32_e32 v26, v21, v24
	v_mul_f32_e32 v25, v22, v24
	v_fma_f32 v24, v22, v23, -v26
	v_fmac_f32_e32 v25, v21, v23
	v_mov_b32_e32 v22, v24
	v_mov_b32_e32 v21, v25
	ds_write_b64 v18, v[24:25]
.LBB70_359:
	s_or_b64 exec, exec, s[14:15]
	v_cmp_lt_u32_e64 s[14:15], 11, v17
	s_and_b64 s[78:79], s[14:15], s[20:21]
	s_waitcnt lgkmcnt(0)
	s_barrier
	s_and_saveexec_b64 s[14:15], s[78:79]
	s_cbranch_execz .LBB70_361
; %bb.360:
	v_lshlrev_b32_e32 v23, 3, v17
	ds_read_b64 v[23:24], v23 offset:13952
	ds_read_b64 v[25:26], v18
	s_waitcnt lgkmcnt(0)
	v_mul_f32_e32 v27, v26, v24
	v_mul_f32_e32 v24, v25, v24
	v_fma_f32 v25, v25, v23, -v27
	v_fmac_f32_e32 v24, v26, v23
	v_add_f32_e32 v22, v22, v25
	v_add_f32_e32 v21, v21, v24
.LBB70_361:
	s_or_b64 exec, exec, s[14:15]
	v_cmp_eq_u32_e64 s[14:15], 12, v17
	s_and_b64 s[80:81], s[14:15], s[20:21]
	s_barrier
	s_and_saveexec_b64 s[14:15], s[80:81]
	s_cbranch_execz .LBB70_363
; %bb.362:
	v_mov_b32_e32 v23, 0
	ds_read_b64 v[23:24], v23 offset:14560
	s_waitcnt lgkmcnt(0)
	v_mul_f32_e32 v26, v21, v24
	v_mul_f32_e32 v25, v22, v24
	v_fma_f32 v24, v22, v23, -v26
	v_fmac_f32_e32 v25, v21, v23
	v_mov_b32_e32 v22, v24
	v_mov_b32_e32 v21, v25
	ds_write_b64 v18, v[24:25]
.LBB70_363:
	s_or_b64 exec, exec, s[14:15]
	v_cmp_lt_u32_e64 s[14:15], 12, v17
	s_and_b64 s[82:83], s[14:15], s[20:21]
	s_waitcnt lgkmcnt(0)
	s_barrier
	s_and_saveexec_b64 s[14:15], s[82:83]
	;; [unrolled: 37-line block ×3, first 2 shown]
	s_cbranch_execz .LBB70_369
; %bb.368:
	v_lshlrev_b32_e32 v23, 3, v17
	ds_read_b64 v[23:24], v23 offset:14976
	ds_read_b64 v[25:26], v18
	s_waitcnt lgkmcnt(0)
	v_mul_f32_e32 v27, v26, v24
	v_mul_f32_e32 v24, v25, v24
	v_fma_f32 v25, v25, v23, -v27
	v_fmac_f32_e32 v24, v26, v23
	v_add_f32_e32 v22, v22, v25
	v_add_f32_e32 v21, v21, v24
.LBB70_369:
	s_or_b64 exec, exec, s[14:15]
	v_cmp_eq_u32_e64 s[14:15], 14, v17
	s_and_b64 s[88:89], s[14:15], s[20:21]
	s_barrier
	s_and_saveexec_b64 s[14:15], s[88:89]
	s_cbranch_execz .LBB70_371
; %bb.370:
	v_mov_b32_e32 v23, 0
	ds_read_b64 v[23:24], v23 offset:15600
	s_waitcnt lgkmcnt(0)
	v_mul_f32_e32 v26, v21, v24
	v_mul_f32_e32 v25, v22, v24
	v_fma_f32 v24, v22, v23, -v26
	v_fmac_f32_e32 v25, v21, v23
	v_mov_b32_e32 v22, v24
	v_mov_b32_e32 v21, v25
	ds_write_b64 v18, v[24:25]
.LBB70_371:
	s_or_b64 exec, exec, s[14:15]
	v_cmp_eq_u32_e64 s[14:15], 15, v17
	s_and_b64 s[94:95], s[14:15], s[20:21]
	s_waitcnt lgkmcnt(0)
	s_barrier
	s_and_saveexec_b64 s[14:15], s[94:95]
	s_cbranch_execz .LBB70_373
; %bb.372:
	v_mov_b32_e32 v23, 0
	ds_read_b64 v[23:24], v23 offset:15608
	ds_read_b64 v[25:26], v18
	s_waitcnt lgkmcnt(0)
	v_mul_f32_e32 v27, v26, v24
	v_mul_f32_e32 v24, v25, v24
	v_fma_f32 v25, v25, v23, -v27
	v_fmac_f32_e32 v24, v26, v23
	v_add_f32_e32 v22, v22, v25
	v_add_f32_e32 v21, v21, v24
.LBB70_373:
	s_or_b64 exec, exec, s[14:15]
	s_barrier
	s_and_saveexec_b64 s[14:15], s[94:95]
	s_cbranch_execz .LBB70_375
; %bb.374:
	v_mov_b32_e32 v23, 0
	ds_read_b64 v[23:24], v23 offset:16120
	s_waitcnt lgkmcnt(0)
	v_mul_f32_e32 v26, v21, v24
	v_mul_f32_e32 v25, v22, v24
	v_fma_f32 v24, v22, v23, -v26
	v_fmac_f32_e32 v25, v21, v23
	v_mov_b32_e32 v22, v24
	v_mov_b32_e32 v21, v25
	ds_write_b64 v18, v[24:25]
.LBB70_375:
	s_or_b64 exec, exec, s[14:15]
	s_waitcnt lgkmcnt(0)
	s_barrier
	s_barrier
	s_and_saveexec_b64 s[14:15], s[12:13]
; %bb.376:
	v_xor_b32_e32 v22, 0x80000000, v22
	v_xor_b32_e32 v23, 0x80000000, v21
	ds_write_b64 v16, v[22:23] offset:128
; %bb.377:
	s_or_b64 exec, exec, s[14:15]
	s_waitcnt lgkmcnt(0)
	s_barrier
	s_barrier
	s_and_saveexec_b64 s[14:15], vcc
	s_cbranch_execz .LBB70_379
; %bb.378:
	v_mov_b32_e32 v27, 0
	ds_read_b128 v[21:24], v27 offset:8320
	ds_read_b64 v[25:26], v27 offset:8840
	s_waitcnt lgkmcnt(0)
	v_mul_f32_e32 v28, v26, v22
	v_mul_f32_e32 v29, v25, v22
	v_fma_f32 v25, v25, v21, -v28
	v_fmac_f32_e32 v29, v26, v21
	v_mul_f32_e32 v21, v29, v24
	v_mul_f32_e32 v22, v25, v24
	v_fma_f32 v21, v25, v23, -v21
	v_fmac_f32_e32 v22, v29, v23
	ds_write_b64 v27, v[21:22] offset:8328
.LBB70_379:
	s_or_b64 exec, exec, s[14:15]
	v_mov_b32_e32 v21, 0
	v_mov_b32_e32 v22, 0
	s_waitcnt lgkmcnt(0)
	s_barrier
	s_and_saveexec_b64 s[16:17], s[6:7]
	s_cbranch_execz .LBB70_383
; %bb.380:
	v_mul_u32_u24_e32 v23, 0x208, v5
	ds_read_b64 v[21:22], v3 offset:8336
	ds_read_b64 v[23:24], v23 offset:8320
	v_cmp_gt_u32_e64 s[14:15], 2, v1
	s_waitcnt lgkmcnt(0)
	v_mul_f32_e32 v25, v24, v22
	v_mul_f32_e32 v22, v23, v22
	v_fma_f32 v23, v23, v21, -v25
	v_fmac_f32_e32 v22, v24, v21
	v_add_f32_e32 v21, 0, v23
	v_add_f32_e32 v23, 0, v22
	s_and_saveexec_b64 s[20:21], s[14:15]
	s_cbranch_execz .LBB70_382
; %bb.381:
	v_lshlrev_b32_e32 v22, 3, v0
	v_mov_b32_e32 v26, 0
	ds_read_b64 v[24:25], v22 offset:8848
	ds_read_b64 v[26:27], v26 offset:8328
	s_waitcnt lgkmcnt(0)
	v_mul_f32_e32 v22, v27, v25
	v_mul_f32_e32 v25, v26, v25
	v_fma_f32 v22, v26, v24, -v22
	v_fmac_f32_e32 v25, v27, v24
	v_add_f32_e32 v21, v21, v22
	v_add_f32_e32 v23, v23, v25
.LBB70_382:
	s_or_b64 exec, exec, s[20:21]
	v_xor_b32_e32 v22, 0x80000000, v21
	v_xor_b32_e32 v21, 0x80000000, v23
.LBB70_383:
	s_or_b64 exec, exec, s[16:17]
	s_and_saveexec_b64 s[14:15], s[36:37]
	s_cbranch_execz .LBB70_385
; %bb.384:
	v_mov_b32_e32 v23, 0
	ds_read_b64 v[23:24], v23 offset:9360
	s_waitcnt lgkmcnt(0)
	v_mul_f32_e32 v26, v21, v24
	v_mul_f32_e32 v25, v22, v24
	v_fma_f32 v24, v22, v23, -v26
	v_fmac_f32_e32 v25, v21, v23
	v_mov_b32_e32 v22, v24
	v_mov_b32_e32 v21, v25
	ds_write_b64 v4, v[24:25]
.LBB70_385:
	s_or_b64 exec, exec, s[14:15]
	s_waitcnt lgkmcnt(0)
	s_barrier
	s_and_saveexec_b64 s[14:15], s[34:35]
	s_cbranch_execz .LBB70_387
; %bb.386:
	v_mov_b32_e32 v23, 0
	ds_read_b64 v[23:24], v23 offset:9368
	ds_read_b64 v[25:26], v4
	s_waitcnt lgkmcnt(0)
	v_mul_f32_e32 v27, v26, v24
	v_mul_f32_e32 v24, v25, v24
	v_fma_f32 v25, v25, v23, -v27
	v_fmac_f32_e32 v24, v26, v23
	v_add_f32_e32 v22, v22, v25
	v_add_f32_e32 v21, v21, v24
.LBB70_387:
	s_or_b64 exec, exec, s[14:15]
	s_barrier
	s_and_saveexec_b64 s[14:15], s[34:35]
	s_cbranch_execz .LBB70_389
; %bb.388:
	v_mov_b32_e32 v23, 0
	ds_read_b64 v[23:24], v23 offset:9880
	s_waitcnt lgkmcnt(0)
	v_mul_f32_e32 v26, v21, v24
	v_mul_f32_e32 v25, v22, v24
	v_fma_f32 v24, v22, v23, -v26
	v_fmac_f32_e32 v25, v21, v23
	v_mov_b32_e32 v22, v24
	v_mov_b32_e32 v21, v25
	ds_write_b64 v4, v[24:25]
.LBB70_389:
	s_or_b64 exec, exec, s[14:15]
	s_waitcnt lgkmcnt(0)
	s_barrier
	s_barrier
	s_and_saveexec_b64 s[14:15], s[6:7]
; %bb.390:
	v_xor_b32_e32 v23, 0x80000000, v21
	v_xor_b32_e32 v22, 0x80000000, v22
	ds_write_b64 v3, v[22:23] offset:8336
; %bb.391:
	s_or_b64 exec, exec, s[14:15]
	s_waitcnt lgkmcnt(0)
	s_barrier
	s_barrier
	s_and_saveexec_b64 s[14:15], vcc
	s_cbranch_execz .LBB70_393
; %bb.392:
	v_mov_b32_e32 v27, 0
	ds_read_b128 v[21:24], v27 offset:9360
	ds_read_b64 v[25:26], v27 offset:9880
	s_waitcnt lgkmcnt(0)
	v_mul_f32_e32 v28, v26, v22
	v_mul_f32_e32 v29, v25, v22
	v_fma_f32 v25, v25, v21, -v28
	v_fmac_f32_e32 v29, v26, v21
	v_mul_f32_e32 v21, v29, v24
	v_mul_f32_e32 v22, v25, v24
	v_fma_f32 v21, v25, v23, -v21
	v_fmac_f32_e32 v22, v29, v23
	ds_write_b64 v27, v[21:22] offset:9368
.LBB70_393:
	s_or_b64 exec, exec, s[14:15]
	v_mov_b32_e32 v21, 0
	v_mov_b32_e32 v22, 0
	s_waitcnt lgkmcnt(0)
	s_barrier
	s_and_saveexec_b64 s[16:17], s[18:19]
	s_cbranch_execz .LBB70_399
; %bb.394:
	v_mul_u32_u24_e32 v22, 0x208, v10
	ds_read_b64 v[23:24], v6 offset:8352
	ds_read_b64 v[25:26], v22 offset:8320
	v_cmp_gt_u32_e64 s[14:15], 12, v1
	s_waitcnt lgkmcnt(0)
	v_mul_f32_e32 v21, v26, v24
	v_mul_f32_e32 v24, v25, v24
	v_fma_f32 v21, v25, v23, -v21
	v_fmac_f32_e32 v24, v26, v23
	v_add_f32_e32 v21, 0, v21
	v_add_f32_e32 v23, 0, v24
	s_and_saveexec_b64 s[20:21], s[14:15]
	s_cbranch_execnz .LBB70_1068
; %bb.395:
	s_or_b64 exec, exec, s[20:21]
	v_cmp_gt_u32_e64 s[14:15], 8, v1
	s_and_saveexec_b64 s[20:21], s[14:15]
	s_cbranch_execnz .LBB70_1069
.LBB70_396:
	s_or_b64 exec, exec, s[20:21]
	v_cmp_gt_u32_e64 s[14:15], 4, v1
	s_and_saveexec_b64 s[20:21], s[14:15]
	s_cbranch_execz .LBB70_398
.LBB70_397:
	v_lshlrev_b32_e32 v22, 3, v0
	v_mov_b32_e32 v26, 0
	ds_read_b64 v[24:25], v22 offset:9888
	ds_read_b64 v[26:27], v26 offset:8344
	s_waitcnt lgkmcnt(0)
	v_mul_f32_e32 v22, v27, v25
	v_mul_f32_e32 v25, v26, v25
	v_fma_f32 v22, v26, v24, -v22
	v_fmac_f32_e32 v25, v27, v24
	v_add_f32_e32 v21, v21, v22
	v_add_f32_e32 v23, v23, v25
.LBB70_398:
	s_or_b64 exec, exec, s[20:21]
	v_xor_b32_e32 v22, 0x80000000, v21
	v_xor_b32_e32 v21, 0x80000000, v23
.LBB70_399:
	s_or_b64 exec, exec, s[16:17]
	s_and_saveexec_b64 s[14:15], s[40:41]
	s_cbranch_execz .LBB70_401
; %bb.400:
	v_mov_b32_e32 v23, 0
	ds_read_b64 v[23:24], v23 offset:10400
	s_waitcnt lgkmcnt(0)
	v_mul_f32_e32 v26, v21, v24
	v_mul_f32_e32 v25, v22, v24
	v_fma_f32 v24, v22, v23, -v26
	v_fmac_f32_e32 v25, v21, v23
	v_mov_b32_e32 v22, v24
	v_mov_b32_e32 v21, v25
	ds_write_b64 v8, v[24:25]
.LBB70_401:
	s_or_b64 exec, exec, s[14:15]
	s_waitcnt lgkmcnt(0)
	s_barrier
	s_and_saveexec_b64 s[14:15], s[42:43]
	s_cbranch_execz .LBB70_403
; %bb.402:
	ds_read_b64 v[23:24], v7 offset:10400
	ds_read_b64 v[25:26], v8
	s_waitcnt lgkmcnt(0)
	v_mul_f32_e32 v27, v26, v24
	v_mul_f32_e32 v24, v25, v24
	v_fma_f32 v25, v25, v23, -v27
	v_fmac_f32_e32 v24, v26, v23
	v_add_f32_e32 v22, v22, v25
	v_add_f32_e32 v21, v21, v24
.LBB70_403:
	s_or_b64 exec, exec, s[14:15]
	s_barrier
	s_and_saveexec_b64 s[14:15], s[44:45]
	s_cbranch_execz .LBB70_405
; %bb.404:
	v_mov_b32_e32 v23, 0
	ds_read_b64 v[23:24], v23 offset:10920
	s_waitcnt lgkmcnt(0)
	v_mul_f32_e32 v26, v21, v24
	v_mul_f32_e32 v25, v22, v24
	v_fma_f32 v24, v22, v23, -v26
	v_fmac_f32_e32 v25, v21, v23
	v_mov_b32_e32 v22, v24
	v_mov_b32_e32 v21, v25
	ds_write_b64 v8, v[24:25]
.LBB70_405:
	s_or_b64 exec, exec, s[14:15]
	s_waitcnt lgkmcnt(0)
	s_barrier
	s_and_saveexec_b64 s[14:15], s[46:47]
	s_cbranch_execz .LBB70_407
; %bb.406:
	ds_read_b64 v[23:24], v7 offset:10912
	ds_read_b64 v[25:26], v8
	s_waitcnt lgkmcnt(0)
	v_mul_f32_e32 v27, v26, v24
	v_mul_f32_e32 v24, v25, v24
	v_fma_f32 v25, v25, v23, -v27
	v_fmac_f32_e32 v24, v26, v23
	v_add_f32_e32 v22, v22, v25
	v_add_f32_e32 v21, v21, v24
.LBB70_407:
	s_or_b64 exec, exec, s[14:15]
	s_barrier
	s_and_saveexec_b64 s[14:15], s[48:49]
	s_cbranch_execz .LBB70_409
; %bb.408:
	v_mov_b32_e32 v23, 0
	ds_read_b64 v[23:24], v23 offset:11440
	s_waitcnt lgkmcnt(0)
	v_mul_f32_e32 v26, v21, v24
	v_mul_f32_e32 v25, v22, v24
	v_fma_f32 v24, v22, v23, -v26
	v_fmac_f32_e32 v25, v21, v23
	v_mov_b32_e32 v22, v24
	v_mov_b32_e32 v21, v25
	ds_write_b64 v8, v[24:25]
.LBB70_409:
	s_or_b64 exec, exec, s[14:15]
	s_waitcnt lgkmcnt(0)
	s_barrier
	s_and_saveexec_b64 s[14:15], s[38:39]
	s_cbranch_execz .LBB70_411
; %bb.410:
	v_mov_b32_e32 v23, 0
	ds_read_b64 v[23:24], v23 offset:11448
	ds_read_b64 v[25:26], v8
	s_waitcnt lgkmcnt(0)
	v_mul_f32_e32 v27, v26, v24
	v_mul_f32_e32 v24, v25, v24
	v_fma_f32 v25, v25, v23, -v27
	v_fmac_f32_e32 v24, v26, v23
	v_add_f32_e32 v22, v22, v25
	v_add_f32_e32 v21, v21, v24
.LBB70_411:
	s_or_b64 exec, exec, s[14:15]
	s_barrier
	s_and_saveexec_b64 s[14:15], s[38:39]
	s_cbranch_execz .LBB70_413
; %bb.412:
	v_mov_b32_e32 v23, 0
	ds_read_b64 v[23:24], v23 offset:11960
	s_waitcnt lgkmcnt(0)
	v_mul_f32_e32 v26, v21, v24
	v_mul_f32_e32 v25, v22, v24
	v_fma_f32 v24, v22, v23, -v26
	v_fmac_f32_e32 v25, v21, v23
	v_mov_b32_e32 v22, v24
	v_mov_b32_e32 v21, v25
	ds_write_b64 v8, v[24:25]
.LBB70_413:
	s_or_b64 exec, exec, s[14:15]
	s_waitcnt lgkmcnt(0)
	s_barrier
	s_barrier
	s_and_saveexec_b64 s[14:15], s[18:19]
; %bb.414:
	v_xor_b32_e32 v22, 0x80000000, v22
	v_xor_b32_e32 v23, 0x80000000, v21
	ds_write_b64 v6, v[22:23] offset:8352
; %bb.415:
	s_or_b64 exec, exec, s[14:15]
	s_waitcnt lgkmcnt(0)
	s_barrier
	s_barrier
	s_and_saveexec_b64 s[14:15], vcc
	s_cbranch_execz .LBB70_417
; %bb.416:
	v_mov_b32_e32 v27, 0
	ds_read_b128 v[21:24], v27 offset:10400
	ds_read_b64 v[25:26], v27 offset:10920
	s_waitcnt lgkmcnt(0)
	v_mul_f32_e32 v28, v26, v22
	v_mul_f32_e32 v29, v25, v22
	v_fma_f32 v25, v25, v21, -v28
	v_fmac_f32_e32 v29, v26, v21
	v_mul_f32_e32 v21, v29, v24
	v_mul_f32_e32 v22, v25, v24
	v_fma_f32 v21, v25, v23, -v21
	v_fmac_f32_e32 v22, v29, v23
	ds_write_b64 v27, v[21:22] offset:10408
.LBB70_417:
	s_or_b64 exec, exec, s[14:15]
	v_mov_b32_e32 v21, 0
	v_mov_b32_e32 v22, 0
	s_waitcnt lgkmcnt(0)
	s_barrier
	s_and_saveexec_b64 s[16:17], s[6:7]
	s_cbranch_execz .LBB70_421
; %bb.418:
	v_mul_u32_u24_e32 v23, 0x208, v5
	ds_read_b64 v[21:22], v3 offset:10416
	ds_read_b64 v[23:24], v23 offset:10400
	v_cmp_gt_u32_e64 s[14:15], 2, v1
	s_waitcnt lgkmcnt(0)
	v_mul_f32_e32 v25, v24, v22
	v_mul_f32_e32 v22, v23, v22
	v_fma_f32 v23, v23, v21, -v25
	v_fmac_f32_e32 v22, v24, v21
	v_add_f32_e32 v21, 0, v23
	v_add_f32_e32 v23, 0, v22
	s_and_saveexec_b64 s[20:21], s[14:15]
	s_cbranch_execz .LBB70_420
; %bb.419:
	v_lshlrev_b32_e32 v22, 3, v0
	v_mov_b32_e32 v26, 0
	ds_read_b64 v[24:25], v22 offset:10928
	ds_read_b64 v[26:27], v26 offset:10408
	s_waitcnt lgkmcnt(0)
	v_mul_f32_e32 v22, v27, v25
	v_mul_f32_e32 v25, v26, v25
	v_fma_f32 v22, v26, v24, -v22
	v_fmac_f32_e32 v25, v27, v24
	v_add_f32_e32 v21, v21, v22
	v_add_f32_e32 v23, v23, v25
.LBB70_420:
	s_or_b64 exec, exec, s[20:21]
	v_xor_b32_e32 v22, 0x80000000, v21
	v_xor_b32_e32 v21, 0x80000000, v23
.LBB70_421:
	s_or_b64 exec, exec, s[16:17]
	s_and_saveexec_b64 s[14:15], s[36:37]
	s_cbranch_execz .LBB70_423
; %bb.422:
	v_mov_b32_e32 v23, 0
	ds_read_b64 v[23:24], v23 offset:11440
	s_waitcnt lgkmcnt(0)
	v_mul_f32_e32 v26, v21, v24
	v_mul_f32_e32 v25, v22, v24
	v_fma_f32 v24, v22, v23, -v26
	v_fmac_f32_e32 v25, v21, v23
	v_mov_b32_e32 v22, v24
	v_mov_b32_e32 v21, v25
	ds_write_b64 v4, v[24:25]
.LBB70_423:
	s_or_b64 exec, exec, s[14:15]
	s_waitcnt lgkmcnt(0)
	s_barrier
	s_and_saveexec_b64 s[14:15], s[34:35]
	s_cbranch_execz .LBB70_425
; %bb.424:
	v_mov_b32_e32 v23, 0
	ds_read_b64 v[23:24], v23 offset:11448
	ds_read_b64 v[25:26], v4
	s_waitcnt lgkmcnt(0)
	v_mul_f32_e32 v27, v26, v24
	v_mul_f32_e32 v24, v25, v24
	v_fma_f32 v25, v25, v23, -v27
	v_fmac_f32_e32 v24, v26, v23
	v_add_f32_e32 v22, v22, v25
	v_add_f32_e32 v21, v21, v24
.LBB70_425:
	s_or_b64 exec, exec, s[14:15]
	s_barrier
	s_and_saveexec_b64 s[14:15], s[34:35]
	s_cbranch_execz .LBB70_427
; %bb.426:
	v_mov_b32_e32 v23, 0
	ds_read_b64 v[23:24], v23 offset:11960
	s_waitcnt lgkmcnt(0)
	v_mul_f32_e32 v26, v21, v24
	v_mul_f32_e32 v25, v22, v24
	v_fma_f32 v24, v22, v23, -v26
	v_fmac_f32_e32 v25, v21, v23
	v_mov_b32_e32 v22, v24
	v_mov_b32_e32 v21, v25
	ds_write_b64 v4, v[24:25]
.LBB70_427:
	s_or_b64 exec, exec, s[14:15]
	s_waitcnt lgkmcnt(0)
	s_barrier
	s_barrier
	s_and_saveexec_b64 s[14:15], s[6:7]
; %bb.428:
	v_xor_b32_e32 v23, 0x80000000, v21
	v_xor_b32_e32 v22, 0x80000000, v22
	ds_write_b64 v3, v[22:23] offset:10416
; %bb.429:
	s_or_b64 exec, exec, s[14:15]
	s_waitcnt lgkmcnt(0)
	s_barrier
	s_barrier
	s_and_saveexec_b64 s[14:15], vcc
	s_cbranch_execz .LBB70_431
; %bb.430:
	v_mov_b32_e32 v27, 0
	ds_read_b128 v[21:24], v27 offset:11440
	ds_read_b64 v[25:26], v27 offset:11960
	s_waitcnt lgkmcnt(0)
	v_mul_f32_e32 v28, v26, v22
	v_mul_f32_e32 v29, v25, v22
	v_fma_f32 v25, v25, v21, -v28
	v_fmac_f32_e32 v29, v26, v21
	v_mul_f32_e32 v21, v29, v24
	v_mul_f32_e32 v22, v25, v24
	v_fma_f32 v21, v25, v23, -v21
	v_fmac_f32_e32 v22, v29, v23
	ds_write_b64 v27, v[21:22] offset:11448
.LBB70_431:
	s_or_b64 exec, exec, s[14:15]
	v_mov_b32_e32 v21, 0
	v_mov_b32_e32 v22, 0
	s_waitcnt lgkmcnt(0)
	s_barrier
	s_and_saveexec_b64 s[16:17], s[10:11]
	s_cbranch_execz .LBB70_441
; %bb.432:
	v_mul_u32_u24_e32 v22, 0x208, v15
	ds_read_b64 v[23:24], v11 offset:8384
	ds_read_b64 v[25:26], v22 offset:8320
	v_cmp_gt_u32_e64 s[14:15], 56, v1
	s_waitcnt lgkmcnt(0)
	v_mul_f32_e32 v21, v26, v24
	v_mul_f32_e32 v24, v25, v24
	v_fma_f32 v21, v25, v23, -v21
	v_fmac_f32_e32 v24, v26, v23
	v_add_f32_e32 v21, 0, v21
	v_add_f32_e32 v23, 0, v24
	s_and_saveexec_b64 s[20:21], s[14:15]
	s_cbranch_execnz .LBB70_1070
; %bb.433:
	s_or_b64 exec, exec, s[20:21]
	v_cmp_gt_u32_e64 s[14:15], 48, v1
	s_and_saveexec_b64 s[20:21], s[14:15]
	s_cbranch_execnz .LBB70_1071
.LBB70_434:
	s_or_b64 exec, exec, s[20:21]
	v_cmp_gt_u32_e64 s[14:15], 40, v1
	s_and_saveexec_b64 s[20:21], s[14:15]
	s_cbranch_execnz .LBB70_1072
.LBB70_435:
	s_or_b64 exec, exec, s[20:21]
	v_cmp_gt_u32_e64 s[14:15], 32, v1
	s_and_saveexec_b64 s[20:21], s[14:15]
	s_cbranch_execnz .LBB70_1073
.LBB70_436:
	s_or_b64 exec, exec, s[20:21]
	v_cmp_gt_u32_e64 s[14:15], 24, v1
	s_and_saveexec_b64 s[20:21], s[14:15]
	s_cbranch_execnz .LBB70_1074
.LBB70_437:
	s_or_b64 exec, exec, s[20:21]
	v_cmp_gt_u32_e64 s[14:15], 16, v1
	s_and_saveexec_b64 s[20:21], s[14:15]
	s_cbranch_execnz .LBB70_1075
.LBB70_438:
	s_or_b64 exec, exec, s[20:21]
	v_cmp_gt_u32_e64 s[14:15], 8, v1
	s_and_saveexec_b64 s[20:21], s[14:15]
	s_cbranch_execz .LBB70_440
.LBB70_439:
	v_lshlrev_b32_e32 v22, 3, v0
	v_mov_b32_e32 v26, 0
	ds_read_b64 v[24:25], v22 offset:11968
	ds_read_b64 v[26:27], v26 offset:8376
	s_waitcnt lgkmcnt(0)
	v_mul_f32_e32 v22, v27, v25
	v_mul_f32_e32 v25, v26, v25
	v_fma_f32 v22, v26, v24, -v22
	v_fmac_f32_e32 v25, v27, v24
	v_add_f32_e32 v21, v21, v22
	v_add_f32_e32 v23, v23, v25
.LBB70_440:
	s_or_b64 exec, exec, s[20:21]
	v_xor_b32_e32 v22, 0x80000000, v21
	v_xor_b32_e32 v21, 0x80000000, v23
.LBB70_441:
	s_or_b64 exec, exec, s[16:17]
	s_and_saveexec_b64 s[14:15], s[52:53]
	s_cbranch_execz .LBB70_443
; %bb.442:
	v_mov_b32_e32 v23, 0
	ds_read_b64 v[23:24], v23 offset:12480
	s_waitcnt lgkmcnt(0)
	v_mul_f32_e32 v26, v21, v24
	v_mul_f32_e32 v25, v22, v24
	v_fma_f32 v24, v22, v23, -v26
	v_fmac_f32_e32 v25, v21, v23
	v_mov_b32_e32 v22, v24
	v_mov_b32_e32 v21, v25
	ds_write_b64 v13, v[24:25]
.LBB70_443:
	s_or_b64 exec, exec, s[14:15]
	s_waitcnt lgkmcnt(0)
	s_barrier
	s_and_saveexec_b64 s[14:15], s[54:55]
	s_cbranch_execz .LBB70_445
; %bb.444:
	ds_read_b64 v[23:24], v12 offset:12480
	ds_read_b64 v[25:26], v13
	s_waitcnt lgkmcnt(0)
	v_mul_f32_e32 v27, v26, v24
	v_mul_f32_e32 v24, v25, v24
	v_fma_f32 v25, v25, v23, -v27
	v_fmac_f32_e32 v24, v26, v23
	v_add_f32_e32 v22, v22, v25
	v_add_f32_e32 v21, v21, v24
.LBB70_445:
	s_or_b64 exec, exec, s[14:15]
	s_barrier
	s_and_saveexec_b64 s[14:15], s[56:57]
	s_cbranch_execz .LBB70_447
; %bb.446:
	v_mov_b32_e32 v23, 0
	ds_read_b64 v[23:24], v23 offset:13000
	s_waitcnt lgkmcnt(0)
	v_mul_f32_e32 v26, v21, v24
	v_mul_f32_e32 v25, v22, v24
	v_fma_f32 v24, v22, v23, -v26
	v_fmac_f32_e32 v25, v21, v23
	v_mov_b32_e32 v22, v24
	v_mov_b32_e32 v21, v25
	ds_write_b64 v13, v[24:25]
.LBB70_447:
	s_or_b64 exec, exec, s[14:15]
	s_waitcnt lgkmcnt(0)
	s_barrier
	s_and_saveexec_b64 s[14:15], s[58:59]
	s_cbranch_execz .LBB70_449
; %bb.448:
	ds_read_b64 v[23:24], v12 offset:12992
	ds_read_b64 v[25:26], v13
	s_waitcnt lgkmcnt(0)
	v_mul_f32_e32 v27, v26, v24
	v_mul_f32_e32 v24, v25, v24
	v_fma_f32 v25, v25, v23, -v27
	v_fmac_f32_e32 v24, v26, v23
	v_add_f32_e32 v22, v22, v25
	v_add_f32_e32 v21, v21, v24
.LBB70_449:
	s_or_b64 exec, exec, s[14:15]
	s_barrier
	s_and_saveexec_b64 s[14:15], s[60:61]
	s_cbranch_execz .LBB70_451
; %bb.450:
	v_mov_b32_e32 v23, 0
	ds_read_b64 v[23:24], v23 offset:13520
	s_waitcnt lgkmcnt(0)
	v_mul_f32_e32 v26, v21, v24
	v_mul_f32_e32 v25, v22, v24
	v_fma_f32 v24, v22, v23, -v26
	v_fmac_f32_e32 v25, v21, v23
	v_mov_b32_e32 v22, v24
	v_mov_b32_e32 v21, v25
	ds_write_b64 v13, v[24:25]
.LBB70_451:
	s_or_b64 exec, exec, s[14:15]
	s_waitcnt lgkmcnt(0)
	s_barrier
	s_and_saveexec_b64 s[14:15], s[62:63]
	s_cbranch_execz .LBB70_453
; %bb.452:
	ds_read_b64 v[23:24], v12 offset:13504
	ds_read_b64 v[25:26], v13
	s_waitcnt lgkmcnt(0)
	v_mul_f32_e32 v27, v26, v24
	v_mul_f32_e32 v24, v25, v24
	v_fma_f32 v25, v25, v23, -v27
	v_fmac_f32_e32 v24, v26, v23
	v_add_f32_e32 v22, v22, v25
	v_add_f32_e32 v21, v21, v24
.LBB70_453:
	s_or_b64 exec, exec, s[14:15]
	s_barrier
	s_and_saveexec_b64 s[14:15], s[64:65]
	s_cbranch_execz .LBB70_455
; %bb.454:
	v_mov_b32_e32 v23, 0
	ds_read_b64 v[23:24], v23 offset:14040
	s_waitcnt lgkmcnt(0)
	v_mul_f32_e32 v26, v21, v24
	v_mul_f32_e32 v25, v22, v24
	v_fma_f32 v24, v22, v23, -v26
	v_fmac_f32_e32 v25, v21, v23
	v_mov_b32_e32 v22, v24
	v_mov_b32_e32 v21, v25
	ds_write_b64 v13, v[24:25]
.LBB70_455:
	s_or_b64 exec, exec, s[14:15]
	s_waitcnt lgkmcnt(0)
	s_barrier
	s_and_saveexec_b64 s[14:15], s[66:67]
	s_cbranch_execz .LBB70_457
; %bb.456:
	ds_read_b64 v[23:24], v12 offset:14016
	ds_read_b64 v[25:26], v13
	s_waitcnt lgkmcnt(0)
	v_mul_f32_e32 v27, v26, v24
	v_mul_f32_e32 v24, v25, v24
	v_fma_f32 v25, v25, v23, -v27
	v_fmac_f32_e32 v24, v26, v23
	v_add_f32_e32 v22, v22, v25
	v_add_f32_e32 v21, v21, v24
.LBB70_457:
	s_or_b64 exec, exec, s[14:15]
	s_barrier
	s_and_saveexec_b64 s[14:15], s[68:69]
	s_cbranch_execz .LBB70_459
; %bb.458:
	v_mov_b32_e32 v23, 0
	ds_read_b64 v[23:24], v23 offset:14560
	s_waitcnt lgkmcnt(0)
	v_mul_f32_e32 v26, v21, v24
	v_mul_f32_e32 v25, v22, v24
	v_fma_f32 v24, v22, v23, -v26
	v_fmac_f32_e32 v25, v21, v23
	v_mov_b32_e32 v22, v24
	v_mov_b32_e32 v21, v25
	ds_write_b64 v13, v[24:25]
.LBB70_459:
	s_or_b64 exec, exec, s[14:15]
	s_waitcnt lgkmcnt(0)
	s_barrier
	s_and_saveexec_b64 s[14:15], s[70:71]
	s_cbranch_execz .LBB70_461
; %bb.460:
	ds_read_b64 v[23:24], v12 offset:14528
	ds_read_b64 v[25:26], v13
	s_waitcnt lgkmcnt(0)
	v_mul_f32_e32 v27, v26, v24
	v_mul_f32_e32 v24, v25, v24
	v_fma_f32 v25, v25, v23, -v27
	v_fmac_f32_e32 v24, v26, v23
	v_add_f32_e32 v22, v22, v25
	v_add_f32_e32 v21, v21, v24
.LBB70_461:
	s_or_b64 exec, exec, s[14:15]
	s_barrier
	s_and_saveexec_b64 s[14:15], s[72:73]
	s_cbranch_execz .LBB70_463
; %bb.462:
	v_mov_b32_e32 v23, 0
	ds_read_b64 v[23:24], v23 offset:15080
	s_waitcnt lgkmcnt(0)
	v_mul_f32_e32 v26, v21, v24
	v_mul_f32_e32 v25, v22, v24
	v_fma_f32 v24, v22, v23, -v26
	v_fmac_f32_e32 v25, v21, v23
	v_mov_b32_e32 v22, v24
	v_mov_b32_e32 v21, v25
	ds_write_b64 v13, v[24:25]
.LBB70_463:
	s_or_b64 exec, exec, s[14:15]
	s_waitcnt lgkmcnt(0)
	s_barrier
	s_and_saveexec_b64 s[14:15], s[74:75]
	s_cbranch_execz .LBB70_465
; %bb.464:
	ds_read_b64 v[23:24], v12 offset:15040
	ds_read_b64 v[25:26], v13
	s_waitcnt lgkmcnt(0)
	v_mul_f32_e32 v27, v26, v24
	v_mul_f32_e32 v24, v25, v24
	v_fma_f32 v25, v25, v23, -v27
	v_fmac_f32_e32 v24, v26, v23
	v_add_f32_e32 v22, v22, v25
	v_add_f32_e32 v21, v21, v24
.LBB70_465:
	s_or_b64 exec, exec, s[14:15]
	s_barrier
	s_and_saveexec_b64 s[14:15], s[76:77]
	s_cbranch_execz .LBB70_467
; %bb.466:
	v_mov_b32_e32 v23, 0
	ds_read_b64 v[23:24], v23 offset:15600
	s_waitcnt lgkmcnt(0)
	v_mul_f32_e32 v26, v21, v24
	v_mul_f32_e32 v25, v22, v24
	v_fma_f32 v24, v22, v23, -v26
	v_fmac_f32_e32 v25, v21, v23
	v_mov_b32_e32 v22, v24
	v_mov_b32_e32 v21, v25
	ds_write_b64 v13, v[24:25]
.LBB70_467:
	s_or_b64 exec, exec, s[14:15]
	s_waitcnt lgkmcnt(0)
	s_barrier
	s_and_saveexec_b64 s[14:15], s[50:51]
	s_cbranch_execz .LBB70_469
; %bb.468:
	v_mov_b32_e32 v23, 0
	ds_read_b64 v[23:24], v23 offset:15608
	ds_read_b64 v[25:26], v13
	s_waitcnt lgkmcnt(0)
	v_mul_f32_e32 v27, v26, v24
	v_mul_f32_e32 v24, v25, v24
	v_fma_f32 v25, v25, v23, -v27
	v_fmac_f32_e32 v24, v26, v23
	v_add_f32_e32 v22, v22, v25
	v_add_f32_e32 v21, v21, v24
.LBB70_469:
	s_or_b64 exec, exec, s[14:15]
	s_barrier
	s_and_saveexec_b64 s[14:15], s[50:51]
	s_cbranch_execz .LBB70_471
; %bb.470:
	v_mov_b32_e32 v23, 0
	ds_read_b64 v[23:24], v23 offset:16120
	s_waitcnt lgkmcnt(0)
	v_mul_f32_e32 v26, v21, v24
	v_mul_f32_e32 v25, v22, v24
	v_fma_f32 v24, v22, v23, -v26
	v_fmac_f32_e32 v25, v21, v23
	v_mov_b32_e32 v22, v24
	v_mov_b32_e32 v21, v25
	ds_write_b64 v13, v[24:25]
.LBB70_471:
	s_or_b64 exec, exec, s[14:15]
	s_waitcnt lgkmcnt(0)
	s_barrier
	s_barrier
	s_and_saveexec_b64 s[14:15], s[10:11]
; %bb.472:
	v_xor_b32_e32 v23, 0x80000000, v21
	v_xor_b32_e32 v22, 0x80000000, v22
	ds_write_b64 v11, v[22:23] offset:8384
; %bb.473:
	s_or_b64 exec, exec, s[14:15]
	s_waitcnt lgkmcnt(0)
	s_barrier
	s_barrier
	s_and_saveexec_b64 s[14:15], vcc
	s_cbranch_execz .LBB70_475
; %bb.474:
	v_mov_b32_e32 v27, 0
	ds_read_b128 v[21:24], v27 offset:12480
	ds_read_b64 v[25:26], v27 offset:13000
	s_waitcnt lgkmcnt(0)
	v_mul_f32_e32 v28, v26, v22
	v_mul_f32_e32 v29, v25, v22
	v_fma_f32 v25, v25, v21, -v28
	v_fmac_f32_e32 v29, v26, v21
	v_mul_f32_e32 v21, v29, v24
	v_mul_f32_e32 v22, v25, v24
	v_fma_f32 v21, v25, v23, -v21
	v_fmac_f32_e32 v22, v29, v23
	ds_write_b64 v27, v[21:22] offset:12488
.LBB70_475:
	s_or_b64 exec, exec, s[14:15]
	v_mov_b32_e32 v21, 0
	v_mov_b32_e32 v22, 0
	s_waitcnt lgkmcnt(0)
	s_barrier
	s_and_saveexec_b64 s[16:17], s[6:7]
	s_cbranch_execz .LBB70_479
; %bb.476:
	v_mul_u32_u24_e32 v23, 0x208, v5
	ds_read_b64 v[21:22], v3 offset:12496
	ds_read_b64 v[23:24], v23 offset:12480
	v_cmp_gt_u32_e64 s[14:15], 2, v1
	s_waitcnt lgkmcnt(0)
	v_mul_f32_e32 v25, v24, v22
	v_mul_f32_e32 v22, v23, v22
	v_fma_f32 v23, v23, v21, -v25
	v_fmac_f32_e32 v22, v24, v21
	v_add_f32_e32 v21, 0, v23
	v_add_f32_e32 v23, 0, v22
	s_and_saveexec_b64 s[20:21], s[14:15]
	s_cbranch_execz .LBB70_478
; %bb.477:
	v_lshlrev_b32_e32 v22, 3, v0
	v_mov_b32_e32 v26, 0
	ds_read_b64 v[24:25], v22 offset:13008
	ds_read_b64 v[26:27], v26 offset:12488
	s_waitcnt lgkmcnt(0)
	v_mul_f32_e32 v22, v27, v25
	v_mul_f32_e32 v25, v26, v25
	v_fma_f32 v22, v26, v24, -v22
	v_fmac_f32_e32 v25, v27, v24
	v_add_f32_e32 v21, v21, v22
	v_add_f32_e32 v23, v23, v25
.LBB70_478:
	s_or_b64 exec, exec, s[20:21]
	v_xor_b32_e32 v22, 0x80000000, v21
	v_xor_b32_e32 v21, 0x80000000, v23
.LBB70_479:
	s_or_b64 exec, exec, s[16:17]
	s_and_saveexec_b64 s[14:15], s[36:37]
	s_cbranch_execz .LBB70_481
; %bb.480:
	v_mov_b32_e32 v23, 0
	ds_read_b64 v[23:24], v23 offset:13520
	s_waitcnt lgkmcnt(0)
	v_mul_f32_e32 v26, v21, v24
	v_mul_f32_e32 v25, v22, v24
	v_fma_f32 v24, v22, v23, -v26
	v_fmac_f32_e32 v25, v21, v23
	v_mov_b32_e32 v22, v24
	v_mov_b32_e32 v21, v25
	ds_write_b64 v4, v[24:25]
.LBB70_481:
	s_or_b64 exec, exec, s[14:15]
	s_waitcnt lgkmcnt(0)
	s_barrier
	s_and_saveexec_b64 s[14:15], s[34:35]
	s_cbranch_execz .LBB70_483
; %bb.482:
	v_mov_b32_e32 v23, 0
	ds_read_b64 v[23:24], v23 offset:13528
	ds_read_b64 v[25:26], v4
	s_waitcnt lgkmcnt(0)
	v_mul_f32_e32 v27, v26, v24
	v_mul_f32_e32 v24, v25, v24
	v_fma_f32 v25, v25, v23, -v27
	v_fmac_f32_e32 v24, v26, v23
	v_add_f32_e32 v22, v22, v25
	v_add_f32_e32 v21, v21, v24
.LBB70_483:
	s_or_b64 exec, exec, s[14:15]
	s_barrier
	s_and_saveexec_b64 s[14:15], s[34:35]
	s_cbranch_execz .LBB70_485
; %bb.484:
	v_mov_b32_e32 v23, 0
	ds_read_b64 v[23:24], v23 offset:14040
	s_waitcnt lgkmcnt(0)
	v_mul_f32_e32 v26, v21, v24
	v_mul_f32_e32 v25, v22, v24
	v_fma_f32 v24, v22, v23, -v26
	v_fmac_f32_e32 v25, v21, v23
	v_mov_b32_e32 v22, v24
	v_mov_b32_e32 v21, v25
	ds_write_b64 v4, v[24:25]
.LBB70_485:
	s_or_b64 exec, exec, s[14:15]
	s_waitcnt lgkmcnt(0)
	s_barrier
	s_barrier
	s_and_saveexec_b64 s[14:15], s[6:7]
; %bb.486:
	v_xor_b32_e32 v23, 0x80000000, v21
	v_xor_b32_e32 v22, 0x80000000, v22
	ds_write_b64 v3, v[22:23] offset:12496
; %bb.487:
	s_or_b64 exec, exec, s[14:15]
	s_waitcnt lgkmcnt(0)
	s_barrier
	s_barrier
	s_and_saveexec_b64 s[14:15], vcc
	s_cbranch_execz .LBB70_489
; %bb.488:
	v_mov_b32_e32 v27, 0
	ds_read_b128 v[21:24], v27 offset:13520
	ds_read_b64 v[25:26], v27 offset:14040
	s_waitcnt lgkmcnt(0)
	v_mul_f32_e32 v28, v26, v22
	v_mul_f32_e32 v29, v25, v22
	v_fma_f32 v25, v25, v21, -v28
	v_fmac_f32_e32 v29, v26, v21
	v_mul_f32_e32 v21, v29, v24
	v_mul_f32_e32 v22, v25, v24
	v_fma_f32 v21, v25, v23, -v21
	v_fmac_f32_e32 v22, v29, v23
	ds_write_b64 v27, v[21:22] offset:13528
.LBB70_489:
	s_or_b64 exec, exec, s[14:15]
	v_mov_b32_e32 v21, 0
	v_mov_b32_e32 v22, 0
	s_waitcnt lgkmcnt(0)
	s_barrier
	s_and_saveexec_b64 s[16:17], s[18:19]
	s_cbranch_execz .LBB70_495
; %bb.490:
	v_mul_u32_u24_e32 v22, 0x208, v10
	ds_read_b64 v[23:24], v6 offset:12512
	ds_read_b64 v[25:26], v22 offset:12480
	v_cmp_gt_u32_e64 s[14:15], 12, v1
	s_waitcnt lgkmcnt(0)
	v_mul_f32_e32 v21, v26, v24
	v_mul_f32_e32 v24, v25, v24
	v_fma_f32 v21, v25, v23, -v21
	v_fmac_f32_e32 v24, v26, v23
	v_add_f32_e32 v21, 0, v21
	v_add_f32_e32 v23, 0, v24
	s_and_saveexec_b64 s[20:21], s[14:15]
	s_cbranch_execnz .LBB70_1076
; %bb.491:
	s_or_b64 exec, exec, s[20:21]
	v_cmp_gt_u32_e64 s[14:15], 8, v1
	s_and_saveexec_b64 s[20:21], s[14:15]
	s_cbranch_execnz .LBB70_1077
.LBB70_492:
	s_or_b64 exec, exec, s[20:21]
	v_cmp_gt_u32_e64 s[14:15], 4, v1
	s_and_saveexec_b64 s[20:21], s[14:15]
	s_cbranch_execz .LBB70_494
.LBB70_493:
	v_lshlrev_b32_e32 v22, 3, v0
	v_mov_b32_e32 v26, 0
	ds_read_b64 v[24:25], v22 offset:14048
	ds_read_b64 v[26:27], v26 offset:12504
	s_waitcnt lgkmcnt(0)
	v_mul_f32_e32 v22, v27, v25
	v_mul_f32_e32 v25, v26, v25
	v_fma_f32 v22, v26, v24, -v22
	v_fmac_f32_e32 v25, v27, v24
	v_add_f32_e32 v21, v21, v22
	v_add_f32_e32 v23, v23, v25
.LBB70_494:
	s_or_b64 exec, exec, s[20:21]
	v_xor_b32_e32 v22, 0x80000000, v21
	v_xor_b32_e32 v21, 0x80000000, v23
.LBB70_495:
	s_or_b64 exec, exec, s[16:17]
	s_and_saveexec_b64 s[14:15], s[40:41]
	s_cbranch_execz .LBB70_497
; %bb.496:
	v_mov_b32_e32 v23, 0
	ds_read_b64 v[23:24], v23 offset:14560
	s_waitcnt lgkmcnt(0)
	v_mul_f32_e32 v26, v21, v24
	v_mul_f32_e32 v25, v22, v24
	v_fma_f32 v24, v22, v23, -v26
	v_fmac_f32_e32 v25, v21, v23
	v_mov_b32_e32 v22, v24
	v_mov_b32_e32 v21, v25
	ds_write_b64 v8, v[24:25]
.LBB70_497:
	s_or_b64 exec, exec, s[14:15]
	s_waitcnt lgkmcnt(0)
	s_barrier
	s_and_saveexec_b64 s[14:15], s[42:43]
	s_cbranch_execz .LBB70_499
; %bb.498:
	ds_read_b64 v[23:24], v7 offset:14560
	ds_read_b64 v[25:26], v8
	s_waitcnt lgkmcnt(0)
	v_mul_f32_e32 v27, v26, v24
	v_mul_f32_e32 v24, v25, v24
	v_fma_f32 v25, v25, v23, -v27
	v_fmac_f32_e32 v24, v26, v23
	v_add_f32_e32 v22, v22, v25
	v_add_f32_e32 v21, v21, v24
.LBB70_499:
	s_or_b64 exec, exec, s[14:15]
	s_barrier
	s_and_saveexec_b64 s[14:15], s[44:45]
	s_cbranch_execz .LBB70_501
; %bb.500:
	v_mov_b32_e32 v23, 0
	ds_read_b64 v[23:24], v23 offset:15080
	s_waitcnt lgkmcnt(0)
	v_mul_f32_e32 v26, v21, v24
	v_mul_f32_e32 v25, v22, v24
	v_fma_f32 v24, v22, v23, -v26
	v_fmac_f32_e32 v25, v21, v23
	v_mov_b32_e32 v22, v24
	v_mov_b32_e32 v21, v25
	ds_write_b64 v8, v[24:25]
.LBB70_501:
	s_or_b64 exec, exec, s[14:15]
	s_waitcnt lgkmcnt(0)
	s_barrier
	s_and_saveexec_b64 s[14:15], s[46:47]
	s_cbranch_execz .LBB70_503
; %bb.502:
	ds_read_b64 v[23:24], v7 offset:15072
	ds_read_b64 v[25:26], v8
	s_waitcnt lgkmcnt(0)
	v_mul_f32_e32 v27, v26, v24
	v_mul_f32_e32 v24, v25, v24
	v_fma_f32 v25, v25, v23, -v27
	v_fmac_f32_e32 v24, v26, v23
	v_add_f32_e32 v22, v22, v25
	v_add_f32_e32 v21, v21, v24
.LBB70_503:
	s_or_b64 exec, exec, s[14:15]
	s_barrier
	s_and_saveexec_b64 s[14:15], s[48:49]
	s_cbranch_execz .LBB70_505
; %bb.504:
	v_mov_b32_e32 v23, 0
	ds_read_b64 v[23:24], v23 offset:15600
	s_waitcnt lgkmcnt(0)
	v_mul_f32_e32 v26, v21, v24
	v_mul_f32_e32 v25, v22, v24
	v_fma_f32 v24, v22, v23, -v26
	v_fmac_f32_e32 v25, v21, v23
	v_mov_b32_e32 v22, v24
	v_mov_b32_e32 v21, v25
	ds_write_b64 v8, v[24:25]
.LBB70_505:
	s_or_b64 exec, exec, s[14:15]
	s_waitcnt lgkmcnt(0)
	s_barrier
	s_and_saveexec_b64 s[14:15], s[38:39]
	s_cbranch_execz .LBB70_507
; %bb.506:
	v_mov_b32_e32 v23, 0
	ds_read_b64 v[23:24], v23 offset:15608
	ds_read_b64 v[25:26], v8
	s_waitcnt lgkmcnt(0)
	v_mul_f32_e32 v27, v26, v24
	v_mul_f32_e32 v24, v25, v24
	v_fma_f32 v25, v25, v23, -v27
	v_fmac_f32_e32 v24, v26, v23
	v_add_f32_e32 v22, v22, v25
	v_add_f32_e32 v21, v21, v24
.LBB70_507:
	s_or_b64 exec, exec, s[14:15]
	s_barrier
	s_and_saveexec_b64 s[14:15], s[38:39]
	s_cbranch_execz .LBB70_509
; %bb.508:
	v_mov_b32_e32 v23, 0
	ds_read_b64 v[23:24], v23 offset:16120
	s_waitcnt lgkmcnt(0)
	v_mul_f32_e32 v26, v21, v24
	v_mul_f32_e32 v25, v22, v24
	v_fma_f32 v24, v22, v23, -v26
	v_fmac_f32_e32 v25, v21, v23
	v_mov_b32_e32 v22, v24
	v_mov_b32_e32 v21, v25
	ds_write_b64 v8, v[24:25]
.LBB70_509:
	s_or_b64 exec, exec, s[14:15]
	s_waitcnt lgkmcnt(0)
	s_barrier
	s_barrier
	s_and_saveexec_b64 s[14:15], s[18:19]
; %bb.510:
	v_xor_b32_e32 v22, 0x80000000, v22
	v_xor_b32_e32 v23, 0x80000000, v21
	ds_write_b64 v6, v[22:23] offset:12512
; %bb.511:
	s_or_b64 exec, exec, s[14:15]
	s_waitcnt lgkmcnt(0)
	s_barrier
	s_barrier
	s_and_saveexec_b64 s[14:15], vcc
	s_cbranch_execz .LBB70_513
; %bb.512:
	v_mov_b32_e32 v27, 0
	ds_read_b128 v[21:24], v27 offset:14560
	ds_read_b64 v[25:26], v27 offset:15080
	s_waitcnt lgkmcnt(0)
	v_mul_f32_e32 v28, v26, v22
	v_mul_f32_e32 v29, v25, v22
	v_fma_f32 v25, v25, v21, -v28
	v_fmac_f32_e32 v29, v26, v21
	v_mul_f32_e32 v21, v29, v24
	v_mul_f32_e32 v22, v25, v24
	v_fma_f32 v21, v25, v23, -v21
	v_fmac_f32_e32 v22, v29, v23
	ds_write_b64 v27, v[21:22] offset:14568
.LBB70_513:
	s_or_b64 exec, exec, s[14:15]
	v_mov_b32_e32 v21, 0
	v_mov_b32_e32 v22, 0
	s_waitcnt lgkmcnt(0)
	s_barrier
	s_and_saveexec_b64 s[16:17], s[6:7]
	s_cbranch_execz .LBB70_517
; %bb.514:
	v_mul_u32_u24_e32 v23, 0x208, v5
	ds_read_b64 v[21:22], v3 offset:14576
	ds_read_b64 v[23:24], v23 offset:14560
	v_cmp_gt_u32_e64 s[14:15], 2, v1
	s_waitcnt lgkmcnt(0)
	v_mul_f32_e32 v25, v24, v22
	v_mul_f32_e32 v22, v23, v22
	v_fma_f32 v23, v23, v21, -v25
	v_fmac_f32_e32 v22, v24, v21
	v_add_f32_e32 v21, 0, v23
	v_add_f32_e32 v23, 0, v22
	s_and_saveexec_b64 s[20:21], s[14:15]
	s_cbranch_execz .LBB70_516
; %bb.515:
	v_lshlrev_b32_e32 v22, 3, v0
	v_mov_b32_e32 v26, 0
	ds_read_b64 v[24:25], v22 offset:15088
	ds_read_b64 v[26:27], v26 offset:14568
	s_waitcnt lgkmcnt(0)
	v_mul_f32_e32 v22, v27, v25
	v_mul_f32_e32 v25, v26, v25
	v_fma_f32 v22, v26, v24, -v22
	v_fmac_f32_e32 v25, v27, v24
	v_add_f32_e32 v21, v21, v22
	v_add_f32_e32 v23, v23, v25
.LBB70_516:
	s_or_b64 exec, exec, s[20:21]
	v_xor_b32_e32 v22, 0x80000000, v21
	v_xor_b32_e32 v21, 0x80000000, v23
.LBB70_517:
	s_or_b64 exec, exec, s[16:17]
	s_and_saveexec_b64 s[14:15], s[36:37]
	s_cbranch_execz .LBB70_519
; %bb.518:
	v_mov_b32_e32 v23, 0
	ds_read_b64 v[23:24], v23 offset:15600
	s_waitcnt lgkmcnt(0)
	v_mul_f32_e32 v26, v21, v24
	v_mul_f32_e32 v25, v22, v24
	v_fma_f32 v24, v22, v23, -v26
	v_fmac_f32_e32 v25, v21, v23
	v_mov_b32_e32 v22, v24
	v_mov_b32_e32 v21, v25
	ds_write_b64 v4, v[24:25]
.LBB70_519:
	s_or_b64 exec, exec, s[14:15]
	s_waitcnt lgkmcnt(0)
	s_barrier
	s_and_saveexec_b64 s[14:15], s[34:35]
	s_cbranch_execz .LBB70_521
; %bb.520:
	v_mov_b32_e32 v23, 0
	ds_read_b64 v[23:24], v23 offset:15608
	ds_read_b64 v[25:26], v4
	s_waitcnt lgkmcnt(0)
	v_mul_f32_e32 v27, v26, v24
	v_mul_f32_e32 v24, v25, v24
	v_fma_f32 v25, v25, v23, -v27
	v_fmac_f32_e32 v24, v26, v23
	v_add_f32_e32 v22, v22, v25
	v_add_f32_e32 v21, v21, v24
.LBB70_521:
	s_or_b64 exec, exec, s[14:15]
	s_barrier
	s_and_saveexec_b64 s[14:15], s[34:35]
	s_cbranch_execz .LBB70_523
; %bb.522:
	v_mov_b32_e32 v23, 0
	ds_read_b64 v[23:24], v23 offset:16120
	s_waitcnt lgkmcnt(0)
	v_mul_f32_e32 v26, v21, v24
	v_mul_f32_e32 v25, v22, v24
	v_fma_f32 v24, v22, v23, -v26
	v_fmac_f32_e32 v25, v21, v23
	v_mov_b32_e32 v22, v24
	v_mov_b32_e32 v21, v25
	ds_write_b64 v4, v[24:25]
.LBB70_523:
	s_or_b64 exec, exec, s[14:15]
	s_waitcnt lgkmcnt(0)
	s_barrier
	s_barrier
	s_and_saveexec_b64 s[14:15], s[6:7]
; %bb.524:
	v_xor_b32_e32 v23, 0x80000000, v21
	v_xor_b32_e32 v22, 0x80000000, v22
	ds_write_b64 v3, v[22:23] offset:14576
; %bb.525:
	s_or_b64 exec, exec, s[14:15]
	s_waitcnt lgkmcnt(0)
	s_barrier
	s_barrier
	s_and_saveexec_b64 s[14:15], vcc
	s_cbranch_execz .LBB70_527
; %bb.526:
	v_mov_b32_e32 v27, 0
	ds_read_b128 v[21:24], v27 offset:15600
	ds_read_b64 v[25:26], v27 offset:16120
	s_waitcnt lgkmcnt(0)
	v_mul_f32_e32 v28, v26, v22
	v_mul_f32_e32 v29, v25, v22
	v_fma_f32 v25, v25, v21, -v28
	v_fmac_f32_e32 v29, v26, v21
	v_mul_f32_e32 v21, v29, v24
	v_mul_f32_e32 v22, v25, v24
	v_fma_f32 v21, v25, v23, -v21
	v_fmac_f32_e32 v22, v29, v23
	ds_write_b64 v27, v[21:22] offset:15608
.LBB70_527:
	s_or_b64 exec, exec, s[14:15]
	s_movk_i32 s14, 0x3ff
	v_lshrrev_b32_e32 v23, 5, v1
	v_cmp_lt_u32_e64 s[16:17], s14, v1
	s_movk_i32 s14, 0x400
	v_and_b32_e32 v21, 31, v0
	v_cmp_gt_u32_e64 s[14:15], s14, v1
	v_lshlrev_b32_e32 v22, 9, v23
	v_mov_b32_e32 v24, 0
	v_mov_b32_e32 v26, 0
	s_waitcnt lgkmcnt(0)
	s_barrier
	s_and_saveexec_b64 s[90:91], s[14:15]
	s_cbranch_execz .LBB70_589
; %bb.528:
	v_lshlrev_b32_e32 v26, 3, v21
	v_add_u32_e32 v28, v26, v22
	v_mul_u32_u24_e32 v27, 0x208, v23
	ds_read_b64 v[24:25], v28 offset:256
	ds_read_b64 v[29:30], v27
	s_movk_i32 s20, 0x3e0
	v_cmp_gt_u32_e64 s[20:21], s20, v1
	s_waitcnt lgkmcnt(0)
	v_mul_f32_e32 v31, v30, v25
	v_mul_f32_e32 v25, v29, v25
	v_fma_f32 v29, v29, v24, -v31
	v_fmac_f32_e32 v25, v30, v24
	v_add_f32_e32 v24, 0, v29
	v_add_f32_e32 v25, 0, v25
	s_and_saveexec_b64 s[92:93], s[20:21]
	s_cbranch_execz .LBB70_530
; %bb.529:
	ds_read_b64 v[29:30], v28 offset:768
	ds_read_b64 v[31:32], v27 offset:8
	s_waitcnt lgkmcnt(0)
	v_mul_f32_e32 v33, v32, v30
	v_mul_f32_e32 v30, v31, v30
	v_fma_f32 v31, v31, v29, -v33
	v_fmac_f32_e32 v30, v32, v29
	v_add_f32_e32 v24, v24, v31
	v_add_f32_e32 v25, v25, v30
.LBB70_530:
	s_or_b64 exec, exec, s[92:93]
	s_movk_i32 s20, 0x3c0
	v_cmp_gt_u32_e64 s[20:21], s20, v1
	s_and_saveexec_b64 s[92:93], s[20:21]
	s_cbranch_execz .LBB70_532
; %bb.531:
	ds_read_b64 v[29:30], v28 offset:1280
	ds_read_b64 v[31:32], v27 offset:16
	s_waitcnt lgkmcnt(0)
	v_mul_f32_e32 v33, v32, v30
	v_mul_f32_e32 v30, v31, v30
	v_fma_f32 v31, v31, v29, -v33
	v_fmac_f32_e32 v30, v32, v29
	v_add_f32_e32 v24, v24, v31
	v_add_f32_e32 v25, v25, v30
.LBB70_532:
	s_or_b64 exec, exec, s[92:93]
	s_movk_i32 s20, 0x3a0
	v_cmp_gt_u32_e64 s[20:21], s20, v1
	s_and_saveexec_b64 s[92:93], s[20:21]
	s_cbranch_execz .LBB70_534
; %bb.533:
	ds_read_b64 v[29:30], v28 offset:1792
	ds_read_b64 v[31:32], v27 offset:24
	s_waitcnt lgkmcnt(0)
	v_mul_f32_e32 v33, v32, v30
	v_mul_f32_e32 v30, v31, v30
	v_fma_f32 v31, v31, v29, -v33
	v_fmac_f32_e32 v30, v32, v29
	v_add_f32_e32 v24, v24, v31
	v_add_f32_e32 v25, v25, v30
.LBB70_534:
	s_or_b64 exec, exec, s[92:93]
	s_movk_i32 s20, 0x380
	v_cmp_gt_u32_e64 s[20:21], s20, v1
	s_and_saveexec_b64 s[92:93], s[20:21]
	s_cbranch_execz .LBB70_536
; %bb.535:
	ds_read_b64 v[29:30], v28 offset:2304
	ds_read_b64 v[31:32], v27 offset:32
	s_waitcnt lgkmcnt(0)
	v_mul_f32_e32 v33, v32, v30
	v_mul_f32_e32 v30, v31, v30
	v_fma_f32 v31, v31, v29, -v33
	v_fmac_f32_e32 v30, v32, v29
	v_add_f32_e32 v24, v24, v31
	v_add_f32_e32 v25, v25, v30
.LBB70_536:
	s_or_b64 exec, exec, s[92:93]
	s_movk_i32 s20, 0x360
	v_cmp_gt_u32_e64 s[20:21], s20, v1
	s_and_saveexec_b64 s[92:93], s[20:21]
	s_cbranch_execz .LBB70_538
; %bb.537:
	ds_read_b64 v[29:30], v28 offset:2816
	ds_read_b64 v[31:32], v27 offset:40
	s_waitcnt lgkmcnt(0)
	v_mul_f32_e32 v33, v32, v30
	v_mul_f32_e32 v30, v31, v30
	v_fma_f32 v31, v31, v29, -v33
	v_fmac_f32_e32 v30, v32, v29
	v_add_f32_e32 v24, v24, v31
	v_add_f32_e32 v25, v25, v30
.LBB70_538:
	s_or_b64 exec, exec, s[92:93]
	s_movk_i32 s20, 0x340
	v_cmp_gt_u32_e64 s[20:21], s20, v1
	s_and_saveexec_b64 s[92:93], s[20:21]
	s_cbranch_execz .LBB70_540
; %bb.539:
	ds_read_b64 v[29:30], v28 offset:3328
	ds_read_b64 v[31:32], v27 offset:48
	s_waitcnt lgkmcnt(0)
	v_mul_f32_e32 v33, v32, v30
	v_mul_f32_e32 v30, v31, v30
	v_fma_f32 v31, v31, v29, -v33
	v_fmac_f32_e32 v30, v32, v29
	v_add_f32_e32 v24, v24, v31
	v_add_f32_e32 v25, v25, v30
.LBB70_540:
	s_or_b64 exec, exec, s[92:93]
	s_movk_i32 s20, 0x320
	v_cmp_gt_u32_e64 s[20:21], s20, v1
	s_and_saveexec_b64 s[92:93], s[20:21]
	s_cbranch_execz .LBB70_542
; %bb.541:
	ds_read_b64 v[29:30], v28 offset:3840
	ds_read_b64 v[31:32], v27 offset:56
	s_waitcnt lgkmcnt(0)
	v_mul_f32_e32 v33, v32, v30
	v_mul_f32_e32 v30, v31, v30
	v_fma_f32 v31, v31, v29, -v33
	v_fmac_f32_e32 v30, v32, v29
	v_add_f32_e32 v24, v24, v31
	v_add_f32_e32 v25, v25, v30
.LBB70_542:
	s_or_b64 exec, exec, s[92:93]
	s_movk_i32 s20, 0x300
	v_cmp_gt_u32_e64 s[20:21], s20, v1
	s_and_saveexec_b64 s[92:93], s[20:21]
	s_cbranch_execz .LBB70_544
; %bb.543:
	ds_read_b64 v[29:30], v28 offset:4352
	ds_read_b64 v[31:32], v27 offset:64
	s_waitcnt lgkmcnt(0)
	v_mul_f32_e32 v33, v32, v30
	v_mul_f32_e32 v30, v31, v30
	v_fma_f32 v31, v31, v29, -v33
	v_fmac_f32_e32 v30, v32, v29
	v_add_f32_e32 v24, v24, v31
	v_add_f32_e32 v25, v25, v30
.LBB70_544:
	s_or_b64 exec, exec, s[92:93]
	s_movk_i32 s20, 0x2e0
	v_cmp_gt_u32_e64 s[20:21], s20, v1
	s_and_saveexec_b64 s[92:93], s[20:21]
	s_cbranch_execz .LBB70_546
; %bb.545:
	ds_read_b64 v[29:30], v28 offset:4864
	ds_read_b64 v[31:32], v27 offset:72
	s_waitcnt lgkmcnt(0)
	v_mul_f32_e32 v33, v32, v30
	v_mul_f32_e32 v30, v31, v30
	v_fma_f32 v31, v31, v29, -v33
	v_fmac_f32_e32 v30, v32, v29
	v_add_f32_e32 v24, v24, v31
	v_add_f32_e32 v25, v25, v30
.LBB70_546:
	s_or_b64 exec, exec, s[92:93]
	s_movk_i32 s20, 0x2c0
	v_cmp_gt_u32_e64 s[20:21], s20, v1
	s_and_saveexec_b64 s[92:93], s[20:21]
	s_cbranch_execz .LBB70_548
; %bb.547:
	ds_read_b64 v[29:30], v28 offset:5376
	ds_read_b64 v[31:32], v27 offset:80
	s_waitcnt lgkmcnt(0)
	v_mul_f32_e32 v33, v32, v30
	v_mul_f32_e32 v30, v31, v30
	v_fma_f32 v31, v31, v29, -v33
	v_fmac_f32_e32 v30, v32, v29
	v_add_f32_e32 v24, v24, v31
	v_add_f32_e32 v25, v25, v30
.LBB70_548:
	s_or_b64 exec, exec, s[92:93]
	s_movk_i32 s20, 0x2a0
	v_cmp_gt_u32_e64 s[20:21], s20, v1
	s_and_saveexec_b64 s[92:93], s[20:21]
	s_cbranch_execz .LBB70_550
; %bb.549:
	ds_read_b64 v[29:30], v28 offset:5888
	ds_read_b64 v[31:32], v27 offset:88
	s_waitcnt lgkmcnt(0)
	v_mul_f32_e32 v33, v32, v30
	v_mul_f32_e32 v30, v31, v30
	v_fma_f32 v31, v31, v29, -v33
	v_fmac_f32_e32 v30, v32, v29
	v_add_f32_e32 v24, v24, v31
	v_add_f32_e32 v25, v25, v30
.LBB70_550:
	s_or_b64 exec, exec, s[92:93]
	s_movk_i32 s20, 0x280
	v_cmp_gt_u32_e64 s[20:21], s20, v1
	s_and_saveexec_b64 s[92:93], s[20:21]
	s_cbranch_execz .LBB70_552
; %bb.551:
	ds_read_b64 v[29:30], v28 offset:6400
	ds_read_b64 v[31:32], v27 offset:96
	s_waitcnt lgkmcnt(0)
	v_mul_f32_e32 v33, v32, v30
	v_mul_f32_e32 v30, v31, v30
	v_fma_f32 v31, v31, v29, -v33
	v_fmac_f32_e32 v30, v32, v29
	v_add_f32_e32 v24, v24, v31
	v_add_f32_e32 v25, v25, v30
.LBB70_552:
	s_or_b64 exec, exec, s[92:93]
	s_movk_i32 s20, 0x260
	v_cmp_gt_u32_e64 s[20:21], s20, v1
	s_and_saveexec_b64 s[92:93], s[20:21]
	s_cbranch_execz .LBB70_554
; %bb.553:
	ds_read_b64 v[29:30], v28 offset:6912
	ds_read_b64 v[31:32], v27 offset:104
	s_waitcnt lgkmcnt(0)
	v_mul_f32_e32 v33, v32, v30
	v_mul_f32_e32 v30, v31, v30
	v_fma_f32 v31, v31, v29, -v33
	v_fmac_f32_e32 v30, v32, v29
	v_add_f32_e32 v24, v24, v31
	v_add_f32_e32 v25, v25, v30
.LBB70_554:
	s_or_b64 exec, exec, s[92:93]
	s_movk_i32 s20, 0x240
	v_cmp_gt_u32_e64 s[20:21], s20, v1
	s_and_saveexec_b64 s[92:93], s[20:21]
	s_cbranch_execz .LBB70_556
; %bb.555:
	ds_read_b64 v[29:30], v28 offset:7424
	ds_read_b64 v[31:32], v27 offset:112
	s_waitcnt lgkmcnt(0)
	v_mul_f32_e32 v33, v32, v30
	v_mul_f32_e32 v30, v31, v30
	v_fma_f32 v31, v31, v29, -v33
	v_fmac_f32_e32 v30, v32, v29
	v_add_f32_e32 v24, v24, v31
	v_add_f32_e32 v25, v25, v30
.LBB70_556:
	s_or_b64 exec, exec, s[92:93]
	s_movk_i32 s20, 0x220
	v_cmp_gt_u32_e64 s[20:21], s20, v1
	s_and_saveexec_b64 s[92:93], s[20:21]
	s_cbranch_execz .LBB70_558
; %bb.557:
	ds_read_b64 v[29:30], v28 offset:7936
	ds_read_b64 v[31:32], v27 offset:120
	s_waitcnt lgkmcnt(0)
	v_mul_f32_e32 v33, v32, v30
	v_mul_f32_e32 v30, v31, v30
	v_fma_f32 v31, v31, v29, -v33
	v_fmac_f32_e32 v30, v32, v29
	v_add_f32_e32 v24, v24, v31
	v_add_f32_e32 v25, v25, v30
.LBB70_558:
	s_or_b64 exec, exec, s[92:93]
	s_movk_i32 s20, 0x200
	v_cmp_gt_u32_e64 s[20:21], s20, v1
	s_and_saveexec_b64 s[92:93], s[20:21]
	s_cbranch_execz .LBB70_560
; %bb.559:
	ds_read_b64 v[29:30], v28 offset:8448
	ds_read_b64 v[31:32], v27 offset:128
	s_waitcnt lgkmcnt(0)
	v_mul_f32_e32 v33, v32, v30
	v_mul_f32_e32 v30, v31, v30
	v_fma_f32 v31, v31, v29, -v33
	v_fmac_f32_e32 v30, v32, v29
	v_add_f32_e32 v24, v24, v31
	v_add_f32_e32 v25, v25, v30
.LBB70_560:
	s_or_b64 exec, exec, s[92:93]
	s_movk_i32 s20, 0x1e0
	v_cmp_gt_u32_e64 s[20:21], s20, v1
	s_and_saveexec_b64 s[92:93], s[20:21]
	s_cbranch_execz .LBB70_562
; %bb.561:
	ds_read_b64 v[29:30], v28 offset:8960
	ds_read_b64 v[31:32], v27 offset:136
	s_waitcnt lgkmcnt(0)
	v_mul_f32_e32 v33, v32, v30
	v_mul_f32_e32 v30, v31, v30
	v_fma_f32 v31, v31, v29, -v33
	v_fmac_f32_e32 v30, v32, v29
	v_add_f32_e32 v24, v24, v31
	v_add_f32_e32 v25, v25, v30
.LBB70_562:
	s_or_b64 exec, exec, s[92:93]
	s_movk_i32 s20, 0x1c0
	v_cmp_gt_u32_e64 s[20:21], s20, v1
	s_and_saveexec_b64 s[92:93], s[20:21]
	s_cbranch_execz .LBB70_564
; %bb.563:
	ds_read_b64 v[29:30], v28 offset:9472
	ds_read_b64 v[31:32], v27 offset:144
	s_waitcnt lgkmcnt(0)
	v_mul_f32_e32 v33, v32, v30
	v_mul_f32_e32 v30, v31, v30
	v_fma_f32 v31, v31, v29, -v33
	v_fmac_f32_e32 v30, v32, v29
	v_add_f32_e32 v24, v24, v31
	v_add_f32_e32 v25, v25, v30
.LBB70_564:
	s_or_b64 exec, exec, s[92:93]
	s_movk_i32 s20, 0x1a0
	v_cmp_gt_u32_e64 s[20:21], s20, v1
	s_and_saveexec_b64 s[92:93], s[20:21]
	s_cbranch_execz .LBB70_566
; %bb.565:
	ds_read_b64 v[29:30], v28 offset:9984
	ds_read_b64 v[31:32], v27 offset:152
	s_waitcnt lgkmcnt(0)
	v_mul_f32_e32 v33, v32, v30
	v_mul_f32_e32 v30, v31, v30
	v_fma_f32 v31, v31, v29, -v33
	v_fmac_f32_e32 v30, v32, v29
	v_add_f32_e32 v24, v24, v31
	v_add_f32_e32 v25, v25, v30
.LBB70_566:
	s_or_b64 exec, exec, s[92:93]
	s_movk_i32 s20, 0x180
	v_cmp_gt_u32_e64 s[20:21], s20, v1
	s_and_saveexec_b64 s[92:93], s[20:21]
	s_cbranch_execz .LBB70_568
; %bb.567:
	ds_read_b64 v[29:30], v28 offset:10496
	ds_read_b64 v[31:32], v27 offset:160
	s_waitcnt lgkmcnt(0)
	v_mul_f32_e32 v33, v32, v30
	v_mul_f32_e32 v30, v31, v30
	v_fma_f32 v31, v31, v29, -v33
	v_fmac_f32_e32 v30, v32, v29
	v_add_f32_e32 v24, v24, v31
	v_add_f32_e32 v25, v25, v30
.LBB70_568:
	s_or_b64 exec, exec, s[92:93]
	s_movk_i32 s20, 0x160
	v_cmp_gt_u32_e64 s[20:21], s20, v1
	s_and_saveexec_b64 s[92:93], s[20:21]
	s_cbranch_execz .LBB70_570
; %bb.569:
	ds_read_b64 v[29:30], v28 offset:11008
	ds_read_b64 v[31:32], v27 offset:168
	s_waitcnt lgkmcnt(0)
	v_mul_f32_e32 v33, v32, v30
	v_mul_f32_e32 v30, v31, v30
	v_fma_f32 v31, v31, v29, -v33
	v_fmac_f32_e32 v30, v32, v29
	v_add_f32_e32 v24, v24, v31
	v_add_f32_e32 v25, v25, v30
.LBB70_570:
	s_or_b64 exec, exec, s[92:93]
	s_movk_i32 s20, 0x140
	v_cmp_gt_u32_e64 s[20:21], s20, v1
	s_and_saveexec_b64 s[92:93], s[20:21]
	s_cbranch_execz .LBB70_572
; %bb.571:
	ds_read_b64 v[29:30], v28 offset:11520
	ds_read_b64 v[31:32], v27 offset:176
	s_waitcnt lgkmcnt(0)
	v_mul_f32_e32 v33, v32, v30
	v_mul_f32_e32 v30, v31, v30
	v_fma_f32 v31, v31, v29, -v33
	v_fmac_f32_e32 v30, v32, v29
	v_add_f32_e32 v24, v24, v31
	v_add_f32_e32 v25, v25, v30
.LBB70_572:
	s_or_b64 exec, exec, s[92:93]
	s_movk_i32 s20, 0x120
	v_cmp_gt_u32_e64 s[20:21], s20, v1
	s_and_saveexec_b64 s[92:93], s[20:21]
	s_cbranch_execz .LBB70_574
; %bb.573:
	ds_read_b64 v[29:30], v28 offset:12032
	ds_read_b64 v[31:32], v27 offset:184
	s_waitcnt lgkmcnt(0)
	v_mul_f32_e32 v33, v32, v30
	v_mul_f32_e32 v30, v31, v30
	v_fma_f32 v31, v31, v29, -v33
	v_fmac_f32_e32 v30, v32, v29
	v_add_f32_e32 v24, v24, v31
	v_add_f32_e32 v25, v25, v30
.LBB70_574:
	s_or_b64 exec, exec, s[92:93]
	s_movk_i32 s20, 0x100
	v_cmp_gt_u32_e64 s[20:21], s20, v1
	s_and_saveexec_b64 s[92:93], s[20:21]
	s_cbranch_execz .LBB70_576
; %bb.575:
	ds_read_b64 v[29:30], v28 offset:12544
	ds_read_b64 v[31:32], v27 offset:192
	s_waitcnt lgkmcnt(0)
	v_mul_f32_e32 v33, v32, v30
	v_mul_f32_e32 v30, v31, v30
	v_fma_f32 v31, v31, v29, -v33
	v_fmac_f32_e32 v30, v32, v29
	v_add_f32_e32 v24, v24, v31
	v_add_f32_e32 v25, v25, v30
.LBB70_576:
	s_or_b64 exec, exec, s[92:93]
	s_movk_i32 s20, 0xe0
	v_cmp_gt_u32_e64 s[20:21], s20, v1
	s_and_saveexec_b64 s[92:93], s[20:21]
	s_cbranch_execz .LBB70_578
; %bb.577:
	ds_read_b64 v[29:30], v28 offset:13056
	ds_read_b64 v[31:32], v27 offset:200
	s_waitcnt lgkmcnt(0)
	v_mul_f32_e32 v33, v32, v30
	v_mul_f32_e32 v30, v31, v30
	v_fma_f32 v31, v31, v29, -v33
	v_fmac_f32_e32 v30, v32, v29
	v_add_f32_e32 v24, v24, v31
	v_add_f32_e32 v25, v25, v30
.LBB70_578:
	s_or_b64 exec, exec, s[92:93]
	s_movk_i32 s20, 0xc0
	v_cmp_gt_u32_e64 s[20:21], s20, v1
	s_and_saveexec_b64 s[92:93], s[20:21]
	s_cbranch_execz .LBB70_580
; %bb.579:
	ds_read_b64 v[29:30], v28 offset:13568
	ds_read_b64 v[31:32], v27 offset:208
	s_waitcnt lgkmcnt(0)
	v_mul_f32_e32 v33, v32, v30
	v_mul_f32_e32 v30, v31, v30
	v_fma_f32 v31, v31, v29, -v33
	v_fmac_f32_e32 v30, v32, v29
	v_add_f32_e32 v24, v24, v31
	v_add_f32_e32 v25, v25, v30
.LBB70_580:
	s_or_b64 exec, exec, s[92:93]
	s_movk_i32 s20, 0xa0
	v_cmp_gt_u32_e64 s[20:21], s20, v1
	s_and_saveexec_b64 s[92:93], s[20:21]
	s_cbranch_execz .LBB70_582
; %bb.581:
	ds_read_b64 v[29:30], v28 offset:14080
	ds_read_b64 v[31:32], v27 offset:216
	s_waitcnt lgkmcnt(0)
	v_mul_f32_e32 v33, v32, v30
	v_mul_f32_e32 v30, v31, v30
	v_fma_f32 v31, v31, v29, -v33
	v_fmac_f32_e32 v30, v32, v29
	v_add_f32_e32 v24, v24, v31
	v_add_f32_e32 v25, v25, v30
.LBB70_582:
	s_or_b64 exec, exec, s[92:93]
	s_movk_i32 s20, 0x80
	v_cmp_gt_u32_e64 s[20:21], s20, v1
	s_and_saveexec_b64 s[92:93], s[20:21]
	s_cbranch_execz .LBB70_584
; %bb.583:
	ds_read_b64 v[29:30], v28 offset:14592
	ds_read_b64 v[31:32], v27 offset:224
	s_waitcnt lgkmcnt(0)
	v_mul_f32_e32 v33, v32, v30
	v_mul_f32_e32 v30, v31, v30
	v_fma_f32 v31, v31, v29, -v33
	v_fmac_f32_e32 v30, v32, v29
	v_add_f32_e32 v24, v24, v31
	v_add_f32_e32 v25, v25, v30
.LBB70_584:
	s_or_b64 exec, exec, s[92:93]
	s_movk_i32 s20, 0x60
	v_cmp_gt_u32_e64 s[20:21], s20, v1
	s_and_saveexec_b64 s[92:93], s[20:21]
	s_cbranch_execnz .LBB70_1078
; %bb.585:
	s_or_b64 exec, exec, s[92:93]
	v_cmp_gt_u32_e64 s[20:21], 64, v1
	s_and_saveexec_b64 s[92:93], s[20:21]
	s_cbranch_execnz .LBB70_1079
.LBB70_586:
	s_or_b64 exec, exec, s[92:93]
	v_cmp_gt_u32_e64 s[20:21], 32, v1
	s_and_saveexec_b64 s[92:93], s[20:21]
	s_cbranch_execz .LBB70_588
.LBB70_587:
	ds_read_b64 v[28:29], v26 offset:16128
	ds_read_b64 v[26:27], v27 offset:248
	s_waitcnt lgkmcnt(0)
	v_mul_f32_e32 v30, v27, v29
	v_mul_f32_e32 v29, v26, v29
	v_fma_f32 v26, v26, v28, -v30
	v_fmac_f32_e32 v29, v27, v28
	v_add_f32_e32 v24, v24, v26
	v_add_f32_e32 v25, v25, v29
.LBB70_588:
	s_or_b64 exec, exec, s[92:93]
	v_xor_b32_e32 v26, 0x80000000, v24
	v_xor_b32_e32 v24, 0x80000000, v25
.LBB70_589:
	s_or_b64 exec, exec, s[90:91]
	v_mov_b32_e32 v25, 0x8000
	v_lshl_or_b32 v23, v23, 3, v25
	v_mul_u32_u24_e32 v25, 0x208, v21
	v_lshlrev_b32_e32 v27, 9, v21
	v_sub_u32_e32 v27, v25, v27
	v_add_u32_e32 v27, 0x4100, v27
	s_mov_b32 s90, 0
	s_xor_b64 s[20:21], s[16:17], -1
	v_mov_b32_e32 v28, v21
	s_branch .LBB70_591
.LBB70_590:                             ;   in Loop: Header=BB70_591 Depth=1
	s_or_b64 exec, exec, s[16:17]
	s_add_i32 s90, s90, 2
	v_add_u32_e32 v27, 0x400, v27
	s_cmp_eq_u32 s90, 32
	v_add_u32_e32 v28, -2, v28
	s_barrier
	s_cbranch_scc1 .LBB70_599
.LBB70_591:                             ; =>This Inner Loop Header: Depth=1
	v_cmp_eq_u32_e64 s[16:17], 0, v28
	s_and_b64 s[92:93], s[20:21], s[16:17]
	s_and_saveexec_b64 s[16:17], s[92:93]
	s_cbranch_execz .LBB70_593
; %bb.592:                              ;   in Loop: Header=BB70_591 Depth=1
	ds_read_b64 v[29:30], v25 offset:16640
	s_waitcnt lgkmcnt(0)
	v_mul_f32_e32 v32, v24, v30
	v_mul_f32_e32 v31, v26, v30
	v_fma_f32 v30, v26, v29, -v32
	v_fmac_f32_e32 v31, v24, v29
	v_mov_b32_e32 v26, v30
	v_mov_b32_e32 v24, v31
	ds_write_b64 v23, v[30:31]
.LBB70_593:                             ;   in Loop: Header=BB70_591 Depth=1
	s_or_b64 exec, exec, s[16:17]
	v_cmp_lt_u32_e64 s[16:17], s90, v21
	s_and_b64 s[92:93], s[20:21], s[16:17]
	s_waitcnt lgkmcnt(0)
	s_barrier
	s_and_saveexec_b64 s[16:17], s[92:93]
	s_cbranch_execz .LBB70_595
; %bb.594:                              ;   in Loop: Header=BB70_591 Depth=1
	ds_read_b64 v[29:30], v27
	ds_read_b64 v[31:32], v23
	s_waitcnt lgkmcnt(0)
	v_mul_f32_e32 v33, v32, v30
	v_mul_f32_e32 v30, v31, v30
	v_fma_f32 v31, v31, v29, -v33
	v_fmac_f32_e32 v30, v32, v29
	v_add_f32_e32 v26, v26, v31
	v_add_f32_e32 v24, v24, v30
.LBB70_595:                             ;   in Loop: Header=BB70_591 Depth=1
	s_or_b64 exec, exec, s[16:17]
	s_or_b32 s91, s90, 1
	v_cmp_eq_u32_e64 s[16:17], s91, v21
	s_and_b64 s[92:93], s[20:21], s[16:17]
	s_barrier
	s_and_saveexec_b64 s[16:17], s[92:93]
	s_cbranch_execz .LBB70_597
; %bb.596:                              ;   in Loop: Header=BB70_591 Depth=1
	ds_read_b64 v[29:30], v25 offset:16640
	s_waitcnt lgkmcnt(0)
	v_mul_f32_e32 v32, v24, v30
	v_mul_f32_e32 v31, v26, v30
	v_fma_f32 v30, v26, v29, -v32
	v_fmac_f32_e32 v31, v24, v29
	v_mov_b32_e32 v26, v30
	v_mov_b32_e32 v24, v31
	ds_write_b64 v23, v[30:31]
.LBB70_597:                             ;   in Loop: Header=BB70_591 Depth=1
	s_or_b64 exec, exec, s[16:17]
	v_cmp_lt_u32_e64 s[16:17], s91, v21
	s_and_b64 s[92:93], s[20:21], s[16:17]
	s_waitcnt lgkmcnt(0)
	s_barrier
	s_and_saveexec_b64 s[16:17], s[92:93]
	s_cbranch_execz .LBB70_590
; %bb.598:                              ;   in Loop: Header=BB70_591 Depth=1
	ds_read_b64 v[29:30], v27 offset:512
	ds_read_b64 v[31:32], v23
	s_waitcnt lgkmcnt(0)
	v_mul_f32_e32 v33, v32, v30
	v_mul_f32_e32 v30, v31, v30
	v_fma_f32 v31, v31, v29, -v33
	v_fmac_f32_e32 v30, v32, v29
	v_add_f32_e32 v26, v26, v31
	v_add_f32_e32 v24, v24, v30
	s_branch .LBB70_590
.LBB70_599:
	s_and_saveexec_b64 s[16:17], s[14:15]
; %bb.600:
	v_lshl_add_u32 v23, v21, 3, v22
	v_xor_b32_e32 v22, 0x80000000, v24
	v_xor_b32_e32 v21, 0x80000000, v26
	ds_write_b64 v23, v[21:22] offset:256
; %bb.601:
	s_or_b64 exec, exec, s[16:17]
	s_waitcnt lgkmcnt(0)
	s_barrier
	s_barrier
	s_and_saveexec_b64 s[14:15], vcc
	s_cbranch_execz .LBB70_603
; %bb.602:
	v_mov_b32_e32 v27, 0
	ds_read_b128 v[21:24], v27 offset:16640
	ds_read_b64 v[25:26], v27 offset:17160
	s_waitcnt lgkmcnt(0)
	v_mul_f32_e32 v28, v26, v22
	v_mul_f32_e32 v29, v25, v22
	v_fma_f32 v25, v25, v21, -v28
	v_fmac_f32_e32 v29, v26, v21
	v_mul_f32_e32 v21, v29, v24
	v_mul_f32_e32 v22, v25, v24
	v_fma_f32 v21, v25, v23, -v21
	v_fmac_f32_e32 v22, v29, v23
	ds_write_b64 v27, v[21:22] offset:16648
.LBB70_603:
	s_or_b64 exec, exec, s[14:15]
	v_mov_b32_e32 v21, 0
	v_mov_b32_e32 v22, 0
	s_waitcnt lgkmcnt(0)
	s_barrier
	s_and_saveexec_b64 s[16:17], s[6:7]
	s_cbranch_execz .LBB70_607
; %bb.604:
	v_mul_u32_u24_e32 v23, 0x208, v5
	ds_read_b64 v[21:22], v3 offset:16656
	ds_read_b64 v[23:24], v23 offset:16640
	v_cmp_gt_u32_e64 s[14:15], 2, v1
	s_waitcnt lgkmcnt(0)
	v_mul_f32_e32 v25, v24, v22
	v_mul_f32_e32 v22, v23, v22
	v_fma_f32 v23, v23, v21, -v25
	v_fmac_f32_e32 v22, v24, v21
	v_add_f32_e32 v21, 0, v23
	v_add_f32_e32 v23, 0, v22
	s_and_saveexec_b64 s[20:21], s[14:15]
	s_cbranch_execz .LBB70_606
; %bb.605:
	v_lshlrev_b32_e32 v22, 3, v0
	v_mov_b32_e32 v26, 0
	ds_read_b64 v[24:25], v22 offset:17168
	ds_read_b64 v[26:27], v26 offset:16648
	s_waitcnt lgkmcnt(0)
	v_mul_f32_e32 v22, v27, v25
	v_mul_f32_e32 v25, v26, v25
	v_fma_f32 v22, v26, v24, -v22
	v_fmac_f32_e32 v25, v27, v24
	v_add_f32_e32 v21, v21, v22
	v_add_f32_e32 v23, v23, v25
.LBB70_606:
	s_or_b64 exec, exec, s[20:21]
	v_xor_b32_e32 v22, 0x80000000, v21
	v_xor_b32_e32 v21, 0x80000000, v23
.LBB70_607:
	s_or_b64 exec, exec, s[16:17]
	s_and_saveexec_b64 s[14:15], s[36:37]
	s_cbranch_execz .LBB70_609
; %bb.608:
	v_mov_b32_e32 v23, 0
	ds_read_b64 v[23:24], v23 offset:17680
	s_waitcnt lgkmcnt(0)
	v_mul_f32_e32 v26, v21, v24
	v_mul_f32_e32 v25, v22, v24
	v_fma_f32 v24, v22, v23, -v26
	v_fmac_f32_e32 v25, v21, v23
	v_mov_b32_e32 v22, v24
	v_mov_b32_e32 v21, v25
	ds_write_b64 v4, v[24:25]
.LBB70_609:
	s_or_b64 exec, exec, s[14:15]
	s_waitcnt lgkmcnt(0)
	s_barrier
	s_and_saveexec_b64 s[14:15], s[34:35]
	s_cbranch_execz .LBB70_611
; %bb.610:
	v_mov_b32_e32 v23, 0
	ds_read_b64 v[23:24], v23 offset:17688
	ds_read_b64 v[25:26], v4
	s_waitcnt lgkmcnt(0)
	v_mul_f32_e32 v27, v26, v24
	v_mul_f32_e32 v24, v25, v24
	v_fma_f32 v25, v25, v23, -v27
	v_fmac_f32_e32 v24, v26, v23
	v_add_f32_e32 v22, v22, v25
	v_add_f32_e32 v21, v21, v24
.LBB70_611:
	s_or_b64 exec, exec, s[14:15]
	s_barrier
	s_and_saveexec_b64 s[14:15], s[34:35]
	s_cbranch_execz .LBB70_613
; %bb.612:
	v_mov_b32_e32 v23, 0
	ds_read_b64 v[23:24], v23 offset:18200
	s_waitcnt lgkmcnt(0)
	v_mul_f32_e32 v26, v21, v24
	v_mul_f32_e32 v25, v22, v24
	v_fma_f32 v24, v22, v23, -v26
	v_fmac_f32_e32 v25, v21, v23
	v_mov_b32_e32 v22, v24
	v_mov_b32_e32 v21, v25
	ds_write_b64 v4, v[24:25]
.LBB70_613:
	s_or_b64 exec, exec, s[14:15]
	s_waitcnt lgkmcnt(0)
	s_barrier
	s_barrier
	s_and_saveexec_b64 s[14:15], s[6:7]
; %bb.614:
	v_xor_b32_e32 v23, 0x80000000, v21
	v_xor_b32_e32 v22, 0x80000000, v22
	ds_write_b64 v3, v[22:23] offset:16656
; %bb.615:
	s_or_b64 exec, exec, s[14:15]
	s_waitcnt lgkmcnt(0)
	s_barrier
	s_barrier
	s_and_saveexec_b64 s[14:15], vcc
	s_cbranch_execz .LBB70_617
; %bb.616:
	v_mov_b32_e32 v27, 0
	ds_read_b128 v[21:24], v27 offset:17680
	ds_read_b64 v[25:26], v27 offset:18200
	s_waitcnt lgkmcnt(0)
	v_mul_f32_e32 v28, v26, v22
	v_mul_f32_e32 v29, v25, v22
	v_fma_f32 v25, v25, v21, -v28
	v_fmac_f32_e32 v29, v26, v21
	v_mul_f32_e32 v21, v29, v24
	v_mul_f32_e32 v22, v25, v24
	v_fma_f32 v21, v25, v23, -v21
	v_fmac_f32_e32 v22, v29, v23
	ds_write_b64 v27, v[21:22] offset:17688
.LBB70_617:
	s_or_b64 exec, exec, s[14:15]
	v_mov_b32_e32 v21, 0
	v_mov_b32_e32 v22, 0
	s_waitcnt lgkmcnt(0)
	s_barrier
	s_and_saveexec_b64 s[16:17], s[18:19]
	s_cbranch_execz .LBB70_623
; %bb.618:
	v_mul_u32_u24_e32 v22, 0x208, v10
	ds_read_b64 v[23:24], v6 offset:16672
	ds_read_b64 v[25:26], v22 offset:16640
	v_cmp_gt_u32_e64 s[14:15], 12, v1
	s_waitcnt lgkmcnt(0)
	v_mul_f32_e32 v21, v26, v24
	v_mul_f32_e32 v24, v25, v24
	v_fma_f32 v21, v25, v23, -v21
	v_fmac_f32_e32 v24, v26, v23
	v_add_f32_e32 v21, 0, v21
	v_add_f32_e32 v23, 0, v24
	s_and_saveexec_b64 s[20:21], s[14:15]
	s_cbranch_execnz .LBB70_1080
; %bb.619:
	s_or_b64 exec, exec, s[20:21]
	v_cmp_gt_u32_e64 s[14:15], 8, v1
	s_and_saveexec_b64 s[20:21], s[14:15]
	s_cbranch_execnz .LBB70_1081
.LBB70_620:
	s_or_b64 exec, exec, s[20:21]
	v_cmp_gt_u32_e64 s[14:15], 4, v1
	s_and_saveexec_b64 s[20:21], s[14:15]
	s_cbranch_execz .LBB70_622
.LBB70_621:
	v_lshlrev_b32_e32 v22, 3, v0
	v_mov_b32_e32 v26, 0
	ds_read_b64 v[24:25], v22 offset:18208
	ds_read_b64 v[26:27], v26 offset:16664
	s_waitcnt lgkmcnt(0)
	v_mul_f32_e32 v22, v27, v25
	v_mul_f32_e32 v25, v26, v25
	v_fma_f32 v22, v26, v24, -v22
	v_fmac_f32_e32 v25, v27, v24
	v_add_f32_e32 v21, v21, v22
	v_add_f32_e32 v23, v23, v25
.LBB70_622:
	s_or_b64 exec, exec, s[20:21]
	v_xor_b32_e32 v22, 0x80000000, v21
	v_xor_b32_e32 v21, 0x80000000, v23
.LBB70_623:
	s_or_b64 exec, exec, s[16:17]
	s_and_saveexec_b64 s[14:15], s[40:41]
	s_cbranch_execz .LBB70_625
; %bb.624:
	v_mov_b32_e32 v23, 0
	ds_read_b64 v[23:24], v23 offset:18720
	s_waitcnt lgkmcnt(0)
	v_mul_f32_e32 v26, v21, v24
	v_mul_f32_e32 v25, v22, v24
	v_fma_f32 v24, v22, v23, -v26
	v_fmac_f32_e32 v25, v21, v23
	v_mov_b32_e32 v22, v24
	v_mov_b32_e32 v21, v25
	ds_write_b64 v8, v[24:25]
.LBB70_625:
	s_or_b64 exec, exec, s[14:15]
	s_waitcnt lgkmcnt(0)
	s_barrier
	s_and_saveexec_b64 s[14:15], s[42:43]
	s_cbranch_execz .LBB70_627
; %bb.626:
	ds_read_b64 v[23:24], v7 offset:18720
	ds_read_b64 v[25:26], v8
	s_waitcnt lgkmcnt(0)
	v_mul_f32_e32 v27, v26, v24
	v_mul_f32_e32 v24, v25, v24
	v_fma_f32 v25, v25, v23, -v27
	v_fmac_f32_e32 v24, v26, v23
	v_add_f32_e32 v22, v22, v25
	v_add_f32_e32 v21, v21, v24
.LBB70_627:
	s_or_b64 exec, exec, s[14:15]
	s_barrier
	s_and_saveexec_b64 s[14:15], s[44:45]
	s_cbranch_execz .LBB70_629
; %bb.628:
	v_mov_b32_e32 v23, 0
	ds_read_b64 v[23:24], v23 offset:19240
	s_waitcnt lgkmcnt(0)
	v_mul_f32_e32 v26, v21, v24
	v_mul_f32_e32 v25, v22, v24
	v_fma_f32 v24, v22, v23, -v26
	v_fmac_f32_e32 v25, v21, v23
	v_mov_b32_e32 v22, v24
	v_mov_b32_e32 v21, v25
	ds_write_b64 v8, v[24:25]
.LBB70_629:
	s_or_b64 exec, exec, s[14:15]
	s_waitcnt lgkmcnt(0)
	s_barrier
	s_and_saveexec_b64 s[14:15], s[46:47]
	s_cbranch_execz .LBB70_631
; %bb.630:
	ds_read_b64 v[23:24], v7 offset:19232
	ds_read_b64 v[25:26], v8
	s_waitcnt lgkmcnt(0)
	v_mul_f32_e32 v27, v26, v24
	v_mul_f32_e32 v24, v25, v24
	v_fma_f32 v25, v25, v23, -v27
	v_fmac_f32_e32 v24, v26, v23
	v_add_f32_e32 v22, v22, v25
	v_add_f32_e32 v21, v21, v24
.LBB70_631:
	s_or_b64 exec, exec, s[14:15]
	s_barrier
	s_and_saveexec_b64 s[14:15], s[48:49]
	s_cbranch_execz .LBB70_633
; %bb.632:
	v_mov_b32_e32 v23, 0
	ds_read_b64 v[23:24], v23 offset:19760
	s_waitcnt lgkmcnt(0)
	v_mul_f32_e32 v26, v21, v24
	v_mul_f32_e32 v25, v22, v24
	v_fma_f32 v24, v22, v23, -v26
	v_fmac_f32_e32 v25, v21, v23
	v_mov_b32_e32 v22, v24
	v_mov_b32_e32 v21, v25
	ds_write_b64 v8, v[24:25]
.LBB70_633:
	s_or_b64 exec, exec, s[14:15]
	s_waitcnt lgkmcnt(0)
	s_barrier
	s_and_saveexec_b64 s[14:15], s[38:39]
	s_cbranch_execz .LBB70_635
; %bb.634:
	v_mov_b32_e32 v23, 0
	ds_read_b64 v[23:24], v23 offset:19768
	ds_read_b64 v[25:26], v8
	s_waitcnt lgkmcnt(0)
	v_mul_f32_e32 v27, v26, v24
	v_mul_f32_e32 v24, v25, v24
	v_fma_f32 v25, v25, v23, -v27
	v_fmac_f32_e32 v24, v26, v23
	v_add_f32_e32 v22, v22, v25
	v_add_f32_e32 v21, v21, v24
.LBB70_635:
	s_or_b64 exec, exec, s[14:15]
	s_barrier
	s_and_saveexec_b64 s[14:15], s[38:39]
	s_cbranch_execz .LBB70_637
; %bb.636:
	v_mov_b32_e32 v23, 0
	ds_read_b64 v[23:24], v23 offset:20280
	s_waitcnt lgkmcnt(0)
	v_mul_f32_e32 v26, v21, v24
	v_mul_f32_e32 v25, v22, v24
	v_fma_f32 v24, v22, v23, -v26
	v_fmac_f32_e32 v25, v21, v23
	v_mov_b32_e32 v22, v24
	v_mov_b32_e32 v21, v25
	ds_write_b64 v8, v[24:25]
.LBB70_637:
	s_or_b64 exec, exec, s[14:15]
	s_waitcnt lgkmcnt(0)
	s_barrier
	s_barrier
	s_and_saveexec_b64 s[14:15], s[18:19]
; %bb.638:
	v_xor_b32_e32 v22, 0x80000000, v22
	v_xor_b32_e32 v23, 0x80000000, v21
	ds_write_b64 v6, v[22:23] offset:16672
; %bb.639:
	s_or_b64 exec, exec, s[14:15]
	s_waitcnt lgkmcnt(0)
	s_barrier
	s_barrier
	s_and_saveexec_b64 s[14:15], vcc
	s_cbranch_execz .LBB70_641
; %bb.640:
	v_mov_b32_e32 v27, 0
	ds_read_b128 v[21:24], v27 offset:18720
	ds_read_b64 v[25:26], v27 offset:19240
	s_waitcnt lgkmcnt(0)
	v_mul_f32_e32 v28, v26, v22
	v_mul_f32_e32 v29, v25, v22
	v_fma_f32 v25, v25, v21, -v28
	v_fmac_f32_e32 v29, v26, v21
	v_mul_f32_e32 v21, v29, v24
	v_mul_f32_e32 v22, v25, v24
	v_fma_f32 v21, v25, v23, -v21
	v_fmac_f32_e32 v22, v29, v23
	ds_write_b64 v27, v[21:22] offset:18728
.LBB70_641:
	s_or_b64 exec, exec, s[14:15]
	v_mov_b32_e32 v21, 0
	v_mov_b32_e32 v22, 0
	s_waitcnt lgkmcnt(0)
	s_barrier
	s_and_saveexec_b64 s[16:17], s[6:7]
	s_cbranch_execz .LBB70_645
; %bb.642:
	v_mul_u32_u24_e32 v23, 0x208, v5
	ds_read_b64 v[21:22], v3 offset:18736
	ds_read_b64 v[23:24], v23 offset:18720
	v_cmp_gt_u32_e64 s[14:15], 2, v1
	s_waitcnt lgkmcnt(0)
	v_mul_f32_e32 v25, v24, v22
	v_mul_f32_e32 v22, v23, v22
	v_fma_f32 v23, v23, v21, -v25
	v_fmac_f32_e32 v22, v24, v21
	v_add_f32_e32 v21, 0, v23
	v_add_f32_e32 v23, 0, v22
	s_and_saveexec_b64 s[20:21], s[14:15]
	s_cbranch_execz .LBB70_644
; %bb.643:
	v_lshlrev_b32_e32 v22, 3, v0
	v_mov_b32_e32 v26, 0
	ds_read_b64 v[24:25], v22 offset:19248
	ds_read_b64 v[26:27], v26 offset:18728
	s_waitcnt lgkmcnt(0)
	v_mul_f32_e32 v22, v27, v25
	v_mul_f32_e32 v25, v26, v25
	v_fma_f32 v22, v26, v24, -v22
	v_fmac_f32_e32 v25, v27, v24
	v_add_f32_e32 v21, v21, v22
	v_add_f32_e32 v23, v23, v25
.LBB70_644:
	s_or_b64 exec, exec, s[20:21]
	v_xor_b32_e32 v22, 0x80000000, v21
	v_xor_b32_e32 v21, 0x80000000, v23
.LBB70_645:
	s_or_b64 exec, exec, s[16:17]
	s_and_saveexec_b64 s[14:15], s[36:37]
	s_cbranch_execz .LBB70_647
; %bb.646:
	v_mov_b32_e32 v23, 0
	ds_read_b64 v[23:24], v23 offset:19760
	s_waitcnt lgkmcnt(0)
	v_mul_f32_e32 v26, v21, v24
	v_mul_f32_e32 v25, v22, v24
	v_fma_f32 v24, v22, v23, -v26
	v_fmac_f32_e32 v25, v21, v23
	v_mov_b32_e32 v22, v24
	v_mov_b32_e32 v21, v25
	ds_write_b64 v4, v[24:25]
.LBB70_647:
	s_or_b64 exec, exec, s[14:15]
	s_waitcnt lgkmcnt(0)
	s_barrier
	s_and_saveexec_b64 s[14:15], s[34:35]
	s_cbranch_execz .LBB70_649
; %bb.648:
	v_mov_b32_e32 v23, 0
	ds_read_b64 v[23:24], v23 offset:19768
	ds_read_b64 v[25:26], v4
	s_waitcnt lgkmcnt(0)
	v_mul_f32_e32 v27, v26, v24
	v_mul_f32_e32 v24, v25, v24
	v_fma_f32 v25, v25, v23, -v27
	v_fmac_f32_e32 v24, v26, v23
	v_add_f32_e32 v22, v22, v25
	v_add_f32_e32 v21, v21, v24
.LBB70_649:
	s_or_b64 exec, exec, s[14:15]
	s_barrier
	s_and_saveexec_b64 s[14:15], s[34:35]
	s_cbranch_execz .LBB70_651
; %bb.650:
	v_mov_b32_e32 v23, 0
	ds_read_b64 v[23:24], v23 offset:20280
	s_waitcnt lgkmcnt(0)
	v_mul_f32_e32 v26, v21, v24
	v_mul_f32_e32 v25, v22, v24
	v_fma_f32 v24, v22, v23, -v26
	v_fmac_f32_e32 v25, v21, v23
	v_mov_b32_e32 v22, v24
	v_mov_b32_e32 v21, v25
	ds_write_b64 v4, v[24:25]
.LBB70_651:
	s_or_b64 exec, exec, s[14:15]
	s_waitcnt lgkmcnt(0)
	s_barrier
	s_barrier
	s_and_saveexec_b64 s[14:15], s[6:7]
; %bb.652:
	v_xor_b32_e32 v23, 0x80000000, v21
	v_xor_b32_e32 v22, 0x80000000, v22
	ds_write_b64 v3, v[22:23] offset:18736
; %bb.653:
	s_or_b64 exec, exec, s[14:15]
	s_waitcnt lgkmcnt(0)
	s_barrier
	s_barrier
	s_and_saveexec_b64 s[14:15], vcc
	s_cbranch_execz .LBB70_655
; %bb.654:
	v_mov_b32_e32 v27, 0
	ds_read_b128 v[21:24], v27 offset:19760
	ds_read_b64 v[25:26], v27 offset:20280
	s_waitcnt lgkmcnt(0)
	v_mul_f32_e32 v28, v26, v22
	v_mul_f32_e32 v29, v25, v22
	v_fma_f32 v25, v25, v21, -v28
	v_fmac_f32_e32 v29, v26, v21
	v_mul_f32_e32 v21, v29, v24
	v_mul_f32_e32 v22, v25, v24
	v_fma_f32 v21, v25, v23, -v21
	v_fmac_f32_e32 v22, v29, v23
	ds_write_b64 v27, v[21:22] offset:19768
.LBB70_655:
	s_or_b64 exec, exec, s[14:15]
	v_mov_b32_e32 v21, 0
	v_mov_b32_e32 v22, 0
	s_waitcnt lgkmcnt(0)
	s_barrier
	s_and_saveexec_b64 s[16:17], s[10:11]
	s_cbranch_execz .LBB70_665
; %bb.656:
	v_mul_u32_u24_e32 v22, 0x208, v15
	ds_read_b64 v[23:24], v11 offset:16704
	ds_read_b64 v[25:26], v22 offset:16640
	v_cmp_gt_u32_e64 s[14:15], 56, v1
	s_waitcnt lgkmcnt(0)
	v_mul_f32_e32 v21, v26, v24
	v_mul_f32_e32 v24, v25, v24
	v_fma_f32 v21, v25, v23, -v21
	v_fmac_f32_e32 v24, v26, v23
	v_add_f32_e32 v21, 0, v21
	v_add_f32_e32 v23, 0, v24
	s_and_saveexec_b64 s[20:21], s[14:15]
	s_cbranch_execnz .LBB70_1082
; %bb.657:
	s_or_b64 exec, exec, s[20:21]
	v_cmp_gt_u32_e64 s[14:15], 48, v1
	s_and_saveexec_b64 s[20:21], s[14:15]
	s_cbranch_execnz .LBB70_1083
.LBB70_658:
	s_or_b64 exec, exec, s[20:21]
	v_cmp_gt_u32_e64 s[14:15], 40, v1
	s_and_saveexec_b64 s[20:21], s[14:15]
	s_cbranch_execnz .LBB70_1084
.LBB70_659:
	s_or_b64 exec, exec, s[20:21]
	v_cmp_gt_u32_e64 s[14:15], 32, v1
	s_and_saveexec_b64 s[20:21], s[14:15]
	s_cbranch_execnz .LBB70_1085
.LBB70_660:
	s_or_b64 exec, exec, s[20:21]
	v_cmp_gt_u32_e64 s[14:15], 24, v1
	s_and_saveexec_b64 s[20:21], s[14:15]
	s_cbranch_execnz .LBB70_1086
.LBB70_661:
	s_or_b64 exec, exec, s[20:21]
	v_cmp_gt_u32_e64 s[14:15], 16, v1
	s_and_saveexec_b64 s[20:21], s[14:15]
	s_cbranch_execnz .LBB70_1087
.LBB70_662:
	s_or_b64 exec, exec, s[20:21]
	v_cmp_gt_u32_e64 s[14:15], 8, v1
	s_and_saveexec_b64 s[20:21], s[14:15]
	s_cbranch_execz .LBB70_664
.LBB70_663:
	v_lshlrev_b32_e32 v22, 3, v0
	v_mov_b32_e32 v26, 0
	ds_read_b64 v[24:25], v22 offset:20288
	ds_read_b64 v[26:27], v26 offset:16696
	s_waitcnt lgkmcnt(0)
	v_mul_f32_e32 v22, v27, v25
	v_mul_f32_e32 v25, v26, v25
	v_fma_f32 v22, v26, v24, -v22
	v_fmac_f32_e32 v25, v27, v24
	v_add_f32_e32 v21, v21, v22
	v_add_f32_e32 v23, v23, v25
.LBB70_664:
	s_or_b64 exec, exec, s[20:21]
	v_xor_b32_e32 v22, 0x80000000, v21
	v_xor_b32_e32 v21, 0x80000000, v23
.LBB70_665:
	s_or_b64 exec, exec, s[16:17]
	s_and_saveexec_b64 s[14:15], s[52:53]
	s_cbranch_execz .LBB70_667
; %bb.666:
	v_mov_b32_e32 v23, 0
	ds_read_b64 v[23:24], v23 offset:20800
	s_waitcnt lgkmcnt(0)
	v_mul_f32_e32 v26, v21, v24
	v_mul_f32_e32 v25, v22, v24
	v_fma_f32 v24, v22, v23, -v26
	v_fmac_f32_e32 v25, v21, v23
	v_mov_b32_e32 v22, v24
	v_mov_b32_e32 v21, v25
	ds_write_b64 v13, v[24:25]
.LBB70_667:
	s_or_b64 exec, exec, s[14:15]
	s_waitcnt lgkmcnt(0)
	s_barrier
	s_and_saveexec_b64 s[14:15], s[54:55]
	s_cbranch_execz .LBB70_669
; %bb.668:
	ds_read_b64 v[23:24], v12 offset:20800
	ds_read_b64 v[25:26], v13
	s_waitcnt lgkmcnt(0)
	v_mul_f32_e32 v27, v26, v24
	v_mul_f32_e32 v24, v25, v24
	v_fma_f32 v25, v25, v23, -v27
	v_fmac_f32_e32 v24, v26, v23
	v_add_f32_e32 v22, v22, v25
	v_add_f32_e32 v21, v21, v24
.LBB70_669:
	s_or_b64 exec, exec, s[14:15]
	s_barrier
	s_and_saveexec_b64 s[14:15], s[56:57]
	s_cbranch_execz .LBB70_671
; %bb.670:
	v_mov_b32_e32 v23, 0
	ds_read_b64 v[23:24], v23 offset:21320
	s_waitcnt lgkmcnt(0)
	v_mul_f32_e32 v26, v21, v24
	v_mul_f32_e32 v25, v22, v24
	v_fma_f32 v24, v22, v23, -v26
	v_fmac_f32_e32 v25, v21, v23
	v_mov_b32_e32 v22, v24
	v_mov_b32_e32 v21, v25
	ds_write_b64 v13, v[24:25]
.LBB70_671:
	s_or_b64 exec, exec, s[14:15]
	s_waitcnt lgkmcnt(0)
	s_barrier
	s_and_saveexec_b64 s[14:15], s[58:59]
	s_cbranch_execz .LBB70_673
; %bb.672:
	ds_read_b64 v[23:24], v12 offset:21312
	ds_read_b64 v[25:26], v13
	s_waitcnt lgkmcnt(0)
	v_mul_f32_e32 v27, v26, v24
	v_mul_f32_e32 v24, v25, v24
	v_fma_f32 v25, v25, v23, -v27
	v_fmac_f32_e32 v24, v26, v23
	v_add_f32_e32 v22, v22, v25
	v_add_f32_e32 v21, v21, v24
.LBB70_673:
	s_or_b64 exec, exec, s[14:15]
	s_barrier
	;; [unrolled: 32-line block ×6, first 2 shown]
	s_and_saveexec_b64 s[14:15], s[76:77]
	s_cbranch_execz .LBB70_691
; %bb.690:
	v_mov_b32_e32 v23, 0
	ds_read_b64 v[23:24], v23 offset:23920
	s_waitcnt lgkmcnt(0)
	v_mul_f32_e32 v26, v21, v24
	v_mul_f32_e32 v25, v22, v24
	v_fma_f32 v24, v22, v23, -v26
	v_fmac_f32_e32 v25, v21, v23
	v_mov_b32_e32 v22, v24
	v_mov_b32_e32 v21, v25
	ds_write_b64 v13, v[24:25]
.LBB70_691:
	s_or_b64 exec, exec, s[14:15]
	s_waitcnt lgkmcnt(0)
	s_barrier
	s_and_saveexec_b64 s[14:15], s[50:51]
	s_cbranch_execz .LBB70_693
; %bb.692:
	v_mov_b32_e32 v23, 0
	ds_read_b64 v[23:24], v23 offset:23928
	ds_read_b64 v[25:26], v13
	s_waitcnt lgkmcnt(0)
	v_mul_f32_e32 v27, v26, v24
	v_mul_f32_e32 v24, v25, v24
	v_fma_f32 v25, v25, v23, -v27
	v_fmac_f32_e32 v24, v26, v23
	v_add_f32_e32 v22, v22, v25
	v_add_f32_e32 v21, v21, v24
.LBB70_693:
	s_or_b64 exec, exec, s[14:15]
	s_barrier
	s_and_saveexec_b64 s[14:15], s[50:51]
	s_cbranch_execz .LBB70_695
; %bb.694:
	v_mov_b32_e32 v23, 0
	ds_read_b64 v[23:24], v23 offset:24440
	s_waitcnt lgkmcnt(0)
	v_mul_f32_e32 v26, v21, v24
	v_mul_f32_e32 v25, v22, v24
	v_fma_f32 v24, v22, v23, -v26
	v_fmac_f32_e32 v25, v21, v23
	v_mov_b32_e32 v22, v24
	v_mov_b32_e32 v21, v25
	ds_write_b64 v13, v[24:25]
.LBB70_695:
	s_or_b64 exec, exec, s[14:15]
	s_waitcnt lgkmcnt(0)
	s_barrier
	s_barrier
	s_and_saveexec_b64 s[14:15], s[10:11]
; %bb.696:
	v_xor_b32_e32 v23, 0x80000000, v21
	v_xor_b32_e32 v22, 0x80000000, v22
	ds_write_b64 v11, v[22:23] offset:16704
; %bb.697:
	s_or_b64 exec, exec, s[14:15]
	s_waitcnt lgkmcnt(0)
	s_barrier
	s_barrier
	s_and_saveexec_b64 s[14:15], vcc
	s_cbranch_execz .LBB70_699
; %bb.698:
	v_mov_b32_e32 v27, 0
	ds_read_b128 v[21:24], v27 offset:20800
	ds_read_b64 v[25:26], v27 offset:21320
	s_waitcnt lgkmcnt(0)
	v_mul_f32_e32 v28, v26, v22
	v_mul_f32_e32 v29, v25, v22
	v_fma_f32 v25, v25, v21, -v28
	v_fmac_f32_e32 v29, v26, v21
	v_mul_f32_e32 v21, v29, v24
	v_mul_f32_e32 v22, v25, v24
	v_fma_f32 v21, v25, v23, -v21
	v_fmac_f32_e32 v22, v29, v23
	ds_write_b64 v27, v[21:22] offset:20808
.LBB70_699:
	s_or_b64 exec, exec, s[14:15]
	v_mov_b32_e32 v21, 0
	v_mov_b32_e32 v22, 0
	s_waitcnt lgkmcnt(0)
	s_barrier
	s_and_saveexec_b64 s[16:17], s[6:7]
	s_cbranch_execz .LBB70_703
; %bb.700:
	v_mul_u32_u24_e32 v23, 0x208, v5
	ds_read_b64 v[21:22], v3 offset:20816
	ds_read_b64 v[23:24], v23 offset:20800
	v_cmp_gt_u32_e64 s[14:15], 2, v1
	s_waitcnt lgkmcnt(0)
	v_mul_f32_e32 v25, v24, v22
	v_mul_f32_e32 v22, v23, v22
	v_fma_f32 v23, v23, v21, -v25
	v_fmac_f32_e32 v22, v24, v21
	v_add_f32_e32 v21, 0, v23
	v_add_f32_e32 v23, 0, v22
	s_and_saveexec_b64 s[20:21], s[14:15]
	s_cbranch_execz .LBB70_702
; %bb.701:
	v_lshlrev_b32_e32 v22, 3, v0
	v_mov_b32_e32 v26, 0
	ds_read_b64 v[24:25], v22 offset:21328
	ds_read_b64 v[26:27], v26 offset:20808
	s_waitcnt lgkmcnt(0)
	v_mul_f32_e32 v22, v27, v25
	v_mul_f32_e32 v25, v26, v25
	v_fma_f32 v22, v26, v24, -v22
	v_fmac_f32_e32 v25, v27, v24
	v_add_f32_e32 v21, v21, v22
	v_add_f32_e32 v23, v23, v25
.LBB70_702:
	s_or_b64 exec, exec, s[20:21]
	v_xor_b32_e32 v22, 0x80000000, v21
	v_xor_b32_e32 v21, 0x80000000, v23
.LBB70_703:
	s_or_b64 exec, exec, s[16:17]
	s_and_saveexec_b64 s[14:15], s[36:37]
	s_cbranch_execz .LBB70_705
; %bb.704:
	v_mov_b32_e32 v23, 0
	ds_read_b64 v[23:24], v23 offset:21840
	s_waitcnt lgkmcnt(0)
	v_mul_f32_e32 v26, v21, v24
	v_mul_f32_e32 v25, v22, v24
	v_fma_f32 v24, v22, v23, -v26
	v_fmac_f32_e32 v25, v21, v23
	v_mov_b32_e32 v22, v24
	v_mov_b32_e32 v21, v25
	ds_write_b64 v4, v[24:25]
.LBB70_705:
	s_or_b64 exec, exec, s[14:15]
	s_waitcnt lgkmcnt(0)
	s_barrier
	s_and_saveexec_b64 s[14:15], s[34:35]
	s_cbranch_execz .LBB70_707
; %bb.706:
	v_mov_b32_e32 v23, 0
	ds_read_b64 v[23:24], v23 offset:21848
	ds_read_b64 v[25:26], v4
	s_waitcnt lgkmcnt(0)
	v_mul_f32_e32 v27, v26, v24
	v_mul_f32_e32 v24, v25, v24
	v_fma_f32 v25, v25, v23, -v27
	v_fmac_f32_e32 v24, v26, v23
	v_add_f32_e32 v22, v22, v25
	v_add_f32_e32 v21, v21, v24
.LBB70_707:
	s_or_b64 exec, exec, s[14:15]
	s_barrier
	s_and_saveexec_b64 s[14:15], s[34:35]
	s_cbranch_execz .LBB70_709
; %bb.708:
	v_mov_b32_e32 v23, 0
	ds_read_b64 v[23:24], v23 offset:22360
	s_waitcnt lgkmcnt(0)
	v_mul_f32_e32 v26, v21, v24
	v_mul_f32_e32 v25, v22, v24
	v_fma_f32 v24, v22, v23, -v26
	v_fmac_f32_e32 v25, v21, v23
	v_mov_b32_e32 v22, v24
	v_mov_b32_e32 v21, v25
	ds_write_b64 v4, v[24:25]
.LBB70_709:
	s_or_b64 exec, exec, s[14:15]
	s_waitcnt lgkmcnt(0)
	s_barrier
	s_barrier
	s_and_saveexec_b64 s[14:15], s[6:7]
; %bb.710:
	v_xor_b32_e32 v23, 0x80000000, v21
	v_xor_b32_e32 v22, 0x80000000, v22
	ds_write_b64 v3, v[22:23] offset:20816
; %bb.711:
	s_or_b64 exec, exec, s[14:15]
	s_waitcnt lgkmcnt(0)
	s_barrier
	s_barrier
	s_and_saveexec_b64 s[14:15], vcc
	s_cbranch_execz .LBB70_713
; %bb.712:
	v_mov_b32_e32 v27, 0
	ds_read_b128 v[21:24], v27 offset:21840
	ds_read_b64 v[25:26], v27 offset:22360
	s_waitcnt lgkmcnt(0)
	v_mul_f32_e32 v28, v26, v22
	v_mul_f32_e32 v29, v25, v22
	v_fma_f32 v25, v25, v21, -v28
	v_fmac_f32_e32 v29, v26, v21
	v_mul_f32_e32 v21, v29, v24
	v_mul_f32_e32 v22, v25, v24
	v_fma_f32 v21, v25, v23, -v21
	v_fmac_f32_e32 v22, v29, v23
	ds_write_b64 v27, v[21:22] offset:21848
.LBB70_713:
	s_or_b64 exec, exec, s[14:15]
	v_mov_b32_e32 v21, 0
	v_mov_b32_e32 v22, 0
	s_waitcnt lgkmcnt(0)
	s_barrier
	s_and_saveexec_b64 s[16:17], s[18:19]
	s_cbranch_execz .LBB70_719
; %bb.714:
	v_mul_u32_u24_e32 v22, 0x208, v10
	ds_read_b64 v[23:24], v6 offset:20832
	ds_read_b64 v[25:26], v22 offset:20800
	v_cmp_gt_u32_e64 s[14:15], 12, v1
	s_waitcnt lgkmcnt(0)
	v_mul_f32_e32 v21, v26, v24
	v_mul_f32_e32 v24, v25, v24
	v_fma_f32 v21, v25, v23, -v21
	v_fmac_f32_e32 v24, v26, v23
	v_add_f32_e32 v21, 0, v21
	v_add_f32_e32 v23, 0, v24
	s_and_saveexec_b64 s[20:21], s[14:15]
	s_cbranch_execnz .LBB70_1088
; %bb.715:
	s_or_b64 exec, exec, s[20:21]
	v_cmp_gt_u32_e64 s[14:15], 8, v1
	s_and_saveexec_b64 s[20:21], s[14:15]
	s_cbranch_execnz .LBB70_1089
.LBB70_716:
	s_or_b64 exec, exec, s[20:21]
	v_cmp_gt_u32_e64 s[14:15], 4, v1
	s_and_saveexec_b64 s[20:21], s[14:15]
	s_cbranch_execz .LBB70_718
.LBB70_717:
	v_lshlrev_b32_e32 v22, 3, v0
	v_mov_b32_e32 v26, 0
	ds_read_b64 v[24:25], v22 offset:22368
	ds_read_b64 v[26:27], v26 offset:20824
	s_waitcnt lgkmcnt(0)
	v_mul_f32_e32 v22, v27, v25
	v_mul_f32_e32 v25, v26, v25
	v_fma_f32 v22, v26, v24, -v22
	v_fmac_f32_e32 v25, v27, v24
	v_add_f32_e32 v21, v21, v22
	v_add_f32_e32 v23, v23, v25
.LBB70_718:
	s_or_b64 exec, exec, s[20:21]
	v_xor_b32_e32 v22, 0x80000000, v21
	v_xor_b32_e32 v21, 0x80000000, v23
.LBB70_719:
	s_or_b64 exec, exec, s[16:17]
	s_and_saveexec_b64 s[14:15], s[40:41]
	s_cbranch_execz .LBB70_721
; %bb.720:
	v_mov_b32_e32 v23, 0
	ds_read_b64 v[23:24], v23 offset:22880
	s_waitcnt lgkmcnt(0)
	v_mul_f32_e32 v26, v21, v24
	v_mul_f32_e32 v25, v22, v24
	v_fma_f32 v24, v22, v23, -v26
	v_fmac_f32_e32 v25, v21, v23
	v_mov_b32_e32 v22, v24
	v_mov_b32_e32 v21, v25
	ds_write_b64 v8, v[24:25]
.LBB70_721:
	s_or_b64 exec, exec, s[14:15]
	s_waitcnt lgkmcnt(0)
	s_barrier
	s_and_saveexec_b64 s[14:15], s[42:43]
	s_cbranch_execz .LBB70_723
; %bb.722:
	ds_read_b64 v[23:24], v7 offset:22880
	ds_read_b64 v[25:26], v8
	s_waitcnt lgkmcnt(0)
	v_mul_f32_e32 v27, v26, v24
	v_mul_f32_e32 v24, v25, v24
	v_fma_f32 v25, v25, v23, -v27
	v_fmac_f32_e32 v24, v26, v23
	v_add_f32_e32 v22, v22, v25
	v_add_f32_e32 v21, v21, v24
.LBB70_723:
	s_or_b64 exec, exec, s[14:15]
	s_barrier
	s_and_saveexec_b64 s[14:15], s[44:45]
	s_cbranch_execz .LBB70_725
; %bb.724:
	v_mov_b32_e32 v23, 0
	ds_read_b64 v[23:24], v23 offset:23400
	s_waitcnt lgkmcnt(0)
	v_mul_f32_e32 v26, v21, v24
	v_mul_f32_e32 v25, v22, v24
	v_fma_f32 v24, v22, v23, -v26
	v_fmac_f32_e32 v25, v21, v23
	v_mov_b32_e32 v22, v24
	v_mov_b32_e32 v21, v25
	ds_write_b64 v8, v[24:25]
.LBB70_725:
	s_or_b64 exec, exec, s[14:15]
	s_waitcnt lgkmcnt(0)
	s_barrier
	s_and_saveexec_b64 s[14:15], s[46:47]
	s_cbranch_execz .LBB70_727
; %bb.726:
	ds_read_b64 v[23:24], v7 offset:23392
	ds_read_b64 v[25:26], v8
	s_waitcnt lgkmcnt(0)
	v_mul_f32_e32 v27, v26, v24
	v_mul_f32_e32 v24, v25, v24
	v_fma_f32 v25, v25, v23, -v27
	v_fmac_f32_e32 v24, v26, v23
	v_add_f32_e32 v22, v22, v25
	v_add_f32_e32 v21, v21, v24
.LBB70_727:
	s_or_b64 exec, exec, s[14:15]
	s_barrier
	s_and_saveexec_b64 s[14:15], s[48:49]
	s_cbranch_execz .LBB70_729
; %bb.728:
	v_mov_b32_e32 v23, 0
	ds_read_b64 v[23:24], v23 offset:23920
	s_waitcnt lgkmcnt(0)
	v_mul_f32_e32 v26, v21, v24
	v_mul_f32_e32 v25, v22, v24
	v_fma_f32 v24, v22, v23, -v26
	v_fmac_f32_e32 v25, v21, v23
	v_mov_b32_e32 v22, v24
	v_mov_b32_e32 v21, v25
	ds_write_b64 v8, v[24:25]
.LBB70_729:
	s_or_b64 exec, exec, s[14:15]
	s_waitcnt lgkmcnt(0)
	s_barrier
	s_and_saveexec_b64 s[14:15], s[38:39]
	s_cbranch_execz .LBB70_731
; %bb.730:
	v_mov_b32_e32 v23, 0
	ds_read_b64 v[23:24], v23 offset:23928
	ds_read_b64 v[25:26], v8
	s_waitcnt lgkmcnt(0)
	v_mul_f32_e32 v27, v26, v24
	v_mul_f32_e32 v24, v25, v24
	v_fma_f32 v25, v25, v23, -v27
	v_fmac_f32_e32 v24, v26, v23
	v_add_f32_e32 v22, v22, v25
	v_add_f32_e32 v21, v21, v24
.LBB70_731:
	s_or_b64 exec, exec, s[14:15]
	s_barrier
	s_and_saveexec_b64 s[14:15], s[38:39]
	s_cbranch_execz .LBB70_733
; %bb.732:
	v_mov_b32_e32 v23, 0
	ds_read_b64 v[23:24], v23 offset:24440
	s_waitcnt lgkmcnt(0)
	v_mul_f32_e32 v26, v21, v24
	v_mul_f32_e32 v25, v22, v24
	v_fma_f32 v24, v22, v23, -v26
	v_fmac_f32_e32 v25, v21, v23
	v_mov_b32_e32 v22, v24
	v_mov_b32_e32 v21, v25
	ds_write_b64 v8, v[24:25]
.LBB70_733:
	s_or_b64 exec, exec, s[14:15]
	s_waitcnt lgkmcnt(0)
	s_barrier
	s_barrier
	s_and_saveexec_b64 s[14:15], s[18:19]
; %bb.734:
	v_xor_b32_e32 v22, 0x80000000, v22
	v_xor_b32_e32 v23, 0x80000000, v21
	ds_write_b64 v6, v[22:23] offset:20832
; %bb.735:
	s_or_b64 exec, exec, s[14:15]
	s_waitcnt lgkmcnt(0)
	s_barrier
	s_barrier
	s_and_saveexec_b64 s[14:15], vcc
	s_cbranch_execz .LBB70_737
; %bb.736:
	v_mov_b32_e32 v27, 0
	ds_read_b128 v[21:24], v27 offset:22880
	ds_read_b64 v[25:26], v27 offset:23400
	s_waitcnt lgkmcnt(0)
	v_mul_f32_e32 v28, v26, v22
	v_mul_f32_e32 v29, v25, v22
	v_fma_f32 v25, v25, v21, -v28
	v_fmac_f32_e32 v29, v26, v21
	v_mul_f32_e32 v21, v29, v24
	v_mul_f32_e32 v22, v25, v24
	v_fma_f32 v21, v25, v23, -v21
	v_fmac_f32_e32 v22, v29, v23
	ds_write_b64 v27, v[21:22] offset:22888
.LBB70_737:
	s_or_b64 exec, exec, s[14:15]
	v_mov_b32_e32 v21, 0
	v_mov_b32_e32 v22, 0
	s_waitcnt lgkmcnt(0)
	s_barrier
	s_and_saveexec_b64 s[16:17], s[6:7]
	s_cbranch_execz .LBB70_741
; %bb.738:
	v_mul_u32_u24_e32 v23, 0x208, v5
	ds_read_b64 v[21:22], v3 offset:22896
	ds_read_b64 v[23:24], v23 offset:22880
	v_cmp_gt_u32_e64 s[14:15], 2, v1
	s_waitcnt lgkmcnt(0)
	v_mul_f32_e32 v25, v24, v22
	v_mul_f32_e32 v22, v23, v22
	v_fma_f32 v23, v23, v21, -v25
	v_fmac_f32_e32 v22, v24, v21
	v_add_f32_e32 v21, 0, v23
	v_add_f32_e32 v23, 0, v22
	s_and_saveexec_b64 s[20:21], s[14:15]
	s_cbranch_execz .LBB70_740
; %bb.739:
	v_lshlrev_b32_e32 v22, 3, v0
	v_mov_b32_e32 v26, 0
	ds_read_b64 v[24:25], v22 offset:23408
	ds_read_b64 v[26:27], v26 offset:22888
	s_waitcnt lgkmcnt(0)
	v_mul_f32_e32 v22, v27, v25
	v_mul_f32_e32 v25, v26, v25
	v_fma_f32 v22, v26, v24, -v22
	v_fmac_f32_e32 v25, v27, v24
	v_add_f32_e32 v21, v21, v22
	v_add_f32_e32 v23, v23, v25
.LBB70_740:
	s_or_b64 exec, exec, s[20:21]
	v_xor_b32_e32 v22, 0x80000000, v21
	v_xor_b32_e32 v21, 0x80000000, v23
.LBB70_741:
	s_or_b64 exec, exec, s[16:17]
	s_and_saveexec_b64 s[14:15], s[36:37]
	s_cbranch_execz .LBB70_743
; %bb.742:
	v_mov_b32_e32 v23, 0
	ds_read_b64 v[23:24], v23 offset:23920
	s_waitcnt lgkmcnt(0)
	v_mul_f32_e32 v26, v21, v24
	v_mul_f32_e32 v25, v22, v24
	v_fma_f32 v24, v22, v23, -v26
	v_fmac_f32_e32 v25, v21, v23
	v_mov_b32_e32 v22, v24
	v_mov_b32_e32 v21, v25
	ds_write_b64 v4, v[24:25]
.LBB70_743:
	s_or_b64 exec, exec, s[14:15]
	s_waitcnt lgkmcnt(0)
	s_barrier
	s_and_saveexec_b64 s[14:15], s[34:35]
	s_cbranch_execz .LBB70_745
; %bb.744:
	v_mov_b32_e32 v23, 0
	ds_read_b64 v[23:24], v23 offset:23928
	ds_read_b64 v[25:26], v4
	s_waitcnt lgkmcnt(0)
	v_mul_f32_e32 v27, v26, v24
	v_mul_f32_e32 v24, v25, v24
	v_fma_f32 v25, v25, v23, -v27
	v_fmac_f32_e32 v24, v26, v23
	v_add_f32_e32 v22, v22, v25
	v_add_f32_e32 v21, v21, v24
.LBB70_745:
	s_or_b64 exec, exec, s[14:15]
	s_barrier
	s_and_saveexec_b64 s[14:15], s[34:35]
	s_cbranch_execz .LBB70_747
; %bb.746:
	v_mov_b32_e32 v23, 0
	ds_read_b64 v[23:24], v23 offset:24440
	s_waitcnt lgkmcnt(0)
	v_mul_f32_e32 v26, v21, v24
	v_mul_f32_e32 v25, v22, v24
	v_fma_f32 v24, v22, v23, -v26
	v_fmac_f32_e32 v25, v21, v23
	v_mov_b32_e32 v22, v24
	v_mov_b32_e32 v21, v25
	ds_write_b64 v4, v[24:25]
.LBB70_747:
	s_or_b64 exec, exec, s[14:15]
	s_waitcnt lgkmcnt(0)
	s_barrier
	s_barrier
	s_and_saveexec_b64 s[14:15], s[6:7]
; %bb.748:
	v_xor_b32_e32 v23, 0x80000000, v21
	v_xor_b32_e32 v22, 0x80000000, v22
	ds_write_b64 v3, v[22:23] offset:22896
; %bb.749:
	s_or_b64 exec, exec, s[14:15]
	s_waitcnt lgkmcnt(0)
	s_barrier
	s_barrier
	s_and_saveexec_b64 s[14:15], vcc
	s_cbranch_execz .LBB70_751
; %bb.750:
	v_mov_b32_e32 v27, 0
	ds_read_b128 v[21:24], v27 offset:23920
	ds_read_b64 v[25:26], v27 offset:24440
	s_waitcnt lgkmcnt(0)
	v_mul_f32_e32 v28, v26, v22
	v_mul_f32_e32 v29, v25, v22
	v_fma_f32 v25, v25, v21, -v28
	v_fmac_f32_e32 v29, v26, v21
	v_mul_f32_e32 v21, v29, v24
	v_mul_f32_e32 v22, v25, v24
	v_fma_f32 v21, v25, v23, -v21
	v_fmac_f32_e32 v22, v29, v23
	ds_write_b64 v27, v[21:22] offset:23928
.LBB70_751:
	s_or_b64 exec, exec, s[14:15]
	v_mov_b32_e32 v21, 0
	v_mov_b32_e32 v22, 0
	s_waitcnt lgkmcnt(0)
	s_barrier
	s_and_saveexec_b64 s[16:17], s[12:13]
	s_cbranch_execz .LBB70_779
; %bb.752:
	v_mul_u32_u24_e32 v22, 0x208, v20
	ds_read_b64 v[23:24], v16 offset:16768
	ds_read_b64 v[25:26], v22 offset:16640
	s_movk_i32 s14, 0xf0
	v_cmp_gt_u32_e64 s[14:15], s14, v1
	s_waitcnt lgkmcnt(0)
	v_mul_f32_e32 v21, v26, v24
	v_mul_f32_e32 v24, v25, v24
	v_fma_f32 v21, v25, v23, -v21
	v_fmac_f32_e32 v24, v26, v23
	v_add_f32_e32 v21, 0, v21
	v_add_f32_e32 v23, 0, v24
	s_and_saveexec_b64 s[20:21], s[14:15]
	s_cbranch_execz .LBB70_754
; %bb.753:
	v_lshlrev_b32_e32 v24, 3, v20
	v_sub_u32_e32 v24, v22, v24
	v_lshl_add_u32 v24, v17, 3, v24
	ds_read_b64 v[24:25], v24 offset:17280
	ds_read_b64 v[26:27], v22 offset:16648
	s_waitcnt lgkmcnt(0)
	v_mul_f32_e32 v28, v27, v25
	v_mul_f32_e32 v25, v26, v25
	v_fma_f32 v26, v26, v24, -v28
	v_fmac_f32_e32 v25, v27, v24
	v_add_f32_e32 v21, v21, v26
	v_add_f32_e32 v23, v23, v25
.LBB70_754:
	s_or_b64 exec, exec, s[20:21]
	s_movk_i32 s14, 0xe0
	v_cmp_gt_u32_e64 s[14:15], s14, v1
	s_and_saveexec_b64 s[20:21], s[14:15]
	s_cbranch_execz .LBB70_756
; %bb.755:
	v_lshlrev_b32_e32 v24, 3, v20
	v_sub_u32_e32 v24, v22, v24
	v_lshl_add_u32 v24, v17, 3, v24
	ds_read_b64 v[24:25], v24 offset:17792
	ds_read_b64 v[26:27], v22 offset:16656
	s_waitcnt lgkmcnt(0)
	v_mul_f32_e32 v28, v27, v25
	v_mul_f32_e32 v25, v26, v25
	v_fma_f32 v26, v26, v24, -v28
	v_fmac_f32_e32 v25, v27, v24
	v_add_f32_e32 v21, v21, v26
	v_add_f32_e32 v23, v23, v25
.LBB70_756:
	s_or_b64 exec, exec, s[20:21]
	s_movk_i32 s14, 0xd0
	v_cmp_gt_u32_e64 s[14:15], s14, v1
	;; [unrolled: 19-line block ×6, first 2 shown]
	s_and_saveexec_b64 s[20:21], s[14:15]
	s_cbranch_execz .LBB70_766
; %bb.765:
	v_lshlrev_b32_e32 v20, 3, v17
	v_lshl_add_u32 v20, v19, 3, v20
	ds_read_b64 v[24:25], v20 offset:20352
	ds_read_b64 v[26:27], v22 offset:16696
	s_waitcnt lgkmcnt(0)
	v_mul_f32_e32 v20, v27, v25
	v_mul_f32_e32 v25, v26, v25
	v_fma_f32 v20, v26, v24, -v20
	v_fmac_f32_e32 v25, v27, v24
	v_add_f32_e32 v21, v21, v20
	v_add_f32_e32 v23, v23, v25
.LBB70_766:
	s_or_b64 exec, exec, s[20:21]
	s_movk_i32 s14, 0x80
	v_cmp_gt_u32_e64 s[14:15], s14, v1
	s_and_saveexec_b64 s[20:21], s[14:15]
	s_cbranch_execz .LBB70_768
; %bb.767:
	ds_read_b64 v[24:25], v16 offset:20864
	ds_read_b64 v[26:27], v22 offset:16704
	s_waitcnt lgkmcnt(0)
	v_mul_f32_e32 v20, v27, v25
	v_mul_f32_e32 v25, v26, v25
	v_fma_f32 v20, v26, v24, -v20
	v_fmac_f32_e32 v25, v27, v24
	v_add_f32_e32 v21, v21, v20
	v_add_f32_e32 v23, v23, v25
.LBB70_768:
	s_or_b64 exec, exec, s[20:21]
	s_movk_i32 s14, 0x70
	v_cmp_gt_u32_e64 s[14:15], s14, v1
	s_and_saveexec_b64 s[20:21], s[14:15]
	s_cbranch_execz .LBB70_770
; %bb.769:
	v_lshlrev_b32_e32 v20, 3, v17
	v_lshl_add_u32 v20, v19, 3, v20
	ds_read_b64 v[24:25], v20 offset:21376
	ds_read_b64 v[26:27], v22 offset:16712
	s_waitcnt lgkmcnt(0)
	v_mul_f32_e32 v20, v27, v25
	v_mul_f32_e32 v25, v26, v25
	v_fma_f32 v20, v26, v24, -v20
	v_fmac_f32_e32 v25, v27, v24
	v_add_f32_e32 v21, v21, v20
	v_add_f32_e32 v23, v23, v25
.LBB70_770:
	s_or_b64 exec, exec, s[20:21]
	s_movk_i32 s14, 0x60
	v_cmp_gt_u32_e64 s[14:15], s14, v1
	s_and_saveexec_b64 s[20:21], s[14:15]
	s_cbranch_execz .LBB70_772
; %bb.771:
	v_lshlrev_b32_e32 v20, 3, v17
	v_lshl_add_u32 v20, v19, 3, v20
	ds_read_b64 v[24:25], v20 offset:21888
	ds_read_b64 v[26:27], v22 offset:16720
	s_waitcnt lgkmcnt(0)
	v_mul_f32_e32 v20, v27, v25
	v_mul_f32_e32 v25, v26, v25
	v_fma_f32 v20, v26, v24, -v20
	v_fmac_f32_e32 v25, v27, v24
	v_add_f32_e32 v21, v21, v20
	v_add_f32_e32 v23, v23, v25
.LBB70_772:
	s_or_b64 exec, exec, s[20:21]
	s_movk_i32 s14, 0x50
	v_cmp_gt_u32_e64 s[14:15], s14, v1
	s_and_saveexec_b64 s[20:21], s[14:15]
	s_cbranch_execnz .LBB70_1090
; %bb.773:
	s_or_b64 exec, exec, s[20:21]
	v_cmp_gt_u32_e64 s[14:15], 64, v1
	s_and_saveexec_b64 s[20:21], s[14:15]
	s_cbranch_execnz .LBB70_1091
.LBB70_774:
	s_or_b64 exec, exec, s[20:21]
	v_cmp_gt_u32_e64 s[14:15], 48, v1
	s_and_saveexec_b64 s[20:21], s[14:15]
	s_cbranch_execnz .LBB70_1092
.LBB70_775:
	s_or_b64 exec, exec, s[20:21]
	v_cmp_gt_u32_e64 s[14:15], 32, v1
	s_and_saveexec_b64 s[20:21], s[14:15]
	s_cbranch_execnz .LBB70_1093
.LBB70_776:
	s_or_b64 exec, exec, s[20:21]
	v_cmp_gt_u32_e64 s[14:15], 16, v1
	s_and_saveexec_b64 s[20:21], s[14:15]
	s_cbranch_execz .LBB70_778
.LBB70_777:
	v_lshlrev_b32_e32 v19, 3, v0
	v_mov_b32_e32 v22, 0
	ds_read_b64 v[19:20], v19 offset:24448
	ds_read_b64 v[24:25], v22 offset:16760
	s_waitcnt lgkmcnt(0)
	v_mul_f32_e32 v22, v25, v20
	v_mul_f32_e32 v20, v24, v20
	v_fma_f32 v22, v24, v19, -v22
	v_fmac_f32_e32 v20, v25, v19
	v_add_f32_e32 v21, v21, v22
	v_add_f32_e32 v23, v23, v20
.LBB70_778:
	s_or_b64 exec, exec, s[20:21]
	v_xor_b32_e32 v22, 0x80000000, v21
	v_xor_b32_e32 v21, 0x80000000, v23
.LBB70_779:
	s_or_b64 exec, exec, s[16:17]
	s_mov_b64 s[14:15], exec
	v_readlane_b32 s16, v34, 1
	v_readlane_b32 s17, v34, 2
	s_and_b64 s[16:17], s[14:15], s[16:17]
	s_mov_b64 exec, s[16:17]
	s_cbranch_execz .LBB70_781
; %bb.780:
	v_mov_b32_e32 v19, 0
	ds_read_b64 v[19:20], v19 offset:24960
	s_waitcnt lgkmcnt(0)
	v_mul_f32_e32 v23, v22, v20
	v_mul_f32_e32 v24, v21, v20
	v_fmac_f32_e32 v23, v21, v19
	v_fma_f32 v22, v22, v19, -v24
	v_mov_b32_e32 v21, v23
	ds_write_b64 v18, v[22:23]
.LBB70_781:
	s_or_b64 exec, exec, s[14:15]
	s_waitcnt lgkmcnt(0)
	s_barrier
	s_mov_b64 s[14:15], exec
	v_readlane_b32 s16, v34, 3
	v_readlane_b32 s17, v34, 4
	s_and_b64 s[16:17], s[14:15], s[16:17]
	s_mov_b64 exec, s[16:17]
	s_cbranch_execz .LBB70_783
; %bb.782:
	v_lshlrev_b32_e32 v19, 3, v17
	ds_read_b64 v[19:20], v19 offset:24960
	ds_read_b64 v[23:24], v18
	s_waitcnt lgkmcnt(0)
	v_mul_f32_e32 v25, v24, v20
	v_mul_f32_e32 v20, v23, v20
	v_fma_f32 v23, v23, v19, -v25
	v_fmac_f32_e32 v20, v24, v19
	v_add_f32_e32 v22, v22, v23
	v_add_f32_e32 v21, v21, v20
.LBB70_783:
	s_or_b64 exec, exec, s[14:15]
	s_barrier
	s_mov_b64 s[14:15], exec
	v_readlane_b32 s16, v34, 5
	v_readlane_b32 s17, v34, 6
	s_and_b64 s[16:17], s[14:15], s[16:17]
	s_mov_b64 exec, s[16:17]
	s_cbranch_execz .LBB70_785
; %bb.784:
	v_mov_b32_e32 v19, 0
	ds_read_b64 v[19:20], v19 offset:25480
	s_waitcnt lgkmcnt(0)
	v_mul_f32_e32 v23, v22, v20
	v_mul_f32_e32 v24, v21, v20
	v_fmac_f32_e32 v23, v21, v19
	v_fma_f32 v22, v22, v19, -v24
	v_mov_b32_e32 v21, v23
	ds_write_b64 v18, v[22:23]
.LBB70_785:
	s_or_b64 exec, exec, s[14:15]
	s_waitcnt lgkmcnt(0)
	s_barrier
	s_mov_b64 s[14:15], exec
	v_readlane_b32 s16, v34, 7
	v_readlane_b32 s17, v34, 8
	s_and_b64 s[16:17], s[14:15], s[16:17]
	s_mov_b64 exec, s[16:17]
	s_cbranch_execz .LBB70_787
; %bb.786:
	v_lshlrev_b32_e32 v19, 3, v17
	ds_read_b64 v[19:20], v19 offset:25472
	ds_read_b64 v[23:24], v18
	s_waitcnt lgkmcnt(0)
	v_mul_f32_e32 v25, v24, v20
	v_mul_f32_e32 v20, v23, v20
	v_fma_f32 v23, v23, v19, -v25
	v_fmac_f32_e32 v20, v24, v19
	v_add_f32_e32 v22, v22, v23
	v_add_f32_e32 v21, v21, v20
.LBB70_787:
	s_or_b64 exec, exec, s[14:15]
	s_barrier
	;; [unrolled: 40-line block ×11, first 2 shown]
	s_and_saveexec_b64 s[14:15], s[26:27]
	s_cbranch_execz .LBB70_825
; %bb.824:
	v_mov_b32_e32 v19, 0
	ds_read_b64 v[19:20], v19 offset:30680
	s_waitcnt lgkmcnt(0)
	v_mul_f32_e32 v23, v22, v20
	v_mul_f32_e32 v24, v21, v20
	v_fmac_f32_e32 v23, v21, v19
	v_fma_f32 v22, v22, v19, -v24
	v_mov_b32_e32 v21, v23
	ds_write_b64 v18, v[22:23]
.LBB70_825:
	s_or_b64 exec, exec, s[14:15]
	s_waitcnt lgkmcnt(0)
	s_barrier
	s_and_saveexec_b64 s[14:15], s[78:79]
	s_cbranch_execz .LBB70_827
; %bb.826:
	v_lshlrev_b32_e32 v19, 3, v17
	ds_read_b64 v[19:20], v19 offset:30592
	ds_read_b64 v[23:24], v18
	s_waitcnt lgkmcnt(0)
	v_mul_f32_e32 v25, v24, v20
	v_mul_f32_e32 v20, v23, v20
	v_fma_f32 v23, v23, v19, -v25
	v_fmac_f32_e32 v20, v24, v19
	v_add_f32_e32 v22, v22, v23
	v_add_f32_e32 v21, v21, v20
.LBB70_827:
	s_or_b64 exec, exec, s[14:15]
	s_barrier
	s_and_saveexec_b64 s[14:15], s[80:81]
	s_cbranch_execz .LBB70_829
; %bb.828:
	v_mov_b32_e32 v19, 0
	ds_read_b64 v[19:20], v19 offset:31200
	s_waitcnt lgkmcnt(0)
	v_mul_f32_e32 v23, v22, v20
	v_mul_f32_e32 v24, v21, v20
	v_fmac_f32_e32 v23, v21, v19
	v_fma_f32 v22, v22, v19, -v24
	v_mov_b32_e32 v21, v23
	ds_write_b64 v18, v[22:23]
.LBB70_829:
	s_or_b64 exec, exec, s[14:15]
	s_waitcnt lgkmcnt(0)
	s_barrier
	s_and_saveexec_b64 s[14:15], s[82:83]
	s_cbranch_execz .LBB70_831
; %bb.830:
	v_lshlrev_b32_e32 v19, 3, v17
	ds_read_b64 v[19:20], v19 offset:31104
	ds_read_b64 v[23:24], v18
	s_waitcnt lgkmcnt(0)
	v_mul_f32_e32 v25, v24, v20
	v_mul_f32_e32 v20, v23, v20
	v_fma_f32 v23, v23, v19, -v25
	v_fmac_f32_e32 v20, v24, v19
	v_add_f32_e32 v22, v22, v23
	v_add_f32_e32 v21, v21, v20
.LBB70_831:
	s_or_b64 exec, exec, s[14:15]
	s_barrier
	;; [unrolled: 32-line block ×3, first 2 shown]
	s_and_saveexec_b64 s[14:15], s[88:89]
	s_cbranch_execz .LBB70_837
; %bb.836:
	v_mov_b32_e32 v17, 0
	ds_read_b64 v[19:20], v17 offset:32240
	s_waitcnt lgkmcnt(0)
	v_mul_f32_e32 v23, v22, v20
	v_mul_f32_e32 v17, v21, v20
	v_fmac_f32_e32 v23, v21, v19
	v_fma_f32 v22, v22, v19, -v17
	v_mov_b32_e32 v21, v23
	ds_write_b64 v18, v[22:23]
.LBB70_837:
	s_or_b64 exec, exec, s[14:15]
	s_waitcnt lgkmcnt(0)
	s_barrier
	s_and_saveexec_b64 s[14:15], s[94:95]
	s_cbranch_execz .LBB70_839
; %bb.838:
	v_mov_b32_e32 v17, 0
	ds_read_b64 v[19:20], v17 offset:32248
	ds_read_b64 v[23:24], v18
	s_waitcnt lgkmcnt(0)
	v_mul_f32_e32 v17, v24, v20
	v_mul_f32_e32 v20, v23, v20
	v_fma_f32 v17, v23, v19, -v17
	v_fmac_f32_e32 v20, v24, v19
	v_add_f32_e32 v22, v22, v17
	v_add_f32_e32 v21, v21, v20
.LBB70_839:
	s_or_b64 exec, exec, s[14:15]
	s_barrier
	s_and_saveexec_b64 s[14:15], s[94:95]
	s_cbranch_execz .LBB70_841
; %bb.840:
	v_mov_b32_e32 v17, 0
	ds_read_b64 v[19:20], v17 offset:32760
	s_waitcnt lgkmcnt(0)
	v_mul_f32_e32 v23, v22, v20
	v_mul_f32_e32 v17, v21, v20
	v_fmac_f32_e32 v23, v21, v19
	v_fma_f32 v22, v22, v19, -v17
	v_mov_b32_e32 v21, v23
	ds_write_b64 v18, v[22:23]
.LBB70_841:
	s_or_b64 exec, exec, s[14:15]
	s_waitcnt lgkmcnt(0)
	s_barrier
	s_barrier
	s_and_saveexec_b64 s[14:15], s[12:13]
; %bb.842:
	v_xor_b32_e32 v17, 0x80000000, v22
	v_xor_b32_e32 v18, 0x80000000, v21
	ds_write_b64 v16, v[17:18] offset:16768
; %bb.843:
	s_or_b64 exec, exec, s[14:15]
	s_waitcnt lgkmcnt(0)
	s_barrier
	s_barrier
	s_and_saveexec_b64 s[12:13], vcc
	s_cbranch_execz .LBB70_845
; %bb.844:
	v_mov_b32_e32 v22, 0
	ds_read_b128 v[16:19], v22 offset:24960
	ds_read_b64 v[20:21], v22 offset:25480
	s_waitcnt lgkmcnt(0)
	v_mul_f32_e32 v23, v21, v17
	v_mul_f32_e32 v24, v20, v17
	v_fma_f32 v20, v20, v16, -v23
	v_fmac_f32_e32 v24, v21, v16
	v_mul_f32_e32 v16, v24, v19
	v_mul_f32_e32 v17, v20, v19
	v_fma_f32 v16, v20, v18, -v16
	v_fmac_f32_e32 v17, v24, v18
	ds_write_b64 v22, v[16:17] offset:24968
.LBB70_845:
	s_or_b64 exec, exec, s[12:13]
	v_mov_b32_e32 v16, 0
	v_mov_b32_e32 v17, 0
	s_waitcnt lgkmcnt(0)
	s_barrier
	s_and_saveexec_b64 s[14:15], s[6:7]
	s_cbranch_execz .LBB70_849
; %bb.846:
	v_mul_u32_u24_e32 v18, 0x208, v5
	ds_read_b64 v[16:17], v3 offset:24976
	ds_read_b64 v[18:19], v18 offset:24960
	v_cmp_gt_u32_e64 s[12:13], 2, v1
	s_waitcnt lgkmcnt(0)
	v_mul_f32_e32 v20, v19, v17
	v_mul_f32_e32 v17, v18, v17
	v_fma_f32 v18, v18, v16, -v20
	v_fmac_f32_e32 v17, v19, v16
	v_add_f32_e32 v16, 0, v18
	v_add_f32_e32 v18, 0, v17
	s_and_saveexec_b64 s[16:17], s[12:13]
	s_cbranch_execz .LBB70_848
; %bb.847:
	v_lshlrev_b32_e32 v17, 3, v0
	v_mov_b32_e32 v21, 0
	ds_read_b64 v[19:20], v17 offset:25488
	ds_read_b64 v[21:22], v21 offset:24968
	s_waitcnt lgkmcnt(0)
	v_mul_f32_e32 v17, v22, v20
	v_mul_f32_e32 v20, v21, v20
	v_fma_f32 v17, v21, v19, -v17
	v_fmac_f32_e32 v20, v22, v19
	v_add_f32_e32 v16, v16, v17
	v_add_f32_e32 v18, v18, v20
.LBB70_848:
	s_or_b64 exec, exec, s[16:17]
	v_xor_b32_e32 v17, 0x80000000, v16
	v_xor_b32_e32 v16, 0x80000000, v18
.LBB70_849:
	s_or_b64 exec, exec, s[14:15]
	s_and_saveexec_b64 s[12:13], s[36:37]
	s_cbranch_execz .LBB70_851
; %bb.850:
	v_mov_b32_e32 v18, 0
	ds_read_b64 v[18:19], v18 offset:26000
	s_waitcnt lgkmcnt(0)
	v_mul_f32_e32 v21, v16, v19
	v_mul_f32_e32 v20, v17, v19
	v_fma_f32 v19, v17, v18, -v21
	v_fmac_f32_e32 v20, v16, v18
	v_mov_b32_e32 v17, v19
	v_mov_b32_e32 v16, v20
	ds_write_b64 v4, v[19:20]
.LBB70_851:
	s_or_b64 exec, exec, s[12:13]
	s_waitcnt lgkmcnt(0)
	s_barrier
	s_and_saveexec_b64 s[12:13], s[34:35]
	s_cbranch_execz .LBB70_853
; %bb.852:
	v_mov_b32_e32 v18, 0
	ds_read_b64 v[18:19], v18 offset:26008
	ds_read_b64 v[20:21], v4
	s_waitcnt lgkmcnt(0)
	v_mul_f32_e32 v22, v21, v19
	v_mul_f32_e32 v19, v20, v19
	v_fma_f32 v20, v20, v18, -v22
	v_fmac_f32_e32 v19, v21, v18
	v_add_f32_e32 v17, v17, v20
	v_add_f32_e32 v16, v16, v19
.LBB70_853:
	s_or_b64 exec, exec, s[12:13]
	s_barrier
	s_and_saveexec_b64 s[12:13], s[34:35]
	s_cbranch_execz .LBB70_855
; %bb.854:
	v_mov_b32_e32 v18, 0
	ds_read_b64 v[18:19], v18 offset:26520
	s_waitcnt lgkmcnt(0)
	v_mul_f32_e32 v21, v16, v19
	v_mul_f32_e32 v20, v17, v19
	v_fma_f32 v19, v17, v18, -v21
	v_fmac_f32_e32 v20, v16, v18
	v_mov_b32_e32 v17, v19
	v_mov_b32_e32 v16, v20
	ds_write_b64 v4, v[19:20]
.LBB70_855:
	s_or_b64 exec, exec, s[12:13]
	s_waitcnt lgkmcnt(0)
	s_barrier
	s_barrier
	s_and_saveexec_b64 s[12:13], s[6:7]
; %bb.856:
	v_xor_b32_e32 v18, 0x80000000, v16
	v_xor_b32_e32 v17, 0x80000000, v17
	ds_write_b64 v3, v[17:18] offset:24976
; %bb.857:
	s_or_b64 exec, exec, s[12:13]
	s_waitcnt lgkmcnt(0)
	s_barrier
	s_barrier
	s_and_saveexec_b64 s[12:13], vcc
	s_cbranch_execz .LBB70_859
; %bb.858:
	v_mov_b32_e32 v22, 0
	ds_read_b128 v[16:19], v22 offset:26000
	ds_read_b64 v[20:21], v22 offset:26520
	s_waitcnt lgkmcnt(0)
	v_mul_f32_e32 v23, v21, v17
	v_mul_f32_e32 v24, v20, v17
	v_fma_f32 v20, v20, v16, -v23
	v_fmac_f32_e32 v24, v21, v16
	v_mul_f32_e32 v16, v24, v19
	v_mul_f32_e32 v17, v20, v19
	v_fma_f32 v16, v20, v18, -v16
	v_fmac_f32_e32 v17, v24, v18
	ds_write_b64 v22, v[16:17] offset:26008
.LBB70_859:
	s_or_b64 exec, exec, s[12:13]
	v_mov_b32_e32 v16, 0
	v_mov_b32_e32 v17, 0
	s_waitcnt lgkmcnt(0)
	s_barrier
	s_and_saveexec_b64 s[14:15], s[18:19]
	s_cbranch_execz .LBB70_865
; %bb.860:
	v_mul_u32_u24_e32 v17, 0x208, v10
	ds_read_b64 v[18:19], v6 offset:24992
	ds_read_b64 v[20:21], v17 offset:24960
	v_cmp_gt_u32_e64 s[12:13], 12, v1
	s_waitcnt lgkmcnt(0)
	v_mul_f32_e32 v16, v21, v19
	v_mul_f32_e32 v19, v20, v19
	v_fma_f32 v16, v20, v18, -v16
	v_fmac_f32_e32 v19, v21, v18
	v_add_f32_e32 v16, 0, v16
	v_add_f32_e32 v18, 0, v19
	s_and_saveexec_b64 s[16:17], s[12:13]
	s_cbranch_execnz .LBB70_1094
; %bb.861:
	s_or_b64 exec, exec, s[16:17]
	v_cmp_gt_u32_e64 s[12:13], 8, v1
	s_and_saveexec_b64 s[16:17], s[12:13]
	s_cbranch_execnz .LBB70_1095
.LBB70_862:
	s_or_b64 exec, exec, s[16:17]
	v_cmp_gt_u32_e64 s[12:13], 4, v1
	s_and_saveexec_b64 s[16:17], s[12:13]
	s_cbranch_execz .LBB70_864
.LBB70_863:
	v_lshlrev_b32_e32 v17, 3, v0
	v_mov_b32_e32 v21, 0
	ds_read_b64 v[19:20], v17 offset:26528
	ds_read_b64 v[21:22], v21 offset:24984
	s_waitcnt lgkmcnt(0)
	v_mul_f32_e32 v17, v22, v20
	v_mul_f32_e32 v20, v21, v20
	v_fma_f32 v17, v21, v19, -v17
	v_fmac_f32_e32 v20, v22, v19
	v_add_f32_e32 v16, v16, v17
	v_add_f32_e32 v18, v18, v20
.LBB70_864:
	s_or_b64 exec, exec, s[16:17]
	v_xor_b32_e32 v17, 0x80000000, v16
	v_xor_b32_e32 v16, 0x80000000, v18
.LBB70_865:
	s_or_b64 exec, exec, s[14:15]
	s_and_saveexec_b64 s[12:13], s[40:41]
	s_cbranch_execz .LBB70_867
; %bb.866:
	v_mov_b32_e32 v18, 0
	ds_read_b64 v[18:19], v18 offset:27040
	s_waitcnt lgkmcnt(0)
	v_mul_f32_e32 v21, v16, v19
	v_mul_f32_e32 v20, v17, v19
	v_fma_f32 v19, v17, v18, -v21
	v_fmac_f32_e32 v20, v16, v18
	v_mov_b32_e32 v17, v19
	v_mov_b32_e32 v16, v20
	ds_write_b64 v8, v[19:20]
.LBB70_867:
	s_or_b64 exec, exec, s[12:13]
	s_waitcnt lgkmcnt(0)
	s_barrier
	s_and_saveexec_b64 s[12:13], s[42:43]
	s_cbranch_execz .LBB70_869
; %bb.868:
	ds_read_b64 v[18:19], v7 offset:27040
	ds_read_b64 v[20:21], v8
	s_waitcnt lgkmcnt(0)
	v_mul_f32_e32 v22, v21, v19
	v_mul_f32_e32 v19, v20, v19
	v_fma_f32 v20, v20, v18, -v22
	v_fmac_f32_e32 v19, v21, v18
	v_add_f32_e32 v17, v17, v20
	v_add_f32_e32 v16, v16, v19
.LBB70_869:
	s_or_b64 exec, exec, s[12:13]
	s_barrier
	s_and_saveexec_b64 s[12:13], s[44:45]
	s_cbranch_execz .LBB70_871
; %bb.870:
	v_mov_b32_e32 v18, 0
	ds_read_b64 v[18:19], v18 offset:27560
	s_waitcnt lgkmcnt(0)
	v_mul_f32_e32 v21, v16, v19
	v_mul_f32_e32 v20, v17, v19
	v_fma_f32 v19, v17, v18, -v21
	v_fmac_f32_e32 v20, v16, v18
	v_mov_b32_e32 v17, v19
	v_mov_b32_e32 v16, v20
	ds_write_b64 v8, v[19:20]
.LBB70_871:
	s_or_b64 exec, exec, s[12:13]
	s_waitcnt lgkmcnt(0)
	s_barrier
	s_and_saveexec_b64 s[12:13], s[46:47]
	s_cbranch_execz .LBB70_873
; %bb.872:
	ds_read_b64 v[18:19], v7 offset:27552
	ds_read_b64 v[20:21], v8
	s_waitcnt lgkmcnt(0)
	v_mul_f32_e32 v22, v21, v19
	v_mul_f32_e32 v19, v20, v19
	v_fma_f32 v20, v20, v18, -v22
	v_fmac_f32_e32 v19, v21, v18
	v_add_f32_e32 v17, v17, v20
	v_add_f32_e32 v16, v16, v19
.LBB70_873:
	s_or_b64 exec, exec, s[12:13]
	s_barrier
	s_and_saveexec_b64 s[12:13], s[48:49]
	s_cbranch_execz .LBB70_875
; %bb.874:
	v_mov_b32_e32 v18, 0
	ds_read_b64 v[18:19], v18 offset:28080
	s_waitcnt lgkmcnt(0)
	v_mul_f32_e32 v21, v16, v19
	v_mul_f32_e32 v20, v17, v19
	v_fma_f32 v19, v17, v18, -v21
	v_fmac_f32_e32 v20, v16, v18
	v_mov_b32_e32 v17, v19
	v_mov_b32_e32 v16, v20
	ds_write_b64 v8, v[19:20]
.LBB70_875:
	s_or_b64 exec, exec, s[12:13]
	s_waitcnt lgkmcnt(0)
	s_barrier
	s_and_saveexec_b64 s[12:13], s[38:39]
	s_cbranch_execz .LBB70_877
; %bb.876:
	v_mov_b32_e32 v18, 0
	ds_read_b64 v[18:19], v18 offset:28088
	ds_read_b64 v[20:21], v8
	s_waitcnt lgkmcnt(0)
	v_mul_f32_e32 v22, v21, v19
	v_mul_f32_e32 v19, v20, v19
	v_fma_f32 v20, v20, v18, -v22
	v_fmac_f32_e32 v19, v21, v18
	v_add_f32_e32 v17, v17, v20
	v_add_f32_e32 v16, v16, v19
.LBB70_877:
	s_or_b64 exec, exec, s[12:13]
	s_barrier
	s_and_saveexec_b64 s[12:13], s[38:39]
	s_cbranch_execz .LBB70_879
; %bb.878:
	v_mov_b32_e32 v18, 0
	ds_read_b64 v[18:19], v18 offset:28600
	s_waitcnt lgkmcnt(0)
	v_mul_f32_e32 v21, v16, v19
	v_mul_f32_e32 v20, v17, v19
	v_fma_f32 v19, v17, v18, -v21
	v_fmac_f32_e32 v20, v16, v18
	v_mov_b32_e32 v17, v19
	v_mov_b32_e32 v16, v20
	ds_write_b64 v8, v[19:20]
.LBB70_879:
	s_or_b64 exec, exec, s[12:13]
	s_waitcnt lgkmcnt(0)
	s_barrier
	s_barrier
	s_and_saveexec_b64 s[12:13], s[18:19]
; %bb.880:
	v_xor_b32_e32 v17, 0x80000000, v17
	v_xor_b32_e32 v18, 0x80000000, v16
	ds_write_b64 v6, v[17:18] offset:24992
; %bb.881:
	s_or_b64 exec, exec, s[12:13]
	s_waitcnt lgkmcnt(0)
	s_barrier
	s_barrier
	s_and_saveexec_b64 s[12:13], vcc
	s_cbranch_execz .LBB70_883
; %bb.882:
	v_mov_b32_e32 v22, 0
	ds_read_b128 v[16:19], v22 offset:27040
	ds_read_b64 v[20:21], v22 offset:27560
	s_waitcnt lgkmcnt(0)
	v_mul_f32_e32 v23, v21, v17
	v_mul_f32_e32 v24, v20, v17
	v_fma_f32 v20, v20, v16, -v23
	v_fmac_f32_e32 v24, v21, v16
	v_mul_f32_e32 v16, v24, v19
	v_mul_f32_e32 v17, v20, v19
	v_fma_f32 v16, v20, v18, -v16
	v_fmac_f32_e32 v17, v24, v18
	ds_write_b64 v22, v[16:17] offset:27048
.LBB70_883:
	s_or_b64 exec, exec, s[12:13]
	v_mov_b32_e32 v16, 0
	v_mov_b32_e32 v17, 0
	s_waitcnt lgkmcnt(0)
	s_barrier
	s_and_saveexec_b64 s[14:15], s[6:7]
	s_cbranch_execz .LBB70_887
; %bb.884:
	v_mul_u32_u24_e32 v18, 0x208, v5
	ds_read_b64 v[16:17], v3 offset:27056
	ds_read_b64 v[18:19], v18 offset:27040
	v_cmp_gt_u32_e64 s[12:13], 2, v1
	s_waitcnt lgkmcnt(0)
	v_mul_f32_e32 v20, v19, v17
	v_mul_f32_e32 v17, v18, v17
	v_fma_f32 v18, v18, v16, -v20
	v_fmac_f32_e32 v17, v19, v16
	v_add_f32_e32 v16, 0, v18
	v_add_f32_e32 v18, 0, v17
	s_and_saveexec_b64 s[16:17], s[12:13]
	s_cbranch_execz .LBB70_886
; %bb.885:
	v_lshlrev_b32_e32 v17, 3, v0
	v_mov_b32_e32 v21, 0
	ds_read_b64 v[19:20], v17 offset:27568
	ds_read_b64 v[21:22], v21 offset:27048
	s_waitcnt lgkmcnt(0)
	v_mul_f32_e32 v17, v22, v20
	v_mul_f32_e32 v20, v21, v20
	v_fma_f32 v17, v21, v19, -v17
	v_fmac_f32_e32 v20, v22, v19
	v_add_f32_e32 v16, v16, v17
	v_add_f32_e32 v18, v18, v20
.LBB70_886:
	s_or_b64 exec, exec, s[16:17]
	v_xor_b32_e32 v17, 0x80000000, v16
	v_xor_b32_e32 v16, 0x80000000, v18
.LBB70_887:
	s_or_b64 exec, exec, s[14:15]
	s_and_saveexec_b64 s[12:13], s[36:37]
	s_cbranch_execz .LBB70_889
; %bb.888:
	v_mov_b32_e32 v18, 0
	ds_read_b64 v[18:19], v18 offset:28080
	s_waitcnt lgkmcnt(0)
	v_mul_f32_e32 v21, v16, v19
	v_mul_f32_e32 v20, v17, v19
	v_fma_f32 v19, v17, v18, -v21
	v_fmac_f32_e32 v20, v16, v18
	v_mov_b32_e32 v17, v19
	v_mov_b32_e32 v16, v20
	ds_write_b64 v4, v[19:20]
.LBB70_889:
	s_or_b64 exec, exec, s[12:13]
	s_waitcnt lgkmcnt(0)
	s_barrier
	s_and_saveexec_b64 s[12:13], s[34:35]
	s_cbranch_execz .LBB70_891
; %bb.890:
	v_mov_b32_e32 v18, 0
	ds_read_b64 v[18:19], v18 offset:28088
	ds_read_b64 v[20:21], v4
	s_waitcnt lgkmcnt(0)
	v_mul_f32_e32 v22, v21, v19
	v_mul_f32_e32 v19, v20, v19
	v_fma_f32 v20, v20, v18, -v22
	v_fmac_f32_e32 v19, v21, v18
	v_add_f32_e32 v17, v17, v20
	v_add_f32_e32 v16, v16, v19
.LBB70_891:
	s_or_b64 exec, exec, s[12:13]
	s_barrier
	s_and_saveexec_b64 s[12:13], s[34:35]
	s_cbranch_execz .LBB70_893
; %bb.892:
	v_mov_b32_e32 v18, 0
	ds_read_b64 v[18:19], v18 offset:28600
	s_waitcnt lgkmcnt(0)
	v_mul_f32_e32 v21, v16, v19
	v_mul_f32_e32 v20, v17, v19
	v_fma_f32 v19, v17, v18, -v21
	v_fmac_f32_e32 v20, v16, v18
	v_mov_b32_e32 v17, v19
	v_mov_b32_e32 v16, v20
	ds_write_b64 v4, v[19:20]
.LBB70_893:
	s_or_b64 exec, exec, s[12:13]
	s_waitcnt lgkmcnt(0)
	s_barrier
	s_barrier
	s_and_saveexec_b64 s[12:13], s[6:7]
; %bb.894:
	v_xor_b32_e32 v18, 0x80000000, v16
	v_xor_b32_e32 v17, 0x80000000, v17
	ds_write_b64 v3, v[17:18] offset:27056
; %bb.895:
	s_or_b64 exec, exec, s[12:13]
	s_waitcnt lgkmcnt(0)
	s_barrier
	s_barrier
	s_and_saveexec_b64 s[12:13], vcc
	s_cbranch_execz .LBB70_897
; %bb.896:
	v_mov_b32_e32 v22, 0
	ds_read_b128 v[16:19], v22 offset:28080
	ds_read_b64 v[20:21], v22 offset:28600
	s_waitcnt lgkmcnt(0)
	v_mul_f32_e32 v23, v21, v17
	v_mul_f32_e32 v24, v20, v17
	v_fma_f32 v20, v20, v16, -v23
	v_fmac_f32_e32 v24, v21, v16
	v_mul_f32_e32 v16, v24, v19
	v_mul_f32_e32 v17, v20, v19
	v_fma_f32 v16, v20, v18, -v16
	v_fmac_f32_e32 v17, v24, v18
	ds_write_b64 v22, v[16:17] offset:28088
.LBB70_897:
	s_or_b64 exec, exec, s[12:13]
	v_mov_b32_e32 v16, 0
	v_mov_b32_e32 v17, 0
	s_waitcnt lgkmcnt(0)
	s_barrier
	s_and_saveexec_b64 s[14:15], s[10:11]
	s_cbranch_execz .LBB70_907
; %bb.898:
	v_mul_u32_u24_e32 v17, 0x208, v15
	ds_read_b64 v[18:19], v11 offset:25024
	ds_read_b64 v[20:21], v17 offset:24960
	v_cmp_gt_u32_e64 s[12:13], 56, v1
	s_waitcnt lgkmcnt(0)
	v_mul_f32_e32 v16, v21, v19
	v_mul_f32_e32 v19, v20, v19
	v_fma_f32 v16, v20, v18, -v16
	v_fmac_f32_e32 v19, v21, v18
	v_add_f32_e32 v16, 0, v16
	v_add_f32_e32 v18, 0, v19
	s_and_saveexec_b64 s[16:17], s[12:13]
	s_cbranch_execnz .LBB70_1096
; %bb.899:
	s_or_b64 exec, exec, s[16:17]
	v_cmp_gt_u32_e64 s[12:13], 48, v1
	s_and_saveexec_b64 s[16:17], s[12:13]
	s_cbranch_execnz .LBB70_1097
.LBB70_900:
	s_or_b64 exec, exec, s[16:17]
	v_cmp_gt_u32_e64 s[12:13], 40, v1
	s_and_saveexec_b64 s[16:17], s[12:13]
	s_cbranch_execnz .LBB70_1098
.LBB70_901:
	s_or_b64 exec, exec, s[16:17]
	v_cmp_gt_u32_e64 s[12:13], 32, v1
	s_and_saveexec_b64 s[16:17], s[12:13]
	s_cbranch_execnz .LBB70_1099
.LBB70_902:
	s_or_b64 exec, exec, s[16:17]
	v_cmp_gt_u32_e64 s[12:13], 24, v1
	s_and_saveexec_b64 s[16:17], s[12:13]
	s_cbranch_execnz .LBB70_1100
.LBB70_903:
	s_or_b64 exec, exec, s[16:17]
	v_cmp_gt_u32_e64 s[12:13], 16, v1
	s_and_saveexec_b64 s[16:17], s[12:13]
	s_cbranch_execnz .LBB70_1101
.LBB70_904:
	s_or_b64 exec, exec, s[16:17]
	v_cmp_gt_u32_e64 s[12:13], 8, v1
	s_and_saveexec_b64 s[16:17], s[12:13]
	s_cbranch_execz .LBB70_906
.LBB70_905:
	v_lshlrev_b32_e32 v14, 3, v0
	v_mov_b32_e32 v17, 0
	ds_read_b64 v[14:15], v14 offset:28608
	ds_read_b64 v[19:20], v17 offset:25016
	s_waitcnt lgkmcnt(0)
	v_mul_f32_e32 v17, v20, v15
	v_mul_f32_e32 v15, v19, v15
	v_fma_f32 v17, v19, v14, -v17
	v_fmac_f32_e32 v15, v20, v14
	v_add_f32_e32 v16, v16, v17
	v_add_f32_e32 v18, v18, v15
.LBB70_906:
	s_or_b64 exec, exec, s[16:17]
	v_xor_b32_e32 v17, 0x80000000, v16
	v_xor_b32_e32 v16, 0x80000000, v18
.LBB70_907:
	s_or_b64 exec, exec, s[14:15]
	s_and_saveexec_b64 s[12:13], s[52:53]
	s_cbranch_execz .LBB70_909
; %bb.908:
	v_mov_b32_e32 v14, 0
	ds_read_b64 v[14:15], v14 offset:29120
	s_waitcnt lgkmcnt(0)
	v_mul_f32_e32 v18, v17, v15
	v_mul_f32_e32 v19, v16, v15
	v_fmac_f32_e32 v18, v16, v14
	v_fma_f32 v17, v17, v14, -v19
	v_mov_b32_e32 v16, v18
	ds_write_b64 v13, v[17:18]
.LBB70_909:
	s_or_b64 exec, exec, s[12:13]
	s_waitcnt lgkmcnt(0)
	s_barrier
	s_and_saveexec_b64 s[12:13], s[54:55]
	v_readlane_b32 s52, v34, 0
	s_cbranch_execz .LBB70_911
; %bb.910:
	ds_read_b64 v[14:15], v12 offset:29120
	ds_read_b64 v[18:19], v13
	s_waitcnt lgkmcnt(0)
	v_mul_f32_e32 v20, v19, v15
	v_mul_f32_e32 v15, v18, v15
	v_fma_f32 v18, v18, v14, -v20
	v_fmac_f32_e32 v15, v19, v14
	v_add_f32_e32 v17, v17, v18
	v_add_f32_e32 v16, v16, v15
.LBB70_911:
	s_or_b64 exec, exec, s[12:13]
	s_barrier
	s_and_saveexec_b64 s[12:13], s[56:57]
	s_cbranch_execz .LBB70_913
; %bb.912:
	v_mov_b32_e32 v14, 0
	ds_read_b64 v[14:15], v14 offset:29640
	s_waitcnt lgkmcnt(0)
	v_mul_f32_e32 v18, v17, v15
	v_mul_f32_e32 v19, v16, v15
	v_fmac_f32_e32 v18, v16, v14
	v_fma_f32 v17, v17, v14, -v19
	v_mov_b32_e32 v16, v18
	ds_write_b64 v13, v[17:18]
.LBB70_913:
	s_or_b64 exec, exec, s[12:13]
	s_waitcnt lgkmcnt(0)
	s_barrier
	s_and_saveexec_b64 s[12:13], s[58:59]
	s_cbranch_execz .LBB70_915
; %bb.914:
	ds_read_b64 v[14:15], v12 offset:29632
	ds_read_b64 v[18:19], v13
	s_waitcnt lgkmcnt(0)
	v_mul_f32_e32 v20, v19, v15
	v_mul_f32_e32 v15, v18, v15
	v_fma_f32 v18, v18, v14, -v20
	v_fmac_f32_e32 v15, v19, v14
	v_add_f32_e32 v17, v17, v18
	v_add_f32_e32 v16, v16, v15
.LBB70_915:
	s_or_b64 exec, exec, s[12:13]
	s_barrier
	s_and_saveexec_b64 s[12:13], s[60:61]
	s_cbranch_execz .LBB70_917
; %bb.916:
	v_mov_b32_e32 v14, 0
	ds_read_b64 v[14:15], v14 offset:30160
	s_waitcnt lgkmcnt(0)
	v_mul_f32_e32 v18, v17, v15
	v_mul_f32_e32 v19, v16, v15
	v_fmac_f32_e32 v18, v16, v14
	v_fma_f32 v17, v17, v14, -v19
	v_mov_b32_e32 v16, v18
	ds_write_b64 v13, v[17:18]
.LBB70_917:
	s_or_b64 exec, exec, s[12:13]
	s_waitcnt lgkmcnt(0)
	s_barrier
	s_and_saveexec_b64 s[12:13], s[62:63]
	;; [unrolled: 31-line block ×6, first 2 shown]
	s_cbranch_execz .LBB70_935
; %bb.934:
	v_mov_b32_e32 v12, 0
	ds_read_b64 v[14:15], v12 offset:32248
	ds_read_b64 v[18:19], v13
	s_waitcnt lgkmcnt(0)
	v_mul_f32_e32 v12, v19, v15
	v_mul_f32_e32 v15, v18, v15
	v_fma_f32 v12, v18, v14, -v12
	v_fmac_f32_e32 v15, v19, v14
	v_add_f32_e32 v17, v17, v12
	v_add_f32_e32 v16, v16, v15
.LBB70_935:
	s_or_b64 exec, exec, s[12:13]
	s_barrier
	s_and_saveexec_b64 s[12:13], s[50:51]
	s_cbranch_execz .LBB70_937
; %bb.936:
	v_mov_b32_e32 v12, 0
	ds_read_b64 v[14:15], v12 offset:32760
	s_waitcnt lgkmcnt(0)
	v_mul_f32_e32 v18, v17, v15
	v_mul_f32_e32 v12, v16, v15
	v_fmac_f32_e32 v18, v16, v14
	v_fma_f32 v17, v17, v14, -v12
	v_mov_b32_e32 v16, v18
	ds_write_b64 v13, v[17:18]
.LBB70_937:
	s_or_b64 exec, exec, s[12:13]
	s_waitcnt lgkmcnt(0)
	s_barrier
	s_barrier
	s_and_saveexec_b64 s[12:13], s[10:11]
; %bb.938:
	v_xor_b32_e32 v13, 0x80000000, v16
	v_xor_b32_e32 v12, 0x80000000, v17
	ds_write_b64 v11, v[12:13] offset:25024
; %bb.939:
	s_or_b64 exec, exec, s[12:13]
	s_waitcnt lgkmcnt(0)
	s_barrier
	s_barrier
	s_and_saveexec_b64 s[10:11], vcc
	s_cbranch_execz .LBB70_941
; %bb.940:
	v_mov_b32_e32 v17, 0
	ds_read_b128 v[11:14], v17 offset:29120
	ds_read_b64 v[15:16], v17 offset:29640
	s_waitcnt lgkmcnt(0)
	v_mul_f32_e32 v18, v16, v12
	v_mul_f32_e32 v19, v15, v12
	v_fma_f32 v15, v15, v11, -v18
	v_fmac_f32_e32 v19, v16, v11
	v_mul_f32_e32 v11, v19, v14
	v_mul_f32_e32 v12, v15, v14
	v_fma_f32 v11, v15, v13, -v11
	v_fmac_f32_e32 v12, v19, v13
	ds_write_b64 v17, v[11:12] offset:29128
.LBB70_941:
	s_or_b64 exec, exec, s[10:11]
	v_mov_b32_e32 v11, 0
	v_mov_b32_e32 v12, 0
	s_waitcnt lgkmcnt(0)
	s_barrier
	s_and_saveexec_b64 s[12:13], s[6:7]
	s_cbranch_execz .LBB70_945
; %bb.942:
	v_mul_u32_u24_e32 v13, 0x208, v5
	ds_read_b64 v[11:12], v3 offset:29136
	ds_read_b64 v[13:14], v13 offset:29120
	v_cmp_gt_u32_e64 s[10:11], 2, v1
	s_waitcnt lgkmcnt(0)
	v_mul_f32_e32 v15, v14, v12
	v_mul_f32_e32 v12, v13, v12
	v_fma_f32 v13, v13, v11, -v15
	v_fmac_f32_e32 v12, v14, v11
	v_add_f32_e32 v11, 0, v13
	v_add_f32_e32 v13, 0, v12
	s_and_saveexec_b64 s[14:15], s[10:11]
	s_cbranch_execz .LBB70_944
; %bb.943:
	v_lshlrev_b32_e32 v12, 3, v0
	v_mov_b32_e32 v16, 0
	ds_read_b64 v[14:15], v12 offset:29648
	ds_read_b64 v[16:17], v16 offset:29128
	s_waitcnt lgkmcnt(0)
	v_mul_f32_e32 v12, v17, v15
	v_mul_f32_e32 v15, v16, v15
	v_fma_f32 v12, v16, v14, -v12
	v_fmac_f32_e32 v15, v17, v14
	v_add_f32_e32 v11, v11, v12
	v_add_f32_e32 v13, v13, v15
.LBB70_944:
	s_or_b64 exec, exec, s[14:15]
	v_xor_b32_e32 v12, 0x80000000, v11
	v_xor_b32_e32 v11, 0x80000000, v13
.LBB70_945:
	s_or_b64 exec, exec, s[12:13]
	s_and_saveexec_b64 s[10:11], s[36:37]
	s_cbranch_execz .LBB70_947
; %bb.946:
	v_mov_b32_e32 v13, 0
	ds_read_b64 v[13:14], v13 offset:30160
	s_waitcnt lgkmcnt(0)
	v_mul_f32_e32 v16, v11, v14
	v_mul_f32_e32 v15, v12, v14
	v_fma_f32 v14, v12, v13, -v16
	v_fmac_f32_e32 v15, v11, v13
	v_mov_b32_e32 v12, v14
	v_mov_b32_e32 v11, v15
	ds_write_b64 v4, v[14:15]
.LBB70_947:
	s_or_b64 exec, exec, s[10:11]
	s_waitcnt lgkmcnt(0)
	s_barrier
	s_and_saveexec_b64 s[10:11], s[34:35]
	s_cbranch_execz .LBB70_949
; %bb.948:
	v_mov_b32_e32 v13, 0
	ds_read_b64 v[13:14], v13 offset:30168
	ds_read_b64 v[15:16], v4
	s_waitcnt lgkmcnt(0)
	v_mul_f32_e32 v17, v16, v14
	v_mul_f32_e32 v14, v15, v14
	v_fma_f32 v15, v15, v13, -v17
	v_fmac_f32_e32 v14, v16, v13
	v_add_f32_e32 v12, v12, v15
	v_add_f32_e32 v11, v11, v14
.LBB70_949:
	s_or_b64 exec, exec, s[10:11]
	s_barrier
	s_and_saveexec_b64 s[10:11], s[34:35]
	s_cbranch_execz .LBB70_951
; %bb.950:
	v_mov_b32_e32 v13, 0
	ds_read_b64 v[13:14], v13 offset:30680
	s_waitcnt lgkmcnt(0)
	v_mul_f32_e32 v16, v11, v14
	v_mul_f32_e32 v15, v12, v14
	v_fma_f32 v14, v12, v13, -v16
	v_fmac_f32_e32 v15, v11, v13
	v_mov_b32_e32 v12, v14
	v_mov_b32_e32 v11, v15
	ds_write_b64 v4, v[14:15]
.LBB70_951:
	s_or_b64 exec, exec, s[10:11]
	s_waitcnt lgkmcnt(0)
	s_barrier
	s_barrier
	s_and_saveexec_b64 s[10:11], s[6:7]
; %bb.952:
	v_xor_b32_e32 v13, 0x80000000, v11
	v_xor_b32_e32 v12, 0x80000000, v12
	ds_write_b64 v3, v[12:13] offset:29136
; %bb.953:
	s_or_b64 exec, exec, s[10:11]
	s_waitcnt lgkmcnt(0)
	s_barrier
	s_barrier
	s_and_saveexec_b64 s[10:11], vcc
	s_cbranch_execz .LBB70_955
; %bb.954:
	v_mov_b32_e32 v17, 0
	ds_read_b128 v[11:14], v17 offset:30160
	ds_read_b64 v[15:16], v17 offset:30680
	s_waitcnt lgkmcnt(0)
	v_mul_f32_e32 v18, v16, v12
	v_mul_f32_e32 v19, v15, v12
	v_fma_f32 v15, v15, v11, -v18
	v_fmac_f32_e32 v19, v16, v11
	v_mul_f32_e32 v11, v19, v14
	v_mul_f32_e32 v12, v15, v14
	v_fma_f32 v11, v15, v13, -v11
	v_fmac_f32_e32 v12, v19, v13
	ds_write_b64 v17, v[11:12] offset:30168
.LBB70_955:
	s_or_b64 exec, exec, s[10:11]
	v_mov_b32_e32 v11, 0
	v_mov_b32_e32 v12, 0
	s_waitcnt lgkmcnt(0)
	s_barrier
	s_and_saveexec_b64 s[12:13], s[18:19]
	s_cbranch_execz .LBB70_961
; %bb.956:
	v_mul_u32_u24_e32 v12, 0x208, v10
	ds_read_b64 v[13:14], v6 offset:29152
	ds_read_b64 v[15:16], v12 offset:29120
	v_cmp_gt_u32_e64 s[10:11], 12, v1
	s_waitcnt lgkmcnt(0)
	v_mul_f32_e32 v11, v16, v14
	v_mul_f32_e32 v14, v15, v14
	v_fma_f32 v11, v15, v13, -v11
	v_fmac_f32_e32 v14, v16, v13
	v_add_f32_e32 v11, 0, v11
	v_add_f32_e32 v13, 0, v14
	s_and_saveexec_b64 s[14:15], s[10:11]
	s_cbranch_execnz .LBB70_1102
; %bb.957:
	s_or_b64 exec, exec, s[14:15]
	v_cmp_gt_u32_e64 s[10:11], 8, v1
	s_and_saveexec_b64 s[14:15], s[10:11]
	s_cbranch_execnz .LBB70_1103
.LBB70_958:
	s_or_b64 exec, exec, s[14:15]
	v_cmp_gt_u32_e64 s[10:11], 4, v1
	s_and_saveexec_b64 s[14:15], s[10:11]
	s_cbranch_execz .LBB70_960
.LBB70_959:
	v_lshlrev_b32_e32 v9, 3, v0
	v_mov_b32_e32 v12, 0
	ds_read_b64 v[9:10], v9 offset:30688
	ds_read_b64 v[14:15], v12 offset:29144
	s_waitcnt lgkmcnt(0)
	v_mul_f32_e32 v12, v15, v10
	v_mul_f32_e32 v10, v14, v10
	v_fma_f32 v12, v14, v9, -v12
	v_fmac_f32_e32 v10, v15, v9
	v_add_f32_e32 v11, v11, v12
	v_add_f32_e32 v13, v13, v10
.LBB70_960:
	s_or_b64 exec, exec, s[14:15]
	v_xor_b32_e32 v12, 0x80000000, v11
	v_xor_b32_e32 v11, 0x80000000, v13
.LBB70_961:
	s_or_b64 exec, exec, s[12:13]
	s_and_saveexec_b64 s[10:11], s[40:41]
	s_cbranch_execz .LBB70_963
; %bb.962:
	v_mov_b32_e32 v9, 0
	ds_read_b64 v[9:10], v9 offset:31200
	s_waitcnt lgkmcnt(0)
	v_mul_f32_e32 v13, v12, v10
	v_mul_f32_e32 v14, v11, v10
	v_fmac_f32_e32 v13, v11, v9
	v_fma_f32 v12, v12, v9, -v14
	v_mov_b32_e32 v11, v13
	ds_write_b64 v8, v[12:13]
.LBB70_963:
	s_or_b64 exec, exec, s[10:11]
	s_waitcnt lgkmcnt(0)
	s_barrier
	s_and_saveexec_b64 s[10:11], s[42:43]
	s_cbranch_execz .LBB70_965
; %bb.964:
	ds_read_b64 v[9:10], v7 offset:31200
	ds_read_b64 v[13:14], v8
	s_waitcnt lgkmcnt(0)
	v_mul_f32_e32 v15, v14, v10
	v_mul_f32_e32 v10, v13, v10
	v_fma_f32 v13, v13, v9, -v15
	v_fmac_f32_e32 v10, v14, v9
	v_add_f32_e32 v12, v12, v13
	v_add_f32_e32 v11, v11, v10
.LBB70_965:
	s_or_b64 exec, exec, s[10:11]
	s_barrier
	s_and_saveexec_b64 s[10:11], s[44:45]
	s_cbranch_execz .LBB70_967
; %bb.966:
	v_mov_b32_e32 v9, 0
	ds_read_b64 v[9:10], v9 offset:31720
	s_waitcnt lgkmcnt(0)
	v_mul_f32_e32 v13, v12, v10
	v_mul_f32_e32 v14, v11, v10
	v_fmac_f32_e32 v13, v11, v9
	v_fma_f32 v12, v12, v9, -v14
	v_mov_b32_e32 v11, v13
	ds_write_b64 v8, v[12:13]
.LBB70_967:
	s_or_b64 exec, exec, s[10:11]
	s_waitcnt lgkmcnt(0)
	s_barrier
	s_and_saveexec_b64 s[10:11], s[46:47]
	s_cbranch_execz .LBB70_969
; %bb.968:
	ds_read_b64 v[9:10], v7 offset:31712
	ds_read_b64 v[13:14], v8
	s_waitcnt lgkmcnt(0)
	v_mul_f32_e32 v7, v14, v10
	v_mul_f32_e32 v10, v13, v10
	v_fma_f32 v7, v13, v9, -v7
	v_fmac_f32_e32 v10, v14, v9
	v_add_f32_e32 v12, v12, v7
	v_add_f32_e32 v11, v11, v10
.LBB70_969:
	s_or_b64 exec, exec, s[10:11]
	s_barrier
	s_and_saveexec_b64 s[10:11], s[48:49]
	s_cbranch_execz .LBB70_971
; %bb.970:
	v_mov_b32_e32 v7, 0
	ds_read_b64 v[9:10], v7 offset:32240
	s_waitcnt lgkmcnt(0)
	v_mul_f32_e32 v13, v12, v10
	v_mul_f32_e32 v7, v11, v10
	v_fmac_f32_e32 v13, v11, v9
	v_fma_f32 v12, v12, v9, -v7
	v_mov_b32_e32 v11, v13
	ds_write_b64 v8, v[12:13]
.LBB70_971:
	s_or_b64 exec, exec, s[10:11]
	s_waitcnt lgkmcnt(0)
	s_barrier
	s_and_saveexec_b64 s[10:11], s[38:39]
	s_cbranch_execz .LBB70_973
; %bb.972:
	v_mov_b32_e32 v7, 0
	ds_read_b64 v[9:10], v7 offset:32248
	ds_read_b64 v[13:14], v8
	s_waitcnt lgkmcnt(0)
	v_mul_f32_e32 v7, v14, v10
	v_mul_f32_e32 v10, v13, v10
	v_fma_f32 v7, v13, v9, -v7
	v_fmac_f32_e32 v10, v14, v9
	v_add_f32_e32 v12, v12, v7
	v_add_f32_e32 v11, v11, v10
.LBB70_973:
	s_or_b64 exec, exec, s[10:11]
	s_barrier
	s_and_saveexec_b64 s[10:11], s[38:39]
	s_cbranch_execz .LBB70_975
; %bb.974:
	v_mov_b32_e32 v7, 0
	ds_read_b64 v[9:10], v7 offset:32760
	s_waitcnt lgkmcnt(0)
	v_mul_f32_e32 v13, v12, v10
	v_mul_f32_e32 v7, v11, v10
	v_fmac_f32_e32 v13, v11, v9
	v_fma_f32 v12, v12, v9, -v7
	v_mov_b32_e32 v11, v13
	ds_write_b64 v8, v[12:13]
.LBB70_975:
	s_or_b64 exec, exec, s[10:11]
	s_waitcnt lgkmcnt(0)
	s_barrier
	s_barrier
	s_and_saveexec_b64 s[10:11], s[18:19]
; %bb.976:
	v_xor_b32_e32 v7, 0x80000000, v12
	v_xor_b32_e32 v8, 0x80000000, v11
	ds_write_b64 v6, v[7:8] offset:29152
; %bb.977:
	s_or_b64 exec, exec, s[10:11]
	s_waitcnt lgkmcnt(0)
	s_barrier
	s_barrier
	s_and_saveexec_b64 s[10:11], vcc
	s_cbranch_execz .LBB70_979
; %bb.978:
	v_mov_b32_e32 v12, 0
	ds_read_b128 v[6:9], v12 offset:31200
	ds_read_b64 v[10:11], v12 offset:31720
	s_waitcnt lgkmcnt(0)
	v_mul_f32_e32 v13, v11, v7
	v_mul_f32_e32 v14, v10, v7
	v_fma_f32 v10, v10, v6, -v13
	v_fmac_f32_e32 v14, v11, v6
	v_mul_f32_e32 v6, v14, v9
	v_mul_f32_e32 v7, v10, v9
	v_fma_f32 v6, v10, v8, -v6
	v_fmac_f32_e32 v7, v14, v8
	ds_write_b64 v12, v[6:7] offset:31208
.LBB70_979:
	s_or_b64 exec, exec, s[10:11]
	v_mov_b32_e32 v6, 0
	v_mov_b32_e32 v7, 0
	s_waitcnt lgkmcnt(0)
	s_barrier
	s_and_saveexec_b64 s[12:13], s[6:7]
	s_cbranch_execz .LBB70_983
; %bb.980:
	v_mul_u32_u24_e32 v7, 0x208, v5
	ds_read_b64 v[5:6], v3 offset:31216
	ds_read_b64 v[7:8], v7 offset:31200
	v_cmp_gt_u32_e64 s[10:11], 2, v1
	s_waitcnt lgkmcnt(0)
	v_mul_f32_e32 v9, v8, v6
	v_mul_f32_e32 v6, v7, v6
	v_fma_f32 v7, v7, v5, -v9
	v_fmac_f32_e32 v6, v8, v5
	v_add_f32_e32 v5, 0, v7
	v_add_f32_e32 v6, 0, v6
	s_and_saveexec_b64 s[14:15], s[10:11]
	s_cbranch_execz .LBB70_982
; %bb.981:
	v_lshlrev_b32_e32 v7, 3, v0
	v_mov_b32_e32 v9, 0
	ds_read_b64 v[7:8], v7 offset:31728
	ds_read_b64 v[9:10], v9 offset:31208
	s_waitcnt lgkmcnt(0)
	v_mul_f32_e32 v11, v10, v8
	v_mul_f32_e32 v8, v9, v8
	v_fma_f32 v9, v9, v7, -v11
	v_fmac_f32_e32 v8, v10, v7
	v_add_f32_e32 v5, v5, v9
	v_add_f32_e32 v6, v6, v8
.LBB70_982:
	s_or_b64 exec, exec, s[14:15]
	v_xor_b32_e32 v7, 0x80000000, v5
	v_xor_b32_e32 v6, 0x80000000, v6
.LBB70_983:
	s_or_b64 exec, exec, s[12:13]
	s_and_saveexec_b64 s[10:11], s[36:37]
	s_cbranch_execz .LBB70_985
; %bb.984:
	v_mov_b32_e32 v5, 0
	ds_read_b64 v[8:9], v5 offset:32240
	s_waitcnt lgkmcnt(0)
	v_mul_f32_e32 v5, v6, v9
	v_mul_f32_e32 v10, v7, v9
	v_fma_f32 v9, v7, v8, -v5
	v_fmac_f32_e32 v10, v6, v8
	v_mov_b32_e32 v7, v9
	v_mov_b32_e32 v6, v10
	ds_write_b64 v4, v[9:10]
.LBB70_985:
	s_or_b64 exec, exec, s[10:11]
	s_waitcnt lgkmcnt(0)
	s_barrier
	s_and_saveexec_b64 s[10:11], s[34:35]
	s_load_dwordx2 s[26:27], s[4:5], 0x28
	s_cbranch_execz .LBB70_987
; %bb.986:
	v_mov_b32_e32 v5, 0
	ds_read_b64 v[8:9], v5 offset:32248
	ds_read_b64 v[10:11], v4
	s_waitcnt lgkmcnt(0)
	v_mul_f32_e32 v5, v11, v9
	v_mul_f32_e32 v9, v10, v9
	v_fma_f32 v5, v10, v8, -v5
	v_fmac_f32_e32 v9, v11, v8
	v_add_f32_e32 v7, v7, v5
	v_add_f32_e32 v6, v6, v9
.LBB70_987:
	s_or_b64 exec, exec, s[10:11]
	s_waitcnt lgkmcnt(0)
	s_barrier
	s_and_saveexec_b64 s[10:11], s[34:35]
	s_cbranch_execz .LBB70_989
; %bb.988:
	v_mov_b32_e32 v5, 0
	ds_read_b64 v[8:9], v5 offset:32760
	s_waitcnt lgkmcnt(0)
	v_mul_f32_e32 v5, v6, v9
	v_mul_f32_e32 v10, v7, v9
	v_fma_f32 v9, v7, v8, -v5
	v_fmac_f32_e32 v10, v6, v8
	v_mov_b32_e32 v7, v9
	v_mov_b32_e32 v6, v10
	ds_write_b64 v4, v[9:10]
.LBB70_989:
	s_or_b64 exec, exec, s[10:11]
	s_waitcnt lgkmcnt(0)
	s_barrier
	s_barrier
	s_and_saveexec_b64 s[10:11], s[6:7]
; %bb.990:
	v_xor_b32_e32 v5, 0x80000000, v6
	v_xor_b32_e32 v4, 0x80000000, v7
	ds_write_b64 v3, v[4:5] offset:31216
; %bb.991:
	s_or_b64 exec, exec, s[10:11]
	s_waitcnt lgkmcnt(0)
	s_barrier
	s_barrier
	s_and_saveexec_b64 s[6:7], vcc
	s_cbranch_execz .LBB70_993
; %bb.992:
	v_mov_b32_e32 v9, 0
	ds_read_b128 v[3:6], v9 offset:32240
	ds_read_b64 v[7:8], v9 offset:32760
	s_waitcnt lgkmcnt(0)
	v_mul_f32_e32 v10, v8, v4
	v_mul_f32_e32 v11, v7, v4
	v_fma_f32 v7, v7, v3, -v10
	v_fmac_f32_e32 v11, v8, v3
	v_mul_f32_e32 v3, v11, v6
	v_mul_f32_e32 v4, v7, v6
	v_fma_f32 v3, v7, v5, -v3
	v_fmac_f32_e32 v4, v11, v5
	ds_write_b64 v9, v[3:4] offset:32248
.LBB70_993:
	s_or_b64 exec, exec, s[6:7]
.LBB70_994:
	s_load_dwordx8 s[12:19], s[4:5], 0x30
	s_load_dwordx2 s[20:21], s[4:5], 0x50
	v_cmp_le_i32_e32 vcc, s96, v0
	v_mov_b32_e32 v3, 0
	v_add_u32_e32 v6, s33, v0
	s_waitcnt lgkmcnt(0)
	s_mul_i32 s5, s19, s28
	s_mul_hi_u32 s6, s18, s28
	s_mul_i32 s4, s18, s28
	s_add_i32 s5, s6, s5
	s_lshl_b64 s[4:5], s[4:5], 3
	s_add_u32 s6, s12, s4
	s_addc_u32 s7, s13, s5
	s_lshl_b64 s[4:5], s[14:15], 3
	s_add_u32 s42, s6, s4
	s_addc_u32 s43, s7, s5
	s_and_b64 s[18:19], vcc, s[22:23]
	v_cmp_eq_u32_e64 s[4:5], 0, v2
	s_xor_b64 s[6:7], s[18:19], -1
	s_and_b64 s[10:11], s[4:5], s[6:7]
	v_mov_b32_e32 v4, 0
	s_barrier
	s_and_saveexec_b64 s[6:7], s[10:11]
	s_cbranch_execz .LBB70_996
; %bb.995:
	v_ashrrev_i32_e32 v5, 31, v6
	v_mul_lo_u32 v7, s17, v6
	v_mad_u64_u32 v[3:4], s[10:11], s16, v6, 0
	v_mul_lo_u32 v5, s16, v5
	v_add3_u32 v4, v4, v5, v7
	v_lshlrev_b64 v[3:4], 3, v[3:4]
	v_mov_b32_e32 v5, s43
	v_add_co_u32_e32 v3, vcc, s42, v3
	v_addc_co_u32_e32 v4, vcc, v5, v4, vcc
	global_load_dwordx2 v[4:5], v[3:4], off
	s_waitcnt vmcnt(0)
	v_mul_f32_e32 v3, s26, v4
	v_mul_f32_e32 v7, s26, v5
	v_fma_f32 v3, s27, v5, -v3
	v_fma_f32 v4, v4, -s27, -v7
.LBB70_996:
	s_or_b64 exec, exec, s[6:7]
	s_and_b32 s6, 0xffff, s99
	v_mad_u32_u24 v8, v2, s6, v0
	s_cmp_lt_i32 s8, 1
	v_cmp_eq_u32_e64 s[6:7], 0, v8
	s_cbranch_scc1 .LBB70_1015
; %bb.997:
	v_mov_b32_e32 v5, 0
	v_mov_b32_e32 v7, v5
	s_lshl_b64 s[10:11], s[28:29], 2
	v_lshlrev_b64 v[11:12], 3, v[6:7]
	s_add_u32 s34, s20, s10
	s_mov_b64 s[26:27], src_private_base
	s_addc_u32 s35, s21, s11
	v_mov_b32_e32 v10, 0xa000
	v_cmp_gt_i32_e64 s[10:11], s9, v6
	v_mov_b32_e32 v6, s98
	v_add_co_u32_e32 v7, vcc, s97, v11
	s_mul_i32 s14, s25, 0x180
	s_mul_hi_u32 s15, s24, 0x180
	s_mov_b32 s26, 0
	v_cmp_gt_u32_e64 s[12:13], 64, v8
	v_lshl_add_u32 v9, v8, 3, v10
	v_lshl_or_b32 v10, v2, 3, v10
	s_add_i32 s44, s8, -1
	v_addc_co_u32_e32 v11, vcc, v6, v12, vcc
	s_lshl_b64 s[36:37], s[24:25], 7
	s_lshl_b64 s[38:39], s[24:25], 8
	s_add_i32 s45, s15, s14
	s_mul_i32 s46, s24, 0x180
	v_mov_b32_e32 v15, -1
	v_mov_b32_e32 v12, 0
	v_mov_b32_e32 v13, 8
	;; [unrolled: 1-line block ×4, first 2 shown]
	s_branch .LBB70_999
.LBB70_998:                             ;   in Loop: Header=BB70_999 Depth=1
	s_or_b64 exec, exec, s[40:41]
	s_add_i32 s26, s26, 1
	s_cmp_eq_u32 s26, s8
	s_cbranch_scc1 .LBB70_1015
.LBB70_999:                             ; =>This Loop Header: Depth=1
                                        ;     Child Loop BB70_1001 Depth 2
	v_cmp_gt_i32_e32 vcc, s26, v15
	s_and_b64 s[40:41], s[6:7], vcc
	s_and_saveexec_b64 s[14:15], s[40:41]
	s_cbranch_execz .LBB70_1002
; %bb.1000:                             ;   in Loop: Header=BB70_999 Depth=1
	global_load_dword v15, v5, s[34:35]
	s_waitcnt vmcnt(0)
	v_cmp_le_i32_e32 vcc, s26, v15
	s_cbranch_vccnz .LBB70_1002
.LBB70_1001:                            ;   Parent Loop BB70_999 Depth=1
                                        ; =>  This Inner Loop Header: Depth=2
	buffer_wbinvl1_vol
	global_load_dword v15, v5, s[34:35]
	s_waitcnt vmcnt(0)
	v_cmp_gt_i32_e32 vcc, s26, v15
	s_cbranch_vccnz .LBB70_1001
.LBB70_1002:                            ;   in Loop: Header=BB70_999 Depth=1
	s_or_b64 exec, exec, s[14:15]
	s_lshl_b32 s47, s26, 6
	buffer_wbinvl1_vol
	s_barrier
	s_and_saveexec_b64 s[14:15], s[12:13]
	s_cbranch_execz .LBB70_1007
; %bb.1003:                             ;   in Loop: Header=BB70_999 Depth=1
	v_or_b32_e32 v6, s47, v8
	v_cmp_le_i32_e32 vcc, s9, v6
	s_and_saveexec_b64 s[40:41], vcc
	s_xor_b64 s[40:41], exec, s[40:41]
; %bb.1004:                             ;   in Loop: Header=BB70_999 Depth=1
	v_mov_b32_e32 v6, v5
	ds_write_b64 v9, v[5:6]
                                        ; implicit-def: $vgpr6
; %bb.1005:                             ;   in Loop: Header=BB70_999 Depth=1
	s_andn2_saveexec_b64 s[40:41], s[40:41]
	s_cbranch_execz .LBB70_1007
; %bb.1006:                             ;   in Loop: Header=BB70_999 Depth=1
	v_mad_u64_u32 v[17:18], s[40:41], s16, v6, 0
	v_mad_u64_u32 v[18:19], s[40:41], s17, v6, v[18:19]
	v_mov_b32_e32 v6, s43
	v_lshlrev_b64 v[17:18], 3, v[17:18]
	v_add_co_u32_e32 v17, vcc, s42, v17
	v_addc_co_u32_e32 v18, vcc, v6, v18, vcc
	global_load_dwordx2 v[17:18], v[17:18], off
	s_waitcnt vmcnt(0)
	ds_write_b64 v9, v[17:18]
.LBB70_1007:                            ;   in Loop: Header=BB70_999 Depth=1
	s_or_b64 exec, exec, s[14:15]
	v_add_u32_e32 v6, s47, v2
	v_mad_u64_u32 v[17:18], s[14:15], s24, v6, 0
	s_cmp_eq_u32 s26, s44
	s_cselect_b64 vcc, -1, 0
	v_mad_u64_u32 v[18:19], s[14:15], s25, v6, v[18:19]
	s_waitcnt lgkmcnt(0)
	s_barrier
	v_lshlrev_b64 v[17:18], 3, v[17:18]
	v_add_co_u32_e64 v17, s[14:15], v7, v17
	v_addc_co_u32_e64 v18, s[14:15], v11, v18, s[14:15]
	v_cmp_gt_i32_e64 s[14:15], s9, v6
	s_and_b64 s[40:41], s[10:11], s[14:15]
	s_and_saveexec_b64 s[14:15], s[40:41]
	s_cbranch_execz .LBB70_1009
; %bb.1008:                             ;   in Loop: Header=BB70_999 Depth=1
	v_mov_b32_e32 v19, s27
	v_cndmask_b32_e32 v20, v18, v19, vcc
	v_cndmask_b32_e32 v19, v17, v12, vcc
	flat_load_dwordx2 v[19:20], v[19:20]
	ds_read_b64 v[21:22], v10
	s_waitcnt vmcnt(0) lgkmcnt(0)
	v_mul_f32_e32 v23, v22, v20
	v_mul_f32_e32 v20, v21, v20
	v_fma_f32 v21, v21, v19, -v23
	v_fmac_f32_e32 v20, v22, v19
	v_add_f32_e32 v3, v3, v21
	v_add_f32_e32 v4, v4, v20
.LBB70_1009:                            ;   in Loop: Header=BB70_999 Depth=1
	s_or_b64 exec, exec, s[14:15]
	v_add_u32_e32 v19, 16, v6
	v_cmp_gt_i32_e64 s[14:15], s9, v19
	s_and_b64 s[14:15], s[10:11], s[14:15]
	s_and_saveexec_b64 s[40:41], s[14:15]
	s_cbranch_execz .LBB70_1011
; %bb.1010:                             ;   in Loop: Header=BB70_999 Depth=1
	v_mov_b32_e32 v19, s37
	v_add_co_u32_e64 v21, s[14:15], s36, v17
	v_addc_co_u32_e64 v19, s[14:15], v18, v19, s[14:15]
	v_mov_b32_e32 v20, s27
	v_cndmask_b32_e32 v20, v19, v20, vcc
	v_cndmask_b32_e32 v19, v21, v13, vcc
	flat_load_dwordx2 v[19:20], v[19:20]
	ds_read_b64 v[21:22], v10 offset:128
	s_waitcnt vmcnt(0) lgkmcnt(0)
	v_mul_f32_e32 v23, v22, v20
	v_mul_f32_e32 v20, v21, v20
	v_fma_f32 v21, v21, v19, -v23
	v_fmac_f32_e32 v20, v22, v19
	v_add_f32_e32 v3, v3, v21
	v_add_f32_e32 v4, v4, v20
.LBB70_1011:                            ;   in Loop: Header=BB70_999 Depth=1
	s_or_b64 exec, exec, s[40:41]
	v_add_u32_e32 v19, 32, v6
	v_cmp_gt_i32_e64 s[14:15], s9, v19
	s_and_b64 s[14:15], s[10:11], s[14:15]
	s_and_saveexec_b64 s[40:41], s[14:15]
	s_cbranch_execz .LBB70_1013
; %bb.1012:                             ;   in Loop: Header=BB70_999 Depth=1
	v_mov_b32_e32 v19, s39
	v_add_co_u32_e64 v21, s[14:15], s38, v17
	v_addc_co_u32_e64 v19, s[14:15], v18, v19, s[14:15]
	v_mov_b32_e32 v20, s27
	v_cndmask_b32_e32 v20, v19, v20, vcc
	v_cndmask_b32_e32 v19, v21, v14, vcc
	flat_load_dwordx2 v[19:20], v[19:20]
	ds_read_b64 v[21:22], v10 offset:256
	s_waitcnt vmcnt(0) lgkmcnt(0)
	v_mul_f32_e32 v23, v22, v20
	v_mul_f32_e32 v20, v21, v20
	v_fma_f32 v21, v21, v19, -v23
	v_fmac_f32_e32 v20, v22, v19
	v_add_f32_e32 v3, v3, v21
	v_add_f32_e32 v4, v4, v20
.LBB70_1013:                            ;   in Loop: Header=BB70_999 Depth=1
	s_or_b64 exec, exec, s[40:41]
	v_add_u32_e32 v6, 48, v6
	v_cmp_gt_i32_e64 s[14:15], s9, v6
	s_and_b64 s[14:15], s[10:11], s[14:15]
	s_and_saveexec_b64 s[40:41], s[14:15]
	s_cbranch_execz .LBB70_998
; %bb.1014:                             ;   in Loop: Header=BB70_999 Depth=1
	v_mov_b32_e32 v6, s45
	v_add_co_u32_e64 v17, s[14:15], s46, v17
	v_addc_co_u32_e64 v6, s[14:15], v18, v6, s[14:15]
	v_mov_b32_e32 v18, s27
	v_cndmask_b32_e32 v18, v6, v18, vcc
	v_cndmask_b32_e32 v17, v17, v16, vcc
	flat_load_dwordx2 v[17:18], v[17:18]
	ds_read_b64 v[19:20], v10 offset:384
	s_waitcnt vmcnt(0) lgkmcnt(0)
	v_mul_f32_e32 v6, v20, v18
	v_mul_f32_e32 v18, v19, v18
	v_fma_f32 v6, v19, v17, -v6
	v_fmac_f32_e32 v18, v20, v17
	v_add_f32_e32 v3, v3, v6
	v_add_f32_e32 v4, v4, v18
	s_branch .LBB70_998
.LBB70_1015:
	s_xor_b64 s[6:7], s[22:23], -1
	s_xor_b64 s[8:9], s[30:31], -1
	v_lshlrev_b32_e32 v1, 3, v1
	ds_write_b64 v1, v[3:4] offset:32768
	s_waitcnt lgkmcnt(0)
	s_barrier
	s_and_saveexec_b64 s[10:11], s[4:5]
	s_cbranch_execz .LBB70_1017
; %bb.1016:
	v_lshlrev_b32_e32 v7, 3, v0
	ds_read2st64_b64 v[9:12], v7 offset0:65 offset1:66
	ds_read2st64_b64 v[13:16], v7 offset0:67 offset1:68
	ds_read_b64 v[17:18], v7 offset:40448
	s_waitcnt lgkmcnt(2)
	v_add_f32_e32 v3, v3, v9
	v_add_f32_e32 v4, v4, v10
	;; [unrolled: 1-line block ×4, first 2 shown]
	ds_read2st64_b64 v[3:6], v7 offset0:69 offset1:70
	s_waitcnt lgkmcnt(2)
	v_add_f32_e32 v9, v9, v13
	v_add_f32_e32 v10, v10, v14
	v_add_f32_e32 v9, v9, v15
	v_add_f32_e32 v13, v10, v16
	s_waitcnt lgkmcnt(0)
	v_add_f32_e32 v3, v9, v3
	ds_read2st64_b64 v[9:12], v7 offset0:71 offset1:72
	v_add_f32_e32 v4, v13, v4
	v_add_f32_e32 v13, v3, v5
	;; [unrolled: 1-line block ×3, first 2 shown]
	ds_read2st64_b64 v[3:6], v7 offset0:73 offset1:74
	s_waitcnt lgkmcnt(1)
	v_add_f32_e32 v9, v13, v9
	v_add_f32_e32 v10, v14, v10
	;; [unrolled: 1-line block ×4, first 2 shown]
	s_waitcnt lgkmcnt(0)
	v_add_f32_e32 v3, v9, v3
	ds_read2st64_b64 v[9:12], v7 offset0:75 offset1:76
	v_add_f32_e32 v4, v13, v4
	v_add_f32_e32 v13, v3, v5
	;; [unrolled: 1-line block ×3, first 2 shown]
	ds_read2st64_b64 v[3:6], v7 offset0:77 offset1:78
	s_waitcnt lgkmcnt(1)
	v_add_f32_e32 v7, v13, v9
	v_add_f32_e32 v9, v14, v10
	;; [unrolled: 1-line block ×4, first 2 shown]
	s_waitcnt lgkmcnt(0)
	v_add_f32_e32 v3, v7, v3
	v_add_f32_e32 v4, v9, v4
	;; [unrolled: 1-line block ×6, first 2 shown]
	v_cndmask_b32_e64 v3, -v3, 0, s[18:19]
	v_cndmask_b32_e64 v4, -v4, 0, s[18:19]
.LBB70_1017:
	s_or_b64 exec, exec, s[10:11]
	s_andn2_b64 vcc, exec, s[8:9]
	s_cbranch_vccnz .LBB70_1030
; %bb.1018:
	v_mov_b32_e32 v5, 0xa000
	v_lshl_or_b32 v7, v2, 3, v5
	s_and_saveexec_b64 s[8:9], s[4:5]
; %bb.1019:
	v_lshl_add_u32 v5, v0, 3, v7
	ds_write_b64 v5, v[3:4]
; %bb.1020:
	s_or_b64 exec, exec, s[8:9]
	v_cmp_ge_u32_e32 vcc, v0, v2
	v_mov_b32_e32 v5, 0
	v_mov_b32_e32 v6, 0
	s_waitcnt lgkmcnt(0)
	s_barrier
	s_and_saveexec_b64 s[8:9], vcc
	s_cbranch_execz .LBB70_1022
; %bb.1021:
	ds_read_b64 v[5:6], v1
	ds_read_b64 v[9:10], v7
	s_waitcnt lgkmcnt(0)
	v_mul_f32_e32 v11, v10, v6
	v_mul_f32_e32 v6, v9, v6
	v_fma_f32 v9, v9, v5, -v11
	v_fmac_f32_e32 v6, v10, v5
	v_add_f32_e32 v5, 0, v9
	v_add_f32_e32 v6, 0, v6
.LBB70_1022:
	s_or_b64 exec, exec, s[8:9]
	v_add_u32_e32 v9, 16, v2
	v_cmp_ge_u32_e32 vcc, v0, v9
	s_and_saveexec_b64 s[8:9], vcc
	s_cbranch_execz .LBB70_1024
; %bb.1023:
	ds_read_b64 v[9:10], v1 offset:8192
	ds_read_b64 v[11:12], v7 offset:128
	s_waitcnt lgkmcnt(0)
	v_mul_f32_e32 v13, v12, v10
	v_mul_f32_e32 v10, v11, v10
	v_fma_f32 v11, v11, v9, -v13
	v_fmac_f32_e32 v10, v12, v9
	v_add_f32_e32 v5, v5, v11
	v_add_f32_e32 v6, v6, v10
.LBB70_1024:
	s_or_b64 exec, exec, s[8:9]
	v_add_u32_e32 v9, 32, v2
	v_cmp_ge_u32_e32 vcc, v0, v9
	s_and_saveexec_b64 s[8:9], vcc
	s_cbranch_execz .LBB70_1026
; %bb.1025:
	ds_read_b64 v[9:10], v1 offset:16384
	ds_read_b64 v[11:12], v7 offset:256
	s_waitcnt lgkmcnt(0)
	v_mul_f32_e32 v13, v12, v10
	v_mul_f32_e32 v10, v11, v10
	v_fma_f32 v11, v11, v9, -v13
	v_fmac_f32_e32 v10, v12, v9
	v_add_f32_e32 v5, v5, v11
	v_add_f32_e32 v6, v6, v10
.LBB70_1026:
	s_or_b64 exec, exec, s[8:9]
	v_add_u32_e32 v2, 48, v2
	v_add_u32_e32 v9, 0x8000, v1
	v_cmp_ge_u32_e32 vcc, v0, v2
	s_and_saveexec_b64 s[8:9], vcc
	s_cbranch_execz .LBB70_1028
; %bb.1027:
	ds_read_b64 v[1:2], v1 offset:24576
	ds_read_b64 v[10:11], v7 offset:384
	s_waitcnt lgkmcnt(0)
	v_mul_f32_e32 v7, v11, v2
	v_mul_f32_e32 v2, v10, v2
	v_fma_f32 v7, v10, v1, -v7
	v_fmac_f32_e32 v2, v11, v1
	v_add_f32_e32 v5, v5, v7
	v_add_f32_e32 v6, v6, v2
.LBB70_1028:
	s_or_b64 exec, exec, s[8:9]
	s_mov_b64 s[10:11], 0
	s_mov_b64 s[8:9], 0
	ds_write_b64 v9, v[5:6]
	s_waitcnt lgkmcnt(0)
	s_barrier
                                        ; implicit-def: $vgpr7
                                        ; implicit-def: $vgpr9
                                        ; implicit-def: $vgpr1_vgpr2
	s_and_saveexec_b64 s[12:13], s[4:5]
	s_cbranch_execz .LBB70_1043
; %bb.1029:
	v_lshlrev_b32_e32 v1, 3, v0
	ds_read2st64_b64 v[9:12], v1 offset0:65 offset1:66
	ds_read2st64_b64 v[13:16], v1 offset0:67 offset1:68
	ds_read_b64 v[17:18], v1 offset:40448
	v_add_u32_e32 v7, s33, v8
	s_mov_b64 s[8:9], exec
	s_waitcnt lgkmcnt(2)
	v_add_f32_e32 v2, v5, v9
	v_add_f32_e32 v5, v6, v10
	v_add_f32_e32 v2, v2, v11
	v_add_f32_e32 v5, v5, v12
	ds_read2st64_b64 v[9:12], v1 offset0:69 offset1:70
	s_waitcnt lgkmcnt(2)
	v_add_f32_e32 v2, v2, v13
	v_add_f32_e32 v5, v5, v14
	v_add_f32_e32 v2, v2, v15
	v_add_f32_e32 v5, v5, v16
	ds_read2st64_b64 v[13:16], v1 offset0:71 offset1:72
	;; [unrolled: 6-line block ×5, first 2 shown]
	s_waitcnt lgkmcnt(1)
	v_add_f32_e32 v1, v2, v13
	v_add_f32_e32 v2, v5, v14
	;; [unrolled: 1-line block ×4, first 2 shown]
	v_mad_u64_u32 v[1:2], s[14:15], s16, v7, 0
	s_waitcnt lgkmcnt(0)
	v_add_f32_e32 v5, v5, v9
	v_add_f32_e32 v9, v6, v10
	v_add_f32_e32 v10, v5, v11
	v_mad_u64_u32 v[5:6], s[14:15], s17, v7, v[2:3]
	v_add_f32_e32 v2, v9, v12
	v_add_f32_e32 v9, v10, v17
	;; [unrolled: 1-line block ×3, first 2 shown]
	v_mov_b32_e32 v2, v5
	s_or_b64 exec, exec, s[12:13]
	s_and_b64 vcc, exec, s[10:11]
	s_cbranch_vccnz .LBB70_1031
	s_branch .LBB70_1044
.LBB70_1030:
	s_mov_b64 s[8:9], 0
                                        ; implicit-def: $vgpr7
                                        ; implicit-def: $vgpr9
                                        ; implicit-def: $vgpr1_vgpr2
	s_cbranch_execz .LBB70_1044
.LBB70_1031:
	v_mul_u32_u24_e32 v1, 0x208, v0
	v_lshlrev_b32_e32 v2, 9, v0
	v_sub_u32_e32 v2, v1, v2
	s_mov_b32 s12, 0
	v_mov_b32_e32 v5, 0
	v_mov_b32_e32 v6, v0
	s_branch .LBB70_1033
.LBB70_1032:                            ;   in Loop: Header=BB70_1033 Depth=1
	s_or_b64 exec, exec, s[10:11]
	s_add_i32 s12, s12, 2
	v_add_u32_e32 v2, 0x400, v2
	s_cmp_lg_u32 s12, 64
	v_add_u32_e32 v6, -2, v6
	s_barrier
	s_cbranch_scc0 .LBB70_1041
.LBB70_1033:                            ; =>This Inner Loop Header: Depth=1
	v_cmp_eq_u32_e32 vcc, 0, v6
	s_and_b64 s[14:15], s[4:5], vcc
	s_and_saveexec_b64 s[10:11], s[14:15]
	s_cbranch_execz .LBB70_1035
; %bb.1034:                             ;   in Loop: Header=BB70_1033 Depth=1
	ds_read_b64 v[9:10], v1
	s_waitcnt lgkmcnt(0)
	v_mul_f32_e32 v7, v4, v10
	v_mul_f32_e32 v11, v3, v10
	v_fma_f32 v10, v3, v9, -v7
	v_fmac_f32_e32 v11, v4, v9
	v_mov_b32_e32 v3, v10
	v_mov_b32_e32 v4, v11
	ds_write_b64 v5, v[10:11] offset:41472
.LBB70_1035:                            ;   in Loop: Header=BB70_1033 Depth=1
	s_or_b64 exec, exec, s[10:11]
	v_cmp_lt_u32_e32 vcc, s12, v0
	s_and_b64 s[14:15], s[4:5], vcc
	s_waitcnt lgkmcnt(0)
	s_barrier
	s_and_saveexec_b64 s[10:11], s[14:15]
	s_cbranch_execz .LBB70_1037
; %bb.1036:                             ;   in Loop: Header=BB70_1033 Depth=1
	ds_read_b64 v[9:10], v2
	ds_read_b64 v[11:12], v5 offset:41472
	s_waitcnt lgkmcnt(0)
	v_mul_f32_e32 v7, v12, v10
	v_mul_f32_e32 v10, v11, v10
	v_fma_f32 v7, v11, v9, -v7
	v_fmac_f32_e32 v10, v12, v9
	v_add_f32_e32 v3, v3, v7
	v_add_f32_e32 v4, v4, v10
.LBB70_1037:                            ;   in Loop: Header=BB70_1033 Depth=1
	s_or_b64 exec, exec, s[10:11]
	s_or_b32 s13, s12, 1
	v_cmp_eq_u32_e32 vcc, s13, v0
	s_and_b64 s[14:15], s[4:5], vcc
	s_barrier
	s_and_saveexec_b64 s[10:11], s[14:15]
	s_cbranch_execz .LBB70_1039
; %bb.1038:                             ;   in Loop: Header=BB70_1033 Depth=1
	ds_read_b64 v[9:10], v1
	s_waitcnt lgkmcnt(0)
	v_mul_f32_e32 v7, v4, v10
	v_mul_f32_e32 v11, v3, v10
	v_fma_f32 v10, v3, v9, -v7
	v_fmac_f32_e32 v11, v4, v9
	v_mov_b32_e32 v3, v10
	v_mov_b32_e32 v4, v11
	ds_write_b64 v5, v[10:11] offset:41472
.LBB70_1039:                            ;   in Loop: Header=BB70_1033 Depth=1
	s_or_b64 exec, exec, s[10:11]
	v_cmp_lt_u32_e32 vcc, s13, v0
	s_and_b64 s[14:15], s[4:5], vcc
	s_waitcnt lgkmcnt(0)
	s_barrier
	s_and_saveexec_b64 s[10:11], s[14:15]
	s_cbranch_execz .LBB70_1032
; %bb.1040:                             ;   in Loop: Header=BB70_1033 Depth=1
	ds_read_b64 v[9:10], v2 offset:512
	ds_read_b64 v[11:12], v5 offset:41472
	s_waitcnt lgkmcnt(0)
	v_mul_f32_e32 v7, v12, v10
	v_mul_f32_e32 v10, v11, v10
	v_fma_f32 v7, v11, v9, -v7
	v_fmac_f32_e32 v10, v12, v9
	v_add_f32_e32 v3, v3, v7
	v_add_f32_e32 v4, v4, v10
	s_branch .LBB70_1032
.LBB70_1041:
	s_and_b64 vcc, exec, s[6:7]
	s_cbranch_vccz .LBB70_1045
; %bb.1042:
	s_and_b64 s[6:7], s[4:5], exec
	s_cbranch_execz .LBB70_1046
	s_branch .LBB70_1047
.LBB70_1043:
	s_or_b64 exec, exec, s[12:13]
	s_and_b64 vcc, exec, s[10:11]
	s_cbranch_vccnz .LBB70_1031
.LBB70_1044:
	v_mov_b32_e32 v4, v7
	v_mov_b32_e32 v3, v9
	s_and_saveexec_b64 s[4:5], s[8:9]
	s_cbranch_execnz .LBB70_1050
	s_branch .LBB70_1051
.LBB70_1045:
	s_mov_b64 s[6:7], 0
.LBB70_1046:
	v_cmp_gt_i32_e32 vcc, s96, v0
	s_and_b64 s[4:5], s[4:5], vcc
	s_andn2_b64 s[6:7], s[6:7], exec
	s_and_b64 s[4:5], s[4:5], exec
	s_or_b64 s[6:7], s[6:7], s[4:5]
.LBB70_1047:
                                        ; implicit-def: $vgpr1_vgpr2
	s_and_saveexec_b64 s[4:5], s[6:7]
	s_cbranch_execz .LBB70_1049
; %bb.1048:
	v_mov_b32_e32 v0, s52
	v_add_co_u32_e32 v1, vcc, s33, v8
	v_addc_co_u32_e32 v0, vcc, 0, v0, vcc
	v_mul_lo_u32 v0, v0, s16
	v_mul_lo_u32 v5, v1, s17
	v_mad_u64_u32 v[1:2], s[6:7], v1, s16, 0
	s_or_b64 s[8:9], s[8:9], exec
	v_add3_u32 v2, v2, v5, v0
.LBB70_1049:
	s_or_b64 exec, exec, s[4:5]
	s_and_saveexec_b64 s[4:5], s[8:9]
	s_cbranch_execz .LBB70_1051
.LBB70_1050:
	v_lshlrev_b64 v[0:1], 3, v[1:2]
	v_mov_b32_e32 v2, s43
	v_add_co_u32_e32 v0, vcc, s42, v0
	v_addc_co_u32_e32 v1, vcc, v2, v1, vcc
	global_store_dwordx2 v[0:1], v[3:4], off
.LBB70_1051:
	s_or_b64 exec, exec, s[4:5]
	v_cmp_eq_u32_e32 vcc, 0, v8
	s_waitcnt vmcnt(0)
	buffer_wbinvl1_vol
	s_barrier
	s_and_saveexec_b64 s[4:5], vcc
	s_cbranch_execz .LBB70_1053
; %bb.1052:
	s_lshl_b64 s[6:7], s[28:29], 2
	s_add_u32 s6, s20, s6
	s_addc_u32 s7, s21, s7
	v_mov_b32_e32 v0, 0
	global_load_dword v1, v0, s[6:7]
	s_waitcnt vmcnt(0)
	v_add_u32_e32 v1, 1, v1
	global_store_dword v0, v1, s[6:7]
.LBB70_1053:
	s_or_b64 exec, exec, s[4:5]
	s_waitcnt vmcnt(0)
	buffer_wbinvl1_vol
	s_endpgm
.LBB70_1054:
	v_lshlrev_b32_e32 v13, 3, v10
	v_sub_u32_e32 v13, v12, v13
	v_lshl_add_u32 v13, v9, 3, v13
	ds_read_b64 v[13:14], v13 offset:544
	ds_read_b64 v[15:16], v12 offset:8
	s_waitcnt lgkmcnt(0)
	v_mul_f32_e32 v17, v16, v14
	v_mul_f32_e32 v14, v15, v14
	v_fma_f32 v15, v15, v13, -v17
	v_fmac_f32_e32 v14, v16, v13
	v_add_f32_e32 v8, v8, v15
	v_add_f32_e32 v11, v11, v14
	s_or_b64 exec, exec, s[16:17]
	v_cmp_gt_u32_e64 s[12:13], 8, v1
	s_and_saveexec_b64 s[16:17], s[12:13]
	s_cbranch_execz .LBB70_154
.LBB70_1055:
	ds_read_b64 v[13:14], v6 offset:1056
	ds_read_b64 v[15:16], v12 offset:16
	s_waitcnt lgkmcnt(0)
	v_mul_f32_e32 v12, v16, v14
	v_mul_f32_e32 v14, v15, v14
	v_fma_f32 v12, v15, v13, -v12
	v_fmac_f32_e32 v14, v16, v13
	v_add_f32_e32 v8, v8, v12
	v_add_f32_e32 v11, v11, v14
	s_or_b64 exec, exec, s[16:17]
	v_cmp_gt_u32_e64 s[12:13], 4, v1
	s_and_saveexec_b64 s[16:17], s[12:13]
	s_cbranch_execnz .LBB70_155
	s_branch .LBB70_156
.LBB70_1056:
	v_lshlrev_b32_e32 v18, 3, v15
	v_sub_u32_e32 v18, v17, v18
	v_lshl_add_u32 v18, v14, 3, v18
	ds_read_b64 v[18:19], v18 offset:576
	ds_read_b64 v[20:21], v17 offset:8
	s_waitcnt lgkmcnt(0)
	v_mul_f32_e32 v22, v21, v19
	v_mul_f32_e32 v19, v20, v19
	v_fma_f32 v20, v20, v18, -v22
	v_fmac_f32_e32 v19, v21, v18
	v_add_f32_e32 v13, v13, v20
	v_add_f32_e32 v16, v16, v19
	s_or_b64 exec, exec, s[20:21]
	v_cmp_gt_u32_e64 s[14:15], 48, v1
	s_and_saveexec_b64 s[20:21], s[14:15]
	s_cbranch_execz .LBB70_192
.LBB70_1057:
	v_lshlrev_b32_e32 v18, 3, v15
	v_sub_u32_e32 v18, v17, v18
	v_lshl_add_u32 v18, v14, 3, v18
	ds_read_b64 v[18:19], v18 offset:1088
	ds_read_b64 v[20:21], v17 offset:16
	s_waitcnt lgkmcnt(0)
	v_mul_f32_e32 v22, v21, v19
	v_mul_f32_e32 v19, v20, v19
	v_fma_f32 v20, v20, v18, -v22
	v_fmac_f32_e32 v19, v21, v18
	v_add_f32_e32 v13, v13, v20
	v_add_f32_e32 v16, v16, v19
	s_or_b64 exec, exec, s[20:21]
	v_cmp_gt_u32_e64 s[14:15], 40, v1
	s_and_saveexec_b64 s[20:21], s[14:15]
	s_cbranch_execz .LBB70_193
.LBB70_1058:
	v_lshlrev_b32_e32 v18, 3, v15
	v_sub_u32_e32 v18, v17, v18
	v_lshl_add_u32 v18, v14, 3, v18
	ds_read_b64 v[18:19], v18 offset:1600
	ds_read_b64 v[20:21], v17 offset:24
	s_waitcnt lgkmcnt(0)
	v_mul_f32_e32 v22, v21, v19
	v_mul_f32_e32 v19, v20, v19
	v_fma_f32 v20, v20, v18, -v22
	v_fmac_f32_e32 v19, v21, v18
	v_add_f32_e32 v13, v13, v20
	v_add_f32_e32 v16, v16, v19
	s_or_b64 exec, exec, s[20:21]
	v_cmp_gt_u32_e64 s[14:15], 32, v1
	s_and_saveexec_b64 s[20:21], s[14:15]
	s_cbranch_execz .LBB70_194
.LBB70_1059:
	ds_read_b64 v[18:19], v11 offset:2112
	ds_read_b64 v[20:21], v17 offset:32
	s_waitcnt lgkmcnt(0)
	v_mul_f32_e32 v22, v21, v19
	v_mul_f32_e32 v19, v20, v19
	v_fma_f32 v20, v20, v18, -v22
	v_fmac_f32_e32 v19, v21, v18
	v_add_f32_e32 v13, v13, v20
	v_add_f32_e32 v16, v16, v19
	s_or_b64 exec, exec, s[20:21]
	v_cmp_gt_u32_e64 s[14:15], 24, v1
	s_and_saveexec_b64 s[20:21], s[14:15]
	s_cbranch_execz .LBB70_195
.LBB70_1060:
	v_lshlrev_b32_e32 v18, 3, v15
	v_sub_u32_e32 v18, v17, v18
	v_lshl_add_u32 v18, v14, 3, v18
	ds_read_b64 v[18:19], v18 offset:2624
	ds_read_b64 v[20:21], v17 offset:40
	s_waitcnt lgkmcnt(0)
	v_mul_f32_e32 v22, v21, v19
	v_mul_f32_e32 v19, v20, v19
	v_fma_f32 v20, v20, v18, -v22
	v_fmac_f32_e32 v19, v21, v18
	v_add_f32_e32 v13, v13, v20
	v_add_f32_e32 v16, v16, v19
	s_or_b64 exec, exec, s[20:21]
	v_cmp_gt_u32_e64 s[14:15], 16, v1
	s_and_saveexec_b64 s[20:21], s[14:15]
	s_cbranch_execz .LBB70_196
.LBB70_1061:
	ds_read_b64 v[18:19], v11 offset:3136
	ds_read_b64 v[20:21], v17 offset:48
	s_waitcnt lgkmcnt(0)
	v_mul_f32_e32 v17, v21, v19
	v_mul_f32_e32 v19, v20, v19
	v_fma_f32 v17, v20, v18, -v17
	v_fmac_f32_e32 v19, v21, v18
	v_add_f32_e32 v13, v13, v17
	v_add_f32_e32 v16, v16, v19
	s_or_b64 exec, exec, s[20:21]
	v_cmp_gt_u32_e64 s[14:15], 8, v1
	s_and_saveexec_b64 s[20:21], s[14:15]
	s_cbranch_execnz .LBB70_197
	s_branch .LBB70_198
.LBB70_1062:
	v_lshlrev_b32_e32 v19, 3, v10
	v_sub_u32_e32 v19, v17, v19
	v_lshl_add_u32 v19, v9, 3, v19
	ds_read_b64 v[19:20], v19 offset:4704
	ds_read_b64 v[21:22], v17 offset:4168
	s_waitcnt lgkmcnt(0)
	v_mul_f32_e32 v23, v22, v20
	v_mul_f32_e32 v20, v21, v20
	v_fma_f32 v21, v21, v19, -v23
	v_fmac_f32_e32 v20, v22, v19
	v_add_f32_e32 v16, v16, v21
	v_add_f32_e32 v18, v18, v20
	s_or_b64 exec, exec, s[16:17]
	v_cmp_gt_u32_e64 s[12:13], 8, v1
	s_and_saveexec_b64 s[16:17], s[12:13]
	s_cbranch_execz .LBB70_250
.LBB70_1063:
	ds_read_b64 v[19:20], v6 offset:5216
	ds_read_b64 v[21:22], v17 offset:4176
	s_waitcnt lgkmcnt(0)
	v_mul_f32_e32 v17, v22, v20
	v_mul_f32_e32 v20, v21, v20
	v_fma_f32 v17, v21, v19, -v17
	v_fmac_f32_e32 v20, v22, v19
	v_add_f32_e32 v16, v16, v17
	v_add_f32_e32 v18, v18, v20
	s_or_b64 exec, exec, s[16:17]
	v_cmp_gt_u32_e64 s[12:13], 4, v1
	s_and_saveexec_b64 s[16:17], s[12:13]
	s_cbranch_execnz .LBB70_251
	s_branch .LBB70_252
.LBB70_1064:
	v_lshlrev_b32_e32 v23, 3, v17
	v_lshl_add_u32 v23, v19, 3, v23
	ds_read_b64 v[23:24], v23 offset:5760
	ds_read_b64 v[25:26], v22 offset:88
	s_waitcnt lgkmcnt(0)
	v_mul_f32_e32 v27, v26, v24
	v_mul_f32_e32 v24, v25, v24
	v_fma_f32 v25, v25, v23, -v27
	v_fmac_f32_e32 v24, v26, v23
	v_add_f32_e32 v18, v18, v25
	v_add_f32_e32 v21, v21, v24
	s_or_b64 exec, exec, s[26:27]
	v_cmp_gt_u32_e64 s[16:17], 64, v1
	s_and_saveexec_b64 s[26:27], s[16:17]
	s_cbranch_execz .LBB70_308
.LBB70_1065:
	ds_read_b64 v[23:24], v16 offset:6272
	ds_read_b64 v[25:26], v22 offset:96
	s_waitcnt lgkmcnt(0)
	v_mul_f32_e32 v27, v26, v24
	v_mul_f32_e32 v24, v25, v24
	v_fma_f32 v25, v25, v23, -v27
	v_fmac_f32_e32 v24, v26, v23
	v_add_f32_e32 v18, v18, v25
	v_add_f32_e32 v21, v21, v24
	s_or_b64 exec, exec, s[26:27]
	v_cmp_gt_u32_e64 s[16:17], 48, v1
	s_and_saveexec_b64 s[26:27], s[16:17]
	s_cbranch_execz .LBB70_309
.LBB70_1066:
	v_lshlrev_b32_e32 v23, 3, v17
	v_lshl_add_u32 v23, v19, 3, v23
	ds_read_b64 v[23:24], v23 offset:6784
	ds_read_b64 v[25:26], v22 offset:104
	s_waitcnt lgkmcnt(0)
	v_mul_f32_e32 v27, v26, v24
	v_mul_f32_e32 v24, v25, v24
	v_fma_f32 v25, v25, v23, -v27
	v_fmac_f32_e32 v24, v26, v23
	v_add_f32_e32 v18, v18, v25
	v_add_f32_e32 v21, v21, v24
	s_or_b64 exec, exec, s[26:27]
	v_cmp_gt_u32_e64 s[16:17], 32, v1
	s_and_saveexec_b64 s[26:27], s[16:17]
	s_cbranch_execz .LBB70_310
.LBB70_1067:
	ds_read_b64 v[23:24], v16 offset:7296
	ds_read_b64 v[25:26], v22 offset:112
	s_waitcnt lgkmcnt(0)
	v_mul_f32_e32 v22, v26, v24
	v_mul_f32_e32 v24, v25, v24
	v_fma_f32 v22, v25, v23, -v22
	v_fmac_f32_e32 v24, v26, v23
	v_add_f32_e32 v18, v18, v22
	v_add_f32_e32 v21, v21, v24
	s_or_b64 exec, exec, s[26:27]
	v_cmp_gt_u32_e64 s[16:17], 16, v1
	s_and_saveexec_b64 s[26:27], s[16:17]
	s_cbranch_execnz .LBB70_311
	s_branch .LBB70_312
.LBB70_1068:
	v_lshlrev_b32_e32 v24, 3, v10
	v_sub_u32_e32 v24, v22, v24
	v_lshl_add_u32 v24, v9, 3, v24
	ds_read_b64 v[24:25], v24 offset:8864
	ds_read_b64 v[26:27], v22 offset:8328
	s_waitcnt lgkmcnt(0)
	v_mul_f32_e32 v28, v27, v25
	v_mul_f32_e32 v25, v26, v25
	v_fma_f32 v26, v26, v24, -v28
	v_fmac_f32_e32 v25, v27, v24
	v_add_f32_e32 v21, v21, v26
	v_add_f32_e32 v23, v23, v25
	s_or_b64 exec, exec, s[20:21]
	v_cmp_gt_u32_e64 s[14:15], 8, v1
	s_and_saveexec_b64 s[20:21], s[14:15]
	s_cbranch_execz .LBB70_396
.LBB70_1069:
	ds_read_b64 v[24:25], v6 offset:9376
	ds_read_b64 v[26:27], v22 offset:8336
	s_waitcnt lgkmcnt(0)
	v_mul_f32_e32 v22, v27, v25
	v_mul_f32_e32 v25, v26, v25
	v_fma_f32 v22, v26, v24, -v22
	v_fmac_f32_e32 v25, v27, v24
	v_add_f32_e32 v21, v21, v22
	v_add_f32_e32 v23, v23, v25
	s_or_b64 exec, exec, s[20:21]
	v_cmp_gt_u32_e64 s[14:15], 4, v1
	s_and_saveexec_b64 s[20:21], s[14:15]
	s_cbranch_execnz .LBB70_397
	s_branch .LBB70_398
.LBB70_1070:
	v_lshlrev_b32_e32 v24, 3, v15
	v_sub_u32_e32 v24, v22, v24
	v_lshl_add_u32 v24, v14, 3, v24
	ds_read_b64 v[24:25], v24 offset:8896
	ds_read_b64 v[26:27], v22 offset:8328
	s_waitcnt lgkmcnt(0)
	v_mul_f32_e32 v28, v27, v25
	v_mul_f32_e32 v25, v26, v25
	v_fma_f32 v26, v26, v24, -v28
	v_fmac_f32_e32 v25, v27, v24
	v_add_f32_e32 v21, v21, v26
	v_add_f32_e32 v23, v23, v25
	s_or_b64 exec, exec, s[20:21]
	v_cmp_gt_u32_e64 s[14:15], 48, v1
	s_and_saveexec_b64 s[20:21], s[14:15]
	s_cbranch_execz .LBB70_434
.LBB70_1071:
	v_lshlrev_b32_e32 v24, 3, v15
	v_sub_u32_e32 v24, v22, v24
	v_lshl_add_u32 v24, v14, 3, v24
	ds_read_b64 v[24:25], v24 offset:9408
	ds_read_b64 v[26:27], v22 offset:8336
	s_waitcnt lgkmcnt(0)
	v_mul_f32_e32 v28, v27, v25
	v_mul_f32_e32 v25, v26, v25
	v_fma_f32 v26, v26, v24, -v28
	v_fmac_f32_e32 v25, v27, v24
	v_add_f32_e32 v21, v21, v26
	v_add_f32_e32 v23, v23, v25
	s_or_b64 exec, exec, s[20:21]
	v_cmp_gt_u32_e64 s[14:15], 40, v1
	s_and_saveexec_b64 s[20:21], s[14:15]
	s_cbranch_execz .LBB70_435
.LBB70_1072:
	v_lshlrev_b32_e32 v24, 3, v15
	v_sub_u32_e32 v24, v22, v24
	v_lshl_add_u32 v24, v14, 3, v24
	ds_read_b64 v[24:25], v24 offset:9920
	ds_read_b64 v[26:27], v22 offset:8344
	s_waitcnt lgkmcnt(0)
	v_mul_f32_e32 v28, v27, v25
	v_mul_f32_e32 v25, v26, v25
	v_fma_f32 v26, v26, v24, -v28
	v_fmac_f32_e32 v25, v27, v24
	v_add_f32_e32 v21, v21, v26
	v_add_f32_e32 v23, v23, v25
	s_or_b64 exec, exec, s[20:21]
	v_cmp_gt_u32_e64 s[14:15], 32, v1
	s_and_saveexec_b64 s[20:21], s[14:15]
	s_cbranch_execz .LBB70_436
.LBB70_1073:
	ds_read_b64 v[24:25], v11 offset:10432
	ds_read_b64 v[26:27], v22 offset:8352
	s_waitcnt lgkmcnt(0)
	v_mul_f32_e32 v28, v27, v25
	v_mul_f32_e32 v25, v26, v25
	v_fma_f32 v26, v26, v24, -v28
	v_fmac_f32_e32 v25, v27, v24
	v_add_f32_e32 v21, v21, v26
	v_add_f32_e32 v23, v23, v25
	s_or_b64 exec, exec, s[20:21]
	v_cmp_gt_u32_e64 s[14:15], 24, v1
	s_and_saveexec_b64 s[20:21], s[14:15]
	s_cbranch_execz .LBB70_437
.LBB70_1074:
	v_lshlrev_b32_e32 v24, 3, v15
	v_sub_u32_e32 v24, v22, v24
	v_lshl_add_u32 v24, v14, 3, v24
	ds_read_b64 v[24:25], v24 offset:10944
	ds_read_b64 v[26:27], v22 offset:8360
	s_waitcnt lgkmcnt(0)
	v_mul_f32_e32 v28, v27, v25
	v_mul_f32_e32 v25, v26, v25
	v_fma_f32 v26, v26, v24, -v28
	v_fmac_f32_e32 v25, v27, v24
	v_add_f32_e32 v21, v21, v26
	v_add_f32_e32 v23, v23, v25
	s_or_b64 exec, exec, s[20:21]
	v_cmp_gt_u32_e64 s[14:15], 16, v1
	s_and_saveexec_b64 s[20:21], s[14:15]
	s_cbranch_execz .LBB70_438
.LBB70_1075:
	ds_read_b64 v[24:25], v11 offset:11456
	ds_read_b64 v[26:27], v22 offset:8368
	s_waitcnt lgkmcnt(0)
	v_mul_f32_e32 v22, v27, v25
	v_mul_f32_e32 v25, v26, v25
	v_fma_f32 v22, v26, v24, -v22
	v_fmac_f32_e32 v25, v27, v24
	v_add_f32_e32 v21, v21, v22
	v_add_f32_e32 v23, v23, v25
	s_or_b64 exec, exec, s[20:21]
	v_cmp_gt_u32_e64 s[14:15], 8, v1
	s_and_saveexec_b64 s[20:21], s[14:15]
	s_cbranch_execnz .LBB70_439
	s_branch .LBB70_440
.LBB70_1076:
	v_lshlrev_b32_e32 v24, 3, v10
	v_sub_u32_e32 v24, v22, v24
	v_lshl_add_u32 v24, v9, 3, v24
	ds_read_b64 v[24:25], v24 offset:13024
	ds_read_b64 v[26:27], v22 offset:12488
	s_waitcnt lgkmcnt(0)
	v_mul_f32_e32 v28, v27, v25
	v_mul_f32_e32 v25, v26, v25
	v_fma_f32 v26, v26, v24, -v28
	v_fmac_f32_e32 v25, v27, v24
	v_add_f32_e32 v21, v21, v26
	v_add_f32_e32 v23, v23, v25
	s_or_b64 exec, exec, s[20:21]
	v_cmp_gt_u32_e64 s[14:15], 8, v1
	s_and_saveexec_b64 s[20:21], s[14:15]
	s_cbranch_execz .LBB70_492
.LBB70_1077:
	ds_read_b64 v[24:25], v6 offset:13536
	ds_read_b64 v[26:27], v22 offset:12496
	s_waitcnt lgkmcnt(0)
	v_mul_f32_e32 v22, v27, v25
	v_mul_f32_e32 v25, v26, v25
	v_fma_f32 v22, v26, v24, -v22
	v_fmac_f32_e32 v25, v27, v24
	v_add_f32_e32 v21, v21, v22
	v_add_f32_e32 v23, v23, v25
	s_or_b64 exec, exec, s[20:21]
	v_cmp_gt_u32_e64 s[14:15], 4, v1
	s_and_saveexec_b64 s[20:21], s[14:15]
	s_cbranch_execnz .LBB70_493
	s_branch .LBB70_494
.LBB70_1078:
	ds_read_b64 v[29:30], v28 offset:15104
	ds_read_b64 v[31:32], v27 offset:232
	s_waitcnt lgkmcnt(0)
	v_mul_f32_e32 v33, v32, v30
	v_mul_f32_e32 v30, v31, v30
	v_fma_f32 v31, v31, v29, -v33
	v_fmac_f32_e32 v30, v32, v29
	v_add_f32_e32 v24, v24, v31
	v_add_f32_e32 v25, v25, v30
	s_or_b64 exec, exec, s[92:93]
	v_cmp_gt_u32_e64 s[20:21], 64, v1
	s_and_saveexec_b64 s[92:93], s[20:21]
	s_cbranch_execz .LBB70_586
.LBB70_1079:
	ds_read_b64 v[28:29], v28 offset:15616
	ds_read_b64 v[30:31], v27 offset:240
	s_waitcnt lgkmcnt(0)
	v_mul_f32_e32 v32, v31, v29
	v_mul_f32_e32 v29, v30, v29
	v_fma_f32 v30, v30, v28, -v32
	v_fmac_f32_e32 v29, v31, v28
	v_add_f32_e32 v24, v24, v30
	v_add_f32_e32 v25, v25, v29
	s_or_b64 exec, exec, s[92:93]
	v_cmp_gt_u32_e64 s[20:21], 32, v1
	s_and_saveexec_b64 s[92:93], s[20:21]
	s_cbranch_execnz .LBB70_587
	s_branch .LBB70_588
.LBB70_1080:
	v_lshlrev_b32_e32 v24, 3, v10
	v_sub_u32_e32 v24, v22, v24
	v_lshl_add_u32 v24, v9, 3, v24
	ds_read_b64 v[24:25], v24 offset:17184
	ds_read_b64 v[26:27], v22 offset:16648
	s_waitcnt lgkmcnt(0)
	v_mul_f32_e32 v28, v27, v25
	v_mul_f32_e32 v25, v26, v25
	v_fma_f32 v26, v26, v24, -v28
	v_fmac_f32_e32 v25, v27, v24
	v_add_f32_e32 v21, v21, v26
	v_add_f32_e32 v23, v23, v25
	s_or_b64 exec, exec, s[20:21]
	v_cmp_gt_u32_e64 s[14:15], 8, v1
	s_and_saveexec_b64 s[20:21], s[14:15]
	s_cbranch_execz .LBB70_620
.LBB70_1081:
	ds_read_b64 v[24:25], v6 offset:17696
	ds_read_b64 v[26:27], v22 offset:16656
	s_waitcnt lgkmcnt(0)
	v_mul_f32_e32 v22, v27, v25
	v_mul_f32_e32 v25, v26, v25
	v_fma_f32 v22, v26, v24, -v22
	v_fmac_f32_e32 v25, v27, v24
	v_add_f32_e32 v21, v21, v22
	v_add_f32_e32 v23, v23, v25
	s_or_b64 exec, exec, s[20:21]
	v_cmp_gt_u32_e64 s[14:15], 4, v1
	s_and_saveexec_b64 s[20:21], s[14:15]
	s_cbranch_execnz .LBB70_621
	s_branch .LBB70_622
.LBB70_1082:
	v_lshlrev_b32_e32 v24, 3, v15
	v_sub_u32_e32 v24, v22, v24
	v_lshl_add_u32 v24, v14, 3, v24
	ds_read_b64 v[24:25], v24 offset:17216
	ds_read_b64 v[26:27], v22 offset:16648
	s_waitcnt lgkmcnt(0)
	v_mul_f32_e32 v28, v27, v25
	v_mul_f32_e32 v25, v26, v25
	v_fma_f32 v26, v26, v24, -v28
	v_fmac_f32_e32 v25, v27, v24
	v_add_f32_e32 v21, v21, v26
	v_add_f32_e32 v23, v23, v25
	s_or_b64 exec, exec, s[20:21]
	v_cmp_gt_u32_e64 s[14:15], 48, v1
	s_and_saveexec_b64 s[20:21], s[14:15]
	s_cbranch_execz .LBB70_658
.LBB70_1083:
	v_lshlrev_b32_e32 v24, 3, v15
	v_sub_u32_e32 v24, v22, v24
	v_lshl_add_u32 v24, v14, 3, v24
	ds_read_b64 v[24:25], v24 offset:17728
	ds_read_b64 v[26:27], v22 offset:16656
	s_waitcnt lgkmcnt(0)
	v_mul_f32_e32 v28, v27, v25
	v_mul_f32_e32 v25, v26, v25
	v_fma_f32 v26, v26, v24, -v28
	v_fmac_f32_e32 v25, v27, v24
	v_add_f32_e32 v21, v21, v26
	v_add_f32_e32 v23, v23, v25
	s_or_b64 exec, exec, s[20:21]
	v_cmp_gt_u32_e64 s[14:15], 40, v1
	s_and_saveexec_b64 s[20:21], s[14:15]
	s_cbranch_execz .LBB70_659
.LBB70_1084:
	v_lshlrev_b32_e32 v24, 3, v15
	v_sub_u32_e32 v24, v22, v24
	v_lshl_add_u32 v24, v14, 3, v24
	ds_read_b64 v[24:25], v24 offset:18240
	ds_read_b64 v[26:27], v22 offset:16664
	s_waitcnt lgkmcnt(0)
	v_mul_f32_e32 v28, v27, v25
	v_mul_f32_e32 v25, v26, v25
	v_fma_f32 v26, v26, v24, -v28
	v_fmac_f32_e32 v25, v27, v24
	v_add_f32_e32 v21, v21, v26
	v_add_f32_e32 v23, v23, v25
	s_or_b64 exec, exec, s[20:21]
	v_cmp_gt_u32_e64 s[14:15], 32, v1
	s_and_saveexec_b64 s[20:21], s[14:15]
	s_cbranch_execz .LBB70_660
.LBB70_1085:
	ds_read_b64 v[24:25], v11 offset:18752
	ds_read_b64 v[26:27], v22 offset:16672
	s_waitcnt lgkmcnt(0)
	v_mul_f32_e32 v28, v27, v25
	v_mul_f32_e32 v25, v26, v25
	v_fma_f32 v26, v26, v24, -v28
	v_fmac_f32_e32 v25, v27, v24
	v_add_f32_e32 v21, v21, v26
	v_add_f32_e32 v23, v23, v25
	s_or_b64 exec, exec, s[20:21]
	v_cmp_gt_u32_e64 s[14:15], 24, v1
	s_and_saveexec_b64 s[20:21], s[14:15]
	s_cbranch_execz .LBB70_661
.LBB70_1086:
	v_lshlrev_b32_e32 v24, 3, v15
	v_sub_u32_e32 v24, v22, v24
	v_lshl_add_u32 v24, v14, 3, v24
	ds_read_b64 v[24:25], v24 offset:19264
	ds_read_b64 v[26:27], v22 offset:16680
	s_waitcnt lgkmcnt(0)
	v_mul_f32_e32 v28, v27, v25
	v_mul_f32_e32 v25, v26, v25
	v_fma_f32 v26, v26, v24, -v28
	v_fmac_f32_e32 v25, v27, v24
	v_add_f32_e32 v21, v21, v26
	v_add_f32_e32 v23, v23, v25
	s_or_b64 exec, exec, s[20:21]
	v_cmp_gt_u32_e64 s[14:15], 16, v1
	s_and_saveexec_b64 s[20:21], s[14:15]
	s_cbranch_execz .LBB70_662
.LBB70_1087:
	ds_read_b64 v[24:25], v11 offset:19776
	ds_read_b64 v[26:27], v22 offset:16688
	s_waitcnt lgkmcnt(0)
	v_mul_f32_e32 v22, v27, v25
	v_mul_f32_e32 v25, v26, v25
	v_fma_f32 v22, v26, v24, -v22
	v_fmac_f32_e32 v25, v27, v24
	v_add_f32_e32 v21, v21, v22
	v_add_f32_e32 v23, v23, v25
	s_or_b64 exec, exec, s[20:21]
	v_cmp_gt_u32_e64 s[14:15], 8, v1
	s_and_saveexec_b64 s[20:21], s[14:15]
	s_cbranch_execnz .LBB70_663
	s_branch .LBB70_664
.LBB70_1088:
	v_lshlrev_b32_e32 v24, 3, v10
	v_sub_u32_e32 v24, v22, v24
	v_lshl_add_u32 v24, v9, 3, v24
	ds_read_b64 v[24:25], v24 offset:21344
	ds_read_b64 v[26:27], v22 offset:20808
	s_waitcnt lgkmcnt(0)
	v_mul_f32_e32 v28, v27, v25
	v_mul_f32_e32 v25, v26, v25
	v_fma_f32 v26, v26, v24, -v28
	v_fmac_f32_e32 v25, v27, v24
	v_add_f32_e32 v21, v21, v26
	v_add_f32_e32 v23, v23, v25
	s_or_b64 exec, exec, s[20:21]
	v_cmp_gt_u32_e64 s[14:15], 8, v1
	s_and_saveexec_b64 s[20:21], s[14:15]
	s_cbranch_execz .LBB70_716
.LBB70_1089:
	ds_read_b64 v[24:25], v6 offset:21856
	ds_read_b64 v[26:27], v22 offset:20816
	s_waitcnt lgkmcnt(0)
	v_mul_f32_e32 v22, v27, v25
	v_mul_f32_e32 v25, v26, v25
	v_fma_f32 v22, v26, v24, -v22
	v_fmac_f32_e32 v25, v27, v24
	v_add_f32_e32 v21, v21, v22
	v_add_f32_e32 v23, v23, v25
	s_or_b64 exec, exec, s[20:21]
	v_cmp_gt_u32_e64 s[14:15], 4, v1
	s_and_saveexec_b64 s[20:21], s[14:15]
	s_cbranch_execnz .LBB70_717
	s_branch .LBB70_718
.LBB70_1090:
	v_lshlrev_b32_e32 v20, 3, v17
	v_lshl_add_u32 v20, v19, 3, v20
	ds_read_b64 v[24:25], v20 offset:22400
	ds_read_b64 v[26:27], v22 offset:16728
	s_waitcnt lgkmcnt(0)
	v_mul_f32_e32 v20, v27, v25
	v_mul_f32_e32 v25, v26, v25
	v_fma_f32 v20, v26, v24, -v20
	v_fmac_f32_e32 v25, v27, v24
	v_add_f32_e32 v21, v21, v20
	v_add_f32_e32 v23, v23, v25
	s_or_b64 exec, exec, s[20:21]
	v_cmp_gt_u32_e64 s[14:15], 64, v1
	s_and_saveexec_b64 s[20:21], s[14:15]
	s_cbranch_execz .LBB70_774
.LBB70_1091:
	ds_read_b64 v[24:25], v16 offset:22912
	ds_read_b64 v[26:27], v22 offset:16736
	s_waitcnt lgkmcnt(0)
	v_mul_f32_e32 v20, v27, v25
	v_mul_f32_e32 v25, v26, v25
	v_fma_f32 v20, v26, v24, -v20
	v_fmac_f32_e32 v25, v27, v24
	v_add_f32_e32 v21, v21, v20
	v_add_f32_e32 v23, v23, v25
	s_or_b64 exec, exec, s[20:21]
	v_cmp_gt_u32_e64 s[14:15], 48, v1
	s_and_saveexec_b64 s[20:21], s[14:15]
	s_cbranch_execz .LBB70_775
.LBB70_1092:
	v_lshlrev_b32_e32 v20, 3, v17
	v_lshl_add_u32 v19, v19, 3, v20
	ds_read_b64 v[19:20], v19 offset:23424
	ds_read_b64 v[24:25], v22 offset:16744
	s_waitcnt lgkmcnt(0)
	v_mul_f32_e32 v26, v25, v20
	v_mul_f32_e32 v20, v24, v20
	v_fma_f32 v24, v24, v19, -v26
	v_fmac_f32_e32 v20, v25, v19
	v_add_f32_e32 v21, v21, v24
	v_add_f32_e32 v23, v23, v20
	s_or_b64 exec, exec, s[20:21]
	v_cmp_gt_u32_e64 s[14:15], 32, v1
	s_and_saveexec_b64 s[20:21], s[14:15]
	s_cbranch_execz .LBB70_776
.LBB70_1093:
	ds_read_b64 v[19:20], v16 offset:23936
	ds_read_b64 v[24:25], v22 offset:16752
	s_waitcnt lgkmcnt(0)
	v_mul_f32_e32 v22, v25, v20
	v_mul_f32_e32 v20, v24, v20
	v_fma_f32 v22, v24, v19, -v22
	v_fmac_f32_e32 v20, v25, v19
	v_add_f32_e32 v21, v21, v22
	v_add_f32_e32 v23, v23, v20
	s_or_b64 exec, exec, s[20:21]
	v_cmp_gt_u32_e64 s[14:15], 16, v1
	s_and_saveexec_b64 s[20:21], s[14:15]
	s_cbranch_execnz .LBB70_777
	s_branch .LBB70_778
.LBB70_1094:
	v_lshlrev_b32_e32 v19, 3, v10
	v_sub_u32_e32 v19, v17, v19
	v_lshl_add_u32 v19, v9, 3, v19
	ds_read_b64 v[19:20], v19 offset:25504
	ds_read_b64 v[21:22], v17 offset:24968
	s_waitcnt lgkmcnt(0)
	v_mul_f32_e32 v23, v22, v20
	v_mul_f32_e32 v20, v21, v20
	v_fma_f32 v21, v21, v19, -v23
	v_fmac_f32_e32 v20, v22, v19
	v_add_f32_e32 v16, v16, v21
	v_add_f32_e32 v18, v18, v20
	s_or_b64 exec, exec, s[16:17]
	v_cmp_gt_u32_e64 s[12:13], 8, v1
	s_and_saveexec_b64 s[16:17], s[12:13]
	s_cbranch_execz .LBB70_862
.LBB70_1095:
	ds_read_b64 v[19:20], v6 offset:26016
	ds_read_b64 v[21:22], v17 offset:24976
	s_waitcnt lgkmcnt(0)
	v_mul_f32_e32 v17, v22, v20
	v_mul_f32_e32 v20, v21, v20
	v_fma_f32 v17, v21, v19, -v17
	v_fmac_f32_e32 v20, v22, v19
	v_add_f32_e32 v16, v16, v17
	v_add_f32_e32 v18, v18, v20
	s_or_b64 exec, exec, s[16:17]
	v_cmp_gt_u32_e64 s[12:13], 4, v1
	s_and_saveexec_b64 s[16:17], s[12:13]
	s_cbranch_execnz .LBB70_863
	s_branch .LBB70_864
.LBB70_1096:
	v_lshlrev_b32_e32 v19, 3, v15
	v_sub_u32_e32 v19, v17, v19
	v_lshl_add_u32 v19, v14, 3, v19
	ds_read_b64 v[19:20], v19 offset:25536
	ds_read_b64 v[21:22], v17 offset:24968
	s_waitcnt lgkmcnt(0)
	v_mul_f32_e32 v23, v22, v20
	v_mul_f32_e32 v20, v21, v20
	v_fma_f32 v21, v21, v19, -v23
	v_fmac_f32_e32 v20, v22, v19
	v_add_f32_e32 v16, v16, v21
	v_add_f32_e32 v18, v18, v20
	s_or_b64 exec, exec, s[16:17]
	v_cmp_gt_u32_e64 s[12:13], 48, v1
	s_and_saveexec_b64 s[16:17], s[12:13]
	s_cbranch_execz .LBB70_900
.LBB70_1097:
	v_lshlrev_b32_e32 v19, 3, v15
	v_sub_u32_e32 v19, v17, v19
	v_lshl_add_u32 v19, v14, 3, v19
	ds_read_b64 v[19:20], v19 offset:26048
	ds_read_b64 v[21:22], v17 offset:24976
	s_waitcnt lgkmcnt(0)
	v_mul_f32_e32 v23, v22, v20
	v_mul_f32_e32 v20, v21, v20
	v_fma_f32 v21, v21, v19, -v23
	v_fmac_f32_e32 v20, v22, v19
	v_add_f32_e32 v16, v16, v21
	v_add_f32_e32 v18, v18, v20
	s_or_b64 exec, exec, s[16:17]
	v_cmp_gt_u32_e64 s[12:13], 40, v1
	s_and_saveexec_b64 s[16:17], s[12:13]
	s_cbranch_execz .LBB70_901
.LBB70_1098:
	v_lshlrev_b32_e32 v19, 3, v15
	v_sub_u32_e32 v19, v17, v19
	v_lshl_add_u32 v19, v14, 3, v19
	ds_read_b64 v[19:20], v19 offset:26560
	ds_read_b64 v[21:22], v17 offset:24984
	s_waitcnt lgkmcnt(0)
	v_mul_f32_e32 v23, v22, v20
	v_mul_f32_e32 v20, v21, v20
	v_fma_f32 v21, v21, v19, -v23
	v_fmac_f32_e32 v20, v22, v19
	v_add_f32_e32 v16, v16, v21
	v_add_f32_e32 v18, v18, v20
	s_or_b64 exec, exec, s[16:17]
	v_cmp_gt_u32_e64 s[12:13], 32, v1
	s_and_saveexec_b64 s[16:17], s[12:13]
	s_cbranch_execz .LBB70_902
.LBB70_1099:
	ds_read_b64 v[19:20], v11 offset:27072
	ds_read_b64 v[21:22], v17 offset:24992
	s_waitcnt lgkmcnt(0)
	v_mul_f32_e32 v23, v22, v20
	v_mul_f32_e32 v20, v21, v20
	v_fma_f32 v21, v21, v19, -v23
	v_fmac_f32_e32 v20, v22, v19
	v_add_f32_e32 v16, v16, v21
	v_add_f32_e32 v18, v18, v20
	s_or_b64 exec, exec, s[16:17]
	v_cmp_gt_u32_e64 s[12:13], 24, v1
	s_and_saveexec_b64 s[16:17], s[12:13]
	s_cbranch_execz .LBB70_903
.LBB70_1100:
	v_lshlrev_b32_e32 v15, 3, v15
	v_sub_u32_e32 v15, v17, v15
	v_lshl_add_u32 v14, v14, 3, v15
	ds_read_b64 v[14:15], v14 offset:27584
	ds_read_b64 v[19:20], v17 offset:25000
	s_waitcnt lgkmcnt(0)
	v_mul_f32_e32 v21, v20, v15
	v_mul_f32_e32 v15, v19, v15
	v_fma_f32 v19, v19, v14, -v21
	v_fmac_f32_e32 v15, v20, v14
	v_add_f32_e32 v16, v16, v19
	v_add_f32_e32 v18, v18, v15
	s_or_b64 exec, exec, s[16:17]
	v_cmp_gt_u32_e64 s[12:13], 16, v1
	s_and_saveexec_b64 s[16:17], s[12:13]
	s_cbranch_execz .LBB70_904
.LBB70_1101:
	ds_read_b64 v[14:15], v11 offset:28096
	ds_read_b64 v[19:20], v17 offset:25008
	s_waitcnt lgkmcnt(0)
	v_mul_f32_e32 v17, v20, v15
	v_mul_f32_e32 v15, v19, v15
	v_fma_f32 v17, v19, v14, -v17
	v_fmac_f32_e32 v15, v20, v14
	v_add_f32_e32 v16, v16, v17
	v_add_f32_e32 v18, v18, v15
	s_or_b64 exec, exec, s[16:17]
	v_cmp_gt_u32_e64 s[12:13], 8, v1
	s_and_saveexec_b64 s[16:17], s[12:13]
	s_cbranch_execnz .LBB70_905
	s_branch .LBB70_906
.LBB70_1102:
	v_lshlrev_b32_e32 v10, 3, v10
	v_sub_u32_e32 v10, v12, v10
	v_lshl_add_u32 v9, v9, 3, v10
	ds_read_b64 v[9:10], v9 offset:29664
	ds_read_b64 v[14:15], v12 offset:29128
	s_waitcnt lgkmcnt(0)
	v_mul_f32_e32 v16, v15, v10
	v_mul_f32_e32 v10, v14, v10
	v_fma_f32 v14, v14, v9, -v16
	v_fmac_f32_e32 v10, v15, v9
	v_add_f32_e32 v11, v11, v14
	v_add_f32_e32 v13, v13, v10
	s_or_b64 exec, exec, s[14:15]
	v_cmp_gt_u32_e64 s[10:11], 8, v1
	s_and_saveexec_b64 s[14:15], s[10:11]
	s_cbranch_execz .LBB70_958
.LBB70_1103:
	ds_read_b64 v[9:10], v6 offset:30176
	ds_read_b64 v[14:15], v12 offset:29136
	s_waitcnt lgkmcnt(0)
	v_mul_f32_e32 v12, v15, v10
	v_mul_f32_e32 v10, v14, v10
	v_fma_f32 v12, v14, v9, -v12
	v_fmac_f32_e32 v10, v15, v9
	v_add_f32_e32 v11, v11, v12
	v_add_f32_e32 v13, v13, v10
	s_or_b64 exec, exec, s[14:15]
	v_cmp_gt_u32_e64 s[10:11], 4, v1
	s_and_saveexec_b64 s[14:15], s[10:11]
	s_cbranch_execnz .LBB70_959
	s_branch .LBB70_960
	.section	.rodata,"a",@progbits
	.p2align	6, 0x0
	.amdhsa_kernel _ZL19rocblas_trsv_deviceILi64ELi16ELb1ELb0ELb0ELb0E19rocblas_complex_numIfES1_PKS1_PS1_EviT7_lllT6_T8_lllPii
		.amdhsa_group_segment_fixed_size 41480
		.amdhsa_private_segment_fixed_size 48
		.amdhsa_kernarg_size 352
		.amdhsa_user_sgpr_count 8
		.amdhsa_user_sgpr_private_segment_buffer 1
		.amdhsa_user_sgpr_dispatch_ptr 0
		.amdhsa_user_sgpr_queue_ptr 0
		.amdhsa_user_sgpr_kernarg_segment_ptr 1
		.amdhsa_user_sgpr_dispatch_id 0
		.amdhsa_user_sgpr_flat_scratch_init 1
		.amdhsa_user_sgpr_private_segment_size 0
		.amdhsa_uses_dynamic_stack 0
		.amdhsa_system_sgpr_private_segment_wavefront_offset 1
		.amdhsa_system_sgpr_workgroup_id_x 1
		.amdhsa_system_sgpr_workgroup_id_y 0
		.amdhsa_system_sgpr_workgroup_id_z 1
		.amdhsa_system_sgpr_workgroup_info 0
		.amdhsa_system_vgpr_workitem_id 1
		.amdhsa_next_free_vgpr 49
		.amdhsa_next_free_sgpr 100
		.amdhsa_reserve_vcc 1
		.amdhsa_reserve_flat_scratch 1
		.amdhsa_float_round_mode_32 0
		.amdhsa_float_round_mode_16_64 0
		.amdhsa_float_denorm_mode_32 3
		.amdhsa_float_denorm_mode_16_64 3
		.amdhsa_dx10_clamp 1
		.amdhsa_ieee_mode 1
		.amdhsa_fp16_overflow 0
		.amdhsa_exception_fp_ieee_invalid_op 0
		.amdhsa_exception_fp_denorm_src 0
		.amdhsa_exception_fp_ieee_div_zero 0
		.amdhsa_exception_fp_ieee_overflow 0
		.amdhsa_exception_fp_ieee_underflow 0
		.amdhsa_exception_fp_ieee_inexact 0
		.amdhsa_exception_int_div_zero 0
	.end_amdhsa_kernel
	.section	.text._ZL19rocblas_trsv_deviceILi64ELi16ELb1ELb0ELb0ELb0E19rocblas_complex_numIfES1_PKS1_PS1_EviT7_lllT6_T8_lllPii,"axG",@progbits,_ZL19rocblas_trsv_deviceILi64ELi16ELb1ELb0ELb0ELb0E19rocblas_complex_numIfES1_PKS1_PS1_EviT7_lllT6_T8_lllPii,comdat
.Lfunc_end70:
	.size	_ZL19rocblas_trsv_deviceILi64ELi16ELb1ELb0ELb0ELb0E19rocblas_complex_numIfES1_PKS1_PS1_EviT7_lllT6_T8_lllPii, .Lfunc_end70-_ZL19rocblas_trsv_deviceILi64ELi16ELb1ELb0ELb0ELb0E19rocblas_complex_numIfES1_PKS1_PS1_EviT7_lllT6_T8_lllPii
                                        ; -- End function
	.set _ZL19rocblas_trsv_deviceILi64ELi16ELb1ELb0ELb0ELb0E19rocblas_complex_numIfES1_PKS1_PS1_EviT7_lllT6_T8_lllPii.num_vgpr, 35
	.set _ZL19rocblas_trsv_deviceILi64ELi16ELb1ELb0ELb0ELb0E19rocblas_complex_numIfES1_PKS1_PS1_EviT7_lllT6_T8_lllPii.num_agpr, 0
	.set _ZL19rocblas_trsv_deviceILi64ELi16ELb1ELb0ELb0ELb0E19rocblas_complex_numIfES1_PKS1_PS1_EviT7_lllT6_T8_lllPii.numbered_sgpr, 100
	.set _ZL19rocblas_trsv_deviceILi64ELi16ELb1ELb0ELb0ELb0E19rocblas_complex_numIfES1_PKS1_PS1_EviT7_lllT6_T8_lllPii.num_named_barrier, 0
	.set _ZL19rocblas_trsv_deviceILi64ELi16ELb1ELb0ELb0ELb0E19rocblas_complex_numIfES1_PKS1_PS1_EviT7_lllT6_T8_lllPii.private_seg_size, 48
	.set _ZL19rocblas_trsv_deviceILi64ELi16ELb1ELb0ELb0ELb0E19rocblas_complex_numIfES1_PKS1_PS1_EviT7_lllT6_T8_lllPii.uses_vcc, 1
	.set _ZL19rocblas_trsv_deviceILi64ELi16ELb1ELb0ELb0ELb0E19rocblas_complex_numIfES1_PKS1_PS1_EviT7_lllT6_T8_lllPii.uses_flat_scratch, 1
	.set _ZL19rocblas_trsv_deviceILi64ELi16ELb1ELb0ELb0ELb0E19rocblas_complex_numIfES1_PKS1_PS1_EviT7_lllT6_T8_lllPii.has_dyn_sized_stack, 0
	.set _ZL19rocblas_trsv_deviceILi64ELi16ELb1ELb0ELb0ELb0E19rocblas_complex_numIfES1_PKS1_PS1_EviT7_lllT6_T8_lllPii.has_recursion, 0
	.set _ZL19rocblas_trsv_deviceILi64ELi16ELb1ELb0ELb0ELb0E19rocblas_complex_numIfES1_PKS1_PS1_EviT7_lllT6_T8_lllPii.has_indirect_call, 0
	.section	.AMDGPU.csdata,"",@progbits
; Kernel info:
; codeLenInByte = 44376
; TotalNumSgprs: 106
; NumVgprs: 35
; ScratchSize: 48
; MemoryBound: 1
; FloatMode: 240
; IeeeMode: 1
; LDSByteSize: 41480 bytes/workgroup (compile time only)
; SGPRBlocks: 13
; VGPRBlocks: 12
; NumSGPRsForWavesPerEU: 106
; NumVGPRsForWavesPerEU: 49
; Occupancy: 4
; WaveLimiterHint : 0
; COMPUTE_PGM_RSRC2:SCRATCH_EN: 1
; COMPUTE_PGM_RSRC2:USER_SGPR: 8
; COMPUTE_PGM_RSRC2:TRAP_HANDLER: 0
; COMPUTE_PGM_RSRC2:TGID_X_EN: 1
; COMPUTE_PGM_RSRC2:TGID_Y_EN: 0
; COMPUTE_PGM_RSRC2:TGID_Z_EN: 1
; COMPUTE_PGM_RSRC2:TIDIG_COMP_CNT: 1
	.section	.text._ZL19rocblas_trsv_deviceILi64ELi16ELb1ELb1ELb0ELb0E19rocblas_complex_numIfES1_PKS1_PS1_EviT7_lllT6_T8_lllPii,"axG",@progbits,_ZL19rocblas_trsv_deviceILi64ELi16ELb1ELb1ELb0ELb0E19rocblas_complex_numIfES1_PKS1_PS1_EviT7_lllT6_T8_lllPii,comdat
	.globl	_ZL19rocblas_trsv_deviceILi64ELi16ELb1ELb1ELb0ELb0E19rocblas_complex_numIfES1_PKS1_PS1_EviT7_lllT6_T8_lllPii ; -- Begin function _ZL19rocblas_trsv_deviceILi64ELi16ELb1ELb1ELb0ELb0E19rocblas_complex_numIfES1_PKS1_PS1_EviT7_lllT6_T8_lllPii
	.p2align	8
	.type	_ZL19rocblas_trsv_deviceILi64ELi16ELb1ELb1ELb0ELb0E19rocblas_complex_numIfES1_PKS1_PS1_EviT7_lllT6_T8_lllPii,@function
_ZL19rocblas_trsv_deviceILi64ELi16ELb1ELb1ELb0ELb0E19rocblas_complex_numIfES1_PKS1_PS1_EviT7_lllT6_T8_lllPii: ; @_ZL19rocblas_trsv_deviceILi64ELi16ELb1ELb1ELb0ELb0E19rocblas_complex_numIfES1_PKS1_PS1_EviT7_lllT6_T8_lllPii
; %bb.0:
	s_load_dwordx8 s[24:31], s[4:5], 0x8
	s_load_dword s36, s[4:5], 0x0
	s_add_u32 flat_scratch_lo, s6, s10
	s_addc_u32 flat_scratch_hi, s7, 0
	s_add_u32 s0, s0, s10
	s_waitcnt lgkmcnt(0)
	s_mul_i32 s6, s31, s9
	s_mul_hi_u32 s7, s30, s9
	s_addc_u32 s1, s1, 0
	s_add_i32 s7, s7, s6
	s_mul_i32 s6, s30, s9
	s_load_dword s11, s[4:5], 0x60
	s_lshl_b64 s[6:7], s[6:7], 3
	s_mov_b32 s34, s9
	s_add_u32 s9, s24, s6
	s_addc_u32 s10, s25, s7
	s_lshl_b64 s[6:7], s[26:27], 3
	s_load_dword s24, s[4:5], 0x6c
	s_add_u32 s91, s9, s6
	s_addc_u32 s92, s10, s7
	s_waitcnt lgkmcnt(0)
	s_add_i32 s9, s11, -1
	s_sub_i32 s93, s9, s8
	v_mov_b32_e32 v2, v1
	s_cmp_lg_u32 s8, 0
	s_mov_b32 s35, 0
	s_cbranch_scc0 .LBB71_1111
; %bb.1:
	s_lshl_b32 s33, s93, 6
	v_add_u32_e32 v1, s33, v0
	v_ashrrev_i32_e32 v3, 31, v1
	v_mul_lo_u32 v7, s28, v3
	v_mul_lo_u32 v8, s29, v1
	v_mad_u64_u32 v[3:4], s[6:7], s28, v1, 0
	v_add3_u32 v5, v2, s33, 64
	v_ashrrev_i32_e32 v6, 31, v5
	v_add3_u32 v4, v4, v7, v8
	v_lshlrev_b64 v[3:4], 3, v[3:4]
	v_mov_b32_e32 v7, s92
	v_add_co_u32_e64 v8, s[6:7], s91, v3
	v_addc_co_u32_e64 v7, s[6:7], v7, v4, s[6:7]
	v_lshlrev_b64 v[3:4], 3, v[5:6]
	v_cmp_gt_i32_e32 vcc, s36, v1
	v_add_co_u32_e64 v3, s[6:7], v8, v3
	v_addc_co_u32_e64 v4, s[6:7], v7, v4, s[6:7]
	v_max_i32_e32 v1, v5, v1
	v_cmp_le_i32_e64 s[6:7], s36, v1
	s_barrier
	s_and_saveexec_b64 s[10:11], s[6:7]
	s_xor_b64 s[6:7], exec, s[10:11]
	s_cbranch_execz .LBB71_3
; %bb.2:
	v_mov_b32_e32 v1, 0
	buffer_store_dword v1, off, s[0:3], 0
	buffer_store_dword v1, off, s[0:3], 0 offset:4
.LBB71_3:
	s_andn2_saveexec_b64 s[6:7], s[6:7]
	s_cbranch_execz .LBB71_5
; %bb.4:
	global_load_dwordx2 v[6:7], v[3:4], off
	s_waitcnt vmcnt(0)
	buffer_store_dword v7, off, s[0:3], 0 offset:4
	buffer_store_dword v6, off, s[0:3], 0
.LBB71_5:
	s_or_b64 exec, exec, s[6:7]
	v_add_u32_e32 v1, 16, v5
	v_cmp_le_i32_e64 s[6:7], s36, v1
	s_xor_b64 s[10:11], vcc, -1
	s_or_b64 s[6:7], s[6:7], s[10:11]
	s_waitcnt vmcnt(0)
	s_barrier
	s_and_saveexec_b64 s[12:13], s[6:7]
	s_xor_b64 s[6:7], exec, s[12:13]
	s_cbranch_execz .LBB71_7
; %bb.6:
	v_mov_b32_e32 v1, 0
	buffer_store_dword v1, off, s[0:3], 0 offset:8
	buffer_store_dword v1, off, s[0:3], 0 offset:12
.LBB71_7:
	s_andn2_saveexec_b64 s[6:7], s[6:7]
	s_cbranch_execz .LBB71_9
; %bb.8:
	global_load_dwordx2 v[6:7], v[3:4], off offset:128
	s_waitcnt vmcnt(0)
	buffer_store_dword v7, off, s[0:3], 0 offset:12
	buffer_store_dword v6, off, s[0:3], 0 offset:8
.LBB71_9:
	s_or_b64 exec, exec, s[6:7]
	v_add_u32_e32 v1, 32, v5
	v_cmp_le_i32_e32 vcc, s36, v1
	s_or_b64 s[6:7], vcc, s[10:11]
	s_waitcnt vmcnt(0)
	s_barrier
	s_and_saveexec_b64 s[12:13], s[6:7]
	s_xor_b64 s[6:7], exec, s[12:13]
	s_cbranch_execz .LBB71_11
; %bb.10:
	v_mov_b32_e32 v1, 0
	buffer_store_dword v1, off, s[0:3], 0 offset:16
	buffer_store_dword v1, off, s[0:3], 0 offset:20
.LBB71_11:
	s_andn2_saveexec_b64 s[6:7], s[6:7]
	s_cbranch_execz .LBB71_13
; %bb.12:
	global_load_dwordx2 v[6:7], v[3:4], off offset:256
	s_waitcnt vmcnt(0)
	buffer_store_dword v7, off, s[0:3], 0 offset:20
	buffer_store_dword v6, off, s[0:3], 0 offset:16
.LBB71_13:
	s_or_b64 exec, exec, s[6:7]
	v_add_u32_e32 v1, 48, v5
	v_cmp_le_i32_e32 vcc, s36, v1
	s_or_b64 s[6:7], vcc, s[10:11]
	s_waitcnt vmcnt(0)
	s_barrier
	s_and_saveexec_b64 s[10:11], s[6:7]
	s_xor_b64 s[6:7], exec, s[10:11]
	s_cbranch_execz .LBB71_15
; %bb.14:
	v_mov_b32_e32 v1, 0
	buffer_store_dword v1, off, s[0:3], 0 offset:24
	buffer_store_dword v1, off, s[0:3], 0 offset:28
                                        ; implicit-def: $vgpr3_vgpr4
.LBB71_15:
	s_andn2_saveexec_b64 s[6:7], s[6:7]
	s_cbranch_execz .LBB71_17
; %bb.16:
	global_load_dwordx2 v[3:4], v[3:4], off offset:384
	s_waitcnt vmcnt(0)
	buffer_store_dword v4, off, s[0:3], 0 offset:28
	buffer_store_dword v3, off, s[0:3], 0 offset:24
.LBB71_17:
	s_or_b64 exec, exec, s[6:7]
	s_branch .LBB71_19
.LBB71_18:
	s_lshl_b32 s33, s93, 6
.LBB71_19:
	s_ashr_i32 s37, s36, 31
	s_lshr_b32 s6, s37, 26
	s_add_i32 s6, s36, s6
	s_andn2_b32 s6, s6, 63
	s_sub_i32 s90, s36, s6
	s_add_i32 s6, s36, -1
	s_ashr_i32 s7, s6, 31
	s_lshr_b32 s7, s7, 26
	s_add_i32 s6, s6, s7
	s_ashr_i32 s6, s6, 6
	s_cmp_eq_u32 s6, s93
	s_cselect_b64 s[6:7], -1, 0
	s_cmp_lg_u32 s90, 0
	s_cselect_b64 s[10:11], -1, 0
	s_and_b64 s[26:27], s[10:11], s[6:7]
	s_cmp_lt_i32 s8, 5
	s_cselect_b64 s[12:13], -1, 0
	s_or_b64 s[6:7], s[12:13], s[26:27]
	s_ashr_i32 s44, s33, 31
	s_add_u32 s14, s28, 1
	v_mov_b32_e32 v1, 0
	v_mov_b32_e32 v3, s33
	v_mad_u64_u32 v[3:4], s[10:11], s14, v3, v[0:1]
	s_addc_u32 s15, s29, 0
	s_mul_i32 s10, s14, s44
	s_mul_i32 s15, s15, s33
	v_lshlrev_b32_e32 v9, 6, v0
	s_add_i32 s10, s10, s15
	s_mov_b64 s[16:17], -1
	v_add_u32_e32 v4, s10, v4
	s_and_b64 vcc, exec, s[26:27]
	v_add_u32_e32 v10, v2, v9
	v_cmp_le_u32_e64 s[10:11], v0, v2
	v_lshl_add_u32 v1, v2, 6, v0
	s_cbranch_vccnz .LBB71_77
; %bb.20:
	v_mad_u64_u32 v[5:6], s[14:15], s28, v2, v[3:4]
	v_cndmask_b32_e64 v11, v1, v10, s[12:13]
	v_mad_u64_u32 v[6:7], s[14:15], s29, v2, v[6:7]
	s_and_saveexec_b64 s[12:13], s[10:11]
	s_xor_b64 s[10:11], exec, s[12:13]
	s_cbranch_execz .LBB71_32
; %bb.21:
	v_cmp_ne_u32_e32 vcc, v0, v2
	s_and_saveexec_b64 s[12:13], vcc
	s_xor_b64 s[12:13], exec, s[12:13]
	s_cbranch_execz .LBB71_25
; %bb.22:
	v_or_b32_e32 v5, v2, v0
	v_cmp_gt_u32_e32 vcc, 64, v5
	s_and_saveexec_b64 s[14:15], vcc
; %bb.23:
	v_mov_b32_e32 v5, 0
	v_lshlrev_b32_e32 v7, 3, v11
	v_mov_b32_e32 v6, v5
	ds_write_b64 v7, v[5:6]
; %bb.24:
	s_or_b64 exec, exec, s[14:15]
                                        ; implicit-def: $vgpr11
                                        ; implicit-def: $vgpr5_vgpr6
.LBB71_25:
	s_andn2_saveexec_b64 s[12:13], s[12:13]
	s_cbranch_execz .LBB71_31
; %bb.26:
	v_lshlrev_b64 v[5:6], 3, v[5:6]
	v_mov_b32_e32 v7, s92
	v_add_co_u32_e32 v5, vcc, s91, v5
	v_addc_co_u32_e32 v6, vcc, v7, v6, vcc
	global_load_dwordx2 v[5:6], v[5:6], off
                                        ; implicit-def: $vgpr7
	s_waitcnt vmcnt(0)
	v_cmp_ngt_f32_e64 s[14:15], |v5|, |v6|
	s_and_saveexec_b64 s[16:17], s[14:15]
	s_xor_b64 s[14:15], exec, s[16:17]
	s_cbranch_execz .LBB71_28
; %bb.27:
	v_div_scale_f32 v7, s[16:17], v6, v6, v5
	v_div_scale_f32 v8, vcc, v5, v6, v5
	v_rcp_f32_e32 v12, v7
	v_fma_f32 v13, -v7, v12, 1.0
	v_fmac_f32_e32 v12, v13, v12
	v_mul_f32_e32 v13, v8, v12
	v_fma_f32 v14, -v7, v13, v8
	v_fmac_f32_e32 v13, v14, v12
	v_fma_f32 v7, -v7, v13, v8
	v_div_fmas_f32 v7, v7, v12, v13
	v_div_fixup_f32 v7, v7, v6, v5
	v_fmac_f32_e32 v6, v5, v7
	v_div_scale_f32 v5, s[16:17], v6, v6, 1.0
	v_div_scale_f32 v8, vcc, 1.0, v6, 1.0
	v_rcp_f32_e32 v12, v5
	v_fma_f32 v13, -v5, v12, 1.0
	v_fmac_f32_e32 v12, v13, v12
	v_mul_f32_e32 v13, v8, v12
	v_fma_f32 v14, -v5, v13, v8
	v_fmac_f32_e32 v13, v14, v12
	v_fma_f32 v5, -v5, v13, v8
	v_div_fmas_f32 v5, v5, v12, v13
	v_div_fixup_f32 v5, v5, v6, 1.0
	v_mul_f32_e32 v7, v7, v5
	v_xor_b32_e32 v8, 0x80000000, v5
                                        ; implicit-def: $vgpr5_vgpr6
.LBB71_28:
	s_andn2_saveexec_b64 s[14:15], s[14:15]
	s_cbranch_execz .LBB71_30
; %bb.29:
	v_div_scale_f32 v7, s[16:17], v5, v5, v6
	v_div_scale_f32 v8, vcc, v6, v5, v6
	v_rcp_f32_e32 v12, v7
	v_fma_f32 v13, -v7, v12, 1.0
	v_fmac_f32_e32 v12, v13, v12
	v_mul_f32_e32 v13, v8, v12
	v_fma_f32 v14, -v7, v13, v8
	v_fmac_f32_e32 v13, v14, v12
	v_fma_f32 v7, -v7, v13, v8
	v_div_fmas_f32 v7, v7, v12, v13
	v_div_fixup_f32 v8, v7, v5, v6
	v_fmac_f32_e32 v5, v6, v8
	v_div_scale_f32 v6, s[16:17], v5, v5, 1.0
	v_div_scale_f32 v7, vcc, 1.0, v5, 1.0
	v_rcp_f32_e32 v12, v6
	v_fma_f32 v13, -v6, v12, 1.0
	v_fmac_f32_e32 v12, v13, v12
	v_mul_f32_e32 v13, v7, v12
	v_fma_f32 v14, -v6, v13, v7
	v_fmac_f32_e32 v13, v14, v12
	v_fma_f32 v6, -v6, v13, v7
	v_div_fmas_f32 v6, v6, v12, v13
	v_div_fixup_f32 v7, v6, v5, 1.0
	v_mul_f32_e64 v8, v8, -v7
.LBB71_30:
	s_or_b64 exec, exec, s[14:15]
	v_lshlrev_b32_e32 v5, 3, v11
	ds_write_b64 v5, v[7:8]
.LBB71_31:
	s_or_b64 exec, exec, s[12:13]
                                        ; implicit-def: $vgpr5_vgpr6
                                        ; implicit-def: $vgpr11
.LBB71_32:
	s_andn2_saveexec_b64 s[10:11], s[10:11]
	s_cbranch_execz .LBB71_34
; %bb.33:
	v_lshlrev_b64 v[5:6], 3, v[5:6]
	v_mov_b32_e32 v7, s92
	v_add_co_u32_e32 v5, vcc, s91, v5
	v_addc_co_u32_e32 v6, vcc, v7, v6, vcc
	global_load_dwordx2 v[5:6], v[5:6], off
	v_lshlrev_b32_e32 v7, 3, v11
	s_waitcnt vmcnt(0)
	v_xor_b32_e32 v5, 0x80000000, v5
	v_xor_b32_e32 v6, 0x80000000, v6
	ds_write_b64 v7, v[5:6]
.LBB71_34:
	s_or_b64 exec, exec, s[10:11]
	v_add_u32_e32 v7, 16, v2
	v_mad_u64_u32 v[5:6], s[10:11], s28, v7, v[3:4]
	v_lshl_add_u32 v8, v7, 6, v0
	v_cmp_le_u32_e32 vcc, v0, v7
	v_mad_u64_u32 v[12:13], s[10:11], s29, v7, v[6:7]
	v_add_u32_e32 v6, v7, v9
	v_cndmask_b32_e64 v11, v8, v6, s[6:7]
	v_mov_b32_e32 v6, v12
	s_and_saveexec_b64 s[10:11], vcc
	s_xor_b64 s[10:11], exec, s[10:11]
	s_cbranch_execz .LBB71_46
; %bb.35:
	v_cmp_ne_u32_e32 vcc, v0, v7
	s_and_saveexec_b64 s[12:13], vcc
	s_xor_b64 s[12:13], exec, s[12:13]
	s_cbranch_execz .LBB71_39
; %bb.36:
	v_or_b32_e32 v5, v7, v0
	v_cmp_gt_u32_e32 vcc, 64, v5
	s_and_saveexec_b64 s[14:15], vcc
; %bb.37:
	v_mov_b32_e32 v5, 0
	v_lshlrev_b32_e32 v7, 3, v11
	v_mov_b32_e32 v6, v5
	ds_write_b64 v7, v[5:6]
; %bb.38:
	s_or_b64 exec, exec, s[14:15]
                                        ; implicit-def: $vgpr11
                                        ; implicit-def: $vgpr5_vgpr6
.LBB71_39:
	s_andn2_saveexec_b64 s[12:13], s[12:13]
	s_cbranch_execz .LBB71_45
; %bb.40:
	v_lshlrev_b64 v[5:6], 3, v[5:6]
	v_mov_b32_e32 v7, s92
	v_add_co_u32_e32 v5, vcc, s91, v5
	v_addc_co_u32_e32 v6, vcc, v7, v6, vcc
	global_load_dwordx2 v[5:6], v[5:6], off
                                        ; implicit-def: $vgpr7
	s_waitcnt vmcnt(0)
	v_cmp_ngt_f32_e64 s[14:15], |v5|, |v6|
	s_and_saveexec_b64 s[16:17], s[14:15]
	s_xor_b64 s[14:15], exec, s[16:17]
	s_cbranch_execz .LBB71_42
; %bb.41:
	v_div_scale_f32 v7, s[16:17], v6, v6, v5
	v_div_scale_f32 v8, vcc, v5, v6, v5
	v_rcp_f32_e32 v12, v7
	v_fma_f32 v13, -v7, v12, 1.0
	v_fmac_f32_e32 v12, v13, v12
	v_mul_f32_e32 v13, v8, v12
	v_fma_f32 v14, -v7, v13, v8
	v_fmac_f32_e32 v13, v14, v12
	v_fma_f32 v7, -v7, v13, v8
	v_div_fmas_f32 v7, v7, v12, v13
	v_div_fixup_f32 v7, v7, v6, v5
	v_fmac_f32_e32 v6, v5, v7
	v_div_scale_f32 v5, s[16:17], v6, v6, 1.0
	v_div_scale_f32 v8, vcc, 1.0, v6, 1.0
	v_rcp_f32_e32 v12, v5
	v_fma_f32 v13, -v5, v12, 1.0
	v_fmac_f32_e32 v12, v13, v12
	v_mul_f32_e32 v13, v8, v12
	v_fma_f32 v14, -v5, v13, v8
	v_fmac_f32_e32 v13, v14, v12
	v_fma_f32 v5, -v5, v13, v8
	v_div_fmas_f32 v5, v5, v12, v13
	v_div_fixup_f32 v5, v5, v6, 1.0
	v_mul_f32_e32 v7, v7, v5
	v_xor_b32_e32 v8, 0x80000000, v5
                                        ; implicit-def: $vgpr5_vgpr6
.LBB71_42:
	s_andn2_saveexec_b64 s[14:15], s[14:15]
	s_cbranch_execz .LBB71_44
; %bb.43:
	v_div_scale_f32 v7, s[16:17], v5, v5, v6
	v_div_scale_f32 v8, vcc, v6, v5, v6
	v_rcp_f32_e32 v12, v7
	v_fma_f32 v13, -v7, v12, 1.0
	v_fmac_f32_e32 v12, v13, v12
	v_mul_f32_e32 v13, v8, v12
	v_fma_f32 v14, -v7, v13, v8
	v_fmac_f32_e32 v13, v14, v12
	v_fma_f32 v7, -v7, v13, v8
	v_div_fmas_f32 v7, v7, v12, v13
	v_div_fixup_f32 v8, v7, v5, v6
	v_fmac_f32_e32 v5, v6, v8
	v_div_scale_f32 v6, s[16:17], v5, v5, 1.0
	v_div_scale_f32 v7, vcc, 1.0, v5, 1.0
	v_rcp_f32_e32 v12, v6
	v_fma_f32 v13, -v6, v12, 1.0
	v_fmac_f32_e32 v12, v13, v12
	v_mul_f32_e32 v13, v7, v12
	v_fma_f32 v14, -v6, v13, v7
	v_fmac_f32_e32 v13, v14, v12
	v_fma_f32 v6, -v6, v13, v7
	v_div_fmas_f32 v6, v6, v12, v13
	v_div_fixup_f32 v7, v6, v5, 1.0
	v_mul_f32_e64 v8, v8, -v7
.LBB71_44:
	s_or_b64 exec, exec, s[14:15]
	v_lshlrev_b32_e32 v5, 3, v11
	ds_write_b64 v5, v[7:8]
.LBB71_45:
	s_or_b64 exec, exec, s[12:13]
                                        ; implicit-def: $vgpr5_vgpr6
                                        ; implicit-def: $vgpr11
.LBB71_46:
	s_andn2_saveexec_b64 s[10:11], s[10:11]
	s_cbranch_execz .LBB71_48
; %bb.47:
	v_lshlrev_b64 v[5:6], 3, v[5:6]
	v_mov_b32_e32 v7, s92
	v_add_co_u32_e32 v5, vcc, s91, v5
	v_addc_co_u32_e32 v6, vcc, v7, v6, vcc
	global_load_dwordx2 v[5:6], v[5:6], off
	v_lshlrev_b32_e32 v7, 3, v11
	s_waitcnt vmcnt(0)
	v_xor_b32_e32 v5, 0x80000000, v5
	v_xor_b32_e32 v6, 0x80000000, v6
	ds_write_b64 v7, v[5:6]
.LBB71_48:
	s_or_b64 exec, exec, s[10:11]
	v_add_u32_e32 v7, 32, v2
	v_mad_u64_u32 v[5:6], s[10:11], s28, v7, v[3:4]
	v_lshl_add_u32 v8, v7, 6, v0
	v_cmp_le_u32_e32 vcc, v0, v7
	v_mad_u64_u32 v[12:13], s[10:11], s29, v7, v[6:7]
	v_add_u32_e32 v6, v7, v9
	v_cndmask_b32_e64 v11, v8, v6, s[6:7]
	v_mov_b32_e32 v6, v12
	s_and_saveexec_b64 s[10:11], vcc
	s_xor_b64 s[10:11], exec, s[10:11]
	s_cbranch_execz .LBB71_60
; %bb.49:
	v_cmp_ne_u32_e32 vcc, v0, v7
	s_and_saveexec_b64 s[12:13], vcc
	s_xor_b64 s[12:13], exec, s[12:13]
	s_cbranch_execz .LBB71_53
; %bb.50:
	v_or_b32_e32 v5, v7, v0
	v_cmp_gt_u32_e32 vcc, 64, v5
	s_and_saveexec_b64 s[14:15], vcc
; %bb.51:
	v_mov_b32_e32 v5, 0
	v_lshlrev_b32_e32 v7, 3, v11
	v_mov_b32_e32 v6, v5
	ds_write_b64 v7, v[5:6]
; %bb.52:
	s_or_b64 exec, exec, s[14:15]
                                        ; implicit-def: $vgpr11
                                        ; implicit-def: $vgpr5_vgpr6
.LBB71_53:
	s_andn2_saveexec_b64 s[12:13], s[12:13]
	s_cbranch_execz .LBB71_59
; %bb.54:
	v_lshlrev_b64 v[5:6], 3, v[5:6]
	v_mov_b32_e32 v7, s92
	v_add_co_u32_e32 v5, vcc, s91, v5
	v_addc_co_u32_e32 v6, vcc, v7, v6, vcc
	global_load_dwordx2 v[5:6], v[5:6], off
                                        ; implicit-def: $vgpr7
	s_waitcnt vmcnt(0)
	v_cmp_ngt_f32_e64 s[14:15], |v5|, |v6|
	s_and_saveexec_b64 s[16:17], s[14:15]
	s_xor_b64 s[14:15], exec, s[16:17]
	s_cbranch_execz .LBB71_56
; %bb.55:
	v_div_scale_f32 v7, s[16:17], v6, v6, v5
	v_div_scale_f32 v8, vcc, v5, v6, v5
	v_rcp_f32_e32 v12, v7
	v_fma_f32 v13, -v7, v12, 1.0
	v_fmac_f32_e32 v12, v13, v12
	v_mul_f32_e32 v13, v8, v12
	v_fma_f32 v14, -v7, v13, v8
	v_fmac_f32_e32 v13, v14, v12
	v_fma_f32 v7, -v7, v13, v8
	v_div_fmas_f32 v7, v7, v12, v13
	v_div_fixup_f32 v7, v7, v6, v5
	v_fmac_f32_e32 v6, v5, v7
	v_div_scale_f32 v5, s[16:17], v6, v6, 1.0
	v_div_scale_f32 v8, vcc, 1.0, v6, 1.0
	v_rcp_f32_e32 v12, v5
	v_fma_f32 v13, -v5, v12, 1.0
	v_fmac_f32_e32 v12, v13, v12
	v_mul_f32_e32 v13, v8, v12
	v_fma_f32 v14, -v5, v13, v8
	v_fmac_f32_e32 v13, v14, v12
	v_fma_f32 v5, -v5, v13, v8
	v_div_fmas_f32 v5, v5, v12, v13
	v_div_fixup_f32 v5, v5, v6, 1.0
	v_mul_f32_e32 v7, v7, v5
	v_xor_b32_e32 v8, 0x80000000, v5
                                        ; implicit-def: $vgpr5_vgpr6
.LBB71_56:
	s_andn2_saveexec_b64 s[14:15], s[14:15]
	s_cbranch_execz .LBB71_58
; %bb.57:
	v_div_scale_f32 v7, s[16:17], v5, v5, v6
	v_div_scale_f32 v8, vcc, v6, v5, v6
	v_rcp_f32_e32 v12, v7
	v_fma_f32 v13, -v7, v12, 1.0
	v_fmac_f32_e32 v12, v13, v12
	v_mul_f32_e32 v13, v8, v12
	v_fma_f32 v14, -v7, v13, v8
	v_fmac_f32_e32 v13, v14, v12
	v_fma_f32 v7, -v7, v13, v8
	v_div_fmas_f32 v7, v7, v12, v13
	v_div_fixup_f32 v8, v7, v5, v6
	v_fmac_f32_e32 v5, v6, v8
	v_div_scale_f32 v6, s[16:17], v5, v5, 1.0
	v_div_scale_f32 v7, vcc, 1.0, v5, 1.0
	v_rcp_f32_e32 v12, v6
	v_fma_f32 v13, -v6, v12, 1.0
	v_fmac_f32_e32 v12, v13, v12
	v_mul_f32_e32 v13, v7, v12
	v_fma_f32 v14, -v6, v13, v7
	v_fmac_f32_e32 v13, v14, v12
	v_fma_f32 v6, -v6, v13, v7
	v_div_fmas_f32 v6, v6, v12, v13
	v_div_fixup_f32 v7, v6, v5, 1.0
	v_mul_f32_e64 v8, v8, -v7
.LBB71_58:
	s_or_b64 exec, exec, s[14:15]
	v_lshlrev_b32_e32 v5, 3, v11
	ds_write_b64 v5, v[7:8]
.LBB71_59:
	s_or_b64 exec, exec, s[12:13]
                                        ; implicit-def: $vgpr5_vgpr6
                                        ; implicit-def: $vgpr11
.LBB71_60:
	s_andn2_saveexec_b64 s[10:11], s[10:11]
	s_cbranch_execz .LBB71_62
; %bb.61:
	v_lshlrev_b64 v[5:6], 3, v[5:6]
	v_mov_b32_e32 v7, s92
	v_add_co_u32_e32 v5, vcc, s91, v5
	v_addc_co_u32_e32 v6, vcc, v7, v6, vcc
	global_load_dwordx2 v[5:6], v[5:6], off
	v_lshlrev_b32_e32 v7, 3, v11
	s_waitcnt vmcnt(0)
	v_xor_b32_e32 v5, 0x80000000, v5
	v_xor_b32_e32 v6, 0x80000000, v6
	ds_write_b64 v7, v[5:6]
.LBB71_62:
	s_or_b64 exec, exec, s[10:11]
	v_add_u32_e32 v7, 48, v2
	v_mad_u64_u32 v[5:6], s[10:11], s28, v7, v[3:4]
	v_lshl_add_u32 v8, v7, 6, v0
	v_cmp_le_u32_e32 vcc, v0, v7
	v_mad_u64_u32 v[12:13], s[10:11], s29, v7, v[6:7]
	v_add_u32_e32 v6, v7, v9
	v_cndmask_b32_e64 v11, v8, v6, s[6:7]
	v_mov_b32_e32 v6, v12
	s_and_saveexec_b64 s[10:11], vcc
	s_xor_b64 s[10:11], exec, s[10:11]
	s_cbranch_execz .LBB71_74
; %bb.63:
	v_cmp_ne_u32_e32 vcc, v0, v7
	s_and_saveexec_b64 s[12:13], vcc
	s_xor_b64 s[12:13], exec, s[12:13]
	s_cbranch_execz .LBB71_67
; %bb.64:
	v_or_b32_e32 v5, v7, v0
	v_cmp_gt_u32_e32 vcc, 64, v5
	s_and_saveexec_b64 s[14:15], vcc
; %bb.65:
	v_mov_b32_e32 v5, 0
	v_lshlrev_b32_e32 v7, 3, v11
	v_mov_b32_e32 v6, v5
	ds_write_b64 v7, v[5:6]
; %bb.66:
	s_or_b64 exec, exec, s[14:15]
                                        ; implicit-def: $vgpr11
                                        ; implicit-def: $vgpr5_vgpr6
.LBB71_67:
	s_andn2_saveexec_b64 s[12:13], s[12:13]
	s_cbranch_execz .LBB71_73
; %bb.68:
	v_lshlrev_b64 v[5:6], 3, v[5:6]
	v_mov_b32_e32 v7, s92
	v_add_co_u32_e32 v5, vcc, s91, v5
	v_addc_co_u32_e32 v6, vcc, v7, v6, vcc
	global_load_dwordx2 v[5:6], v[5:6], off
                                        ; implicit-def: $vgpr7
	s_waitcnt vmcnt(0)
	v_cmp_ngt_f32_e64 s[14:15], |v5|, |v6|
	s_and_saveexec_b64 s[16:17], s[14:15]
	s_xor_b64 s[14:15], exec, s[16:17]
	s_cbranch_execz .LBB71_70
; %bb.69:
	v_div_scale_f32 v7, s[16:17], v6, v6, v5
	v_div_scale_f32 v8, vcc, v5, v6, v5
	v_rcp_f32_e32 v12, v7
	v_fma_f32 v13, -v7, v12, 1.0
	v_fmac_f32_e32 v12, v13, v12
	v_mul_f32_e32 v13, v8, v12
	v_fma_f32 v14, -v7, v13, v8
	v_fmac_f32_e32 v13, v14, v12
	v_fma_f32 v7, -v7, v13, v8
	v_div_fmas_f32 v7, v7, v12, v13
	v_div_fixup_f32 v7, v7, v6, v5
	v_fmac_f32_e32 v6, v5, v7
	v_div_scale_f32 v5, s[16:17], v6, v6, 1.0
	v_div_scale_f32 v8, vcc, 1.0, v6, 1.0
	v_rcp_f32_e32 v12, v5
	v_fma_f32 v13, -v5, v12, 1.0
	v_fmac_f32_e32 v12, v13, v12
	v_mul_f32_e32 v13, v8, v12
	v_fma_f32 v14, -v5, v13, v8
	v_fmac_f32_e32 v13, v14, v12
	v_fma_f32 v5, -v5, v13, v8
	v_div_fmas_f32 v5, v5, v12, v13
	v_div_fixup_f32 v5, v5, v6, 1.0
	v_mul_f32_e32 v7, v7, v5
	v_xor_b32_e32 v8, 0x80000000, v5
                                        ; implicit-def: $vgpr5_vgpr6
.LBB71_70:
	s_andn2_saveexec_b64 s[14:15], s[14:15]
	s_cbranch_execz .LBB71_72
; %bb.71:
	v_div_scale_f32 v7, s[16:17], v5, v5, v6
	v_div_scale_f32 v8, vcc, v6, v5, v6
	v_rcp_f32_e32 v12, v7
	v_fma_f32 v13, -v7, v12, 1.0
	v_fmac_f32_e32 v12, v13, v12
	v_mul_f32_e32 v13, v8, v12
	v_fma_f32 v14, -v7, v13, v8
	v_fmac_f32_e32 v13, v14, v12
	v_fma_f32 v7, -v7, v13, v8
	v_div_fmas_f32 v7, v7, v12, v13
	v_div_fixup_f32 v8, v7, v5, v6
	v_fmac_f32_e32 v5, v6, v8
	v_div_scale_f32 v6, s[16:17], v5, v5, 1.0
	v_div_scale_f32 v7, vcc, 1.0, v5, 1.0
	v_rcp_f32_e32 v12, v6
	v_fma_f32 v13, -v6, v12, 1.0
	v_fmac_f32_e32 v12, v13, v12
	v_mul_f32_e32 v13, v7, v12
	v_fma_f32 v14, -v6, v13, v7
	v_fmac_f32_e32 v13, v14, v12
	v_fma_f32 v6, -v6, v13, v7
	v_div_fmas_f32 v6, v6, v12, v13
	v_div_fixup_f32 v7, v6, v5, 1.0
	v_mul_f32_e64 v8, v8, -v7
.LBB71_72:
	s_or_b64 exec, exec, s[14:15]
	v_lshlrev_b32_e32 v5, 3, v11
	ds_write_b64 v5, v[7:8]
.LBB71_73:
	s_or_b64 exec, exec, s[12:13]
                                        ; implicit-def: $vgpr5_vgpr6
                                        ; implicit-def: $vgpr11
.LBB71_74:
	s_andn2_saveexec_b64 s[10:11], s[10:11]
	s_cbranch_execz .LBB71_76
; %bb.75:
	v_lshlrev_b64 v[5:6], 3, v[5:6]
	v_mov_b32_e32 v7, s92
	v_add_co_u32_e32 v5, vcc, s91, v5
	v_addc_co_u32_e32 v6, vcc, v7, v6, vcc
	global_load_dwordx2 v[5:6], v[5:6], off
	v_lshlrev_b32_e32 v7, 3, v11
	s_waitcnt vmcnt(0)
	v_xor_b32_e32 v5, 0x80000000, v5
	v_xor_b32_e32 v6, 0x80000000, v6
	ds_write_b64 v7, v[5:6]
.LBB71_76:
	s_or_b64 exec, exec, s[10:11]
	s_mov_b64 s[16:17], 0
.LBB71_77:
	s_xor_b64 s[14:15], s[6:7], -1
	s_and_b64 vcc, exec, s[16:17]
	s_cbranch_vccz .LBB71_135
; %bb.78:
	v_mad_u64_u32 v[5:6], s[10:11], s28, v2, v[3:4]
	v_cmp_le_u32_e32 vcc, v0, v2
	v_cmp_gt_i32_e64 s[10:11], s90, v0
	v_mad_u64_u32 v[6:7], s[12:13], s29, v2, v[6:7]
	v_max_i32_e32 v7, v2, v0
	v_cmp_le_i32_e64 s[12:13], s90, v7
	s_or_b64 s[12:13], s[12:13], vcc
	s_and_saveexec_b64 s[16:17], s[12:13]
	s_xor_b64 s[12:13], exec, s[16:17]
	s_cbranch_execz .LBB71_90
; %bb.79:
	v_cmp_ne_u32_e32 vcc, v0, v2
	s_xor_b64 s[16:17], s[10:11], -1
	s_or_b64 s[16:17], s[16:17], vcc
	s_and_saveexec_b64 s[18:19], s[16:17]
	s_xor_b64 s[16:17], exec, s[18:19]
	s_cbranch_execz .LBB71_83
; %bb.80:
	v_or_b32_e32 v5, v2, v0
	v_cmp_gt_u32_e32 vcc, 64, v5
	s_and_saveexec_b64 s[18:19], vcc
; %bb.81:
	v_mov_b32_e32 v5, 0
	v_lshlrev_b32_e32 v7, 3, v10
	v_mov_b32_e32 v6, v5
	ds_write_b64 v7, v[5:6]
; %bb.82:
	s_or_b64 exec, exec, s[18:19]
                                        ; implicit-def: $vgpr10
                                        ; implicit-def: $vgpr5_vgpr6
.LBB71_83:
	s_andn2_saveexec_b64 s[16:17], s[16:17]
	s_cbranch_execz .LBB71_89
; %bb.84:
	v_lshlrev_b64 v[5:6], 3, v[5:6]
	v_mov_b32_e32 v7, s92
	v_add_co_u32_e32 v5, vcc, s91, v5
	v_addc_co_u32_e32 v6, vcc, v7, v6, vcc
	global_load_dwordx2 v[5:6], v[5:6], off
                                        ; implicit-def: $vgpr7
	s_waitcnt vmcnt(0)
	v_cmp_ngt_f32_e64 s[18:19], |v5|, |v6|
	s_and_saveexec_b64 s[20:21], s[18:19]
	s_xor_b64 s[18:19], exec, s[20:21]
	s_cbranch_execz .LBB71_86
; %bb.85:
	v_div_scale_f32 v7, s[20:21], v6, v6, v5
	v_div_scale_f32 v8, vcc, v5, v6, v5
	v_rcp_f32_e32 v11, v7
	v_fma_f32 v12, -v7, v11, 1.0
	v_fmac_f32_e32 v11, v12, v11
	v_mul_f32_e32 v12, v8, v11
	v_fma_f32 v13, -v7, v12, v8
	v_fmac_f32_e32 v12, v13, v11
	v_fma_f32 v7, -v7, v12, v8
	v_div_fmas_f32 v7, v7, v11, v12
	v_div_fixup_f32 v7, v7, v6, v5
	v_fmac_f32_e32 v6, v5, v7
	v_div_scale_f32 v5, s[20:21], v6, v6, 1.0
	v_div_scale_f32 v8, vcc, 1.0, v6, 1.0
	v_rcp_f32_e32 v11, v5
	v_fma_f32 v12, -v5, v11, 1.0
	v_fmac_f32_e32 v11, v12, v11
	v_mul_f32_e32 v12, v8, v11
	v_fma_f32 v13, -v5, v12, v8
	v_fmac_f32_e32 v12, v13, v11
	v_fma_f32 v5, -v5, v12, v8
	v_div_fmas_f32 v5, v5, v11, v12
	v_div_fixup_f32 v5, v5, v6, 1.0
	v_mul_f32_e32 v7, v7, v5
	v_xor_b32_e32 v8, 0x80000000, v5
                                        ; implicit-def: $vgpr5_vgpr6
.LBB71_86:
	s_andn2_saveexec_b64 s[18:19], s[18:19]
	s_cbranch_execz .LBB71_88
; %bb.87:
	v_div_scale_f32 v7, s[20:21], v5, v5, v6
	v_div_scale_f32 v8, vcc, v6, v5, v6
	v_rcp_f32_e32 v11, v7
	v_fma_f32 v12, -v7, v11, 1.0
	v_fmac_f32_e32 v11, v12, v11
	v_mul_f32_e32 v12, v8, v11
	v_fma_f32 v13, -v7, v12, v8
	v_fmac_f32_e32 v12, v13, v11
	v_fma_f32 v7, -v7, v12, v8
	v_div_fmas_f32 v7, v7, v11, v12
	v_div_fixup_f32 v8, v7, v5, v6
	v_fmac_f32_e32 v5, v6, v8
	v_div_scale_f32 v6, s[20:21], v5, v5, 1.0
	v_div_scale_f32 v7, vcc, 1.0, v5, 1.0
	v_rcp_f32_e32 v11, v6
	v_fma_f32 v12, -v6, v11, 1.0
	v_fmac_f32_e32 v11, v12, v11
	v_mul_f32_e32 v12, v7, v11
	v_fma_f32 v13, -v6, v12, v7
	v_fmac_f32_e32 v12, v13, v11
	v_fma_f32 v6, -v6, v12, v7
	v_div_fmas_f32 v6, v6, v11, v12
	v_div_fixup_f32 v7, v6, v5, 1.0
	v_mul_f32_e64 v8, v8, -v7
.LBB71_88:
	s_or_b64 exec, exec, s[18:19]
	v_lshlrev_b32_e32 v5, 3, v10
	ds_write_b64 v5, v[7:8]
.LBB71_89:
	s_or_b64 exec, exec, s[16:17]
                                        ; implicit-def: $vgpr5_vgpr6
                                        ; implicit-def: $vgpr10
.LBB71_90:
	s_andn2_saveexec_b64 s[12:13], s[12:13]
	s_cbranch_execz .LBB71_92
; %bb.91:
	v_lshlrev_b64 v[5:6], 3, v[5:6]
	v_mov_b32_e32 v7, s92
	v_add_co_u32_e32 v5, vcc, s91, v5
	v_addc_co_u32_e32 v6, vcc, v7, v6, vcc
	global_load_dwordx2 v[5:6], v[5:6], off
	v_lshlrev_b32_e32 v7, 3, v10
	s_waitcnt vmcnt(0)
	v_xor_b32_e32 v5, 0x80000000, v5
	v_xor_b32_e32 v6, 0x80000000, v6
	ds_write_b64 v7, v[5:6]
.LBB71_92:
	s_or_b64 exec, exec, s[12:13]
	v_add_u32_e32 v7, 16, v2
	v_mad_u64_u32 v[5:6], s[12:13], s28, v7, v[3:4]
	v_cmp_gt_u32_e32 vcc, v0, v7
	v_add_u32_e32 v8, v7, v9
	v_mad_u64_u32 v[11:12], s[12:13], s29, v7, v[6:7]
	v_cmp_gt_i32_e64 s[12:13], s90, v7
	s_and_b64 s[12:13], vcc, s[12:13]
	v_lshl_add_u32 v6, v7, 6, v0
	s_and_b64 s[12:13], s[10:11], s[12:13]
	v_cndmask_b32_e64 v10, v6, v8, s[6:7]
	v_mov_b32_e32 v6, v11
	s_xor_b64 s[12:13], s[12:13], -1
	s_and_saveexec_b64 s[16:17], s[12:13]
	s_xor_b64 s[12:13], exec, s[16:17]
	s_cbranch_execz .LBB71_104
; %bb.93:
	v_cmp_ne_u32_e32 vcc, v0, v7
	s_xor_b64 s[16:17], s[10:11], -1
	s_or_b64 s[16:17], s[16:17], vcc
	s_and_saveexec_b64 s[18:19], s[16:17]
	s_xor_b64 s[16:17], exec, s[18:19]
	s_cbranch_execz .LBB71_97
; %bb.94:
	v_or_b32_e32 v5, v7, v0
	v_cmp_gt_u32_e32 vcc, 64, v5
	s_and_saveexec_b64 s[18:19], vcc
; %bb.95:
	v_mov_b32_e32 v5, 0
	v_lshlrev_b32_e32 v7, 3, v10
	v_mov_b32_e32 v6, v5
	ds_write_b64 v7, v[5:6]
; %bb.96:
	s_or_b64 exec, exec, s[18:19]
                                        ; implicit-def: $vgpr10
                                        ; implicit-def: $vgpr5_vgpr6
.LBB71_97:
	s_andn2_saveexec_b64 s[16:17], s[16:17]
	s_cbranch_execz .LBB71_103
; %bb.98:
	v_lshlrev_b64 v[5:6], 3, v[5:6]
	v_mov_b32_e32 v7, s92
	v_add_co_u32_e32 v5, vcc, s91, v5
	v_addc_co_u32_e32 v6, vcc, v7, v6, vcc
	global_load_dwordx2 v[5:6], v[5:6], off
                                        ; implicit-def: $vgpr7
	s_waitcnt vmcnt(0)
	v_cmp_ngt_f32_e64 s[18:19], |v5|, |v6|
	s_and_saveexec_b64 s[20:21], s[18:19]
	s_xor_b64 s[18:19], exec, s[20:21]
	s_cbranch_execz .LBB71_100
; %bb.99:
	v_div_scale_f32 v7, s[20:21], v6, v6, v5
	v_div_scale_f32 v8, vcc, v5, v6, v5
	v_rcp_f32_e32 v11, v7
	v_fma_f32 v12, -v7, v11, 1.0
	v_fmac_f32_e32 v11, v12, v11
	v_mul_f32_e32 v12, v8, v11
	v_fma_f32 v13, -v7, v12, v8
	v_fmac_f32_e32 v12, v13, v11
	v_fma_f32 v7, -v7, v12, v8
	v_div_fmas_f32 v7, v7, v11, v12
	v_div_fixup_f32 v7, v7, v6, v5
	v_fmac_f32_e32 v6, v5, v7
	v_div_scale_f32 v5, s[20:21], v6, v6, 1.0
	v_div_scale_f32 v8, vcc, 1.0, v6, 1.0
	v_rcp_f32_e32 v11, v5
	v_fma_f32 v12, -v5, v11, 1.0
	v_fmac_f32_e32 v11, v12, v11
	v_mul_f32_e32 v12, v8, v11
	v_fma_f32 v13, -v5, v12, v8
	v_fmac_f32_e32 v12, v13, v11
	v_fma_f32 v5, -v5, v12, v8
	v_div_fmas_f32 v5, v5, v11, v12
	v_div_fixup_f32 v5, v5, v6, 1.0
	v_mul_f32_e32 v7, v7, v5
	v_xor_b32_e32 v8, 0x80000000, v5
                                        ; implicit-def: $vgpr5_vgpr6
.LBB71_100:
	s_andn2_saveexec_b64 s[18:19], s[18:19]
	s_cbranch_execz .LBB71_102
; %bb.101:
	v_div_scale_f32 v7, s[20:21], v5, v5, v6
	v_div_scale_f32 v8, vcc, v6, v5, v6
	v_rcp_f32_e32 v11, v7
	v_fma_f32 v12, -v7, v11, 1.0
	v_fmac_f32_e32 v11, v12, v11
	v_mul_f32_e32 v12, v8, v11
	v_fma_f32 v13, -v7, v12, v8
	v_fmac_f32_e32 v12, v13, v11
	v_fma_f32 v7, -v7, v12, v8
	v_div_fmas_f32 v7, v7, v11, v12
	v_div_fixup_f32 v8, v7, v5, v6
	v_fmac_f32_e32 v5, v6, v8
	v_div_scale_f32 v6, s[20:21], v5, v5, 1.0
	v_div_scale_f32 v7, vcc, 1.0, v5, 1.0
	v_rcp_f32_e32 v11, v6
	v_fma_f32 v12, -v6, v11, 1.0
	v_fmac_f32_e32 v11, v12, v11
	v_mul_f32_e32 v12, v7, v11
	v_fma_f32 v13, -v6, v12, v7
	v_fmac_f32_e32 v12, v13, v11
	v_fma_f32 v6, -v6, v12, v7
	v_div_fmas_f32 v6, v6, v11, v12
	v_div_fixup_f32 v7, v6, v5, 1.0
	v_mul_f32_e64 v8, v8, -v7
.LBB71_102:
	s_or_b64 exec, exec, s[18:19]
	v_lshlrev_b32_e32 v5, 3, v10
	ds_write_b64 v5, v[7:8]
.LBB71_103:
	s_or_b64 exec, exec, s[16:17]
                                        ; implicit-def: $vgpr5_vgpr6
                                        ; implicit-def: $vgpr10
.LBB71_104:
	s_andn2_saveexec_b64 s[12:13], s[12:13]
	s_cbranch_execz .LBB71_106
; %bb.105:
	v_lshlrev_b64 v[5:6], 3, v[5:6]
	v_mov_b32_e32 v7, s92
	v_add_co_u32_e32 v5, vcc, s91, v5
	v_addc_co_u32_e32 v6, vcc, v7, v6, vcc
	global_load_dwordx2 v[5:6], v[5:6], off
	v_lshlrev_b32_e32 v7, 3, v10
	s_waitcnt vmcnt(0)
	v_xor_b32_e32 v5, 0x80000000, v5
	v_xor_b32_e32 v6, 0x80000000, v6
	ds_write_b64 v7, v[5:6]
.LBB71_106:
	s_or_b64 exec, exec, s[12:13]
	v_add_u32_e32 v7, 32, v2
	v_mad_u64_u32 v[5:6], s[12:13], s28, v7, v[3:4]
	v_cmp_gt_u32_e32 vcc, v0, v7
	v_add_u32_e32 v8, v7, v9
	v_mad_u64_u32 v[11:12], s[12:13], s29, v7, v[6:7]
	v_cmp_gt_i32_e64 s[12:13], s90, v7
	s_and_b64 s[12:13], vcc, s[12:13]
	v_lshl_add_u32 v6, v7, 6, v0
	s_and_b64 s[12:13], s[10:11], s[12:13]
	v_cndmask_b32_e64 v10, v6, v8, s[6:7]
	v_mov_b32_e32 v6, v11
	s_xor_b64 s[12:13], s[12:13], -1
	s_and_saveexec_b64 s[16:17], s[12:13]
	s_xor_b64 s[12:13], exec, s[16:17]
	s_cbranch_execz .LBB71_118
; %bb.107:
	v_cmp_ne_u32_e32 vcc, v0, v7
	s_xor_b64 s[16:17], s[10:11], -1
	s_or_b64 s[16:17], s[16:17], vcc
	s_and_saveexec_b64 s[18:19], s[16:17]
	s_xor_b64 s[16:17], exec, s[18:19]
	s_cbranch_execz .LBB71_111
; %bb.108:
	v_or_b32_e32 v5, v7, v0
	v_cmp_gt_u32_e32 vcc, 64, v5
	s_and_saveexec_b64 s[18:19], vcc
; %bb.109:
	v_mov_b32_e32 v5, 0
	v_lshlrev_b32_e32 v7, 3, v10
	v_mov_b32_e32 v6, v5
	ds_write_b64 v7, v[5:6]
; %bb.110:
	s_or_b64 exec, exec, s[18:19]
                                        ; implicit-def: $vgpr10
                                        ; implicit-def: $vgpr5_vgpr6
.LBB71_111:
	s_andn2_saveexec_b64 s[16:17], s[16:17]
	s_cbranch_execz .LBB71_117
; %bb.112:
	v_lshlrev_b64 v[5:6], 3, v[5:6]
	v_mov_b32_e32 v7, s92
	v_add_co_u32_e32 v5, vcc, s91, v5
	v_addc_co_u32_e32 v6, vcc, v7, v6, vcc
	global_load_dwordx2 v[5:6], v[5:6], off
                                        ; implicit-def: $vgpr7
	s_waitcnt vmcnt(0)
	v_cmp_ngt_f32_e64 s[18:19], |v5|, |v6|
	s_and_saveexec_b64 s[20:21], s[18:19]
	s_xor_b64 s[18:19], exec, s[20:21]
	s_cbranch_execz .LBB71_114
; %bb.113:
	v_div_scale_f32 v7, s[20:21], v6, v6, v5
	v_div_scale_f32 v8, vcc, v5, v6, v5
	v_rcp_f32_e32 v11, v7
	v_fma_f32 v12, -v7, v11, 1.0
	v_fmac_f32_e32 v11, v12, v11
	v_mul_f32_e32 v12, v8, v11
	v_fma_f32 v13, -v7, v12, v8
	v_fmac_f32_e32 v12, v13, v11
	v_fma_f32 v7, -v7, v12, v8
	v_div_fmas_f32 v7, v7, v11, v12
	v_div_fixup_f32 v7, v7, v6, v5
	v_fmac_f32_e32 v6, v5, v7
	v_div_scale_f32 v5, s[20:21], v6, v6, 1.0
	v_div_scale_f32 v8, vcc, 1.0, v6, 1.0
	v_rcp_f32_e32 v11, v5
	v_fma_f32 v12, -v5, v11, 1.0
	v_fmac_f32_e32 v11, v12, v11
	v_mul_f32_e32 v12, v8, v11
	v_fma_f32 v13, -v5, v12, v8
	v_fmac_f32_e32 v12, v13, v11
	v_fma_f32 v5, -v5, v12, v8
	v_div_fmas_f32 v5, v5, v11, v12
	v_div_fixup_f32 v5, v5, v6, 1.0
	v_mul_f32_e32 v7, v7, v5
	v_xor_b32_e32 v8, 0x80000000, v5
                                        ; implicit-def: $vgpr5_vgpr6
.LBB71_114:
	s_andn2_saveexec_b64 s[18:19], s[18:19]
	s_cbranch_execz .LBB71_116
; %bb.115:
	v_div_scale_f32 v7, s[20:21], v5, v5, v6
	v_div_scale_f32 v8, vcc, v6, v5, v6
	v_rcp_f32_e32 v11, v7
	v_fma_f32 v12, -v7, v11, 1.0
	v_fmac_f32_e32 v11, v12, v11
	v_mul_f32_e32 v12, v8, v11
	v_fma_f32 v13, -v7, v12, v8
	v_fmac_f32_e32 v12, v13, v11
	v_fma_f32 v7, -v7, v12, v8
	v_div_fmas_f32 v7, v7, v11, v12
	v_div_fixup_f32 v8, v7, v5, v6
	v_fmac_f32_e32 v5, v6, v8
	v_div_scale_f32 v6, s[20:21], v5, v5, 1.0
	v_div_scale_f32 v7, vcc, 1.0, v5, 1.0
	v_rcp_f32_e32 v11, v6
	v_fma_f32 v12, -v6, v11, 1.0
	v_fmac_f32_e32 v11, v12, v11
	v_mul_f32_e32 v12, v7, v11
	v_fma_f32 v13, -v6, v12, v7
	v_fmac_f32_e32 v12, v13, v11
	v_fma_f32 v6, -v6, v12, v7
	v_div_fmas_f32 v6, v6, v11, v12
	v_div_fixup_f32 v7, v6, v5, 1.0
	v_mul_f32_e64 v8, v8, -v7
.LBB71_116:
	s_or_b64 exec, exec, s[18:19]
	v_lshlrev_b32_e32 v5, 3, v10
	ds_write_b64 v5, v[7:8]
.LBB71_117:
	s_or_b64 exec, exec, s[16:17]
                                        ; implicit-def: $vgpr5_vgpr6
                                        ; implicit-def: $vgpr10
.LBB71_118:
	s_andn2_saveexec_b64 s[12:13], s[12:13]
	s_cbranch_execz .LBB71_120
; %bb.119:
	v_lshlrev_b64 v[5:6], 3, v[5:6]
	v_mov_b32_e32 v7, s92
	v_add_co_u32_e32 v5, vcc, s91, v5
	v_addc_co_u32_e32 v6, vcc, v7, v6, vcc
	global_load_dwordx2 v[5:6], v[5:6], off
	v_lshlrev_b32_e32 v7, 3, v10
	s_waitcnt vmcnt(0)
	v_xor_b32_e32 v5, 0x80000000, v5
	v_xor_b32_e32 v6, 0x80000000, v6
	ds_write_b64 v7, v[5:6]
.LBB71_120:
	s_or_b64 exec, exec, s[12:13]
	v_add_u32_e32 v5, 48, v2
	v_mad_u64_u32 v[3:4], s[12:13], s28, v5, v[3:4]
	v_add_u32_e32 v8, v5, v9
	v_cmp_gt_u32_e32 vcc, v0, v5
	v_mad_u64_u32 v[6:7], s[12:13], s29, v5, v[4:5]
	v_lshl_add_u32 v4, v5, 6, v0
	v_cndmask_b32_e64 v7, v4, v8, s[6:7]
	v_cmp_gt_i32_e64 s[6:7], s90, v5
	s_and_b64 s[6:7], vcc, s[6:7]
	s_and_b64 s[6:7], s[10:11], s[6:7]
	v_mov_b32_e32 v4, v6
	s_xor_b64 s[6:7], s[6:7], -1
	s_and_saveexec_b64 s[12:13], s[6:7]
	s_xor_b64 s[6:7], exec, s[12:13]
	s_cbranch_execz .LBB71_132
; %bb.121:
	v_cmp_ne_u32_e32 vcc, v0, v5
	s_xor_b64 s[10:11], s[10:11], -1
	s_or_b64 s[10:11], s[10:11], vcc
	s_and_saveexec_b64 s[12:13], s[10:11]
	s_xor_b64 s[10:11], exec, s[12:13]
	s_cbranch_execz .LBB71_125
; %bb.122:
	v_or_b32_e32 v3, v5, v0
	v_cmp_gt_u32_e32 vcc, 64, v3
	s_and_saveexec_b64 s[12:13], vcc
; %bb.123:
	v_mov_b32_e32 v3, 0
	v_lshlrev_b32_e32 v5, 3, v7
	v_mov_b32_e32 v4, v3
	ds_write_b64 v5, v[3:4]
; %bb.124:
	s_or_b64 exec, exec, s[12:13]
                                        ; implicit-def: $vgpr7
                                        ; implicit-def: $vgpr3_vgpr4
.LBB71_125:
	s_andn2_saveexec_b64 s[10:11], s[10:11]
	s_cbranch_execz .LBB71_131
; %bb.126:
	v_lshlrev_b64 v[3:4], 3, v[3:4]
	v_mov_b32_e32 v5, s92
	v_add_co_u32_e32 v3, vcc, s91, v3
	v_addc_co_u32_e32 v4, vcc, v5, v4, vcc
	global_load_dwordx2 v[3:4], v[3:4], off
                                        ; implicit-def: $vgpr5
	s_waitcnt vmcnt(0)
	v_cmp_ngt_f32_e64 s[12:13], |v3|, |v4|
	s_and_saveexec_b64 s[16:17], s[12:13]
	s_xor_b64 s[12:13], exec, s[16:17]
	s_cbranch_execz .LBB71_128
; %bb.127:
	v_div_scale_f32 v5, s[16:17], v4, v4, v3
	v_div_scale_f32 v6, vcc, v3, v4, v3
	v_rcp_f32_e32 v8, v5
	v_fma_f32 v9, -v5, v8, 1.0
	v_fmac_f32_e32 v8, v9, v8
	v_mul_f32_e32 v9, v6, v8
	v_fma_f32 v10, -v5, v9, v6
	v_fmac_f32_e32 v9, v10, v8
	v_fma_f32 v5, -v5, v9, v6
	v_div_fmas_f32 v5, v5, v8, v9
	v_div_fixup_f32 v5, v5, v4, v3
	v_fmac_f32_e32 v4, v3, v5
	v_div_scale_f32 v3, s[16:17], v4, v4, 1.0
	v_div_scale_f32 v6, vcc, 1.0, v4, 1.0
	v_rcp_f32_e32 v8, v3
	v_fma_f32 v9, -v3, v8, 1.0
	v_fmac_f32_e32 v8, v9, v8
	v_mul_f32_e32 v9, v6, v8
	v_fma_f32 v10, -v3, v9, v6
	v_fmac_f32_e32 v9, v10, v8
	v_fma_f32 v3, -v3, v9, v6
	v_div_fmas_f32 v3, v3, v8, v9
	v_div_fixup_f32 v3, v3, v4, 1.0
	v_mul_f32_e32 v5, v5, v3
	v_xor_b32_e32 v6, 0x80000000, v3
                                        ; implicit-def: $vgpr3_vgpr4
.LBB71_128:
	s_andn2_saveexec_b64 s[12:13], s[12:13]
	s_cbranch_execz .LBB71_130
; %bb.129:
	v_div_scale_f32 v5, s[16:17], v3, v3, v4
	v_div_scale_f32 v6, vcc, v4, v3, v4
	v_rcp_f32_e32 v8, v5
	v_fma_f32 v9, -v5, v8, 1.0
	v_fmac_f32_e32 v8, v9, v8
	v_mul_f32_e32 v9, v6, v8
	v_fma_f32 v10, -v5, v9, v6
	v_fmac_f32_e32 v9, v10, v8
	v_fma_f32 v5, -v5, v9, v6
	v_div_fmas_f32 v5, v5, v8, v9
	v_div_fixup_f32 v6, v5, v3, v4
	v_fmac_f32_e32 v3, v4, v6
	v_div_scale_f32 v4, s[16:17], v3, v3, 1.0
	v_div_scale_f32 v5, vcc, 1.0, v3, 1.0
	v_rcp_f32_e32 v8, v4
	v_fma_f32 v9, -v4, v8, 1.0
	v_fmac_f32_e32 v8, v9, v8
	v_mul_f32_e32 v9, v5, v8
	v_fma_f32 v10, -v4, v9, v5
	v_fmac_f32_e32 v9, v10, v8
	v_fma_f32 v4, -v4, v9, v5
	v_div_fmas_f32 v4, v4, v8, v9
	v_div_fixup_f32 v5, v4, v3, 1.0
	v_mul_f32_e64 v6, v6, -v5
.LBB71_130:
	s_or_b64 exec, exec, s[12:13]
	v_lshlrev_b32_e32 v3, 3, v7
	ds_write_b64 v3, v[5:6]
.LBB71_131:
	s_or_b64 exec, exec, s[10:11]
                                        ; implicit-def: $vgpr3_vgpr4
                                        ; implicit-def: $vgpr7
.LBB71_132:
	s_andn2_saveexec_b64 s[6:7], s[6:7]
	s_cbranch_execz .LBB71_134
; %bb.133:
	v_lshlrev_b64 v[3:4], 3, v[3:4]
	v_mov_b32_e32 v5, s92
	v_add_co_u32_e32 v3, vcc, s91, v3
	v_addc_co_u32_e32 v4, vcc, v5, v4, vcc
	global_load_dwordx2 v[3:4], v[3:4], off
	v_lshlrev_b32_e32 v5, 3, v7
	s_waitcnt vmcnt(0)
	v_xor_b32_e32 v3, 0x80000000, v3
	v_xor_b32_e32 v4, 0x80000000, v4
	ds_write_b64 v5, v[3:4]
.LBB71_134:
	s_or_b64 exec, exec, s[6:7]
.LBB71_135:
	v_cndmask_b32_e64 v3, 0, 1, s[14:15]
	v_cmp_ne_u32_e64 s[58:59], 1, v3
	s_andn2_b64 vcc, exec, s[14:15]
	s_waitcnt vmcnt(0) lgkmcnt(0)
	s_barrier
	s_cbranch_vccnz .LBB71_1057
; %bb.136:
	v_or_b32_e32 v3, v0, v2
	v_cmp_eq_u32_e32 vcc, 0, v3
	s_and_saveexec_b64 s[6:7], vcc
	s_cbranch_execz .LBB71_138
; %bb.137:
	v_mov_b32_e32 v9, 0
	ds_read_b128 v[3:6], v9
	ds_read_b64 v[7:8], v9 offset:520
	s_waitcnt lgkmcnt(0)
	v_mul_f32_e32 v10, v8, v4
	v_mul_f32_e32 v11, v7, v4
	v_fma_f32 v7, v7, v3, -v10
	v_fmac_f32_e32 v11, v8, v3
	v_mul_f32_e32 v3, v11, v6
	v_mul_f32_e32 v4, v7, v6
	v_fma_f32 v3, v7, v5, -v3
	v_fmac_f32_e32 v4, v11, v5
	ds_write2_b64 v9, v[3:4], v[3:4] offset0:1 offset1:64
.LBB71_138:
	s_or_b64 exec, exec, s[6:7]
	v_and_b32_e32 v8, 1, v0
	v_lshrrev_b32_e32 v5, 1, v1
	v_lshlrev_b32_e32 v3, 3, v8
	v_cmp_lt_u32_e64 s[10:11], 3, v1
	v_cmp_gt_u32_e64 s[22:23], 4, v1
	v_lshl_or_b32 v3, v5, 9, v3
	v_mov_b32_e32 v6, 0
	v_mov_b32_e32 v7, 0
	s_waitcnt lgkmcnt(0)
	s_barrier
	s_and_saveexec_b64 s[6:7], s[22:23]
	s_cbranch_execz .LBB71_142
; %bb.139:
	v_mul_u32_u24_e32 v4, 0x208, v5
	ds_read_b64 v[6:7], v3 offset:16
	ds_read_b64 v[9:10], v4
	v_cmp_gt_u32_e64 s[12:13], 2, v1
	s_waitcnt lgkmcnt(0)
	v_mul_f32_e32 v4, v10, v7
	v_mul_f32_e32 v7, v9, v7
	v_fma_f32 v4, v9, v6, -v4
	v_fmac_f32_e32 v7, v10, v6
	v_add_f32_e32 v4, 0, v4
	v_add_f32_e32 v6, 0, v7
	s_and_saveexec_b64 s[14:15], s[12:13]
	s_cbranch_execz .LBB71_141
; %bb.140:
	v_lshlrev_b32_e32 v7, 3, v0
	v_mov_b32_e32 v11, 0
	ds_read_b64 v[9:10], v7 offset:528
	ds_read_b64 v[11:12], v11 offset:8
	s_waitcnt lgkmcnt(0)
	v_mul_f32_e32 v7, v12, v10
	v_mul_f32_e32 v10, v11, v10
	v_fma_f32 v7, v11, v9, -v7
	v_fmac_f32_e32 v10, v12, v9
	v_add_f32_e32 v4, v4, v7
	v_add_f32_e32 v6, v6, v10
.LBB71_141:
	s_or_b64 exec, exec, s[14:15]
	v_xor_b32_e32 v7, 0x80000000, v4
	v_xor_b32_e32 v6, 0x80000000, v6
.LBB71_142:
	s_or_b64 exec, exec, s[6:7]
	v_mov_b32_e32 v4, 0x8000
	v_cmp_eq_u32_e64 s[12:13], 0, v8
	s_xor_b64 s[6:7], s[10:11], -1
	v_lshl_add_u32 v4, v5, 3, v4
	s_and_b64 s[38:39], s[12:13], s[6:7]
	s_and_saveexec_b64 s[10:11], s[38:39]
	s_cbranch_execz .LBB71_144
; %bb.143:
	v_mov_b32_e32 v9, 0
	ds_read_b64 v[9:10], v9 offset:1040
	s_waitcnt lgkmcnt(0)
	v_mul_f32_e32 v12, v6, v10
	v_mul_f32_e32 v11, v7, v10
	v_fma_f32 v10, v7, v9, -v12
	v_fmac_f32_e32 v11, v6, v9
	v_mov_b32_e32 v7, v10
	v_mov_b32_e32 v6, v11
	ds_write_b64 v4, v[10:11]
.LBB71_144:
	s_or_b64 exec, exec, s[10:11]
	v_cmp_ne_u32_e64 s[10:11], 0, v8
	s_and_b64 s[30:31], s[10:11], s[6:7]
	s_waitcnt lgkmcnt(0)
	s_barrier
	s_and_saveexec_b64 s[6:7], s[30:31]
	s_cbranch_execz .LBB71_146
; %bb.145:
	v_mov_b32_e32 v8, 0
	ds_read_b64 v[8:9], v8 offset:1048
	ds_read_b64 v[10:11], v4
	s_waitcnt lgkmcnt(0)
	v_mul_f32_e32 v12, v11, v9
	v_mul_f32_e32 v9, v10, v9
	v_fma_f32 v10, v10, v8, -v12
	v_fmac_f32_e32 v9, v11, v8
	v_add_f32_e32 v7, v7, v10
	v_add_f32_e32 v6, v6, v9
.LBB71_146:
	s_or_b64 exec, exec, s[6:7]
	s_barrier
	s_and_saveexec_b64 s[6:7], s[30:31]
	s_cbranch_execz .LBB71_148
; %bb.147:
	v_mov_b32_e32 v8, 0
	ds_read_b64 v[8:9], v8 offset:1560
	s_waitcnt lgkmcnt(0)
	v_mul_f32_e32 v11, v6, v9
	v_mul_f32_e32 v10, v7, v9
	v_fma_f32 v9, v7, v8, -v11
	v_fmac_f32_e32 v10, v6, v8
	v_mov_b32_e32 v7, v9
	v_mov_b32_e32 v6, v10
	ds_write_b64 v4, v[9:10]
.LBB71_148:
	s_or_b64 exec, exec, s[6:7]
	s_waitcnt lgkmcnt(0)
	s_barrier
	s_barrier
	s_and_saveexec_b64 s[6:7], s[22:23]
; %bb.149:
	v_xor_b32_e32 v8, 0x80000000, v6
	v_xor_b32_e32 v7, 0x80000000, v7
	ds_write_b64 v3, v[7:8] offset:16
; %bb.150:
	s_or_b64 exec, exec, s[6:7]
	v_cmp_eq_u32_e64 s[16:17], 0, v2
	v_cmp_gt_u32_e64 s[10:11], 2, v0
	s_and_b64 s[40:41], s[16:17], s[10:11]
	s_waitcnt lgkmcnt(0)
	s_barrier
	s_barrier
	s_and_saveexec_b64 s[6:7], s[40:41]
	s_cbranch_execz .LBB71_152
; %bb.151:
	v_lshlrev_b32_e32 v8, 3, v0
	s_movk_i32 s10, 0x1f8
	v_mad_u32_u24 v9, v0, s10, v8
	ds_read_b64 v[6:7], v9 offset:16
	s_waitcnt lgkmcnt(0)
	ds_write_b64 v8, v[6:7] offset:1024
	ds_read_b64 v[6:7], v9 offset:24
	s_waitcnt lgkmcnt(0)
	ds_write_b64 v8, v[6:7] offset:1536
.LBB71_152:
	s_or_b64 exec, exec, s[6:7]
	s_waitcnt lgkmcnt(0)
	s_barrier
	s_and_saveexec_b64 s[6:7], vcc
	s_cbranch_execz .LBB71_154
; %bb.153:
	v_mov_b32_e32 v12, 0
	ds_read_b128 v[6:9], v12 offset:1040
	ds_read_b64 v[10:11], v12 offset:1560
	s_waitcnt lgkmcnt(0)
	v_mul_f32_e32 v13, v11, v7
	v_mul_f32_e32 v14, v10, v7
	v_fma_f32 v10, v10, v6, -v13
	v_fmac_f32_e32 v14, v11, v6
	v_mul_f32_e32 v6, v14, v9
	v_mul_f32_e32 v7, v10, v9
	v_fma_f32 v6, v10, v8, -v6
	v_fmac_f32_e32 v7, v14, v8
	ds_write2_b64 v12, v[6:7], v[6:7] offset0:131 offset1:194
.LBB71_154:
	s_or_b64 exec, exec, s[6:7]
	v_and_b32_e32 v9, 3, v0
	v_lshrrev_b32_e32 v10, 2, v1
	v_lshlrev_b32_e32 v7, 3, v9
	v_cmp_lt_u32_e64 s[12:13], 15, v1
	v_cmp_gt_u32_e64 s[10:11], 16, v1
	v_lshl_or_b32 v6, v10, 9, v7
	v_mov_b32_e32 v11, 0
	v_mov_b32_e32 v12, 0
	s_waitcnt lgkmcnt(0)
	s_barrier
	s_and_saveexec_b64 s[6:7], s[10:11]
	s_cbranch_execz .LBB71_160
; %bb.155:
	v_mul_u32_u24_e32 v12, 0x208, v10
	ds_read_b64 v[13:14], v6 offset:32
	ds_read_b64 v[15:16], v12
	v_cmp_gt_u32_e64 s[14:15], 12, v1
	s_waitcnt lgkmcnt(0)
	v_mul_f32_e32 v8, v16, v14
	v_mul_f32_e32 v11, v15, v14
	v_fma_f32 v8, v15, v13, -v8
	v_fmac_f32_e32 v11, v16, v13
	v_add_f32_e32 v8, 0, v8
	v_add_f32_e32 v11, 0, v11
	s_and_saveexec_b64 s[18:19], s[14:15]
	s_cbranch_execnz .LBB71_1116
; %bb.156:
	s_or_b64 exec, exec, s[18:19]
	v_cmp_gt_u32_e64 s[14:15], 8, v1
	s_and_saveexec_b64 s[18:19], s[14:15]
	s_cbranch_execnz .LBB71_1117
.LBB71_157:
	s_or_b64 exec, exec, s[18:19]
	v_cmp_gt_u32_e64 s[14:15], 4, v1
	s_and_saveexec_b64 s[18:19], s[14:15]
	s_cbranch_execz .LBB71_159
.LBB71_158:
	v_lshlrev_b32_e32 v12, 3, v0
	v_mov_b32_e32 v14, 0
	ds_read_b64 v[12:13], v12 offset:1568
	ds_read_b64 v[14:15], v14 offset:24
	s_waitcnt lgkmcnt(0)
	v_mul_f32_e32 v16, v15, v13
	v_mul_f32_e32 v13, v14, v13
	v_fma_f32 v14, v14, v12, -v16
	v_fmac_f32_e32 v13, v15, v12
	v_add_f32_e32 v8, v8, v14
	v_add_f32_e32 v11, v11, v13
.LBB71_159:
	s_or_b64 exec, exec, s[18:19]
	v_xor_b32_e32 v12, 0x80000000, v8
	v_xor_b32_e32 v11, 0x80000000, v11
.LBB71_160:
                                        ; implicit-def: $vgpr34 : SGPR spill to VGPR lane
	v_writelane_b32 v34, s44, 0
	s_or_b64 exec, exec, s[6:7]
	v_mov_b32_e32 v8, 0x8000
	v_cmp_eq_u32_e64 s[14:15], 0, v9
	s_xor_b64 s[6:7], s[12:13], -1
	v_lshl_add_u32 v8, v10, 3, v8
	s_and_b64 s[44:45], s[14:15], s[6:7]
	s_and_saveexec_b64 s[12:13], s[44:45]
	s_cbranch_execz .LBB71_162
; %bb.161:
	v_mov_b32_e32 v13, 0
	ds_read_b64 v[13:14], v13 offset:2080
	s_waitcnt lgkmcnt(0)
	v_mul_f32_e32 v16, v11, v14
	v_mul_f32_e32 v15, v12, v14
	v_fma_f32 v14, v12, v13, -v16
	v_fmac_f32_e32 v15, v11, v13
	v_mov_b32_e32 v12, v14
	v_mov_b32_e32 v11, v15
	ds_write_b64 v8, v[14:15]
.LBB71_162:
	s_or_b64 exec, exec, s[12:13]
	v_cmp_ne_u32_e64 s[12:13], 0, v9
	s_and_b64 s[46:47], s[12:13], s[6:7]
	s_waitcnt lgkmcnt(0)
	s_barrier
	s_and_saveexec_b64 s[12:13], s[46:47]
	s_cbranch_execz .LBB71_164
; %bb.163:
	ds_read_b64 v[13:14], v7 offset:2080
	ds_read_b64 v[15:16], v8
	s_waitcnt lgkmcnt(0)
	v_mul_f32_e32 v17, v16, v14
	v_mul_f32_e32 v14, v15, v14
	v_fma_f32 v15, v15, v13, -v17
	v_fmac_f32_e32 v14, v16, v13
	v_add_f32_e32 v12, v12, v15
	v_add_f32_e32 v11, v11, v14
.LBB71_164:
	s_or_b64 exec, exec, s[12:13]
	v_cmp_eq_u32_e64 s[12:13], 1, v9
	s_and_b64 s[48:49], s[12:13], s[6:7]
	s_barrier
	s_and_saveexec_b64 s[12:13], s[48:49]
	s_cbranch_execz .LBB71_166
; %bb.165:
	v_mov_b32_e32 v13, 0
	ds_read_b64 v[13:14], v13 offset:2600
	s_waitcnt lgkmcnt(0)
	v_mul_f32_e32 v16, v11, v14
	v_mul_f32_e32 v15, v12, v14
	v_fma_f32 v14, v12, v13, -v16
	v_fmac_f32_e32 v15, v11, v13
	v_mov_b32_e32 v12, v14
	v_mov_b32_e32 v11, v15
	ds_write_b64 v8, v[14:15]
.LBB71_166:
	s_or_b64 exec, exec, s[12:13]
	v_cmp_lt_u32_e64 s[12:13], 1, v9
	s_and_b64 s[50:51], s[12:13], s[6:7]
	s_waitcnt lgkmcnt(0)
	s_barrier
	s_and_saveexec_b64 s[12:13], s[50:51]
	s_cbranch_execz .LBB71_168
; %bb.167:
	ds_read_b64 v[13:14], v7 offset:2592
	ds_read_b64 v[15:16], v8
	s_waitcnt lgkmcnt(0)
	v_mul_f32_e32 v17, v16, v14
	v_mul_f32_e32 v14, v15, v14
	v_fma_f32 v15, v15, v13, -v17
	v_fmac_f32_e32 v14, v16, v13
	v_add_f32_e32 v12, v12, v15
	v_add_f32_e32 v11, v11, v14
.LBB71_168:
	s_or_b64 exec, exec, s[12:13]
	v_cmp_eq_u32_e64 s[12:13], 2, v9
	s_and_b64 s[52:53], s[12:13], s[6:7]
	s_barrier
	s_and_saveexec_b64 s[12:13], s[52:53]
	s_cbranch_execz .LBB71_170
; %bb.169:
	v_mov_b32_e32 v13, 0
	ds_read_b64 v[13:14], v13 offset:3120
	s_waitcnt lgkmcnt(0)
	v_mul_f32_e32 v16, v11, v14
	v_mul_f32_e32 v15, v12, v14
	v_fma_f32 v14, v12, v13, -v16
	v_fmac_f32_e32 v15, v11, v13
	v_mov_b32_e32 v12, v14
	v_mov_b32_e32 v11, v15
	ds_write_b64 v8, v[14:15]
.LBB71_170:
	s_or_b64 exec, exec, s[12:13]
	v_cmp_eq_u32_e64 s[12:13], 3, v9
	s_and_b64 s[42:43], s[12:13], s[6:7]
	s_waitcnt lgkmcnt(0)
	s_barrier
	s_and_saveexec_b64 s[6:7], s[42:43]
	s_cbranch_execz .LBB71_172
; %bb.171:
	v_mov_b32_e32 v13, 0
	ds_read_b64 v[13:14], v13 offset:3128
	ds_read_b64 v[15:16], v8
	s_waitcnt lgkmcnt(0)
	v_mul_f32_e32 v17, v16, v14
	v_mul_f32_e32 v14, v15, v14
	v_fma_f32 v15, v15, v13, -v17
	v_fmac_f32_e32 v14, v16, v13
	v_add_f32_e32 v12, v12, v15
	v_add_f32_e32 v11, v11, v14
.LBB71_172:
	s_or_b64 exec, exec, s[6:7]
	s_barrier
	s_and_saveexec_b64 s[6:7], s[42:43]
	s_cbranch_execz .LBB71_174
; %bb.173:
	v_mov_b32_e32 v13, 0
	ds_read_b64 v[13:14], v13 offset:3640
	s_waitcnt lgkmcnt(0)
	v_mul_f32_e32 v16, v11, v14
	v_mul_f32_e32 v15, v12, v14
	v_fma_f32 v14, v12, v13, -v16
	v_fmac_f32_e32 v15, v11, v13
	v_mov_b32_e32 v12, v14
	v_mov_b32_e32 v11, v15
	ds_write_b64 v8, v[14:15]
.LBB71_174:
	s_or_b64 exec, exec, s[6:7]
	s_waitcnt lgkmcnt(0)
	s_barrier
	s_barrier
	s_and_saveexec_b64 s[6:7], s[10:11]
; %bb.175:
	v_xor_b32_e32 v12, 0x80000000, v12
	v_xor_b32_e32 v13, 0x80000000, v11
	ds_write_b64 v6, v[12:13] offset:32
; %bb.176:
	s_or_b64 exec, exec, s[6:7]
	v_cmp_gt_u32_e64 s[12:13], 4, v0
	s_and_b64 s[54:55], s[16:17], s[12:13]
	s_waitcnt lgkmcnt(0)
	s_barrier
	s_barrier
	s_and_saveexec_b64 s[6:7], s[54:55]
	s_cbranch_execz .LBB71_178
; %bb.177:
	v_lshlrev_b32_e32 v13, 9, v0
	ds_read_b64 v[11:12], v13 offset:32
	s_movk_i32 s12, 0xfe08
	v_mad_i32_i24 v14, v0, s12, v13
	s_waitcnt lgkmcnt(0)
	ds_write_b64 v14, v[11:12] offset:2048
	ds_read_b64 v[11:12], v13 offset:40
	s_waitcnt lgkmcnt(0)
	ds_write_b64 v14, v[11:12] offset:2560
	ds_read_b64 v[11:12], v13 offset:48
	;; [unrolled: 3-line block ×3, first 2 shown]
	s_waitcnt lgkmcnt(0)
	ds_write_b64 v14, v[11:12] offset:3584
.LBB71_178:
	s_or_b64 exec, exec, s[6:7]
	s_waitcnt lgkmcnt(0)
	s_barrier
	s_and_saveexec_b64 s[6:7], vcc
	s_cbranch_execz .LBB71_180
; %bb.179:
	v_mov_b32_e32 v15, 0
	ds_read_b128 v[11:14], v15 offset:2080
	ds_read_b64 v[15:16], v15 offset:2600
	s_movk_i32 s12, 0x800
	s_waitcnt lgkmcnt(0)
	v_mul_f32_e32 v17, v16, v12
	v_mul_f32_e32 v18, v15, v12
	v_fma_f32 v15, v15, v11, -v17
	v_fmac_f32_e32 v18, v16, v11
	v_mul_f32_e32 v11, v18, v14
	v_mul_f32_e32 v12, v15, v14
	v_fma_f32 v11, v15, v13, -v11
	v_fmac_f32_e32 v12, v18, v13
	v_add_u32_e64 v13, s12, 0
	ds_write2_b64 v13, v[11:12], v[11:12] offset0:5 offset1:68
.LBB71_180:
	s_or_b64 exec, exec, s[6:7]
	v_mov_b32_e32 v11, 0
	v_mov_b32_e32 v12, 0
	s_waitcnt lgkmcnt(0)
	s_barrier
	s_and_saveexec_b64 s[6:7], s[22:23]
	s_cbranch_execz .LBB71_184
; %bb.181:
	v_mul_u32_u24_e32 v13, 0x208, v5
	ds_read_b64 v[11:12], v3 offset:2096
	ds_read_b64 v[13:14], v13 offset:2080
	v_cmp_gt_u32_e64 s[12:13], 2, v1
	s_waitcnt lgkmcnt(0)
	v_mul_f32_e32 v15, v14, v12
	v_mul_f32_e32 v12, v13, v12
	v_fma_f32 v13, v13, v11, -v15
	v_fmac_f32_e32 v12, v14, v11
	v_add_f32_e32 v11, 0, v13
	v_add_f32_e32 v13, 0, v12
	s_and_saveexec_b64 s[14:15], s[12:13]
	s_cbranch_execz .LBB71_183
; %bb.182:
	v_lshlrev_b32_e32 v12, 3, v0
	v_mov_b32_e32 v16, 0
	ds_read_b64 v[14:15], v12 offset:2608
	ds_read_b64 v[16:17], v16 offset:2088
	s_waitcnt lgkmcnt(0)
	v_mul_f32_e32 v12, v17, v15
	v_mul_f32_e32 v15, v16, v15
	v_fma_f32 v12, v16, v14, -v12
	v_fmac_f32_e32 v15, v17, v14
	v_add_f32_e32 v11, v11, v12
	v_add_f32_e32 v13, v13, v15
.LBB71_183:
	s_or_b64 exec, exec, s[14:15]
	v_xor_b32_e32 v12, 0x80000000, v11
	v_xor_b32_e32 v11, 0x80000000, v13
.LBB71_184:
	s_or_b64 exec, exec, s[6:7]
	s_and_saveexec_b64 s[6:7], s[38:39]
	s_cbranch_execz .LBB71_186
; %bb.185:
	v_mov_b32_e32 v13, 0
	ds_read_b64 v[13:14], v13 offset:3120
	s_waitcnt lgkmcnt(0)
	v_mul_f32_e32 v16, v11, v14
	v_mul_f32_e32 v15, v12, v14
	v_fma_f32 v14, v12, v13, -v16
	v_fmac_f32_e32 v15, v11, v13
	v_mov_b32_e32 v12, v14
	v_mov_b32_e32 v11, v15
	ds_write_b64 v4, v[14:15]
.LBB71_186:
	s_or_b64 exec, exec, s[6:7]
	s_waitcnt lgkmcnt(0)
	s_barrier
	s_and_saveexec_b64 s[6:7], s[30:31]
	s_cbranch_execz .LBB71_188
; %bb.187:
	v_mov_b32_e32 v13, 0
	ds_read_b64 v[13:14], v13 offset:3128
	ds_read_b64 v[15:16], v4
	s_waitcnt lgkmcnt(0)
	v_mul_f32_e32 v17, v16, v14
	v_mul_f32_e32 v14, v15, v14
	v_fma_f32 v15, v15, v13, -v17
	v_fmac_f32_e32 v14, v16, v13
	v_add_f32_e32 v12, v12, v15
	v_add_f32_e32 v11, v11, v14
.LBB71_188:
	s_or_b64 exec, exec, s[6:7]
	s_barrier
	s_and_saveexec_b64 s[6:7], s[30:31]
	s_cbranch_execz .LBB71_190
; %bb.189:
	v_mov_b32_e32 v13, 0
	ds_read_b64 v[13:14], v13 offset:3640
	s_waitcnt lgkmcnt(0)
	v_mul_f32_e32 v16, v11, v14
	v_mul_f32_e32 v15, v12, v14
	v_fma_f32 v14, v12, v13, -v16
	v_fmac_f32_e32 v15, v11, v13
	v_mov_b32_e32 v12, v14
	v_mov_b32_e32 v11, v15
	ds_write_b64 v4, v[14:15]
.LBB71_190:
	s_or_b64 exec, exec, s[6:7]
	s_waitcnt lgkmcnt(0)
	s_barrier
	s_barrier
	s_and_saveexec_b64 s[6:7], s[22:23]
; %bb.191:
	v_xor_b32_e32 v13, 0x80000000, v11
	v_xor_b32_e32 v12, 0x80000000, v12
	ds_write_b64 v3, v[12:13] offset:2096
; %bb.192:
	s_or_b64 exec, exec, s[6:7]
	s_waitcnt lgkmcnt(0)
	s_barrier
	s_barrier
	s_and_saveexec_b64 s[6:7], s[40:41]
	s_cbranch_execz .LBB71_194
; %bb.193:
	v_lshlrev_b32_e32 v13, 3, v0
	s_movk_i32 s12, 0x1f8
	v_mad_u32_u24 v14, v0, s12, v13
	ds_read_b64 v[11:12], v14 offset:2096
	s_waitcnt lgkmcnt(0)
	ds_write_b64 v13, v[11:12] offset:3104
	ds_read_b64 v[11:12], v14 offset:2104
	s_waitcnt lgkmcnt(0)
	ds_write_b64 v13, v[11:12] offset:3616
.LBB71_194:
	s_or_b64 exec, exec, s[6:7]
	s_waitcnt lgkmcnt(0)
	s_barrier
	s_and_saveexec_b64 s[6:7], vcc
	s_cbranch_execz .LBB71_196
; %bb.195:
	v_mov_b32_e32 v15, 0
	ds_read_b128 v[11:14], v15 offset:3120
	ds_read_b64 v[15:16], v15 offset:3640
	s_movk_i32 s12, 0x800
	s_waitcnt lgkmcnt(0)
	v_mul_f32_e32 v17, v16, v12
	v_mul_f32_e32 v18, v15, v12
	v_fma_f32 v15, v15, v11, -v17
	v_fmac_f32_e32 v18, v16, v11
	v_mul_f32_e32 v11, v18, v14
	v_mul_f32_e32 v12, v15, v14
	v_fma_f32 v11, v15, v13, -v11
	v_fmac_f32_e32 v12, v18, v13
	v_add_u32_e64 v13, s12, 0
	ds_write2_b64 v13, v[11:12], v[11:12] offset0:135 offset1:198
.LBB71_196:
	s_or_b64 exec, exec, s[6:7]
	v_and_b32_e32 v14, 7, v0
	v_lshrrev_b32_e32 v15, 3, v1
	v_lshlrev_b32_e32 v12, 3, v14
	v_cmp_lt_u32_e64 s[14:15], 63, v1
	v_cmp_gt_u32_e64 s[12:13], 64, v1
	v_lshl_or_b32 v11, v15, 9, v12
	v_mov_b32_e32 v16, 0
	v_mov_b32_e32 v17, 0
	s_waitcnt lgkmcnt(0)
	s_barrier
	s_and_saveexec_b64 s[6:7], s[12:13]
	s_cbranch_execz .LBB71_206
; %bb.197:
	v_mul_u32_u24_e32 v17, 0x208, v15
	ds_read_b64 v[18:19], v11 offset:64
	ds_read_b64 v[20:21], v17
	v_cmp_gt_u32_e64 s[18:19], 56, v1
	s_waitcnt lgkmcnt(0)
	v_mul_f32_e32 v13, v21, v19
	v_mul_f32_e32 v16, v20, v19
	v_fma_f32 v13, v20, v18, -v13
	v_fmac_f32_e32 v16, v21, v18
	v_add_f32_e32 v13, 0, v13
	v_add_f32_e32 v16, 0, v16
	s_and_saveexec_b64 s[20:21], s[18:19]
	s_cbranch_execnz .LBB71_1118
; %bb.198:
	s_or_b64 exec, exec, s[20:21]
	v_cmp_gt_u32_e64 s[18:19], 48, v1
	s_and_saveexec_b64 s[20:21], s[18:19]
	s_cbranch_execnz .LBB71_1119
.LBB71_199:
	s_or_b64 exec, exec, s[20:21]
	v_cmp_gt_u32_e64 s[18:19], 40, v1
	s_and_saveexec_b64 s[20:21], s[18:19]
	s_cbranch_execnz .LBB71_1120
.LBB71_200:
	s_or_b64 exec, exec, s[20:21]
	v_cmp_gt_u32_e64 s[18:19], 32, v1
	s_and_saveexec_b64 s[20:21], s[18:19]
	s_cbranch_execnz .LBB71_1121
.LBB71_201:
	s_or_b64 exec, exec, s[20:21]
	v_cmp_gt_u32_e64 s[18:19], 24, v1
	s_and_saveexec_b64 s[20:21], s[18:19]
	s_cbranch_execnz .LBB71_1122
.LBB71_202:
	s_or_b64 exec, exec, s[20:21]
	v_cmp_gt_u32_e64 s[18:19], 16, v1
	s_and_saveexec_b64 s[20:21], s[18:19]
	s_cbranch_execnz .LBB71_1123
.LBB71_203:
	s_or_b64 exec, exec, s[20:21]
	v_cmp_gt_u32_e64 s[18:19], 8, v1
	s_and_saveexec_b64 s[20:21], s[18:19]
	s_cbranch_execz .LBB71_205
.LBB71_204:
	v_lshlrev_b32_e32 v17, 3, v0
	v_mov_b32_e32 v19, 0
	ds_read_b64 v[17:18], v17 offset:3648
	ds_read_b64 v[19:20], v19 offset:56
	s_waitcnt lgkmcnt(0)
	v_mul_f32_e32 v21, v20, v18
	v_mul_f32_e32 v18, v19, v18
	v_fma_f32 v19, v19, v17, -v21
	v_fmac_f32_e32 v18, v20, v17
	v_add_f32_e32 v13, v13, v19
	v_add_f32_e32 v16, v16, v18
.LBB71_205:
	s_or_b64 exec, exec, s[20:21]
	v_xor_b32_e32 v17, 0x80000000, v13
	v_xor_b32_e32 v16, 0x80000000, v16
.LBB71_206:
	v_writelane_b32 v34, s58, 1
	v_writelane_b32 v34, s59, 2
	s_or_b64 exec, exec, s[6:7]
	v_mov_b32_e32 v13, 0x8000
	v_cmp_eq_u32_e64 s[18:19], 0, v14
	s_xor_b64 s[6:7], s[14:15], -1
	v_lshl_add_u32 v13, v15, 3, v13
	s_and_b64 s[58:59], s[18:19], s[6:7]
	s_and_saveexec_b64 s[14:15], s[58:59]
	s_cbranch_execz .LBB71_208
; %bb.207:
	v_mov_b32_e32 v18, 0
	ds_read_b64 v[18:19], v18 offset:4160
	s_waitcnt lgkmcnt(0)
	v_mul_f32_e32 v21, v16, v19
	v_mul_f32_e32 v20, v17, v19
	v_fma_f32 v19, v17, v18, -v21
	v_fmac_f32_e32 v20, v16, v18
	v_mov_b32_e32 v17, v19
	v_mov_b32_e32 v16, v20
	ds_write_b64 v13, v[19:20]
.LBB71_208:
	s_or_b64 exec, exec, s[14:15]
	v_cmp_ne_u32_e64 s[14:15], 0, v14
	s_and_b64 s[60:61], s[14:15], s[6:7]
	s_waitcnt lgkmcnt(0)
	s_barrier
	s_and_saveexec_b64 s[14:15], s[60:61]
	s_cbranch_execz .LBB71_210
; %bb.209:
	ds_read_b64 v[18:19], v12 offset:4160
	ds_read_b64 v[20:21], v13
	s_waitcnt lgkmcnt(0)
	v_mul_f32_e32 v22, v21, v19
	v_mul_f32_e32 v19, v20, v19
	v_fma_f32 v20, v20, v18, -v22
	v_fmac_f32_e32 v19, v21, v18
	v_add_f32_e32 v17, v17, v20
	v_add_f32_e32 v16, v16, v19
.LBB71_210:
	s_or_b64 exec, exec, s[14:15]
	v_cmp_eq_u32_e64 s[14:15], 1, v14
	s_and_b64 s[62:63], s[14:15], s[6:7]
	s_barrier
	s_and_saveexec_b64 s[14:15], s[62:63]
	s_cbranch_execz .LBB71_212
; %bb.211:
	v_mov_b32_e32 v18, 0
	ds_read_b64 v[18:19], v18 offset:4680
	s_waitcnt lgkmcnt(0)
	v_mul_f32_e32 v21, v16, v19
	v_mul_f32_e32 v20, v17, v19
	v_fma_f32 v19, v17, v18, -v21
	v_fmac_f32_e32 v20, v16, v18
	v_mov_b32_e32 v17, v19
	v_mov_b32_e32 v16, v20
	ds_write_b64 v13, v[19:20]
.LBB71_212:
	s_or_b64 exec, exec, s[14:15]
	v_cmp_lt_u32_e64 s[14:15], 1, v14
	s_and_b64 s[64:65], s[14:15], s[6:7]
	s_waitcnt lgkmcnt(0)
	s_barrier
	s_and_saveexec_b64 s[14:15], s[64:65]
	s_cbranch_execz .LBB71_214
; %bb.213:
	ds_read_b64 v[18:19], v12 offset:4672
	ds_read_b64 v[20:21], v13
	s_waitcnt lgkmcnt(0)
	v_mul_f32_e32 v22, v21, v19
	v_mul_f32_e32 v19, v20, v19
	v_fma_f32 v20, v20, v18, -v22
	v_fmac_f32_e32 v19, v21, v18
	v_add_f32_e32 v17, v17, v20
	v_add_f32_e32 v16, v16, v19
.LBB71_214:
	s_or_b64 exec, exec, s[14:15]
	v_cmp_eq_u32_e64 s[14:15], 2, v14
	s_and_b64 s[66:67], s[14:15], s[6:7]
	s_barrier
	s_and_saveexec_b64 s[14:15], s[66:67]
	s_cbranch_execz .LBB71_216
; %bb.215:
	v_mov_b32_e32 v18, 0
	ds_read_b64 v[18:19], v18 offset:5200
	s_waitcnt lgkmcnt(0)
	v_mul_f32_e32 v21, v16, v19
	v_mul_f32_e32 v20, v17, v19
	v_fma_f32 v19, v17, v18, -v21
	v_fmac_f32_e32 v20, v16, v18
	v_mov_b32_e32 v17, v19
	v_mov_b32_e32 v16, v20
	ds_write_b64 v13, v[19:20]
.LBB71_216:
	s_or_b64 exec, exec, s[14:15]
	v_cmp_lt_u32_e64 s[14:15], 2, v14
	s_and_b64 s[68:69], s[14:15], s[6:7]
	s_waitcnt lgkmcnt(0)
	s_barrier
	s_and_saveexec_b64 s[14:15], s[68:69]
	s_cbranch_execz .LBB71_218
; %bb.217:
	ds_read_b64 v[18:19], v12 offset:5184
	ds_read_b64 v[20:21], v13
	s_waitcnt lgkmcnt(0)
	v_mul_f32_e32 v22, v21, v19
	v_mul_f32_e32 v19, v20, v19
	v_fma_f32 v20, v20, v18, -v22
	v_fmac_f32_e32 v19, v21, v18
	v_add_f32_e32 v17, v17, v20
	v_add_f32_e32 v16, v16, v19
.LBB71_218:
	s_or_b64 exec, exec, s[14:15]
	v_cmp_eq_u32_e64 s[14:15], 3, v14
	s_and_b64 s[70:71], s[14:15], s[6:7]
	s_barrier
	s_and_saveexec_b64 s[14:15], s[70:71]
	s_cbranch_execz .LBB71_220
; %bb.219:
	v_mov_b32_e32 v18, 0
	ds_read_b64 v[18:19], v18 offset:5720
	s_waitcnt lgkmcnt(0)
	v_mul_f32_e32 v21, v16, v19
	v_mul_f32_e32 v20, v17, v19
	v_fma_f32 v19, v17, v18, -v21
	v_fmac_f32_e32 v20, v16, v18
	v_mov_b32_e32 v17, v19
	v_mov_b32_e32 v16, v20
	ds_write_b64 v13, v[19:20]
.LBB71_220:
	s_or_b64 exec, exec, s[14:15]
	v_cmp_lt_u32_e64 s[14:15], 3, v14
	s_and_b64 s[72:73], s[14:15], s[6:7]
	s_waitcnt lgkmcnt(0)
	s_barrier
	s_and_saveexec_b64 s[14:15], s[72:73]
	s_cbranch_execz .LBB71_222
; %bb.221:
	ds_read_b64 v[18:19], v12 offset:5696
	ds_read_b64 v[20:21], v13
	s_waitcnt lgkmcnt(0)
	v_mul_f32_e32 v22, v21, v19
	v_mul_f32_e32 v19, v20, v19
	v_fma_f32 v20, v20, v18, -v22
	v_fmac_f32_e32 v19, v21, v18
	v_add_f32_e32 v17, v17, v20
	v_add_f32_e32 v16, v16, v19
.LBB71_222:
	s_or_b64 exec, exec, s[14:15]
	v_cmp_eq_u32_e64 s[14:15], 4, v14
	s_and_b64 s[74:75], s[14:15], s[6:7]
	s_barrier
	s_and_saveexec_b64 s[14:15], s[74:75]
	s_cbranch_execz .LBB71_224
; %bb.223:
	v_mov_b32_e32 v18, 0
	ds_read_b64 v[18:19], v18 offset:6240
	s_waitcnt lgkmcnt(0)
	v_mul_f32_e32 v21, v16, v19
	v_mul_f32_e32 v20, v17, v19
	v_fma_f32 v19, v17, v18, -v21
	v_fmac_f32_e32 v20, v16, v18
	v_mov_b32_e32 v17, v19
	v_mov_b32_e32 v16, v20
	ds_write_b64 v13, v[19:20]
.LBB71_224:
	s_or_b64 exec, exec, s[14:15]
	v_cmp_lt_u32_e64 s[14:15], 4, v14
	s_and_b64 s[76:77], s[14:15], s[6:7]
	s_waitcnt lgkmcnt(0)
	s_barrier
	s_and_saveexec_b64 s[14:15], s[76:77]
	s_cbranch_execz .LBB71_226
; %bb.225:
	ds_read_b64 v[18:19], v12 offset:6208
	ds_read_b64 v[20:21], v13
	s_waitcnt lgkmcnt(0)
	v_mul_f32_e32 v22, v21, v19
	v_mul_f32_e32 v19, v20, v19
	v_fma_f32 v20, v20, v18, -v22
	v_fmac_f32_e32 v19, v21, v18
	v_add_f32_e32 v17, v17, v20
	v_add_f32_e32 v16, v16, v19
.LBB71_226:
	s_or_b64 exec, exec, s[14:15]
	v_cmp_eq_u32_e64 s[14:15], 5, v14
	s_and_b64 s[78:79], s[14:15], s[6:7]
	s_barrier
	s_and_saveexec_b64 s[14:15], s[78:79]
	s_cbranch_execz .LBB71_228
; %bb.227:
	v_mov_b32_e32 v18, 0
	ds_read_b64 v[18:19], v18 offset:6760
	s_waitcnt lgkmcnt(0)
	v_mul_f32_e32 v21, v16, v19
	v_mul_f32_e32 v20, v17, v19
	v_fma_f32 v19, v17, v18, -v21
	v_fmac_f32_e32 v20, v16, v18
	v_mov_b32_e32 v17, v19
	v_mov_b32_e32 v16, v20
	ds_write_b64 v13, v[19:20]
.LBB71_228:
	s_or_b64 exec, exec, s[14:15]
	v_cmp_lt_u32_e64 s[14:15], 5, v14
	s_and_b64 s[80:81], s[14:15], s[6:7]
	s_waitcnt lgkmcnt(0)
	s_barrier
	s_and_saveexec_b64 s[14:15], s[80:81]
	s_cbranch_execz .LBB71_230
; %bb.229:
	ds_read_b64 v[18:19], v12 offset:6720
	ds_read_b64 v[20:21], v13
	s_waitcnt lgkmcnt(0)
	v_mul_f32_e32 v22, v21, v19
	v_mul_f32_e32 v19, v20, v19
	v_fma_f32 v20, v20, v18, -v22
	v_fmac_f32_e32 v19, v21, v18
	v_add_f32_e32 v17, v17, v20
	v_add_f32_e32 v16, v16, v19
.LBB71_230:
	s_or_b64 exec, exec, s[14:15]
	v_cmp_eq_u32_e64 s[14:15], 6, v14
	s_and_b64 s[82:83], s[14:15], s[6:7]
	s_barrier
	s_and_saveexec_b64 s[14:15], s[82:83]
	s_cbranch_execz .LBB71_232
; %bb.231:
	v_mov_b32_e32 v18, 0
	ds_read_b64 v[18:19], v18 offset:7280
	s_waitcnt lgkmcnt(0)
	v_mul_f32_e32 v21, v16, v19
	v_mul_f32_e32 v20, v17, v19
	v_fma_f32 v19, v17, v18, -v21
	v_fmac_f32_e32 v20, v16, v18
	v_mov_b32_e32 v17, v19
	v_mov_b32_e32 v16, v20
	ds_write_b64 v13, v[19:20]
.LBB71_232:
	s_or_b64 exec, exec, s[14:15]
	v_cmp_eq_u32_e64 s[14:15], 7, v14
	s_and_b64 s[56:57], s[14:15], s[6:7]
	s_waitcnt lgkmcnt(0)
	s_barrier
	s_and_saveexec_b64 s[6:7], s[56:57]
	s_cbranch_execz .LBB71_234
; %bb.233:
	v_mov_b32_e32 v18, 0
	ds_read_b64 v[18:19], v18 offset:7288
	ds_read_b64 v[20:21], v13
	s_waitcnt lgkmcnt(0)
	v_mul_f32_e32 v22, v21, v19
	v_mul_f32_e32 v19, v20, v19
	v_fma_f32 v20, v20, v18, -v22
	v_fmac_f32_e32 v19, v21, v18
	v_add_f32_e32 v17, v17, v20
	v_add_f32_e32 v16, v16, v19
.LBB71_234:
	s_or_b64 exec, exec, s[6:7]
	s_barrier
	s_and_saveexec_b64 s[6:7], s[56:57]
	s_cbranch_execz .LBB71_236
; %bb.235:
	v_mov_b32_e32 v18, 0
	ds_read_b64 v[18:19], v18 offset:7800
	s_waitcnt lgkmcnt(0)
	v_mul_f32_e32 v21, v16, v19
	v_mul_f32_e32 v20, v17, v19
	v_fma_f32 v19, v17, v18, -v21
	v_fmac_f32_e32 v20, v16, v18
	v_mov_b32_e32 v17, v19
	v_mov_b32_e32 v16, v20
	ds_write_b64 v13, v[19:20]
.LBB71_236:
	s_or_b64 exec, exec, s[6:7]
	s_waitcnt lgkmcnt(0)
	s_barrier
	s_barrier
	s_and_saveexec_b64 s[6:7], s[12:13]
; %bb.237:
	v_xor_b32_e32 v18, 0x80000000, v16
	v_xor_b32_e32 v17, 0x80000000, v17
	ds_write_b64 v11, v[17:18] offset:64
; %bb.238:
	s_or_b64 exec, exec, s[6:7]
	v_cmp_gt_u32_e64 s[14:15], 8, v0
	s_and_b64 s[84:85], s[16:17], s[14:15]
	s_waitcnt lgkmcnt(0)
	s_barrier
	s_barrier
	s_and_saveexec_b64 s[6:7], s[84:85]
	s_cbranch_execz .LBB71_240
; %bb.239:
	v_lshlrev_b32_e32 v18, 9, v0
	ds_read_b64 v[16:17], v18 offset:64
	s_movk_i32 s14, 0xfe08
	v_mad_i32_i24 v19, v0, s14, v18
	s_waitcnt lgkmcnt(0)
	ds_write_b64 v19, v[16:17] offset:4096
	ds_read_b64 v[16:17], v18 offset:72
	s_waitcnt lgkmcnt(0)
	ds_write_b64 v19, v[16:17] offset:4608
	ds_read_b64 v[16:17], v18 offset:80
	;; [unrolled: 3-line block ×7, first 2 shown]
	s_waitcnt lgkmcnt(0)
	ds_write_b64 v19, v[16:17] offset:7680
.LBB71_240:
	s_or_b64 exec, exec, s[6:7]
	s_waitcnt lgkmcnt(0)
	s_barrier
	s_and_saveexec_b64 s[6:7], vcc
	s_cbranch_execz .LBB71_242
; %bb.241:
	v_mov_b32_e32 v20, 0
	ds_read_b128 v[16:19], v20 offset:4160
	ds_read_b64 v[20:21], v20 offset:4680
	s_movk_i32 s14, 0x1000
	s_waitcnt lgkmcnt(0)
	v_mul_f32_e32 v22, v21, v17
	v_mul_f32_e32 v23, v20, v17
	v_fma_f32 v20, v20, v16, -v22
	v_fmac_f32_e32 v23, v21, v16
	v_mul_f32_e32 v16, v23, v19
	v_mul_f32_e32 v17, v20, v19
	v_fma_f32 v16, v20, v18, -v16
	v_fmac_f32_e32 v17, v23, v18
	v_add_u32_e64 v18, s14, 0
	ds_write2_b64 v18, v[16:17], v[16:17] offset0:9 offset1:72
.LBB71_242:
	s_or_b64 exec, exec, s[6:7]
	v_mov_b32_e32 v16, 0
	v_mov_b32_e32 v17, 0
	s_waitcnt lgkmcnt(0)
	s_barrier
	s_and_saveexec_b64 s[6:7], s[22:23]
	s_cbranch_execz .LBB71_246
; %bb.243:
	v_mul_u32_u24_e32 v18, 0x208, v5
	ds_read_b64 v[16:17], v3 offset:4176
	ds_read_b64 v[18:19], v18 offset:4160
	v_cmp_gt_u32_e64 s[14:15], 2, v1
	s_waitcnt lgkmcnt(0)
	v_mul_f32_e32 v20, v19, v17
	v_mul_f32_e32 v17, v18, v17
	v_fma_f32 v18, v18, v16, -v20
	v_fmac_f32_e32 v17, v19, v16
	v_add_f32_e32 v16, 0, v18
	v_add_f32_e32 v18, 0, v17
	s_and_saveexec_b64 s[18:19], s[14:15]
	s_cbranch_execz .LBB71_245
; %bb.244:
	v_lshlrev_b32_e32 v17, 3, v0
	v_mov_b32_e32 v21, 0
	ds_read_b64 v[19:20], v17 offset:4688
	ds_read_b64 v[21:22], v21 offset:4168
	s_waitcnt lgkmcnt(0)
	v_mul_f32_e32 v17, v22, v20
	v_mul_f32_e32 v20, v21, v20
	v_fma_f32 v17, v21, v19, -v17
	v_fmac_f32_e32 v20, v22, v19
	v_add_f32_e32 v16, v16, v17
	v_add_f32_e32 v18, v18, v20
.LBB71_245:
	s_or_b64 exec, exec, s[18:19]
	v_xor_b32_e32 v17, 0x80000000, v16
	v_xor_b32_e32 v16, 0x80000000, v18
.LBB71_246:
	s_or_b64 exec, exec, s[6:7]
	s_and_saveexec_b64 s[6:7], s[38:39]
	s_cbranch_execz .LBB71_248
; %bb.247:
	v_mov_b32_e32 v18, 0
	ds_read_b64 v[18:19], v18 offset:5200
	s_waitcnt lgkmcnt(0)
	v_mul_f32_e32 v21, v16, v19
	v_mul_f32_e32 v20, v17, v19
	v_fma_f32 v19, v17, v18, -v21
	v_fmac_f32_e32 v20, v16, v18
	v_mov_b32_e32 v17, v19
	v_mov_b32_e32 v16, v20
	ds_write_b64 v4, v[19:20]
.LBB71_248:
	s_or_b64 exec, exec, s[6:7]
	s_waitcnt lgkmcnt(0)
	s_barrier
	s_and_saveexec_b64 s[6:7], s[30:31]
	s_cbranch_execz .LBB71_250
; %bb.249:
	v_mov_b32_e32 v18, 0
	ds_read_b64 v[18:19], v18 offset:5208
	ds_read_b64 v[20:21], v4
	s_waitcnt lgkmcnt(0)
	v_mul_f32_e32 v22, v21, v19
	v_mul_f32_e32 v19, v20, v19
	v_fma_f32 v20, v20, v18, -v22
	v_fmac_f32_e32 v19, v21, v18
	v_add_f32_e32 v17, v17, v20
	v_add_f32_e32 v16, v16, v19
.LBB71_250:
	s_or_b64 exec, exec, s[6:7]
	s_barrier
	s_and_saveexec_b64 s[6:7], s[30:31]
	s_cbranch_execz .LBB71_252
; %bb.251:
	v_mov_b32_e32 v18, 0
	ds_read_b64 v[18:19], v18 offset:5720
	s_waitcnt lgkmcnt(0)
	v_mul_f32_e32 v21, v16, v19
	v_mul_f32_e32 v20, v17, v19
	v_fma_f32 v19, v17, v18, -v21
	v_fmac_f32_e32 v20, v16, v18
	v_mov_b32_e32 v17, v19
	v_mov_b32_e32 v16, v20
	ds_write_b64 v4, v[19:20]
.LBB71_252:
	s_or_b64 exec, exec, s[6:7]
	s_waitcnt lgkmcnt(0)
	s_barrier
	s_barrier
	s_and_saveexec_b64 s[6:7], s[22:23]
; %bb.253:
	v_xor_b32_e32 v18, 0x80000000, v16
	v_xor_b32_e32 v17, 0x80000000, v17
	ds_write_b64 v3, v[17:18] offset:4176
; %bb.254:
	s_or_b64 exec, exec, s[6:7]
	s_waitcnt lgkmcnt(0)
	s_barrier
	s_barrier
	s_and_saveexec_b64 s[6:7], s[40:41]
	s_cbranch_execz .LBB71_256
; %bb.255:
	v_lshlrev_b32_e32 v18, 3, v0
	s_movk_i32 s14, 0x1f8
	v_mad_u32_u24 v19, v0, s14, v18
	ds_read_b64 v[16:17], v19 offset:4176
	s_waitcnt lgkmcnt(0)
	ds_write_b64 v18, v[16:17] offset:5184
	ds_read_b64 v[16:17], v19 offset:4184
	s_waitcnt lgkmcnt(0)
	ds_write_b64 v18, v[16:17] offset:5696
.LBB71_256:
	s_or_b64 exec, exec, s[6:7]
	s_waitcnt lgkmcnt(0)
	s_barrier
	s_and_saveexec_b64 s[6:7], vcc
	s_cbranch_execz .LBB71_258
; %bb.257:
	v_mov_b32_e32 v20, 0
	ds_read_b128 v[16:19], v20 offset:5200
	ds_read_b64 v[20:21], v20 offset:5720
	s_movk_i32 s14, 0x1000
	s_waitcnt lgkmcnt(0)
	v_mul_f32_e32 v22, v21, v17
	v_mul_f32_e32 v23, v20, v17
	v_fma_f32 v20, v20, v16, -v22
	v_fmac_f32_e32 v23, v21, v16
	v_mul_f32_e32 v16, v23, v19
	v_mul_f32_e32 v17, v20, v19
	v_fma_f32 v16, v20, v18, -v16
	v_fmac_f32_e32 v17, v23, v18
	v_add_u32_e64 v18, s14, 0
	ds_write2_b64 v18, v[16:17], v[16:17] offset0:139 offset1:202
.LBB71_258:
	s_or_b64 exec, exec, s[6:7]
	v_mov_b32_e32 v16, 0
	v_mov_b32_e32 v17, 0
	s_waitcnt lgkmcnt(0)
	s_barrier
	s_and_saveexec_b64 s[6:7], s[10:11]
	s_cbranch_execz .LBB71_264
; %bb.259:
	v_mul_u32_u24_e32 v17, 0x208, v10
	ds_read_b64 v[18:19], v6 offset:4192
	ds_read_b64 v[20:21], v17 offset:4160
	v_cmp_gt_u32_e64 s[14:15], 12, v1
	s_waitcnt lgkmcnt(0)
	v_mul_f32_e32 v16, v21, v19
	v_mul_f32_e32 v19, v20, v19
	v_fma_f32 v16, v20, v18, -v16
	v_fmac_f32_e32 v19, v21, v18
	v_add_f32_e32 v16, 0, v16
	v_add_f32_e32 v18, 0, v19
	s_and_saveexec_b64 s[18:19], s[14:15]
	s_cbranch_execnz .LBB71_1124
; %bb.260:
	s_or_b64 exec, exec, s[18:19]
	v_cmp_gt_u32_e64 s[14:15], 8, v1
	s_and_saveexec_b64 s[18:19], s[14:15]
	s_cbranch_execnz .LBB71_1125
.LBB71_261:
	s_or_b64 exec, exec, s[18:19]
	v_cmp_gt_u32_e64 s[14:15], 4, v1
	s_and_saveexec_b64 s[18:19], s[14:15]
	s_cbranch_execz .LBB71_263
.LBB71_262:
	v_lshlrev_b32_e32 v17, 3, v0
	v_mov_b32_e32 v21, 0
	ds_read_b64 v[19:20], v17 offset:5728
	ds_read_b64 v[21:22], v21 offset:4184
	s_waitcnt lgkmcnt(0)
	v_mul_f32_e32 v17, v22, v20
	v_mul_f32_e32 v20, v21, v20
	v_fma_f32 v17, v21, v19, -v17
	v_fmac_f32_e32 v20, v22, v19
	v_add_f32_e32 v16, v16, v17
	v_add_f32_e32 v18, v18, v20
.LBB71_263:
	s_or_b64 exec, exec, s[18:19]
	v_xor_b32_e32 v17, 0x80000000, v16
	v_xor_b32_e32 v16, 0x80000000, v18
.LBB71_264:
	s_or_b64 exec, exec, s[6:7]
	s_and_saveexec_b64 s[6:7], s[44:45]
	s_cbranch_execz .LBB71_266
; %bb.265:
	v_mov_b32_e32 v18, 0
	ds_read_b64 v[18:19], v18 offset:6240
	s_waitcnt lgkmcnt(0)
	v_mul_f32_e32 v21, v16, v19
	v_mul_f32_e32 v20, v17, v19
	v_fma_f32 v19, v17, v18, -v21
	v_fmac_f32_e32 v20, v16, v18
	v_mov_b32_e32 v17, v19
	v_mov_b32_e32 v16, v20
	ds_write_b64 v8, v[19:20]
.LBB71_266:
	s_or_b64 exec, exec, s[6:7]
	s_waitcnt lgkmcnt(0)
	s_barrier
	s_and_saveexec_b64 s[6:7], s[46:47]
	s_cbranch_execz .LBB71_268
; %bb.267:
	ds_read_b64 v[18:19], v7 offset:6240
	ds_read_b64 v[20:21], v8
	s_waitcnt lgkmcnt(0)
	v_mul_f32_e32 v22, v21, v19
	v_mul_f32_e32 v19, v20, v19
	v_fma_f32 v20, v20, v18, -v22
	v_fmac_f32_e32 v19, v21, v18
	v_add_f32_e32 v17, v17, v20
	v_add_f32_e32 v16, v16, v19
.LBB71_268:
	s_or_b64 exec, exec, s[6:7]
	s_barrier
	s_and_saveexec_b64 s[6:7], s[48:49]
	s_cbranch_execz .LBB71_270
; %bb.269:
	v_mov_b32_e32 v18, 0
	ds_read_b64 v[18:19], v18 offset:6760
	s_waitcnt lgkmcnt(0)
	v_mul_f32_e32 v21, v16, v19
	v_mul_f32_e32 v20, v17, v19
	v_fma_f32 v19, v17, v18, -v21
	v_fmac_f32_e32 v20, v16, v18
	v_mov_b32_e32 v17, v19
	v_mov_b32_e32 v16, v20
	ds_write_b64 v8, v[19:20]
.LBB71_270:
	s_or_b64 exec, exec, s[6:7]
	s_waitcnt lgkmcnt(0)
	s_barrier
	s_and_saveexec_b64 s[6:7], s[50:51]
	s_cbranch_execz .LBB71_272
; %bb.271:
	ds_read_b64 v[18:19], v7 offset:6752
	ds_read_b64 v[20:21], v8
	s_waitcnt lgkmcnt(0)
	v_mul_f32_e32 v22, v21, v19
	v_mul_f32_e32 v19, v20, v19
	v_fma_f32 v20, v20, v18, -v22
	v_fmac_f32_e32 v19, v21, v18
	v_add_f32_e32 v17, v17, v20
	v_add_f32_e32 v16, v16, v19
.LBB71_272:
	s_or_b64 exec, exec, s[6:7]
	s_barrier
	s_and_saveexec_b64 s[6:7], s[52:53]
	s_cbranch_execz .LBB71_274
; %bb.273:
	v_mov_b32_e32 v18, 0
	ds_read_b64 v[18:19], v18 offset:7280
	s_waitcnt lgkmcnt(0)
	v_mul_f32_e32 v21, v16, v19
	v_mul_f32_e32 v20, v17, v19
	v_fma_f32 v19, v17, v18, -v21
	v_fmac_f32_e32 v20, v16, v18
	v_mov_b32_e32 v17, v19
	v_mov_b32_e32 v16, v20
	ds_write_b64 v8, v[19:20]
.LBB71_274:
	s_or_b64 exec, exec, s[6:7]
	s_waitcnt lgkmcnt(0)
	s_barrier
	s_and_saveexec_b64 s[6:7], s[42:43]
	s_cbranch_execz .LBB71_276
; %bb.275:
	v_mov_b32_e32 v18, 0
	ds_read_b64 v[18:19], v18 offset:7288
	ds_read_b64 v[20:21], v8
	s_waitcnt lgkmcnt(0)
	v_mul_f32_e32 v22, v21, v19
	v_mul_f32_e32 v19, v20, v19
	v_fma_f32 v20, v20, v18, -v22
	v_fmac_f32_e32 v19, v21, v18
	v_add_f32_e32 v17, v17, v20
	v_add_f32_e32 v16, v16, v19
.LBB71_276:
	s_or_b64 exec, exec, s[6:7]
	s_barrier
	s_and_saveexec_b64 s[6:7], s[42:43]
	s_cbranch_execz .LBB71_278
; %bb.277:
	v_mov_b32_e32 v18, 0
	ds_read_b64 v[18:19], v18 offset:7800
	s_waitcnt lgkmcnt(0)
	v_mul_f32_e32 v21, v16, v19
	v_mul_f32_e32 v20, v17, v19
	v_fma_f32 v19, v17, v18, -v21
	v_fmac_f32_e32 v20, v16, v18
	v_mov_b32_e32 v17, v19
	v_mov_b32_e32 v16, v20
	ds_write_b64 v8, v[19:20]
.LBB71_278:
	s_or_b64 exec, exec, s[6:7]
	s_waitcnt lgkmcnt(0)
	s_barrier
	s_barrier
	s_and_saveexec_b64 s[6:7], s[10:11]
; %bb.279:
	v_xor_b32_e32 v17, 0x80000000, v17
	v_xor_b32_e32 v18, 0x80000000, v16
	ds_write_b64 v6, v[17:18] offset:4192
; %bb.280:
	s_or_b64 exec, exec, s[6:7]
	s_waitcnt lgkmcnt(0)
	s_barrier
	s_barrier
	s_and_saveexec_b64 s[6:7], s[54:55]
	s_cbranch_execz .LBB71_282
; %bb.281:
	v_lshlrev_b32_e32 v18, 9, v0
	ds_read_b64 v[16:17], v18 offset:4192
	s_movk_i32 s14, 0xfe08
	v_mad_i32_i24 v19, v0, s14, v18
	s_waitcnt lgkmcnt(0)
	ds_write_b64 v19, v[16:17] offset:6208
	ds_read_b64 v[16:17], v18 offset:4200
	s_waitcnt lgkmcnt(0)
	ds_write_b64 v19, v[16:17] offset:6720
	ds_read_b64 v[16:17], v18 offset:4208
	;; [unrolled: 3-line block ×3, first 2 shown]
	s_waitcnt lgkmcnt(0)
	ds_write_b64 v19, v[16:17] offset:7744
.LBB71_282:
	s_or_b64 exec, exec, s[6:7]
	s_waitcnt lgkmcnt(0)
	s_barrier
	s_and_saveexec_b64 s[6:7], vcc
	s_cbranch_execz .LBB71_284
; %bb.283:
	v_mov_b32_e32 v20, 0
	ds_read_b128 v[16:19], v20 offset:6240
	ds_read_b64 v[20:21], v20 offset:6760
	s_movk_i32 s14, 0x1800
	s_waitcnt lgkmcnt(0)
	v_mul_f32_e32 v22, v21, v17
	v_mul_f32_e32 v23, v20, v17
	v_fma_f32 v20, v20, v16, -v22
	v_fmac_f32_e32 v23, v21, v16
	v_mul_f32_e32 v16, v23, v19
	v_mul_f32_e32 v17, v20, v19
	v_fma_f32 v16, v20, v18, -v16
	v_fmac_f32_e32 v17, v23, v18
	v_add_u32_e64 v18, s14, 0
	ds_write2_b64 v18, v[16:17], v[16:17] offset0:13 offset1:76
.LBB71_284:
	s_or_b64 exec, exec, s[6:7]
	v_mov_b32_e32 v16, 0
	v_mov_b32_e32 v17, 0
	s_waitcnt lgkmcnt(0)
	s_barrier
	s_and_saveexec_b64 s[6:7], s[22:23]
	s_cbranch_execz .LBB71_288
; %bb.285:
	v_mul_u32_u24_e32 v18, 0x208, v5
	ds_read_b64 v[16:17], v3 offset:6256
	ds_read_b64 v[18:19], v18 offset:6240
	v_cmp_gt_u32_e64 s[14:15], 2, v1
	s_waitcnt lgkmcnt(0)
	v_mul_f32_e32 v20, v19, v17
	v_mul_f32_e32 v17, v18, v17
	v_fma_f32 v18, v18, v16, -v20
	v_fmac_f32_e32 v17, v19, v16
	v_add_f32_e32 v16, 0, v18
	v_add_f32_e32 v18, 0, v17
	s_and_saveexec_b64 s[18:19], s[14:15]
	s_cbranch_execz .LBB71_287
; %bb.286:
	v_lshlrev_b32_e32 v17, 3, v0
	v_mov_b32_e32 v21, 0
	ds_read_b64 v[19:20], v17 offset:6768
	ds_read_b64 v[21:22], v21 offset:6248
	s_waitcnt lgkmcnt(0)
	v_mul_f32_e32 v17, v22, v20
	v_mul_f32_e32 v20, v21, v20
	v_fma_f32 v17, v21, v19, -v17
	v_fmac_f32_e32 v20, v22, v19
	v_add_f32_e32 v16, v16, v17
	v_add_f32_e32 v18, v18, v20
.LBB71_287:
	s_or_b64 exec, exec, s[18:19]
	v_xor_b32_e32 v17, 0x80000000, v16
	v_xor_b32_e32 v16, 0x80000000, v18
.LBB71_288:
	s_or_b64 exec, exec, s[6:7]
	s_and_saveexec_b64 s[6:7], s[38:39]
	s_cbranch_execz .LBB71_290
; %bb.289:
	v_mov_b32_e32 v18, 0
	ds_read_b64 v[18:19], v18 offset:7280
	s_waitcnt lgkmcnt(0)
	v_mul_f32_e32 v21, v16, v19
	v_mul_f32_e32 v20, v17, v19
	v_fma_f32 v19, v17, v18, -v21
	v_fmac_f32_e32 v20, v16, v18
	v_mov_b32_e32 v17, v19
	v_mov_b32_e32 v16, v20
	ds_write_b64 v4, v[19:20]
.LBB71_290:
	s_or_b64 exec, exec, s[6:7]
	s_waitcnt lgkmcnt(0)
	s_barrier
	s_and_saveexec_b64 s[6:7], s[30:31]
	s_cbranch_execz .LBB71_292
; %bb.291:
	v_mov_b32_e32 v18, 0
	ds_read_b64 v[18:19], v18 offset:7288
	ds_read_b64 v[20:21], v4
	s_waitcnt lgkmcnt(0)
	v_mul_f32_e32 v22, v21, v19
	v_mul_f32_e32 v19, v20, v19
	v_fma_f32 v20, v20, v18, -v22
	v_fmac_f32_e32 v19, v21, v18
	v_add_f32_e32 v17, v17, v20
	v_add_f32_e32 v16, v16, v19
.LBB71_292:
	s_or_b64 exec, exec, s[6:7]
	s_barrier
	s_and_saveexec_b64 s[6:7], s[30:31]
	s_cbranch_execz .LBB71_294
; %bb.293:
	v_mov_b32_e32 v18, 0
	ds_read_b64 v[18:19], v18 offset:7800
	s_waitcnt lgkmcnt(0)
	v_mul_f32_e32 v21, v16, v19
	v_mul_f32_e32 v20, v17, v19
	v_fma_f32 v19, v17, v18, -v21
	v_fmac_f32_e32 v20, v16, v18
	v_mov_b32_e32 v17, v19
	v_mov_b32_e32 v16, v20
	ds_write_b64 v4, v[19:20]
.LBB71_294:
	s_or_b64 exec, exec, s[6:7]
	s_waitcnt lgkmcnt(0)
	s_barrier
	s_barrier
	s_and_saveexec_b64 s[6:7], s[22:23]
; %bb.295:
	v_xor_b32_e32 v18, 0x80000000, v16
	v_xor_b32_e32 v17, 0x80000000, v17
	ds_write_b64 v3, v[17:18] offset:6256
; %bb.296:
	s_or_b64 exec, exec, s[6:7]
	s_waitcnt lgkmcnt(0)
	s_barrier
	s_barrier
	s_and_saveexec_b64 s[6:7], s[40:41]
	s_cbranch_execz .LBB71_298
; %bb.297:
	v_lshlrev_b32_e32 v18, 3, v0
	s_movk_i32 s14, 0x1f8
	v_mad_u32_u24 v19, v0, s14, v18
	ds_read_b64 v[16:17], v19 offset:6256
	s_waitcnt lgkmcnt(0)
	ds_write_b64 v18, v[16:17] offset:7264
	ds_read_b64 v[16:17], v19 offset:6264
	s_waitcnt lgkmcnt(0)
	ds_write_b64 v18, v[16:17] offset:7776
.LBB71_298:
	s_or_b64 exec, exec, s[6:7]
	s_waitcnt lgkmcnt(0)
	s_barrier
	s_and_saveexec_b64 s[6:7], vcc
	s_cbranch_execz .LBB71_300
; %bb.299:
	v_mov_b32_e32 v20, 0
	ds_read_b128 v[16:19], v20 offset:7280
	ds_read_b64 v[20:21], v20 offset:7800
	s_movk_i32 s14, 0x1800
	s_waitcnt lgkmcnt(0)
	v_mul_f32_e32 v22, v21, v17
	v_mul_f32_e32 v23, v20, v17
	v_fma_f32 v20, v20, v16, -v22
	v_fmac_f32_e32 v23, v21, v16
	v_mul_f32_e32 v16, v23, v19
	v_mul_f32_e32 v17, v20, v19
	v_fma_f32 v16, v20, v18, -v16
	v_fmac_f32_e32 v17, v23, v18
	v_add_u32_e64 v18, s14, 0
	ds_write2_b64 v18, v[16:17], v[16:17] offset0:143 offset1:206
.LBB71_300:
	s_or_b64 exec, exec, s[6:7]
	v_lshrrev_b32_e32 v20, 4, v1
	v_and_b32_e32 v17, 15, v0
	s_movk_i32 s6, 0xff
	v_lshlrev_b32_e32 v19, 6, v20
	v_cmp_lt_u32_e64 s[18:19], s6, v1
	s_movk_i32 s6, 0x100
	v_or_b32_e32 v16, v19, v17
	v_cmp_gt_u32_e64 s[14:15], s6, v1
	v_lshlrev_b32_e32 v16, 3, v16
	v_mov_b32_e32 v21, 0
	v_mov_b32_e32 v22, 0
	s_waitcnt lgkmcnt(0)
	s_barrier
	s_and_saveexec_b64 s[6:7], s[14:15]
	s_cbranch_execz .LBB71_328
; %bb.301:
	v_mul_u32_u24_e32 v22, 0x208, v20
	ds_read_b64 v[23:24], v16 offset:128
	ds_read_b64 v[25:26], v22
	s_movk_i32 s20, 0xf0
	v_cmp_gt_u32_e64 s[20:21], s20, v1
	s_waitcnt lgkmcnt(0)
	v_mul_f32_e32 v18, v26, v24
	v_mul_f32_e32 v21, v25, v24
	v_fma_f32 v18, v25, v23, -v18
	v_fmac_f32_e32 v21, v26, v23
	v_add_f32_e32 v18, 0, v18
	v_add_f32_e32 v21, 0, v21
	s_and_saveexec_b64 s[24:25], s[20:21]
	s_cbranch_execz .LBB71_303
; %bb.302:
	v_lshlrev_b32_e32 v23, 3, v20
	v_sub_u32_e32 v23, v22, v23
	v_lshl_add_u32 v23, v17, 3, v23
	ds_read_b64 v[23:24], v23 offset:640
	ds_read_b64 v[25:26], v22 offset:8
	s_waitcnt lgkmcnt(0)
	v_mul_f32_e32 v27, v26, v24
	v_mul_f32_e32 v24, v25, v24
	v_fma_f32 v25, v25, v23, -v27
	v_fmac_f32_e32 v24, v26, v23
	v_add_f32_e32 v18, v18, v25
	v_add_f32_e32 v21, v21, v24
.LBB71_303:
	s_or_b64 exec, exec, s[24:25]
	s_movk_i32 s20, 0xe0
	v_cmp_gt_u32_e64 s[20:21], s20, v1
	s_and_saveexec_b64 s[24:25], s[20:21]
	s_cbranch_execz .LBB71_305
; %bb.304:
	v_lshlrev_b32_e32 v23, 3, v20
	v_sub_u32_e32 v23, v22, v23
	v_lshl_add_u32 v23, v17, 3, v23
	ds_read_b64 v[23:24], v23 offset:1152
	ds_read_b64 v[25:26], v22 offset:16
	s_waitcnt lgkmcnt(0)
	v_mul_f32_e32 v27, v26, v24
	v_mul_f32_e32 v24, v25, v24
	v_fma_f32 v25, v25, v23, -v27
	v_fmac_f32_e32 v24, v26, v23
	v_add_f32_e32 v18, v18, v25
	v_add_f32_e32 v21, v21, v24
.LBB71_305:
	s_or_b64 exec, exec, s[24:25]
	s_movk_i32 s20, 0xd0
	v_cmp_gt_u32_e64 s[20:21], s20, v1
	s_and_saveexec_b64 s[24:25], s[20:21]
	s_cbranch_execz .LBB71_307
; %bb.306:
	v_lshlrev_b32_e32 v23, 3, v20
	v_sub_u32_e32 v23, v22, v23
	v_lshl_add_u32 v23, v17, 3, v23
	ds_read_b64 v[23:24], v23 offset:1664
	ds_read_b64 v[25:26], v22 offset:24
	s_waitcnt lgkmcnt(0)
	v_mul_f32_e32 v27, v26, v24
	v_mul_f32_e32 v24, v25, v24
	v_fma_f32 v25, v25, v23, -v27
	v_fmac_f32_e32 v24, v26, v23
	v_add_f32_e32 v18, v18, v25
	v_add_f32_e32 v21, v21, v24
.LBB71_307:
	s_or_b64 exec, exec, s[24:25]
	s_movk_i32 s20, 0xc0
	v_cmp_gt_u32_e64 s[20:21], s20, v1
	s_and_saveexec_b64 s[24:25], s[20:21]
	s_cbranch_execz .LBB71_309
; %bb.308:
	v_lshlrev_b32_e32 v23, 3, v20
	v_sub_u32_e32 v23, v22, v23
	v_lshl_add_u32 v23, v17, 3, v23
	ds_read_b64 v[23:24], v23 offset:2176
	ds_read_b64 v[25:26], v22 offset:32
	s_waitcnt lgkmcnt(0)
	v_mul_f32_e32 v27, v26, v24
	v_mul_f32_e32 v24, v25, v24
	v_fma_f32 v25, v25, v23, -v27
	v_fmac_f32_e32 v24, v26, v23
	v_add_f32_e32 v18, v18, v25
	v_add_f32_e32 v21, v21, v24
.LBB71_309:
	s_or_b64 exec, exec, s[24:25]
	s_movk_i32 s20, 0xb0
	v_cmp_gt_u32_e64 s[20:21], s20, v1
	s_and_saveexec_b64 s[24:25], s[20:21]
	s_cbranch_execz .LBB71_311
; %bb.310:
	v_lshlrev_b32_e32 v23, 3, v20
	v_sub_u32_e32 v23, v22, v23
	v_lshl_add_u32 v23, v17, 3, v23
	ds_read_b64 v[23:24], v23 offset:2688
	ds_read_b64 v[25:26], v22 offset:40
	s_waitcnt lgkmcnt(0)
	v_mul_f32_e32 v27, v26, v24
	v_mul_f32_e32 v24, v25, v24
	v_fma_f32 v25, v25, v23, -v27
	v_fmac_f32_e32 v24, v26, v23
	v_add_f32_e32 v18, v18, v25
	v_add_f32_e32 v21, v21, v24
.LBB71_311:
	s_or_b64 exec, exec, s[24:25]
	s_movk_i32 s20, 0xa0
	v_cmp_gt_u32_e64 s[20:21], s20, v1
	s_and_saveexec_b64 s[24:25], s[20:21]
	s_cbranch_execz .LBB71_313
; %bb.312:
	v_lshlrev_b32_e32 v23, 3, v20
	v_sub_u32_e32 v23, v22, v23
	v_lshl_add_u32 v23, v17, 3, v23
	ds_read_b64 v[23:24], v23 offset:3200
	ds_read_b64 v[25:26], v22 offset:48
	s_waitcnt lgkmcnt(0)
	v_mul_f32_e32 v27, v26, v24
	v_mul_f32_e32 v24, v25, v24
	v_fma_f32 v25, v25, v23, -v27
	v_fmac_f32_e32 v24, v26, v23
	v_add_f32_e32 v18, v18, v25
	v_add_f32_e32 v21, v21, v24
.LBB71_313:
	s_or_b64 exec, exec, s[24:25]
	s_movk_i32 s20, 0x90
	v_cmp_gt_u32_e64 s[20:21], s20, v1
	s_and_saveexec_b64 s[24:25], s[20:21]
	s_cbranch_execz .LBB71_315
; %bb.314:
	v_lshlrev_b32_e32 v23, 3, v20
	v_sub_u32_e32 v23, v22, v23
	v_lshl_add_u32 v23, v17, 3, v23
	ds_read_b64 v[23:24], v23 offset:3712
	ds_read_b64 v[25:26], v22 offset:56
	s_waitcnt lgkmcnt(0)
	v_mul_f32_e32 v27, v26, v24
	v_mul_f32_e32 v24, v25, v24
	v_fma_f32 v25, v25, v23, -v27
	v_fmac_f32_e32 v24, v26, v23
	v_add_f32_e32 v18, v18, v25
	v_add_f32_e32 v21, v21, v24
.LBB71_315:
	s_or_b64 exec, exec, s[24:25]
	s_movk_i32 s20, 0x80
	v_cmp_gt_u32_e64 s[20:21], s20, v1
	s_and_saveexec_b64 s[24:25], s[20:21]
	s_cbranch_execz .LBB71_317
; %bb.316:
	ds_read_b64 v[23:24], v16 offset:4224
	ds_read_b64 v[25:26], v22 offset:64
	s_waitcnt lgkmcnt(0)
	v_mul_f32_e32 v27, v26, v24
	v_mul_f32_e32 v24, v25, v24
	v_fma_f32 v25, v25, v23, -v27
	v_fmac_f32_e32 v24, v26, v23
	v_add_f32_e32 v18, v18, v25
	v_add_f32_e32 v21, v21, v24
.LBB71_317:
	s_or_b64 exec, exec, s[24:25]
	s_movk_i32 s20, 0x70
	v_cmp_gt_u32_e64 s[20:21], s20, v1
	s_and_saveexec_b64 s[24:25], s[20:21]
	s_cbranch_execz .LBB71_319
; %bb.318:
	v_lshlrev_b32_e32 v23, 3, v17
	v_lshl_add_u32 v23, v19, 3, v23
	ds_read_b64 v[23:24], v23 offset:4736
	ds_read_b64 v[25:26], v22 offset:72
	s_waitcnt lgkmcnt(0)
	v_mul_f32_e32 v27, v26, v24
	v_mul_f32_e32 v24, v25, v24
	v_fma_f32 v25, v25, v23, -v27
	v_fmac_f32_e32 v24, v26, v23
	v_add_f32_e32 v18, v18, v25
	v_add_f32_e32 v21, v21, v24
.LBB71_319:
	s_or_b64 exec, exec, s[24:25]
	s_movk_i32 s20, 0x60
	v_cmp_gt_u32_e64 s[20:21], s20, v1
	s_and_saveexec_b64 s[24:25], s[20:21]
	s_cbranch_execz .LBB71_321
; %bb.320:
	v_lshlrev_b32_e32 v23, 3, v17
	v_lshl_add_u32 v23, v19, 3, v23
	ds_read_b64 v[23:24], v23 offset:5248
	ds_read_b64 v[25:26], v22 offset:80
	s_waitcnt lgkmcnt(0)
	v_mul_f32_e32 v27, v26, v24
	v_mul_f32_e32 v24, v25, v24
	v_fma_f32 v25, v25, v23, -v27
	v_fmac_f32_e32 v24, v26, v23
	v_add_f32_e32 v18, v18, v25
	v_add_f32_e32 v21, v21, v24
.LBB71_321:
	s_or_b64 exec, exec, s[24:25]
	s_movk_i32 s20, 0x50
	v_cmp_gt_u32_e64 s[20:21], s20, v1
	s_and_saveexec_b64 s[24:25], s[20:21]
	s_cbranch_execnz .LBB71_1126
; %bb.322:
	s_or_b64 exec, exec, s[24:25]
	v_cmp_gt_u32_e64 s[20:21], 64, v1
	s_and_saveexec_b64 s[24:25], s[20:21]
	s_cbranch_execnz .LBB71_1127
.LBB71_323:
	s_or_b64 exec, exec, s[24:25]
	v_cmp_gt_u32_e64 s[20:21], 48, v1
	s_and_saveexec_b64 s[24:25], s[20:21]
	s_cbranch_execnz .LBB71_1128
.LBB71_324:
	s_or_b64 exec, exec, s[24:25]
	v_cmp_gt_u32_e64 s[20:21], 32, v1
	s_and_saveexec_b64 s[24:25], s[20:21]
	s_cbranch_execnz .LBB71_1129
.LBB71_325:
	s_or_b64 exec, exec, s[24:25]
	v_cmp_gt_u32_e64 s[20:21], 16, v1
	s_and_saveexec_b64 s[24:25], s[20:21]
	s_cbranch_execz .LBB71_327
.LBB71_326:
	v_lshlrev_b32_e32 v22, 3, v0
	v_mov_b32_e32 v24, 0
	ds_read_b64 v[22:23], v22 offset:7808
	ds_read_b64 v[24:25], v24 offset:120
	s_waitcnt lgkmcnt(0)
	v_mul_f32_e32 v26, v25, v23
	v_mul_f32_e32 v23, v24, v23
	v_fma_f32 v24, v24, v22, -v26
	v_fmac_f32_e32 v23, v25, v22
	v_add_f32_e32 v18, v18, v24
	v_add_f32_e32 v21, v21, v23
.LBB71_327:
	s_or_b64 exec, exec, s[24:25]
	v_xor_b32_e32 v22, 0x80000000, v18
	v_xor_b32_e32 v21, 0x80000000, v21
.LBB71_328:
	s_or_b64 exec, exec, s[6:7]
	v_mov_b32_e32 v18, 0x8000
	v_lshl_add_u32 v18, v20, 3, v18
	v_cmp_eq_u32_e64 s[20:21], 0, v17
	s_xor_b64 s[6:7], s[18:19], -1
	s_and_b64 s[20:21], s[20:21], s[6:7]
	s_mov_b64 s[18:19], exec
	v_writelane_b32 v34, s20, 3
	v_writelane_b32 v34, s21, 4
	s_and_b64 s[20:21], s[18:19], s[20:21]
	s_mov_b64 exec, s[20:21]
	s_cbranch_execz .LBB71_330
; %bb.329:
	v_mov_b32_e32 v23, 0
	ds_read_b64 v[23:24], v23 offset:8320
	s_waitcnt lgkmcnt(0)
	v_mul_f32_e32 v26, v21, v24
	v_mul_f32_e32 v25, v22, v24
	v_fma_f32 v24, v22, v23, -v26
	v_fmac_f32_e32 v25, v21, v23
	v_mov_b32_e32 v22, v24
	v_mov_b32_e32 v21, v25
	ds_write_b64 v18, v[24:25]
.LBB71_330:
	s_or_b64 exec, exec, s[18:19]
	v_cmp_ne_u32_e64 s[18:19], 0, v17
	s_waitcnt lgkmcnt(0)
	s_barrier
	s_and_b64 s[20:21], s[18:19], s[6:7]
	s_mov_b64 s[18:19], exec
	v_writelane_b32 v34, s20, 5
	v_writelane_b32 v34, s21, 6
	s_and_b64 s[20:21], s[18:19], s[20:21]
	s_mov_b64 exec, s[20:21]
	s_cbranch_execz .LBB71_332
; %bb.331:
	v_lshlrev_b32_e32 v23, 3, v17
	ds_read_b64 v[23:24], v23 offset:8320
	ds_read_b64 v[25:26], v18
	s_waitcnt lgkmcnt(0)
	v_mul_f32_e32 v27, v26, v24
	v_mul_f32_e32 v24, v25, v24
	v_fma_f32 v25, v25, v23, -v27
	v_fmac_f32_e32 v24, v26, v23
	v_add_f32_e32 v22, v22, v25
	v_add_f32_e32 v21, v21, v24
.LBB71_332:
	s_or_b64 exec, exec, s[18:19]
	v_cmp_eq_u32_e64 s[18:19], 1, v17
	s_barrier
	s_and_b64 s[20:21], s[18:19], s[6:7]
	s_mov_b64 s[18:19], exec
	v_writelane_b32 v34, s20, 7
	v_writelane_b32 v34, s21, 8
	s_and_b64 s[20:21], s[18:19], s[20:21]
	s_mov_b64 exec, s[20:21]
	s_cbranch_execz .LBB71_334
; %bb.333:
	v_mov_b32_e32 v23, 0
	ds_read_b64 v[23:24], v23 offset:8840
	s_waitcnt lgkmcnt(0)
	v_mul_f32_e32 v26, v21, v24
	v_mul_f32_e32 v25, v22, v24
	v_fma_f32 v24, v22, v23, -v26
	v_fmac_f32_e32 v25, v21, v23
	v_mov_b32_e32 v22, v24
	v_mov_b32_e32 v21, v25
	ds_write_b64 v18, v[24:25]
.LBB71_334:
	s_or_b64 exec, exec, s[18:19]
	v_cmp_lt_u32_e64 s[18:19], 1, v17
	s_waitcnt lgkmcnt(0)
	s_barrier
	s_and_b64 s[20:21], s[18:19], s[6:7]
	s_mov_b64 s[18:19], exec
	v_writelane_b32 v34, s20, 9
	v_writelane_b32 v34, s21, 10
	s_and_b64 s[20:21], s[18:19], s[20:21]
	s_mov_b64 exec, s[20:21]
	s_cbranch_execz .LBB71_336
; %bb.335:
	v_lshlrev_b32_e32 v23, 3, v17
	ds_read_b64 v[23:24], v23 offset:8832
	ds_read_b64 v[25:26], v18
	s_waitcnt lgkmcnt(0)
	v_mul_f32_e32 v27, v26, v24
	v_mul_f32_e32 v24, v25, v24
	v_fma_f32 v25, v25, v23, -v27
	v_fmac_f32_e32 v24, v26, v23
	v_add_f32_e32 v22, v22, v25
	v_add_f32_e32 v21, v21, v24
.LBB71_336:
	s_or_b64 exec, exec, s[18:19]
	v_cmp_eq_u32_e64 s[18:19], 2, v17
	s_barrier
	s_and_b64 s[20:21], s[18:19], s[6:7]
	s_mov_b64 s[18:19], exec
	v_writelane_b32 v34, s20, 11
	v_writelane_b32 v34, s21, 12
	s_and_b64 s[20:21], s[18:19], s[20:21]
	s_mov_b64 exec, s[20:21]
	s_cbranch_execz .LBB71_338
; %bb.337:
	v_mov_b32_e32 v23, 0
	ds_read_b64 v[23:24], v23 offset:9360
	s_waitcnt lgkmcnt(0)
	v_mul_f32_e32 v26, v21, v24
	v_mul_f32_e32 v25, v22, v24
	v_fma_f32 v24, v22, v23, -v26
	v_fmac_f32_e32 v25, v21, v23
	v_mov_b32_e32 v22, v24
	v_mov_b32_e32 v21, v25
	ds_write_b64 v18, v[24:25]
.LBB71_338:
	s_or_b64 exec, exec, s[18:19]
	v_cmp_lt_u32_e64 s[18:19], 2, v17
	;; [unrolled: 45-line block ×13, first 2 shown]
	s_and_b64 s[96:97], s[18:19], s[6:7]
	s_waitcnt lgkmcnt(0)
	s_barrier
	s_and_saveexec_b64 s[18:19], s[96:97]
	s_cbranch_execz .LBB71_384
; %bb.383:
	v_lshlrev_b32_e32 v23, 3, v17
	ds_read_b64 v[23:24], v23 offset:14976
	ds_read_b64 v[25:26], v18
	s_waitcnt lgkmcnt(0)
	v_mul_f32_e32 v27, v26, v24
	v_mul_f32_e32 v24, v25, v24
	v_fma_f32 v25, v25, v23, -v27
	v_fmac_f32_e32 v24, v26, v23
	v_add_f32_e32 v22, v22, v25
	v_add_f32_e32 v21, v21, v24
.LBB71_384:
	s_or_b64 exec, exec, s[18:19]
	v_cmp_eq_u32_e64 s[18:19], 14, v17
	s_and_b64 s[98:99], s[18:19], s[6:7]
	s_barrier
	s_and_saveexec_b64 s[18:19], s[98:99]
	s_cbranch_execz .LBB71_386
; %bb.385:
	v_mov_b32_e32 v23, 0
	ds_read_b64 v[23:24], v23 offset:15600
	s_waitcnt lgkmcnt(0)
	v_mul_f32_e32 v26, v21, v24
	v_mul_f32_e32 v25, v22, v24
	v_fma_f32 v24, v22, v23, -v26
	v_fmac_f32_e32 v25, v21, v23
	v_mov_b32_e32 v22, v24
	v_mov_b32_e32 v21, v25
	ds_write_b64 v18, v[24:25]
.LBB71_386:
	s_or_b64 exec, exec, s[18:19]
	v_cmp_eq_u32_e64 s[18:19], 15, v17
	s_and_b64 s[94:95], s[18:19], s[6:7]
	s_waitcnt lgkmcnt(0)
	s_barrier
	s_and_saveexec_b64 s[6:7], s[94:95]
	s_cbranch_execz .LBB71_388
; %bb.387:
	v_mov_b32_e32 v23, 0
	ds_read_b64 v[23:24], v23 offset:15608
	ds_read_b64 v[25:26], v18
	s_waitcnt lgkmcnt(0)
	v_mul_f32_e32 v27, v26, v24
	v_mul_f32_e32 v24, v25, v24
	v_fma_f32 v25, v25, v23, -v27
	v_fmac_f32_e32 v24, v26, v23
	v_add_f32_e32 v22, v22, v25
	v_add_f32_e32 v21, v21, v24
.LBB71_388:
	s_or_b64 exec, exec, s[6:7]
	s_barrier
	s_and_saveexec_b64 s[6:7], s[94:95]
	s_cbranch_execz .LBB71_390
; %bb.389:
	v_mov_b32_e32 v23, 0
	ds_read_b64 v[23:24], v23 offset:16120
	s_waitcnt lgkmcnt(0)
	v_mul_f32_e32 v26, v21, v24
	v_mul_f32_e32 v25, v22, v24
	v_fma_f32 v24, v22, v23, -v26
	v_fmac_f32_e32 v25, v21, v23
	v_mov_b32_e32 v22, v24
	v_mov_b32_e32 v21, v25
	ds_write_b64 v18, v[24:25]
.LBB71_390:
	s_or_b64 exec, exec, s[6:7]
	s_waitcnt lgkmcnt(0)
	s_barrier
	s_barrier
	s_and_saveexec_b64 s[6:7], s[14:15]
; %bb.391:
	v_xor_b32_e32 v22, 0x80000000, v22
	v_xor_b32_e32 v23, 0x80000000, v21
	ds_write_b64 v16, v[22:23] offset:128
; %bb.392:
	s_or_b64 exec, exec, s[6:7]
	v_cmp_gt_u32_e64 s[18:19], 16, v0
	s_and_b64 s[6:7], s[16:17], s[18:19]
	s_waitcnt lgkmcnt(0)
	s_barrier
	s_barrier
	s_and_saveexec_b64 s[18:19], s[6:7]
	s_cbranch_execz .LBB71_394
; %bb.393:
	v_lshlrev_b32_e32 v23, 9, v0
	ds_read_b64 v[21:22], v23 offset:128
	s_movk_i32 s20, 0xfe08
	v_mad_i32_i24 v24, v0, s20, v23
	s_waitcnt lgkmcnt(0)
	ds_write_b64 v24, v[21:22] offset:8192
	ds_read_b64 v[21:22], v23 offset:136
	s_waitcnt lgkmcnt(0)
	ds_write_b64 v24, v[21:22] offset:8704
	ds_read_b64 v[21:22], v23 offset:144
	;; [unrolled: 3-line block ×15, first 2 shown]
	s_waitcnt lgkmcnt(0)
	ds_write_b64 v24, v[21:22] offset:15872
.LBB71_394:
	s_or_b64 exec, exec, s[18:19]
	s_waitcnt lgkmcnt(0)
	s_barrier
	s_and_saveexec_b64 s[18:19], vcc
	s_cbranch_execz .LBB71_396
; %bb.395:
	v_mov_b32_e32 v25, 0
	ds_read_b128 v[21:24], v25 offset:8320
	ds_read_b64 v[25:26], v25 offset:8840
	s_movk_i32 s20, 0x2000
	s_waitcnt lgkmcnt(0)
	v_mul_f32_e32 v27, v26, v22
	v_mul_f32_e32 v28, v25, v22
	v_fma_f32 v25, v25, v21, -v27
	v_fmac_f32_e32 v28, v26, v21
	v_mul_f32_e32 v21, v28, v24
	v_mul_f32_e32 v22, v25, v24
	v_fma_f32 v21, v25, v23, -v21
	v_fmac_f32_e32 v22, v28, v23
	v_add_u32_e64 v23, s20, 0
	ds_write2_b64 v23, v[21:22], v[21:22] offset0:17 offset1:80
.LBB71_396:
	s_or_b64 exec, exec, s[18:19]
	v_mov_b32_e32 v21, 0
	v_mov_b32_e32 v22, 0
	s_waitcnt lgkmcnt(0)
	s_barrier
	s_and_saveexec_b64 s[20:21], s[22:23]
	s_cbranch_execz .LBB71_400
; %bb.397:
	v_mul_u32_u24_e32 v23, 0x208, v5
	ds_read_b64 v[21:22], v3 offset:8336
	ds_read_b64 v[23:24], v23 offset:8320
	v_cmp_gt_u32_e64 s[18:19], 2, v1
	s_waitcnt lgkmcnt(0)
	v_mul_f32_e32 v25, v24, v22
	v_mul_f32_e32 v22, v23, v22
	v_fma_f32 v23, v23, v21, -v25
	v_fmac_f32_e32 v22, v24, v21
	v_add_f32_e32 v21, 0, v23
	v_add_f32_e32 v23, 0, v22
	s_and_saveexec_b64 s[24:25], s[18:19]
	s_cbranch_execz .LBB71_399
; %bb.398:
	v_lshlrev_b32_e32 v22, 3, v0
	v_mov_b32_e32 v26, 0
	ds_read_b64 v[24:25], v22 offset:8848
	ds_read_b64 v[26:27], v26 offset:8328
	s_waitcnt lgkmcnt(0)
	v_mul_f32_e32 v22, v27, v25
	v_mul_f32_e32 v25, v26, v25
	v_fma_f32 v22, v26, v24, -v22
	v_fmac_f32_e32 v25, v27, v24
	v_add_f32_e32 v21, v21, v22
	v_add_f32_e32 v23, v23, v25
.LBB71_399:
	s_or_b64 exec, exec, s[24:25]
	v_xor_b32_e32 v22, 0x80000000, v21
	v_xor_b32_e32 v21, 0x80000000, v23
.LBB71_400:
	s_or_b64 exec, exec, s[20:21]
	s_and_saveexec_b64 s[18:19], s[38:39]
	s_cbranch_execz .LBB71_402
; %bb.401:
	v_mov_b32_e32 v23, 0
	ds_read_b64 v[23:24], v23 offset:9360
	s_waitcnt lgkmcnt(0)
	v_mul_f32_e32 v26, v21, v24
	v_mul_f32_e32 v25, v22, v24
	v_fma_f32 v24, v22, v23, -v26
	v_fmac_f32_e32 v25, v21, v23
	v_mov_b32_e32 v22, v24
	v_mov_b32_e32 v21, v25
	ds_write_b64 v4, v[24:25]
.LBB71_402:
	s_or_b64 exec, exec, s[18:19]
	s_waitcnt lgkmcnt(0)
	s_barrier
	s_and_saveexec_b64 s[18:19], s[30:31]
	s_cbranch_execz .LBB71_404
; %bb.403:
	v_mov_b32_e32 v23, 0
	ds_read_b64 v[23:24], v23 offset:9368
	ds_read_b64 v[25:26], v4
	s_waitcnt lgkmcnt(0)
	v_mul_f32_e32 v27, v26, v24
	v_mul_f32_e32 v24, v25, v24
	v_fma_f32 v25, v25, v23, -v27
	v_fmac_f32_e32 v24, v26, v23
	v_add_f32_e32 v22, v22, v25
	v_add_f32_e32 v21, v21, v24
.LBB71_404:
	s_or_b64 exec, exec, s[18:19]
	s_barrier
	s_and_saveexec_b64 s[18:19], s[30:31]
	s_cbranch_execz .LBB71_406
; %bb.405:
	v_mov_b32_e32 v23, 0
	ds_read_b64 v[23:24], v23 offset:9880
	s_waitcnt lgkmcnt(0)
	v_mul_f32_e32 v26, v21, v24
	v_mul_f32_e32 v25, v22, v24
	v_fma_f32 v24, v22, v23, -v26
	v_fmac_f32_e32 v25, v21, v23
	v_mov_b32_e32 v22, v24
	v_mov_b32_e32 v21, v25
	ds_write_b64 v4, v[24:25]
.LBB71_406:
	s_or_b64 exec, exec, s[18:19]
	s_waitcnt lgkmcnt(0)
	s_barrier
	s_barrier
	s_and_saveexec_b64 s[18:19], s[22:23]
; %bb.407:
	v_xor_b32_e32 v23, 0x80000000, v21
	v_xor_b32_e32 v22, 0x80000000, v22
	ds_write_b64 v3, v[22:23] offset:8336
; %bb.408:
	s_or_b64 exec, exec, s[18:19]
	s_waitcnt lgkmcnt(0)
	s_barrier
	s_barrier
	s_and_saveexec_b64 s[18:19], s[40:41]
	s_cbranch_execz .LBB71_410
; %bb.409:
	v_lshlrev_b32_e32 v23, 3, v0
	s_movk_i32 s20, 0x1f8
	v_mad_u32_u24 v24, v0, s20, v23
	ds_read_b64 v[21:22], v24 offset:8336
	s_waitcnt lgkmcnt(0)
	ds_write_b64 v23, v[21:22] offset:9344
	ds_read_b64 v[21:22], v24 offset:8344
	s_waitcnt lgkmcnt(0)
	ds_write_b64 v23, v[21:22] offset:9856
.LBB71_410:
	s_or_b64 exec, exec, s[18:19]
	s_waitcnt lgkmcnt(0)
	s_barrier
	s_and_saveexec_b64 s[18:19], vcc
	s_cbranch_execz .LBB71_412
; %bb.411:
	v_mov_b32_e32 v25, 0
	ds_read_b128 v[21:24], v25 offset:9360
	ds_read_b64 v[25:26], v25 offset:9880
	s_movk_i32 s20, 0x2000
	s_waitcnt lgkmcnt(0)
	v_mul_f32_e32 v27, v26, v22
	v_mul_f32_e32 v28, v25, v22
	v_fma_f32 v25, v25, v21, -v27
	v_fmac_f32_e32 v28, v26, v21
	v_mul_f32_e32 v21, v28, v24
	v_mul_f32_e32 v22, v25, v24
	v_fma_f32 v21, v25, v23, -v21
	v_fmac_f32_e32 v22, v28, v23
	v_add_u32_e64 v23, s20, 0
	ds_write2_b64 v23, v[21:22], v[21:22] offset0:147 offset1:210
.LBB71_412:
	s_or_b64 exec, exec, s[18:19]
	v_mov_b32_e32 v21, 0
	v_mov_b32_e32 v22, 0
	s_waitcnt lgkmcnt(0)
	s_barrier
	s_and_saveexec_b64 s[20:21], s[10:11]
	s_cbranch_execz .LBB71_418
; %bb.413:
	v_mul_u32_u24_e32 v22, 0x208, v10
	ds_read_b64 v[23:24], v6 offset:8352
	ds_read_b64 v[25:26], v22 offset:8320
	v_cmp_gt_u32_e64 s[18:19], 12, v1
	s_waitcnt lgkmcnt(0)
	v_mul_f32_e32 v21, v26, v24
	v_mul_f32_e32 v24, v25, v24
	v_fma_f32 v21, v25, v23, -v21
	v_fmac_f32_e32 v24, v26, v23
	v_add_f32_e32 v21, 0, v21
	v_add_f32_e32 v23, 0, v24
	s_and_saveexec_b64 s[24:25], s[18:19]
	s_cbranch_execnz .LBB71_1130
; %bb.414:
	s_or_b64 exec, exec, s[24:25]
	v_cmp_gt_u32_e64 s[18:19], 8, v1
	s_and_saveexec_b64 s[24:25], s[18:19]
	s_cbranch_execnz .LBB71_1131
.LBB71_415:
	s_or_b64 exec, exec, s[24:25]
	v_cmp_gt_u32_e64 s[18:19], 4, v1
	s_and_saveexec_b64 s[24:25], s[18:19]
	s_cbranch_execz .LBB71_417
.LBB71_416:
	v_lshlrev_b32_e32 v22, 3, v0
	v_mov_b32_e32 v26, 0
	ds_read_b64 v[24:25], v22 offset:9888
	ds_read_b64 v[26:27], v26 offset:8344
	s_waitcnt lgkmcnt(0)
	v_mul_f32_e32 v22, v27, v25
	v_mul_f32_e32 v25, v26, v25
	v_fma_f32 v22, v26, v24, -v22
	v_fmac_f32_e32 v25, v27, v24
	v_add_f32_e32 v21, v21, v22
	v_add_f32_e32 v23, v23, v25
.LBB71_417:
	s_or_b64 exec, exec, s[24:25]
	v_xor_b32_e32 v22, 0x80000000, v21
	v_xor_b32_e32 v21, 0x80000000, v23
.LBB71_418:
	s_or_b64 exec, exec, s[20:21]
	s_and_saveexec_b64 s[18:19], s[44:45]
	s_cbranch_execz .LBB71_420
; %bb.419:
	v_mov_b32_e32 v23, 0
	ds_read_b64 v[23:24], v23 offset:10400
	s_waitcnt lgkmcnt(0)
	v_mul_f32_e32 v26, v21, v24
	v_mul_f32_e32 v25, v22, v24
	v_fma_f32 v24, v22, v23, -v26
	v_fmac_f32_e32 v25, v21, v23
	v_mov_b32_e32 v22, v24
	v_mov_b32_e32 v21, v25
	ds_write_b64 v8, v[24:25]
.LBB71_420:
	s_or_b64 exec, exec, s[18:19]
	s_waitcnt lgkmcnt(0)
	s_barrier
	s_and_saveexec_b64 s[18:19], s[46:47]
	s_cbranch_execz .LBB71_422
; %bb.421:
	ds_read_b64 v[23:24], v7 offset:10400
	ds_read_b64 v[25:26], v8
	s_waitcnt lgkmcnt(0)
	v_mul_f32_e32 v27, v26, v24
	v_mul_f32_e32 v24, v25, v24
	v_fma_f32 v25, v25, v23, -v27
	v_fmac_f32_e32 v24, v26, v23
	v_add_f32_e32 v22, v22, v25
	v_add_f32_e32 v21, v21, v24
.LBB71_422:
	s_or_b64 exec, exec, s[18:19]
	s_barrier
	s_and_saveexec_b64 s[18:19], s[48:49]
	s_cbranch_execz .LBB71_424
; %bb.423:
	v_mov_b32_e32 v23, 0
	ds_read_b64 v[23:24], v23 offset:10920
	s_waitcnt lgkmcnt(0)
	v_mul_f32_e32 v26, v21, v24
	v_mul_f32_e32 v25, v22, v24
	v_fma_f32 v24, v22, v23, -v26
	v_fmac_f32_e32 v25, v21, v23
	v_mov_b32_e32 v22, v24
	v_mov_b32_e32 v21, v25
	ds_write_b64 v8, v[24:25]
.LBB71_424:
	s_or_b64 exec, exec, s[18:19]
	s_waitcnt lgkmcnt(0)
	s_barrier
	s_and_saveexec_b64 s[18:19], s[50:51]
	s_cbranch_execz .LBB71_426
; %bb.425:
	ds_read_b64 v[23:24], v7 offset:10912
	ds_read_b64 v[25:26], v8
	s_waitcnt lgkmcnt(0)
	v_mul_f32_e32 v27, v26, v24
	v_mul_f32_e32 v24, v25, v24
	v_fma_f32 v25, v25, v23, -v27
	v_fmac_f32_e32 v24, v26, v23
	v_add_f32_e32 v22, v22, v25
	v_add_f32_e32 v21, v21, v24
.LBB71_426:
	s_or_b64 exec, exec, s[18:19]
	s_barrier
	s_and_saveexec_b64 s[18:19], s[52:53]
	s_cbranch_execz .LBB71_428
; %bb.427:
	v_mov_b32_e32 v23, 0
	ds_read_b64 v[23:24], v23 offset:11440
	s_waitcnt lgkmcnt(0)
	v_mul_f32_e32 v26, v21, v24
	v_mul_f32_e32 v25, v22, v24
	v_fma_f32 v24, v22, v23, -v26
	v_fmac_f32_e32 v25, v21, v23
	v_mov_b32_e32 v22, v24
	v_mov_b32_e32 v21, v25
	ds_write_b64 v8, v[24:25]
.LBB71_428:
	s_or_b64 exec, exec, s[18:19]
	s_waitcnt lgkmcnt(0)
	s_barrier
	s_and_saveexec_b64 s[18:19], s[42:43]
	s_cbranch_execz .LBB71_430
; %bb.429:
	v_mov_b32_e32 v23, 0
	ds_read_b64 v[23:24], v23 offset:11448
	ds_read_b64 v[25:26], v8
	s_waitcnt lgkmcnt(0)
	v_mul_f32_e32 v27, v26, v24
	v_mul_f32_e32 v24, v25, v24
	v_fma_f32 v25, v25, v23, -v27
	v_fmac_f32_e32 v24, v26, v23
	v_add_f32_e32 v22, v22, v25
	v_add_f32_e32 v21, v21, v24
.LBB71_430:
	s_or_b64 exec, exec, s[18:19]
	s_barrier
	s_and_saveexec_b64 s[18:19], s[42:43]
	s_cbranch_execz .LBB71_432
; %bb.431:
	v_mov_b32_e32 v23, 0
	ds_read_b64 v[23:24], v23 offset:11960
	s_waitcnt lgkmcnt(0)
	v_mul_f32_e32 v26, v21, v24
	v_mul_f32_e32 v25, v22, v24
	v_fma_f32 v24, v22, v23, -v26
	v_fmac_f32_e32 v25, v21, v23
	v_mov_b32_e32 v22, v24
	v_mov_b32_e32 v21, v25
	ds_write_b64 v8, v[24:25]
.LBB71_432:
	s_or_b64 exec, exec, s[18:19]
	s_waitcnt lgkmcnt(0)
	s_barrier
	s_barrier
	s_and_saveexec_b64 s[18:19], s[10:11]
; %bb.433:
	v_xor_b32_e32 v22, 0x80000000, v22
	v_xor_b32_e32 v23, 0x80000000, v21
	ds_write_b64 v6, v[22:23] offset:8352
; %bb.434:
	s_or_b64 exec, exec, s[18:19]
	s_waitcnt lgkmcnt(0)
	s_barrier
	s_barrier
	s_and_saveexec_b64 s[18:19], s[54:55]
	s_cbranch_execz .LBB71_436
; %bb.435:
	v_lshlrev_b32_e32 v23, 9, v0
	ds_read_b64 v[21:22], v23 offset:8352
	s_movk_i32 s20, 0xfe08
	v_mad_i32_i24 v24, v0, s20, v23
	s_waitcnt lgkmcnt(0)
	ds_write_b64 v24, v[21:22] offset:10368
	ds_read_b64 v[21:22], v23 offset:8360
	s_waitcnt lgkmcnt(0)
	ds_write_b64 v24, v[21:22] offset:10880
	ds_read_b64 v[21:22], v23 offset:8368
	;; [unrolled: 3-line block ×3, first 2 shown]
	s_waitcnt lgkmcnt(0)
	ds_write_b64 v24, v[21:22] offset:11904
.LBB71_436:
	s_or_b64 exec, exec, s[18:19]
	s_waitcnt lgkmcnt(0)
	s_barrier
	s_and_saveexec_b64 s[18:19], vcc
	s_cbranch_execz .LBB71_438
; %bb.437:
	v_mov_b32_e32 v25, 0
	ds_read_b128 v[21:24], v25 offset:10400
	ds_read_b64 v[25:26], v25 offset:10920
	s_movk_i32 s20, 0x2800
	s_waitcnt lgkmcnt(0)
	v_mul_f32_e32 v27, v26, v22
	v_mul_f32_e32 v28, v25, v22
	v_fma_f32 v25, v25, v21, -v27
	v_fmac_f32_e32 v28, v26, v21
	v_mul_f32_e32 v21, v28, v24
	v_mul_f32_e32 v22, v25, v24
	v_fma_f32 v21, v25, v23, -v21
	v_fmac_f32_e32 v22, v28, v23
	v_add_u32_e64 v23, s20, 0
	ds_write2_b64 v23, v[21:22], v[21:22] offset0:21 offset1:84
.LBB71_438:
	s_or_b64 exec, exec, s[18:19]
	v_mov_b32_e32 v21, 0
	v_mov_b32_e32 v22, 0
	s_waitcnt lgkmcnt(0)
	s_barrier
	s_and_saveexec_b64 s[20:21], s[22:23]
	s_cbranch_execz .LBB71_442
; %bb.439:
	v_mul_u32_u24_e32 v23, 0x208, v5
	ds_read_b64 v[21:22], v3 offset:10416
	ds_read_b64 v[23:24], v23 offset:10400
	v_cmp_gt_u32_e64 s[18:19], 2, v1
	s_waitcnt lgkmcnt(0)
	v_mul_f32_e32 v25, v24, v22
	v_mul_f32_e32 v22, v23, v22
	v_fma_f32 v23, v23, v21, -v25
	v_fmac_f32_e32 v22, v24, v21
	v_add_f32_e32 v21, 0, v23
	v_add_f32_e32 v23, 0, v22
	s_and_saveexec_b64 s[24:25], s[18:19]
	s_cbranch_execz .LBB71_441
; %bb.440:
	v_lshlrev_b32_e32 v22, 3, v0
	v_mov_b32_e32 v26, 0
	ds_read_b64 v[24:25], v22 offset:10928
	ds_read_b64 v[26:27], v26 offset:10408
	s_waitcnt lgkmcnt(0)
	v_mul_f32_e32 v22, v27, v25
	v_mul_f32_e32 v25, v26, v25
	v_fma_f32 v22, v26, v24, -v22
	v_fmac_f32_e32 v25, v27, v24
	v_add_f32_e32 v21, v21, v22
	v_add_f32_e32 v23, v23, v25
.LBB71_441:
	s_or_b64 exec, exec, s[24:25]
	v_xor_b32_e32 v22, 0x80000000, v21
	v_xor_b32_e32 v21, 0x80000000, v23
.LBB71_442:
	s_or_b64 exec, exec, s[20:21]
	s_and_saveexec_b64 s[18:19], s[38:39]
	s_cbranch_execz .LBB71_444
; %bb.443:
	v_mov_b32_e32 v23, 0
	ds_read_b64 v[23:24], v23 offset:11440
	s_waitcnt lgkmcnt(0)
	v_mul_f32_e32 v26, v21, v24
	v_mul_f32_e32 v25, v22, v24
	v_fma_f32 v24, v22, v23, -v26
	v_fmac_f32_e32 v25, v21, v23
	v_mov_b32_e32 v22, v24
	v_mov_b32_e32 v21, v25
	ds_write_b64 v4, v[24:25]
.LBB71_444:
	s_or_b64 exec, exec, s[18:19]
	s_waitcnt lgkmcnt(0)
	s_barrier
	s_and_saveexec_b64 s[18:19], s[30:31]
	s_cbranch_execz .LBB71_446
; %bb.445:
	v_mov_b32_e32 v23, 0
	ds_read_b64 v[23:24], v23 offset:11448
	ds_read_b64 v[25:26], v4
	s_waitcnt lgkmcnt(0)
	v_mul_f32_e32 v27, v26, v24
	v_mul_f32_e32 v24, v25, v24
	v_fma_f32 v25, v25, v23, -v27
	v_fmac_f32_e32 v24, v26, v23
	v_add_f32_e32 v22, v22, v25
	v_add_f32_e32 v21, v21, v24
.LBB71_446:
	s_or_b64 exec, exec, s[18:19]
	s_barrier
	s_and_saveexec_b64 s[18:19], s[30:31]
	s_cbranch_execz .LBB71_448
; %bb.447:
	v_mov_b32_e32 v23, 0
	ds_read_b64 v[23:24], v23 offset:11960
	s_waitcnt lgkmcnt(0)
	v_mul_f32_e32 v26, v21, v24
	v_mul_f32_e32 v25, v22, v24
	v_fma_f32 v24, v22, v23, -v26
	v_fmac_f32_e32 v25, v21, v23
	v_mov_b32_e32 v22, v24
	v_mov_b32_e32 v21, v25
	ds_write_b64 v4, v[24:25]
.LBB71_448:
	s_or_b64 exec, exec, s[18:19]
	s_waitcnt lgkmcnt(0)
	s_barrier
	s_barrier
	s_and_saveexec_b64 s[18:19], s[22:23]
; %bb.449:
	v_xor_b32_e32 v23, 0x80000000, v21
	v_xor_b32_e32 v22, 0x80000000, v22
	ds_write_b64 v3, v[22:23] offset:10416
; %bb.450:
	s_or_b64 exec, exec, s[18:19]
	s_waitcnt lgkmcnt(0)
	s_barrier
	s_barrier
	s_and_saveexec_b64 s[18:19], s[40:41]
	s_cbranch_execz .LBB71_452
; %bb.451:
	v_lshlrev_b32_e32 v23, 3, v0
	s_movk_i32 s20, 0x1f8
	v_mad_u32_u24 v24, v0, s20, v23
	ds_read_b64 v[21:22], v24 offset:10416
	s_waitcnt lgkmcnt(0)
	ds_write_b64 v23, v[21:22] offset:11424
	ds_read_b64 v[21:22], v24 offset:10424
	s_waitcnt lgkmcnt(0)
	ds_write_b64 v23, v[21:22] offset:11936
.LBB71_452:
	s_or_b64 exec, exec, s[18:19]
	s_waitcnt lgkmcnt(0)
	s_barrier
	s_and_saveexec_b64 s[18:19], vcc
	s_cbranch_execz .LBB71_454
; %bb.453:
	v_mov_b32_e32 v25, 0
	ds_read_b128 v[21:24], v25 offset:11440
	ds_read_b64 v[25:26], v25 offset:11960
	s_movk_i32 s20, 0x2800
	s_waitcnt lgkmcnt(0)
	v_mul_f32_e32 v27, v26, v22
	v_mul_f32_e32 v28, v25, v22
	v_fma_f32 v25, v25, v21, -v27
	v_fmac_f32_e32 v28, v26, v21
	v_mul_f32_e32 v21, v28, v24
	v_mul_f32_e32 v22, v25, v24
	v_fma_f32 v21, v25, v23, -v21
	v_fmac_f32_e32 v22, v28, v23
	v_add_u32_e64 v23, s20, 0
	ds_write2_b64 v23, v[21:22], v[21:22] offset0:151 offset1:214
.LBB71_454:
	s_or_b64 exec, exec, s[18:19]
	v_mov_b32_e32 v21, 0
	v_mov_b32_e32 v22, 0
	s_waitcnt lgkmcnt(0)
	s_barrier
	s_and_saveexec_b64 s[20:21], s[12:13]
	s_cbranch_execz .LBB71_464
; %bb.455:
	v_mul_u32_u24_e32 v22, 0x208, v15
	ds_read_b64 v[23:24], v11 offset:8384
	ds_read_b64 v[25:26], v22 offset:8320
	v_cmp_gt_u32_e64 s[18:19], 56, v1
	s_waitcnt lgkmcnt(0)
	v_mul_f32_e32 v21, v26, v24
	v_mul_f32_e32 v24, v25, v24
	v_fma_f32 v21, v25, v23, -v21
	v_fmac_f32_e32 v24, v26, v23
	v_add_f32_e32 v21, 0, v21
	v_add_f32_e32 v23, 0, v24
	s_and_saveexec_b64 s[24:25], s[18:19]
	s_cbranch_execnz .LBB71_1132
; %bb.456:
	s_or_b64 exec, exec, s[24:25]
	v_cmp_gt_u32_e64 s[18:19], 48, v1
	s_and_saveexec_b64 s[24:25], s[18:19]
	s_cbranch_execnz .LBB71_1133
.LBB71_457:
	s_or_b64 exec, exec, s[24:25]
	v_cmp_gt_u32_e64 s[18:19], 40, v1
	s_and_saveexec_b64 s[24:25], s[18:19]
	s_cbranch_execnz .LBB71_1134
.LBB71_458:
	s_or_b64 exec, exec, s[24:25]
	v_cmp_gt_u32_e64 s[18:19], 32, v1
	s_and_saveexec_b64 s[24:25], s[18:19]
	s_cbranch_execnz .LBB71_1135
.LBB71_459:
	s_or_b64 exec, exec, s[24:25]
	v_cmp_gt_u32_e64 s[18:19], 24, v1
	s_and_saveexec_b64 s[24:25], s[18:19]
	s_cbranch_execnz .LBB71_1136
.LBB71_460:
	s_or_b64 exec, exec, s[24:25]
	v_cmp_gt_u32_e64 s[18:19], 16, v1
	s_and_saveexec_b64 s[24:25], s[18:19]
	s_cbranch_execnz .LBB71_1137
.LBB71_461:
	s_or_b64 exec, exec, s[24:25]
	v_cmp_gt_u32_e64 s[18:19], 8, v1
	s_and_saveexec_b64 s[24:25], s[18:19]
	s_cbranch_execz .LBB71_463
.LBB71_462:
	v_lshlrev_b32_e32 v22, 3, v0
	v_mov_b32_e32 v26, 0
	ds_read_b64 v[24:25], v22 offset:11968
	ds_read_b64 v[26:27], v26 offset:8376
	s_waitcnt lgkmcnt(0)
	v_mul_f32_e32 v22, v27, v25
	v_mul_f32_e32 v25, v26, v25
	v_fma_f32 v22, v26, v24, -v22
	v_fmac_f32_e32 v25, v27, v24
	v_add_f32_e32 v21, v21, v22
	v_add_f32_e32 v23, v23, v25
.LBB71_463:
	s_or_b64 exec, exec, s[24:25]
	v_xor_b32_e32 v22, 0x80000000, v21
	v_xor_b32_e32 v21, 0x80000000, v23
.LBB71_464:
	s_or_b64 exec, exec, s[20:21]
	s_and_saveexec_b64 s[18:19], s[58:59]
	s_cbranch_execz .LBB71_466
; %bb.465:
	v_mov_b32_e32 v23, 0
	ds_read_b64 v[23:24], v23 offset:12480
	s_waitcnt lgkmcnt(0)
	v_mul_f32_e32 v26, v21, v24
	v_mul_f32_e32 v25, v22, v24
	v_fma_f32 v24, v22, v23, -v26
	v_fmac_f32_e32 v25, v21, v23
	v_mov_b32_e32 v22, v24
	v_mov_b32_e32 v21, v25
	ds_write_b64 v13, v[24:25]
.LBB71_466:
	s_or_b64 exec, exec, s[18:19]
	s_waitcnt lgkmcnt(0)
	s_barrier
	s_and_saveexec_b64 s[18:19], s[60:61]
	s_cbranch_execz .LBB71_468
; %bb.467:
	ds_read_b64 v[23:24], v12 offset:12480
	ds_read_b64 v[25:26], v13
	s_waitcnt lgkmcnt(0)
	v_mul_f32_e32 v27, v26, v24
	v_mul_f32_e32 v24, v25, v24
	v_fma_f32 v25, v25, v23, -v27
	v_fmac_f32_e32 v24, v26, v23
	v_add_f32_e32 v22, v22, v25
	v_add_f32_e32 v21, v21, v24
.LBB71_468:
	s_or_b64 exec, exec, s[18:19]
	s_barrier
	s_and_saveexec_b64 s[18:19], s[62:63]
	s_cbranch_execz .LBB71_470
; %bb.469:
	v_mov_b32_e32 v23, 0
	ds_read_b64 v[23:24], v23 offset:13000
	s_waitcnt lgkmcnt(0)
	v_mul_f32_e32 v26, v21, v24
	v_mul_f32_e32 v25, v22, v24
	v_fma_f32 v24, v22, v23, -v26
	v_fmac_f32_e32 v25, v21, v23
	v_mov_b32_e32 v22, v24
	v_mov_b32_e32 v21, v25
	ds_write_b64 v13, v[24:25]
.LBB71_470:
	s_or_b64 exec, exec, s[18:19]
	s_waitcnt lgkmcnt(0)
	s_barrier
	s_and_saveexec_b64 s[18:19], s[64:65]
	s_cbranch_execz .LBB71_472
; %bb.471:
	ds_read_b64 v[23:24], v12 offset:12992
	ds_read_b64 v[25:26], v13
	s_waitcnt lgkmcnt(0)
	v_mul_f32_e32 v27, v26, v24
	v_mul_f32_e32 v24, v25, v24
	v_fma_f32 v25, v25, v23, -v27
	v_fmac_f32_e32 v24, v26, v23
	v_add_f32_e32 v22, v22, v25
	v_add_f32_e32 v21, v21, v24
.LBB71_472:
	s_or_b64 exec, exec, s[18:19]
	s_barrier
	;; [unrolled: 32-line block ×6, first 2 shown]
	s_and_saveexec_b64 s[18:19], s[82:83]
	s_cbranch_execz .LBB71_490
; %bb.489:
	v_mov_b32_e32 v23, 0
	ds_read_b64 v[23:24], v23 offset:15600
	s_waitcnt lgkmcnt(0)
	v_mul_f32_e32 v26, v21, v24
	v_mul_f32_e32 v25, v22, v24
	v_fma_f32 v24, v22, v23, -v26
	v_fmac_f32_e32 v25, v21, v23
	v_mov_b32_e32 v22, v24
	v_mov_b32_e32 v21, v25
	ds_write_b64 v13, v[24:25]
.LBB71_490:
	s_or_b64 exec, exec, s[18:19]
	s_waitcnt lgkmcnt(0)
	s_barrier
	s_and_saveexec_b64 s[18:19], s[56:57]
	s_cbranch_execz .LBB71_492
; %bb.491:
	v_mov_b32_e32 v23, 0
	ds_read_b64 v[23:24], v23 offset:15608
	ds_read_b64 v[25:26], v13
	s_waitcnt lgkmcnt(0)
	v_mul_f32_e32 v27, v26, v24
	v_mul_f32_e32 v24, v25, v24
	v_fma_f32 v25, v25, v23, -v27
	v_fmac_f32_e32 v24, v26, v23
	v_add_f32_e32 v22, v22, v25
	v_add_f32_e32 v21, v21, v24
.LBB71_492:
	s_or_b64 exec, exec, s[18:19]
	s_barrier
	s_and_saveexec_b64 s[18:19], s[56:57]
	s_cbranch_execz .LBB71_494
; %bb.493:
	v_mov_b32_e32 v23, 0
	ds_read_b64 v[23:24], v23 offset:16120
	s_waitcnt lgkmcnt(0)
	v_mul_f32_e32 v26, v21, v24
	v_mul_f32_e32 v25, v22, v24
	v_fma_f32 v24, v22, v23, -v26
	v_fmac_f32_e32 v25, v21, v23
	v_mov_b32_e32 v22, v24
	v_mov_b32_e32 v21, v25
	ds_write_b64 v13, v[24:25]
.LBB71_494:
	s_or_b64 exec, exec, s[18:19]
	s_waitcnt lgkmcnt(0)
	s_barrier
	s_barrier
	s_and_saveexec_b64 s[18:19], s[12:13]
; %bb.495:
	v_xor_b32_e32 v23, 0x80000000, v21
	v_xor_b32_e32 v22, 0x80000000, v22
	ds_write_b64 v11, v[22:23] offset:8384
; %bb.496:
	s_or_b64 exec, exec, s[18:19]
	s_waitcnt lgkmcnt(0)
	s_barrier
	s_barrier
	s_and_saveexec_b64 s[18:19], s[84:85]
	s_cbranch_execz .LBB71_498
; %bb.497:
	v_lshlrev_b32_e32 v23, 9, v0
	ds_read_b64 v[21:22], v23 offset:8384
	s_movk_i32 s20, 0xfe08
	v_mad_i32_i24 v24, v0, s20, v23
	s_waitcnt lgkmcnt(0)
	ds_write_b64 v24, v[21:22] offset:12416
	ds_read_b64 v[21:22], v23 offset:8392
	s_waitcnt lgkmcnt(0)
	ds_write_b64 v24, v[21:22] offset:12928
	ds_read_b64 v[21:22], v23 offset:8400
	;; [unrolled: 3-line block ×7, first 2 shown]
	s_waitcnt lgkmcnt(0)
	ds_write_b64 v24, v[21:22] offset:16000
.LBB71_498:
	s_or_b64 exec, exec, s[18:19]
	s_waitcnt lgkmcnt(0)
	s_barrier
	s_and_saveexec_b64 s[18:19], vcc
	s_cbranch_execz .LBB71_500
; %bb.499:
	v_mov_b32_e32 v25, 0
	ds_read_b128 v[21:24], v25 offset:12480
	ds_read_b64 v[25:26], v25 offset:13000
	s_movk_i32 s20, 0x3000
	s_waitcnt lgkmcnt(0)
	v_mul_f32_e32 v27, v26, v22
	v_mul_f32_e32 v28, v25, v22
	v_fma_f32 v25, v25, v21, -v27
	v_fmac_f32_e32 v28, v26, v21
	v_mul_f32_e32 v21, v28, v24
	v_mul_f32_e32 v22, v25, v24
	v_fma_f32 v21, v25, v23, -v21
	v_fmac_f32_e32 v22, v28, v23
	v_add_u32_e64 v23, s20, 0
	ds_write2_b64 v23, v[21:22], v[21:22] offset0:25 offset1:88
.LBB71_500:
	s_or_b64 exec, exec, s[18:19]
	v_mov_b32_e32 v21, 0
	v_mov_b32_e32 v22, 0
	s_waitcnt lgkmcnt(0)
	s_barrier
	s_and_saveexec_b64 s[20:21], s[22:23]
	s_cbranch_execz .LBB71_504
; %bb.501:
	v_mul_u32_u24_e32 v23, 0x208, v5
	ds_read_b64 v[21:22], v3 offset:12496
	ds_read_b64 v[23:24], v23 offset:12480
	v_cmp_gt_u32_e64 s[18:19], 2, v1
	s_waitcnt lgkmcnt(0)
	v_mul_f32_e32 v25, v24, v22
	v_mul_f32_e32 v22, v23, v22
	v_fma_f32 v23, v23, v21, -v25
	v_fmac_f32_e32 v22, v24, v21
	v_add_f32_e32 v21, 0, v23
	v_add_f32_e32 v23, 0, v22
	s_and_saveexec_b64 s[24:25], s[18:19]
	s_cbranch_execz .LBB71_503
; %bb.502:
	v_lshlrev_b32_e32 v22, 3, v0
	v_mov_b32_e32 v26, 0
	ds_read_b64 v[24:25], v22 offset:13008
	ds_read_b64 v[26:27], v26 offset:12488
	s_waitcnt lgkmcnt(0)
	v_mul_f32_e32 v22, v27, v25
	v_mul_f32_e32 v25, v26, v25
	v_fma_f32 v22, v26, v24, -v22
	v_fmac_f32_e32 v25, v27, v24
	v_add_f32_e32 v21, v21, v22
	v_add_f32_e32 v23, v23, v25
.LBB71_503:
	s_or_b64 exec, exec, s[24:25]
	v_xor_b32_e32 v22, 0x80000000, v21
	v_xor_b32_e32 v21, 0x80000000, v23
.LBB71_504:
	s_or_b64 exec, exec, s[20:21]
	s_and_saveexec_b64 s[18:19], s[38:39]
	s_cbranch_execz .LBB71_506
; %bb.505:
	v_mov_b32_e32 v23, 0
	ds_read_b64 v[23:24], v23 offset:13520
	s_waitcnt lgkmcnt(0)
	v_mul_f32_e32 v26, v21, v24
	v_mul_f32_e32 v25, v22, v24
	v_fma_f32 v24, v22, v23, -v26
	v_fmac_f32_e32 v25, v21, v23
	v_mov_b32_e32 v22, v24
	v_mov_b32_e32 v21, v25
	ds_write_b64 v4, v[24:25]
.LBB71_506:
	s_or_b64 exec, exec, s[18:19]
	s_waitcnt lgkmcnt(0)
	s_barrier
	s_and_saveexec_b64 s[18:19], s[30:31]
	s_cbranch_execz .LBB71_508
; %bb.507:
	v_mov_b32_e32 v23, 0
	ds_read_b64 v[23:24], v23 offset:13528
	ds_read_b64 v[25:26], v4
	s_waitcnt lgkmcnt(0)
	v_mul_f32_e32 v27, v26, v24
	v_mul_f32_e32 v24, v25, v24
	v_fma_f32 v25, v25, v23, -v27
	v_fmac_f32_e32 v24, v26, v23
	v_add_f32_e32 v22, v22, v25
	v_add_f32_e32 v21, v21, v24
.LBB71_508:
	s_or_b64 exec, exec, s[18:19]
	s_barrier
	s_and_saveexec_b64 s[18:19], s[30:31]
	s_cbranch_execz .LBB71_510
; %bb.509:
	v_mov_b32_e32 v23, 0
	ds_read_b64 v[23:24], v23 offset:14040
	s_waitcnt lgkmcnt(0)
	v_mul_f32_e32 v26, v21, v24
	v_mul_f32_e32 v25, v22, v24
	v_fma_f32 v24, v22, v23, -v26
	v_fmac_f32_e32 v25, v21, v23
	v_mov_b32_e32 v22, v24
	v_mov_b32_e32 v21, v25
	ds_write_b64 v4, v[24:25]
.LBB71_510:
	s_or_b64 exec, exec, s[18:19]
	s_waitcnt lgkmcnt(0)
	s_barrier
	s_barrier
	s_and_saveexec_b64 s[18:19], s[22:23]
; %bb.511:
	v_xor_b32_e32 v23, 0x80000000, v21
	v_xor_b32_e32 v22, 0x80000000, v22
	ds_write_b64 v3, v[22:23] offset:12496
; %bb.512:
	s_or_b64 exec, exec, s[18:19]
	s_waitcnt lgkmcnt(0)
	s_barrier
	s_barrier
	s_and_saveexec_b64 s[18:19], s[40:41]
	s_cbranch_execz .LBB71_514
; %bb.513:
	v_lshlrev_b32_e32 v23, 3, v0
	s_movk_i32 s20, 0x1f8
	v_mad_u32_u24 v24, v0, s20, v23
	ds_read_b64 v[21:22], v24 offset:12496
	s_waitcnt lgkmcnt(0)
	ds_write_b64 v23, v[21:22] offset:13504
	ds_read_b64 v[21:22], v24 offset:12504
	s_waitcnt lgkmcnt(0)
	ds_write_b64 v23, v[21:22] offset:14016
.LBB71_514:
	s_or_b64 exec, exec, s[18:19]
	s_waitcnt lgkmcnt(0)
	s_barrier
	s_and_saveexec_b64 s[18:19], vcc
	s_cbranch_execz .LBB71_516
; %bb.515:
	v_mov_b32_e32 v25, 0
	ds_read_b128 v[21:24], v25 offset:13520
	ds_read_b64 v[25:26], v25 offset:14040
	s_movk_i32 s20, 0x3000
	s_waitcnt lgkmcnt(0)
	v_mul_f32_e32 v27, v26, v22
	v_mul_f32_e32 v28, v25, v22
	v_fma_f32 v25, v25, v21, -v27
	v_fmac_f32_e32 v28, v26, v21
	v_mul_f32_e32 v21, v28, v24
	v_mul_f32_e32 v22, v25, v24
	v_fma_f32 v21, v25, v23, -v21
	v_fmac_f32_e32 v22, v28, v23
	v_add_u32_e64 v23, s20, 0
	ds_write2_b64 v23, v[21:22], v[21:22] offset0:155 offset1:218
.LBB71_516:
	s_or_b64 exec, exec, s[18:19]
	v_mov_b32_e32 v21, 0
	v_mov_b32_e32 v22, 0
	s_waitcnt lgkmcnt(0)
	s_barrier
	s_and_saveexec_b64 s[20:21], s[10:11]
	s_cbranch_execz .LBB71_522
; %bb.517:
	v_mul_u32_u24_e32 v22, 0x208, v10
	ds_read_b64 v[23:24], v6 offset:12512
	ds_read_b64 v[25:26], v22 offset:12480
	v_cmp_gt_u32_e64 s[18:19], 12, v1
	s_waitcnt lgkmcnt(0)
	v_mul_f32_e32 v21, v26, v24
	v_mul_f32_e32 v24, v25, v24
	v_fma_f32 v21, v25, v23, -v21
	v_fmac_f32_e32 v24, v26, v23
	v_add_f32_e32 v21, 0, v21
	v_add_f32_e32 v23, 0, v24
	s_and_saveexec_b64 s[24:25], s[18:19]
	s_cbranch_execnz .LBB71_1138
; %bb.518:
	s_or_b64 exec, exec, s[24:25]
	v_cmp_gt_u32_e64 s[18:19], 8, v1
	s_and_saveexec_b64 s[24:25], s[18:19]
	s_cbranch_execnz .LBB71_1139
.LBB71_519:
	s_or_b64 exec, exec, s[24:25]
	v_cmp_gt_u32_e64 s[18:19], 4, v1
	s_and_saveexec_b64 s[24:25], s[18:19]
	s_cbranch_execz .LBB71_521
.LBB71_520:
	v_lshlrev_b32_e32 v22, 3, v0
	v_mov_b32_e32 v26, 0
	ds_read_b64 v[24:25], v22 offset:14048
	ds_read_b64 v[26:27], v26 offset:12504
	s_waitcnt lgkmcnt(0)
	v_mul_f32_e32 v22, v27, v25
	v_mul_f32_e32 v25, v26, v25
	v_fma_f32 v22, v26, v24, -v22
	v_fmac_f32_e32 v25, v27, v24
	v_add_f32_e32 v21, v21, v22
	v_add_f32_e32 v23, v23, v25
.LBB71_521:
	s_or_b64 exec, exec, s[24:25]
	v_xor_b32_e32 v22, 0x80000000, v21
	v_xor_b32_e32 v21, 0x80000000, v23
.LBB71_522:
	s_or_b64 exec, exec, s[20:21]
	s_and_saveexec_b64 s[18:19], s[44:45]
	s_cbranch_execz .LBB71_524
; %bb.523:
	v_mov_b32_e32 v23, 0
	ds_read_b64 v[23:24], v23 offset:14560
	s_waitcnt lgkmcnt(0)
	v_mul_f32_e32 v26, v21, v24
	v_mul_f32_e32 v25, v22, v24
	v_fma_f32 v24, v22, v23, -v26
	v_fmac_f32_e32 v25, v21, v23
	v_mov_b32_e32 v22, v24
	v_mov_b32_e32 v21, v25
	ds_write_b64 v8, v[24:25]
.LBB71_524:
	s_or_b64 exec, exec, s[18:19]
	s_waitcnt lgkmcnt(0)
	s_barrier
	s_and_saveexec_b64 s[18:19], s[46:47]
	s_cbranch_execz .LBB71_526
; %bb.525:
	ds_read_b64 v[23:24], v7 offset:14560
	ds_read_b64 v[25:26], v8
	s_waitcnt lgkmcnt(0)
	v_mul_f32_e32 v27, v26, v24
	v_mul_f32_e32 v24, v25, v24
	v_fma_f32 v25, v25, v23, -v27
	v_fmac_f32_e32 v24, v26, v23
	v_add_f32_e32 v22, v22, v25
	v_add_f32_e32 v21, v21, v24
.LBB71_526:
	s_or_b64 exec, exec, s[18:19]
	s_barrier
	s_and_saveexec_b64 s[18:19], s[48:49]
	s_cbranch_execz .LBB71_528
; %bb.527:
	v_mov_b32_e32 v23, 0
	ds_read_b64 v[23:24], v23 offset:15080
	s_waitcnt lgkmcnt(0)
	v_mul_f32_e32 v26, v21, v24
	v_mul_f32_e32 v25, v22, v24
	v_fma_f32 v24, v22, v23, -v26
	v_fmac_f32_e32 v25, v21, v23
	v_mov_b32_e32 v22, v24
	v_mov_b32_e32 v21, v25
	ds_write_b64 v8, v[24:25]
.LBB71_528:
	s_or_b64 exec, exec, s[18:19]
	s_waitcnt lgkmcnt(0)
	s_barrier
	s_and_saveexec_b64 s[18:19], s[50:51]
	s_cbranch_execz .LBB71_530
; %bb.529:
	ds_read_b64 v[23:24], v7 offset:15072
	ds_read_b64 v[25:26], v8
	s_waitcnt lgkmcnt(0)
	v_mul_f32_e32 v27, v26, v24
	v_mul_f32_e32 v24, v25, v24
	v_fma_f32 v25, v25, v23, -v27
	v_fmac_f32_e32 v24, v26, v23
	v_add_f32_e32 v22, v22, v25
	v_add_f32_e32 v21, v21, v24
.LBB71_530:
	s_or_b64 exec, exec, s[18:19]
	s_barrier
	s_and_saveexec_b64 s[18:19], s[52:53]
	s_cbranch_execz .LBB71_532
; %bb.531:
	v_mov_b32_e32 v23, 0
	ds_read_b64 v[23:24], v23 offset:15600
	s_waitcnt lgkmcnt(0)
	v_mul_f32_e32 v26, v21, v24
	v_mul_f32_e32 v25, v22, v24
	v_fma_f32 v24, v22, v23, -v26
	v_fmac_f32_e32 v25, v21, v23
	v_mov_b32_e32 v22, v24
	v_mov_b32_e32 v21, v25
	ds_write_b64 v8, v[24:25]
.LBB71_532:
	s_or_b64 exec, exec, s[18:19]
	s_waitcnt lgkmcnt(0)
	s_barrier
	s_and_saveexec_b64 s[18:19], s[42:43]
	s_cbranch_execz .LBB71_534
; %bb.533:
	v_mov_b32_e32 v23, 0
	ds_read_b64 v[23:24], v23 offset:15608
	ds_read_b64 v[25:26], v8
	s_waitcnt lgkmcnt(0)
	v_mul_f32_e32 v27, v26, v24
	v_mul_f32_e32 v24, v25, v24
	v_fma_f32 v25, v25, v23, -v27
	v_fmac_f32_e32 v24, v26, v23
	v_add_f32_e32 v22, v22, v25
	v_add_f32_e32 v21, v21, v24
.LBB71_534:
	s_or_b64 exec, exec, s[18:19]
	s_barrier
	s_and_saveexec_b64 s[18:19], s[42:43]
	s_cbranch_execz .LBB71_536
; %bb.535:
	v_mov_b32_e32 v23, 0
	ds_read_b64 v[23:24], v23 offset:16120
	s_waitcnt lgkmcnt(0)
	v_mul_f32_e32 v26, v21, v24
	v_mul_f32_e32 v25, v22, v24
	v_fma_f32 v24, v22, v23, -v26
	v_fmac_f32_e32 v25, v21, v23
	v_mov_b32_e32 v22, v24
	v_mov_b32_e32 v21, v25
	ds_write_b64 v8, v[24:25]
.LBB71_536:
	s_or_b64 exec, exec, s[18:19]
	s_waitcnt lgkmcnt(0)
	s_barrier
	s_barrier
	s_and_saveexec_b64 s[18:19], s[10:11]
; %bb.537:
	v_xor_b32_e32 v22, 0x80000000, v22
	v_xor_b32_e32 v23, 0x80000000, v21
	ds_write_b64 v6, v[22:23] offset:12512
; %bb.538:
	s_or_b64 exec, exec, s[18:19]
	s_waitcnt lgkmcnt(0)
	s_barrier
	s_barrier
	s_and_saveexec_b64 s[18:19], s[54:55]
	s_cbranch_execz .LBB71_540
; %bb.539:
	v_lshlrev_b32_e32 v23, 9, v0
	ds_read_b64 v[21:22], v23 offset:12512
	s_movk_i32 s20, 0xfe08
	v_mad_i32_i24 v24, v0, s20, v23
	s_waitcnt lgkmcnt(0)
	ds_write_b64 v24, v[21:22] offset:14528
	ds_read_b64 v[21:22], v23 offset:12520
	s_waitcnt lgkmcnt(0)
	ds_write_b64 v24, v[21:22] offset:15040
	ds_read_b64 v[21:22], v23 offset:12528
	;; [unrolled: 3-line block ×3, first 2 shown]
	s_waitcnt lgkmcnt(0)
	ds_write_b64 v24, v[21:22] offset:16064
.LBB71_540:
	s_or_b64 exec, exec, s[18:19]
	s_waitcnt lgkmcnt(0)
	s_barrier
	s_and_saveexec_b64 s[18:19], vcc
	s_cbranch_execz .LBB71_542
; %bb.541:
	v_mov_b32_e32 v25, 0
	ds_read_b128 v[21:24], v25 offset:14560
	ds_read_b64 v[25:26], v25 offset:15080
	s_movk_i32 s20, 0x3800
	s_waitcnt lgkmcnt(0)
	v_mul_f32_e32 v27, v26, v22
	v_mul_f32_e32 v28, v25, v22
	v_fma_f32 v25, v25, v21, -v27
	v_fmac_f32_e32 v28, v26, v21
	v_mul_f32_e32 v21, v28, v24
	v_mul_f32_e32 v22, v25, v24
	v_fma_f32 v21, v25, v23, -v21
	v_fmac_f32_e32 v22, v28, v23
	v_add_u32_e64 v23, s20, 0
	ds_write2_b64 v23, v[21:22], v[21:22] offset0:29 offset1:92
.LBB71_542:
	s_or_b64 exec, exec, s[18:19]
	v_mov_b32_e32 v21, 0
	v_mov_b32_e32 v22, 0
	s_waitcnt lgkmcnt(0)
	s_barrier
	s_and_saveexec_b64 s[20:21], s[22:23]
	s_cbranch_execz .LBB71_546
; %bb.543:
	v_mul_u32_u24_e32 v23, 0x208, v5
	ds_read_b64 v[21:22], v3 offset:14576
	ds_read_b64 v[23:24], v23 offset:14560
	v_cmp_gt_u32_e64 s[18:19], 2, v1
	s_waitcnt lgkmcnt(0)
	v_mul_f32_e32 v25, v24, v22
	v_mul_f32_e32 v22, v23, v22
	v_fma_f32 v23, v23, v21, -v25
	v_fmac_f32_e32 v22, v24, v21
	v_add_f32_e32 v21, 0, v23
	v_add_f32_e32 v23, 0, v22
	s_and_saveexec_b64 s[24:25], s[18:19]
	s_cbranch_execz .LBB71_545
; %bb.544:
	v_lshlrev_b32_e32 v22, 3, v0
	v_mov_b32_e32 v26, 0
	ds_read_b64 v[24:25], v22 offset:15088
	ds_read_b64 v[26:27], v26 offset:14568
	s_waitcnt lgkmcnt(0)
	v_mul_f32_e32 v22, v27, v25
	v_mul_f32_e32 v25, v26, v25
	v_fma_f32 v22, v26, v24, -v22
	v_fmac_f32_e32 v25, v27, v24
	v_add_f32_e32 v21, v21, v22
	v_add_f32_e32 v23, v23, v25
.LBB71_545:
	s_or_b64 exec, exec, s[24:25]
	v_xor_b32_e32 v22, 0x80000000, v21
	v_xor_b32_e32 v21, 0x80000000, v23
.LBB71_546:
	s_or_b64 exec, exec, s[20:21]
	s_and_saveexec_b64 s[18:19], s[38:39]
	s_cbranch_execz .LBB71_548
; %bb.547:
	v_mov_b32_e32 v23, 0
	ds_read_b64 v[23:24], v23 offset:15600
	s_waitcnt lgkmcnt(0)
	v_mul_f32_e32 v26, v21, v24
	v_mul_f32_e32 v25, v22, v24
	v_fma_f32 v24, v22, v23, -v26
	v_fmac_f32_e32 v25, v21, v23
	v_mov_b32_e32 v22, v24
	v_mov_b32_e32 v21, v25
	ds_write_b64 v4, v[24:25]
.LBB71_548:
	s_or_b64 exec, exec, s[18:19]
	s_waitcnt lgkmcnt(0)
	s_barrier
	s_and_saveexec_b64 s[18:19], s[30:31]
	s_cbranch_execz .LBB71_550
; %bb.549:
	v_mov_b32_e32 v23, 0
	ds_read_b64 v[23:24], v23 offset:15608
	ds_read_b64 v[25:26], v4
	s_waitcnt lgkmcnt(0)
	v_mul_f32_e32 v27, v26, v24
	v_mul_f32_e32 v24, v25, v24
	v_fma_f32 v25, v25, v23, -v27
	v_fmac_f32_e32 v24, v26, v23
	v_add_f32_e32 v22, v22, v25
	v_add_f32_e32 v21, v21, v24
.LBB71_550:
	s_or_b64 exec, exec, s[18:19]
	s_barrier
	s_and_saveexec_b64 s[18:19], s[30:31]
	s_cbranch_execz .LBB71_552
; %bb.551:
	v_mov_b32_e32 v23, 0
	ds_read_b64 v[23:24], v23 offset:16120
	s_waitcnt lgkmcnt(0)
	v_mul_f32_e32 v26, v21, v24
	v_mul_f32_e32 v25, v22, v24
	v_fma_f32 v24, v22, v23, -v26
	v_fmac_f32_e32 v25, v21, v23
	v_mov_b32_e32 v22, v24
	v_mov_b32_e32 v21, v25
	ds_write_b64 v4, v[24:25]
.LBB71_552:
	s_or_b64 exec, exec, s[18:19]
	s_waitcnt lgkmcnt(0)
	s_barrier
	s_barrier
	s_and_saveexec_b64 s[18:19], s[22:23]
; %bb.553:
	v_xor_b32_e32 v23, 0x80000000, v21
	v_xor_b32_e32 v22, 0x80000000, v22
	ds_write_b64 v3, v[22:23] offset:14576
; %bb.554:
	s_or_b64 exec, exec, s[18:19]
	s_waitcnt lgkmcnt(0)
	s_barrier
	s_barrier
	s_and_saveexec_b64 s[18:19], s[40:41]
	s_cbranch_execz .LBB71_556
; %bb.555:
	v_lshlrev_b32_e32 v23, 3, v0
	s_movk_i32 s20, 0x1f8
	v_mad_u32_u24 v24, v0, s20, v23
	ds_read_b64 v[21:22], v24 offset:14576
	s_waitcnt lgkmcnt(0)
	ds_write_b64 v23, v[21:22] offset:15584
	ds_read_b64 v[21:22], v24 offset:14584
	s_waitcnt lgkmcnt(0)
	ds_write_b64 v23, v[21:22] offset:16096
.LBB71_556:
	s_or_b64 exec, exec, s[18:19]
	s_waitcnt lgkmcnt(0)
	s_barrier
	s_and_saveexec_b64 s[18:19], vcc
	s_cbranch_execz .LBB71_558
; %bb.557:
	v_mov_b32_e32 v25, 0
	ds_read_b128 v[21:24], v25 offset:15600
	ds_read_b64 v[25:26], v25 offset:16120
	s_movk_i32 s20, 0x3800
	s_waitcnt lgkmcnt(0)
	v_mul_f32_e32 v27, v26, v22
	v_mul_f32_e32 v28, v25, v22
	v_fma_f32 v25, v25, v21, -v27
	v_fmac_f32_e32 v28, v26, v21
	v_mul_f32_e32 v21, v28, v24
	v_mul_f32_e32 v22, v25, v24
	v_fma_f32 v21, v25, v23, -v21
	v_fmac_f32_e32 v22, v28, v23
	v_add_u32_e64 v23, s20, 0
	ds_write2_b64 v23, v[21:22], v[21:22] offset0:159 offset1:222
.LBB71_558:
	s_or_b64 exec, exec, s[18:19]
	s_movk_i32 s18, 0x3ff
	v_lshrrev_b32_e32 v23, 5, v1
	v_cmp_lt_u32_e64 s[20:21], s18, v1
	s_movk_i32 s18, 0x400
	v_and_b32_e32 v21, 31, v0
	v_cmp_gt_u32_e64 s[18:19], s18, v1
	v_lshlrev_b32_e32 v22, 9, v23
	v_mov_b32_e32 v24, 0
	v_mov_b32_e32 v26, 0
	s_waitcnt lgkmcnt(0)
	s_barrier
	s_and_saveexec_b64 s[86:87], s[18:19]
	s_cbranch_execz .LBB71_620
; %bb.559:
	v_lshlrev_b32_e32 v26, 3, v21
	v_add_u32_e32 v28, v26, v22
	v_mul_u32_u24_e32 v27, 0x208, v23
	ds_read_b64 v[24:25], v28 offset:256
	ds_read_b64 v[29:30], v27
	s_movk_i32 s24, 0x3e0
	v_cmp_gt_u32_e64 s[24:25], s24, v1
	s_waitcnt lgkmcnt(0)
	v_mul_f32_e32 v31, v30, v25
	v_mul_f32_e32 v25, v29, v25
	v_fma_f32 v29, v29, v24, -v31
	v_fmac_f32_e32 v25, v30, v24
	v_add_f32_e32 v24, 0, v29
	v_add_f32_e32 v25, 0, v25
	s_and_saveexec_b64 s[88:89], s[24:25]
	s_cbranch_execz .LBB71_561
; %bb.560:
	ds_read_b64 v[29:30], v28 offset:768
	ds_read_b64 v[31:32], v27 offset:8
	s_waitcnt lgkmcnt(0)
	v_mul_f32_e32 v33, v32, v30
	v_mul_f32_e32 v30, v31, v30
	v_fma_f32 v31, v31, v29, -v33
	v_fmac_f32_e32 v30, v32, v29
	v_add_f32_e32 v24, v24, v31
	v_add_f32_e32 v25, v25, v30
.LBB71_561:
	s_or_b64 exec, exec, s[88:89]
	s_movk_i32 s24, 0x3c0
	v_cmp_gt_u32_e64 s[24:25], s24, v1
	s_and_saveexec_b64 s[88:89], s[24:25]
	s_cbranch_execz .LBB71_563
; %bb.562:
	ds_read_b64 v[29:30], v28 offset:1280
	ds_read_b64 v[31:32], v27 offset:16
	s_waitcnt lgkmcnt(0)
	v_mul_f32_e32 v33, v32, v30
	v_mul_f32_e32 v30, v31, v30
	v_fma_f32 v31, v31, v29, -v33
	v_fmac_f32_e32 v30, v32, v29
	v_add_f32_e32 v24, v24, v31
	v_add_f32_e32 v25, v25, v30
.LBB71_563:
	s_or_b64 exec, exec, s[88:89]
	s_movk_i32 s24, 0x3a0
	v_cmp_gt_u32_e64 s[24:25], s24, v1
	;; [unrolled: 16-line block ×28, first 2 shown]
	s_and_saveexec_b64 s[88:89], s[24:25]
	s_cbranch_execnz .LBB71_1140
; %bb.616:
	s_or_b64 exec, exec, s[88:89]
	v_cmp_gt_u32_e64 s[24:25], 64, v1
	s_and_saveexec_b64 s[88:89], s[24:25]
	s_cbranch_execnz .LBB71_1141
.LBB71_617:
	s_or_b64 exec, exec, s[88:89]
	v_cmp_gt_u32_e64 s[24:25], 32, v1
	s_and_saveexec_b64 s[88:89], s[24:25]
	s_cbranch_execz .LBB71_619
.LBB71_618:
	ds_read_b64 v[28:29], v26 offset:16128
	ds_read_b64 v[26:27], v27 offset:248
	s_waitcnt lgkmcnt(0)
	v_mul_f32_e32 v30, v27, v29
	v_mul_f32_e32 v29, v26, v29
	v_fma_f32 v26, v26, v28, -v30
	v_fmac_f32_e32 v29, v27, v28
	v_add_f32_e32 v24, v24, v26
	v_add_f32_e32 v25, v25, v29
.LBB71_619:
	s_or_b64 exec, exec, s[88:89]
	v_xor_b32_e32 v26, 0x80000000, v24
	v_xor_b32_e32 v24, 0x80000000, v25
.LBB71_620:
	s_or_b64 exec, exec, s[86:87]
	v_mov_b32_e32 v25, 0x8000
	v_lshl_or_b32 v23, v23, 3, v25
	v_mul_u32_u24_e32 v25, 0x208, v21
	v_lshlrev_b32_e32 v27, 9, v21
	v_sub_u32_e32 v27, v25, v27
	v_add_u32_e32 v27, 0x4100, v27
	s_mov_b32 s86, 0
	s_xor_b64 s[24:25], s[20:21], -1
	v_mov_b32_e32 v28, v21
	s_branch .LBB71_622
.LBB71_621:                             ;   in Loop: Header=BB71_622 Depth=1
	s_or_b64 exec, exec, s[20:21]
	s_add_i32 s86, s86, 2
	v_add_u32_e32 v27, 0x400, v27
	s_cmp_eq_u32 s86, 32
	v_add_u32_e32 v28, -2, v28
	s_barrier
	s_cbranch_scc1 .LBB71_630
.LBB71_622:                             ; =>This Inner Loop Header: Depth=1
	v_cmp_eq_u32_e64 s[20:21], 0, v28
	s_and_b64 s[88:89], s[24:25], s[20:21]
	s_and_saveexec_b64 s[20:21], s[88:89]
	s_cbranch_execz .LBB71_624
; %bb.623:                              ;   in Loop: Header=BB71_622 Depth=1
	ds_read_b64 v[29:30], v25 offset:16640
	s_waitcnt lgkmcnt(0)
	v_mul_f32_e32 v32, v24, v30
	v_mul_f32_e32 v31, v26, v30
	v_fma_f32 v30, v26, v29, -v32
	v_fmac_f32_e32 v31, v24, v29
	v_mov_b32_e32 v26, v30
	v_mov_b32_e32 v24, v31
	ds_write_b64 v23, v[30:31]
.LBB71_624:                             ;   in Loop: Header=BB71_622 Depth=1
	s_or_b64 exec, exec, s[20:21]
	v_cmp_lt_u32_e64 s[20:21], s86, v21
	s_and_b64 s[88:89], s[24:25], s[20:21]
	s_waitcnt lgkmcnt(0)
	s_barrier
	s_and_saveexec_b64 s[20:21], s[88:89]
	s_cbranch_execz .LBB71_626
; %bb.625:                              ;   in Loop: Header=BB71_622 Depth=1
	ds_read_b64 v[29:30], v27
	ds_read_b64 v[31:32], v23
	s_waitcnt lgkmcnt(0)
	v_mul_f32_e32 v33, v32, v30
	v_mul_f32_e32 v30, v31, v30
	v_fma_f32 v31, v31, v29, -v33
	v_fmac_f32_e32 v30, v32, v29
	v_add_f32_e32 v26, v26, v31
	v_add_f32_e32 v24, v24, v30
.LBB71_626:                             ;   in Loop: Header=BB71_622 Depth=1
	s_or_b64 exec, exec, s[20:21]
	s_or_b32 s87, s86, 1
	v_cmp_eq_u32_e64 s[20:21], s87, v21
	s_and_b64 s[88:89], s[24:25], s[20:21]
	s_barrier
	s_and_saveexec_b64 s[20:21], s[88:89]
	s_cbranch_execz .LBB71_628
; %bb.627:                              ;   in Loop: Header=BB71_622 Depth=1
	ds_read_b64 v[29:30], v25 offset:16640
	s_waitcnt lgkmcnt(0)
	v_mul_f32_e32 v32, v24, v30
	v_mul_f32_e32 v31, v26, v30
	v_fma_f32 v30, v26, v29, -v32
	v_fmac_f32_e32 v31, v24, v29
	v_mov_b32_e32 v26, v30
	v_mov_b32_e32 v24, v31
	ds_write_b64 v23, v[30:31]
.LBB71_628:                             ;   in Loop: Header=BB71_622 Depth=1
	s_or_b64 exec, exec, s[20:21]
	v_cmp_lt_u32_e64 s[20:21], s87, v21
	s_and_b64 s[88:89], s[24:25], s[20:21]
	s_waitcnt lgkmcnt(0)
	s_barrier
	s_and_saveexec_b64 s[20:21], s[88:89]
	s_cbranch_execz .LBB71_621
; %bb.629:                              ;   in Loop: Header=BB71_622 Depth=1
	ds_read_b64 v[29:30], v27 offset:512
	ds_read_b64 v[31:32], v23
	s_waitcnt lgkmcnt(0)
	v_mul_f32_e32 v33, v32, v30
	v_mul_f32_e32 v30, v31, v30
	v_fma_f32 v31, v31, v29, -v33
	v_fmac_f32_e32 v30, v32, v29
	v_add_f32_e32 v26, v26, v31
	v_add_f32_e32 v24, v24, v30
	s_branch .LBB71_621
.LBB71_630:
	s_and_saveexec_b64 s[20:21], s[18:19]
; %bb.631:
	v_lshl_add_u32 v23, v21, 3, v22
	v_xor_b32_e32 v22, 0x80000000, v24
	v_xor_b32_e32 v21, 0x80000000, v26
	ds_write_b64 v23, v[21:22] offset:256
; %bb.632:
	s_or_b64 exec, exec, s[20:21]
	v_cmp_gt_u32_e64 s[18:19], 32, v0
	s_and_b64 s[18:19], s[16:17], s[18:19]
	s_waitcnt lgkmcnt(0)
	s_barrier
	s_barrier
	s_and_saveexec_b64 s[16:17], s[18:19]
	s_cbranch_execz .LBB71_634
; %bb.633:
	v_lshlrev_b32_e32 v23, 9, v0
	ds_read_b64 v[21:22], v23 offset:256
	s_movk_i32 s18, 0xfe08
	v_mad_i32_i24 v24, v0, s18, v23
	s_waitcnt lgkmcnt(0)
	ds_write_b64 v24, v[21:22] offset:16384
	ds_read_b64 v[21:22], v23 offset:264
	s_waitcnt lgkmcnt(0)
	ds_write_b64 v24, v[21:22] offset:16896
	ds_read_b64 v[21:22], v23 offset:272
	;; [unrolled: 3-line block ×31, first 2 shown]
	s_waitcnt lgkmcnt(0)
	ds_write_b64 v24, v[21:22] offset:32256
.LBB71_634:
	s_or_b64 exec, exec, s[16:17]
	s_waitcnt lgkmcnt(0)
	s_barrier
	s_and_saveexec_b64 s[16:17], vcc
	s_cbranch_execz .LBB71_636
; %bb.635:
	v_mov_b32_e32 v25, 0
	ds_read_b128 v[21:24], v25 offset:16640
	ds_read_b64 v[25:26], v25 offset:17160
	s_movk_i32 s18, 0x4000
	s_waitcnt lgkmcnt(0)
	v_mul_f32_e32 v27, v26, v22
	v_mul_f32_e32 v28, v25, v22
	v_fma_f32 v25, v25, v21, -v27
	v_fmac_f32_e32 v28, v26, v21
	v_mul_f32_e32 v21, v28, v24
	v_mul_f32_e32 v22, v25, v24
	v_fma_f32 v21, v25, v23, -v21
	v_fmac_f32_e32 v22, v28, v23
	v_add_u32_e64 v23, s18, 0
	ds_write2_b64 v23, v[21:22], v[21:22] offset0:33 offset1:96
.LBB71_636:
	s_or_b64 exec, exec, s[16:17]
	v_mov_b32_e32 v21, 0
	v_mov_b32_e32 v22, 0
	s_waitcnt lgkmcnt(0)
	s_barrier
	s_and_saveexec_b64 s[18:19], s[22:23]
	s_cbranch_execz .LBB71_640
; %bb.637:
	v_mul_u32_u24_e32 v23, 0x208, v5
	ds_read_b64 v[21:22], v3 offset:16656
	ds_read_b64 v[23:24], v23 offset:16640
	v_cmp_gt_u32_e64 s[16:17], 2, v1
	s_waitcnt lgkmcnt(0)
	v_mul_f32_e32 v25, v24, v22
	v_mul_f32_e32 v22, v23, v22
	v_fma_f32 v23, v23, v21, -v25
	v_fmac_f32_e32 v22, v24, v21
	v_add_f32_e32 v21, 0, v23
	v_add_f32_e32 v23, 0, v22
	s_and_saveexec_b64 s[20:21], s[16:17]
	s_cbranch_execz .LBB71_639
; %bb.638:
	v_lshlrev_b32_e32 v22, 3, v0
	v_mov_b32_e32 v26, 0
	ds_read_b64 v[24:25], v22 offset:17168
	ds_read_b64 v[26:27], v26 offset:16648
	s_waitcnt lgkmcnt(0)
	v_mul_f32_e32 v22, v27, v25
	v_mul_f32_e32 v25, v26, v25
	v_fma_f32 v22, v26, v24, -v22
	v_fmac_f32_e32 v25, v27, v24
	v_add_f32_e32 v21, v21, v22
	v_add_f32_e32 v23, v23, v25
.LBB71_639:
	s_or_b64 exec, exec, s[20:21]
	v_xor_b32_e32 v22, 0x80000000, v21
	v_xor_b32_e32 v21, 0x80000000, v23
.LBB71_640:
	s_or_b64 exec, exec, s[18:19]
	s_and_saveexec_b64 s[16:17], s[38:39]
	s_cbranch_execz .LBB71_642
; %bb.641:
	v_mov_b32_e32 v23, 0
	ds_read_b64 v[23:24], v23 offset:17680
	s_waitcnt lgkmcnt(0)
	v_mul_f32_e32 v26, v21, v24
	v_mul_f32_e32 v25, v22, v24
	v_fma_f32 v24, v22, v23, -v26
	v_fmac_f32_e32 v25, v21, v23
	v_mov_b32_e32 v22, v24
	v_mov_b32_e32 v21, v25
	ds_write_b64 v4, v[24:25]
.LBB71_642:
	s_or_b64 exec, exec, s[16:17]
	s_waitcnt lgkmcnt(0)
	s_barrier
	s_and_saveexec_b64 s[16:17], s[30:31]
	s_cbranch_execz .LBB71_644
; %bb.643:
	v_mov_b32_e32 v23, 0
	ds_read_b64 v[23:24], v23 offset:17688
	ds_read_b64 v[25:26], v4
	s_waitcnt lgkmcnt(0)
	v_mul_f32_e32 v27, v26, v24
	v_mul_f32_e32 v24, v25, v24
	v_fma_f32 v25, v25, v23, -v27
	v_fmac_f32_e32 v24, v26, v23
	v_add_f32_e32 v22, v22, v25
	v_add_f32_e32 v21, v21, v24
.LBB71_644:
	s_or_b64 exec, exec, s[16:17]
	s_barrier
	s_and_saveexec_b64 s[16:17], s[30:31]
	s_cbranch_execz .LBB71_646
; %bb.645:
	v_mov_b32_e32 v23, 0
	ds_read_b64 v[23:24], v23 offset:18200
	s_waitcnt lgkmcnt(0)
	v_mul_f32_e32 v26, v21, v24
	v_mul_f32_e32 v25, v22, v24
	v_fma_f32 v24, v22, v23, -v26
	v_fmac_f32_e32 v25, v21, v23
	v_mov_b32_e32 v22, v24
	v_mov_b32_e32 v21, v25
	ds_write_b64 v4, v[24:25]
.LBB71_646:
	s_or_b64 exec, exec, s[16:17]
	s_waitcnt lgkmcnt(0)
	s_barrier
	s_barrier
	s_and_saveexec_b64 s[16:17], s[22:23]
; %bb.647:
	v_xor_b32_e32 v23, 0x80000000, v21
	v_xor_b32_e32 v22, 0x80000000, v22
	ds_write_b64 v3, v[22:23] offset:16656
; %bb.648:
	s_or_b64 exec, exec, s[16:17]
	s_waitcnt lgkmcnt(0)
	s_barrier
	s_barrier
	s_and_saveexec_b64 s[16:17], s[40:41]
	s_cbranch_execz .LBB71_650
; %bb.649:
	v_lshlrev_b32_e32 v23, 3, v0
	s_movk_i32 s18, 0x1f8
	v_mad_u32_u24 v24, v0, s18, v23
	ds_read_b64 v[21:22], v24 offset:16656
	s_waitcnt lgkmcnt(0)
	ds_write_b64 v23, v[21:22] offset:17664
	ds_read_b64 v[21:22], v24 offset:16664
	s_waitcnt lgkmcnt(0)
	ds_write_b64 v23, v[21:22] offset:18176
.LBB71_650:
	s_or_b64 exec, exec, s[16:17]
	s_waitcnt lgkmcnt(0)
	s_barrier
	s_and_saveexec_b64 s[16:17], vcc
	s_cbranch_execz .LBB71_652
; %bb.651:
	v_mov_b32_e32 v25, 0
	ds_read_b128 v[21:24], v25 offset:17680
	ds_read_b64 v[25:26], v25 offset:18200
	s_movk_i32 s18, 0x4000
	s_waitcnt lgkmcnt(0)
	v_mul_f32_e32 v27, v26, v22
	v_mul_f32_e32 v28, v25, v22
	v_fma_f32 v25, v25, v21, -v27
	v_fmac_f32_e32 v28, v26, v21
	v_mul_f32_e32 v21, v28, v24
	v_mul_f32_e32 v22, v25, v24
	v_fma_f32 v21, v25, v23, -v21
	v_fmac_f32_e32 v22, v28, v23
	v_add_u32_e64 v23, s18, 0
	ds_write2_b64 v23, v[21:22], v[21:22] offset0:163 offset1:226
.LBB71_652:
	s_or_b64 exec, exec, s[16:17]
	v_mov_b32_e32 v21, 0
	v_mov_b32_e32 v22, 0
	s_waitcnt lgkmcnt(0)
	s_barrier
	s_and_saveexec_b64 s[18:19], s[10:11]
	s_cbranch_execz .LBB71_658
; %bb.653:
	v_mul_u32_u24_e32 v22, 0x208, v10
	ds_read_b64 v[23:24], v6 offset:16672
	ds_read_b64 v[25:26], v22 offset:16640
	v_cmp_gt_u32_e64 s[16:17], 12, v1
	s_waitcnt lgkmcnt(0)
	v_mul_f32_e32 v21, v26, v24
	v_mul_f32_e32 v24, v25, v24
	v_fma_f32 v21, v25, v23, -v21
	v_fmac_f32_e32 v24, v26, v23
	v_add_f32_e32 v21, 0, v21
	v_add_f32_e32 v23, 0, v24
	s_and_saveexec_b64 s[20:21], s[16:17]
	s_cbranch_execnz .LBB71_1142
; %bb.654:
	s_or_b64 exec, exec, s[20:21]
	v_cmp_gt_u32_e64 s[16:17], 8, v1
	s_and_saveexec_b64 s[20:21], s[16:17]
	s_cbranch_execnz .LBB71_1143
.LBB71_655:
	s_or_b64 exec, exec, s[20:21]
	v_cmp_gt_u32_e64 s[16:17], 4, v1
	s_and_saveexec_b64 s[20:21], s[16:17]
	s_cbranch_execz .LBB71_657
.LBB71_656:
	v_lshlrev_b32_e32 v22, 3, v0
	v_mov_b32_e32 v26, 0
	ds_read_b64 v[24:25], v22 offset:18208
	ds_read_b64 v[26:27], v26 offset:16664
	s_waitcnt lgkmcnt(0)
	v_mul_f32_e32 v22, v27, v25
	v_mul_f32_e32 v25, v26, v25
	v_fma_f32 v22, v26, v24, -v22
	v_fmac_f32_e32 v25, v27, v24
	v_add_f32_e32 v21, v21, v22
	v_add_f32_e32 v23, v23, v25
.LBB71_657:
	s_or_b64 exec, exec, s[20:21]
	v_xor_b32_e32 v22, 0x80000000, v21
	v_xor_b32_e32 v21, 0x80000000, v23
.LBB71_658:
	s_or_b64 exec, exec, s[18:19]
	s_and_saveexec_b64 s[16:17], s[44:45]
	s_cbranch_execz .LBB71_660
; %bb.659:
	v_mov_b32_e32 v23, 0
	ds_read_b64 v[23:24], v23 offset:18720
	s_waitcnt lgkmcnt(0)
	v_mul_f32_e32 v26, v21, v24
	v_mul_f32_e32 v25, v22, v24
	v_fma_f32 v24, v22, v23, -v26
	v_fmac_f32_e32 v25, v21, v23
	v_mov_b32_e32 v22, v24
	v_mov_b32_e32 v21, v25
	ds_write_b64 v8, v[24:25]
.LBB71_660:
	s_or_b64 exec, exec, s[16:17]
	s_waitcnt lgkmcnt(0)
	s_barrier
	s_and_saveexec_b64 s[16:17], s[46:47]
	s_cbranch_execz .LBB71_662
; %bb.661:
	ds_read_b64 v[23:24], v7 offset:18720
	ds_read_b64 v[25:26], v8
	s_waitcnt lgkmcnt(0)
	v_mul_f32_e32 v27, v26, v24
	v_mul_f32_e32 v24, v25, v24
	v_fma_f32 v25, v25, v23, -v27
	v_fmac_f32_e32 v24, v26, v23
	v_add_f32_e32 v22, v22, v25
	v_add_f32_e32 v21, v21, v24
.LBB71_662:
	s_or_b64 exec, exec, s[16:17]
	s_barrier
	s_and_saveexec_b64 s[16:17], s[48:49]
	s_cbranch_execz .LBB71_664
; %bb.663:
	v_mov_b32_e32 v23, 0
	ds_read_b64 v[23:24], v23 offset:19240
	s_waitcnt lgkmcnt(0)
	v_mul_f32_e32 v26, v21, v24
	v_mul_f32_e32 v25, v22, v24
	v_fma_f32 v24, v22, v23, -v26
	v_fmac_f32_e32 v25, v21, v23
	v_mov_b32_e32 v22, v24
	v_mov_b32_e32 v21, v25
	ds_write_b64 v8, v[24:25]
.LBB71_664:
	s_or_b64 exec, exec, s[16:17]
	s_waitcnt lgkmcnt(0)
	s_barrier
	s_and_saveexec_b64 s[16:17], s[50:51]
	s_cbranch_execz .LBB71_666
; %bb.665:
	ds_read_b64 v[23:24], v7 offset:19232
	ds_read_b64 v[25:26], v8
	s_waitcnt lgkmcnt(0)
	v_mul_f32_e32 v27, v26, v24
	v_mul_f32_e32 v24, v25, v24
	v_fma_f32 v25, v25, v23, -v27
	v_fmac_f32_e32 v24, v26, v23
	v_add_f32_e32 v22, v22, v25
	v_add_f32_e32 v21, v21, v24
.LBB71_666:
	s_or_b64 exec, exec, s[16:17]
	s_barrier
	s_and_saveexec_b64 s[16:17], s[52:53]
	s_cbranch_execz .LBB71_668
; %bb.667:
	v_mov_b32_e32 v23, 0
	ds_read_b64 v[23:24], v23 offset:19760
	s_waitcnt lgkmcnt(0)
	v_mul_f32_e32 v26, v21, v24
	v_mul_f32_e32 v25, v22, v24
	v_fma_f32 v24, v22, v23, -v26
	v_fmac_f32_e32 v25, v21, v23
	v_mov_b32_e32 v22, v24
	v_mov_b32_e32 v21, v25
	ds_write_b64 v8, v[24:25]
.LBB71_668:
	s_or_b64 exec, exec, s[16:17]
	s_waitcnt lgkmcnt(0)
	s_barrier
	s_and_saveexec_b64 s[16:17], s[42:43]
	s_cbranch_execz .LBB71_670
; %bb.669:
	v_mov_b32_e32 v23, 0
	ds_read_b64 v[23:24], v23 offset:19768
	ds_read_b64 v[25:26], v8
	s_waitcnt lgkmcnt(0)
	v_mul_f32_e32 v27, v26, v24
	v_mul_f32_e32 v24, v25, v24
	v_fma_f32 v25, v25, v23, -v27
	v_fmac_f32_e32 v24, v26, v23
	v_add_f32_e32 v22, v22, v25
	v_add_f32_e32 v21, v21, v24
.LBB71_670:
	s_or_b64 exec, exec, s[16:17]
	s_barrier
	s_and_saveexec_b64 s[16:17], s[42:43]
	s_cbranch_execz .LBB71_672
; %bb.671:
	v_mov_b32_e32 v23, 0
	ds_read_b64 v[23:24], v23 offset:20280
	s_waitcnt lgkmcnt(0)
	v_mul_f32_e32 v26, v21, v24
	v_mul_f32_e32 v25, v22, v24
	v_fma_f32 v24, v22, v23, -v26
	v_fmac_f32_e32 v25, v21, v23
	v_mov_b32_e32 v22, v24
	v_mov_b32_e32 v21, v25
	ds_write_b64 v8, v[24:25]
.LBB71_672:
	s_or_b64 exec, exec, s[16:17]
	s_waitcnt lgkmcnt(0)
	s_barrier
	s_barrier
	s_and_saveexec_b64 s[16:17], s[10:11]
; %bb.673:
	v_xor_b32_e32 v22, 0x80000000, v22
	v_xor_b32_e32 v23, 0x80000000, v21
	ds_write_b64 v6, v[22:23] offset:16672
; %bb.674:
	s_or_b64 exec, exec, s[16:17]
	s_waitcnt lgkmcnt(0)
	s_barrier
	s_barrier
	s_and_saveexec_b64 s[16:17], s[54:55]
	s_cbranch_execz .LBB71_676
; %bb.675:
	v_lshlrev_b32_e32 v23, 9, v0
	ds_read_b64 v[21:22], v23 offset:16672
	s_movk_i32 s18, 0xfe08
	v_mad_i32_i24 v24, v0, s18, v23
	s_waitcnt lgkmcnt(0)
	ds_write_b64 v24, v[21:22] offset:18688
	ds_read_b64 v[21:22], v23 offset:16680
	s_waitcnt lgkmcnt(0)
	ds_write_b64 v24, v[21:22] offset:19200
	ds_read_b64 v[21:22], v23 offset:16688
	;; [unrolled: 3-line block ×3, first 2 shown]
	s_waitcnt lgkmcnt(0)
	ds_write_b64 v24, v[21:22] offset:20224
.LBB71_676:
	s_or_b64 exec, exec, s[16:17]
	s_waitcnt lgkmcnt(0)
	s_barrier
	s_and_saveexec_b64 s[16:17], vcc
	s_cbranch_execz .LBB71_678
; %bb.677:
	v_mov_b32_e32 v25, 0
	ds_read_b128 v[21:24], v25 offset:18720
	ds_read_b64 v[25:26], v25 offset:19240
	s_movk_i32 s18, 0x4800
	s_waitcnt lgkmcnt(0)
	v_mul_f32_e32 v27, v26, v22
	v_mul_f32_e32 v28, v25, v22
	v_fma_f32 v25, v25, v21, -v27
	v_fmac_f32_e32 v28, v26, v21
	v_mul_f32_e32 v21, v28, v24
	v_mul_f32_e32 v22, v25, v24
	v_fma_f32 v21, v25, v23, -v21
	v_fmac_f32_e32 v22, v28, v23
	v_add_u32_e64 v23, s18, 0
	ds_write2_b64 v23, v[21:22], v[21:22] offset0:37 offset1:100
.LBB71_678:
	s_or_b64 exec, exec, s[16:17]
	v_mov_b32_e32 v21, 0
	v_mov_b32_e32 v22, 0
	s_waitcnt lgkmcnt(0)
	s_barrier
	s_and_saveexec_b64 s[18:19], s[22:23]
	s_cbranch_execz .LBB71_682
; %bb.679:
	v_mul_u32_u24_e32 v23, 0x208, v5
	ds_read_b64 v[21:22], v3 offset:18736
	ds_read_b64 v[23:24], v23 offset:18720
	v_cmp_gt_u32_e64 s[16:17], 2, v1
	s_waitcnt lgkmcnt(0)
	v_mul_f32_e32 v25, v24, v22
	v_mul_f32_e32 v22, v23, v22
	v_fma_f32 v23, v23, v21, -v25
	v_fmac_f32_e32 v22, v24, v21
	v_add_f32_e32 v21, 0, v23
	v_add_f32_e32 v23, 0, v22
	s_and_saveexec_b64 s[20:21], s[16:17]
	s_cbranch_execz .LBB71_681
; %bb.680:
	v_lshlrev_b32_e32 v22, 3, v0
	v_mov_b32_e32 v26, 0
	ds_read_b64 v[24:25], v22 offset:19248
	ds_read_b64 v[26:27], v26 offset:18728
	s_waitcnt lgkmcnt(0)
	v_mul_f32_e32 v22, v27, v25
	v_mul_f32_e32 v25, v26, v25
	v_fma_f32 v22, v26, v24, -v22
	v_fmac_f32_e32 v25, v27, v24
	v_add_f32_e32 v21, v21, v22
	v_add_f32_e32 v23, v23, v25
.LBB71_681:
	s_or_b64 exec, exec, s[20:21]
	v_xor_b32_e32 v22, 0x80000000, v21
	v_xor_b32_e32 v21, 0x80000000, v23
.LBB71_682:
	s_or_b64 exec, exec, s[18:19]
	s_and_saveexec_b64 s[16:17], s[38:39]
	s_cbranch_execz .LBB71_684
; %bb.683:
	v_mov_b32_e32 v23, 0
	ds_read_b64 v[23:24], v23 offset:19760
	s_waitcnt lgkmcnt(0)
	v_mul_f32_e32 v26, v21, v24
	v_mul_f32_e32 v25, v22, v24
	v_fma_f32 v24, v22, v23, -v26
	v_fmac_f32_e32 v25, v21, v23
	v_mov_b32_e32 v22, v24
	v_mov_b32_e32 v21, v25
	ds_write_b64 v4, v[24:25]
.LBB71_684:
	s_or_b64 exec, exec, s[16:17]
	s_waitcnt lgkmcnt(0)
	s_barrier
	s_and_saveexec_b64 s[16:17], s[30:31]
	s_cbranch_execz .LBB71_686
; %bb.685:
	v_mov_b32_e32 v23, 0
	ds_read_b64 v[23:24], v23 offset:19768
	ds_read_b64 v[25:26], v4
	s_waitcnt lgkmcnt(0)
	v_mul_f32_e32 v27, v26, v24
	v_mul_f32_e32 v24, v25, v24
	v_fma_f32 v25, v25, v23, -v27
	v_fmac_f32_e32 v24, v26, v23
	v_add_f32_e32 v22, v22, v25
	v_add_f32_e32 v21, v21, v24
.LBB71_686:
	s_or_b64 exec, exec, s[16:17]
	s_barrier
	s_and_saveexec_b64 s[16:17], s[30:31]
	s_cbranch_execz .LBB71_688
; %bb.687:
	v_mov_b32_e32 v23, 0
	ds_read_b64 v[23:24], v23 offset:20280
	s_waitcnt lgkmcnt(0)
	v_mul_f32_e32 v26, v21, v24
	v_mul_f32_e32 v25, v22, v24
	v_fma_f32 v24, v22, v23, -v26
	v_fmac_f32_e32 v25, v21, v23
	v_mov_b32_e32 v22, v24
	v_mov_b32_e32 v21, v25
	ds_write_b64 v4, v[24:25]
.LBB71_688:
	s_or_b64 exec, exec, s[16:17]
	s_waitcnt lgkmcnt(0)
	s_barrier
	s_barrier
	s_and_saveexec_b64 s[16:17], s[22:23]
; %bb.689:
	v_xor_b32_e32 v23, 0x80000000, v21
	v_xor_b32_e32 v22, 0x80000000, v22
	ds_write_b64 v3, v[22:23] offset:18736
; %bb.690:
	s_or_b64 exec, exec, s[16:17]
	s_waitcnt lgkmcnt(0)
	s_barrier
	s_barrier
	s_and_saveexec_b64 s[16:17], s[40:41]
	s_cbranch_execz .LBB71_692
; %bb.691:
	v_lshlrev_b32_e32 v23, 3, v0
	s_movk_i32 s18, 0x1f8
	v_mad_u32_u24 v24, v0, s18, v23
	ds_read_b64 v[21:22], v24 offset:18736
	s_waitcnt lgkmcnt(0)
	ds_write_b64 v23, v[21:22] offset:19744
	ds_read_b64 v[21:22], v24 offset:18744
	s_waitcnt lgkmcnt(0)
	ds_write_b64 v23, v[21:22] offset:20256
.LBB71_692:
	s_or_b64 exec, exec, s[16:17]
	s_waitcnt lgkmcnt(0)
	s_barrier
	s_and_saveexec_b64 s[16:17], vcc
	s_cbranch_execz .LBB71_694
; %bb.693:
	v_mov_b32_e32 v25, 0
	ds_read_b128 v[21:24], v25 offset:19760
	ds_read_b64 v[25:26], v25 offset:20280
	s_movk_i32 s18, 0x4800
	s_waitcnt lgkmcnt(0)
	v_mul_f32_e32 v27, v26, v22
	v_mul_f32_e32 v28, v25, v22
	v_fma_f32 v25, v25, v21, -v27
	v_fmac_f32_e32 v28, v26, v21
	v_mul_f32_e32 v21, v28, v24
	v_mul_f32_e32 v22, v25, v24
	v_fma_f32 v21, v25, v23, -v21
	v_fmac_f32_e32 v22, v28, v23
	v_add_u32_e64 v23, s18, 0
	ds_write2_b64 v23, v[21:22], v[21:22] offset0:167 offset1:230
.LBB71_694:
	s_or_b64 exec, exec, s[16:17]
	v_mov_b32_e32 v21, 0
	v_mov_b32_e32 v22, 0
	s_waitcnt lgkmcnt(0)
	s_barrier
	s_and_saveexec_b64 s[18:19], s[12:13]
	s_cbranch_execz .LBB71_704
; %bb.695:
	v_mul_u32_u24_e32 v22, 0x208, v15
	ds_read_b64 v[23:24], v11 offset:16704
	ds_read_b64 v[25:26], v22 offset:16640
	v_cmp_gt_u32_e64 s[16:17], 56, v1
	s_waitcnt lgkmcnt(0)
	v_mul_f32_e32 v21, v26, v24
	v_mul_f32_e32 v24, v25, v24
	v_fma_f32 v21, v25, v23, -v21
	v_fmac_f32_e32 v24, v26, v23
	v_add_f32_e32 v21, 0, v21
	v_add_f32_e32 v23, 0, v24
	s_and_saveexec_b64 s[20:21], s[16:17]
	s_cbranch_execnz .LBB71_1144
; %bb.696:
	s_or_b64 exec, exec, s[20:21]
	v_cmp_gt_u32_e64 s[16:17], 48, v1
	s_and_saveexec_b64 s[20:21], s[16:17]
	s_cbranch_execnz .LBB71_1145
.LBB71_697:
	s_or_b64 exec, exec, s[20:21]
	v_cmp_gt_u32_e64 s[16:17], 40, v1
	s_and_saveexec_b64 s[20:21], s[16:17]
	s_cbranch_execnz .LBB71_1146
.LBB71_698:
	s_or_b64 exec, exec, s[20:21]
	v_cmp_gt_u32_e64 s[16:17], 32, v1
	s_and_saveexec_b64 s[20:21], s[16:17]
	s_cbranch_execnz .LBB71_1147
.LBB71_699:
	s_or_b64 exec, exec, s[20:21]
	v_cmp_gt_u32_e64 s[16:17], 24, v1
	s_and_saveexec_b64 s[20:21], s[16:17]
	s_cbranch_execnz .LBB71_1148
.LBB71_700:
	s_or_b64 exec, exec, s[20:21]
	v_cmp_gt_u32_e64 s[16:17], 16, v1
	s_and_saveexec_b64 s[20:21], s[16:17]
	s_cbranch_execnz .LBB71_1149
.LBB71_701:
	s_or_b64 exec, exec, s[20:21]
	v_cmp_gt_u32_e64 s[16:17], 8, v1
	s_and_saveexec_b64 s[20:21], s[16:17]
	s_cbranch_execz .LBB71_703
.LBB71_702:
	v_lshlrev_b32_e32 v22, 3, v0
	v_mov_b32_e32 v26, 0
	ds_read_b64 v[24:25], v22 offset:20288
	ds_read_b64 v[26:27], v26 offset:16696
	s_waitcnt lgkmcnt(0)
	v_mul_f32_e32 v22, v27, v25
	v_mul_f32_e32 v25, v26, v25
	v_fma_f32 v22, v26, v24, -v22
	v_fmac_f32_e32 v25, v27, v24
	v_add_f32_e32 v21, v21, v22
	v_add_f32_e32 v23, v23, v25
.LBB71_703:
	s_or_b64 exec, exec, s[20:21]
	v_xor_b32_e32 v22, 0x80000000, v21
	v_xor_b32_e32 v21, 0x80000000, v23
.LBB71_704:
	s_or_b64 exec, exec, s[18:19]
	s_and_saveexec_b64 s[16:17], s[58:59]
	s_cbranch_execz .LBB71_706
; %bb.705:
	v_mov_b32_e32 v23, 0
	ds_read_b64 v[23:24], v23 offset:20800
	s_waitcnt lgkmcnt(0)
	v_mul_f32_e32 v26, v21, v24
	v_mul_f32_e32 v25, v22, v24
	v_fma_f32 v24, v22, v23, -v26
	v_fmac_f32_e32 v25, v21, v23
	v_mov_b32_e32 v22, v24
	v_mov_b32_e32 v21, v25
	ds_write_b64 v13, v[24:25]
.LBB71_706:
	s_or_b64 exec, exec, s[16:17]
	s_waitcnt lgkmcnt(0)
	s_barrier
	s_and_saveexec_b64 s[16:17], s[60:61]
	s_cbranch_execz .LBB71_708
; %bb.707:
	ds_read_b64 v[23:24], v12 offset:20800
	ds_read_b64 v[25:26], v13
	s_waitcnt lgkmcnt(0)
	v_mul_f32_e32 v27, v26, v24
	v_mul_f32_e32 v24, v25, v24
	v_fma_f32 v25, v25, v23, -v27
	v_fmac_f32_e32 v24, v26, v23
	v_add_f32_e32 v22, v22, v25
	v_add_f32_e32 v21, v21, v24
.LBB71_708:
	s_or_b64 exec, exec, s[16:17]
	s_barrier
	s_and_saveexec_b64 s[16:17], s[62:63]
	s_cbranch_execz .LBB71_710
; %bb.709:
	v_mov_b32_e32 v23, 0
	ds_read_b64 v[23:24], v23 offset:21320
	s_waitcnt lgkmcnt(0)
	v_mul_f32_e32 v26, v21, v24
	v_mul_f32_e32 v25, v22, v24
	v_fma_f32 v24, v22, v23, -v26
	v_fmac_f32_e32 v25, v21, v23
	v_mov_b32_e32 v22, v24
	v_mov_b32_e32 v21, v25
	ds_write_b64 v13, v[24:25]
.LBB71_710:
	s_or_b64 exec, exec, s[16:17]
	s_waitcnt lgkmcnt(0)
	s_barrier
	s_and_saveexec_b64 s[16:17], s[64:65]
	s_cbranch_execz .LBB71_712
; %bb.711:
	ds_read_b64 v[23:24], v12 offset:21312
	ds_read_b64 v[25:26], v13
	s_waitcnt lgkmcnt(0)
	v_mul_f32_e32 v27, v26, v24
	v_mul_f32_e32 v24, v25, v24
	v_fma_f32 v25, v25, v23, -v27
	v_fmac_f32_e32 v24, v26, v23
	v_add_f32_e32 v22, v22, v25
	v_add_f32_e32 v21, v21, v24
.LBB71_712:
	s_or_b64 exec, exec, s[16:17]
	s_barrier
	;; [unrolled: 32-line block ×6, first 2 shown]
	s_and_saveexec_b64 s[16:17], s[82:83]
	s_cbranch_execz .LBB71_730
; %bb.729:
	v_mov_b32_e32 v23, 0
	ds_read_b64 v[23:24], v23 offset:23920
	s_waitcnt lgkmcnt(0)
	v_mul_f32_e32 v26, v21, v24
	v_mul_f32_e32 v25, v22, v24
	v_fma_f32 v24, v22, v23, -v26
	v_fmac_f32_e32 v25, v21, v23
	v_mov_b32_e32 v22, v24
	v_mov_b32_e32 v21, v25
	ds_write_b64 v13, v[24:25]
.LBB71_730:
	s_or_b64 exec, exec, s[16:17]
	s_waitcnt lgkmcnt(0)
	s_barrier
	s_and_saveexec_b64 s[16:17], s[56:57]
	s_cbranch_execz .LBB71_732
; %bb.731:
	v_mov_b32_e32 v23, 0
	ds_read_b64 v[23:24], v23 offset:23928
	ds_read_b64 v[25:26], v13
	s_waitcnt lgkmcnt(0)
	v_mul_f32_e32 v27, v26, v24
	v_mul_f32_e32 v24, v25, v24
	v_fma_f32 v25, v25, v23, -v27
	v_fmac_f32_e32 v24, v26, v23
	v_add_f32_e32 v22, v22, v25
	v_add_f32_e32 v21, v21, v24
.LBB71_732:
	s_or_b64 exec, exec, s[16:17]
	s_barrier
	s_and_saveexec_b64 s[16:17], s[56:57]
	s_cbranch_execz .LBB71_734
; %bb.733:
	v_mov_b32_e32 v23, 0
	ds_read_b64 v[23:24], v23 offset:24440
	s_waitcnt lgkmcnt(0)
	v_mul_f32_e32 v26, v21, v24
	v_mul_f32_e32 v25, v22, v24
	v_fma_f32 v24, v22, v23, -v26
	v_fmac_f32_e32 v25, v21, v23
	v_mov_b32_e32 v22, v24
	v_mov_b32_e32 v21, v25
	ds_write_b64 v13, v[24:25]
.LBB71_734:
	s_or_b64 exec, exec, s[16:17]
	s_waitcnt lgkmcnt(0)
	s_barrier
	s_barrier
	s_and_saveexec_b64 s[16:17], s[12:13]
; %bb.735:
	v_xor_b32_e32 v23, 0x80000000, v21
	v_xor_b32_e32 v22, 0x80000000, v22
	ds_write_b64 v11, v[22:23] offset:16704
; %bb.736:
	s_or_b64 exec, exec, s[16:17]
	s_waitcnt lgkmcnt(0)
	s_barrier
	s_barrier
	s_and_saveexec_b64 s[16:17], s[84:85]
	s_cbranch_execz .LBB71_738
; %bb.737:
	v_lshlrev_b32_e32 v23, 9, v0
	ds_read_b64 v[21:22], v23 offset:16704
	s_movk_i32 s18, 0xfe08
	v_mad_i32_i24 v24, v0, s18, v23
	s_waitcnt lgkmcnt(0)
	ds_write_b64 v24, v[21:22] offset:20736
	ds_read_b64 v[21:22], v23 offset:16712
	s_waitcnt lgkmcnt(0)
	ds_write_b64 v24, v[21:22] offset:21248
	ds_read_b64 v[21:22], v23 offset:16720
	;; [unrolled: 3-line block ×7, first 2 shown]
	s_waitcnt lgkmcnt(0)
	ds_write_b64 v24, v[21:22] offset:24320
.LBB71_738:
	s_or_b64 exec, exec, s[16:17]
	s_waitcnt lgkmcnt(0)
	s_barrier
	s_and_saveexec_b64 s[16:17], vcc
	s_cbranch_execz .LBB71_740
; %bb.739:
	v_mov_b32_e32 v25, 0
	ds_read_b128 v[21:24], v25 offset:20800
	ds_read_b64 v[25:26], v25 offset:21320
	s_movk_i32 s18, 0x5000
	s_waitcnt lgkmcnt(0)
	v_mul_f32_e32 v27, v26, v22
	v_mul_f32_e32 v28, v25, v22
	v_fma_f32 v25, v25, v21, -v27
	v_fmac_f32_e32 v28, v26, v21
	v_mul_f32_e32 v21, v28, v24
	v_mul_f32_e32 v22, v25, v24
	v_fma_f32 v21, v25, v23, -v21
	v_fmac_f32_e32 v22, v28, v23
	v_add_u32_e64 v23, s18, 0
	ds_write2_b64 v23, v[21:22], v[21:22] offset0:41 offset1:104
.LBB71_740:
	s_or_b64 exec, exec, s[16:17]
	v_mov_b32_e32 v21, 0
	v_mov_b32_e32 v22, 0
	s_waitcnt lgkmcnt(0)
	s_barrier
	s_and_saveexec_b64 s[18:19], s[22:23]
	s_cbranch_execz .LBB71_744
; %bb.741:
	v_mul_u32_u24_e32 v23, 0x208, v5
	ds_read_b64 v[21:22], v3 offset:20816
	ds_read_b64 v[23:24], v23 offset:20800
	v_cmp_gt_u32_e64 s[16:17], 2, v1
	s_waitcnt lgkmcnt(0)
	v_mul_f32_e32 v25, v24, v22
	v_mul_f32_e32 v22, v23, v22
	v_fma_f32 v23, v23, v21, -v25
	v_fmac_f32_e32 v22, v24, v21
	v_add_f32_e32 v21, 0, v23
	v_add_f32_e32 v23, 0, v22
	s_and_saveexec_b64 s[20:21], s[16:17]
	s_cbranch_execz .LBB71_743
; %bb.742:
	v_lshlrev_b32_e32 v22, 3, v0
	v_mov_b32_e32 v26, 0
	ds_read_b64 v[24:25], v22 offset:21328
	ds_read_b64 v[26:27], v26 offset:20808
	s_waitcnt lgkmcnt(0)
	v_mul_f32_e32 v22, v27, v25
	v_mul_f32_e32 v25, v26, v25
	v_fma_f32 v22, v26, v24, -v22
	v_fmac_f32_e32 v25, v27, v24
	v_add_f32_e32 v21, v21, v22
	v_add_f32_e32 v23, v23, v25
.LBB71_743:
	s_or_b64 exec, exec, s[20:21]
	v_xor_b32_e32 v22, 0x80000000, v21
	v_xor_b32_e32 v21, 0x80000000, v23
.LBB71_744:
	s_or_b64 exec, exec, s[18:19]
	s_and_saveexec_b64 s[16:17], s[38:39]
	s_cbranch_execz .LBB71_746
; %bb.745:
	v_mov_b32_e32 v23, 0
	ds_read_b64 v[23:24], v23 offset:21840
	s_waitcnt lgkmcnt(0)
	v_mul_f32_e32 v26, v21, v24
	v_mul_f32_e32 v25, v22, v24
	v_fma_f32 v24, v22, v23, -v26
	v_fmac_f32_e32 v25, v21, v23
	v_mov_b32_e32 v22, v24
	v_mov_b32_e32 v21, v25
	ds_write_b64 v4, v[24:25]
.LBB71_746:
	s_or_b64 exec, exec, s[16:17]
	s_waitcnt lgkmcnt(0)
	s_barrier
	s_and_saveexec_b64 s[16:17], s[30:31]
	s_cbranch_execz .LBB71_748
; %bb.747:
	v_mov_b32_e32 v23, 0
	ds_read_b64 v[23:24], v23 offset:21848
	ds_read_b64 v[25:26], v4
	s_waitcnt lgkmcnt(0)
	v_mul_f32_e32 v27, v26, v24
	v_mul_f32_e32 v24, v25, v24
	v_fma_f32 v25, v25, v23, -v27
	v_fmac_f32_e32 v24, v26, v23
	v_add_f32_e32 v22, v22, v25
	v_add_f32_e32 v21, v21, v24
.LBB71_748:
	s_or_b64 exec, exec, s[16:17]
	s_barrier
	s_and_saveexec_b64 s[16:17], s[30:31]
	s_cbranch_execz .LBB71_750
; %bb.749:
	v_mov_b32_e32 v23, 0
	ds_read_b64 v[23:24], v23 offset:22360
	s_waitcnt lgkmcnt(0)
	v_mul_f32_e32 v26, v21, v24
	v_mul_f32_e32 v25, v22, v24
	v_fma_f32 v24, v22, v23, -v26
	v_fmac_f32_e32 v25, v21, v23
	v_mov_b32_e32 v22, v24
	v_mov_b32_e32 v21, v25
	ds_write_b64 v4, v[24:25]
.LBB71_750:
	s_or_b64 exec, exec, s[16:17]
	s_waitcnt lgkmcnt(0)
	s_barrier
	s_barrier
	s_and_saveexec_b64 s[16:17], s[22:23]
; %bb.751:
	v_xor_b32_e32 v23, 0x80000000, v21
	v_xor_b32_e32 v22, 0x80000000, v22
	ds_write_b64 v3, v[22:23] offset:20816
; %bb.752:
	s_or_b64 exec, exec, s[16:17]
	s_waitcnt lgkmcnt(0)
	s_barrier
	s_barrier
	s_and_saveexec_b64 s[16:17], s[40:41]
	s_cbranch_execz .LBB71_754
; %bb.753:
	v_lshlrev_b32_e32 v23, 3, v0
	s_movk_i32 s18, 0x1f8
	v_mad_u32_u24 v24, v0, s18, v23
	ds_read_b64 v[21:22], v24 offset:20816
	s_waitcnt lgkmcnt(0)
	ds_write_b64 v23, v[21:22] offset:21824
	ds_read_b64 v[21:22], v24 offset:20824
	s_waitcnt lgkmcnt(0)
	ds_write_b64 v23, v[21:22] offset:22336
.LBB71_754:
	s_or_b64 exec, exec, s[16:17]
	s_waitcnt lgkmcnt(0)
	s_barrier
	s_and_saveexec_b64 s[16:17], vcc
	s_cbranch_execz .LBB71_756
; %bb.755:
	v_mov_b32_e32 v25, 0
	ds_read_b128 v[21:24], v25 offset:21840
	ds_read_b64 v[25:26], v25 offset:22360
	s_movk_i32 s18, 0x5000
	s_waitcnt lgkmcnt(0)
	v_mul_f32_e32 v27, v26, v22
	v_mul_f32_e32 v28, v25, v22
	v_fma_f32 v25, v25, v21, -v27
	v_fmac_f32_e32 v28, v26, v21
	v_mul_f32_e32 v21, v28, v24
	v_mul_f32_e32 v22, v25, v24
	v_fma_f32 v21, v25, v23, -v21
	v_fmac_f32_e32 v22, v28, v23
	v_add_u32_e64 v23, s18, 0
	ds_write2_b64 v23, v[21:22], v[21:22] offset0:171 offset1:234
.LBB71_756:
	s_or_b64 exec, exec, s[16:17]
	v_mov_b32_e32 v21, 0
	v_mov_b32_e32 v22, 0
	s_waitcnt lgkmcnt(0)
	s_barrier
	s_and_saveexec_b64 s[18:19], s[10:11]
	s_cbranch_execz .LBB71_762
; %bb.757:
	v_mul_u32_u24_e32 v22, 0x208, v10
	ds_read_b64 v[23:24], v6 offset:20832
	ds_read_b64 v[25:26], v22 offset:20800
	v_cmp_gt_u32_e64 s[16:17], 12, v1
	s_waitcnt lgkmcnt(0)
	v_mul_f32_e32 v21, v26, v24
	v_mul_f32_e32 v24, v25, v24
	v_fma_f32 v21, v25, v23, -v21
	v_fmac_f32_e32 v24, v26, v23
	v_add_f32_e32 v21, 0, v21
	v_add_f32_e32 v23, 0, v24
	s_and_saveexec_b64 s[20:21], s[16:17]
	s_cbranch_execnz .LBB71_1150
; %bb.758:
	s_or_b64 exec, exec, s[20:21]
	v_cmp_gt_u32_e64 s[16:17], 8, v1
	s_and_saveexec_b64 s[20:21], s[16:17]
	s_cbranch_execnz .LBB71_1151
.LBB71_759:
	s_or_b64 exec, exec, s[20:21]
	v_cmp_gt_u32_e64 s[16:17], 4, v1
	s_and_saveexec_b64 s[20:21], s[16:17]
	s_cbranch_execz .LBB71_761
.LBB71_760:
	v_lshlrev_b32_e32 v22, 3, v0
	v_mov_b32_e32 v26, 0
	ds_read_b64 v[24:25], v22 offset:22368
	ds_read_b64 v[26:27], v26 offset:20824
	s_waitcnt lgkmcnt(0)
	v_mul_f32_e32 v22, v27, v25
	v_mul_f32_e32 v25, v26, v25
	v_fma_f32 v22, v26, v24, -v22
	v_fmac_f32_e32 v25, v27, v24
	v_add_f32_e32 v21, v21, v22
	v_add_f32_e32 v23, v23, v25
.LBB71_761:
	s_or_b64 exec, exec, s[20:21]
	v_xor_b32_e32 v22, 0x80000000, v21
	v_xor_b32_e32 v21, 0x80000000, v23
.LBB71_762:
	s_or_b64 exec, exec, s[18:19]
	s_and_saveexec_b64 s[16:17], s[44:45]
	s_cbranch_execz .LBB71_764
; %bb.763:
	v_mov_b32_e32 v23, 0
	ds_read_b64 v[23:24], v23 offset:22880
	s_waitcnt lgkmcnt(0)
	v_mul_f32_e32 v26, v21, v24
	v_mul_f32_e32 v25, v22, v24
	v_fma_f32 v24, v22, v23, -v26
	v_fmac_f32_e32 v25, v21, v23
	v_mov_b32_e32 v22, v24
	v_mov_b32_e32 v21, v25
	ds_write_b64 v8, v[24:25]
.LBB71_764:
	s_or_b64 exec, exec, s[16:17]
	s_waitcnt lgkmcnt(0)
	s_barrier
	s_and_saveexec_b64 s[16:17], s[46:47]
	s_cbranch_execz .LBB71_766
; %bb.765:
	ds_read_b64 v[23:24], v7 offset:22880
	ds_read_b64 v[25:26], v8
	s_waitcnt lgkmcnt(0)
	v_mul_f32_e32 v27, v26, v24
	v_mul_f32_e32 v24, v25, v24
	v_fma_f32 v25, v25, v23, -v27
	v_fmac_f32_e32 v24, v26, v23
	v_add_f32_e32 v22, v22, v25
	v_add_f32_e32 v21, v21, v24
.LBB71_766:
	s_or_b64 exec, exec, s[16:17]
	s_barrier
	s_and_saveexec_b64 s[16:17], s[48:49]
	s_cbranch_execz .LBB71_768
; %bb.767:
	v_mov_b32_e32 v23, 0
	ds_read_b64 v[23:24], v23 offset:23400
	s_waitcnt lgkmcnt(0)
	v_mul_f32_e32 v26, v21, v24
	v_mul_f32_e32 v25, v22, v24
	v_fma_f32 v24, v22, v23, -v26
	v_fmac_f32_e32 v25, v21, v23
	v_mov_b32_e32 v22, v24
	v_mov_b32_e32 v21, v25
	ds_write_b64 v8, v[24:25]
.LBB71_768:
	s_or_b64 exec, exec, s[16:17]
	s_waitcnt lgkmcnt(0)
	s_barrier
	s_and_saveexec_b64 s[16:17], s[50:51]
	s_cbranch_execz .LBB71_770
; %bb.769:
	ds_read_b64 v[23:24], v7 offset:23392
	ds_read_b64 v[25:26], v8
	s_waitcnt lgkmcnt(0)
	v_mul_f32_e32 v27, v26, v24
	v_mul_f32_e32 v24, v25, v24
	v_fma_f32 v25, v25, v23, -v27
	v_fmac_f32_e32 v24, v26, v23
	v_add_f32_e32 v22, v22, v25
	v_add_f32_e32 v21, v21, v24
.LBB71_770:
	s_or_b64 exec, exec, s[16:17]
	s_barrier
	s_and_saveexec_b64 s[16:17], s[52:53]
	s_cbranch_execz .LBB71_772
; %bb.771:
	v_mov_b32_e32 v23, 0
	ds_read_b64 v[23:24], v23 offset:23920
	s_waitcnt lgkmcnt(0)
	v_mul_f32_e32 v26, v21, v24
	v_mul_f32_e32 v25, v22, v24
	v_fma_f32 v24, v22, v23, -v26
	v_fmac_f32_e32 v25, v21, v23
	v_mov_b32_e32 v22, v24
	v_mov_b32_e32 v21, v25
	ds_write_b64 v8, v[24:25]
.LBB71_772:
	s_or_b64 exec, exec, s[16:17]
	s_waitcnt lgkmcnt(0)
	s_barrier
	s_and_saveexec_b64 s[16:17], s[42:43]
	s_cbranch_execz .LBB71_774
; %bb.773:
	v_mov_b32_e32 v23, 0
	ds_read_b64 v[23:24], v23 offset:23928
	ds_read_b64 v[25:26], v8
	s_waitcnt lgkmcnt(0)
	v_mul_f32_e32 v27, v26, v24
	v_mul_f32_e32 v24, v25, v24
	v_fma_f32 v25, v25, v23, -v27
	v_fmac_f32_e32 v24, v26, v23
	v_add_f32_e32 v22, v22, v25
	v_add_f32_e32 v21, v21, v24
.LBB71_774:
	s_or_b64 exec, exec, s[16:17]
	s_barrier
	s_and_saveexec_b64 s[16:17], s[42:43]
	s_cbranch_execz .LBB71_776
; %bb.775:
	v_mov_b32_e32 v23, 0
	ds_read_b64 v[23:24], v23 offset:24440
	s_waitcnt lgkmcnt(0)
	v_mul_f32_e32 v26, v21, v24
	v_mul_f32_e32 v25, v22, v24
	v_fma_f32 v24, v22, v23, -v26
	v_fmac_f32_e32 v25, v21, v23
	v_mov_b32_e32 v22, v24
	v_mov_b32_e32 v21, v25
	ds_write_b64 v8, v[24:25]
.LBB71_776:
	s_or_b64 exec, exec, s[16:17]
	s_waitcnt lgkmcnt(0)
	s_barrier
	s_barrier
	s_and_saveexec_b64 s[16:17], s[10:11]
; %bb.777:
	v_xor_b32_e32 v22, 0x80000000, v22
	v_xor_b32_e32 v23, 0x80000000, v21
	ds_write_b64 v6, v[22:23] offset:20832
; %bb.778:
	s_or_b64 exec, exec, s[16:17]
	s_waitcnt lgkmcnt(0)
	s_barrier
	s_barrier
	s_and_saveexec_b64 s[16:17], s[54:55]
	s_cbranch_execz .LBB71_780
; %bb.779:
	v_lshlrev_b32_e32 v23, 9, v0
	ds_read_b64 v[21:22], v23 offset:20832
	s_movk_i32 s18, 0xfe08
	v_mad_i32_i24 v24, v0, s18, v23
	s_waitcnt lgkmcnt(0)
	ds_write_b64 v24, v[21:22] offset:22848
	ds_read_b64 v[21:22], v23 offset:20840
	s_waitcnt lgkmcnt(0)
	ds_write_b64 v24, v[21:22] offset:23360
	ds_read_b64 v[21:22], v23 offset:20848
	;; [unrolled: 3-line block ×3, first 2 shown]
	s_waitcnt lgkmcnt(0)
	ds_write_b64 v24, v[21:22] offset:24384
.LBB71_780:
	s_or_b64 exec, exec, s[16:17]
	s_waitcnt lgkmcnt(0)
	s_barrier
	s_and_saveexec_b64 s[16:17], vcc
	s_cbranch_execz .LBB71_782
; %bb.781:
	v_mov_b32_e32 v25, 0
	ds_read_b128 v[21:24], v25 offset:22880
	ds_read_b64 v[25:26], v25 offset:23400
	s_movk_i32 s18, 0x5800
	s_waitcnt lgkmcnt(0)
	v_mul_f32_e32 v27, v26, v22
	v_mul_f32_e32 v28, v25, v22
	v_fma_f32 v25, v25, v21, -v27
	v_fmac_f32_e32 v28, v26, v21
	v_mul_f32_e32 v21, v28, v24
	v_mul_f32_e32 v22, v25, v24
	v_fma_f32 v21, v25, v23, -v21
	v_fmac_f32_e32 v22, v28, v23
	v_add_u32_e64 v23, s18, 0
	ds_write2_b64 v23, v[21:22], v[21:22] offset0:45 offset1:108
.LBB71_782:
	s_or_b64 exec, exec, s[16:17]
	v_mov_b32_e32 v21, 0
	v_mov_b32_e32 v22, 0
	s_waitcnt lgkmcnt(0)
	s_barrier
	s_and_saveexec_b64 s[18:19], s[22:23]
	s_cbranch_execz .LBB71_786
; %bb.783:
	v_mul_u32_u24_e32 v23, 0x208, v5
	ds_read_b64 v[21:22], v3 offset:22896
	ds_read_b64 v[23:24], v23 offset:22880
	v_cmp_gt_u32_e64 s[16:17], 2, v1
	s_waitcnt lgkmcnt(0)
	v_mul_f32_e32 v25, v24, v22
	v_mul_f32_e32 v22, v23, v22
	v_fma_f32 v23, v23, v21, -v25
	v_fmac_f32_e32 v22, v24, v21
	v_add_f32_e32 v21, 0, v23
	v_add_f32_e32 v23, 0, v22
	s_and_saveexec_b64 s[20:21], s[16:17]
	s_cbranch_execz .LBB71_785
; %bb.784:
	v_lshlrev_b32_e32 v22, 3, v0
	v_mov_b32_e32 v26, 0
	ds_read_b64 v[24:25], v22 offset:23408
	ds_read_b64 v[26:27], v26 offset:22888
	s_waitcnt lgkmcnt(0)
	v_mul_f32_e32 v22, v27, v25
	v_mul_f32_e32 v25, v26, v25
	v_fma_f32 v22, v26, v24, -v22
	v_fmac_f32_e32 v25, v27, v24
	v_add_f32_e32 v21, v21, v22
	v_add_f32_e32 v23, v23, v25
.LBB71_785:
	s_or_b64 exec, exec, s[20:21]
	v_xor_b32_e32 v22, 0x80000000, v21
	v_xor_b32_e32 v21, 0x80000000, v23
.LBB71_786:
	s_or_b64 exec, exec, s[18:19]
	s_and_saveexec_b64 s[16:17], s[38:39]
	s_cbranch_execz .LBB71_788
; %bb.787:
	v_mov_b32_e32 v23, 0
	ds_read_b64 v[23:24], v23 offset:23920
	s_waitcnt lgkmcnt(0)
	v_mul_f32_e32 v26, v21, v24
	v_mul_f32_e32 v25, v22, v24
	v_fma_f32 v24, v22, v23, -v26
	v_fmac_f32_e32 v25, v21, v23
	v_mov_b32_e32 v22, v24
	v_mov_b32_e32 v21, v25
	ds_write_b64 v4, v[24:25]
.LBB71_788:
	s_or_b64 exec, exec, s[16:17]
	s_waitcnt lgkmcnt(0)
	s_barrier
	s_and_saveexec_b64 s[16:17], s[30:31]
	s_cbranch_execz .LBB71_790
; %bb.789:
	v_mov_b32_e32 v23, 0
	ds_read_b64 v[23:24], v23 offset:23928
	ds_read_b64 v[25:26], v4
	s_waitcnt lgkmcnt(0)
	v_mul_f32_e32 v27, v26, v24
	v_mul_f32_e32 v24, v25, v24
	v_fma_f32 v25, v25, v23, -v27
	v_fmac_f32_e32 v24, v26, v23
	v_add_f32_e32 v22, v22, v25
	v_add_f32_e32 v21, v21, v24
.LBB71_790:
	s_or_b64 exec, exec, s[16:17]
	s_barrier
	s_and_saveexec_b64 s[16:17], s[30:31]
	s_cbranch_execz .LBB71_792
; %bb.791:
	v_mov_b32_e32 v23, 0
	ds_read_b64 v[23:24], v23 offset:24440
	s_waitcnt lgkmcnt(0)
	v_mul_f32_e32 v26, v21, v24
	v_mul_f32_e32 v25, v22, v24
	v_fma_f32 v24, v22, v23, -v26
	v_fmac_f32_e32 v25, v21, v23
	v_mov_b32_e32 v22, v24
	v_mov_b32_e32 v21, v25
	ds_write_b64 v4, v[24:25]
.LBB71_792:
	s_or_b64 exec, exec, s[16:17]
	s_waitcnt lgkmcnt(0)
	s_barrier
	s_barrier
	s_and_saveexec_b64 s[16:17], s[22:23]
; %bb.793:
	v_xor_b32_e32 v23, 0x80000000, v21
	v_xor_b32_e32 v22, 0x80000000, v22
	ds_write_b64 v3, v[22:23] offset:22896
; %bb.794:
	s_or_b64 exec, exec, s[16:17]
	s_waitcnt lgkmcnt(0)
	s_barrier
	s_barrier
	s_and_saveexec_b64 s[16:17], s[40:41]
	s_cbranch_execz .LBB71_796
; %bb.795:
	v_lshlrev_b32_e32 v23, 3, v0
	s_movk_i32 s18, 0x1f8
	v_mad_u32_u24 v24, v0, s18, v23
	ds_read_b64 v[21:22], v24 offset:22896
	s_waitcnt lgkmcnt(0)
	ds_write_b64 v23, v[21:22] offset:23904
	ds_read_b64 v[21:22], v24 offset:22904
	s_waitcnt lgkmcnt(0)
	ds_write_b64 v23, v[21:22] offset:24416
.LBB71_796:
	s_or_b64 exec, exec, s[16:17]
	s_waitcnt lgkmcnt(0)
	s_barrier
	s_and_saveexec_b64 s[16:17], vcc
	s_cbranch_execz .LBB71_798
; %bb.797:
	v_mov_b32_e32 v25, 0
	ds_read_b128 v[21:24], v25 offset:23920
	ds_read_b64 v[25:26], v25 offset:24440
	s_movk_i32 s18, 0x5800
	s_waitcnt lgkmcnt(0)
	v_mul_f32_e32 v27, v26, v22
	v_mul_f32_e32 v28, v25, v22
	v_fma_f32 v25, v25, v21, -v27
	v_fmac_f32_e32 v28, v26, v21
	v_mul_f32_e32 v21, v28, v24
	v_mul_f32_e32 v22, v25, v24
	v_fma_f32 v21, v25, v23, -v21
	v_fmac_f32_e32 v22, v28, v23
	v_add_u32_e64 v23, s18, 0
	ds_write2_b64 v23, v[21:22], v[21:22] offset0:175 offset1:238
.LBB71_798:
	s_or_b64 exec, exec, s[16:17]
	v_mov_b32_e32 v21, 0
	v_mov_b32_e32 v22, 0
	s_waitcnt lgkmcnt(0)
	s_barrier
	s_and_saveexec_b64 s[18:19], s[14:15]
	s_cbranch_execz .LBB71_826
; %bb.799:
	v_mul_u32_u24_e32 v22, 0x208, v20
	ds_read_b64 v[23:24], v16 offset:16768
	ds_read_b64 v[25:26], v22 offset:16640
	s_movk_i32 s16, 0xf0
	v_cmp_gt_u32_e64 s[16:17], s16, v1
	s_waitcnt lgkmcnt(0)
	v_mul_f32_e32 v21, v26, v24
	v_mul_f32_e32 v24, v25, v24
	v_fma_f32 v21, v25, v23, -v21
	v_fmac_f32_e32 v24, v26, v23
	v_add_f32_e32 v21, 0, v21
	v_add_f32_e32 v23, 0, v24
	s_and_saveexec_b64 s[20:21], s[16:17]
	s_cbranch_execz .LBB71_801
; %bb.800:
	v_lshlrev_b32_e32 v24, 3, v20
	v_sub_u32_e32 v24, v22, v24
	v_lshl_add_u32 v24, v17, 3, v24
	ds_read_b64 v[24:25], v24 offset:17280
	ds_read_b64 v[26:27], v22 offset:16648
	s_waitcnt lgkmcnt(0)
	v_mul_f32_e32 v28, v27, v25
	v_mul_f32_e32 v25, v26, v25
	v_fma_f32 v26, v26, v24, -v28
	v_fmac_f32_e32 v25, v27, v24
	v_add_f32_e32 v21, v21, v26
	v_add_f32_e32 v23, v23, v25
.LBB71_801:
	s_or_b64 exec, exec, s[20:21]
	s_movk_i32 s16, 0xe0
	v_cmp_gt_u32_e64 s[16:17], s16, v1
	s_and_saveexec_b64 s[20:21], s[16:17]
	s_cbranch_execz .LBB71_803
; %bb.802:
	v_lshlrev_b32_e32 v24, 3, v20
	v_sub_u32_e32 v24, v22, v24
	v_lshl_add_u32 v24, v17, 3, v24
	ds_read_b64 v[24:25], v24 offset:17792
	ds_read_b64 v[26:27], v22 offset:16656
	s_waitcnt lgkmcnt(0)
	v_mul_f32_e32 v28, v27, v25
	v_mul_f32_e32 v25, v26, v25
	v_fma_f32 v26, v26, v24, -v28
	v_fmac_f32_e32 v25, v27, v24
	v_add_f32_e32 v21, v21, v26
	v_add_f32_e32 v23, v23, v25
.LBB71_803:
	s_or_b64 exec, exec, s[20:21]
	s_movk_i32 s16, 0xd0
	v_cmp_gt_u32_e64 s[16:17], s16, v1
	s_and_saveexec_b64 s[20:21], s[16:17]
	s_cbranch_execz .LBB71_805
; %bb.804:
	v_lshlrev_b32_e32 v24, 3, v20
	v_sub_u32_e32 v24, v22, v24
	v_lshl_add_u32 v24, v17, 3, v24
	ds_read_b64 v[24:25], v24 offset:18304
	ds_read_b64 v[26:27], v22 offset:16664
	s_waitcnt lgkmcnt(0)
	v_mul_f32_e32 v28, v27, v25
	v_mul_f32_e32 v25, v26, v25
	v_fma_f32 v26, v26, v24, -v28
	v_fmac_f32_e32 v25, v27, v24
	v_add_f32_e32 v21, v21, v26
	v_add_f32_e32 v23, v23, v25
.LBB71_805:
	s_or_b64 exec, exec, s[20:21]
	s_movk_i32 s16, 0xc0
	v_cmp_gt_u32_e64 s[16:17], s16, v1
	s_and_saveexec_b64 s[20:21], s[16:17]
	s_cbranch_execz .LBB71_807
; %bb.806:
	v_lshlrev_b32_e32 v24, 3, v20
	v_sub_u32_e32 v24, v22, v24
	v_lshl_add_u32 v24, v17, 3, v24
	ds_read_b64 v[24:25], v24 offset:18816
	ds_read_b64 v[26:27], v22 offset:16672
	s_waitcnt lgkmcnt(0)
	v_mul_f32_e32 v28, v27, v25
	v_mul_f32_e32 v25, v26, v25
	v_fma_f32 v26, v26, v24, -v28
	v_fmac_f32_e32 v25, v27, v24
	v_add_f32_e32 v21, v21, v26
	v_add_f32_e32 v23, v23, v25
.LBB71_807:
	s_or_b64 exec, exec, s[20:21]
	s_movk_i32 s16, 0xb0
	v_cmp_gt_u32_e64 s[16:17], s16, v1
	s_and_saveexec_b64 s[20:21], s[16:17]
	s_cbranch_execz .LBB71_809
; %bb.808:
	v_lshlrev_b32_e32 v24, 3, v20
	v_sub_u32_e32 v24, v22, v24
	v_lshl_add_u32 v24, v17, 3, v24
	ds_read_b64 v[24:25], v24 offset:19328
	ds_read_b64 v[26:27], v22 offset:16680
	s_waitcnt lgkmcnt(0)
	v_mul_f32_e32 v28, v27, v25
	v_mul_f32_e32 v25, v26, v25
	v_fma_f32 v26, v26, v24, -v28
	v_fmac_f32_e32 v25, v27, v24
	v_add_f32_e32 v21, v21, v26
	v_add_f32_e32 v23, v23, v25
.LBB71_809:
	s_or_b64 exec, exec, s[20:21]
	s_movk_i32 s16, 0xa0
	v_cmp_gt_u32_e64 s[16:17], s16, v1
	s_and_saveexec_b64 s[20:21], s[16:17]
	s_cbranch_execz .LBB71_811
; %bb.810:
	v_lshlrev_b32_e32 v20, 3, v20
	v_sub_u32_e32 v20, v22, v20
	v_lshl_add_u32 v20, v17, 3, v20
	ds_read_b64 v[24:25], v20 offset:19840
	ds_read_b64 v[26:27], v22 offset:16688
	s_waitcnt lgkmcnt(0)
	v_mul_f32_e32 v20, v27, v25
	v_mul_f32_e32 v25, v26, v25
	v_fma_f32 v20, v26, v24, -v20
	v_fmac_f32_e32 v25, v27, v24
	v_add_f32_e32 v21, v21, v20
	v_add_f32_e32 v23, v23, v25
.LBB71_811:
	s_or_b64 exec, exec, s[20:21]
	s_movk_i32 s16, 0x90
	v_cmp_gt_u32_e64 s[16:17], s16, v1
	s_and_saveexec_b64 s[20:21], s[16:17]
	s_cbranch_execz .LBB71_813
; %bb.812:
	v_lshlrev_b32_e32 v20, 3, v17
	v_lshl_add_u32 v20, v19, 3, v20
	ds_read_b64 v[24:25], v20 offset:20352
	ds_read_b64 v[26:27], v22 offset:16696
	s_waitcnt lgkmcnt(0)
	v_mul_f32_e32 v20, v27, v25
	v_mul_f32_e32 v25, v26, v25
	v_fma_f32 v20, v26, v24, -v20
	v_fmac_f32_e32 v25, v27, v24
	v_add_f32_e32 v21, v21, v20
	v_add_f32_e32 v23, v23, v25
.LBB71_813:
	s_or_b64 exec, exec, s[20:21]
	s_movk_i32 s16, 0x80
	v_cmp_gt_u32_e64 s[16:17], s16, v1
	s_and_saveexec_b64 s[20:21], s[16:17]
	s_cbranch_execz .LBB71_815
; %bb.814:
	ds_read_b64 v[24:25], v16 offset:20864
	ds_read_b64 v[26:27], v22 offset:16704
	s_waitcnt lgkmcnt(0)
	v_mul_f32_e32 v20, v27, v25
	v_mul_f32_e32 v25, v26, v25
	v_fma_f32 v20, v26, v24, -v20
	v_fmac_f32_e32 v25, v27, v24
	v_add_f32_e32 v21, v21, v20
	v_add_f32_e32 v23, v23, v25
.LBB71_815:
	s_or_b64 exec, exec, s[20:21]
	s_movk_i32 s16, 0x70
	v_cmp_gt_u32_e64 s[16:17], s16, v1
	s_and_saveexec_b64 s[20:21], s[16:17]
	s_cbranch_execz .LBB71_817
; %bb.816:
	v_lshlrev_b32_e32 v20, 3, v17
	v_lshl_add_u32 v20, v19, 3, v20
	ds_read_b64 v[24:25], v20 offset:21376
	ds_read_b64 v[26:27], v22 offset:16712
	s_waitcnt lgkmcnt(0)
	v_mul_f32_e32 v20, v27, v25
	v_mul_f32_e32 v25, v26, v25
	v_fma_f32 v20, v26, v24, -v20
	v_fmac_f32_e32 v25, v27, v24
	v_add_f32_e32 v21, v21, v20
	v_add_f32_e32 v23, v23, v25
.LBB71_817:
	s_or_b64 exec, exec, s[20:21]
	s_movk_i32 s16, 0x60
	v_cmp_gt_u32_e64 s[16:17], s16, v1
	s_and_saveexec_b64 s[20:21], s[16:17]
	s_cbranch_execz .LBB71_819
; %bb.818:
	v_lshlrev_b32_e32 v20, 3, v17
	v_lshl_add_u32 v20, v19, 3, v20
	ds_read_b64 v[24:25], v20 offset:21888
	ds_read_b64 v[26:27], v22 offset:16720
	s_waitcnt lgkmcnt(0)
	v_mul_f32_e32 v20, v27, v25
	v_mul_f32_e32 v25, v26, v25
	v_fma_f32 v20, v26, v24, -v20
	v_fmac_f32_e32 v25, v27, v24
	v_add_f32_e32 v21, v21, v20
	v_add_f32_e32 v23, v23, v25
.LBB71_819:
	s_or_b64 exec, exec, s[20:21]
	s_movk_i32 s16, 0x50
	v_cmp_gt_u32_e64 s[16:17], s16, v1
	s_and_saveexec_b64 s[20:21], s[16:17]
	s_cbranch_execnz .LBB71_1152
; %bb.820:
	s_or_b64 exec, exec, s[20:21]
	v_cmp_gt_u32_e64 s[16:17], 64, v1
	s_and_saveexec_b64 s[20:21], s[16:17]
	s_cbranch_execnz .LBB71_1153
.LBB71_821:
	s_or_b64 exec, exec, s[20:21]
	v_cmp_gt_u32_e64 s[16:17], 48, v1
	s_and_saveexec_b64 s[20:21], s[16:17]
	s_cbranch_execnz .LBB71_1154
.LBB71_822:
	s_or_b64 exec, exec, s[20:21]
	v_cmp_gt_u32_e64 s[16:17], 32, v1
	s_and_saveexec_b64 s[20:21], s[16:17]
	s_cbranch_execnz .LBB71_1155
.LBB71_823:
	s_or_b64 exec, exec, s[20:21]
	v_cmp_gt_u32_e64 s[16:17], 16, v1
	s_and_saveexec_b64 s[20:21], s[16:17]
	s_cbranch_execz .LBB71_825
.LBB71_824:
	v_lshlrev_b32_e32 v19, 3, v0
	v_mov_b32_e32 v22, 0
	ds_read_b64 v[19:20], v19 offset:24448
	ds_read_b64 v[24:25], v22 offset:16760
	s_waitcnt lgkmcnt(0)
	v_mul_f32_e32 v22, v25, v20
	v_mul_f32_e32 v20, v24, v20
	v_fma_f32 v22, v24, v19, -v22
	v_fmac_f32_e32 v20, v25, v19
	v_add_f32_e32 v21, v21, v22
	v_add_f32_e32 v23, v23, v20
.LBB71_825:
	s_or_b64 exec, exec, s[20:21]
	v_xor_b32_e32 v22, 0x80000000, v21
	v_xor_b32_e32 v21, 0x80000000, v23
.LBB71_826:
	s_or_b64 exec, exec, s[18:19]
	s_mov_b64 s[16:17], exec
	v_readlane_b32 s18, v34, 3
	v_readlane_b32 s19, v34, 4
	s_and_b64 s[18:19], s[16:17], s[18:19]
	s_mov_b64 exec, s[18:19]
	s_cbranch_execz .LBB71_828
; %bb.827:
	v_mov_b32_e32 v19, 0
	ds_read_b64 v[19:20], v19 offset:24960
	s_waitcnt lgkmcnt(0)
	v_mul_f32_e32 v23, v22, v20
	v_mul_f32_e32 v24, v21, v20
	v_fmac_f32_e32 v23, v21, v19
	v_fma_f32 v22, v22, v19, -v24
	v_mov_b32_e32 v21, v23
	ds_write_b64 v18, v[22:23]
.LBB71_828:
	s_or_b64 exec, exec, s[16:17]
	s_waitcnt lgkmcnt(0)
	s_barrier
	s_mov_b64 s[16:17], exec
	v_readlane_b32 s18, v34, 5
	v_readlane_b32 s19, v34, 6
	s_and_b64 s[18:19], s[16:17], s[18:19]
	s_mov_b64 exec, s[18:19]
	s_cbranch_execz .LBB71_830
; %bb.829:
	v_lshlrev_b32_e32 v19, 3, v17
	ds_read_b64 v[19:20], v19 offset:24960
	ds_read_b64 v[23:24], v18
	s_waitcnt lgkmcnt(0)
	v_mul_f32_e32 v25, v24, v20
	v_mul_f32_e32 v20, v23, v20
	v_fma_f32 v23, v23, v19, -v25
	v_fmac_f32_e32 v20, v24, v19
	v_add_f32_e32 v22, v22, v23
	v_add_f32_e32 v21, v21, v20
.LBB71_830:
	s_or_b64 exec, exec, s[16:17]
	s_barrier
	s_mov_b64 s[16:17], exec
	v_readlane_b32 s18, v34, 7
	v_readlane_b32 s19, v34, 8
	s_and_b64 s[18:19], s[16:17], s[18:19]
	s_mov_b64 exec, s[18:19]
	s_cbranch_execz .LBB71_832
; %bb.831:
	v_mov_b32_e32 v19, 0
	ds_read_b64 v[19:20], v19 offset:25480
	s_waitcnt lgkmcnt(0)
	v_mul_f32_e32 v23, v22, v20
	v_mul_f32_e32 v24, v21, v20
	v_fmac_f32_e32 v23, v21, v19
	v_fma_f32 v22, v22, v19, -v24
	v_mov_b32_e32 v21, v23
	ds_write_b64 v18, v[22:23]
.LBB71_832:
	s_or_b64 exec, exec, s[16:17]
	s_waitcnt lgkmcnt(0)
	s_barrier
	s_mov_b64 s[16:17], exec
	v_readlane_b32 s18, v34, 9
	v_readlane_b32 s19, v34, 10
	s_and_b64 s[18:19], s[16:17], s[18:19]
	s_mov_b64 exec, s[18:19]
	s_cbranch_execz .LBB71_834
; %bb.833:
	v_lshlrev_b32_e32 v19, 3, v17
	ds_read_b64 v[19:20], v19 offset:25472
	ds_read_b64 v[23:24], v18
	s_waitcnt lgkmcnt(0)
	v_mul_f32_e32 v25, v24, v20
	v_mul_f32_e32 v20, v23, v20
	v_fma_f32 v23, v23, v19, -v25
	v_fmac_f32_e32 v20, v24, v19
	v_add_f32_e32 v22, v22, v23
	v_add_f32_e32 v21, v21, v20
.LBB71_834:
	s_or_b64 exec, exec, s[16:17]
	s_barrier
	;; [unrolled: 40-line block ×13, first 2 shown]
	s_mov_b64 s[16:17], exec
	v_readlane_b32 s18, v34, 55
	v_readlane_b32 s19, v34, 56
	s_and_b64 s[18:19], s[16:17], s[18:19]
	s_mov_b64 exec, s[18:19]
	s_cbranch_execz .LBB71_880
; %bb.879:
	v_mov_b32_e32 v19, 0
	ds_read_b64 v[19:20], v19 offset:31720
	s_waitcnt lgkmcnt(0)
	v_mul_f32_e32 v23, v22, v20
	v_mul_f32_e32 v24, v21, v20
	v_fmac_f32_e32 v23, v21, v19
	v_fma_f32 v22, v22, v19, -v24
	v_mov_b32_e32 v21, v23
	ds_write_b64 v18, v[22:23]
.LBB71_880:
	s_or_b64 exec, exec, s[16:17]
	s_waitcnt lgkmcnt(0)
	s_barrier
	s_and_saveexec_b64 s[16:17], s[96:97]
	s_cbranch_execz .LBB71_882
; %bb.881:
	v_lshlrev_b32_e32 v17, 3, v17
	ds_read_b64 v[19:20], v17 offset:31616
	ds_read_b64 v[23:24], v18
	s_waitcnt lgkmcnt(0)
	v_mul_f32_e32 v17, v24, v20
	v_mul_f32_e32 v20, v23, v20
	v_fma_f32 v17, v23, v19, -v17
	v_fmac_f32_e32 v20, v24, v19
	v_add_f32_e32 v22, v22, v17
	v_add_f32_e32 v21, v21, v20
.LBB71_882:
	s_or_b64 exec, exec, s[16:17]
	s_barrier
	s_and_saveexec_b64 s[16:17], s[98:99]
	s_cbranch_execz .LBB71_884
; %bb.883:
	v_mov_b32_e32 v17, 0
	ds_read_b64 v[19:20], v17 offset:32240
	s_waitcnt lgkmcnt(0)
	v_mul_f32_e32 v23, v22, v20
	v_mul_f32_e32 v17, v21, v20
	v_fmac_f32_e32 v23, v21, v19
	v_fma_f32 v22, v22, v19, -v17
	v_mov_b32_e32 v21, v23
	ds_write_b64 v18, v[22:23]
.LBB71_884:
	s_or_b64 exec, exec, s[16:17]
	s_waitcnt lgkmcnt(0)
	s_barrier
	s_and_saveexec_b64 s[16:17], s[94:95]
	s_cbranch_execz .LBB71_886
; %bb.885:
	v_mov_b32_e32 v17, 0
	ds_read_b64 v[19:20], v17 offset:32248
	ds_read_b64 v[23:24], v18
	s_waitcnt lgkmcnt(0)
	v_mul_f32_e32 v17, v24, v20
	v_mul_f32_e32 v20, v23, v20
	v_fma_f32 v17, v23, v19, -v17
	v_fmac_f32_e32 v20, v24, v19
	v_add_f32_e32 v22, v22, v17
	v_add_f32_e32 v21, v21, v20
.LBB71_886:
	s_or_b64 exec, exec, s[16:17]
	s_barrier
	s_and_saveexec_b64 s[16:17], s[94:95]
	s_cbranch_execz .LBB71_888
; %bb.887:
	v_mov_b32_e32 v17, 0
	ds_read_b64 v[19:20], v17 offset:32760
	s_waitcnt lgkmcnt(0)
	v_mul_f32_e32 v23, v22, v20
	v_mul_f32_e32 v17, v21, v20
	v_fmac_f32_e32 v23, v21, v19
	v_fma_f32 v22, v22, v19, -v17
	v_mov_b32_e32 v21, v23
	ds_write_b64 v18, v[22:23]
.LBB71_888:
	s_or_b64 exec, exec, s[16:17]
	s_waitcnt lgkmcnt(0)
	s_barrier
	s_barrier
	s_and_saveexec_b64 s[16:17], s[14:15]
; %bb.889:
	v_xor_b32_e32 v17, 0x80000000, v22
	v_xor_b32_e32 v18, 0x80000000, v21
	ds_write_b64 v16, v[17:18] offset:16768
; %bb.890:
	s_or_b64 exec, exec, s[16:17]
	s_waitcnt lgkmcnt(0)
	s_barrier
	s_barrier
	s_and_saveexec_b64 s[14:15], s[6:7]
	s_cbranch_execz .LBB71_892
; %bb.891:
	v_lshlrev_b32_e32 v18, 9, v0
	ds_read_b64 v[16:17], v18 offset:16768
	s_movk_i32 s6, 0xfe08
	v_mad_i32_i24 v19, v0, s6, v18
	s_waitcnt lgkmcnt(0)
	ds_write_b64 v19, v[16:17] offset:24832
	ds_read_b64 v[16:17], v18 offset:16776
	s_waitcnt lgkmcnt(0)
	ds_write_b64 v19, v[16:17] offset:25344
	ds_read_b64 v[16:17], v18 offset:16784
	s_waitcnt lgkmcnt(0)
	ds_write_b64 v19, v[16:17] offset:25856
	ds_read_b64 v[16:17], v18 offset:16792
	s_waitcnt lgkmcnt(0)
	ds_write_b64 v19, v[16:17] offset:26368
	ds_read_b64 v[16:17], v18 offset:16800
	s_waitcnt lgkmcnt(0)
	ds_write_b64 v19, v[16:17] offset:26880
	ds_read_b64 v[16:17], v18 offset:16808
	s_waitcnt lgkmcnt(0)
	ds_write_b64 v19, v[16:17] offset:27392
	ds_read_b64 v[16:17], v18 offset:16816
	s_waitcnt lgkmcnt(0)
	ds_write_b64 v19, v[16:17] offset:27904
	ds_read_b64 v[16:17], v18 offset:16824
	s_waitcnt lgkmcnt(0)
	ds_write_b64 v19, v[16:17] offset:28416
	ds_read_b64 v[16:17], v18 offset:16832
	s_waitcnt lgkmcnt(0)
	ds_write_b64 v19, v[16:17] offset:28928
	ds_read_b64 v[16:17], v18 offset:16840
	s_waitcnt lgkmcnt(0)
	ds_write_b64 v19, v[16:17] offset:29440
	ds_read_b64 v[16:17], v18 offset:16848
	s_waitcnt lgkmcnt(0)
	ds_write_b64 v19, v[16:17] offset:29952
	ds_read_b64 v[16:17], v18 offset:16856
	s_waitcnt lgkmcnt(0)
	ds_write_b64 v19, v[16:17] offset:30464
	ds_read_b64 v[16:17], v18 offset:16864
	s_waitcnt lgkmcnt(0)
	ds_write_b64 v19, v[16:17] offset:30976
	ds_read_b64 v[16:17], v18 offset:16872
	s_waitcnt lgkmcnt(0)
	ds_write_b64 v19, v[16:17] offset:31488
	ds_read_b64 v[16:17], v18 offset:16880
	s_waitcnt lgkmcnt(0)
	ds_write_b64 v19, v[16:17] offset:32000
	ds_read_b64 v[16:17], v18 offset:16888
	s_waitcnt lgkmcnt(0)
	ds_write_b64 v19, v[16:17] offset:32512
.LBB71_892:
	s_or_b64 exec, exec, s[14:15]
	s_waitcnt lgkmcnt(0)
	s_barrier
	s_and_saveexec_b64 s[6:7], vcc
	s_cbranch_execz .LBB71_894
; %bb.893:
	v_mov_b32_e32 v20, 0
	ds_read_b128 v[16:19], v20 offset:24960
	ds_read_b64 v[20:21], v20 offset:25480
	s_movk_i32 s14, 0x6000
	s_waitcnt lgkmcnt(0)
	v_mul_f32_e32 v22, v21, v17
	v_mul_f32_e32 v23, v20, v17
	v_fma_f32 v20, v20, v16, -v22
	v_fmac_f32_e32 v23, v21, v16
	v_mul_f32_e32 v16, v23, v19
	v_mul_f32_e32 v17, v20, v19
	v_fma_f32 v16, v20, v18, -v16
	v_fmac_f32_e32 v17, v23, v18
	v_add_u32_e64 v18, s14, 0
	ds_write2_b64 v18, v[16:17], v[16:17] offset0:49 offset1:112
.LBB71_894:
	s_or_b64 exec, exec, s[6:7]
	v_mov_b32_e32 v16, 0
	v_mov_b32_e32 v17, 0
	s_waitcnt lgkmcnt(0)
	s_barrier
	s_and_saveexec_b64 s[6:7], s[22:23]
	s_cbranch_execz .LBB71_898
; %bb.895:
	v_mul_u32_u24_e32 v18, 0x208, v5
	ds_read_b64 v[16:17], v3 offset:24976
	ds_read_b64 v[18:19], v18 offset:24960
	v_cmp_gt_u32_e64 s[14:15], 2, v1
	s_waitcnt lgkmcnt(0)
	v_mul_f32_e32 v20, v19, v17
	v_mul_f32_e32 v17, v18, v17
	v_fma_f32 v18, v18, v16, -v20
	v_fmac_f32_e32 v17, v19, v16
	v_add_f32_e32 v16, 0, v18
	v_add_f32_e32 v18, 0, v17
	s_and_saveexec_b64 s[16:17], s[14:15]
	s_cbranch_execz .LBB71_897
; %bb.896:
	v_lshlrev_b32_e32 v17, 3, v0
	v_mov_b32_e32 v21, 0
	ds_read_b64 v[19:20], v17 offset:25488
	ds_read_b64 v[21:22], v21 offset:24968
	s_waitcnt lgkmcnt(0)
	v_mul_f32_e32 v17, v22, v20
	v_mul_f32_e32 v20, v21, v20
	v_fma_f32 v17, v21, v19, -v17
	v_fmac_f32_e32 v20, v22, v19
	v_add_f32_e32 v16, v16, v17
	v_add_f32_e32 v18, v18, v20
.LBB71_897:
	s_or_b64 exec, exec, s[16:17]
	v_xor_b32_e32 v17, 0x80000000, v16
	v_xor_b32_e32 v16, 0x80000000, v18
.LBB71_898:
	s_or_b64 exec, exec, s[6:7]
	s_and_saveexec_b64 s[6:7], s[38:39]
	s_cbranch_execz .LBB71_900
; %bb.899:
	v_mov_b32_e32 v18, 0
	ds_read_b64 v[18:19], v18 offset:26000
	s_waitcnt lgkmcnt(0)
	v_mul_f32_e32 v21, v16, v19
	v_mul_f32_e32 v20, v17, v19
	v_fma_f32 v19, v17, v18, -v21
	v_fmac_f32_e32 v20, v16, v18
	v_mov_b32_e32 v17, v19
	v_mov_b32_e32 v16, v20
	ds_write_b64 v4, v[19:20]
.LBB71_900:
	s_or_b64 exec, exec, s[6:7]
	s_waitcnt lgkmcnt(0)
	s_barrier
	s_and_saveexec_b64 s[6:7], s[30:31]
	s_cbranch_execz .LBB71_902
; %bb.901:
	v_mov_b32_e32 v18, 0
	ds_read_b64 v[18:19], v18 offset:26008
	ds_read_b64 v[20:21], v4
	s_waitcnt lgkmcnt(0)
	v_mul_f32_e32 v22, v21, v19
	v_mul_f32_e32 v19, v20, v19
	v_fma_f32 v20, v20, v18, -v22
	v_fmac_f32_e32 v19, v21, v18
	v_add_f32_e32 v17, v17, v20
	v_add_f32_e32 v16, v16, v19
.LBB71_902:
	s_or_b64 exec, exec, s[6:7]
	s_barrier
	s_and_saveexec_b64 s[6:7], s[30:31]
	s_cbranch_execz .LBB71_904
; %bb.903:
	v_mov_b32_e32 v18, 0
	ds_read_b64 v[18:19], v18 offset:26520
	s_waitcnt lgkmcnt(0)
	v_mul_f32_e32 v21, v16, v19
	v_mul_f32_e32 v20, v17, v19
	v_fma_f32 v19, v17, v18, -v21
	v_fmac_f32_e32 v20, v16, v18
	v_mov_b32_e32 v17, v19
	v_mov_b32_e32 v16, v20
	ds_write_b64 v4, v[19:20]
.LBB71_904:
	s_or_b64 exec, exec, s[6:7]
	s_waitcnt lgkmcnt(0)
	s_barrier
	s_barrier
	s_and_saveexec_b64 s[6:7], s[22:23]
; %bb.905:
	v_xor_b32_e32 v18, 0x80000000, v16
	v_xor_b32_e32 v17, 0x80000000, v17
	ds_write_b64 v3, v[17:18] offset:24976
; %bb.906:
	s_or_b64 exec, exec, s[6:7]
	s_waitcnt lgkmcnt(0)
	s_barrier
	s_barrier
	s_and_saveexec_b64 s[6:7], s[40:41]
	s_cbranch_execz .LBB71_908
; %bb.907:
	v_lshlrev_b32_e32 v18, 3, v0
	s_movk_i32 s14, 0x1f8
	v_mad_u32_u24 v19, v0, s14, v18
	ds_read_b64 v[16:17], v19 offset:24976
	s_waitcnt lgkmcnt(0)
	ds_write_b64 v18, v[16:17] offset:25984
	ds_read_b64 v[16:17], v19 offset:24984
	s_waitcnt lgkmcnt(0)
	ds_write_b64 v18, v[16:17] offset:26496
.LBB71_908:
	s_or_b64 exec, exec, s[6:7]
	s_waitcnt lgkmcnt(0)
	s_barrier
	s_and_saveexec_b64 s[6:7], vcc
	s_cbranch_execz .LBB71_910
; %bb.909:
	v_mov_b32_e32 v20, 0
	ds_read_b128 v[16:19], v20 offset:26000
	ds_read_b64 v[20:21], v20 offset:26520
	s_movk_i32 s14, 0x6000
	s_waitcnt lgkmcnt(0)
	v_mul_f32_e32 v22, v21, v17
	v_mul_f32_e32 v23, v20, v17
	v_fma_f32 v20, v20, v16, -v22
	v_fmac_f32_e32 v23, v21, v16
	v_mul_f32_e32 v16, v23, v19
	v_mul_f32_e32 v17, v20, v19
	v_fma_f32 v16, v20, v18, -v16
	v_fmac_f32_e32 v17, v23, v18
	v_add_u32_e64 v18, s14, 0
	ds_write2_b64 v18, v[16:17], v[16:17] offset0:179 offset1:242
.LBB71_910:
	s_or_b64 exec, exec, s[6:7]
	v_mov_b32_e32 v16, 0
	v_mov_b32_e32 v17, 0
	s_waitcnt lgkmcnt(0)
	s_barrier
	s_and_saveexec_b64 s[6:7], s[10:11]
	s_cbranch_execz .LBB71_916
; %bb.911:
	v_mul_u32_u24_e32 v17, 0x208, v10
	ds_read_b64 v[18:19], v6 offset:24992
	ds_read_b64 v[20:21], v17 offset:24960
	v_cmp_gt_u32_e64 s[14:15], 12, v1
	s_waitcnt lgkmcnt(0)
	v_mul_f32_e32 v16, v21, v19
	v_mul_f32_e32 v19, v20, v19
	v_fma_f32 v16, v20, v18, -v16
	v_fmac_f32_e32 v19, v21, v18
	v_add_f32_e32 v16, 0, v16
	v_add_f32_e32 v18, 0, v19
	s_and_saveexec_b64 s[16:17], s[14:15]
	s_cbranch_execnz .LBB71_1156
; %bb.912:
	s_or_b64 exec, exec, s[16:17]
	v_cmp_gt_u32_e64 s[14:15], 8, v1
	s_and_saveexec_b64 s[16:17], s[14:15]
	s_cbranch_execnz .LBB71_1157
.LBB71_913:
	s_or_b64 exec, exec, s[16:17]
	v_cmp_gt_u32_e64 s[14:15], 4, v1
	s_and_saveexec_b64 s[16:17], s[14:15]
	s_cbranch_execz .LBB71_915
.LBB71_914:
	v_lshlrev_b32_e32 v17, 3, v0
	v_mov_b32_e32 v21, 0
	ds_read_b64 v[19:20], v17 offset:26528
	ds_read_b64 v[21:22], v21 offset:24984
	s_waitcnt lgkmcnt(0)
	v_mul_f32_e32 v17, v22, v20
	v_mul_f32_e32 v20, v21, v20
	v_fma_f32 v17, v21, v19, -v17
	v_fmac_f32_e32 v20, v22, v19
	v_add_f32_e32 v16, v16, v17
	v_add_f32_e32 v18, v18, v20
.LBB71_915:
	s_or_b64 exec, exec, s[16:17]
	v_xor_b32_e32 v17, 0x80000000, v16
	v_xor_b32_e32 v16, 0x80000000, v18
.LBB71_916:
	s_or_b64 exec, exec, s[6:7]
	s_and_saveexec_b64 s[6:7], s[44:45]
	s_cbranch_execz .LBB71_918
; %bb.917:
	v_mov_b32_e32 v18, 0
	ds_read_b64 v[18:19], v18 offset:27040
	s_waitcnt lgkmcnt(0)
	v_mul_f32_e32 v21, v16, v19
	v_mul_f32_e32 v20, v17, v19
	v_fma_f32 v19, v17, v18, -v21
	v_fmac_f32_e32 v20, v16, v18
	v_mov_b32_e32 v17, v19
	v_mov_b32_e32 v16, v20
	ds_write_b64 v8, v[19:20]
.LBB71_918:
	s_or_b64 exec, exec, s[6:7]
	s_waitcnt lgkmcnt(0)
	s_barrier
	s_and_saveexec_b64 s[6:7], s[46:47]
	s_cbranch_execz .LBB71_920
; %bb.919:
	ds_read_b64 v[18:19], v7 offset:27040
	ds_read_b64 v[20:21], v8
	s_waitcnt lgkmcnt(0)
	v_mul_f32_e32 v22, v21, v19
	v_mul_f32_e32 v19, v20, v19
	v_fma_f32 v20, v20, v18, -v22
	v_fmac_f32_e32 v19, v21, v18
	v_add_f32_e32 v17, v17, v20
	v_add_f32_e32 v16, v16, v19
.LBB71_920:
	s_or_b64 exec, exec, s[6:7]
	s_barrier
	s_and_saveexec_b64 s[6:7], s[48:49]
	s_cbranch_execz .LBB71_922
; %bb.921:
	v_mov_b32_e32 v18, 0
	ds_read_b64 v[18:19], v18 offset:27560
	s_waitcnt lgkmcnt(0)
	v_mul_f32_e32 v21, v16, v19
	v_mul_f32_e32 v20, v17, v19
	v_fma_f32 v19, v17, v18, -v21
	v_fmac_f32_e32 v20, v16, v18
	v_mov_b32_e32 v17, v19
	v_mov_b32_e32 v16, v20
	ds_write_b64 v8, v[19:20]
.LBB71_922:
	s_or_b64 exec, exec, s[6:7]
	s_waitcnt lgkmcnt(0)
	s_barrier
	s_and_saveexec_b64 s[6:7], s[50:51]
	s_cbranch_execz .LBB71_924
; %bb.923:
	ds_read_b64 v[18:19], v7 offset:27552
	ds_read_b64 v[20:21], v8
	s_waitcnt lgkmcnt(0)
	v_mul_f32_e32 v22, v21, v19
	v_mul_f32_e32 v19, v20, v19
	v_fma_f32 v20, v20, v18, -v22
	v_fmac_f32_e32 v19, v21, v18
	v_add_f32_e32 v17, v17, v20
	v_add_f32_e32 v16, v16, v19
.LBB71_924:
	s_or_b64 exec, exec, s[6:7]
	s_barrier
	s_and_saveexec_b64 s[6:7], s[52:53]
	s_cbranch_execz .LBB71_926
; %bb.925:
	v_mov_b32_e32 v18, 0
	ds_read_b64 v[18:19], v18 offset:28080
	s_waitcnt lgkmcnt(0)
	v_mul_f32_e32 v21, v16, v19
	v_mul_f32_e32 v20, v17, v19
	v_fma_f32 v19, v17, v18, -v21
	v_fmac_f32_e32 v20, v16, v18
	v_mov_b32_e32 v17, v19
	v_mov_b32_e32 v16, v20
	ds_write_b64 v8, v[19:20]
.LBB71_926:
	s_or_b64 exec, exec, s[6:7]
	s_waitcnt lgkmcnt(0)
	s_barrier
	s_and_saveexec_b64 s[6:7], s[42:43]
	s_cbranch_execz .LBB71_928
; %bb.927:
	v_mov_b32_e32 v18, 0
	ds_read_b64 v[18:19], v18 offset:28088
	ds_read_b64 v[20:21], v8
	s_waitcnt lgkmcnt(0)
	v_mul_f32_e32 v22, v21, v19
	v_mul_f32_e32 v19, v20, v19
	v_fma_f32 v20, v20, v18, -v22
	v_fmac_f32_e32 v19, v21, v18
	v_add_f32_e32 v17, v17, v20
	v_add_f32_e32 v16, v16, v19
.LBB71_928:
	s_or_b64 exec, exec, s[6:7]
	s_barrier
	s_and_saveexec_b64 s[6:7], s[42:43]
	s_cbranch_execz .LBB71_930
; %bb.929:
	v_mov_b32_e32 v18, 0
	ds_read_b64 v[18:19], v18 offset:28600
	s_waitcnt lgkmcnt(0)
	v_mul_f32_e32 v21, v16, v19
	v_mul_f32_e32 v20, v17, v19
	v_fma_f32 v19, v17, v18, -v21
	v_fmac_f32_e32 v20, v16, v18
	v_mov_b32_e32 v17, v19
	v_mov_b32_e32 v16, v20
	ds_write_b64 v8, v[19:20]
.LBB71_930:
	s_or_b64 exec, exec, s[6:7]
	s_waitcnt lgkmcnt(0)
	s_barrier
	s_barrier
	s_and_saveexec_b64 s[6:7], s[10:11]
; %bb.931:
	v_xor_b32_e32 v17, 0x80000000, v17
	v_xor_b32_e32 v18, 0x80000000, v16
	ds_write_b64 v6, v[17:18] offset:24992
; %bb.932:
	s_or_b64 exec, exec, s[6:7]
	s_waitcnt lgkmcnt(0)
	s_barrier
	s_barrier
	s_and_saveexec_b64 s[6:7], s[54:55]
	s_cbranch_execz .LBB71_934
; %bb.933:
	v_lshlrev_b32_e32 v18, 9, v0
	ds_read_b64 v[16:17], v18 offset:24992
	s_movk_i32 s14, 0xfe08
	v_mad_i32_i24 v19, v0, s14, v18
	s_waitcnt lgkmcnt(0)
	ds_write_b64 v19, v[16:17] offset:27008
	ds_read_b64 v[16:17], v18 offset:25000
	s_waitcnt lgkmcnt(0)
	ds_write_b64 v19, v[16:17] offset:27520
	ds_read_b64 v[16:17], v18 offset:25008
	;; [unrolled: 3-line block ×3, first 2 shown]
	s_waitcnt lgkmcnt(0)
	ds_write_b64 v19, v[16:17] offset:28544
.LBB71_934:
	s_or_b64 exec, exec, s[6:7]
	s_waitcnt lgkmcnt(0)
	s_barrier
	s_and_saveexec_b64 s[6:7], vcc
	s_cbranch_execz .LBB71_936
; %bb.935:
	v_mov_b32_e32 v20, 0
	ds_read_b128 v[16:19], v20 offset:27040
	ds_read_b64 v[20:21], v20 offset:27560
	s_movk_i32 s14, 0x6800
	s_waitcnt lgkmcnt(0)
	v_mul_f32_e32 v22, v21, v17
	v_mul_f32_e32 v23, v20, v17
	v_fma_f32 v20, v20, v16, -v22
	v_fmac_f32_e32 v23, v21, v16
	v_mul_f32_e32 v16, v23, v19
	v_mul_f32_e32 v17, v20, v19
	v_fma_f32 v16, v20, v18, -v16
	v_fmac_f32_e32 v17, v23, v18
	v_add_u32_e64 v18, s14, 0
	ds_write2_b64 v18, v[16:17], v[16:17] offset0:53 offset1:116
.LBB71_936:
	s_or_b64 exec, exec, s[6:7]
	v_mov_b32_e32 v16, 0
	v_mov_b32_e32 v17, 0
	s_waitcnt lgkmcnt(0)
	s_barrier
	s_and_saveexec_b64 s[6:7], s[22:23]
	s_cbranch_execz .LBB71_940
; %bb.937:
	v_mul_u32_u24_e32 v18, 0x208, v5
	ds_read_b64 v[16:17], v3 offset:27056
	ds_read_b64 v[18:19], v18 offset:27040
	v_cmp_gt_u32_e64 s[14:15], 2, v1
	s_waitcnt lgkmcnt(0)
	v_mul_f32_e32 v20, v19, v17
	v_mul_f32_e32 v17, v18, v17
	v_fma_f32 v18, v18, v16, -v20
	v_fmac_f32_e32 v17, v19, v16
	v_add_f32_e32 v16, 0, v18
	v_add_f32_e32 v18, 0, v17
	s_and_saveexec_b64 s[16:17], s[14:15]
	s_cbranch_execz .LBB71_939
; %bb.938:
	v_lshlrev_b32_e32 v17, 3, v0
	v_mov_b32_e32 v21, 0
	ds_read_b64 v[19:20], v17 offset:27568
	ds_read_b64 v[21:22], v21 offset:27048
	s_waitcnt lgkmcnt(0)
	v_mul_f32_e32 v17, v22, v20
	v_mul_f32_e32 v20, v21, v20
	v_fma_f32 v17, v21, v19, -v17
	v_fmac_f32_e32 v20, v22, v19
	v_add_f32_e32 v16, v16, v17
	v_add_f32_e32 v18, v18, v20
.LBB71_939:
	s_or_b64 exec, exec, s[16:17]
	v_xor_b32_e32 v17, 0x80000000, v16
	v_xor_b32_e32 v16, 0x80000000, v18
.LBB71_940:
	s_or_b64 exec, exec, s[6:7]
	s_and_saveexec_b64 s[6:7], s[38:39]
	s_cbranch_execz .LBB71_942
; %bb.941:
	v_mov_b32_e32 v18, 0
	ds_read_b64 v[18:19], v18 offset:28080
	s_waitcnt lgkmcnt(0)
	v_mul_f32_e32 v21, v16, v19
	v_mul_f32_e32 v20, v17, v19
	v_fma_f32 v19, v17, v18, -v21
	v_fmac_f32_e32 v20, v16, v18
	v_mov_b32_e32 v17, v19
	v_mov_b32_e32 v16, v20
	ds_write_b64 v4, v[19:20]
.LBB71_942:
	s_or_b64 exec, exec, s[6:7]
	s_waitcnt lgkmcnt(0)
	s_barrier
	s_and_saveexec_b64 s[6:7], s[30:31]
	s_cbranch_execz .LBB71_944
; %bb.943:
	v_mov_b32_e32 v18, 0
	ds_read_b64 v[18:19], v18 offset:28088
	ds_read_b64 v[20:21], v4
	s_waitcnt lgkmcnt(0)
	v_mul_f32_e32 v22, v21, v19
	v_mul_f32_e32 v19, v20, v19
	v_fma_f32 v20, v20, v18, -v22
	v_fmac_f32_e32 v19, v21, v18
	v_add_f32_e32 v17, v17, v20
	v_add_f32_e32 v16, v16, v19
.LBB71_944:
	s_or_b64 exec, exec, s[6:7]
	s_barrier
	s_and_saveexec_b64 s[6:7], s[30:31]
	s_cbranch_execz .LBB71_946
; %bb.945:
	v_mov_b32_e32 v18, 0
	ds_read_b64 v[18:19], v18 offset:28600
	s_waitcnt lgkmcnt(0)
	v_mul_f32_e32 v21, v16, v19
	v_mul_f32_e32 v20, v17, v19
	v_fma_f32 v19, v17, v18, -v21
	v_fmac_f32_e32 v20, v16, v18
	v_mov_b32_e32 v17, v19
	v_mov_b32_e32 v16, v20
	ds_write_b64 v4, v[19:20]
.LBB71_946:
	s_or_b64 exec, exec, s[6:7]
	s_waitcnt lgkmcnt(0)
	s_barrier
	s_barrier
	s_and_saveexec_b64 s[6:7], s[22:23]
; %bb.947:
	v_xor_b32_e32 v18, 0x80000000, v16
	v_xor_b32_e32 v17, 0x80000000, v17
	ds_write_b64 v3, v[17:18] offset:27056
; %bb.948:
	s_or_b64 exec, exec, s[6:7]
	s_waitcnt lgkmcnt(0)
	s_barrier
	s_barrier
	s_and_saveexec_b64 s[6:7], s[40:41]
	s_cbranch_execz .LBB71_950
; %bb.949:
	v_lshlrev_b32_e32 v18, 3, v0
	s_movk_i32 s14, 0x1f8
	v_mad_u32_u24 v19, v0, s14, v18
	ds_read_b64 v[16:17], v19 offset:27056
	s_waitcnt lgkmcnt(0)
	ds_write_b64 v18, v[16:17] offset:28064
	ds_read_b64 v[16:17], v19 offset:27064
	s_waitcnt lgkmcnt(0)
	ds_write_b64 v18, v[16:17] offset:28576
.LBB71_950:
	s_or_b64 exec, exec, s[6:7]
	s_waitcnt lgkmcnt(0)
	s_barrier
	s_and_saveexec_b64 s[6:7], vcc
	s_cbranch_execz .LBB71_952
; %bb.951:
	v_mov_b32_e32 v20, 0
	ds_read_b128 v[16:19], v20 offset:28080
	ds_read_b64 v[20:21], v20 offset:28600
	s_movk_i32 s14, 0x6800
	s_waitcnt lgkmcnt(0)
	v_mul_f32_e32 v22, v21, v17
	v_mul_f32_e32 v23, v20, v17
	v_fma_f32 v20, v20, v16, -v22
	v_fmac_f32_e32 v23, v21, v16
	v_mul_f32_e32 v16, v23, v19
	v_mul_f32_e32 v17, v20, v19
	v_fma_f32 v16, v20, v18, -v16
	v_fmac_f32_e32 v17, v23, v18
	v_add_u32_e64 v18, s14, 0
	ds_write2_b64 v18, v[16:17], v[16:17] offset0:183 offset1:246
.LBB71_952:
	s_or_b64 exec, exec, s[6:7]
	v_mov_b32_e32 v16, 0
	v_mov_b32_e32 v17, 0
	s_waitcnt lgkmcnt(0)
	s_barrier
	s_and_saveexec_b64 s[6:7], s[12:13]
	s_cbranch_execz .LBB71_962
; %bb.953:
	v_mul_u32_u24_e32 v17, 0x208, v15
	ds_read_b64 v[18:19], v11 offset:25024
	ds_read_b64 v[20:21], v17 offset:24960
	v_cmp_gt_u32_e64 s[14:15], 56, v1
	s_waitcnt lgkmcnt(0)
	v_mul_f32_e32 v16, v21, v19
	v_mul_f32_e32 v19, v20, v19
	v_fma_f32 v16, v20, v18, -v16
	v_fmac_f32_e32 v19, v21, v18
	v_add_f32_e32 v16, 0, v16
	v_add_f32_e32 v18, 0, v19
	s_and_saveexec_b64 s[16:17], s[14:15]
	s_cbranch_execnz .LBB71_1158
; %bb.954:
	s_or_b64 exec, exec, s[16:17]
	v_cmp_gt_u32_e64 s[14:15], 48, v1
	s_and_saveexec_b64 s[16:17], s[14:15]
	s_cbranch_execnz .LBB71_1159
.LBB71_955:
	s_or_b64 exec, exec, s[16:17]
	v_cmp_gt_u32_e64 s[14:15], 40, v1
	s_and_saveexec_b64 s[16:17], s[14:15]
	s_cbranch_execnz .LBB71_1160
.LBB71_956:
	s_or_b64 exec, exec, s[16:17]
	v_cmp_gt_u32_e64 s[14:15], 32, v1
	s_and_saveexec_b64 s[16:17], s[14:15]
	s_cbranch_execnz .LBB71_1161
.LBB71_957:
	s_or_b64 exec, exec, s[16:17]
	v_cmp_gt_u32_e64 s[14:15], 24, v1
	s_and_saveexec_b64 s[16:17], s[14:15]
	s_cbranch_execnz .LBB71_1162
.LBB71_958:
	s_or_b64 exec, exec, s[16:17]
	v_cmp_gt_u32_e64 s[14:15], 16, v1
	s_and_saveexec_b64 s[16:17], s[14:15]
	s_cbranch_execnz .LBB71_1163
.LBB71_959:
	s_or_b64 exec, exec, s[16:17]
	v_cmp_gt_u32_e64 s[14:15], 8, v1
	s_and_saveexec_b64 s[16:17], s[14:15]
	s_cbranch_execz .LBB71_961
.LBB71_960:
	v_lshlrev_b32_e32 v14, 3, v0
	v_mov_b32_e32 v17, 0
	ds_read_b64 v[14:15], v14 offset:28608
	ds_read_b64 v[19:20], v17 offset:25016
	s_waitcnt lgkmcnt(0)
	v_mul_f32_e32 v17, v20, v15
	v_mul_f32_e32 v15, v19, v15
	v_fma_f32 v17, v19, v14, -v17
	v_fmac_f32_e32 v15, v20, v14
	v_add_f32_e32 v16, v16, v17
	v_add_f32_e32 v18, v18, v15
.LBB71_961:
	s_or_b64 exec, exec, s[16:17]
	v_xor_b32_e32 v17, 0x80000000, v16
	v_xor_b32_e32 v16, 0x80000000, v18
.LBB71_962:
	s_or_b64 exec, exec, s[6:7]
	s_and_saveexec_b64 s[6:7], s[58:59]
	s_cbranch_execz .LBB71_964
; %bb.963:
	v_mov_b32_e32 v14, 0
	ds_read_b64 v[14:15], v14 offset:29120
	s_waitcnt lgkmcnt(0)
	v_mul_f32_e32 v18, v17, v15
	v_mul_f32_e32 v19, v16, v15
	v_fmac_f32_e32 v18, v16, v14
	v_fma_f32 v17, v17, v14, -v19
	v_mov_b32_e32 v16, v18
	ds_write_b64 v13, v[17:18]
.LBB71_964:
	s_or_b64 exec, exec, s[6:7]
	s_waitcnt lgkmcnt(0)
	s_barrier
	s_and_saveexec_b64 s[6:7], s[60:61]
	v_readlane_b32 s58, v34, 1
	v_readlane_b32 s59, v34, 2
	s_cbranch_execz .LBB71_966
; %bb.965:
	ds_read_b64 v[14:15], v12 offset:29120
	ds_read_b64 v[18:19], v13
	s_waitcnt lgkmcnt(0)
	v_mul_f32_e32 v20, v19, v15
	v_mul_f32_e32 v15, v18, v15
	v_fma_f32 v18, v18, v14, -v20
	v_fmac_f32_e32 v15, v19, v14
	v_add_f32_e32 v17, v17, v18
	v_add_f32_e32 v16, v16, v15
.LBB71_966:
	s_or_b64 exec, exec, s[6:7]
	s_barrier
	s_and_saveexec_b64 s[6:7], s[62:63]
	s_cbranch_execz .LBB71_968
; %bb.967:
	v_mov_b32_e32 v14, 0
	ds_read_b64 v[14:15], v14 offset:29640
	s_waitcnt lgkmcnt(0)
	v_mul_f32_e32 v18, v17, v15
	v_mul_f32_e32 v19, v16, v15
	v_fmac_f32_e32 v18, v16, v14
	v_fma_f32 v17, v17, v14, -v19
	v_mov_b32_e32 v16, v18
	ds_write_b64 v13, v[17:18]
.LBB71_968:
	s_or_b64 exec, exec, s[6:7]
	s_waitcnt lgkmcnt(0)
	s_barrier
	s_and_saveexec_b64 s[6:7], s[64:65]
	s_cbranch_execz .LBB71_970
; %bb.969:
	ds_read_b64 v[14:15], v12 offset:29632
	ds_read_b64 v[18:19], v13
	s_waitcnt lgkmcnt(0)
	v_mul_f32_e32 v20, v19, v15
	v_mul_f32_e32 v15, v18, v15
	v_fma_f32 v18, v18, v14, -v20
	v_fmac_f32_e32 v15, v19, v14
	v_add_f32_e32 v17, v17, v18
	v_add_f32_e32 v16, v16, v15
.LBB71_970:
	s_or_b64 exec, exec, s[6:7]
	s_barrier
	s_and_saveexec_b64 s[6:7], s[66:67]
	s_cbranch_execz .LBB71_972
; %bb.971:
	v_mov_b32_e32 v14, 0
	ds_read_b64 v[14:15], v14 offset:30160
	s_waitcnt lgkmcnt(0)
	v_mul_f32_e32 v18, v17, v15
	v_mul_f32_e32 v19, v16, v15
	v_fmac_f32_e32 v18, v16, v14
	v_fma_f32 v17, v17, v14, -v19
	v_mov_b32_e32 v16, v18
	ds_write_b64 v13, v[17:18]
.LBB71_972:
	s_or_b64 exec, exec, s[6:7]
	s_waitcnt lgkmcnt(0)
	s_barrier
	s_and_saveexec_b64 s[6:7], s[68:69]
	;; [unrolled: 31-line block ×6, first 2 shown]
	s_cbranch_execz .LBB71_990
; %bb.989:
	v_mov_b32_e32 v12, 0
	ds_read_b64 v[14:15], v12 offset:32248
	ds_read_b64 v[18:19], v13
	s_waitcnt lgkmcnt(0)
	v_mul_f32_e32 v12, v19, v15
	v_mul_f32_e32 v15, v18, v15
	v_fma_f32 v12, v18, v14, -v12
	v_fmac_f32_e32 v15, v19, v14
	v_add_f32_e32 v17, v17, v12
	v_add_f32_e32 v16, v16, v15
.LBB71_990:
	s_or_b64 exec, exec, s[6:7]
	s_barrier
	s_and_saveexec_b64 s[6:7], s[56:57]
	s_cbranch_execz .LBB71_992
; %bb.991:
	v_mov_b32_e32 v12, 0
	ds_read_b64 v[14:15], v12 offset:32760
	s_waitcnt lgkmcnt(0)
	v_mul_f32_e32 v18, v17, v15
	v_mul_f32_e32 v12, v16, v15
	v_fmac_f32_e32 v18, v16, v14
	v_fma_f32 v17, v17, v14, -v12
	v_mov_b32_e32 v16, v18
	ds_write_b64 v13, v[17:18]
.LBB71_992:
	s_or_b64 exec, exec, s[6:7]
	s_waitcnt lgkmcnt(0)
	s_barrier
	s_barrier
	s_and_saveexec_b64 s[6:7], s[12:13]
; %bb.993:
	v_xor_b32_e32 v13, 0x80000000, v16
	v_xor_b32_e32 v12, 0x80000000, v17
	ds_write_b64 v11, v[12:13] offset:25024
; %bb.994:
	s_or_b64 exec, exec, s[6:7]
	s_waitcnt lgkmcnt(0)
	s_barrier
	s_barrier
	s_and_saveexec_b64 s[6:7], s[84:85]
	s_cbranch_execz .LBB71_996
; %bb.995:
	v_lshlrev_b32_e32 v13, 9, v0
	ds_read_b64 v[11:12], v13 offset:25024
	s_movk_i32 s12, 0xfe08
	v_mad_i32_i24 v14, v0, s12, v13
	s_waitcnt lgkmcnt(0)
	ds_write_b64 v14, v[11:12] offset:29056
	ds_read_b64 v[11:12], v13 offset:25032
	s_waitcnt lgkmcnt(0)
	ds_write_b64 v14, v[11:12] offset:29568
	ds_read_b64 v[11:12], v13 offset:25040
	;; [unrolled: 3-line block ×7, first 2 shown]
	s_waitcnt lgkmcnt(0)
	ds_write_b64 v14, v[11:12] offset:32640
.LBB71_996:
	s_or_b64 exec, exec, s[6:7]
	s_waitcnt lgkmcnt(0)
	s_barrier
	s_and_saveexec_b64 s[6:7], vcc
	s_cbranch_execz .LBB71_998
; %bb.997:
	v_mov_b32_e32 v15, 0
	ds_read_b128 v[11:14], v15 offset:29120
	ds_read_b64 v[15:16], v15 offset:29640
	s_movk_i32 s12, 0x7000
	s_waitcnt lgkmcnt(0)
	v_mul_f32_e32 v17, v16, v12
	v_mul_f32_e32 v18, v15, v12
	v_fma_f32 v15, v15, v11, -v17
	v_fmac_f32_e32 v18, v16, v11
	v_mul_f32_e32 v11, v18, v14
	v_mul_f32_e32 v12, v15, v14
	v_fma_f32 v11, v15, v13, -v11
	v_fmac_f32_e32 v12, v18, v13
	v_add_u32_e64 v13, s12, 0
	ds_write2_b64 v13, v[11:12], v[11:12] offset0:57 offset1:120
.LBB71_998:
	s_or_b64 exec, exec, s[6:7]
	v_mov_b32_e32 v11, 0
	v_mov_b32_e32 v12, 0
	s_waitcnt lgkmcnt(0)
	s_barrier
	s_and_saveexec_b64 s[6:7], s[22:23]
	s_cbranch_execz .LBB71_1002
; %bb.999:
	v_mul_u32_u24_e32 v13, 0x208, v5
	ds_read_b64 v[11:12], v3 offset:29136
	ds_read_b64 v[13:14], v13 offset:29120
	v_cmp_gt_u32_e64 s[12:13], 2, v1
	s_waitcnt lgkmcnt(0)
	v_mul_f32_e32 v15, v14, v12
	v_mul_f32_e32 v12, v13, v12
	v_fma_f32 v13, v13, v11, -v15
	v_fmac_f32_e32 v12, v14, v11
	v_add_f32_e32 v11, 0, v13
	v_add_f32_e32 v13, 0, v12
	s_and_saveexec_b64 s[14:15], s[12:13]
	s_cbranch_execz .LBB71_1001
; %bb.1000:
	v_lshlrev_b32_e32 v12, 3, v0
	v_mov_b32_e32 v16, 0
	ds_read_b64 v[14:15], v12 offset:29648
	ds_read_b64 v[16:17], v16 offset:29128
	s_waitcnt lgkmcnt(0)
	v_mul_f32_e32 v12, v17, v15
	v_mul_f32_e32 v15, v16, v15
	v_fma_f32 v12, v16, v14, -v12
	v_fmac_f32_e32 v15, v17, v14
	v_add_f32_e32 v11, v11, v12
	v_add_f32_e32 v13, v13, v15
.LBB71_1001:
	s_or_b64 exec, exec, s[14:15]
	v_xor_b32_e32 v12, 0x80000000, v11
	v_xor_b32_e32 v11, 0x80000000, v13
.LBB71_1002:
	s_or_b64 exec, exec, s[6:7]
	s_and_saveexec_b64 s[6:7], s[38:39]
	s_cbranch_execz .LBB71_1004
; %bb.1003:
	v_mov_b32_e32 v13, 0
	ds_read_b64 v[13:14], v13 offset:30160
	s_waitcnt lgkmcnt(0)
	v_mul_f32_e32 v16, v11, v14
	v_mul_f32_e32 v15, v12, v14
	v_fma_f32 v14, v12, v13, -v16
	v_fmac_f32_e32 v15, v11, v13
	v_mov_b32_e32 v12, v14
	v_mov_b32_e32 v11, v15
	ds_write_b64 v4, v[14:15]
.LBB71_1004:
	s_or_b64 exec, exec, s[6:7]
	s_waitcnt lgkmcnt(0)
	s_barrier
	s_and_saveexec_b64 s[6:7], s[30:31]
	s_cbranch_execz .LBB71_1006
; %bb.1005:
	v_mov_b32_e32 v13, 0
	ds_read_b64 v[13:14], v13 offset:30168
	ds_read_b64 v[15:16], v4
	s_waitcnt lgkmcnt(0)
	v_mul_f32_e32 v17, v16, v14
	v_mul_f32_e32 v14, v15, v14
	v_fma_f32 v15, v15, v13, -v17
	v_fmac_f32_e32 v14, v16, v13
	v_add_f32_e32 v12, v12, v15
	v_add_f32_e32 v11, v11, v14
.LBB71_1006:
	s_or_b64 exec, exec, s[6:7]
	s_barrier
	s_and_saveexec_b64 s[6:7], s[30:31]
	s_cbranch_execz .LBB71_1008
; %bb.1007:
	v_mov_b32_e32 v13, 0
	ds_read_b64 v[13:14], v13 offset:30680
	s_waitcnt lgkmcnt(0)
	v_mul_f32_e32 v16, v11, v14
	v_mul_f32_e32 v15, v12, v14
	v_fma_f32 v14, v12, v13, -v16
	v_fmac_f32_e32 v15, v11, v13
	v_mov_b32_e32 v12, v14
	v_mov_b32_e32 v11, v15
	ds_write_b64 v4, v[14:15]
.LBB71_1008:
	s_or_b64 exec, exec, s[6:7]
	s_waitcnt lgkmcnt(0)
	s_barrier
	s_barrier
	s_and_saveexec_b64 s[6:7], s[22:23]
; %bb.1009:
	v_xor_b32_e32 v13, 0x80000000, v11
	v_xor_b32_e32 v12, 0x80000000, v12
	ds_write_b64 v3, v[12:13] offset:29136
; %bb.1010:
	s_or_b64 exec, exec, s[6:7]
	s_waitcnt lgkmcnt(0)
	s_barrier
	s_barrier
	s_and_saveexec_b64 s[6:7], s[40:41]
	s_cbranch_execz .LBB71_1012
; %bb.1011:
	v_lshlrev_b32_e32 v13, 3, v0
	s_movk_i32 s12, 0x1f8
	v_mad_u32_u24 v14, v0, s12, v13
	ds_read_b64 v[11:12], v14 offset:29136
	s_waitcnt lgkmcnt(0)
	ds_write_b64 v13, v[11:12] offset:30144
	ds_read_b64 v[11:12], v14 offset:29144
	s_waitcnt lgkmcnt(0)
	ds_write_b64 v13, v[11:12] offset:30656
.LBB71_1012:
	s_or_b64 exec, exec, s[6:7]
	s_waitcnt lgkmcnt(0)
	s_barrier
	s_and_saveexec_b64 s[6:7], vcc
	s_cbranch_execz .LBB71_1014
; %bb.1013:
	v_mov_b32_e32 v15, 0
	ds_read_b128 v[11:14], v15 offset:30160
	ds_read_b64 v[15:16], v15 offset:30680
	s_movk_i32 s12, 0x7000
	s_waitcnt lgkmcnt(0)
	v_mul_f32_e32 v17, v16, v12
	v_mul_f32_e32 v18, v15, v12
	v_fma_f32 v15, v15, v11, -v17
	v_fmac_f32_e32 v18, v16, v11
	v_mul_f32_e32 v11, v18, v14
	v_mul_f32_e32 v12, v15, v14
	v_fma_f32 v11, v15, v13, -v11
	v_fmac_f32_e32 v12, v18, v13
	v_add_u32_e64 v13, s12, 0
	ds_write2_b64 v13, v[11:12], v[11:12] offset0:187 offset1:250
.LBB71_1014:
	s_or_b64 exec, exec, s[6:7]
	v_mov_b32_e32 v11, 0
	v_mov_b32_e32 v12, 0
	s_waitcnt lgkmcnt(0)
	s_barrier
	s_and_saveexec_b64 s[6:7], s[10:11]
	s_cbranch_execz .LBB71_1020
; %bb.1015:
	v_mul_u32_u24_e32 v12, 0x208, v10
	ds_read_b64 v[13:14], v6 offset:29152
	ds_read_b64 v[15:16], v12 offset:29120
	v_cmp_gt_u32_e64 s[12:13], 12, v1
	s_waitcnt lgkmcnt(0)
	v_mul_f32_e32 v11, v16, v14
	v_mul_f32_e32 v14, v15, v14
	v_fma_f32 v11, v15, v13, -v11
	v_fmac_f32_e32 v14, v16, v13
	v_add_f32_e32 v11, 0, v11
	v_add_f32_e32 v13, 0, v14
	s_and_saveexec_b64 s[14:15], s[12:13]
	s_cbranch_execnz .LBB71_1164
; %bb.1016:
	s_or_b64 exec, exec, s[14:15]
	v_cmp_gt_u32_e64 s[12:13], 8, v1
	s_and_saveexec_b64 s[14:15], s[12:13]
	s_cbranch_execnz .LBB71_1165
.LBB71_1017:
	s_or_b64 exec, exec, s[14:15]
	v_cmp_gt_u32_e64 s[12:13], 4, v1
	s_and_saveexec_b64 s[14:15], s[12:13]
	s_cbranch_execz .LBB71_1019
.LBB71_1018:
	v_lshlrev_b32_e32 v9, 3, v0
	v_mov_b32_e32 v12, 0
	ds_read_b64 v[9:10], v9 offset:30688
	ds_read_b64 v[14:15], v12 offset:29144
	s_waitcnt lgkmcnt(0)
	v_mul_f32_e32 v12, v15, v10
	v_mul_f32_e32 v10, v14, v10
	v_fma_f32 v12, v14, v9, -v12
	v_fmac_f32_e32 v10, v15, v9
	v_add_f32_e32 v11, v11, v12
	v_add_f32_e32 v13, v13, v10
.LBB71_1019:
	s_or_b64 exec, exec, s[14:15]
	v_xor_b32_e32 v12, 0x80000000, v11
	v_xor_b32_e32 v11, 0x80000000, v13
.LBB71_1020:
	s_or_b64 exec, exec, s[6:7]
	s_and_saveexec_b64 s[6:7], s[44:45]
	s_cbranch_execz .LBB71_1022
; %bb.1021:
	v_mov_b32_e32 v9, 0
	ds_read_b64 v[9:10], v9 offset:31200
	s_waitcnt lgkmcnt(0)
	v_mul_f32_e32 v13, v12, v10
	v_mul_f32_e32 v14, v11, v10
	v_fmac_f32_e32 v13, v11, v9
	v_fma_f32 v12, v12, v9, -v14
	v_mov_b32_e32 v11, v13
	ds_write_b64 v8, v[12:13]
.LBB71_1022:
	s_or_b64 exec, exec, s[6:7]
	s_waitcnt lgkmcnt(0)
	s_barrier
	s_and_saveexec_b64 s[6:7], s[46:47]
	v_readlane_b32 s44, v34, 0
	s_cbranch_execz .LBB71_1024
; %bb.1023:
	ds_read_b64 v[9:10], v7 offset:31200
	ds_read_b64 v[13:14], v8
	s_waitcnt lgkmcnt(0)
	v_mul_f32_e32 v15, v14, v10
	v_mul_f32_e32 v10, v13, v10
	v_fma_f32 v13, v13, v9, -v15
	v_fmac_f32_e32 v10, v14, v9
	v_add_f32_e32 v12, v12, v13
	v_add_f32_e32 v11, v11, v10
.LBB71_1024:
	s_or_b64 exec, exec, s[6:7]
	s_barrier
	s_and_saveexec_b64 s[6:7], s[48:49]
	s_cbranch_execz .LBB71_1026
; %bb.1025:
	v_mov_b32_e32 v9, 0
	ds_read_b64 v[9:10], v9 offset:31720
	s_waitcnt lgkmcnt(0)
	v_mul_f32_e32 v13, v12, v10
	v_mul_f32_e32 v14, v11, v10
	v_fmac_f32_e32 v13, v11, v9
	v_fma_f32 v12, v12, v9, -v14
	v_mov_b32_e32 v11, v13
	ds_write_b64 v8, v[12:13]
.LBB71_1026:
	s_or_b64 exec, exec, s[6:7]
	s_waitcnt lgkmcnt(0)
	s_barrier
	s_and_saveexec_b64 s[6:7], s[50:51]
	s_cbranch_execz .LBB71_1028
; %bb.1027:
	ds_read_b64 v[9:10], v7 offset:31712
	ds_read_b64 v[13:14], v8
	s_waitcnt lgkmcnt(0)
	v_mul_f32_e32 v7, v14, v10
	v_mul_f32_e32 v10, v13, v10
	v_fma_f32 v7, v13, v9, -v7
	v_fmac_f32_e32 v10, v14, v9
	v_add_f32_e32 v12, v12, v7
	v_add_f32_e32 v11, v11, v10
.LBB71_1028:
	s_or_b64 exec, exec, s[6:7]
	s_barrier
	s_and_saveexec_b64 s[6:7], s[52:53]
	s_cbranch_execz .LBB71_1030
; %bb.1029:
	v_mov_b32_e32 v7, 0
	ds_read_b64 v[9:10], v7 offset:32240
	s_waitcnt lgkmcnt(0)
	v_mul_f32_e32 v13, v12, v10
	v_mul_f32_e32 v7, v11, v10
	v_fmac_f32_e32 v13, v11, v9
	v_fma_f32 v12, v12, v9, -v7
	v_mov_b32_e32 v11, v13
	ds_write_b64 v8, v[12:13]
.LBB71_1030:
	s_or_b64 exec, exec, s[6:7]
	s_waitcnt lgkmcnt(0)
	s_barrier
	s_and_saveexec_b64 s[6:7], s[42:43]
	s_cbranch_execz .LBB71_1032
; %bb.1031:
	v_mov_b32_e32 v7, 0
	ds_read_b64 v[9:10], v7 offset:32248
	ds_read_b64 v[13:14], v8
	s_waitcnt lgkmcnt(0)
	v_mul_f32_e32 v7, v14, v10
	v_mul_f32_e32 v10, v13, v10
	v_fma_f32 v7, v13, v9, -v7
	v_fmac_f32_e32 v10, v14, v9
	v_add_f32_e32 v12, v12, v7
	v_add_f32_e32 v11, v11, v10
.LBB71_1032:
	s_or_b64 exec, exec, s[6:7]
	s_barrier
	s_and_saveexec_b64 s[6:7], s[42:43]
	s_cbranch_execz .LBB71_1034
; %bb.1033:
	v_mov_b32_e32 v7, 0
	ds_read_b64 v[9:10], v7 offset:32760
	s_waitcnt lgkmcnt(0)
	v_mul_f32_e32 v13, v12, v10
	v_mul_f32_e32 v7, v11, v10
	v_fmac_f32_e32 v13, v11, v9
	v_fma_f32 v12, v12, v9, -v7
	v_mov_b32_e32 v11, v13
	ds_write_b64 v8, v[12:13]
.LBB71_1034:
	s_or_b64 exec, exec, s[6:7]
	s_waitcnt lgkmcnt(0)
	s_barrier
	s_barrier
	s_and_saveexec_b64 s[6:7], s[10:11]
; %bb.1035:
	v_xor_b32_e32 v7, 0x80000000, v12
	v_xor_b32_e32 v8, 0x80000000, v11
	ds_write_b64 v6, v[7:8] offset:29152
; %bb.1036:
	s_or_b64 exec, exec, s[6:7]
	s_waitcnt lgkmcnt(0)
	s_barrier
	s_barrier
	s_and_saveexec_b64 s[6:7], s[54:55]
	s_cbranch_execz .LBB71_1038
; %bb.1037:
	v_lshlrev_b32_e32 v8, 9, v0
	ds_read_b64 v[6:7], v8 offset:29152
	s_movk_i32 s10, 0xfe08
	v_mad_i32_i24 v9, v0, s10, v8
	s_waitcnt lgkmcnt(0)
	ds_write_b64 v9, v[6:7] offset:31168
	ds_read_b64 v[6:7], v8 offset:29160
	s_waitcnt lgkmcnt(0)
	ds_write_b64 v9, v[6:7] offset:31680
	ds_read_b64 v[6:7], v8 offset:29168
	;; [unrolled: 3-line block ×3, first 2 shown]
	s_waitcnt lgkmcnt(0)
	ds_write_b64 v9, v[6:7] offset:32704
.LBB71_1038:
	s_or_b64 exec, exec, s[6:7]
	s_waitcnt lgkmcnt(0)
	s_barrier
	s_and_saveexec_b64 s[6:7], vcc
	s_cbranch_execz .LBB71_1040
; %bb.1039:
	v_mov_b32_e32 v10, 0
	ds_read_b128 v[6:9], v10 offset:31200
	ds_read_b64 v[10:11], v10 offset:31720
	s_movk_i32 s10, 0x7800
	s_waitcnt lgkmcnt(0)
	v_mul_f32_e32 v12, v11, v7
	v_mul_f32_e32 v13, v10, v7
	v_fma_f32 v10, v10, v6, -v12
	v_fmac_f32_e32 v13, v11, v6
	v_mul_f32_e32 v6, v13, v9
	v_mul_f32_e32 v7, v10, v9
	v_fma_f32 v6, v10, v8, -v6
	v_fmac_f32_e32 v7, v13, v8
	v_add_u32_e64 v8, s10, 0
	ds_write2_b64 v8, v[6:7], v[6:7] offset0:61 offset1:124
.LBB71_1040:
	s_or_b64 exec, exec, s[6:7]
	v_mov_b32_e32 v6, 0
	v_mov_b32_e32 v7, 0
	s_waitcnt lgkmcnt(0)
	s_barrier
	s_and_saveexec_b64 s[6:7], s[22:23]
	s_cbranch_execz .LBB71_1044
; %bb.1041:
	v_mul_u32_u24_e32 v7, 0x208, v5
	ds_read_b64 v[5:6], v3 offset:31216
	ds_read_b64 v[7:8], v7 offset:31200
	v_cmp_gt_u32_e64 s[10:11], 2, v1
	s_waitcnt lgkmcnt(0)
	v_mul_f32_e32 v9, v8, v6
	v_mul_f32_e32 v6, v7, v6
	v_fma_f32 v7, v7, v5, -v9
	v_fmac_f32_e32 v6, v8, v5
	v_add_f32_e32 v5, 0, v7
	v_add_f32_e32 v6, 0, v6
	s_and_saveexec_b64 s[12:13], s[10:11]
	s_cbranch_execz .LBB71_1043
; %bb.1042:
	v_lshlrev_b32_e32 v7, 3, v0
	v_mov_b32_e32 v9, 0
	ds_read_b64 v[7:8], v7 offset:31728
	ds_read_b64 v[9:10], v9 offset:31208
	s_waitcnt lgkmcnt(0)
	v_mul_f32_e32 v11, v10, v8
	v_mul_f32_e32 v8, v9, v8
	v_fma_f32 v9, v9, v7, -v11
	v_fmac_f32_e32 v8, v10, v7
	v_add_f32_e32 v5, v5, v9
	v_add_f32_e32 v6, v6, v8
.LBB71_1043:
	s_or_b64 exec, exec, s[12:13]
	v_xor_b32_e32 v7, 0x80000000, v5
	v_xor_b32_e32 v6, 0x80000000, v6
.LBB71_1044:
	s_or_b64 exec, exec, s[6:7]
	s_and_saveexec_b64 s[6:7], s[38:39]
	s_cbranch_execz .LBB71_1046
; %bb.1045:
	v_mov_b32_e32 v5, 0
	ds_read_b64 v[8:9], v5 offset:32240
	s_waitcnt lgkmcnt(0)
	v_mul_f32_e32 v5, v6, v9
	v_mul_f32_e32 v10, v7, v9
	v_fma_f32 v9, v7, v8, -v5
	v_fmac_f32_e32 v10, v6, v8
	v_mov_b32_e32 v7, v9
	v_mov_b32_e32 v6, v10
	ds_write_b64 v4, v[9:10]
.LBB71_1046:
	s_or_b64 exec, exec, s[6:7]
	s_waitcnt lgkmcnt(0)
	s_barrier
	s_and_saveexec_b64 s[6:7], s[30:31]
	s_load_dword s24, s[4:5], 0x6c
	s_cbranch_execz .LBB71_1048
; %bb.1047:
	v_mov_b32_e32 v5, 0
	ds_read_b64 v[8:9], v5 offset:32248
	ds_read_b64 v[10:11], v4
	s_waitcnt lgkmcnt(0)
	v_mul_f32_e32 v5, v11, v9
	v_mul_f32_e32 v9, v10, v9
	v_fma_f32 v5, v10, v8, -v5
	v_fmac_f32_e32 v9, v11, v8
	v_add_f32_e32 v7, v7, v5
	v_add_f32_e32 v6, v6, v9
.LBB71_1048:
	s_or_b64 exec, exec, s[6:7]
	s_waitcnt lgkmcnt(0)
	s_barrier
	s_and_saveexec_b64 s[6:7], s[30:31]
	s_cbranch_execz .LBB71_1050
; %bb.1049:
	v_mov_b32_e32 v5, 0
	ds_read_b64 v[8:9], v5 offset:32760
	s_waitcnt lgkmcnt(0)
	v_mul_f32_e32 v5, v6, v9
	v_mul_f32_e32 v10, v7, v9
	v_fma_f32 v9, v7, v8, -v5
	v_fmac_f32_e32 v10, v6, v8
	v_mov_b32_e32 v7, v9
	v_mov_b32_e32 v6, v10
	ds_write_b64 v4, v[9:10]
.LBB71_1050:
	s_or_b64 exec, exec, s[6:7]
	s_waitcnt lgkmcnt(0)
	s_barrier
	s_barrier
	s_and_saveexec_b64 s[6:7], s[22:23]
; %bb.1051:
	v_xor_b32_e32 v5, 0x80000000, v6
	v_xor_b32_e32 v4, 0x80000000, v7
	ds_write_b64 v3, v[4:5] offset:31216
; %bb.1052:
	s_or_b64 exec, exec, s[6:7]
	s_waitcnt lgkmcnt(0)
	s_barrier
	s_barrier
	s_and_saveexec_b64 s[6:7], s[40:41]
	s_cbranch_execz .LBB71_1054
; %bb.1053:
	v_lshlrev_b32_e32 v5, 3, v0
	s_movk_i32 s10, 0x1f8
	v_mad_u32_u24 v6, v0, s10, v5
	ds_read_b64 v[3:4], v6 offset:31216
	s_waitcnt lgkmcnt(0)
	ds_write_b64 v5, v[3:4] offset:32224
	ds_read_b64 v[3:4], v6 offset:31224
	s_waitcnt lgkmcnt(0)
	ds_write_b64 v5, v[3:4] offset:32736
.LBB71_1054:
	s_or_b64 exec, exec, s[6:7]
	s_waitcnt lgkmcnt(0)
	s_barrier
	s_and_saveexec_b64 s[6:7], vcc
	s_cbranch_execz .LBB71_1056
; %bb.1055:
	v_mov_b32_e32 v7, 0
	ds_read_b128 v[3:6], v7 offset:32240
	ds_read_b64 v[7:8], v7 offset:32760
	s_movk_i32 s10, 0x7800
	s_waitcnt lgkmcnt(0)
	v_mul_f32_e32 v9, v8, v4
	v_mul_f32_e32 v10, v7, v4
	v_fma_f32 v7, v7, v3, -v9
	v_fmac_f32_e32 v10, v8, v3
	v_mul_f32_e32 v3, v10, v6
	v_mul_f32_e32 v4, v7, v6
	v_fma_f32 v3, v7, v5, -v3
	v_fmac_f32_e32 v4, v10, v5
	v_add_u32_e64 v5, s10, 0
	ds_write2_b64 v5, v[3:4], v[3:4] offset0:191 offset1:254
.LBB71_1056:
	s_or_b64 exec, exec, s[6:7]
.LBB71_1057:
	s_load_dwordx8 s[16:23], s[4:5], 0x30
	s_load_dwordx2 s[6:7], s[4:5], 0x50
	v_cmp_le_i32_e32 vcc, s90, v0
	v_mov_b32_e32 v3, 0
	v_add_u32_e32 v5, s33, v0
	s_waitcnt lgkmcnt(0)
	s_mul_i32 s11, s23, s34
	s_mul_hi_u32 s12, s22, s34
	s_mul_i32 s10, s22, s34
	s_add_i32 s11, s12, s11
	s_lshl_b64 s[10:11], s[10:11], 3
	s_add_u32 s12, s16, s10
	s_addc_u32 s13, s17, s11
	s_lshl_b64 s[10:11], s[18:19], 3
	s_add_u32 s30, s12, s10
	s_addc_u32 s31, s13, s11
	s_and_b64 s[18:19], vcc, s[26:27]
	v_cmp_eq_u32_e64 s[16:17], 0, v2
	s_xor_b64 s[10:11], s[18:19], -1
	s_and_b64 s[12:13], s[16:17], s[10:11]
	v_mov_b32_e32 v4, 0
	s_barrier
	s_and_saveexec_b64 s[10:11], s[12:13]
	s_cbranch_execz .LBB71_1059
; %bb.1058:
	v_ashrrev_i32_e32 v6, 31, v5
	v_mul_lo_u32 v7, s21, v5
	v_mad_u64_u32 v[3:4], s[12:13], s20, v5, 0
	v_mul_lo_u32 v6, s20, v6
	s_load_dwordx2 s[12:13], s[4:5], 0x28
	v_add3_u32 v4, v4, v6, v7
	v_lshlrev_b64 v[3:4], 3, v[3:4]
	v_mov_b32_e32 v6, s31
	v_add_co_u32_e32 v3, vcc, s30, v3
	v_addc_co_u32_e32 v4, vcc, v6, v4, vcc
	global_load_dwordx2 v[6:7], v[3:4], off
	s_waitcnt vmcnt(0) lgkmcnt(0)
	v_mul_f32_e32 v3, s12, v6
	v_mul_f32_e32 v4, s12, v7
	v_fma_f32 v3, s13, v7, -v3
	v_fma_f32 v4, v6, -s13, -v4
.LBB71_1059:
	s_or_b64 exec, exec, s[10:11]
	s_and_b32 s4, 0xffff, s24
	v_mad_u32_u24 v8, v2, s4, v0
	s_cmp_lt_i32 s8, 1
	v_cmp_eq_u32_e64 s[4:5], 0, v8
	s_cbranch_scc1 .LBB71_1078
; %bb.1060:
	v_ashrrev_i32_e32 v6, 31, v5
	v_mul_lo_u32 v9, s28, v6
	v_mul_lo_u32 v10, s29, v5
	v_mad_u64_u32 v[6:7], s[10:11], s28, v5, 0
	v_cmp_gt_i32_e64 s[12:13], s36, v5
	s_lshl_b64 s[10:11], s[34:35], 2
	v_add3_u32 v7, v7, v9, v10
	v_lshlrev_b64 v[5:6], 3, v[6:7]
	s_mov_b64 s[22:23], src_private_base
	s_add_u32 s24, s6, s10
	v_mov_b32_e32 v10, 0xa000
	v_mov_b32_e32 v7, s92
	v_add_co_u32_e32 v11, vcc, s91, v5
	s_mov_b32 s22, 0
	s_addc_u32 s25, s7, s11
	v_cmp_gt_u32_e64 s[10:11], 64, v8
	v_lshl_add_u32 v9, v8, 3, v10
	v_lshl_or_b32 v10, v2, 3, v10
	s_add_i32 s93, s93, 1
	v_addc_co_u32_e32 v12, vcc, v7, v6, vcc
	v_mov_b32_e32 v15, -1
	v_mov_b32_e32 v5, 0
	v_mov_b32_e32 v13, 0
	;; [unrolled: 1-line block ×5, first 2 shown]
	s_branch .LBB71_1062
.LBB71_1061:                            ;   in Loop: Header=BB71_1062 Depth=1
	s_or_b64 exec, exec, s[28:29]
	s_add_i32 s22, s22, 1
	s_cmp_eq_u32 s22, s8
	s_cbranch_scc1 .LBB71_1078
.LBB71_1062:                            ; =>This Loop Header: Depth=1
                                        ;     Child Loop BB71_1064 Depth 2
	v_cmp_gt_i32_e32 vcc, s22, v15
	s_and_b64 s[28:29], s[4:5], vcc
	s_and_saveexec_b64 s[14:15], s[28:29]
	s_cbranch_execz .LBB71_1065
; %bb.1063:                             ;   in Loop: Header=BB71_1062 Depth=1
	global_load_dword v15, v5, s[24:25]
	s_waitcnt vmcnt(0)
	v_cmp_le_i32_e32 vcc, s22, v15
	s_cbranch_vccnz .LBB71_1065
.LBB71_1064:                            ;   Parent Loop BB71_1062 Depth=1
                                        ; =>  This Inner Loop Header: Depth=2
	buffer_wbinvl1_vol
	global_load_dword v15, v5, s[24:25]
	s_waitcnt vmcnt(0)
	v_cmp_gt_i32_e32 vcc, s22, v15
	s_cbranch_vccnz .LBB71_1064
.LBB71_1065:                            ;   in Loop: Header=BB71_1062 Depth=1
	s_or_b64 exec, exec, s[14:15]
	s_sub_i32 s38, s9, s22
	s_lshl_b32 s39, s38, 6
	buffer_wbinvl1_vol
	s_barrier
	s_and_saveexec_b64 s[14:15], s[10:11]
	s_cbranch_execz .LBB71_1070
; %bb.1066:                             ;   in Loop: Header=BB71_1062 Depth=1
	s_ashr_i32 s28, s39, 31
	v_mov_b32_e32 v7, s28
	v_or_b32_e32 v6, s39, v8
	v_cmp_le_i64_e32 vcc, s[36:37], v[6:7]
	s_and_saveexec_b64 s[28:29], vcc
	s_xor_b64 s[28:29], exec, s[28:29]
; %bb.1067:                             ;   in Loop: Header=BB71_1062 Depth=1
	v_mov_b32_e32 v6, v5
	ds_write_b64 v9, v[5:6]
                                        ; implicit-def: $vgpr6_vgpr7
; %bb.1068:                             ;   in Loop: Header=BB71_1062 Depth=1
	s_andn2_saveexec_b64 s[28:29], s[28:29]
	s_cbranch_execz .LBB71_1070
; %bb.1069:                             ;   in Loop: Header=BB71_1062 Depth=1
	v_mul_lo_u32 v18, v7, s20
	v_mul_lo_u32 v19, v6, s21
	v_mad_u64_u32 v[6:7], s[28:29], v6, s20, 0
	v_add3_u32 v7, v7, v19, v18
	v_lshlrev_b64 v[6:7], 3, v[6:7]
	v_mov_b32_e32 v18, s31
	v_add_co_u32_e32 v6, vcc, s30, v6
	v_addc_co_u32_e32 v7, vcc, v18, v7, vcc
	global_load_dwordx2 v[6:7], v[6:7], off
	s_waitcnt vmcnt(0)
	ds_write_b64 v9, v[6:7]
.LBB71_1070:                            ;   in Loop: Header=BB71_1062 Depth=1
	s_or_b64 exec, exec, s[14:15]
	v_add_u32_e32 v6, s39, v2
	v_ashrrev_i32_e32 v7, 31, v6
	v_lshlrev_b64 v[18:19], 3, v[6:7]
	s_cmp_eq_u32 s38, s93
	v_add_co_u32_e32 v18, vcc, v11, v18
	v_addc_co_u32_e32 v7, vcc, v12, v19, vcc
	v_cmp_gt_i32_e32 vcc, s36, v6
	s_cselect_b64 s[14:15], -1, 0
	s_and_b64 s[38:39], vcc, s[12:13]
	s_waitcnt lgkmcnt(0)
	s_barrier
	s_and_saveexec_b64 s[28:29], s[38:39]
	s_cbranch_execz .LBB71_1072
; %bb.1071:                             ;   in Loop: Header=BB71_1062 Depth=1
	v_mov_b32_e32 v19, s23
	v_cndmask_b32_e64 v20, v7, v19, s[14:15]
	v_cndmask_b32_e64 v19, v18, v13, s[14:15]
	flat_load_dwordx2 v[19:20], v[19:20]
	ds_read_b64 v[21:22], v10
	s_waitcnt vmcnt(0) lgkmcnt(0)
	v_mul_f32_e32 v23, v22, v20
	v_mul_f32_e32 v20, v21, v20
	v_fma_f32 v21, v21, v19, -v23
	v_fmac_f32_e32 v20, v22, v19
	v_add_f32_e32 v3, v3, v21
	v_add_f32_e32 v4, v4, v20
.LBB71_1072:                            ;   in Loop: Header=BB71_1062 Depth=1
	s_or_b64 exec, exec, s[28:29]
	v_add_u32_e32 v19, 16, v6
	v_cmp_gt_i32_e32 vcc, s36, v19
	s_and_b64 s[38:39], vcc, s[12:13]
	s_and_saveexec_b64 s[28:29], s[38:39]
	s_cbranch_execz .LBB71_1074
; %bb.1073:                             ;   in Loop: Header=BB71_1062 Depth=1
	v_add_co_u32_e32 v19, vcc, 0x80, v18
	v_addc_co_u32_e32 v20, vcc, 0, v7, vcc
	v_mov_b32_e32 v21, s23
	v_cndmask_b32_e64 v20, v20, v21, s[14:15]
	v_cndmask_b32_e64 v19, v19, v14, s[14:15]
	flat_load_dwordx2 v[19:20], v[19:20]
	ds_read_b64 v[21:22], v10 offset:128
	s_waitcnt vmcnt(0) lgkmcnt(0)
	v_mul_f32_e32 v23, v22, v20
	v_mul_f32_e32 v20, v21, v20
	v_fma_f32 v21, v21, v19, -v23
	v_fmac_f32_e32 v20, v22, v19
	v_add_f32_e32 v3, v3, v21
	v_add_f32_e32 v4, v4, v20
.LBB71_1074:                            ;   in Loop: Header=BB71_1062 Depth=1
	s_or_b64 exec, exec, s[28:29]
	v_add_u32_e32 v19, 32, v6
	v_cmp_gt_i32_e32 vcc, s36, v19
	s_and_b64 s[38:39], vcc, s[12:13]
	s_and_saveexec_b64 s[28:29], s[38:39]
	s_cbranch_execz .LBB71_1076
; %bb.1075:                             ;   in Loop: Header=BB71_1062 Depth=1
	v_add_co_u32_e32 v19, vcc, 0x100, v18
	v_addc_co_u32_e32 v20, vcc, 0, v7, vcc
	v_mov_b32_e32 v21, s23
	v_cndmask_b32_e64 v20, v20, v21, s[14:15]
	v_cndmask_b32_e64 v19, v19, v16, s[14:15]
	flat_load_dwordx2 v[19:20], v[19:20]
	ds_read_b64 v[21:22], v10 offset:256
	s_waitcnt vmcnt(0) lgkmcnt(0)
	v_mul_f32_e32 v23, v22, v20
	v_mul_f32_e32 v20, v21, v20
	v_fma_f32 v21, v21, v19, -v23
	v_fmac_f32_e32 v20, v22, v19
	v_add_f32_e32 v3, v3, v21
	v_add_f32_e32 v4, v4, v20
.LBB71_1076:                            ;   in Loop: Header=BB71_1062 Depth=1
	s_or_b64 exec, exec, s[28:29]
	v_add_u32_e32 v6, 48, v6
	v_cmp_gt_i32_e32 vcc, s36, v6
	s_and_b64 s[38:39], vcc, s[12:13]
	s_and_saveexec_b64 s[28:29], s[38:39]
	s_cbranch_execz .LBB71_1061
; %bb.1077:                             ;   in Loop: Header=BB71_1062 Depth=1
	v_add_co_u32_e32 v6, vcc, 0x180, v18
	v_addc_co_u32_e32 v7, vcc, 0, v7, vcc
	v_mov_b32_e32 v18, s23
	v_cndmask_b32_e64 v7, v7, v18, s[14:15]
	v_cndmask_b32_e64 v6, v6, v17, s[14:15]
	flat_load_dwordx2 v[6:7], v[6:7]
	ds_read_b64 v[18:19], v10 offset:384
	s_waitcnt vmcnt(0) lgkmcnt(0)
	v_mul_f32_e32 v20, v19, v7
	v_mul_f32_e32 v7, v18, v7
	v_fma_f32 v18, v18, v6, -v20
	v_fmac_f32_e32 v7, v19, v6
	v_add_f32_e32 v3, v3, v18
	v_add_f32_e32 v4, v4, v7
	s_branch .LBB71_1061
.LBB71_1078:
	s_xor_b64 s[4:5], s[26:27], -1
	v_lshlrev_b32_e32 v1, 3, v1
	ds_write_b64 v1, v[3:4] offset:32768
	s_waitcnt lgkmcnt(0)
	s_barrier
	s_and_saveexec_b64 s[8:9], s[16:17]
	s_cbranch_execz .LBB71_1080
; %bb.1079:
	v_lshlrev_b32_e32 v7, 3, v0
	ds_read2st64_b64 v[9:12], v7 offset0:65 offset1:66
	ds_read2st64_b64 v[13:16], v7 offset0:67 offset1:68
	ds_read_b64 v[17:18], v7 offset:40448
	s_waitcnt lgkmcnt(2)
	v_add_f32_e32 v3, v3, v9
	v_add_f32_e32 v4, v4, v10
	;; [unrolled: 1-line block ×4, first 2 shown]
	ds_read2st64_b64 v[3:6], v7 offset0:69 offset1:70
	s_waitcnt lgkmcnt(2)
	v_add_f32_e32 v9, v9, v13
	v_add_f32_e32 v10, v10, v14
	;; [unrolled: 1-line block ×4, first 2 shown]
	s_waitcnt lgkmcnt(0)
	v_add_f32_e32 v3, v9, v3
	ds_read2st64_b64 v[9:12], v7 offset0:71 offset1:72
	v_add_f32_e32 v4, v13, v4
	v_add_f32_e32 v13, v3, v5
	;; [unrolled: 1-line block ×3, first 2 shown]
	ds_read2st64_b64 v[3:6], v7 offset0:73 offset1:74
	s_waitcnt lgkmcnt(1)
	v_add_f32_e32 v9, v13, v9
	v_add_f32_e32 v10, v14, v10
	;; [unrolled: 1-line block ×4, first 2 shown]
	s_waitcnt lgkmcnt(0)
	v_add_f32_e32 v3, v9, v3
	ds_read2st64_b64 v[9:12], v7 offset0:75 offset1:76
	v_add_f32_e32 v4, v13, v4
	v_add_f32_e32 v13, v3, v5
	;; [unrolled: 1-line block ×3, first 2 shown]
	ds_read2st64_b64 v[3:6], v7 offset0:77 offset1:78
	s_waitcnt lgkmcnt(1)
	v_add_f32_e32 v7, v13, v9
	v_add_f32_e32 v9, v14, v10
	;; [unrolled: 1-line block ×4, first 2 shown]
	s_waitcnt lgkmcnt(0)
	v_add_f32_e32 v3, v7, v3
	v_add_f32_e32 v4, v9, v4
	;; [unrolled: 1-line block ×6, first 2 shown]
	v_cndmask_b32_e64 v3, -v3, 0, s[18:19]
	v_cndmask_b32_e64 v4, -v4, 0, s[18:19]
.LBB71_1080:
	s_or_b64 exec, exec, s[8:9]
	s_and_b64 vcc, exec, s[58:59]
	s_cbranch_vccnz .LBB71_1093
; %bb.1081:
	v_mov_b32_e32 v5, 0xa000
	v_lshl_or_b32 v7, v2, 3, v5
	s_and_saveexec_b64 s[8:9], s[16:17]
; %bb.1082:
	v_lshl_add_u32 v5, v0, 3, v7
	ds_write_b64 v5, v[3:4]
; %bb.1083:
	s_or_b64 exec, exec, s[8:9]
	v_cmp_le_u32_e32 vcc, v0, v2
	v_mov_b32_e32 v5, 0
	v_mov_b32_e32 v6, 0
	s_waitcnt lgkmcnt(0)
	s_barrier
	s_and_saveexec_b64 s[8:9], vcc
	s_cbranch_execz .LBB71_1085
; %bb.1084:
	ds_read_b64 v[5:6], v1
	ds_read_b64 v[9:10], v7
	s_waitcnt lgkmcnt(0)
	v_mul_f32_e32 v11, v10, v6
	v_mul_f32_e32 v6, v9, v6
	v_fma_f32 v9, v9, v5, -v11
	v_fmac_f32_e32 v6, v10, v5
	v_add_f32_e32 v5, 0, v9
	v_add_f32_e32 v6, 0, v6
.LBB71_1085:
	s_or_b64 exec, exec, s[8:9]
	v_add_u32_e32 v9, 16, v2
	v_cmp_le_u32_e32 vcc, v0, v9
	s_and_saveexec_b64 s[8:9], vcc
	s_cbranch_execz .LBB71_1087
; %bb.1086:
	ds_read_b64 v[9:10], v1 offset:8192
	ds_read_b64 v[11:12], v7 offset:128
	s_waitcnt lgkmcnt(0)
	v_mul_f32_e32 v13, v12, v10
	v_mul_f32_e32 v10, v11, v10
	v_fma_f32 v11, v11, v9, -v13
	v_fmac_f32_e32 v10, v12, v9
	v_add_f32_e32 v5, v5, v11
	v_add_f32_e32 v6, v6, v10
.LBB71_1087:
	s_or_b64 exec, exec, s[8:9]
	v_add_u32_e32 v9, 32, v2
	v_cmp_le_u32_e32 vcc, v0, v9
	s_and_saveexec_b64 s[8:9], vcc
	s_cbranch_execz .LBB71_1089
; %bb.1088:
	ds_read_b64 v[9:10], v1 offset:16384
	ds_read_b64 v[11:12], v7 offset:256
	s_waitcnt lgkmcnt(0)
	v_mul_f32_e32 v13, v12, v10
	v_mul_f32_e32 v10, v11, v10
	v_fma_f32 v11, v11, v9, -v13
	v_fmac_f32_e32 v10, v12, v9
	v_add_f32_e32 v5, v5, v11
	v_add_f32_e32 v6, v6, v10
.LBB71_1089:
	s_or_b64 exec, exec, s[8:9]
	v_add_u32_e32 v2, 48, v2
	v_add_u32_e32 v9, 0x8000, v1
	v_cmp_le_u32_e32 vcc, v0, v2
	s_and_saveexec_b64 s[8:9], vcc
	s_cbranch_execz .LBB71_1091
; %bb.1090:
	ds_read_b64 v[1:2], v1 offset:24576
	ds_read_b64 v[10:11], v7 offset:384
	s_waitcnt lgkmcnt(0)
	v_mul_f32_e32 v7, v11, v2
	v_mul_f32_e32 v2, v10, v2
	v_fma_f32 v7, v10, v1, -v7
	v_fmac_f32_e32 v2, v11, v1
	v_add_f32_e32 v5, v5, v7
	v_add_f32_e32 v6, v6, v2
.LBB71_1091:
	s_or_b64 exec, exec, s[8:9]
	s_mov_b64 s[10:11], 0
	s_mov_b64 s[8:9], 0
	ds_write_b64 v9, v[5:6]
	s_waitcnt lgkmcnt(0)
	s_barrier
                                        ; implicit-def: $vgpr1
                                        ; implicit-def: $vgpr2
	s_and_saveexec_b64 s[12:13], s[16:17]
	s_cbranch_execz .LBB71_1112
; %bb.1092:
	v_lshlrev_b32_e32 v1, 3, v0
	ds_read2st64_b64 v[9:12], v1 offset0:65 offset1:66
	ds_read2st64_b64 v[13:16], v1 offset0:67 offset1:68
	ds_read_b64 v[17:18], v1 offset:40448
	s_mov_b64 s[8:9], exec
	s_waitcnt lgkmcnt(2)
	v_add_f32_e32 v2, v5, v9
	v_add_f32_e32 v5, v6, v10
	v_add_f32_e32 v2, v2, v11
	v_add_f32_e32 v5, v5, v12
	ds_read2st64_b64 v[9:12], v1 offset0:69 offset1:70
	s_waitcnt lgkmcnt(2)
	v_add_f32_e32 v2, v2, v13
	v_add_f32_e32 v5, v5, v14
	v_add_f32_e32 v2, v2, v15
	v_add_f32_e32 v5, v5, v16
	ds_read2st64_b64 v[13:16], v1 offset0:71 offset1:72
	;; [unrolled: 6-line block ×5, first 2 shown]
	s_waitcnt lgkmcnt(1)
	v_add_f32_e32 v1, v2, v13
	v_add_f32_e32 v2, v5, v14
	;; [unrolled: 1-line block ×4, first 2 shown]
	s_waitcnt lgkmcnt(0)
	v_add_f32_e32 v1, v1, v9
	v_add_f32_e32 v2, v2, v10
	;; [unrolled: 1-line block ×6, first 2 shown]
	s_or_b64 exec, exec, s[12:13]
	s_and_b64 vcc, exec, s[10:11]
	s_cbranch_vccnz .LBB71_1094
	s_branch .LBB71_1113
.LBB71_1093:
	s_mov_b64 s[8:9], 0
                                        ; implicit-def: $vgpr1
                                        ; implicit-def: $vgpr2
	s_cbranch_execz .LBB71_1113
.LBB71_1094:
	s_movk_i32 s10, 0x208
	v_lshlrev_b32_e32 v2, 9, v0
	v_mov_b32_e32 v5, 0x7c00
	v_mul_u32_u24_e32 v1, 0x208, v0
	v_sub_u32_e32 v2, 0, v2
	v_mad_u32_u24 v5, v0, s10, v5
	s_mov_b32 s12, 63
	s_movk_i32 s13, 0x8200
	v_mov_b32_e32 v6, 0
	s_branch .LBB71_1096
.LBB71_1095:                            ;   in Loop: Header=BB71_1096 Depth=1
	s_or_b64 exec, exec, s[10:11]
	s_add_i32 s12, s12, -2
	s_cmp_lg_u32 s14, 0
	v_add_u32_e32 v2, 0xfffffc00, v2
	s_barrier
	s_cbranch_scc0 .LBB71_1104
.LBB71_1096:                            ; =>This Inner Loop Header: Depth=1
	v_cmp_eq_u32_e32 vcc, s13, v2
	s_and_b64 s[14:15], s[16:17], vcc
	s_and_saveexec_b64 s[10:11], s[14:15]
	s_cbranch_execz .LBB71_1098
; %bb.1097:                             ;   in Loop: Header=BB71_1096 Depth=1
	ds_read_b64 v[9:10], v1
	s_waitcnt lgkmcnt(0)
	v_mul_f32_e32 v7, v4, v10
	v_mul_f32_e32 v11, v3, v10
	v_fma_f32 v10, v3, v9, -v7
	v_fmac_f32_e32 v11, v4, v9
	v_mov_b32_e32 v3, v10
	v_mov_b32_e32 v4, v11
	ds_write_b64 v6, v[10:11] offset:41472
.LBB71_1098:                            ;   in Loop: Header=BB71_1096 Depth=1
	s_or_b64 exec, exec, s[10:11]
	v_cmp_gt_u32_e32 vcc, s12, v0
	s_and_b64 s[14:15], s[16:17], vcc
	v_add_u32_e32 v7, v5, v2
	s_waitcnt lgkmcnt(0)
	s_barrier
	s_and_saveexec_b64 s[10:11], s[14:15]
	s_cbranch_execz .LBB71_1100
; %bb.1099:                             ;   in Loop: Header=BB71_1096 Depth=1
	ds_read_b64 v[9:10], v7 offset:512
	ds_read_b64 v[11:12], v6 offset:41472
	s_waitcnt lgkmcnt(0)
	v_mul_f32_e32 v13, v12, v10
	v_mul_f32_e32 v10, v11, v10
	v_fma_f32 v11, v11, v9, -v13
	v_fmac_f32_e32 v10, v12, v9
	v_add_f32_e32 v3, v3, v11
	v_add_f32_e32 v4, v4, v10
.LBB71_1100:                            ;   in Loop: Header=BB71_1096 Depth=1
	s_or_b64 exec, exec, s[10:11]
	s_add_i32 s14, s12, -1
	v_cmp_eq_u32_e32 vcc, s14, v0
	s_and_b64 s[18:19], s[16:17], vcc
	s_barrier
	s_and_saveexec_b64 s[10:11], s[18:19]
	s_cbranch_execz .LBB71_1102
; %bb.1101:                             ;   in Loop: Header=BB71_1096 Depth=1
	ds_read_b64 v[9:10], v1
	s_waitcnt lgkmcnt(0)
	v_mul_f32_e32 v12, v4, v10
	v_mul_f32_e32 v11, v3, v10
	v_fma_f32 v10, v3, v9, -v12
	v_fmac_f32_e32 v11, v4, v9
	v_mov_b32_e32 v3, v10
	v_mov_b32_e32 v4, v11
	ds_write_b64 v6, v[10:11] offset:41472
.LBB71_1102:                            ;   in Loop: Header=BB71_1096 Depth=1
	s_or_b64 exec, exec, s[10:11]
	v_cmp_gt_u32_e32 vcc, s14, v0
	s_and_b64 s[18:19], s[16:17], vcc
	s_waitcnt lgkmcnt(0)
	s_barrier
	s_and_saveexec_b64 s[10:11], s[18:19]
	s_cbranch_execz .LBB71_1095
; %bb.1103:                             ;   in Loop: Header=BB71_1096 Depth=1
	ds_read_b64 v[9:10], v7
	ds_read_b64 v[11:12], v6 offset:41472
	s_waitcnt lgkmcnt(0)
	v_mul_f32_e32 v7, v12, v10
	v_mul_f32_e32 v10, v11, v10
	v_fma_f32 v7, v11, v9, -v7
	v_fmac_f32_e32 v10, v12, v9
	v_add_f32_e32 v3, v3, v7
	v_add_f32_e32 v4, v4, v10
	s_branch .LBB71_1095
.LBB71_1104:
	s_mov_b64 s[10:11], -1
	s_and_b64 vcc, exec, s[4:5]
	s_cbranch_vccnz .LBB71_1114
; %bb.1105:
	s_andn2_b64 vcc, exec, s[10:11]
	s_cbranch_vccz .LBB71_1115
.LBB71_1106:
	s_and_saveexec_b64 s[4:5], s[8:9]
	s_cbranch_execz .LBB71_1108
.LBB71_1107:
	v_mov_b32_e32 v0, s44
	v_add_co_u32_e32 v1, vcc, s33, v8
	v_addc_co_u32_e32 v0, vcc, 0, v0, vcc
	v_mul_lo_u32 v2, v0, s20
	v_mul_lo_u32 v5, v1, s21
	v_mad_u64_u32 v[0:1], s[8:9], v1, s20, 0
	v_add3_u32 v1, v1, v5, v2
	v_lshlrev_b64 v[0:1], 3, v[0:1]
	v_mov_b32_e32 v2, s31
	v_add_co_u32_e32 v0, vcc, s30, v0
	v_addc_co_u32_e32 v1, vcc, v2, v1, vcc
	global_store_dwordx2 v[0:1], v[3:4], off
.LBB71_1108:
	s_or_b64 exec, exec, s[4:5]
	v_cmp_eq_u32_e32 vcc, 0, v8
	s_waitcnt vmcnt(0)
	buffer_wbinvl1_vol
	s_barrier
	s_and_saveexec_b64 s[4:5], vcc
	s_cbranch_execz .LBB71_1110
; %bb.1109:
	s_lshl_b64 s[8:9], s[34:35], 2
	s_add_u32 s6, s6, s8
	s_addc_u32 s7, s7, s9
	v_mov_b32_e32 v0, 0
	global_load_dword v1, v0, s[6:7]
	s_waitcnt vmcnt(0)
	v_add_u32_e32 v1, 1, v1
	global_store_dword v0, v1, s[6:7]
.LBB71_1110:
	s_or_b64 exec, exec, s[4:5]
	s_waitcnt vmcnt(0)
	buffer_wbinvl1_vol
	s_endpgm
.LBB71_1111:
                                        ; implicit-def: $sgpr33
	s_cbranch_execnz .LBB71_18
	s_branch .LBB71_19
.LBB71_1112:
	s_or_b64 exec, exec, s[12:13]
	s_and_b64 vcc, exec, s[10:11]
	s_cbranch_vccnz .LBB71_1094
.LBB71_1113:
	v_mov_b32_e32 v4, v1
	v_mov_b32_e32 v3, v2
	s_and_saveexec_b64 s[4:5], s[8:9]
	s_cbranch_execnz .LBB71_1107
	s_branch .LBB71_1108
.LBB71_1114:
	s_andn2_b64 s[4:5], s[8:9], exec
	s_and_b64 s[8:9], s[16:17], exec
	s_or_b64 s[8:9], s[4:5], s[8:9]
	s_cbranch_execnz .LBB71_1106
.LBB71_1115:
	v_cmp_gt_i32_e32 vcc, s90, v0
	s_and_b64 s[4:5], s[16:17], vcc
	s_andn2_b64 s[8:9], s[8:9], exec
	s_and_b64 s[4:5], s[4:5], exec
	s_or_b64 s[8:9], s[8:9], s[4:5]
	s_and_saveexec_b64 s[4:5], s[8:9]
	s_cbranch_execnz .LBB71_1107
	s_branch .LBB71_1108
.LBB71_1116:
	v_lshlrev_b32_e32 v13, 3, v10
	v_sub_u32_e32 v13, v12, v13
	v_lshl_add_u32 v13, v9, 3, v13
	ds_read_b64 v[13:14], v13 offset:544
	ds_read_b64 v[15:16], v12 offset:8
	s_waitcnt lgkmcnt(0)
	v_mul_f32_e32 v17, v16, v14
	v_mul_f32_e32 v14, v15, v14
	v_fma_f32 v15, v15, v13, -v17
	v_fmac_f32_e32 v14, v16, v13
	v_add_f32_e32 v8, v8, v15
	v_add_f32_e32 v11, v11, v14
	s_or_b64 exec, exec, s[18:19]
	v_cmp_gt_u32_e64 s[14:15], 8, v1
	s_and_saveexec_b64 s[18:19], s[14:15]
	s_cbranch_execz .LBB71_157
.LBB71_1117:
	ds_read_b64 v[13:14], v6 offset:1056
	ds_read_b64 v[15:16], v12 offset:16
	s_waitcnt lgkmcnt(0)
	v_mul_f32_e32 v12, v16, v14
	v_mul_f32_e32 v14, v15, v14
	v_fma_f32 v12, v15, v13, -v12
	v_fmac_f32_e32 v14, v16, v13
	v_add_f32_e32 v8, v8, v12
	v_add_f32_e32 v11, v11, v14
	s_or_b64 exec, exec, s[18:19]
	v_cmp_gt_u32_e64 s[14:15], 4, v1
	s_and_saveexec_b64 s[18:19], s[14:15]
	s_cbranch_execnz .LBB71_158
	s_branch .LBB71_159
.LBB71_1118:
	v_lshlrev_b32_e32 v18, 3, v15
	v_sub_u32_e32 v18, v17, v18
	v_lshl_add_u32 v18, v14, 3, v18
	ds_read_b64 v[18:19], v18 offset:576
	ds_read_b64 v[20:21], v17 offset:8
	s_waitcnt lgkmcnt(0)
	v_mul_f32_e32 v22, v21, v19
	v_mul_f32_e32 v19, v20, v19
	v_fma_f32 v20, v20, v18, -v22
	v_fmac_f32_e32 v19, v21, v18
	v_add_f32_e32 v13, v13, v20
	v_add_f32_e32 v16, v16, v19
	s_or_b64 exec, exec, s[20:21]
	v_cmp_gt_u32_e64 s[18:19], 48, v1
	s_and_saveexec_b64 s[20:21], s[18:19]
	s_cbranch_execz .LBB71_199
.LBB71_1119:
	v_lshlrev_b32_e32 v18, 3, v15
	v_sub_u32_e32 v18, v17, v18
	v_lshl_add_u32 v18, v14, 3, v18
	ds_read_b64 v[18:19], v18 offset:1088
	ds_read_b64 v[20:21], v17 offset:16
	s_waitcnt lgkmcnt(0)
	v_mul_f32_e32 v22, v21, v19
	v_mul_f32_e32 v19, v20, v19
	v_fma_f32 v20, v20, v18, -v22
	v_fmac_f32_e32 v19, v21, v18
	v_add_f32_e32 v13, v13, v20
	v_add_f32_e32 v16, v16, v19
	s_or_b64 exec, exec, s[20:21]
	v_cmp_gt_u32_e64 s[18:19], 40, v1
	s_and_saveexec_b64 s[20:21], s[18:19]
	s_cbranch_execz .LBB71_200
.LBB71_1120:
	v_lshlrev_b32_e32 v18, 3, v15
	v_sub_u32_e32 v18, v17, v18
	v_lshl_add_u32 v18, v14, 3, v18
	ds_read_b64 v[18:19], v18 offset:1600
	ds_read_b64 v[20:21], v17 offset:24
	s_waitcnt lgkmcnt(0)
	v_mul_f32_e32 v22, v21, v19
	v_mul_f32_e32 v19, v20, v19
	v_fma_f32 v20, v20, v18, -v22
	v_fmac_f32_e32 v19, v21, v18
	v_add_f32_e32 v13, v13, v20
	v_add_f32_e32 v16, v16, v19
	s_or_b64 exec, exec, s[20:21]
	v_cmp_gt_u32_e64 s[18:19], 32, v1
	s_and_saveexec_b64 s[20:21], s[18:19]
	s_cbranch_execz .LBB71_201
.LBB71_1121:
	ds_read_b64 v[18:19], v11 offset:2112
	ds_read_b64 v[20:21], v17 offset:32
	s_waitcnt lgkmcnt(0)
	v_mul_f32_e32 v22, v21, v19
	v_mul_f32_e32 v19, v20, v19
	v_fma_f32 v20, v20, v18, -v22
	v_fmac_f32_e32 v19, v21, v18
	v_add_f32_e32 v13, v13, v20
	v_add_f32_e32 v16, v16, v19
	s_or_b64 exec, exec, s[20:21]
	v_cmp_gt_u32_e64 s[18:19], 24, v1
	s_and_saveexec_b64 s[20:21], s[18:19]
	s_cbranch_execz .LBB71_202
.LBB71_1122:
	v_lshlrev_b32_e32 v18, 3, v15
	v_sub_u32_e32 v18, v17, v18
	v_lshl_add_u32 v18, v14, 3, v18
	ds_read_b64 v[18:19], v18 offset:2624
	ds_read_b64 v[20:21], v17 offset:40
	s_waitcnt lgkmcnt(0)
	v_mul_f32_e32 v22, v21, v19
	v_mul_f32_e32 v19, v20, v19
	v_fma_f32 v20, v20, v18, -v22
	v_fmac_f32_e32 v19, v21, v18
	v_add_f32_e32 v13, v13, v20
	v_add_f32_e32 v16, v16, v19
	s_or_b64 exec, exec, s[20:21]
	v_cmp_gt_u32_e64 s[18:19], 16, v1
	s_and_saveexec_b64 s[20:21], s[18:19]
	s_cbranch_execz .LBB71_203
.LBB71_1123:
	ds_read_b64 v[18:19], v11 offset:3136
	ds_read_b64 v[20:21], v17 offset:48
	s_waitcnt lgkmcnt(0)
	v_mul_f32_e32 v17, v21, v19
	v_mul_f32_e32 v19, v20, v19
	v_fma_f32 v17, v20, v18, -v17
	v_fmac_f32_e32 v19, v21, v18
	v_add_f32_e32 v13, v13, v17
	v_add_f32_e32 v16, v16, v19
	s_or_b64 exec, exec, s[20:21]
	v_cmp_gt_u32_e64 s[18:19], 8, v1
	s_and_saveexec_b64 s[20:21], s[18:19]
	s_cbranch_execnz .LBB71_204
	s_branch .LBB71_205
.LBB71_1124:
	v_lshlrev_b32_e32 v19, 3, v10
	v_sub_u32_e32 v19, v17, v19
	v_lshl_add_u32 v19, v9, 3, v19
	ds_read_b64 v[19:20], v19 offset:4704
	ds_read_b64 v[21:22], v17 offset:4168
	s_waitcnt lgkmcnt(0)
	v_mul_f32_e32 v23, v22, v20
	v_mul_f32_e32 v20, v21, v20
	v_fma_f32 v21, v21, v19, -v23
	v_fmac_f32_e32 v20, v22, v19
	v_add_f32_e32 v16, v16, v21
	v_add_f32_e32 v18, v18, v20
	s_or_b64 exec, exec, s[18:19]
	v_cmp_gt_u32_e64 s[14:15], 8, v1
	s_and_saveexec_b64 s[18:19], s[14:15]
	s_cbranch_execz .LBB71_261
.LBB71_1125:
	ds_read_b64 v[19:20], v6 offset:5216
	ds_read_b64 v[21:22], v17 offset:4176
	s_waitcnt lgkmcnt(0)
	v_mul_f32_e32 v17, v22, v20
	v_mul_f32_e32 v20, v21, v20
	v_fma_f32 v17, v21, v19, -v17
	v_fmac_f32_e32 v20, v22, v19
	v_add_f32_e32 v16, v16, v17
	v_add_f32_e32 v18, v18, v20
	s_or_b64 exec, exec, s[18:19]
	v_cmp_gt_u32_e64 s[14:15], 4, v1
	s_and_saveexec_b64 s[18:19], s[14:15]
	s_cbranch_execnz .LBB71_262
	s_branch .LBB71_263
.LBB71_1126:
	v_lshlrev_b32_e32 v23, 3, v17
	v_lshl_add_u32 v23, v19, 3, v23
	ds_read_b64 v[23:24], v23 offset:5760
	ds_read_b64 v[25:26], v22 offset:88
	s_waitcnt lgkmcnt(0)
	v_mul_f32_e32 v27, v26, v24
	v_mul_f32_e32 v24, v25, v24
	v_fma_f32 v25, v25, v23, -v27
	v_fmac_f32_e32 v24, v26, v23
	v_add_f32_e32 v18, v18, v25
	v_add_f32_e32 v21, v21, v24
	s_or_b64 exec, exec, s[24:25]
	v_cmp_gt_u32_e64 s[20:21], 64, v1
	s_and_saveexec_b64 s[24:25], s[20:21]
	s_cbranch_execz .LBB71_323
.LBB71_1127:
	ds_read_b64 v[23:24], v16 offset:6272
	ds_read_b64 v[25:26], v22 offset:96
	s_waitcnt lgkmcnt(0)
	v_mul_f32_e32 v27, v26, v24
	v_mul_f32_e32 v24, v25, v24
	v_fma_f32 v25, v25, v23, -v27
	v_fmac_f32_e32 v24, v26, v23
	v_add_f32_e32 v18, v18, v25
	v_add_f32_e32 v21, v21, v24
	s_or_b64 exec, exec, s[24:25]
	v_cmp_gt_u32_e64 s[20:21], 48, v1
	s_and_saveexec_b64 s[24:25], s[20:21]
	s_cbranch_execz .LBB71_324
.LBB71_1128:
	v_lshlrev_b32_e32 v23, 3, v17
	v_lshl_add_u32 v23, v19, 3, v23
	ds_read_b64 v[23:24], v23 offset:6784
	ds_read_b64 v[25:26], v22 offset:104
	s_waitcnt lgkmcnt(0)
	v_mul_f32_e32 v27, v26, v24
	v_mul_f32_e32 v24, v25, v24
	v_fma_f32 v25, v25, v23, -v27
	v_fmac_f32_e32 v24, v26, v23
	v_add_f32_e32 v18, v18, v25
	v_add_f32_e32 v21, v21, v24
	s_or_b64 exec, exec, s[24:25]
	v_cmp_gt_u32_e64 s[20:21], 32, v1
	s_and_saveexec_b64 s[24:25], s[20:21]
	s_cbranch_execz .LBB71_325
.LBB71_1129:
	ds_read_b64 v[23:24], v16 offset:7296
	ds_read_b64 v[25:26], v22 offset:112
	s_waitcnt lgkmcnt(0)
	v_mul_f32_e32 v22, v26, v24
	v_mul_f32_e32 v24, v25, v24
	v_fma_f32 v22, v25, v23, -v22
	v_fmac_f32_e32 v24, v26, v23
	v_add_f32_e32 v18, v18, v22
	v_add_f32_e32 v21, v21, v24
	s_or_b64 exec, exec, s[24:25]
	v_cmp_gt_u32_e64 s[20:21], 16, v1
	s_and_saveexec_b64 s[24:25], s[20:21]
	s_cbranch_execnz .LBB71_326
	s_branch .LBB71_327
.LBB71_1130:
	v_lshlrev_b32_e32 v24, 3, v10
	v_sub_u32_e32 v24, v22, v24
	v_lshl_add_u32 v24, v9, 3, v24
	ds_read_b64 v[24:25], v24 offset:8864
	ds_read_b64 v[26:27], v22 offset:8328
	s_waitcnt lgkmcnt(0)
	v_mul_f32_e32 v28, v27, v25
	v_mul_f32_e32 v25, v26, v25
	v_fma_f32 v26, v26, v24, -v28
	v_fmac_f32_e32 v25, v27, v24
	v_add_f32_e32 v21, v21, v26
	v_add_f32_e32 v23, v23, v25
	s_or_b64 exec, exec, s[24:25]
	v_cmp_gt_u32_e64 s[18:19], 8, v1
	s_and_saveexec_b64 s[24:25], s[18:19]
	s_cbranch_execz .LBB71_415
.LBB71_1131:
	ds_read_b64 v[24:25], v6 offset:9376
	ds_read_b64 v[26:27], v22 offset:8336
	s_waitcnt lgkmcnt(0)
	v_mul_f32_e32 v22, v27, v25
	v_mul_f32_e32 v25, v26, v25
	v_fma_f32 v22, v26, v24, -v22
	v_fmac_f32_e32 v25, v27, v24
	v_add_f32_e32 v21, v21, v22
	v_add_f32_e32 v23, v23, v25
	s_or_b64 exec, exec, s[24:25]
	v_cmp_gt_u32_e64 s[18:19], 4, v1
	s_and_saveexec_b64 s[24:25], s[18:19]
	s_cbranch_execnz .LBB71_416
	s_branch .LBB71_417
.LBB71_1132:
	v_lshlrev_b32_e32 v24, 3, v15
	v_sub_u32_e32 v24, v22, v24
	v_lshl_add_u32 v24, v14, 3, v24
	ds_read_b64 v[24:25], v24 offset:8896
	ds_read_b64 v[26:27], v22 offset:8328
	s_waitcnt lgkmcnt(0)
	v_mul_f32_e32 v28, v27, v25
	v_mul_f32_e32 v25, v26, v25
	v_fma_f32 v26, v26, v24, -v28
	v_fmac_f32_e32 v25, v27, v24
	v_add_f32_e32 v21, v21, v26
	v_add_f32_e32 v23, v23, v25
	s_or_b64 exec, exec, s[24:25]
	v_cmp_gt_u32_e64 s[18:19], 48, v1
	s_and_saveexec_b64 s[24:25], s[18:19]
	s_cbranch_execz .LBB71_457
.LBB71_1133:
	v_lshlrev_b32_e32 v24, 3, v15
	v_sub_u32_e32 v24, v22, v24
	v_lshl_add_u32 v24, v14, 3, v24
	ds_read_b64 v[24:25], v24 offset:9408
	ds_read_b64 v[26:27], v22 offset:8336
	s_waitcnt lgkmcnt(0)
	v_mul_f32_e32 v28, v27, v25
	v_mul_f32_e32 v25, v26, v25
	v_fma_f32 v26, v26, v24, -v28
	v_fmac_f32_e32 v25, v27, v24
	v_add_f32_e32 v21, v21, v26
	v_add_f32_e32 v23, v23, v25
	s_or_b64 exec, exec, s[24:25]
	v_cmp_gt_u32_e64 s[18:19], 40, v1
	s_and_saveexec_b64 s[24:25], s[18:19]
	s_cbranch_execz .LBB71_458
.LBB71_1134:
	v_lshlrev_b32_e32 v24, 3, v15
	v_sub_u32_e32 v24, v22, v24
	v_lshl_add_u32 v24, v14, 3, v24
	ds_read_b64 v[24:25], v24 offset:9920
	ds_read_b64 v[26:27], v22 offset:8344
	s_waitcnt lgkmcnt(0)
	v_mul_f32_e32 v28, v27, v25
	v_mul_f32_e32 v25, v26, v25
	v_fma_f32 v26, v26, v24, -v28
	v_fmac_f32_e32 v25, v27, v24
	v_add_f32_e32 v21, v21, v26
	v_add_f32_e32 v23, v23, v25
	s_or_b64 exec, exec, s[24:25]
	v_cmp_gt_u32_e64 s[18:19], 32, v1
	s_and_saveexec_b64 s[24:25], s[18:19]
	s_cbranch_execz .LBB71_459
.LBB71_1135:
	ds_read_b64 v[24:25], v11 offset:10432
	ds_read_b64 v[26:27], v22 offset:8352
	s_waitcnt lgkmcnt(0)
	v_mul_f32_e32 v28, v27, v25
	v_mul_f32_e32 v25, v26, v25
	v_fma_f32 v26, v26, v24, -v28
	v_fmac_f32_e32 v25, v27, v24
	v_add_f32_e32 v21, v21, v26
	v_add_f32_e32 v23, v23, v25
	s_or_b64 exec, exec, s[24:25]
	v_cmp_gt_u32_e64 s[18:19], 24, v1
	s_and_saveexec_b64 s[24:25], s[18:19]
	s_cbranch_execz .LBB71_460
.LBB71_1136:
	v_lshlrev_b32_e32 v24, 3, v15
	v_sub_u32_e32 v24, v22, v24
	v_lshl_add_u32 v24, v14, 3, v24
	ds_read_b64 v[24:25], v24 offset:10944
	ds_read_b64 v[26:27], v22 offset:8360
	s_waitcnt lgkmcnt(0)
	v_mul_f32_e32 v28, v27, v25
	v_mul_f32_e32 v25, v26, v25
	v_fma_f32 v26, v26, v24, -v28
	v_fmac_f32_e32 v25, v27, v24
	v_add_f32_e32 v21, v21, v26
	v_add_f32_e32 v23, v23, v25
	s_or_b64 exec, exec, s[24:25]
	v_cmp_gt_u32_e64 s[18:19], 16, v1
	s_and_saveexec_b64 s[24:25], s[18:19]
	s_cbranch_execz .LBB71_461
.LBB71_1137:
	ds_read_b64 v[24:25], v11 offset:11456
	ds_read_b64 v[26:27], v22 offset:8368
	s_waitcnt lgkmcnt(0)
	v_mul_f32_e32 v22, v27, v25
	v_mul_f32_e32 v25, v26, v25
	v_fma_f32 v22, v26, v24, -v22
	v_fmac_f32_e32 v25, v27, v24
	v_add_f32_e32 v21, v21, v22
	v_add_f32_e32 v23, v23, v25
	s_or_b64 exec, exec, s[24:25]
	v_cmp_gt_u32_e64 s[18:19], 8, v1
	s_and_saveexec_b64 s[24:25], s[18:19]
	s_cbranch_execnz .LBB71_462
	s_branch .LBB71_463
.LBB71_1138:
	v_lshlrev_b32_e32 v24, 3, v10
	v_sub_u32_e32 v24, v22, v24
	v_lshl_add_u32 v24, v9, 3, v24
	ds_read_b64 v[24:25], v24 offset:13024
	ds_read_b64 v[26:27], v22 offset:12488
	s_waitcnt lgkmcnt(0)
	v_mul_f32_e32 v28, v27, v25
	v_mul_f32_e32 v25, v26, v25
	v_fma_f32 v26, v26, v24, -v28
	v_fmac_f32_e32 v25, v27, v24
	v_add_f32_e32 v21, v21, v26
	v_add_f32_e32 v23, v23, v25
	s_or_b64 exec, exec, s[24:25]
	v_cmp_gt_u32_e64 s[18:19], 8, v1
	s_and_saveexec_b64 s[24:25], s[18:19]
	s_cbranch_execz .LBB71_519
.LBB71_1139:
	ds_read_b64 v[24:25], v6 offset:13536
	ds_read_b64 v[26:27], v22 offset:12496
	s_waitcnt lgkmcnt(0)
	v_mul_f32_e32 v22, v27, v25
	v_mul_f32_e32 v25, v26, v25
	v_fma_f32 v22, v26, v24, -v22
	v_fmac_f32_e32 v25, v27, v24
	v_add_f32_e32 v21, v21, v22
	v_add_f32_e32 v23, v23, v25
	s_or_b64 exec, exec, s[24:25]
	v_cmp_gt_u32_e64 s[18:19], 4, v1
	s_and_saveexec_b64 s[24:25], s[18:19]
	s_cbranch_execnz .LBB71_520
	s_branch .LBB71_521
.LBB71_1140:
	ds_read_b64 v[29:30], v28 offset:15104
	ds_read_b64 v[31:32], v27 offset:232
	s_waitcnt lgkmcnt(0)
	v_mul_f32_e32 v33, v32, v30
	v_mul_f32_e32 v30, v31, v30
	v_fma_f32 v31, v31, v29, -v33
	v_fmac_f32_e32 v30, v32, v29
	v_add_f32_e32 v24, v24, v31
	v_add_f32_e32 v25, v25, v30
	s_or_b64 exec, exec, s[88:89]
	v_cmp_gt_u32_e64 s[24:25], 64, v1
	s_and_saveexec_b64 s[88:89], s[24:25]
	s_cbranch_execz .LBB71_617
.LBB71_1141:
	ds_read_b64 v[28:29], v28 offset:15616
	ds_read_b64 v[30:31], v27 offset:240
	s_waitcnt lgkmcnt(0)
	v_mul_f32_e32 v32, v31, v29
	v_mul_f32_e32 v29, v30, v29
	v_fma_f32 v30, v30, v28, -v32
	v_fmac_f32_e32 v29, v31, v28
	v_add_f32_e32 v24, v24, v30
	v_add_f32_e32 v25, v25, v29
	s_or_b64 exec, exec, s[88:89]
	v_cmp_gt_u32_e64 s[24:25], 32, v1
	s_and_saveexec_b64 s[88:89], s[24:25]
	s_cbranch_execnz .LBB71_618
	s_branch .LBB71_619
.LBB71_1142:
	v_lshlrev_b32_e32 v24, 3, v10
	v_sub_u32_e32 v24, v22, v24
	v_lshl_add_u32 v24, v9, 3, v24
	ds_read_b64 v[24:25], v24 offset:17184
	ds_read_b64 v[26:27], v22 offset:16648
	s_waitcnt lgkmcnt(0)
	v_mul_f32_e32 v28, v27, v25
	v_mul_f32_e32 v25, v26, v25
	v_fma_f32 v26, v26, v24, -v28
	v_fmac_f32_e32 v25, v27, v24
	v_add_f32_e32 v21, v21, v26
	v_add_f32_e32 v23, v23, v25
	s_or_b64 exec, exec, s[20:21]
	v_cmp_gt_u32_e64 s[16:17], 8, v1
	s_and_saveexec_b64 s[20:21], s[16:17]
	s_cbranch_execz .LBB71_655
.LBB71_1143:
	ds_read_b64 v[24:25], v6 offset:17696
	ds_read_b64 v[26:27], v22 offset:16656
	s_waitcnt lgkmcnt(0)
	v_mul_f32_e32 v22, v27, v25
	v_mul_f32_e32 v25, v26, v25
	v_fma_f32 v22, v26, v24, -v22
	v_fmac_f32_e32 v25, v27, v24
	v_add_f32_e32 v21, v21, v22
	v_add_f32_e32 v23, v23, v25
	s_or_b64 exec, exec, s[20:21]
	v_cmp_gt_u32_e64 s[16:17], 4, v1
	s_and_saveexec_b64 s[20:21], s[16:17]
	s_cbranch_execnz .LBB71_656
	s_branch .LBB71_657
.LBB71_1144:
	v_lshlrev_b32_e32 v24, 3, v15
	v_sub_u32_e32 v24, v22, v24
	v_lshl_add_u32 v24, v14, 3, v24
	ds_read_b64 v[24:25], v24 offset:17216
	ds_read_b64 v[26:27], v22 offset:16648
	s_waitcnt lgkmcnt(0)
	v_mul_f32_e32 v28, v27, v25
	v_mul_f32_e32 v25, v26, v25
	v_fma_f32 v26, v26, v24, -v28
	v_fmac_f32_e32 v25, v27, v24
	v_add_f32_e32 v21, v21, v26
	v_add_f32_e32 v23, v23, v25
	s_or_b64 exec, exec, s[20:21]
	v_cmp_gt_u32_e64 s[16:17], 48, v1
	s_and_saveexec_b64 s[20:21], s[16:17]
	s_cbranch_execz .LBB71_697
.LBB71_1145:
	v_lshlrev_b32_e32 v24, 3, v15
	v_sub_u32_e32 v24, v22, v24
	v_lshl_add_u32 v24, v14, 3, v24
	ds_read_b64 v[24:25], v24 offset:17728
	ds_read_b64 v[26:27], v22 offset:16656
	s_waitcnt lgkmcnt(0)
	v_mul_f32_e32 v28, v27, v25
	v_mul_f32_e32 v25, v26, v25
	v_fma_f32 v26, v26, v24, -v28
	v_fmac_f32_e32 v25, v27, v24
	v_add_f32_e32 v21, v21, v26
	v_add_f32_e32 v23, v23, v25
	s_or_b64 exec, exec, s[20:21]
	v_cmp_gt_u32_e64 s[16:17], 40, v1
	s_and_saveexec_b64 s[20:21], s[16:17]
	s_cbranch_execz .LBB71_698
.LBB71_1146:
	v_lshlrev_b32_e32 v24, 3, v15
	v_sub_u32_e32 v24, v22, v24
	v_lshl_add_u32 v24, v14, 3, v24
	ds_read_b64 v[24:25], v24 offset:18240
	ds_read_b64 v[26:27], v22 offset:16664
	s_waitcnt lgkmcnt(0)
	v_mul_f32_e32 v28, v27, v25
	v_mul_f32_e32 v25, v26, v25
	v_fma_f32 v26, v26, v24, -v28
	v_fmac_f32_e32 v25, v27, v24
	v_add_f32_e32 v21, v21, v26
	v_add_f32_e32 v23, v23, v25
	s_or_b64 exec, exec, s[20:21]
	v_cmp_gt_u32_e64 s[16:17], 32, v1
	s_and_saveexec_b64 s[20:21], s[16:17]
	s_cbranch_execz .LBB71_699
.LBB71_1147:
	ds_read_b64 v[24:25], v11 offset:18752
	ds_read_b64 v[26:27], v22 offset:16672
	s_waitcnt lgkmcnt(0)
	v_mul_f32_e32 v28, v27, v25
	v_mul_f32_e32 v25, v26, v25
	v_fma_f32 v26, v26, v24, -v28
	v_fmac_f32_e32 v25, v27, v24
	v_add_f32_e32 v21, v21, v26
	v_add_f32_e32 v23, v23, v25
	s_or_b64 exec, exec, s[20:21]
	v_cmp_gt_u32_e64 s[16:17], 24, v1
	s_and_saveexec_b64 s[20:21], s[16:17]
	s_cbranch_execz .LBB71_700
.LBB71_1148:
	v_lshlrev_b32_e32 v24, 3, v15
	v_sub_u32_e32 v24, v22, v24
	v_lshl_add_u32 v24, v14, 3, v24
	ds_read_b64 v[24:25], v24 offset:19264
	ds_read_b64 v[26:27], v22 offset:16680
	s_waitcnt lgkmcnt(0)
	v_mul_f32_e32 v28, v27, v25
	v_mul_f32_e32 v25, v26, v25
	v_fma_f32 v26, v26, v24, -v28
	v_fmac_f32_e32 v25, v27, v24
	v_add_f32_e32 v21, v21, v26
	v_add_f32_e32 v23, v23, v25
	s_or_b64 exec, exec, s[20:21]
	v_cmp_gt_u32_e64 s[16:17], 16, v1
	s_and_saveexec_b64 s[20:21], s[16:17]
	s_cbranch_execz .LBB71_701
.LBB71_1149:
	ds_read_b64 v[24:25], v11 offset:19776
	ds_read_b64 v[26:27], v22 offset:16688
	s_waitcnt lgkmcnt(0)
	v_mul_f32_e32 v22, v27, v25
	v_mul_f32_e32 v25, v26, v25
	v_fma_f32 v22, v26, v24, -v22
	v_fmac_f32_e32 v25, v27, v24
	v_add_f32_e32 v21, v21, v22
	v_add_f32_e32 v23, v23, v25
	s_or_b64 exec, exec, s[20:21]
	v_cmp_gt_u32_e64 s[16:17], 8, v1
	s_and_saveexec_b64 s[20:21], s[16:17]
	s_cbranch_execnz .LBB71_702
	s_branch .LBB71_703
.LBB71_1150:
	v_lshlrev_b32_e32 v24, 3, v10
	v_sub_u32_e32 v24, v22, v24
	v_lshl_add_u32 v24, v9, 3, v24
	ds_read_b64 v[24:25], v24 offset:21344
	ds_read_b64 v[26:27], v22 offset:20808
	s_waitcnt lgkmcnt(0)
	v_mul_f32_e32 v28, v27, v25
	v_mul_f32_e32 v25, v26, v25
	v_fma_f32 v26, v26, v24, -v28
	v_fmac_f32_e32 v25, v27, v24
	v_add_f32_e32 v21, v21, v26
	v_add_f32_e32 v23, v23, v25
	s_or_b64 exec, exec, s[20:21]
	v_cmp_gt_u32_e64 s[16:17], 8, v1
	s_and_saveexec_b64 s[20:21], s[16:17]
	s_cbranch_execz .LBB71_759
.LBB71_1151:
	ds_read_b64 v[24:25], v6 offset:21856
	ds_read_b64 v[26:27], v22 offset:20816
	s_waitcnt lgkmcnt(0)
	v_mul_f32_e32 v22, v27, v25
	v_mul_f32_e32 v25, v26, v25
	v_fma_f32 v22, v26, v24, -v22
	v_fmac_f32_e32 v25, v27, v24
	v_add_f32_e32 v21, v21, v22
	v_add_f32_e32 v23, v23, v25
	s_or_b64 exec, exec, s[20:21]
	v_cmp_gt_u32_e64 s[16:17], 4, v1
	s_and_saveexec_b64 s[20:21], s[16:17]
	s_cbranch_execnz .LBB71_760
	s_branch .LBB71_761
.LBB71_1152:
	v_lshlrev_b32_e32 v20, 3, v17
	v_lshl_add_u32 v20, v19, 3, v20
	ds_read_b64 v[24:25], v20 offset:22400
	ds_read_b64 v[26:27], v22 offset:16728
	s_waitcnt lgkmcnt(0)
	v_mul_f32_e32 v20, v27, v25
	v_mul_f32_e32 v25, v26, v25
	v_fma_f32 v20, v26, v24, -v20
	v_fmac_f32_e32 v25, v27, v24
	v_add_f32_e32 v21, v21, v20
	v_add_f32_e32 v23, v23, v25
	s_or_b64 exec, exec, s[20:21]
	v_cmp_gt_u32_e64 s[16:17], 64, v1
	s_and_saveexec_b64 s[20:21], s[16:17]
	s_cbranch_execz .LBB71_821
.LBB71_1153:
	ds_read_b64 v[24:25], v16 offset:22912
	ds_read_b64 v[26:27], v22 offset:16736
	s_waitcnt lgkmcnt(0)
	v_mul_f32_e32 v20, v27, v25
	v_mul_f32_e32 v25, v26, v25
	v_fma_f32 v20, v26, v24, -v20
	v_fmac_f32_e32 v25, v27, v24
	v_add_f32_e32 v21, v21, v20
	v_add_f32_e32 v23, v23, v25
	s_or_b64 exec, exec, s[20:21]
	v_cmp_gt_u32_e64 s[16:17], 48, v1
	s_and_saveexec_b64 s[20:21], s[16:17]
	s_cbranch_execz .LBB71_822
.LBB71_1154:
	v_lshlrev_b32_e32 v20, 3, v17
	v_lshl_add_u32 v19, v19, 3, v20
	ds_read_b64 v[19:20], v19 offset:23424
	ds_read_b64 v[24:25], v22 offset:16744
	s_waitcnt lgkmcnt(0)
	v_mul_f32_e32 v26, v25, v20
	v_mul_f32_e32 v20, v24, v20
	v_fma_f32 v24, v24, v19, -v26
	v_fmac_f32_e32 v20, v25, v19
	v_add_f32_e32 v21, v21, v24
	v_add_f32_e32 v23, v23, v20
	s_or_b64 exec, exec, s[20:21]
	v_cmp_gt_u32_e64 s[16:17], 32, v1
	s_and_saveexec_b64 s[20:21], s[16:17]
	s_cbranch_execz .LBB71_823
.LBB71_1155:
	ds_read_b64 v[19:20], v16 offset:23936
	ds_read_b64 v[24:25], v22 offset:16752
	s_waitcnt lgkmcnt(0)
	v_mul_f32_e32 v22, v25, v20
	v_mul_f32_e32 v20, v24, v20
	v_fma_f32 v22, v24, v19, -v22
	v_fmac_f32_e32 v20, v25, v19
	v_add_f32_e32 v21, v21, v22
	v_add_f32_e32 v23, v23, v20
	s_or_b64 exec, exec, s[20:21]
	v_cmp_gt_u32_e64 s[16:17], 16, v1
	s_and_saveexec_b64 s[20:21], s[16:17]
	s_cbranch_execnz .LBB71_824
	s_branch .LBB71_825
.LBB71_1156:
	v_lshlrev_b32_e32 v19, 3, v10
	v_sub_u32_e32 v19, v17, v19
	v_lshl_add_u32 v19, v9, 3, v19
	ds_read_b64 v[19:20], v19 offset:25504
	ds_read_b64 v[21:22], v17 offset:24968
	s_waitcnt lgkmcnt(0)
	v_mul_f32_e32 v23, v22, v20
	v_mul_f32_e32 v20, v21, v20
	v_fma_f32 v21, v21, v19, -v23
	v_fmac_f32_e32 v20, v22, v19
	v_add_f32_e32 v16, v16, v21
	v_add_f32_e32 v18, v18, v20
	s_or_b64 exec, exec, s[16:17]
	v_cmp_gt_u32_e64 s[14:15], 8, v1
	s_and_saveexec_b64 s[16:17], s[14:15]
	s_cbranch_execz .LBB71_913
.LBB71_1157:
	ds_read_b64 v[19:20], v6 offset:26016
	ds_read_b64 v[21:22], v17 offset:24976
	s_waitcnt lgkmcnt(0)
	v_mul_f32_e32 v17, v22, v20
	v_mul_f32_e32 v20, v21, v20
	v_fma_f32 v17, v21, v19, -v17
	v_fmac_f32_e32 v20, v22, v19
	v_add_f32_e32 v16, v16, v17
	v_add_f32_e32 v18, v18, v20
	s_or_b64 exec, exec, s[16:17]
	v_cmp_gt_u32_e64 s[14:15], 4, v1
	s_and_saveexec_b64 s[16:17], s[14:15]
	s_cbranch_execnz .LBB71_914
	s_branch .LBB71_915
.LBB71_1158:
	v_lshlrev_b32_e32 v19, 3, v15
	v_sub_u32_e32 v19, v17, v19
	v_lshl_add_u32 v19, v14, 3, v19
	ds_read_b64 v[19:20], v19 offset:25536
	ds_read_b64 v[21:22], v17 offset:24968
	s_waitcnt lgkmcnt(0)
	v_mul_f32_e32 v23, v22, v20
	v_mul_f32_e32 v20, v21, v20
	v_fma_f32 v21, v21, v19, -v23
	v_fmac_f32_e32 v20, v22, v19
	v_add_f32_e32 v16, v16, v21
	v_add_f32_e32 v18, v18, v20
	s_or_b64 exec, exec, s[16:17]
	v_cmp_gt_u32_e64 s[14:15], 48, v1
	s_and_saveexec_b64 s[16:17], s[14:15]
	s_cbranch_execz .LBB71_955
.LBB71_1159:
	v_lshlrev_b32_e32 v19, 3, v15
	v_sub_u32_e32 v19, v17, v19
	v_lshl_add_u32 v19, v14, 3, v19
	ds_read_b64 v[19:20], v19 offset:26048
	ds_read_b64 v[21:22], v17 offset:24976
	s_waitcnt lgkmcnt(0)
	v_mul_f32_e32 v23, v22, v20
	v_mul_f32_e32 v20, v21, v20
	v_fma_f32 v21, v21, v19, -v23
	v_fmac_f32_e32 v20, v22, v19
	v_add_f32_e32 v16, v16, v21
	v_add_f32_e32 v18, v18, v20
	s_or_b64 exec, exec, s[16:17]
	v_cmp_gt_u32_e64 s[14:15], 40, v1
	s_and_saveexec_b64 s[16:17], s[14:15]
	s_cbranch_execz .LBB71_956
.LBB71_1160:
	v_lshlrev_b32_e32 v19, 3, v15
	v_sub_u32_e32 v19, v17, v19
	v_lshl_add_u32 v19, v14, 3, v19
	ds_read_b64 v[19:20], v19 offset:26560
	ds_read_b64 v[21:22], v17 offset:24984
	s_waitcnt lgkmcnt(0)
	v_mul_f32_e32 v23, v22, v20
	v_mul_f32_e32 v20, v21, v20
	v_fma_f32 v21, v21, v19, -v23
	v_fmac_f32_e32 v20, v22, v19
	v_add_f32_e32 v16, v16, v21
	v_add_f32_e32 v18, v18, v20
	s_or_b64 exec, exec, s[16:17]
	v_cmp_gt_u32_e64 s[14:15], 32, v1
	s_and_saveexec_b64 s[16:17], s[14:15]
	s_cbranch_execz .LBB71_957
.LBB71_1161:
	ds_read_b64 v[19:20], v11 offset:27072
	ds_read_b64 v[21:22], v17 offset:24992
	s_waitcnt lgkmcnt(0)
	v_mul_f32_e32 v23, v22, v20
	v_mul_f32_e32 v20, v21, v20
	v_fma_f32 v21, v21, v19, -v23
	v_fmac_f32_e32 v20, v22, v19
	v_add_f32_e32 v16, v16, v21
	v_add_f32_e32 v18, v18, v20
	s_or_b64 exec, exec, s[16:17]
	v_cmp_gt_u32_e64 s[14:15], 24, v1
	s_and_saveexec_b64 s[16:17], s[14:15]
	s_cbranch_execz .LBB71_958
.LBB71_1162:
	v_lshlrev_b32_e32 v15, 3, v15
	v_sub_u32_e32 v15, v17, v15
	v_lshl_add_u32 v14, v14, 3, v15
	ds_read_b64 v[14:15], v14 offset:27584
	ds_read_b64 v[19:20], v17 offset:25000
	s_waitcnt lgkmcnt(0)
	v_mul_f32_e32 v21, v20, v15
	v_mul_f32_e32 v15, v19, v15
	v_fma_f32 v19, v19, v14, -v21
	v_fmac_f32_e32 v15, v20, v14
	v_add_f32_e32 v16, v16, v19
	v_add_f32_e32 v18, v18, v15
	s_or_b64 exec, exec, s[16:17]
	v_cmp_gt_u32_e64 s[14:15], 16, v1
	s_and_saveexec_b64 s[16:17], s[14:15]
	s_cbranch_execz .LBB71_959
.LBB71_1163:
	ds_read_b64 v[14:15], v11 offset:28096
	ds_read_b64 v[19:20], v17 offset:25008
	s_waitcnt lgkmcnt(0)
	v_mul_f32_e32 v17, v20, v15
	v_mul_f32_e32 v15, v19, v15
	v_fma_f32 v17, v19, v14, -v17
	v_fmac_f32_e32 v15, v20, v14
	v_add_f32_e32 v16, v16, v17
	v_add_f32_e32 v18, v18, v15
	s_or_b64 exec, exec, s[16:17]
	v_cmp_gt_u32_e64 s[14:15], 8, v1
	s_and_saveexec_b64 s[16:17], s[14:15]
	s_cbranch_execnz .LBB71_960
	s_branch .LBB71_961
.LBB71_1164:
	v_lshlrev_b32_e32 v10, 3, v10
	v_sub_u32_e32 v10, v12, v10
	v_lshl_add_u32 v9, v9, 3, v10
	ds_read_b64 v[9:10], v9 offset:29664
	ds_read_b64 v[14:15], v12 offset:29128
	s_waitcnt lgkmcnt(0)
	v_mul_f32_e32 v16, v15, v10
	v_mul_f32_e32 v10, v14, v10
	v_fma_f32 v14, v14, v9, -v16
	v_fmac_f32_e32 v10, v15, v9
	v_add_f32_e32 v11, v11, v14
	v_add_f32_e32 v13, v13, v10
	s_or_b64 exec, exec, s[14:15]
	v_cmp_gt_u32_e64 s[12:13], 8, v1
	s_and_saveexec_b64 s[14:15], s[12:13]
	s_cbranch_execz .LBB71_1017
.LBB71_1165:
	ds_read_b64 v[9:10], v6 offset:30176
	ds_read_b64 v[14:15], v12 offset:29136
	s_waitcnt lgkmcnt(0)
	v_mul_f32_e32 v12, v15, v10
	v_mul_f32_e32 v10, v14, v10
	v_fma_f32 v12, v14, v9, -v12
	v_fmac_f32_e32 v10, v15, v9
	v_add_f32_e32 v11, v11, v12
	v_add_f32_e32 v13, v13, v10
	s_or_b64 exec, exec, s[14:15]
	v_cmp_gt_u32_e64 s[12:13], 4, v1
	s_and_saveexec_b64 s[14:15], s[12:13]
	s_cbranch_execnz .LBB71_1018
	s_branch .LBB71_1019
	.section	.rodata,"a",@progbits
	.p2align	6, 0x0
	.amdhsa_kernel _ZL19rocblas_trsv_deviceILi64ELi16ELb1ELb1ELb0ELb0E19rocblas_complex_numIfES1_PKS1_PS1_EviT7_lllT6_T8_lllPii
		.amdhsa_group_segment_fixed_size 41480
		.amdhsa_private_segment_fixed_size 48
		.amdhsa_kernarg_size 352
		.amdhsa_user_sgpr_count 8
		.amdhsa_user_sgpr_private_segment_buffer 1
		.amdhsa_user_sgpr_dispatch_ptr 0
		.amdhsa_user_sgpr_queue_ptr 0
		.amdhsa_user_sgpr_kernarg_segment_ptr 1
		.amdhsa_user_sgpr_dispatch_id 0
		.amdhsa_user_sgpr_flat_scratch_init 1
		.amdhsa_user_sgpr_private_segment_size 0
		.amdhsa_uses_dynamic_stack 0
		.amdhsa_system_sgpr_private_segment_wavefront_offset 1
		.amdhsa_system_sgpr_workgroup_id_x 1
		.amdhsa_system_sgpr_workgroup_id_y 0
		.amdhsa_system_sgpr_workgroup_id_z 1
		.amdhsa_system_sgpr_workgroup_info 0
		.amdhsa_system_vgpr_workitem_id 1
		.amdhsa_next_free_vgpr 49
		.amdhsa_next_free_sgpr 100
		.amdhsa_reserve_vcc 1
		.amdhsa_reserve_flat_scratch 1
		.amdhsa_float_round_mode_32 0
		.amdhsa_float_round_mode_16_64 0
		.amdhsa_float_denorm_mode_32 3
		.amdhsa_float_denorm_mode_16_64 3
		.amdhsa_dx10_clamp 1
		.amdhsa_ieee_mode 1
		.amdhsa_fp16_overflow 0
		.amdhsa_exception_fp_ieee_invalid_op 0
		.amdhsa_exception_fp_denorm_src 0
		.amdhsa_exception_fp_ieee_div_zero 0
		.amdhsa_exception_fp_ieee_overflow 0
		.amdhsa_exception_fp_ieee_underflow 0
		.amdhsa_exception_fp_ieee_inexact 0
		.amdhsa_exception_int_div_zero 0
	.end_amdhsa_kernel
	.section	.text._ZL19rocblas_trsv_deviceILi64ELi16ELb1ELb1ELb0ELb0E19rocblas_complex_numIfES1_PKS1_PS1_EviT7_lllT6_T8_lllPii,"axG",@progbits,_ZL19rocblas_trsv_deviceILi64ELi16ELb1ELb1ELb0ELb0E19rocblas_complex_numIfES1_PKS1_PS1_EviT7_lllT6_T8_lllPii,comdat
.Lfunc_end71:
	.size	_ZL19rocblas_trsv_deviceILi64ELi16ELb1ELb1ELb0ELb0E19rocblas_complex_numIfES1_PKS1_PS1_EviT7_lllT6_T8_lllPii, .Lfunc_end71-_ZL19rocblas_trsv_deviceILi64ELi16ELb1ELb1ELb0ELb0E19rocblas_complex_numIfES1_PKS1_PS1_EviT7_lllT6_T8_lllPii
                                        ; -- End function
	.set _ZL19rocblas_trsv_deviceILi64ELi16ELb1ELb1ELb0ELb0E19rocblas_complex_numIfES1_PKS1_PS1_EviT7_lllT6_T8_lllPii.num_vgpr, 35
	.set _ZL19rocblas_trsv_deviceILi64ELi16ELb1ELb1ELb0ELb0E19rocblas_complex_numIfES1_PKS1_PS1_EviT7_lllT6_T8_lllPii.num_agpr, 0
	.set _ZL19rocblas_trsv_deviceILi64ELi16ELb1ELb1ELb0ELb0E19rocblas_complex_numIfES1_PKS1_PS1_EviT7_lllT6_T8_lllPii.numbered_sgpr, 100
	.set _ZL19rocblas_trsv_deviceILi64ELi16ELb1ELb1ELb0ELb0E19rocblas_complex_numIfES1_PKS1_PS1_EviT7_lllT6_T8_lllPii.num_named_barrier, 0
	.set _ZL19rocblas_trsv_deviceILi64ELi16ELb1ELb1ELb0ELb0E19rocblas_complex_numIfES1_PKS1_PS1_EviT7_lllT6_T8_lllPii.private_seg_size, 48
	.set _ZL19rocblas_trsv_deviceILi64ELi16ELb1ELb1ELb0ELb0E19rocblas_complex_numIfES1_PKS1_PS1_EviT7_lllT6_T8_lllPii.uses_vcc, 1
	.set _ZL19rocblas_trsv_deviceILi64ELi16ELb1ELb1ELb0ELb0E19rocblas_complex_numIfES1_PKS1_PS1_EviT7_lllT6_T8_lllPii.uses_flat_scratch, 1
	.set _ZL19rocblas_trsv_deviceILi64ELi16ELb1ELb1ELb0ELb0E19rocblas_complex_numIfES1_PKS1_PS1_EviT7_lllT6_T8_lllPii.has_dyn_sized_stack, 0
	.set _ZL19rocblas_trsv_deviceILi64ELi16ELb1ELb1ELb0ELb0E19rocblas_complex_numIfES1_PKS1_PS1_EviT7_lllT6_T8_lllPii.has_recursion, 0
	.set _ZL19rocblas_trsv_deviceILi64ELi16ELb1ELb1ELb0ELb0E19rocblas_complex_numIfES1_PKS1_PS1_EviT7_lllT6_T8_lllPii.has_indirect_call, 0
	.section	.AMDGPU.csdata,"",@progbits
; Kernel info:
; codeLenInByte = 49464
; TotalNumSgprs: 106
; NumVgprs: 35
; ScratchSize: 48
; MemoryBound: 1
; FloatMode: 240
; IeeeMode: 1
; LDSByteSize: 41480 bytes/workgroup (compile time only)
; SGPRBlocks: 13
; VGPRBlocks: 12
; NumSGPRsForWavesPerEU: 106
; NumVGPRsForWavesPerEU: 49
; Occupancy: 4
; WaveLimiterHint : 0
; COMPUTE_PGM_RSRC2:SCRATCH_EN: 1
; COMPUTE_PGM_RSRC2:USER_SGPR: 8
; COMPUTE_PGM_RSRC2:TRAP_HANDLER: 0
; COMPUTE_PGM_RSRC2:TGID_X_EN: 1
; COMPUTE_PGM_RSRC2:TGID_Y_EN: 0
; COMPUTE_PGM_RSRC2:TGID_Z_EN: 1
; COMPUTE_PGM_RSRC2:TIDIG_COMP_CNT: 1
	.section	.text._ZL19rocblas_trsv_deviceILi64ELi16ELb1ELb1ELb1ELb0E19rocblas_complex_numIfES1_PKS1_PS1_EviT7_lllT6_T8_lllPii,"axG",@progbits,_ZL19rocblas_trsv_deviceILi64ELi16ELb1ELb1ELb1ELb0E19rocblas_complex_numIfES1_PKS1_PS1_EviT7_lllT6_T8_lllPii,comdat
	.globl	_ZL19rocblas_trsv_deviceILi64ELi16ELb1ELb1ELb1ELb0E19rocblas_complex_numIfES1_PKS1_PS1_EviT7_lllT6_T8_lllPii ; -- Begin function _ZL19rocblas_trsv_deviceILi64ELi16ELb1ELb1ELb1ELb0E19rocblas_complex_numIfES1_PKS1_PS1_EviT7_lllT6_T8_lllPii
	.p2align	8
	.type	_ZL19rocblas_trsv_deviceILi64ELi16ELb1ELb1ELb1ELb0E19rocblas_complex_numIfES1_PKS1_PS1_EviT7_lllT6_T8_lllPii,@function
_ZL19rocblas_trsv_deviceILi64ELi16ELb1ELb1ELb1ELb0E19rocblas_complex_numIfES1_PKS1_PS1_EviT7_lllT6_T8_lllPii: ; @_ZL19rocblas_trsv_deviceILi64ELi16ELb1ELb1ELb1ELb0E19rocblas_complex_numIfES1_PKS1_PS1_EviT7_lllT6_T8_lllPii
; %bb.0:
	s_load_dwordx8 s[20:27], s[4:5], 0x8
	s_load_dword s30, s[4:5], 0x0
	s_mov_b32 s28, s7
	v_mov_b32_e32 v2, v1
	s_mov_b32 s29, 0
	s_waitcnt lgkmcnt(0)
	s_mul_i32 s0, s27, s7
	s_mul_hi_u32 s1, s26, s7
	s_add_i32 s1, s1, s0
	s_mul_i32 s0, s26, s7
	s_load_dword s7, s[4:5], 0x60
	s_lshl_b64 s[0:1], s[0:1], 3
	s_add_u32 s2, s20, s0
	s_addc_u32 s3, s21, s1
	s_lshl_b64 s[0:1], s[22:23], 3
	s_load_dword s20, s[4:5], 0x6c
	s_add_u32 s87, s2, s0
	s_addc_u32 s88, s3, s1
	s_waitcnt lgkmcnt(0)
	s_add_i32 s7, s7, -1
	s_sub_i32 s89, s7, s6
	s_cmp_lg_u32 s6, 0
	s_cbranch_scc0 .LBB72_1119
; %bb.1:
	s_lshl_b32 s33, s89, 6
	v_add_u32_e32 v1, s33, v0
	v_ashrrev_i32_e32 v3, 31, v1
	v_mul_lo_u32 v5, s24, v3
	v_mul_lo_u32 v6, s25, v1
	v_mad_u64_u32 v[3:4], s[0:1], s24, v1, 0
	v_add3_u32 v7, v2, s33, 64
	v_ashrrev_i32_e32 v8, 31, v7
	v_add3_u32 v4, v4, v5, v6
	v_lshlrev_b64 v[3:4], 3, v[3:4]
	v_cmp_gt_i32_e32 vcc, s30, v1
	v_mov_b32_e32 v1, s88
	v_add_co_u32_e64 v5, s[0:1], s87, v3
	v_addc_co_u32_e64 v1, s[0:1], v1, v4, s[0:1]
	v_lshlrev_b64 v[3:4], 3, v[7:8]
	v_mov_b32_e32 v6, 0
	v_add_co_u32_e64 v11, s[0:1], v5, v3
	v_addc_co_u32_e64 v12, s[0:1], v1, v4, s[0:1]
	v_cmp_gt_i32_e64 s[0:1], s30, v7
	s_and_b64 s[2:3], s[0:1], vcc
	v_mov_b32_e32 v3, 0
	v_mov_b32_e32 v5, 0
	s_barrier
	s_and_saveexec_b64 s[0:1], s[2:3]
	s_cbranch_execz .LBB72_3
; %bb.2:
	global_load_dwordx2 v[5:6], v[11:12], off
.LBB72_3:
	s_or_b64 exec, exec, s[0:1]
	v_add_u32_e32 v1, 16, v7
	v_cmp_gt_i32_e64 s[0:1], s30, v1
	s_and_b64 s[2:3], s[0:1], vcc
	v_mov_b32_e32 v4, 0
	s_waitcnt vmcnt(0)
	s_barrier
	s_and_saveexec_b64 s[0:1], s[2:3]
	s_cbranch_execz .LBB72_5
; %bb.4:
	global_load_dwordx2 v[3:4], v[11:12], off offset:128
.LBB72_5:
	s_or_b64 exec, exec, s[0:1]
	v_add_u32_e32 v1, 32, v7
	v_cmp_gt_i32_e64 s[0:1], s30, v1
	s_and_b64 s[2:3], s[0:1], vcc
	v_mov_b32_e32 v8, 0
	v_mov_b32_e32 v9, 0
	;; [unrolled: 1-line block ×3, first 2 shown]
	s_waitcnt vmcnt(0)
	s_barrier
	s_and_saveexec_b64 s[0:1], s[2:3]
	s_cbranch_execz .LBB72_7
; %bb.6:
	global_load_dwordx2 v[9:10], v[11:12], off offset:256
.LBB72_7:
	s_or_b64 exec, exec, s[0:1]
	v_add_u32_e32 v1, 48, v7
	v_cmp_gt_i32_e64 s[0:1], s30, v1
	s_and_b64 s[2:3], s[0:1], vcc
	v_mov_b32_e32 v7, 0
	s_waitcnt vmcnt(0)
	s_barrier
	s_and_saveexec_b64 s[0:1], s[2:3]
	s_cbranch_execz .LBB72_9
; %bb.8:
	global_load_dwordx2 v[7:8], v[11:12], off offset:384
.LBB72_9:
	s_or_b64 exec, exec, s[0:1]
	s_branch .LBB72_11
.LBB72_10:
	s_lshl_b32 s33, s89, 6
                                        ; implicit-def: $vgpr5
                                        ; implicit-def: $vgpr3
                                        ; implicit-def: $vgpr9
                                        ; implicit-def: $vgpr7
.LBB72_11:
	s_ashr_i32 s31, s30, 31
	s_lshr_b32 s0, s31, 26
	s_add_i32 s0, s30, s0
	s_andn2_b32 s0, s0, 63
	s_sub_i32 s86, s30, s0
	s_add_i32 s0, s30, -1
	s_ashr_i32 s1, s0, 31
	s_lshr_b32 s1, s1, 26
	s_add_i32 s0, s0, s1
	s_ashr_i32 s0, s0, 6
	s_cmp_eq_u32 s0, s89
	s_cselect_b64 s[0:1], -1, 0
	s_cmp_lg_u32 s86, 0
	s_cselect_b64 s[2:3], -1, 0
	s_and_b64 s[22:23], s[2:3], s[0:1]
	s_cmp_lt_i32 s6, 5
	s_cselect_b64 s[2:3], -1, 0
	s_or_b64 s[0:1], s[2:3], s[22:23]
	s_ashr_i32 s40, s33, 31
	s_add_u32 s10, s24, 1
	v_mov_b32_e32 v1, 0
	v_mov_b32_e32 v11, s33
	v_mad_u64_u32 v[11:12], s[8:9], s10, v11, v[0:1]
	s_addc_u32 s11, s25, 0
	s_mul_i32 s8, s10, s40
	s_mul_i32 s11, s11, s33
	v_lshlrev_b32_e32 v17, 6, v0
	s_add_i32 s8, s8, s11
	s_mov_b64 s[12:13], -1
	v_add_u32_e32 v12, s8, v12
	s_and_b64 vcc, exec, s[22:23]
	v_add_u32_e32 v18, v2, v17
	v_cmp_le_u32_e64 s[8:9], v0, v2
	v_lshl_add_u32 v1, v2, 6, v0
	s_cbranch_vccnz .LBB72_69
; %bb.12:
	v_mad_u64_u32 v[13:14], s[10:11], s24, v2, v[11:12]
	v_cndmask_b32_e64 v19, v1, v18, s[2:3]
	v_mad_u64_u32 v[14:15], s[10:11], s25, v2, v[14:15]
	s_and_saveexec_b64 s[2:3], s[8:9]
	s_xor_b64 s[2:3], exec, s[2:3]
	s_cbranch_execz .LBB72_24
; %bb.13:
	v_cmp_ne_u32_e32 vcc, v0, v2
	s_and_saveexec_b64 s[8:9], vcc
	s_xor_b64 s[8:9], exec, s[8:9]
	s_cbranch_execz .LBB72_17
; %bb.14:
	v_or_b32_e32 v13, v2, v0
	v_cmp_gt_u32_e32 vcc, 64, v13
	s_and_saveexec_b64 s[10:11], vcc
; %bb.15:
	v_mov_b32_e32 v13, 0
	v_lshlrev_b32_e32 v15, 3, v19
	v_mov_b32_e32 v14, v13
	ds_write_b64 v15, v[13:14]
; %bb.16:
	s_or_b64 exec, exec, s[10:11]
                                        ; implicit-def: $vgpr19
                                        ; implicit-def: $vgpr13_vgpr14
.LBB72_17:
	s_andn2_saveexec_b64 s[8:9], s[8:9]
	s_cbranch_execz .LBB72_23
; %bb.18:
	v_lshlrev_b64 v[13:14], 3, v[13:14]
	v_mov_b32_e32 v15, s88
	v_add_co_u32_e32 v13, vcc, s87, v13
	v_addc_co_u32_e32 v14, vcc, v15, v14, vcc
	global_load_dwordx2 v[13:14], v[13:14], off
                                        ; implicit-def: $vgpr15
	s_waitcnt vmcnt(0)
	v_cmp_ngt_f32_e64 s[10:11], |v13|, |v14|
	s_and_saveexec_b64 s[12:13], s[10:11]
	s_xor_b64 s[10:11], exec, s[12:13]
	s_cbranch_execz .LBB72_20
; %bb.19:
	v_div_scale_f32 v15, s[12:13], -v14, -v14, v13
	v_div_scale_f32 v16, vcc, v13, -v14, v13
	v_rcp_f32_e32 v20, v15
	v_fma_f32 v21, -v15, v20, 1.0
	v_fmac_f32_e32 v20, v21, v20
	v_mul_f32_e32 v21, v16, v20
	v_fma_f32 v22, -v15, v21, v16
	v_fmac_f32_e32 v21, v22, v20
	v_fma_f32 v15, -v15, v21, v16
	v_div_fmas_f32 v15, v15, v20, v21
	v_div_fixup_f32 v15, v15, -v14, v13
	v_fma_f32 v13, v13, v15, -v14
	v_div_scale_f32 v14, s[12:13], v13, v13, 1.0
	v_div_scale_f32 v16, vcc, 1.0, v13, 1.0
	v_rcp_f32_e32 v20, v14
	v_fma_f32 v21, -v14, v20, 1.0
	v_fmac_f32_e32 v20, v21, v20
	v_mul_f32_e32 v21, v16, v20
	v_fma_f32 v22, -v14, v21, v16
	v_fmac_f32_e32 v21, v22, v20
	v_fma_f32 v14, -v14, v21, v16
	v_div_fmas_f32 v14, v14, v20, v21
	v_div_fixup_f32 v13, v14, v13, 1.0
	v_mul_f32_e32 v15, v15, v13
	v_xor_b32_e32 v16, 0x80000000, v13
                                        ; implicit-def: $vgpr13_vgpr14
.LBB72_20:
	s_andn2_saveexec_b64 s[10:11], s[10:11]
	s_cbranch_execz .LBB72_22
; %bb.21:
	v_div_scale_f32 v15, s[12:13], v13, v13, -v14
	v_div_scale_f32 v16, vcc, -v14, v13, -v14
	v_rcp_f32_e32 v20, v15
	v_fma_f32 v21, -v15, v20, 1.0
	v_fmac_f32_e32 v20, v21, v20
	v_mul_f32_e32 v21, v16, v20
	v_fma_f32 v22, -v15, v21, v16
	v_fmac_f32_e32 v21, v22, v20
	v_fma_f32 v15, -v15, v21, v16
	v_div_fmas_f32 v15, v15, v20, v21
	v_div_fixup_f32 v16, v15, v13, -v14
	v_fma_f32 v13, -v14, v16, v13
	v_div_scale_f32 v14, s[12:13], v13, v13, 1.0
	v_div_scale_f32 v15, vcc, 1.0, v13, 1.0
	v_rcp_f32_e32 v20, v14
	v_fma_f32 v21, -v14, v20, 1.0
	v_fmac_f32_e32 v20, v21, v20
	v_mul_f32_e32 v21, v15, v20
	v_fma_f32 v22, -v14, v21, v15
	v_fmac_f32_e32 v21, v22, v20
	v_fma_f32 v14, -v14, v21, v15
	v_div_fmas_f32 v14, v14, v20, v21
	v_div_fixup_f32 v15, v14, v13, 1.0
	v_mul_f32_e64 v16, v16, -v15
.LBB72_22:
	s_or_b64 exec, exec, s[10:11]
	v_lshlrev_b32_e32 v13, 3, v19
	ds_write_b64 v13, v[15:16]
.LBB72_23:
	s_or_b64 exec, exec, s[8:9]
                                        ; implicit-def: $vgpr13_vgpr14
                                        ; implicit-def: $vgpr19
.LBB72_24:
	s_andn2_saveexec_b64 s[2:3], s[2:3]
	s_cbranch_execz .LBB72_26
; %bb.25:
	v_lshlrev_b64 v[13:14], 3, v[13:14]
	v_mov_b32_e32 v15, s88
	v_add_co_u32_e32 v13, vcc, s87, v13
	v_addc_co_u32_e32 v14, vcc, v15, v14, vcc
	global_load_dwordx2 v[13:14], v[13:14], off
	v_lshlrev_b32_e32 v15, 3, v19
	s_waitcnt vmcnt(0)
	v_xor_b32_e32 v13, 0x80000000, v13
	ds_write_b64 v15, v[13:14]
.LBB72_26:
	s_or_b64 exec, exec, s[2:3]
	v_add_u32_e32 v15, 16, v2
	v_mad_u64_u32 v[13:14], s[2:3], s24, v15, v[11:12]
	v_lshl_add_u32 v16, v15, 6, v0
	v_cmp_le_u32_e32 vcc, v0, v15
	v_mad_u64_u32 v[20:21], s[2:3], s25, v15, v[14:15]
	v_add_u32_e32 v14, v15, v17
	v_cndmask_b32_e64 v19, v16, v14, s[0:1]
	v_mov_b32_e32 v14, v20
	s_and_saveexec_b64 s[2:3], vcc
	s_xor_b64 s[2:3], exec, s[2:3]
	s_cbranch_execz .LBB72_38
; %bb.27:
	v_cmp_ne_u32_e32 vcc, v0, v15
	s_and_saveexec_b64 s[8:9], vcc
	s_xor_b64 s[8:9], exec, s[8:9]
	s_cbranch_execz .LBB72_31
; %bb.28:
	v_or_b32_e32 v13, v15, v0
	v_cmp_gt_u32_e32 vcc, 64, v13
	s_and_saveexec_b64 s[10:11], vcc
; %bb.29:
	v_mov_b32_e32 v13, 0
	v_lshlrev_b32_e32 v15, 3, v19
	v_mov_b32_e32 v14, v13
	ds_write_b64 v15, v[13:14]
; %bb.30:
	s_or_b64 exec, exec, s[10:11]
                                        ; implicit-def: $vgpr19
                                        ; implicit-def: $vgpr13_vgpr14
.LBB72_31:
	s_andn2_saveexec_b64 s[8:9], s[8:9]
	s_cbranch_execz .LBB72_37
; %bb.32:
	v_lshlrev_b64 v[13:14], 3, v[13:14]
	v_mov_b32_e32 v15, s88
	v_add_co_u32_e32 v13, vcc, s87, v13
	v_addc_co_u32_e32 v14, vcc, v15, v14, vcc
	global_load_dwordx2 v[13:14], v[13:14], off
                                        ; implicit-def: $vgpr15
	s_waitcnt vmcnt(0)
	v_cmp_ngt_f32_e64 s[10:11], |v13|, |v14|
	s_and_saveexec_b64 s[12:13], s[10:11]
	s_xor_b64 s[10:11], exec, s[12:13]
	s_cbranch_execz .LBB72_34
; %bb.33:
	v_div_scale_f32 v15, s[12:13], -v14, -v14, v13
	v_div_scale_f32 v16, vcc, v13, -v14, v13
	v_rcp_f32_e32 v20, v15
	v_fma_f32 v21, -v15, v20, 1.0
	v_fmac_f32_e32 v20, v21, v20
	v_mul_f32_e32 v21, v16, v20
	v_fma_f32 v22, -v15, v21, v16
	v_fmac_f32_e32 v21, v22, v20
	v_fma_f32 v15, -v15, v21, v16
	v_div_fmas_f32 v15, v15, v20, v21
	v_div_fixup_f32 v15, v15, -v14, v13
	v_fma_f32 v13, v13, v15, -v14
	v_div_scale_f32 v14, s[12:13], v13, v13, 1.0
	v_div_scale_f32 v16, vcc, 1.0, v13, 1.0
	v_rcp_f32_e32 v20, v14
	v_fma_f32 v21, -v14, v20, 1.0
	v_fmac_f32_e32 v20, v21, v20
	v_mul_f32_e32 v21, v16, v20
	v_fma_f32 v22, -v14, v21, v16
	v_fmac_f32_e32 v21, v22, v20
	v_fma_f32 v14, -v14, v21, v16
	v_div_fmas_f32 v14, v14, v20, v21
	v_div_fixup_f32 v13, v14, v13, 1.0
	v_mul_f32_e32 v15, v15, v13
	v_xor_b32_e32 v16, 0x80000000, v13
                                        ; implicit-def: $vgpr13_vgpr14
.LBB72_34:
	s_andn2_saveexec_b64 s[10:11], s[10:11]
	s_cbranch_execz .LBB72_36
; %bb.35:
	v_div_scale_f32 v15, s[12:13], v13, v13, -v14
	v_div_scale_f32 v16, vcc, -v14, v13, -v14
	v_rcp_f32_e32 v20, v15
	v_fma_f32 v21, -v15, v20, 1.0
	v_fmac_f32_e32 v20, v21, v20
	v_mul_f32_e32 v21, v16, v20
	v_fma_f32 v22, -v15, v21, v16
	v_fmac_f32_e32 v21, v22, v20
	v_fma_f32 v15, -v15, v21, v16
	v_div_fmas_f32 v15, v15, v20, v21
	v_div_fixup_f32 v16, v15, v13, -v14
	v_fma_f32 v13, -v14, v16, v13
	v_div_scale_f32 v14, s[12:13], v13, v13, 1.0
	v_div_scale_f32 v15, vcc, 1.0, v13, 1.0
	v_rcp_f32_e32 v20, v14
	v_fma_f32 v21, -v14, v20, 1.0
	v_fmac_f32_e32 v20, v21, v20
	v_mul_f32_e32 v21, v15, v20
	v_fma_f32 v22, -v14, v21, v15
	v_fmac_f32_e32 v21, v22, v20
	v_fma_f32 v14, -v14, v21, v15
	v_div_fmas_f32 v14, v14, v20, v21
	v_div_fixup_f32 v15, v14, v13, 1.0
	v_mul_f32_e64 v16, v16, -v15
.LBB72_36:
	s_or_b64 exec, exec, s[10:11]
	v_lshlrev_b32_e32 v13, 3, v19
	ds_write_b64 v13, v[15:16]
.LBB72_37:
	s_or_b64 exec, exec, s[8:9]
                                        ; implicit-def: $vgpr13_vgpr14
                                        ; implicit-def: $vgpr19
.LBB72_38:
	s_andn2_saveexec_b64 s[2:3], s[2:3]
	s_cbranch_execz .LBB72_40
; %bb.39:
	v_lshlrev_b64 v[13:14], 3, v[13:14]
	v_mov_b32_e32 v15, s88
	v_add_co_u32_e32 v13, vcc, s87, v13
	v_addc_co_u32_e32 v14, vcc, v15, v14, vcc
	global_load_dwordx2 v[13:14], v[13:14], off
	v_lshlrev_b32_e32 v15, 3, v19
	s_waitcnt vmcnt(0)
	v_xor_b32_e32 v13, 0x80000000, v13
	ds_write_b64 v15, v[13:14]
.LBB72_40:
	s_or_b64 exec, exec, s[2:3]
	v_add_u32_e32 v15, 32, v2
	v_mad_u64_u32 v[13:14], s[2:3], s24, v15, v[11:12]
	v_lshl_add_u32 v16, v15, 6, v0
	v_cmp_le_u32_e32 vcc, v0, v15
	v_mad_u64_u32 v[20:21], s[2:3], s25, v15, v[14:15]
	v_add_u32_e32 v14, v15, v17
	v_cndmask_b32_e64 v19, v16, v14, s[0:1]
	v_mov_b32_e32 v14, v20
	s_and_saveexec_b64 s[2:3], vcc
	s_xor_b64 s[2:3], exec, s[2:3]
	s_cbranch_execz .LBB72_52
; %bb.41:
	v_cmp_ne_u32_e32 vcc, v0, v15
	s_and_saveexec_b64 s[8:9], vcc
	s_xor_b64 s[8:9], exec, s[8:9]
	s_cbranch_execz .LBB72_45
; %bb.42:
	v_or_b32_e32 v13, v15, v0
	v_cmp_gt_u32_e32 vcc, 64, v13
	s_and_saveexec_b64 s[10:11], vcc
; %bb.43:
	v_mov_b32_e32 v13, 0
	v_lshlrev_b32_e32 v15, 3, v19
	v_mov_b32_e32 v14, v13
	ds_write_b64 v15, v[13:14]
; %bb.44:
	s_or_b64 exec, exec, s[10:11]
                                        ; implicit-def: $vgpr19
                                        ; implicit-def: $vgpr13_vgpr14
.LBB72_45:
	s_andn2_saveexec_b64 s[8:9], s[8:9]
	s_cbranch_execz .LBB72_51
; %bb.46:
	v_lshlrev_b64 v[13:14], 3, v[13:14]
	v_mov_b32_e32 v15, s88
	v_add_co_u32_e32 v13, vcc, s87, v13
	v_addc_co_u32_e32 v14, vcc, v15, v14, vcc
	global_load_dwordx2 v[13:14], v[13:14], off
                                        ; implicit-def: $vgpr15
	s_waitcnt vmcnt(0)
	v_cmp_ngt_f32_e64 s[10:11], |v13|, |v14|
	s_and_saveexec_b64 s[12:13], s[10:11]
	s_xor_b64 s[10:11], exec, s[12:13]
	s_cbranch_execz .LBB72_48
; %bb.47:
	v_div_scale_f32 v15, s[12:13], -v14, -v14, v13
	v_div_scale_f32 v16, vcc, v13, -v14, v13
	v_rcp_f32_e32 v20, v15
	v_fma_f32 v21, -v15, v20, 1.0
	v_fmac_f32_e32 v20, v21, v20
	v_mul_f32_e32 v21, v16, v20
	v_fma_f32 v22, -v15, v21, v16
	v_fmac_f32_e32 v21, v22, v20
	v_fma_f32 v15, -v15, v21, v16
	v_div_fmas_f32 v15, v15, v20, v21
	v_div_fixup_f32 v15, v15, -v14, v13
	v_fma_f32 v13, v13, v15, -v14
	v_div_scale_f32 v14, s[12:13], v13, v13, 1.0
	v_div_scale_f32 v16, vcc, 1.0, v13, 1.0
	v_rcp_f32_e32 v20, v14
	v_fma_f32 v21, -v14, v20, 1.0
	v_fmac_f32_e32 v20, v21, v20
	v_mul_f32_e32 v21, v16, v20
	v_fma_f32 v22, -v14, v21, v16
	v_fmac_f32_e32 v21, v22, v20
	v_fma_f32 v14, -v14, v21, v16
	v_div_fmas_f32 v14, v14, v20, v21
	v_div_fixup_f32 v13, v14, v13, 1.0
	v_mul_f32_e32 v15, v15, v13
	v_xor_b32_e32 v16, 0x80000000, v13
                                        ; implicit-def: $vgpr13_vgpr14
.LBB72_48:
	s_andn2_saveexec_b64 s[10:11], s[10:11]
	s_cbranch_execz .LBB72_50
; %bb.49:
	v_div_scale_f32 v15, s[12:13], v13, v13, -v14
	v_div_scale_f32 v16, vcc, -v14, v13, -v14
	v_rcp_f32_e32 v20, v15
	v_fma_f32 v21, -v15, v20, 1.0
	v_fmac_f32_e32 v20, v21, v20
	v_mul_f32_e32 v21, v16, v20
	v_fma_f32 v22, -v15, v21, v16
	v_fmac_f32_e32 v21, v22, v20
	v_fma_f32 v15, -v15, v21, v16
	v_div_fmas_f32 v15, v15, v20, v21
	v_div_fixup_f32 v16, v15, v13, -v14
	v_fma_f32 v13, -v14, v16, v13
	v_div_scale_f32 v14, s[12:13], v13, v13, 1.0
	v_div_scale_f32 v15, vcc, 1.0, v13, 1.0
	v_rcp_f32_e32 v20, v14
	v_fma_f32 v21, -v14, v20, 1.0
	v_fmac_f32_e32 v20, v21, v20
	v_mul_f32_e32 v21, v15, v20
	v_fma_f32 v22, -v14, v21, v15
	v_fmac_f32_e32 v21, v22, v20
	v_fma_f32 v14, -v14, v21, v15
	v_div_fmas_f32 v14, v14, v20, v21
	v_div_fixup_f32 v15, v14, v13, 1.0
	v_mul_f32_e64 v16, v16, -v15
.LBB72_50:
	s_or_b64 exec, exec, s[10:11]
	v_lshlrev_b32_e32 v13, 3, v19
	ds_write_b64 v13, v[15:16]
.LBB72_51:
	s_or_b64 exec, exec, s[8:9]
                                        ; implicit-def: $vgpr13_vgpr14
                                        ; implicit-def: $vgpr19
.LBB72_52:
	s_andn2_saveexec_b64 s[2:3], s[2:3]
	s_cbranch_execz .LBB72_54
; %bb.53:
	v_lshlrev_b64 v[13:14], 3, v[13:14]
	v_mov_b32_e32 v15, s88
	v_add_co_u32_e32 v13, vcc, s87, v13
	v_addc_co_u32_e32 v14, vcc, v15, v14, vcc
	global_load_dwordx2 v[13:14], v[13:14], off
	v_lshlrev_b32_e32 v15, 3, v19
	s_waitcnt vmcnt(0)
	v_xor_b32_e32 v13, 0x80000000, v13
	ds_write_b64 v15, v[13:14]
.LBB72_54:
	s_or_b64 exec, exec, s[2:3]
	v_add_u32_e32 v15, 48, v2
	v_mad_u64_u32 v[13:14], s[2:3], s24, v15, v[11:12]
	v_lshl_add_u32 v16, v15, 6, v0
	v_cmp_le_u32_e32 vcc, v0, v15
	v_mad_u64_u32 v[20:21], s[2:3], s25, v15, v[14:15]
	v_add_u32_e32 v14, v15, v17
	v_cndmask_b32_e64 v19, v16, v14, s[0:1]
	v_mov_b32_e32 v14, v20
	s_and_saveexec_b64 s[2:3], vcc
	s_xor_b64 s[2:3], exec, s[2:3]
	s_cbranch_execz .LBB72_66
; %bb.55:
	v_cmp_ne_u32_e32 vcc, v0, v15
	s_and_saveexec_b64 s[8:9], vcc
	s_xor_b64 s[8:9], exec, s[8:9]
	s_cbranch_execz .LBB72_59
; %bb.56:
	v_or_b32_e32 v13, v15, v0
	v_cmp_gt_u32_e32 vcc, 64, v13
	s_and_saveexec_b64 s[10:11], vcc
; %bb.57:
	v_mov_b32_e32 v13, 0
	v_lshlrev_b32_e32 v15, 3, v19
	v_mov_b32_e32 v14, v13
	ds_write_b64 v15, v[13:14]
; %bb.58:
	s_or_b64 exec, exec, s[10:11]
                                        ; implicit-def: $vgpr19
                                        ; implicit-def: $vgpr13_vgpr14
.LBB72_59:
	s_andn2_saveexec_b64 s[8:9], s[8:9]
	s_cbranch_execz .LBB72_65
; %bb.60:
	v_lshlrev_b64 v[13:14], 3, v[13:14]
	v_mov_b32_e32 v15, s88
	v_add_co_u32_e32 v13, vcc, s87, v13
	v_addc_co_u32_e32 v14, vcc, v15, v14, vcc
	global_load_dwordx2 v[13:14], v[13:14], off
                                        ; implicit-def: $vgpr15
	s_waitcnt vmcnt(0)
	v_cmp_ngt_f32_e64 s[10:11], |v13|, |v14|
	s_and_saveexec_b64 s[12:13], s[10:11]
	s_xor_b64 s[10:11], exec, s[12:13]
	s_cbranch_execz .LBB72_62
; %bb.61:
	v_div_scale_f32 v15, s[12:13], -v14, -v14, v13
	v_div_scale_f32 v16, vcc, v13, -v14, v13
	v_rcp_f32_e32 v20, v15
	v_fma_f32 v21, -v15, v20, 1.0
	v_fmac_f32_e32 v20, v21, v20
	v_mul_f32_e32 v21, v16, v20
	v_fma_f32 v22, -v15, v21, v16
	v_fmac_f32_e32 v21, v22, v20
	v_fma_f32 v15, -v15, v21, v16
	v_div_fmas_f32 v15, v15, v20, v21
	v_div_fixup_f32 v15, v15, -v14, v13
	v_fma_f32 v13, v13, v15, -v14
	v_div_scale_f32 v14, s[12:13], v13, v13, 1.0
	v_div_scale_f32 v16, vcc, 1.0, v13, 1.0
	v_rcp_f32_e32 v20, v14
	v_fma_f32 v21, -v14, v20, 1.0
	v_fmac_f32_e32 v20, v21, v20
	v_mul_f32_e32 v21, v16, v20
	v_fma_f32 v22, -v14, v21, v16
	v_fmac_f32_e32 v21, v22, v20
	v_fma_f32 v14, -v14, v21, v16
	v_div_fmas_f32 v14, v14, v20, v21
	v_div_fixup_f32 v13, v14, v13, 1.0
	v_mul_f32_e32 v15, v15, v13
	v_xor_b32_e32 v16, 0x80000000, v13
                                        ; implicit-def: $vgpr13_vgpr14
.LBB72_62:
	s_andn2_saveexec_b64 s[10:11], s[10:11]
	s_cbranch_execz .LBB72_64
; %bb.63:
	v_div_scale_f32 v15, s[12:13], v13, v13, -v14
	v_div_scale_f32 v16, vcc, -v14, v13, -v14
	v_rcp_f32_e32 v20, v15
	v_fma_f32 v21, -v15, v20, 1.0
	v_fmac_f32_e32 v20, v21, v20
	v_mul_f32_e32 v21, v16, v20
	v_fma_f32 v22, -v15, v21, v16
	v_fmac_f32_e32 v21, v22, v20
	v_fma_f32 v15, -v15, v21, v16
	v_div_fmas_f32 v15, v15, v20, v21
	v_div_fixup_f32 v16, v15, v13, -v14
	v_fma_f32 v13, -v14, v16, v13
	v_div_scale_f32 v14, s[12:13], v13, v13, 1.0
	v_div_scale_f32 v15, vcc, 1.0, v13, 1.0
	v_rcp_f32_e32 v20, v14
	v_fma_f32 v21, -v14, v20, 1.0
	v_fmac_f32_e32 v20, v21, v20
	v_mul_f32_e32 v21, v15, v20
	v_fma_f32 v22, -v14, v21, v15
	v_fmac_f32_e32 v21, v22, v20
	v_fma_f32 v14, -v14, v21, v15
	v_div_fmas_f32 v14, v14, v20, v21
	v_div_fixup_f32 v15, v14, v13, 1.0
	v_mul_f32_e64 v16, v16, -v15
.LBB72_64:
	s_or_b64 exec, exec, s[10:11]
	v_lshlrev_b32_e32 v13, 3, v19
	ds_write_b64 v13, v[15:16]
.LBB72_65:
	s_or_b64 exec, exec, s[8:9]
                                        ; implicit-def: $vgpr13_vgpr14
                                        ; implicit-def: $vgpr19
.LBB72_66:
	s_andn2_saveexec_b64 s[2:3], s[2:3]
	s_cbranch_execz .LBB72_68
; %bb.67:
	v_lshlrev_b64 v[13:14], 3, v[13:14]
	v_mov_b32_e32 v15, s88
	v_add_co_u32_e32 v13, vcc, s87, v13
	v_addc_co_u32_e32 v14, vcc, v15, v14, vcc
	global_load_dwordx2 v[13:14], v[13:14], off
	v_lshlrev_b32_e32 v15, 3, v19
	s_waitcnt vmcnt(0)
	v_xor_b32_e32 v13, 0x80000000, v13
	ds_write_b64 v15, v[13:14]
.LBB72_68:
	s_or_b64 exec, exec, s[2:3]
	s_mov_b64 s[12:13], 0
.LBB72_69:
	s_xor_b64 s[10:11], s[0:1], -1
	s_and_b64 vcc, exec, s[12:13]
	s_cbranch_vccz .LBB72_127
; %bb.70:
	v_mad_u64_u32 v[13:14], s[2:3], s24, v2, v[11:12]
	v_cmp_le_u32_e32 vcc, v0, v2
	v_cmp_gt_i32_e64 s[2:3], s86, v0
	v_mad_u64_u32 v[14:15], s[8:9], s25, v2, v[14:15]
	v_max_i32_e32 v15, v2, v0
	v_cmp_le_i32_e64 s[8:9], s86, v15
	s_or_b64 s[8:9], s[8:9], vcc
	s_and_saveexec_b64 s[12:13], s[8:9]
	s_xor_b64 s[8:9], exec, s[12:13]
	s_cbranch_execz .LBB72_82
; %bb.71:
	v_cmp_ne_u32_e32 vcc, v0, v2
	s_xor_b64 s[12:13], s[2:3], -1
	s_or_b64 s[12:13], s[12:13], vcc
	s_and_saveexec_b64 s[14:15], s[12:13]
	s_xor_b64 s[12:13], exec, s[14:15]
	s_cbranch_execz .LBB72_75
; %bb.72:
	v_or_b32_e32 v13, v2, v0
	v_cmp_gt_u32_e32 vcc, 64, v13
	s_and_saveexec_b64 s[14:15], vcc
; %bb.73:
	v_mov_b32_e32 v13, 0
	v_lshlrev_b32_e32 v15, 3, v18
	v_mov_b32_e32 v14, v13
	ds_write_b64 v15, v[13:14]
; %bb.74:
	s_or_b64 exec, exec, s[14:15]
                                        ; implicit-def: $vgpr18
                                        ; implicit-def: $vgpr13_vgpr14
.LBB72_75:
	s_andn2_saveexec_b64 s[12:13], s[12:13]
	s_cbranch_execz .LBB72_81
; %bb.76:
	v_lshlrev_b64 v[13:14], 3, v[13:14]
	v_mov_b32_e32 v15, s88
	v_add_co_u32_e32 v13, vcc, s87, v13
	v_addc_co_u32_e32 v14, vcc, v15, v14, vcc
	global_load_dwordx2 v[13:14], v[13:14], off
                                        ; implicit-def: $vgpr15
	s_waitcnt vmcnt(0)
	v_cmp_ngt_f32_e64 s[14:15], |v13|, |v14|
	s_and_saveexec_b64 s[16:17], s[14:15]
	s_xor_b64 s[14:15], exec, s[16:17]
	s_cbranch_execz .LBB72_78
; %bb.77:
	v_div_scale_f32 v15, s[16:17], -v14, -v14, v13
	v_div_scale_f32 v16, vcc, v13, -v14, v13
	v_rcp_f32_e32 v19, v15
	v_fma_f32 v20, -v15, v19, 1.0
	v_fmac_f32_e32 v19, v20, v19
	v_mul_f32_e32 v20, v16, v19
	v_fma_f32 v21, -v15, v20, v16
	v_fmac_f32_e32 v20, v21, v19
	v_fma_f32 v15, -v15, v20, v16
	v_div_fmas_f32 v15, v15, v19, v20
	v_div_fixup_f32 v15, v15, -v14, v13
	v_fma_f32 v13, v13, v15, -v14
	v_div_scale_f32 v14, s[16:17], v13, v13, 1.0
	v_div_scale_f32 v16, vcc, 1.0, v13, 1.0
	v_rcp_f32_e32 v19, v14
	v_fma_f32 v20, -v14, v19, 1.0
	v_fmac_f32_e32 v19, v20, v19
	v_mul_f32_e32 v20, v16, v19
	v_fma_f32 v21, -v14, v20, v16
	v_fmac_f32_e32 v20, v21, v19
	v_fma_f32 v14, -v14, v20, v16
	v_div_fmas_f32 v14, v14, v19, v20
	v_div_fixup_f32 v13, v14, v13, 1.0
	v_mul_f32_e32 v15, v15, v13
	v_xor_b32_e32 v16, 0x80000000, v13
                                        ; implicit-def: $vgpr13_vgpr14
.LBB72_78:
	s_andn2_saveexec_b64 s[14:15], s[14:15]
	s_cbranch_execz .LBB72_80
; %bb.79:
	v_div_scale_f32 v15, s[16:17], v13, v13, -v14
	v_div_scale_f32 v16, vcc, -v14, v13, -v14
	v_rcp_f32_e32 v19, v15
	v_fma_f32 v20, -v15, v19, 1.0
	v_fmac_f32_e32 v19, v20, v19
	v_mul_f32_e32 v20, v16, v19
	v_fma_f32 v21, -v15, v20, v16
	v_fmac_f32_e32 v20, v21, v19
	v_fma_f32 v15, -v15, v20, v16
	v_div_fmas_f32 v15, v15, v19, v20
	v_div_fixup_f32 v16, v15, v13, -v14
	v_fma_f32 v13, -v14, v16, v13
	v_div_scale_f32 v14, s[16:17], v13, v13, 1.0
	v_div_scale_f32 v15, vcc, 1.0, v13, 1.0
	v_rcp_f32_e32 v19, v14
	v_fma_f32 v20, -v14, v19, 1.0
	v_fmac_f32_e32 v19, v20, v19
	v_mul_f32_e32 v20, v15, v19
	v_fma_f32 v21, -v14, v20, v15
	v_fmac_f32_e32 v20, v21, v19
	v_fma_f32 v14, -v14, v20, v15
	v_div_fmas_f32 v14, v14, v19, v20
	v_div_fixup_f32 v15, v14, v13, 1.0
	v_mul_f32_e64 v16, v16, -v15
.LBB72_80:
	s_or_b64 exec, exec, s[14:15]
	v_lshlrev_b32_e32 v13, 3, v18
	ds_write_b64 v13, v[15:16]
.LBB72_81:
	s_or_b64 exec, exec, s[12:13]
                                        ; implicit-def: $vgpr13_vgpr14
                                        ; implicit-def: $vgpr18
.LBB72_82:
	s_andn2_saveexec_b64 s[8:9], s[8:9]
	s_cbranch_execz .LBB72_84
; %bb.83:
	v_lshlrev_b64 v[13:14], 3, v[13:14]
	v_mov_b32_e32 v15, s88
	v_add_co_u32_e32 v13, vcc, s87, v13
	v_addc_co_u32_e32 v14, vcc, v15, v14, vcc
	global_load_dwordx2 v[13:14], v[13:14], off
	v_lshlrev_b32_e32 v15, 3, v18
	s_waitcnt vmcnt(0)
	v_xor_b32_e32 v13, 0x80000000, v13
	ds_write_b64 v15, v[13:14]
.LBB72_84:
	s_or_b64 exec, exec, s[8:9]
	v_add_u32_e32 v15, 16, v2
	v_mad_u64_u32 v[13:14], s[8:9], s24, v15, v[11:12]
	v_cmp_gt_u32_e32 vcc, v0, v15
	v_add_u32_e32 v16, v15, v17
	v_mad_u64_u32 v[19:20], s[8:9], s25, v15, v[14:15]
	v_cmp_gt_i32_e64 s[8:9], s86, v15
	s_and_b64 s[8:9], vcc, s[8:9]
	v_lshl_add_u32 v14, v15, 6, v0
	s_and_b64 s[8:9], s[2:3], s[8:9]
	v_cndmask_b32_e64 v18, v14, v16, s[0:1]
	v_mov_b32_e32 v14, v19
	s_xor_b64 s[8:9], s[8:9], -1
	s_and_saveexec_b64 s[12:13], s[8:9]
	s_xor_b64 s[8:9], exec, s[12:13]
	s_cbranch_execz .LBB72_96
; %bb.85:
	v_cmp_ne_u32_e32 vcc, v0, v15
	s_xor_b64 s[12:13], s[2:3], -1
	s_or_b64 s[12:13], s[12:13], vcc
	s_and_saveexec_b64 s[14:15], s[12:13]
	s_xor_b64 s[12:13], exec, s[14:15]
	s_cbranch_execz .LBB72_89
; %bb.86:
	v_or_b32_e32 v13, v15, v0
	v_cmp_gt_u32_e32 vcc, 64, v13
	s_and_saveexec_b64 s[14:15], vcc
; %bb.87:
	v_mov_b32_e32 v13, 0
	v_lshlrev_b32_e32 v15, 3, v18
	v_mov_b32_e32 v14, v13
	ds_write_b64 v15, v[13:14]
; %bb.88:
	s_or_b64 exec, exec, s[14:15]
                                        ; implicit-def: $vgpr18
                                        ; implicit-def: $vgpr13_vgpr14
.LBB72_89:
	s_andn2_saveexec_b64 s[12:13], s[12:13]
	s_cbranch_execz .LBB72_95
; %bb.90:
	v_lshlrev_b64 v[13:14], 3, v[13:14]
	v_mov_b32_e32 v15, s88
	v_add_co_u32_e32 v13, vcc, s87, v13
	v_addc_co_u32_e32 v14, vcc, v15, v14, vcc
	global_load_dwordx2 v[13:14], v[13:14], off
                                        ; implicit-def: $vgpr15
	s_waitcnt vmcnt(0)
	v_cmp_ngt_f32_e64 s[14:15], |v13|, |v14|
	s_and_saveexec_b64 s[16:17], s[14:15]
	s_xor_b64 s[14:15], exec, s[16:17]
	s_cbranch_execz .LBB72_92
; %bb.91:
	v_div_scale_f32 v15, s[16:17], -v14, -v14, v13
	v_div_scale_f32 v16, vcc, v13, -v14, v13
	v_rcp_f32_e32 v19, v15
	v_fma_f32 v20, -v15, v19, 1.0
	v_fmac_f32_e32 v19, v20, v19
	v_mul_f32_e32 v20, v16, v19
	v_fma_f32 v21, -v15, v20, v16
	v_fmac_f32_e32 v20, v21, v19
	v_fma_f32 v15, -v15, v20, v16
	v_div_fmas_f32 v15, v15, v19, v20
	v_div_fixup_f32 v15, v15, -v14, v13
	v_fma_f32 v13, v13, v15, -v14
	v_div_scale_f32 v14, s[16:17], v13, v13, 1.0
	v_div_scale_f32 v16, vcc, 1.0, v13, 1.0
	v_rcp_f32_e32 v19, v14
	v_fma_f32 v20, -v14, v19, 1.0
	v_fmac_f32_e32 v19, v20, v19
	v_mul_f32_e32 v20, v16, v19
	v_fma_f32 v21, -v14, v20, v16
	v_fmac_f32_e32 v20, v21, v19
	v_fma_f32 v14, -v14, v20, v16
	v_div_fmas_f32 v14, v14, v19, v20
	v_div_fixup_f32 v13, v14, v13, 1.0
	v_mul_f32_e32 v15, v15, v13
	v_xor_b32_e32 v16, 0x80000000, v13
                                        ; implicit-def: $vgpr13_vgpr14
.LBB72_92:
	s_andn2_saveexec_b64 s[14:15], s[14:15]
	s_cbranch_execz .LBB72_94
; %bb.93:
	v_div_scale_f32 v15, s[16:17], v13, v13, -v14
	v_div_scale_f32 v16, vcc, -v14, v13, -v14
	v_rcp_f32_e32 v19, v15
	v_fma_f32 v20, -v15, v19, 1.0
	v_fmac_f32_e32 v19, v20, v19
	v_mul_f32_e32 v20, v16, v19
	v_fma_f32 v21, -v15, v20, v16
	v_fmac_f32_e32 v20, v21, v19
	v_fma_f32 v15, -v15, v20, v16
	v_div_fmas_f32 v15, v15, v19, v20
	v_div_fixup_f32 v16, v15, v13, -v14
	v_fma_f32 v13, -v14, v16, v13
	v_div_scale_f32 v14, s[16:17], v13, v13, 1.0
	v_div_scale_f32 v15, vcc, 1.0, v13, 1.0
	v_rcp_f32_e32 v19, v14
	v_fma_f32 v20, -v14, v19, 1.0
	v_fmac_f32_e32 v19, v20, v19
	v_mul_f32_e32 v20, v15, v19
	v_fma_f32 v21, -v14, v20, v15
	v_fmac_f32_e32 v20, v21, v19
	v_fma_f32 v14, -v14, v20, v15
	v_div_fmas_f32 v14, v14, v19, v20
	v_div_fixup_f32 v15, v14, v13, 1.0
	v_mul_f32_e64 v16, v16, -v15
.LBB72_94:
	s_or_b64 exec, exec, s[14:15]
	v_lshlrev_b32_e32 v13, 3, v18
	ds_write_b64 v13, v[15:16]
.LBB72_95:
	s_or_b64 exec, exec, s[12:13]
                                        ; implicit-def: $vgpr13_vgpr14
                                        ; implicit-def: $vgpr18
.LBB72_96:
	s_andn2_saveexec_b64 s[8:9], s[8:9]
	s_cbranch_execz .LBB72_98
; %bb.97:
	v_lshlrev_b64 v[13:14], 3, v[13:14]
	v_mov_b32_e32 v15, s88
	v_add_co_u32_e32 v13, vcc, s87, v13
	v_addc_co_u32_e32 v14, vcc, v15, v14, vcc
	global_load_dwordx2 v[13:14], v[13:14], off
	v_lshlrev_b32_e32 v15, 3, v18
	s_waitcnt vmcnt(0)
	v_xor_b32_e32 v13, 0x80000000, v13
	ds_write_b64 v15, v[13:14]
.LBB72_98:
	s_or_b64 exec, exec, s[8:9]
	v_add_u32_e32 v15, 32, v2
	v_mad_u64_u32 v[13:14], s[8:9], s24, v15, v[11:12]
	v_cmp_gt_u32_e32 vcc, v0, v15
	v_add_u32_e32 v16, v15, v17
	v_mad_u64_u32 v[19:20], s[8:9], s25, v15, v[14:15]
	v_cmp_gt_i32_e64 s[8:9], s86, v15
	s_and_b64 s[8:9], vcc, s[8:9]
	v_lshl_add_u32 v14, v15, 6, v0
	s_and_b64 s[8:9], s[2:3], s[8:9]
	v_cndmask_b32_e64 v18, v14, v16, s[0:1]
	v_mov_b32_e32 v14, v19
	s_xor_b64 s[8:9], s[8:9], -1
	s_and_saveexec_b64 s[12:13], s[8:9]
	s_xor_b64 s[8:9], exec, s[12:13]
	s_cbranch_execz .LBB72_110
; %bb.99:
	v_cmp_ne_u32_e32 vcc, v0, v15
	s_xor_b64 s[12:13], s[2:3], -1
	s_or_b64 s[12:13], s[12:13], vcc
	s_and_saveexec_b64 s[14:15], s[12:13]
	s_xor_b64 s[12:13], exec, s[14:15]
	s_cbranch_execz .LBB72_103
; %bb.100:
	v_or_b32_e32 v13, v15, v0
	v_cmp_gt_u32_e32 vcc, 64, v13
	s_and_saveexec_b64 s[14:15], vcc
; %bb.101:
	v_mov_b32_e32 v13, 0
	v_lshlrev_b32_e32 v15, 3, v18
	v_mov_b32_e32 v14, v13
	ds_write_b64 v15, v[13:14]
; %bb.102:
	s_or_b64 exec, exec, s[14:15]
                                        ; implicit-def: $vgpr18
                                        ; implicit-def: $vgpr13_vgpr14
.LBB72_103:
	s_andn2_saveexec_b64 s[12:13], s[12:13]
	s_cbranch_execz .LBB72_109
; %bb.104:
	v_lshlrev_b64 v[13:14], 3, v[13:14]
	v_mov_b32_e32 v15, s88
	v_add_co_u32_e32 v13, vcc, s87, v13
	v_addc_co_u32_e32 v14, vcc, v15, v14, vcc
	global_load_dwordx2 v[13:14], v[13:14], off
                                        ; implicit-def: $vgpr15
	s_waitcnt vmcnt(0)
	v_cmp_ngt_f32_e64 s[14:15], |v13|, |v14|
	s_and_saveexec_b64 s[16:17], s[14:15]
	s_xor_b64 s[14:15], exec, s[16:17]
	s_cbranch_execz .LBB72_106
; %bb.105:
	v_div_scale_f32 v15, s[16:17], -v14, -v14, v13
	v_div_scale_f32 v16, vcc, v13, -v14, v13
	v_rcp_f32_e32 v19, v15
	v_fma_f32 v20, -v15, v19, 1.0
	v_fmac_f32_e32 v19, v20, v19
	v_mul_f32_e32 v20, v16, v19
	v_fma_f32 v21, -v15, v20, v16
	v_fmac_f32_e32 v20, v21, v19
	v_fma_f32 v15, -v15, v20, v16
	v_div_fmas_f32 v15, v15, v19, v20
	v_div_fixup_f32 v15, v15, -v14, v13
	v_fma_f32 v13, v13, v15, -v14
	v_div_scale_f32 v14, s[16:17], v13, v13, 1.0
	v_div_scale_f32 v16, vcc, 1.0, v13, 1.0
	v_rcp_f32_e32 v19, v14
	v_fma_f32 v20, -v14, v19, 1.0
	v_fmac_f32_e32 v19, v20, v19
	v_mul_f32_e32 v20, v16, v19
	v_fma_f32 v21, -v14, v20, v16
	v_fmac_f32_e32 v20, v21, v19
	v_fma_f32 v14, -v14, v20, v16
	v_div_fmas_f32 v14, v14, v19, v20
	v_div_fixup_f32 v13, v14, v13, 1.0
	v_mul_f32_e32 v15, v15, v13
	v_xor_b32_e32 v16, 0x80000000, v13
                                        ; implicit-def: $vgpr13_vgpr14
.LBB72_106:
	s_andn2_saveexec_b64 s[14:15], s[14:15]
	s_cbranch_execz .LBB72_108
; %bb.107:
	v_div_scale_f32 v15, s[16:17], v13, v13, -v14
	v_div_scale_f32 v16, vcc, -v14, v13, -v14
	v_rcp_f32_e32 v19, v15
	v_fma_f32 v20, -v15, v19, 1.0
	v_fmac_f32_e32 v19, v20, v19
	v_mul_f32_e32 v20, v16, v19
	v_fma_f32 v21, -v15, v20, v16
	v_fmac_f32_e32 v20, v21, v19
	v_fma_f32 v15, -v15, v20, v16
	v_div_fmas_f32 v15, v15, v19, v20
	v_div_fixup_f32 v16, v15, v13, -v14
	v_fma_f32 v13, -v14, v16, v13
	v_div_scale_f32 v14, s[16:17], v13, v13, 1.0
	v_div_scale_f32 v15, vcc, 1.0, v13, 1.0
	v_rcp_f32_e32 v19, v14
	v_fma_f32 v20, -v14, v19, 1.0
	v_fmac_f32_e32 v19, v20, v19
	v_mul_f32_e32 v20, v15, v19
	v_fma_f32 v21, -v14, v20, v15
	v_fmac_f32_e32 v20, v21, v19
	v_fma_f32 v14, -v14, v20, v15
	v_div_fmas_f32 v14, v14, v19, v20
	v_div_fixup_f32 v15, v14, v13, 1.0
	v_mul_f32_e64 v16, v16, -v15
.LBB72_108:
	s_or_b64 exec, exec, s[14:15]
	v_lshlrev_b32_e32 v13, 3, v18
	ds_write_b64 v13, v[15:16]
.LBB72_109:
	s_or_b64 exec, exec, s[12:13]
                                        ; implicit-def: $vgpr13_vgpr14
                                        ; implicit-def: $vgpr18
.LBB72_110:
	s_andn2_saveexec_b64 s[8:9], s[8:9]
	s_cbranch_execz .LBB72_112
; %bb.111:
	v_lshlrev_b64 v[13:14], 3, v[13:14]
	v_mov_b32_e32 v15, s88
	v_add_co_u32_e32 v13, vcc, s87, v13
	v_addc_co_u32_e32 v14, vcc, v15, v14, vcc
	global_load_dwordx2 v[13:14], v[13:14], off
	v_lshlrev_b32_e32 v15, 3, v18
	s_waitcnt vmcnt(0)
	v_xor_b32_e32 v13, 0x80000000, v13
	ds_write_b64 v15, v[13:14]
.LBB72_112:
	s_or_b64 exec, exec, s[8:9]
	v_add_u32_e32 v13, 48, v2
	v_mad_u64_u32 v[11:12], s[8:9], s24, v13, v[11:12]
	v_add_u32_e32 v16, v13, v17
	v_cmp_gt_u32_e32 vcc, v0, v13
	v_mad_u64_u32 v[14:15], s[8:9], s25, v13, v[12:13]
	v_lshl_add_u32 v12, v13, 6, v0
	v_cndmask_b32_e64 v15, v12, v16, s[0:1]
	v_cmp_gt_i32_e64 s[0:1], s86, v13
	s_and_b64 s[0:1], vcc, s[0:1]
	s_and_b64 s[0:1], s[2:3], s[0:1]
	v_mov_b32_e32 v12, v14
	s_xor_b64 s[0:1], s[0:1], -1
	s_and_saveexec_b64 s[8:9], s[0:1]
	s_xor_b64 s[0:1], exec, s[8:9]
	s_cbranch_execz .LBB72_124
; %bb.113:
	v_cmp_ne_u32_e32 vcc, v0, v13
	s_xor_b64 s[2:3], s[2:3], -1
	s_or_b64 s[2:3], s[2:3], vcc
	s_and_saveexec_b64 s[8:9], s[2:3]
	s_xor_b64 s[2:3], exec, s[8:9]
	s_cbranch_execz .LBB72_117
; %bb.114:
	v_or_b32_e32 v11, v13, v0
	v_cmp_gt_u32_e32 vcc, 64, v11
	s_and_saveexec_b64 s[8:9], vcc
; %bb.115:
	v_mov_b32_e32 v11, 0
	v_lshlrev_b32_e32 v13, 3, v15
	v_mov_b32_e32 v12, v11
	ds_write_b64 v13, v[11:12]
; %bb.116:
	s_or_b64 exec, exec, s[8:9]
                                        ; implicit-def: $vgpr15
                                        ; implicit-def: $vgpr11_vgpr12
.LBB72_117:
	s_andn2_saveexec_b64 s[2:3], s[2:3]
	s_cbranch_execz .LBB72_123
; %bb.118:
	v_lshlrev_b64 v[11:12], 3, v[11:12]
	v_mov_b32_e32 v13, s88
	v_add_co_u32_e32 v11, vcc, s87, v11
	v_addc_co_u32_e32 v12, vcc, v13, v12, vcc
	global_load_dwordx2 v[11:12], v[11:12], off
                                        ; implicit-def: $vgpr13
	s_waitcnt vmcnt(0)
	v_cmp_ngt_f32_e64 s[8:9], |v11|, |v12|
	s_and_saveexec_b64 s[12:13], s[8:9]
	s_xor_b64 s[8:9], exec, s[12:13]
	s_cbranch_execz .LBB72_120
; %bb.119:
	v_div_scale_f32 v13, s[12:13], -v12, -v12, v11
	v_div_scale_f32 v14, vcc, v11, -v12, v11
	v_rcp_f32_e32 v16, v13
	v_fma_f32 v17, -v13, v16, 1.0
	v_fmac_f32_e32 v16, v17, v16
	v_mul_f32_e32 v17, v14, v16
	v_fma_f32 v18, -v13, v17, v14
	v_fmac_f32_e32 v17, v18, v16
	v_fma_f32 v13, -v13, v17, v14
	v_div_fmas_f32 v13, v13, v16, v17
	v_div_fixup_f32 v13, v13, -v12, v11
	v_fma_f32 v11, v11, v13, -v12
	v_div_scale_f32 v12, s[12:13], v11, v11, 1.0
	v_div_scale_f32 v14, vcc, 1.0, v11, 1.0
	v_rcp_f32_e32 v16, v12
	v_fma_f32 v17, -v12, v16, 1.0
	v_fmac_f32_e32 v16, v17, v16
	v_mul_f32_e32 v17, v14, v16
	v_fma_f32 v18, -v12, v17, v14
	v_fmac_f32_e32 v17, v18, v16
	v_fma_f32 v12, -v12, v17, v14
	v_div_fmas_f32 v12, v12, v16, v17
	v_div_fixup_f32 v11, v12, v11, 1.0
	v_mul_f32_e32 v13, v13, v11
	v_xor_b32_e32 v14, 0x80000000, v11
                                        ; implicit-def: $vgpr11_vgpr12
.LBB72_120:
	s_andn2_saveexec_b64 s[8:9], s[8:9]
	s_cbranch_execz .LBB72_122
; %bb.121:
	v_div_scale_f32 v13, s[12:13], v11, v11, -v12
	v_div_scale_f32 v14, vcc, -v12, v11, -v12
	v_rcp_f32_e32 v16, v13
	v_fma_f32 v17, -v13, v16, 1.0
	v_fmac_f32_e32 v16, v17, v16
	v_mul_f32_e32 v17, v14, v16
	v_fma_f32 v18, -v13, v17, v14
	v_fmac_f32_e32 v17, v18, v16
	v_fma_f32 v13, -v13, v17, v14
	v_div_fmas_f32 v13, v13, v16, v17
	v_div_fixup_f32 v14, v13, v11, -v12
	v_fma_f32 v11, -v12, v14, v11
	v_div_scale_f32 v12, s[12:13], v11, v11, 1.0
	v_div_scale_f32 v13, vcc, 1.0, v11, 1.0
	v_rcp_f32_e32 v16, v12
	v_fma_f32 v17, -v12, v16, 1.0
	v_fmac_f32_e32 v16, v17, v16
	v_mul_f32_e32 v17, v13, v16
	v_fma_f32 v18, -v12, v17, v13
	v_fmac_f32_e32 v17, v18, v16
	v_fma_f32 v12, -v12, v17, v13
	v_div_fmas_f32 v12, v12, v16, v17
	v_div_fixup_f32 v13, v12, v11, 1.0
	v_mul_f32_e64 v14, v14, -v13
.LBB72_122:
	s_or_b64 exec, exec, s[8:9]
	v_lshlrev_b32_e32 v11, 3, v15
	ds_write_b64 v11, v[13:14]
.LBB72_123:
	s_or_b64 exec, exec, s[2:3]
                                        ; implicit-def: $vgpr11_vgpr12
                                        ; implicit-def: $vgpr15
.LBB72_124:
	s_andn2_saveexec_b64 s[0:1], s[0:1]
	s_cbranch_execz .LBB72_126
; %bb.125:
	v_lshlrev_b64 v[11:12], 3, v[11:12]
	v_mov_b32_e32 v13, s88
	v_add_co_u32_e32 v11, vcc, s87, v11
	v_addc_co_u32_e32 v12, vcc, v13, v12, vcc
	global_load_dwordx2 v[11:12], v[11:12], off
	v_lshlrev_b32_e32 v13, 3, v15
	s_waitcnt vmcnt(0)
	v_xor_b32_e32 v11, 0x80000000, v11
	ds_write_b64 v13, v[11:12]
.LBB72_126:
	s_or_b64 exec, exec, s[0:1]
.LBB72_127:
	v_cndmask_b32_e64 v11, 0, 1, s[10:11]
	v_cmp_ne_u32_e64 s[54:55], 1, v11
	s_andn2_b64 vcc, exec, s[10:11]
	s_waitcnt vmcnt(0) lgkmcnt(0)
	s_barrier
	s_cbranch_vccnz .LBB72_1049
; %bb.128:
	v_or_b32_e32 v11, v0, v2
	v_cmp_eq_u32_e32 vcc, 0, v11
	s_and_saveexec_b64 s[0:1], vcc
	s_cbranch_execz .LBB72_130
; %bb.129:
	v_mov_b32_e32 v17, 0
	ds_read_b128 v[11:14], v17
	ds_read_b64 v[15:16], v17 offset:520
	s_waitcnt lgkmcnt(0)
	v_mul_f32_e32 v18, v16, v12
	v_mul_f32_e32 v19, v15, v12
	v_fma_f32 v15, v15, v11, -v18
	v_fmac_f32_e32 v19, v16, v11
	v_mul_f32_e32 v11, v19, v14
	v_mul_f32_e32 v12, v15, v14
	v_fma_f32 v11, v15, v13, -v11
	v_fmac_f32_e32 v12, v19, v13
	ds_write2_b64 v17, v[11:12], v[11:12] offset0:1 offset1:64
.LBB72_130:
	s_or_b64 exec, exec, s[0:1]
	v_and_b32_e32 v16, 1, v0
	v_lshrrev_b32_e32 v13, 1, v1
	v_lshlrev_b32_e32 v11, 3, v16
	v_cmp_lt_u32_e64 s[8:9], 3, v1
	v_cmp_gt_u32_e64 s[2:3], 4, v1
	v_lshl_or_b32 v11, v13, 9, v11
	v_mov_b32_e32 v14, 0
	v_mov_b32_e32 v15, 0
	s_waitcnt lgkmcnt(0)
	s_barrier
	s_and_saveexec_b64 s[0:1], s[2:3]
	s_cbranch_execz .LBB72_134
; %bb.131:
	v_mul_u32_u24_e32 v12, 0x208, v13
	ds_read_b64 v[14:15], v11 offset:16
	ds_read_b64 v[17:18], v12
	v_cmp_gt_u32_e64 s[10:11], 2, v1
	s_waitcnt lgkmcnt(0)
	v_mul_f32_e32 v12, v18, v15
	v_mul_f32_e32 v15, v17, v15
	v_fma_f32 v12, v17, v14, -v12
	v_fmac_f32_e32 v15, v18, v14
	v_add_f32_e32 v12, 0, v12
	v_add_f32_e32 v14, 0, v15
	s_and_saveexec_b64 s[12:13], s[10:11]
	s_cbranch_execz .LBB72_133
; %bb.132:
	v_lshlrev_b32_e32 v15, 3, v0
	v_mov_b32_e32 v19, 0
	ds_read_b64 v[17:18], v15 offset:528
	ds_read_b64 v[19:20], v19 offset:8
	s_waitcnt lgkmcnt(0)
	v_mul_f32_e32 v15, v20, v18
	v_mul_f32_e32 v18, v19, v18
	v_fma_f32 v15, v19, v17, -v15
	v_fmac_f32_e32 v18, v20, v17
	v_add_f32_e32 v12, v12, v15
	v_add_f32_e32 v14, v14, v18
.LBB72_133:
	s_or_b64 exec, exec, s[12:13]
	v_xor_b32_e32 v15, 0x80000000, v12
	v_xor_b32_e32 v14, 0x80000000, v14
.LBB72_134:
	s_or_b64 exec, exec, s[0:1]
	v_mov_b32_e32 v12, 0x8000
	v_cmp_eq_u32_e64 s[10:11], 0, v16
	s_xor_b64 s[0:1], s[8:9], -1
	v_lshl_add_u32 v12, v13, 3, v12
	s_and_b64 s[34:35], s[10:11], s[0:1]
	s_and_saveexec_b64 s[8:9], s[34:35]
	s_cbranch_execz .LBB72_136
; %bb.135:
	v_mov_b32_e32 v17, 0
	ds_read_b64 v[17:18], v17 offset:1040
	s_waitcnt lgkmcnt(0)
	v_mul_f32_e32 v20, v14, v18
	v_mul_f32_e32 v19, v15, v18
	v_fma_f32 v18, v15, v17, -v20
	v_fmac_f32_e32 v19, v14, v17
	v_mov_b32_e32 v15, v18
	v_mov_b32_e32 v14, v19
	ds_write_b64 v12, v[18:19]
.LBB72_136:
	s_or_b64 exec, exec, s[8:9]
	v_cmp_ne_u32_e64 s[8:9], 0, v16
	s_and_b64 s[26:27], s[8:9], s[0:1]
	s_waitcnt lgkmcnt(0)
	s_barrier
	s_and_saveexec_b64 s[0:1], s[26:27]
	s_cbranch_execz .LBB72_138
; %bb.137:
	v_mov_b32_e32 v16, 0
	ds_read_b64 v[16:17], v16 offset:1048
	ds_read_b64 v[18:19], v12
	s_waitcnt lgkmcnt(0)
	v_mul_f32_e32 v20, v19, v17
	v_mul_f32_e32 v17, v18, v17
	v_fma_f32 v18, v18, v16, -v20
	v_fmac_f32_e32 v17, v19, v16
	v_add_f32_e32 v15, v15, v18
	v_add_f32_e32 v14, v14, v17
.LBB72_138:
	s_or_b64 exec, exec, s[0:1]
	s_barrier
	s_and_saveexec_b64 s[0:1], s[26:27]
	s_cbranch_execz .LBB72_140
; %bb.139:
	v_mov_b32_e32 v16, 0
	ds_read_b64 v[16:17], v16 offset:1560
	s_waitcnt lgkmcnt(0)
	v_mul_f32_e32 v19, v14, v17
	v_mul_f32_e32 v18, v15, v17
	v_fma_f32 v17, v15, v16, -v19
	v_fmac_f32_e32 v18, v14, v16
	v_mov_b32_e32 v15, v17
	v_mov_b32_e32 v14, v18
	ds_write_b64 v12, v[17:18]
.LBB72_140:
	s_or_b64 exec, exec, s[0:1]
	s_waitcnt lgkmcnt(0)
	s_barrier
	s_barrier
	s_and_saveexec_b64 s[0:1], s[2:3]
; %bb.141:
	v_xor_b32_e32 v16, 0x80000000, v14
	v_xor_b32_e32 v15, 0x80000000, v15
	ds_write_b64 v11, v[15:16] offset:16
; %bb.142:
	s_or_b64 exec, exec, s[0:1]
	v_cmp_eq_u32_e64 s[12:13], 0, v2
	v_cmp_gt_u32_e64 s[8:9], 2, v0
	s_and_b64 s[36:37], s[12:13], s[8:9]
	s_waitcnt lgkmcnt(0)
	s_barrier
	s_barrier
	s_and_saveexec_b64 s[0:1], s[36:37]
	s_cbranch_execz .LBB72_144
; %bb.143:
	v_lshlrev_b32_e32 v16, 3, v0
	s_movk_i32 s8, 0x1f8
	v_mad_u32_u24 v17, v0, s8, v16
	ds_read_b64 v[14:15], v17 offset:16
	s_waitcnt lgkmcnt(0)
	ds_write_b64 v16, v[14:15] offset:1024
	ds_read_b64 v[14:15], v17 offset:24
	s_waitcnt lgkmcnt(0)
	ds_write_b64 v16, v[14:15] offset:1536
.LBB72_144:
	s_or_b64 exec, exec, s[0:1]
	s_waitcnt lgkmcnt(0)
	s_barrier
	s_and_saveexec_b64 s[0:1], vcc
	s_cbranch_execz .LBB72_146
; %bb.145:
	v_mov_b32_e32 v20, 0
	ds_read_b128 v[14:17], v20 offset:1040
	ds_read_b64 v[18:19], v20 offset:1560
	s_waitcnt lgkmcnt(0)
	v_mul_f32_e32 v21, v19, v15
	v_mul_f32_e32 v22, v18, v15
	v_fma_f32 v18, v18, v14, -v21
	v_fmac_f32_e32 v22, v19, v14
	v_mul_f32_e32 v14, v22, v17
	v_mul_f32_e32 v15, v18, v17
	v_fma_f32 v14, v18, v16, -v14
	v_fmac_f32_e32 v15, v22, v16
	ds_write2_b64 v20, v[14:15], v[14:15] offset0:131 offset1:194
.LBB72_146:
	s_or_b64 exec, exec, s[0:1]
	v_and_b32_e32 v17, 3, v0
	v_lshrrev_b32_e32 v18, 2, v1
	v_lshlrev_b32_e32 v15, 3, v17
	v_cmp_lt_u32_e64 s[8:9], 15, v1
	v_cmp_gt_u32_e64 s[18:19], 16, v1
	v_lshl_or_b32 v14, v18, 9, v15
	v_mov_b32_e32 v19, 0
	v_mov_b32_e32 v20, 0
	s_waitcnt lgkmcnt(0)
	s_barrier
	s_and_saveexec_b64 s[0:1], s[18:19]
	s_cbranch_execz .LBB72_152
; %bb.147:
	v_mul_u32_u24_e32 v20, 0x208, v18
	ds_read_b64 v[21:22], v14 offset:32
	ds_read_b64 v[23:24], v20
	v_cmp_gt_u32_e64 s[10:11], 12, v1
	s_waitcnt lgkmcnt(0)
	v_mul_f32_e32 v16, v24, v22
	v_mul_f32_e32 v19, v23, v22
	v_fma_f32 v16, v23, v21, -v16
	v_fmac_f32_e32 v19, v24, v21
	v_add_f32_e32 v16, 0, v16
	v_add_f32_e32 v19, 0, v19
	s_and_saveexec_b64 s[14:15], s[10:11]
	s_cbranch_execnz .LBB72_1124
; %bb.148:
	s_or_b64 exec, exec, s[14:15]
	v_cmp_gt_u32_e64 s[10:11], 8, v1
	s_and_saveexec_b64 s[14:15], s[10:11]
	s_cbranch_execnz .LBB72_1125
.LBB72_149:
	s_or_b64 exec, exec, s[14:15]
	v_cmp_gt_u32_e64 s[10:11], 4, v1
	s_and_saveexec_b64 s[14:15], s[10:11]
	s_cbranch_execz .LBB72_151
.LBB72_150:
	v_lshlrev_b32_e32 v20, 3, v0
	v_mov_b32_e32 v22, 0
	ds_read_b64 v[20:21], v20 offset:1568
	ds_read_b64 v[22:23], v22 offset:24
	s_waitcnt lgkmcnt(0)
	v_mul_f32_e32 v24, v23, v21
	v_mul_f32_e32 v21, v22, v21
	v_fma_f32 v22, v22, v20, -v24
	v_fmac_f32_e32 v21, v23, v20
	v_add_f32_e32 v16, v16, v22
	v_add_f32_e32 v19, v19, v21
.LBB72_151:
	s_or_b64 exec, exec, s[14:15]
	v_xor_b32_e32 v20, 0x80000000, v16
	v_xor_b32_e32 v19, 0x80000000, v19
.LBB72_152:
                                        ; implicit-def: $vgpr42 : SGPR spill to VGPR lane
	v_writelane_b32 v42, s40, 0
	s_or_b64 exec, exec, s[0:1]
	v_mov_b32_e32 v16, 0x8000
	v_cmp_eq_u32_e64 s[10:11], 0, v17
	s_xor_b64 s[0:1], s[8:9], -1
	v_lshl_add_u32 v16, v18, 3, v16
	s_and_b64 s[40:41], s[10:11], s[0:1]
	s_and_saveexec_b64 s[8:9], s[40:41]
	s_cbranch_execz .LBB72_154
; %bb.153:
	v_mov_b32_e32 v21, 0
	ds_read_b64 v[21:22], v21 offset:2080
	s_waitcnt lgkmcnt(0)
	v_mul_f32_e32 v24, v19, v22
	v_mul_f32_e32 v23, v20, v22
	v_fma_f32 v22, v20, v21, -v24
	v_fmac_f32_e32 v23, v19, v21
	v_mov_b32_e32 v20, v22
	v_mov_b32_e32 v19, v23
	ds_write_b64 v16, v[22:23]
.LBB72_154:
	s_or_b64 exec, exec, s[8:9]
	v_cmp_ne_u32_e64 s[8:9], 0, v17
	s_and_b64 s[42:43], s[8:9], s[0:1]
	s_waitcnt lgkmcnt(0)
	s_barrier
	s_and_saveexec_b64 s[8:9], s[42:43]
	s_cbranch_execz .LBB72_156
; %bb.155:
	ds_read_b64 v[21:22], v15 offset:2080
	ds_read_b64 v[23:24], v16
	s_waitcnt lgkmcnt(0)
	v_mul_f32_e32 v25, v24, v22
	v_mul_f32_e32 v22, v23, v22
	v_fma_f32 v23, v23, v21, -v25
	v_fmac_f32_e32 v22, v24, v21
	v_add_f32_e32 v20, v20, v23
	v_add_f32_e32 v19, v19, v22
.LBB72_156:
	s_or_b64 exec, exec, s[8:9]
	v_cmp_eq_u32_e64 s[8:9], 1, v17
	s_and_b64 s[44:45], s[8:9], s[0:1]
	s_barrier
	s_and_saveexec_b64 s[8:9], s[44:45]
	s_cbranch_execz .LBB72_158
; %bb.157:
	v_mov_b32_e32 v21, 0
	ds_read_b64 v[21:22], v21 offset:2600
	s_waitcnt lgkmcnt(0)
	v_mul_f32_e32 v24, v19, v22
	v_mul_f32_e32 v23, v20, v22
	v_fma_f32 v22, v20, v21, -v24
	v_fmac_f32_e32 v23, v19, v21
	v_mov_b32_e32 v20, v22
	v_mov_b32_e32 v19, v23
	ds_write_b64 v16, v[22:23]
.LBB72_158:
	s_or_b64 exec, exec, s[8:9]
	v_cmp_lt_u32_e64 s[8:9], 1, v17
	s_and_b64 s[46:47], s[8:9], s[0:1]
	s_waitcnt lgkmcnt(0)
	s_barrier
	s_and_saveexec_b64 s[8:9], s[46:47]
	s_cbranch_execz .LBB72_160
; %bb.159:
	ds_read_b64 v[21:22], v15 offset:2592
	ds_read_b64 v[23:24], v16
	s_waitcnt lgkmcnt(0)
	v_mul_f32_e32 v25, v24, v22
	v_mul_f32_e32 v22, v23, v22
	v_fma_f32 v23, v23, v21, -v25
	v_fmac_f32_e32 v22, v24, v21
	v_add_f32_e32 v20, v20, v23
	v_add_f32_e32 v19, v19, v22
.LBB72_160:
	s_or_b64 exec, exec, s[8:9]
	v_cmp_eq_u32_e64 s[8:9], 2, v17
	s_and_b64 s[48:49], s[8:9], s[0:1]
	s_barrier
	s_and_saveexec_b64 s[8:9], s[48:49]
	s_cbranch_execz .LBB72_162
; %bb.161:
	v_mov_b32_e32 v21, 0
	ds_read_b64 v[21:22], v21 offset:3120
	s_waitcnt lgkmcnt(0)
	v_mul_f32_e32 v24, v19, v22
	v_mul_f32_e32 v23, v20, v22
	v_fma_f32 v22, v20, v21, -v24
	v_fmac_f32_e32 v23, v19, v21
	v_mov_b32_e32 v20, v22
	v_mov_b32_e32 v19, v23
	ds_write_b64 v16, v[22:23]
.LBB72_162:
	s_or_b64 exec, exec, s[8:9]
	v_cmp_eq_u32_e64 s[8:9], 3, v17
	s_and_b64 s[38:39], s[8:9], s[0:1]
	s_waitcnt lgkmcnt(0)
	s_barrier
	s_and_saveexec_b64 s[0:1], s[38:39]
	s_cbranch_execz .LBB72_164
; %bb.163:
	v_mov_b32_e32 v21, 0
	ds_read_b64 v[21:22], v21 offset:3128
	ds_read_b64 v[23:24], v16
	s_waitcnt lgkmcnt(0)
	v_mul_f32_e32 v25, v24, v22
	v_mul_f32_e32 v22, v23, v22
	v_fma_f32 v23, v23, v21, -v25
	v_fmac_f32_e32 v22, v24, v21
	v_add_f32_e32 v20, v20, v23
	v_add_f32_e32 v19, v19, v22
.LBB72_164:
	s_or_b64 exec, exec, s[0:1]
	s_barrier
	s_and_saveexec_b64 s[0:1], s[38:39]
	s_cbranch_execz .LBB72_166
; %bb.165:
	v_mov_b32_e32 v21, 0
	ds_read_b64 v[21:22], v21 offset:3640
	s_waitcnt lgkmcnt(0)
	v_mul_f32_e32 v24, v19, v22
	v_mul_f32_e32 v23, v20, v22
	v_fma_f32 v22, v20, v21, -v24
	v_fmac_f32_e32 v23, v19, v21
	v_mov_b32_e32 v20, v22
	v_mov_b32_e32 v19, v23
	ds_write_b64 v16, v[22:23]
.LBB72_166:
	s_or_b64 exec, exec, s[0:1]
	s_waitcnt lgkmcnt(0)
	s_barrier
	s_barrier
	s_and_saveexec_b64 s[0:1], s[18:19]
; %bb.167:
	v_xor_b32_e32 v20, 0x80000000, v20
	v_xor_b32_e32 v21, 0x80000000, v19
	ds_write_b64 v14, v[20:21] offset:32
; %bb.168:
	s_or_b64 exec, exec, s[0:1]
	v_cmp_gt_u32_e64 s[8:9], 4, v0
	s_and_b64 s[50:51], s[12:13], s[8:9]
	s_waitcnt lgkmcnt(0)
	s_barrier
	s_barrier
	s_and_saveexec_b64 s[0:1], s[50:51]
	s_cbranch_execz .LBB72_170
; %bb.169:
	v_lshlrev_b32_e32 v21, 9, v0
	ds_read_b64 v[19:20], v21 offset:32
	s_movk_i32 s8, 0xfe08
	v_mad_i32_i24 v22, v0, s8, v21
	s_waitcnt lgkmcnt(0)
	ds_write_b64 v22, v[19:20] offset:2048
	ds_read_b64 v[19:20], v21 offset:40
	s_waitcnt lgkmcnt(0)
	ds_write_b64 v22, v[19:20] offset:2560
	ds_read_b64 v[19:20], v21 offset:48
	s_waitcnt lgkmcnt(0)
	ds_write_b64 v22, v[19:20] offset:3072
	ds_read_b64 v[19:20], v21 offset:56
	s_waitcnt lgkmcnt(0)
	ds_write_b64 v22, v[19:20] offset:3584
.LBB72_170:
	s_or_b64 exec, exec, s[0:1]
	s_waitcnt lgkmcnt(0)
	s_barrier
	s_and_saveexec_b64 s[0:1], vcc
	s_cbranch_execz .LBB72_172
; %bb.171:
	v_mov_b32_e32 v23, 0
	ds_read_b128 v[19:22], v23 offset:2080
	ds_read_b64 v[23:24], v23 offset:2600
	s_movk_i32 s8, 0x800
	s_waitcnt lgkmcnt(0)
	v_mul_f32_e32 v25, v24, v20
	v_mul_f32_e32 v26, v23, v20
	v_fma_f32 v23, v23, v19, -v25
	v_fmac_f32_e32 v26, v24, v19
	v_mul_f32_e32 v19, v26, v22
	v_mul_f32_e32 v20, v23, v22
	v_fma_f32 v19, v23, v21, -v19
	v_fmac_f32_e32 v20, v26, v21
	v_add_u32_e64 v21, s8, 0
	ds_write2_b64 v21, v[19:20], v[19:20] offset0:5 offset1:68
.LBB72_172:
	s_or_b64 exec, exec, s[0:1]
	v_mov_b32_e32 v19, 0
	v_mov_b32_e32 v20, 0
	s_waitcnt lgkmcnt(0)
	s_barrier
	s_and_saveexec_b64 s[0:1], s[2:3]
	s_cbranch_execz .LBB72_176
; %bb.173:
	v_mul_u32_u24_e32 v21, 0x208, v13
	ds_read_b64 v[19:20], v11 offset:2096
	ds_read_b64 v[21:22], v21 offset:2080
	v_cmp_gt_u32_e64 s[8:9], 2, v1
	s_waitcnt lgkmcnt(0)
	v_mul_f32_e32 v23, v22, v20
	v_mul_f32_e32 v20, v21, v20
	v_fma_f32 v21, v21, v19, -v23
	v_fmac_f32_e32 v20, v22, v19
	v_add_f32_e32 v19, 0, v21
	v_add_f32_e32 v21, 0, v20
	s_and_saveexec_b64 s[10:11], s[8:9]
	s_cbranch_execz .LBB72_175
; %bb.174:
	v_lshlrev_b32_e32 v20, 3, v0
	v_mov_b32_e32 v24, 0
	ds_read_b64 v[22:23], v20 offset:2608
	ds_read_b64 v[24:25], v24 offset:2088
	s_waitcnt lgkmcnt(0)
	v_mul_f32_e32 v20, v25, v23
	v_mul_f32_e32 v23, v24, v23
	v_fma_f32 v20, v24, v22, -v20
	v_fmac_f32_e32 v23, v25, v22
	v_add_f32_e32 v19, v19, v20
	v_add_f32_e32 v21, v21, v23
.LBB72_175:
	s_or_b64 exec, exec, s[10:11]
	v_xor_b32_e32 v20, 0x80000000, v19
	v_xor_b32_e32 v19, 0x80000000, v21
.LBB72_176:
	s_or_b64 exec, exec, s[0:1]
	s_and_saveexec_b64 s[0:1], s[34:35]
	s_cbranch_execz .LBB72_178
; %bb.177:
	v_mov_b32_e32 v21, 0
	ds_read_b64 v[21:22], v21 offset:3120
	s_waitcnt lgkmcnt(0)
	v_mul_f32_e32 v24, v19, v22
	v_mul_f32_e32 v23, v20, v22
	v_fma_f32 v22, v20, v21, -v24
	v_fmac_f32_e32 v23, v19, v21
	v_mov_b32_e32 v20, v22
	v_mov_b32_e32 v19, v23
	ds_write_b64 v12, v[22:23]
.LBB72_178:
	s_or_b64 exec, exec, s[0:1]
	s_waitcnt lgkmcnt(0)
	s_barrier
	s_and_saveexec_b64 s[0:1], s[26:27]
	s_cbranch_execz .LBB72_180
; %bb.179:
	v_mov_b32_e32 v21, 0
	ds_read_b64 v[21:22], v21 offset:3128
	ds_read_b64 v[23:24], v12
	s_waitcnt lgkmcnt(0)
	v_mul_f32_e32 v25, v24, v22
	v_mul_f32_e32 v22, v23, v22
	v_fma_f32 v23, v23, v21, -v25
	v_fmac_f32_e32 v22, v24, v21
	v_add_f32_e32 v20, v20, v23
	v_add_f32_e32 v19, v19, v22
.LBB72_180:
	s_or_b64 exec, exec, s[0:1]
	s_barrier
	s_and_saveexec_b64 s[0:1], s[26:27]
	s_cbranch_execz .LBB72_182
; %bb.181:
	v_mov_b32_e32 v21, 0
	ds_read_b64 v[21:22], v21 offset:3640
	s_waitcnt lgkmcnt(0)
	v_mul_f32_e32 v24, v19, v22
	v_mul_f32_e32 v23, v20, v22
	v_fma_f32 v22, v20, v21, -v24
	v_fmac_f32_e32 v23, v19, v21
	v_mov_b32_e32 v20, v22
	v_mov_b32_e32 v19, v23
	ds_write_b64 v12, v[22:23]
.LBB72_182:
	s_or_b64 exec, exec, s[0:1]
	s_waitcnt lgkmcnt(0)
	s_barrier
	s_barrier
	s_and_saveexec_b64 s[0:1], s[2:3]
; %bb.183:
	v_xor_b32_e32 v21, 0x80000000, v19
	v_xor_b32_e32 v20, 0x80000000, v20
	ds_write_b64 v11, v[20:21] offset:2096
; %bb.184:
	s_or_b64 exec, exec, s[0:1]
	s_waitcnt lgkmcnt(0)
	s_barrier
	s_barrier
	s_and_saveexec_b64 s[0:1], s[36:37]
	s_cbranch_execz .LBB72_186
; %bb.185:
	v_lshlrev_b32_e32 v21, 3, v0
	s_movk_i32 s8, 0x1f8
	v_mad_u32_u24 v22, v0, s8, v21
	ds_read_b64 v[19:20], v22 offset:2096
	s_waitcnt lgkmcnt(0)
	ds_write_b64 v21, v[19:20] offset:3104
	ds_read_b64 v[19:20], v22 offset:2104
	s_waitcnt lgkmcnt(0)
	ds_write_b64 v21, v[19:20] offset:3616
.LBB72_186:
	s_or_b64 exec, exec, s[0:1]
	s_waitcnt lgkmcnt(0)
	s_barrier
	s_and_saveexec_b64 s[0:1], vcc
	s_cbranch_execz .LBB72_188
; %bb.187:
	v_mov_b32_e32 v23, 0
	ds_read_b128 v[19:22], v23 offset:3120
	ds_read_b64 v[23:24], v23 offset:3640
	s_movk_i32 s8, 0x800
	s_waitcnt lgkmcnt(0)
	v_mul_f32_e32 v25, v24, v20
	v_mul_f32_e32 v26, v23, v20
	v_fma_f32 v23, v23, v19, -v25
	v_fmac_f32_e32 v26, v24, v19
	v_mul_f32_e32 v19, v26, v22
	v_mul_f32_e32 v20, v23, v22
	v_fma_f32 v19, v23, v21, -v19
	v_fmac_f32_e32 v20, v26, v21
	v_add_u32_e64 v21, s8, 0
	ds_write2_b64 v21, v[19:20], v[19:20] offset0:135 offset1:198
.LBB72_188:
	s_or_b64 exec, exec, s[0:1]
	v_and_b32_e32 v22, 7, v0
	v_lshrrev_b32_e32 v23, 3, v1
	v_lshlrev_b32_e32 v20, 3, v22
	v_cmp_lt_u32_e64 s[10:11], 63, v1
	v_cmp_gt_u32_e64 s[8:9], 64, v1
	v_lshl_or_b32 v19, v23, 9, v20
	v_mov_b32_e32 v24, 0
	v_mov_b32_e32 v25, 0
	s_waitcnt lgkmcnt(0)
	s_barrier
	s_and_saveexec_b64 s[0:1], s[8:9]
	s_cbranch_execz .LBB72_198
; %bb.189:
	v_mul_u32_u24_e32 v25, 0x208, v23
	ds_read_b64 v[26:27], v19 offset:64
	ds_read_b64 v[28:29], v25
	v_cmp_gt_u32_e64 s[14:15], 56, v1
	s_waitcnt lgkmcnt(0)
	v_mul_f32_e32 v21, v29, v27
	v_mul_f32_e32 v24, v28, v27
	v_fma_f32 v21, v28, v26, -v21
	v_fmac_f32_e32 v24, v29, v26
	v_add_f32_e32 v21, 0, v21
	v_add_f32_e32 v24, 0, v24
	s_and_saveexec_b64 s[16:17], s[14:15]
	s_cbranch_execnz .LBB72_1126
; %bb.190:
	s_or_b64 exec, exec, s[16:17]
	v_cmp_gt_u32_e64 s[14:15], 48, v1
	s_and_saveexec_b64 s[16:17], s[14:15]
	s_cbranch_execnz .LBB72_1127
.LBB72_191:
	s_or_b64 exec, exec, s[16:17]
	v_cmp_gt_u32_e64 s[14:15], 40, v1
	s_and_saveexec_b64 s[16:17], s[14:15]
	s_cbranch_execnz .LBB72_1128
.LBB72_192:
	s_or_b64 exec, exec, s[16:17]
	v_cmp_gt_u32_e64 s[14:15], 32, v1
	s_and_saveexec_b64 s[16:17], s[14:15]
	s_cbranch_execnz .LBB72_1129
.LBB72_193:
	s_or_b64 exec, exec, s[16:17]
	v_cmp_gt_u32_e64 s[14:15], 24, v1
	s_and_saveexec_b64 s[16:17], s[14:15]
	s_cbranch_execnz .LBB72_1130
.LBB72_194:
	s_or_b64 exec, exec, s[16:17]
	v_cmp_gt_u32_e64 s[14:15], 16, v1
	s_and_saveexec_b64 s[16:17], s[14:15]
	s_cbranch_execnz .LBB72_1131
.LBB72_195:
	s_or_b64 exec, exec, s[16:17]
	v_cmp_gt_u32_e64 s[14:15], 8, v1
	s_and_saveexec_b64 s[16:17], s[14:15]
	s_cbranch_execz .LBB72_197
.LBB72_196:
	v_lshlrev_b32_e32 v25, 3, v0
	v_mov_b32_e32 v27, 0
	ds_read_b64 v[25:26], v25 offset:3648
	ds_read_b64 v[27:28], v27 offset:56
	s_waitcnt lgkmcnt(0)
	v_mul_f32_e32 v29, v28, v26
	v_mul_f32_e32 v26, v27, v26
	v_fma_f32 v27, v27, v25, -v29
	v_fmac_f32_e32 v26, v28, v25
	v_add_f32_e32 v21, v21, v27
	v_add_f32_e32 v24, v24, v26
.LBB72_197:
	s_or_b64 exec, exec, s[16:17]
	v_xor_b32_e32 v25, 0x80000000, v21
	v_xor_b32_e32 v24, 0x80000000, v24
.LBB72_198:
	v_writelane_b32 v42, s54, 1
	v_writelane_b32 v42, s55, 2
	s_or_b64 exec, exec, s[0:1]
	v_mov_b32_e32 v21, 0x8000
	v_cmp_eq_u32_e64 s[14:15], 0, v22
	s_xor_b64 s[0:1], s[10:11], -1
	v_lshl_add_u32 v21, v23, 3, v21
	s_and_b64 s[54:55], s[14:15], s[0:1]
	s_and_saveexec_b64 s[10:11], s[54:55]
	s_cbranch_execz .LBB72_200
; %bb.199:
	v_mov_b32_e32 v26, 0
	ds_read_b64 v[26:27], v26 offset:4160
	s_waitcnt lgkmcnt(0)
	v_mul_f32_e32 v29, v24, v27
	v_mul_f32_e32 v28, v25, v27
	v_fma_f32 v27, v25, v26, -v29
	v_fmac_f32_e32 v28, v24, v26
	v_mov_b32_e32 v25, v27
	v_mov_b32_e32 v24, v28
	ds_write_b64 v21, v[27:28]
.LBB72_200:
	s_or_b64 exec, exec, s[10:11]
	v_cmp_ne_u32_e64 s[10:11], 0, v22
	s_and_b64 s[56:57], s[10:11], s[0:1]
	s_waitcnt lgkmcnt(0)
	s_barrier
	s_and_saveexec_b64 s[10:11], s[56:57]
	s_cbranch_execz .LBB72_202
; %bb.201:
	ds_read_b64 v[26:27], v20 offset:4160
	ds_read_b64 v[28:29], v21
	s_waitcnt lgkmcnt(0)
	v_mul_f32_e32 v30, v29, v27
	v_mul_f32_e32 v27, v28, v27
	v_fma_f32 v28, v28, v26, -v30
	v_fmac_f32_e32 v27, v29, v26
	v_add_f32_e32 v25, v25, v28
	v_add_f32_e32 v24, v24, v27
.LBB72_202:
	s_or_b64 exec, exec, s[10:11]
	v_cmp_eq_u32_e64 s[10:11], 1, v22
	s_and_b64 s[58:59], s[10:11], s[0:1]
	s_barrier
	s_and_saveexec_b64 s[10:11], s[58:59]
	s_cbranch_execz .LBB72_204
; %bb.203:
	v_mov_b32_e32 v26, 0
	ds_read_b64 v[26:27], v26 offset:4680
	s_waitcnt lgkmcnt(0)
	v_mul_f32_e32 v29, v24, v27
	v_mul_f32_e32 v28, v25, v27
	v_fma_f32 v27, v25, v26, -v29
	v_fmac_f32_e32 v28, v24, v26
	v_mov_b32_e32 v25, v27
	v_mov_b32_e32 v24, v28
	ds_write_b64 v21, v[27:28]
.LBB72_204:
	s_or_b64 exec, exec, s[10:11]
	v_cmp_lt_u32_e64 s[10:11], 1, v22
	s_and_b64 s[60:61], s[10:11], s[0:1]
	s_waitcnt lgkmcnt(0)
	s_barrier
	s_and_saveexec_b64 s[10:11], s[60:61]
	s_cbranch_execz .LBB72_206
; %bb.205:
	ds_read_b64 v[26:27], v20 offset:4672
	ds_read_b64 v[28:29], v21
	s_waitcnt lgkmcnt(0)
	v_mul_f32_e32 v30, v29, v27
	v_mul_f32_e32 v27, v28, v27
	v_fma_f32 v28, v28, v26, -v30
	v_fmac_f32_e32 v27, v29, v26
	v_add_f32_e32 v25, v25, v28
	v_add_f32_e32 v24, v24, v27
.LBB72_206:
	s_or_b64 exec, exec, s[10:11]
	v_cmp_eq_u32_e64 s[10:11], 2, v22
	s_and_b64 s[62:63], s[10:11], s[0:1]
	s_barrier
	s_and_saveexec_b64 s[10:11], s[62:63]
	s_cbranch_execz .LBB72_208
; %bb.207:
	v_mov_b32_e32 v26, 0
	ds_read_b64 v[26:27], v26 offset:5200
	s_waitcnt lgkmcnt(0)
	v_mul_f32_e32 v29, v24, v27
	v_mul_f32_e32 v28, v25, v27
	v_fma_f32 v27, v25, v26, -v29
	v_fmac_f32_e32 v28, v24, v26
	v_mov_b32_e32 v25, v27
	v_mov_b32_e32 v24, v28
	ds_write_b64 v21, v[27:28]
.LBB72_208:
	s_or_b64 exec, exec, s[10:11]
	v_cmp_lt_u32_e64 s[10:11], 2, v22
	;; [unrolled: 36-line block ×5, first 2 shown]
	s_and_b64 s[76:77], s[10:11], s[0:1]
	s_waitcnt lgkmcnt(0)
	s_barrier
	s_and_saveexec_b64 s[10:11], s[76:77]
	s_cbranch_execz .LBB72_222
; %bb.221:
	ds_read_b64 v[26:27], v20 offset:6720
	ds_read_b64 v[28:29], v21
	s_waitcnt lgkmcnt(0)
	v_mul_f32_e32 v30, v29, v27
	v_mul_f32_e32 v27, v28, v27
	v_fma_f32 v28, v28, v26, -v30
	v_fmac_f32_e32 v27, v29, v26
	v_add_f32_e32 v25, v25, v28
	v_add_f32_e32 v24, v24, v27
.LBB72_222:
	s_or_b64 exec, exec, s[10:11]
	v_cmp_eq_u32_e64 s[10:11], 6, v22
	s_and_b64 s[78:79], s[10:11], s[0:1]
	s_barrier
	s_and_saveexec_b64 s[10:11], s[78:79]
	s_cbranch_execz .LBB72_224
; %bb.223:
	v_mov_b32_e32 v26, 0
	ds_read_b64 v[26:27], v26 offset:7280
	s_waitcnt lgkmcnt(0)
	v_mul_f32_e32 v29, v24, v27
	v_mul_f32_e32 v28, v25, v27
	v_fma_f32 v27, v25, v26, -v29
	v_fmac_f32_e32 v28, v24, v26
	v_mov_b32_e32 v25, v27
	v_mov_b32_e32 v24, v28
	ds_write_b64 v21, v[27:28]
.LBB72_224:
	s_or_b64 exec, exec, s[10:11]
	v_cmp_eq_u32_e64 s[10:11], 7, v22
	s_and_b64 s[52:53], s[10:11], s[0:1]
	s_waitcnt lgkmcnt(0)
	s_barrier
	s_and_saveexec_b64 s[0:1], s[52:53]
	s_cbranch_execz .LBB72_226
; %bb.225:
	v_mov_b32_e32 v26, 0
	ds_read_b64 v[26:27], v26 offset:7288
	ds_read_b64 v[28:29], v21
	s_waitcnt lgkmcnt(0)
	v_mul_f32_e32 v30, v29, v27
	v_mul_f32_e32 v27, v28, v27
	v_fma_f32 v28, v28, v26, -v30
	v_fmac_f32_e32 v27, v29, v26
	v_add_f32_e32 v25, v25, v28
	v_add_f32_e32 v24, v24, v27
.LBB72_226:
	s_or_b64 exec, exec, s[0:1]
	s_barrier
	s_and_saveexec_b64 s[0:1], s[52:53]
	s_cbranch_execz .LBB72_228
; %bb.227:
	v_mov_b32_e32 v26, 0
	ds_read_b64 v[26:27], v26 offset:7800
	s_waitcnt lgkmcnt(0)
	v_mul_f32_e32 v29, v24, v27
	v_mul_f32_e32 v28, v25, v27
	v_fma_f32 v27, v25, v26, -v29
	v_fmac_f32_e32 v28, v24, v26
	v_mov_b32_e32 v25, v27
	v_mov_b32_e32 v24, v28
	ds_write_b64 v21, v[27:28]
.LBB72_228:
	s_or_b64 exec, exec, s[0:1]
	s_waitcnt lgkmcnt(0)
	s_barrier
	s_barrier
	s_and_saveexec_b64 s[0:1], s[8:9]
; %bb.229:
	v_xor_b32_e32 v26, 0x80000000, v24
	v_xor_b32_e32 v25, 0x80000000, v25
	ds_write_b64 v19, v[25:26] offset:64
; %bb.230:
	s_or_b64 exec, exec, s[0:1]
	v_cmp_gt_u32_e64 s[10:11], 8, v0
	s_and_b64 s[80:81], s[12:13], s[10:11]
	s_waitcnt lgkmcnt(0)
	s_barrier
	s_barrier
	s_and_saveexec_b64 s[0:1], s[80:81]
	s_cbranch_execz .LBB72_232
; %bb.231:
	v_lshlrev_b32_e32 v26, 9, v0
	ds_read_b64 v[24:25], v26 offset:64
	s_movk_i32 s10, 0xfe08
	v_mad_i32_i24 v27, v0, s10, v26
	s_waitcnt lgkmcnt(0)
	ds_write_b64 v27, v[24:25] offset:4096
	ds_read_b64 v[24:25], v26 offset:72
	s_waitcnt lgkmcnt(0)
	ds_write_b64 v27, v[24:25] offset:4608
	ds_read_b64 v[24:25], v26 offset:80
	;; [unrolled: 3-line block ×7, first 2 shown]
	s_waitcnt lgkmcnt(0)
	ds_write_b64 v27, v[24:25] offset:7680
.LBB72_232:
	s_or_b64 exec, exec, s[0:1]
	s_waitcnt lgkmcnt(0)
	s_barrier
	s_and_saveexec_b64 s[0:1], vcc
	s_cbranch_execz .LBB72_234
; %bb.233:
	v_mov_b32_e32 v28, 0
	ds_read_b128 v[24:27], v28 offset:4160
	ds_read_b64 v[28:29], v28 offset:4680
	s_movk_i32 s10, 0x1000
	s_waitcnt lgkmcnt(0)
	v_mul_f32_e32 v30, v29, v25
	v_mul_f32_e32 v31, v28, v25
	v_fma_f32 v28, v28, v24, -v30
	v_fmac_f32_e32 v31, v29, v24
	v_mul_f32_e32 v24, v31, v27
	v_mul_f32_e32 v25, v28, v27
	v_fma_f32 v24, v28, v26, -v24
	v_fmac_f32_e32 v25, v31, v26
	v_add_u32_e64 v26, s10, 0
	ds_write2_b64 v26, v[24:25], v[24:25] offset0:9 offset1:72
.LBB72_234:
	s_or_b64 exec, exec, s[0:1]
	v_mov_b32_e32 v24, 0
	v_mov_b32_e32 v25, 0
	s_waitcnt lgkmcnt(0)
	s_barrier
	s_and_saveexec_b64 s[0:1], s[2:3]
	s_cbranch_execz .LBB72_238
; %bb.235:
	v_mul_u32_u24_e32 v26, 0x208, v13
	ds_read_b64 v[24:25], v11 offset:4176
	ds_read_b64 v[26:27], v26 offset:4160
	v_cmp_gt_u32_e64 s[10:11], 2, v1
	s_waitcnt lgkmcnt(0)
	v_mul_f32_e32 v28, v27, v25
	v_mul_f32_e32 v25, v26, v25
	v_fma_f32 v26, v26, v24, -v28
	v_fmac_f32_e32 v25, v27, v24
	v_add_f32_e32 v24, 0, v26
	v_add_f32_e32 v26, 0, v25
	s_and_saveexec_b64 s[14:15], s[10:11]
	s_cbranch_execz .LBB72_237
; %bb.236:
	v_lshlrev_b32_e32 v25, 3, v0
	v_mov_b32_e32 v29, 0
	ds_read_b64 v[27:28], v25 offset:4688
	ds_read_b64 v[29:30], v29 offset:4168
	s_waitcnt lgkmcnt(0)
	v_mul_f32_e32 v25, v30, v28
	v_mul_f32_e32 v28, v29, v28
	v_fma_f32 v25, v29, v27, -v25
	v_fmac_f32_e32 v28, v30, v27
	v_add_f32_e32 v24, v24, v25
	v_add_f32_e32 v26, v26, v28
.LBB72_237:
	s_or_b64 exec, exec, s[14:15]
	v_xor_b32_e32 v25, 0x80000000, v24
	v_xor_b32_e32 v24, 0x80000000, v26
.LBB72_238:
	s_or_b64 exec, exec, s[0:1]
	s_and_saveexec_b64 s[0:1], s[34:35]
	s_cbranch_execz .LBB72_240
; %bb.239:
	v_mov_b32_e32 v26, 0
	ds_read_b64 v[26:27], v26 offset:5200
	s_waitcnt lgkmcnt(0)
	v_mul_f32_e32 v29, v24, v27
	v_mul_f32_e32 v28, v25, v27
	v_fma_f32 v27, v25, v26, -v29
	v_fmac_f32_e32 v28, v24, v26
	v_mov_b32_e32 v25, v27
	v_mov_b32_e32 v24, v28
	ds_write_b64 v12, v[27:28]
.LBB72_240:
	s_or_b64 exec, exec, s[0:1]
	s_waitcnt lgkmcnt(0)
	s_barrier
	s_and_saveexec_b64 s[0:1], s[26:27]
	s_cbranch_execz .LBB72_242
; %bb.241:
	v_mov_b32_e32 v26, 0
	ds_read_b64 v[26:27], v26 offset:5208
	ds_read_b64 v[28:29], v12
	s_waitcnt lgkmcnt(0)
	v_mul_f32_e32 v30, v29, v27
	v_mul_f32_e32 v27, v28, v27
	v_fma_f32 v28, v28, v26, -v30
	v_fmac_f32_e32 v27, v29, v26
	v_add_f32_e32 v25, v25, v28
	v_add_f32_e32 v24, v24, v27
.LBB72_242:
	s_or_b64 exec, exec, s[0:1]
	s_barrier
	s_and_saveexec_b64 s[0:1], s[26:27]
	s_cbranch_execz .LBB72_244
; %bb.243:
	v_mov_b32_e32 v26, 0
	ds_read_b64 v[26:27], v26 offset:5720
	s_waitcnt lgkmcnt(0)
	v_mul_f32_e32 v29, v24, v27
	v_mul_f32_e32 v28, v25, v27
	v_fma_f32 v27, v25, v26, -v29
	v_fmac_f32_e32 v28, v24, v26
	v_mov_b32_e32 v25, v27
	v_mov_b32_e32 v24, v28
	ds_write_b64 v12, v[27:28]
.LBB72_244:
	s_or_b64 exec, exec, s[0:1]
	s_waitcnt lgkmcnt(0)
	s_barrier
	s_barrier
	s_and_saveexec_b64 s[0:1], s[2:3]
; %bb.245:
	v_xor_b32_e32 v26, 0x80000000, v24
	v_xor_b32_e32 v25, 0x80000000, v25
	ds_write_b64 v11, v[25:26] offset:4176
; %bb.246:
	s_or_b64 exec, exec, s[0:1]
	s_waitcnt lgkmcnt(0)
	s_barrier
	s_barrier
	s_and_saveexec_b64 s[0:1], s[36:37]
	s_cbranch_execz .LBB72_248
; %bb.247:
	v_lshlrev_b32_e32 v26, 3, v0
	s_movk_i32 s10, 0x1f8
	v_mad_u32_u24 v27, v0, s10, v26
	ds_read_b64 v[24:25], v27 offset:4176
	s_waitcnt lgkmcnt(0)
	ds_write_b64 v26, v[24:25] offset:5184
	ds_read_b64 v[24:25], v27 offset:4184
	s_waitcnt lgkmcnt(0)
	ds_write_b64 v26, v[24:25] offset:5696
.LBB72_248:
	s_or_b64 exec, exec, s[0:1]
	s_waitcnt lgkmcnt(0)
	s_barrier
	s_and_saveexec_b64 s[0:1], vcc
	s_cbranch_execz .LBB72_250
; %bb.249:
	v_mov_b32_e32 v28, 0
	ds_read_b128 v[24:27], v28 offset:5200
	ds_read_b64 v[28:29], v28 offset:5720
	s_movk_i32 s10, 0x1000
	s_waitcnt lgkmcnt(0)
	v_mul_f32_e32 v30, v29, v25
	v_mul_f32_e32 v31, v28, v25
	v_fma_f32 v28, v28, v24, -v30
	v_fmac_f32_e32 v31, v29, v24
	v_mul_f32_e32 v24, v31, v27
	v_mul_f32_e32 v25, v28, v27
	v_fma_f32 v24, v28, v26, -v24
	v_fmac_f32_e32 v25, v31, v26
	v_add_u32_e64 v26, s10, 0
	ds_write2_b64 v26, v[24:25], v[24:25] offset0:139 offset1:202
.LBB72_250:
	s_or_b64 exec, exec, s[0:1]
	v_mov_b32_e32 v24, 0
	v_mov_b32_e32 v25, 0
	s_waitcnt lgkmcnt(0)
	s_barrier
	s_and_saveexec_b64 s[0:1], s[18:19]
	s_cbranch_execz .LBB72_256
; %bb.251:
	v_mul_u32_u24_e32 v25, 0x208, v18
	ds_read_b64 v[26:27], v14 offset:4192
	ds_read_b64 v[28:29], v25 offset:4160
	v_cmp_gt_u32_e64 s[10:11], 12, v1
	s_waitcnt lgkmcnt(0)
	v_mul_f32_e32 v24, v29, v27
	v_mul_f32_e32 v27, v28, v27
	v_fma_f32 v24, v28, v26, -v24
	v_fmac_f32_e32 v27, v29, v26
	v_add_f32_e32 v24, 0, v24
	v_add_f32_e32 v26, 0, v27
	s_and_saveexec_b64 s[14:15], s[10:11]
	s_cbranch_execnz .LBB72_1132
; %bb.252:
	s_or_b64 exec, exec, s[14:15]
	v_cmp_gt_u32_e64 s[10:11], 8, v1
	s_and_saveexec_b64 s[14:15], s[10:11]
	s_cbranch_execnz .LBB72_1133
.LBB72_253:
	s_or_b64 exec, exec, s[14:15]
	v_cmp_gt_u32_e64 s[10:11], 4, v1
	s_and_saveexec_b64 s[14:15], s[10:11]
	s_cbranch_execz .LBB72_255
.LBB72_254:
	v_lshlrev_b32_e32 v25, 3, v0
	v_mov_b32_e32 v29, 0
	ds_read_b64 v[27:28], v25 offset:5728
	ds_read_b64 v[29:30], v29 offset:4184
	s_waitcnt lgkmcnt(0)
	v_mul_f32_e32 v25, v30, v28
	v_mul_f32_e32 v28, v29, v28
	v_fma_f32 v25, v29, v27, -v25
	v_fmac_f32_e32 v28, v30, v27
	v_add_f32_e32 v24, v24, v25
	v_add_f32_e32 v26, v26, v28
.LBB72_255:
	s_or_b64 exec, exec, s[14:15]
	v_xor_b32_e32 v25, 0x80000000, v24
	v_xor_b32_e32 v24, 0x80000000, v26
.LBB72_256:
	s_or_b64 exec, exec, s[0:1]
	s_and_saveexec_b64 s[0:1], s[40:41]
	s_cbranch_execz .LBB72_258
; %bb.257:
	v_mov_b32_e32 v26, 0
	ds_read_b64 v[26:27], v26 offset:6240
	s_waitcnt lgkmcnt(0)
	v_mul_f32_e32 v29, v24, v27
	v_mul_f32_e32 v28, v25, v27
	v_fma_f32 v27, v25, v26, -v29
	v_fmac_f32_e32 v28, v24, v26
	v_mov_b32_e32 v25, v27
	v_mov_b32_e32 v24, v28
	ds_write_b64 v16, v[27:28]
.LBB72_258:
	s_or_b64 exec, exec, s[0:1]
	s_waitcnt lgkmcnt(0)
	s_barrier
	s_and_saveexec_b64 s[0:1], s[42:43]
	s_cbranch_execz .LBB72_260
; %bb.259:
	ds_read_b64 v[26:27], v15 offset:6240
	ds_read_b64 v[28:29], v16
	s_waitcnt lgkmcnt(0)
	v_mul_f32_e32 v30, v29, v27
	v_mul_f32_e32 v27, v28, v27
	v_fma_f32 v28, v28, v26, -v30
	v_fmac_f32_e32 v27, v29, v26
	v_add_f32_e32 v25, v25, v28
	v_add_f32_e32 v24, v24, v27
.LBB72_260:
	s_or_b64 exec, exec, s[0:1]
	s_barrier
	s_and_saveexec_b64 s[0:1], s[44:45]
	s_cbranch_execz .LBB72_262
; %bb.261:
	v_mov_b32_e32 v26, 0
	ds_read_b64 v[26:27], v26 offset:6760
	s_waitcnt lgkmcnt(0)
	v_mul_f32_e32 v29, v24, v27
	v_mul_f32_e32 v28, v25, v27
	v_fma_f32 v27, v25, v26, -v29
	v_fmac_f32_e32 v28, v24, v26
	v_mov_b32_e32 v25, v27
	v_mov_b32_e32 v24, v28
	ds_write_b64 v16, v[27:28]
.LBB72_262:
	s_or_b64 exec, exec, s[0:1]
	s_waitcnt lgkmcnt(0)
	s_barrier
	s_and_saveexec_b64 s[0:1], s[46:47]
	s_cbranch_execz .LBB72_264
; %bb.263:
	ds_read_b64 v[26:27], v15 offset:6752
	ds_read_b64 v[28:29], v16
	s_waitcnt lgkmcnt(0)
	v_mul_f32_e32 v30, v29, v27
	v_mul_f32_e32 v27, v28, v27
	v_fma_f32 v28, v28, v26, -v30
	v_fmac_f32_e32 v27, v29, v26
	v_add_f32_e32 v25, v25, v28
	v_add_f32_e32 v24, v24, v27
.LBB72_264:
	s_or_b64 exec, exec, s[0:1]
	s_barrier
	s_and_saveexec_b64 s[0:1], s[48:49]
	s_cbranch_execz .LBB72_266
; %bb.265:
	v_mov_b32_e32 v26, 0
	ds_read_b64 v[26:27], v26 offset:7280
	s_waitcnt lgkmcnt(0)
	v_mul_f32_e32 v29, v24, v27
	v_mul_f32_e32 v28, v25, v27
	v_fma_f32 v27, v25, v26, -v29
	v_fmac_f32_e32 v28, v24, v26
	v_mov_b32_e32 v25, v27
	v_mov_b32_e32 v24, v28
	ds_write_b64 v16, v[27:28]
.LBB72_266:
	s_or_b64 exec, exec, s[0:1]
	s_waitcnt lgkmcnt(0)
	s_barrier
	s_and_saveexec_b64 s[0:1], s[38:39]
	s_cbranch_execz .LBB72_268
; %bb.267:
	v_mov_b32_e32 v26, 0
	ds_read_b64 v[26:27], v26 offset:7288
	ds_read_b64 v[28:29], v16
	s_waitcnt lgkmcnt(0)
	v_mul_f32_e32 v30, v29, v27
	v_mul_f32_e32 v27, v28, v27
	v_fma_f32 v28, v28, v26, -v30
	v_fmac_f32_e32 v27, v29, v26
	v_add_f32_e32 v25, v25, v28
	v_add_f32_e32 v24, v24, v27
.LBB72_268:
	s_or_b64 exec, exec, s[0:1]
	s_barrier
	s_and_saveexec_b64 s[0:1], s[38:39]
	s_cbranch_execz .LBB72_270
; %bb.269:
	v_mov_b32_e32 v26, 0
	ds_read_b64 v[26:27], v26 offset:7800
	s_waitcnt lgkmcnt(0)
	v_mul_f32_e32 v29, v24, v27
	v_mul_f32_e32 v28, v25, v27
	v_fma_f32 v27, v25, v26, -v29
	v_fmac_f32_e32 v28, v24, v26
	v_mov_b32_e32 v25, v27
	v_mov_b32_e32 v24, v28
	ds_write_b64 v16, v[27:28]
.LBB72_270:
	s_or_b64 exec, exec, s[0:1]
	s_waitcnt lgkmcnt(0)
	s_barrier
	s_barrier
	s_and_saveexec_b64 s[0:1], s[18:19]
; %bb.271:
	v_xor_b32_e32 v25, 0x80000000, v25
	v_xor_b32_e32 v26, 0x80000000, v24
	ds_write_b64 v14, v[25:26] offset:4192
; %bb.272:
	s_or_b64 exec, exec, s[0:1]
	s_waitcnt lgkmcnt(0)
	s_barrier
	s_barrier
	s_and_saveexec_b64 s[0:1], s[50:51]
	s_cbranch_execz .LBB72_274
; %bb.273:
	v_lshlrev_b32_e32 v26, 9, v0
	ds_read_b64 v[24:25], v26 offset:4192
	s_movk_i32 s10, 0xfe08
	v_mad_i32_i24 v27, v0, s10, v26
	s_waitcnt lgkmcnt(0)
	ds_write_b64 v27, v[24:25] offset:6208
	ds_read_b64 v[24:25], v26 offset:4200
	s_waitcnt lgkmcnt(0)
	ds_write_b64 v27, v[24:25] offset:6720
	ds_read_b64 v[24:25], v26 offset:4208
	;; [unrolled: 3-line block ×3, first 2 shown]
	s_waitcnt lgkmcnt(0)
	ds_write_b64 v27, v[24:25] offset:7744
.LBB72_274:
	s_or_b64 exec, exec, s[0:1]
	s_waitcnt lgkmcnt(0)
	s_barrier
	s_and_saveexec_b64 s[0:1], vcc
	s_cbranch_execz .LBB72_276
; %bb.275:
	v_mov_b32_e32 v28, 0
	ds_read_b128 v[24:27], v28 offset:6240
	ds_read_b64 v[28:29], v28 offset:6760
	s_movk_i32 s10, 0x1800
	s_waitcnt lgkmcnt(0)
	v_mul_f32_e32 v30, v29, v25
	v_mul_f32_e32 v31, v28, v25
	v_fma_f32 v28, v28, v24, -v30
	v_fmac_f32_e32 v31, v29, v24
	v_mul_f32_e32 v24, v31, v27
	v_mul_f32_e32 v25, v28, v27
	v_fma_f32 v24, v28, v26, -v24
	v_fmac_f32_e32 v25, v31, v26
	v_add_u32_e64 v26, s10, 0
	ds_write2_b64 v26, v[24:25], v[24:25] offset0:13 offset1:76
.LBB72_276:
	s_or_b64 exec, exec, s[0:1]
	v_mov_b32_e32 v24, 0
	v_mov_b32_e32 v25, 0
	s_waitcnt lgkmcnt(0)
	s_barrier
	s_and_saveexec_b64 s[0:1], s[2:3]
	s_cbranch_execz .LBB72_280
; %bb.277:
	v_mul_u32_u24_e32 v26, 0x208, v13
	ds_read_b64 v[24:25], v11 offset:6256
	ds_read_b64 v[26:27], v26 offset:6240
	v_cmp_gt_u32_e64 s[10:11], 2, v1
	s_waitcnt lgkmcnt(0)
	v_mul_f32_e32 v28, v27, v25
	v_mul_f32_e32 v25, v26, v25
	v_fma_f32 v26, v26, v24, -v28
	v_fmac_f32_e32 v25, v27, v24
	v_add_f32_e32 v24, 0, v26
	v_add_f32_e32 v26, 0, v25
	s_and_saveexec_b64 s[14:15], s[10:11]
	s_cbranch_execz .LBB72_279
; %bb.278:
	v_lshlrev_b32_e32 v25, 3, v0
	v_mov_b32_e32 v29, 0
	ds_read_b64 v[27:28], v25 offset:6768
	ds_read_b64 v[29:30], v29 offset:6248
	s_waitcnt lgkmcnt(0)
	v_mul_f32_e32 v25, v30, v28
	v_mul_f32_e32 v28, v29, v28
	v_fma_f32 v25, v29, v27, -v25
	v_fmac_f32_e32 v28, v30, v27
	v_add_f32_e32 v24, v24, v25
	v_add_f32_e32 v26, v26, v28
.LBB72_279:
	s_or_b64 exec, exec, s[14:15]
	v_xor_b32_e32 v25, 0x80000000, v24
	v_xor_b32_e32 v24, 0x80000000, v26
.LBB72_280:
	s_or_b64 exec, exec, s[0:1]
	s_and_saveexec_b64 s[0:1], s[34:35]
	s_cbranch_execz .LBB72_282
; %bb.281:
	v_mov_b32_e32 v26, 0
	ds_read_b64 v[26:27], v26 offset:7280
	s_waitcnt lgkmcnt(0)
	v_mul_f32_e32 v29, v24, v27
	v_mul_f32_e32 v28, v25, v27
	v_fma_f32 v27, v25, v26, -v29
	v_fmac_f32_e32 v28, v24, v26
	v_mov_b32_e32 v25, v27
	v_mov_b32_e32 v24, v28
	ds_write_b64 v12, v[27:28]
.LBB72_282:
	s_or_b64 exec, exec, s[0:1]
	s_waitcnt lgkmcnt(0)
	s_barrier
	s_and_saveexec_b64 s[0:1], s[26:27]
	s_cbranch_execz .LBB72_284
; %bb.283:
	v_mov_b32_e32 v26, 0
	ds_read_b64 v[26:27], v26 offset:7288
	ds_read_b64 v[28:29], v12
	s_waitcnt lgkmcnt(0)
	v_mul_f32_e32 v30, v29, v27
	v_mul_f32_e32 v27, v28, v27
	v_fma_f32 v28, v28, v26, -v30
	v_fmac_f32_e32 v27, v29, v26
	v_add_f32_e32 v25, v25, v28
	v_add_f32_e32 v24, v24, v27
.LBB72_284:
	s_or_b64 exec, exec, s[0:1]
	s_barrier
	s_and_saveexec_b64 s[0:1], s[26:27]
	s_cbranch_execz .LBB72_286
; %bb.285:
	v_mov_b32_e32 v26, 0
	ds_read_b64 v[26:27], v26 offset:7800
	s_waitcnt lgkmcnt(0)
	v_mul_f32_e32 v29, v24, v27
	v_mul_f32_e32 v28, v25, v27
	v_fma_f32 v27, v25, v26, -v29
	v_fmac_f32_e32 v28, v24, v26
	v_mov_b32_e32 v25, v27
	v_mov_b32_e32 v24, v28
	ds_write_b64 v12, v[27:28]
.LBB72_286:
	s_or_b64 exec, exec, s[0:1]
	s_waitcnt lgkmcnt(0)
	s_barrier
	s_barrier
	s_and_saveexec_b64 s[0:1], s[2:3]
; %bb.287:
	v_xor_b32_e32 v26, 0x80000000, v24
	v_xor_b32_e32 v25, 0x80000000, v25
	ds_write_b64 v11, v[25:26] offset:6256
; %bb.288:
	s_or_b64 exec, exec, s[0:1]
	s_waitcnt lgkmcnt(0)
	s_barrier
	s_barrier
	s_and_saveexec_b64 s[0:1], s[36:37]
	s_cbranch_execz .LBB72_290
; %bb.289:
	v_lshlrev_b32_e32 v26, 3, v0
	s_movk_i32 s10, 0x1f8
	v_mad_u32_u24 v27, v0, s10, v26
	ds_read_b64 v[24:25], v27 offset:6256
	s_waitcnt lgkmcnt(0)
	ds_write_b64 v26, v[24:25] offset:7264
	ds_read_b64 v[24:25], v27 offset:6264
	s_waitcnt lgkmcnt(0)
	ds_write_b64 v26, v[24:25] offset:7776
.LBB72_290:
	s_or_b64 exec, exec, s[0:1]
	s_waitcnt lgkmcnt(0)
	s_barrier
	s_and_saveexec_b64 s[0:1], vcc
	s_cbranch_execz .LBB72_292
; %bb.291:
	v_mov_b32_e32 v28, 0
	ds_read_b128 v[24:27], v28 offset:7280
	ds_read_b64 v[28:29], v28 offset:7800
	s_movk_i32 s10, 0x1800
	s_waitcnt lgkmcnt(0)
	v_mul_f32_e32 v30, v29, v25
	v_mul_f32_e32 v31, v28, v25
	v_fma_f32 v28, v28, v24, -v30
	v_fmac_f32_e32 v31, v29, v24
	v_mul_f32_e32 v24, v31, v27
	v_mul_f32_e32 v25, v28, v27
	v_fma_f32 v24, v28, v26, -v24
	v_fmac_f32_e32 v25, v31, v26
	v_add_u32_e64 v26, s10, 0
	ds_write2_b64 v26, v[24:25], v[24:25] offset0:143 offset1:206
.LBB72_292:
	s_or_b64 exec, exec, s[0:1]
	v_lshrrev_b32_e32 v28, 4, v1
	v_and_b32_e32 v25, 15, v0
	s_movk_i32 s0, 0xff
	v_lshlrev_b32_e32 v27, 6, v28
	v_cmp_lt_u32_e64 s[14:15], s0, v1
	s_movk_i32 s0, 0x100
	v_or_b32_e32 v24, v27, v25
	v_cmp_gt_u32_e64 s[10:11], s0, v1
	v_lshlrev_b32_e32 v24, 3, v24
	v_mov_b32_e32 v29, 0
	v_mov_b32_e32 v30, 0
	s_waitcnt lgkmcnt(0)
	s_barrier
	s_and_saveexec_b64 s[0:1], s[10:11]
	s_cbranch_execz .LBB72_320
; %bb.293:
	v_mul_u32_u24_e32 v30, 0x208, v28
	ds_read_b64 v[31:32], v24 offset:128
	ds_read_b64 v[33:34], v30
	s_movk_i32 s16, 0xf0
	v_cmp_gt_u32_e64 s[16:17], s16, v1
	s_waitcnt lgkmcnt(0)
	v_mul_f32_e32 v26, v34, v32
	v_mul_f32_e32 v29, v33, v32
	v_fma_f32 v26, v33, v31, -v26
	v_fmac_f32_e32 v29, v34, v31
	v_add_f32_e32 v26, 0, v26
	v_add_f32_e32 v29, 0, v29
	s_and_saveexec_b64 s[20:21], s[16:17]
	s_cbranch_execz .LBB72_295
; %bb.294:
	v_lshlrev_b32_e32 v31, 3, v28
	v_sub_u32_e32 v31, v30, v31
	v_lshl_add_u32 v31, v25, 3, v31
	ds_read_b64 v[31:32], v31 offset:640
	ds_read_b64 v[33:34], v30 offset:8
	s_waitcnt lgkmcnt(0)
	v_mul_f32_e32 v35, v34, v32
	v_mul_f32_e32 v32, v33, v32
	v_fma_f32 v33, v33, v31, -v35
	v_fmac_f32_e32 v32, v34, v31
	v_add_f32_e32 v26, v26, v33
	v_add_f32_e32 v29, v29, v32
.LBB72_295:
	s_or_b64 exec, exec, s[20:21]
	s_movk_i32 s16, 0xe0
	v_cmp_gt_u32_e64 s[16:17], s16, v1
	s_and_saveexec_b64 s[20:21], s[16:17]
	s_cbranch_execz .LBB72_297
; %bb.296:
	v_lshlrev_b32_e32 v31, 3, v28
	v_sub_u32_e32 v31, v30, v31
	v_lshl_add_u32 v31, v25, 3, v31
	ds_read_b64 v[31:32], v31 offset:1152
	ds_read_b64 v[33:34], v30 offset:16
	s_waitcnt lgkmcnt(0)
	v_mul_f32_e32 v35, v34, v32
	v_mul_f32_e32 v32, v33, v32
	v_fma_f32 v33, v33, v31, -v35
	v_fmac_f32_e32 v32, v34, v31
	v_add_f32_e32 v26, v26, v33
	v_add_f32_e32 v29, v29, v32
.LBB72_297:
	s_or_b64 exec, exec, s[20:21]
	s_movk_i32 s16, 0xd0
	v_cmp_gt_u32_e64 s[16:17], s16, v1
	;; [unrolled: 19-line block ×7, first 2 shown]
	s_and_saveexec_b64 s[20:21], s[16:17]
	s_cbranch_execz .LBB72_309
; %bb.308:
	ds_read_b64 v[31:32], v24 offset:4224
	ds_read_b64 v[33:34], v30 offset:64
	s_waitcnt lgkmcnt(0)
	v_mul_f32_e32 v35, v34, v32
	v_mul_f32_e32 v32, v33, v32
	v_fma_f32 v33, v33, v31, -v35
	v_fmac_f32_e32 v32, v34, v31
	v_add_f32_e32 v26, v26, v33
	v_add_f32_e32 v29, v29, v32
.LBB72_309:
	s_or_b64 exec, exec, s[20:21]
	s_movk_i32 s16, 0x70
	v_cmp_gt_u32_e64 s[16:17], s16, v1
	s_and_saveexec_b64 s[20:21], s[16:17]
	s_cbranch_execz .LBB72_311
; %bb.310:
	v_lshlrev_b32_e32 v31, 3, v25
	v_lshl_add_u32 v31, v27, 3, v31
	ds_read_b64 v[31:32], v31 offset:4736
	ds_read_b64 v[33:34], v30 offset:72
	s_waitcnt lgkmcnt(0)
	v_mul_f32_e32 v35, v34, v32
	v_mul_f32_e32 v32, v33, v32
	v_fma_f32 v33, v33, v31, -v35
	v_fmac_f32_e32 v32, v34, v31
	v_add_f32_e32 v26, v26, v33
	v_add_f32_e32 v29, v29, v32
.LBB72_311:
	s_or_b64 exec, exec, s[20:21]
	s_movk_i32 s16, 0x60
	v_cmp_gt_u32_e64 s[16:17], s16, v1
	s_and_saveexec_b64 s[20:21], s[16:17]
	s_cbranch_execz .LBB72_313
; %bb.312:
	v_lshlrev_b32_e32 v31, 3, v25
	v_lshl_add_u32 v31, v27, 3, v31
	ds_read_b64 v[31:32], v31 offset:5248
	ds_read_b64 v[33:34], v30 offset:80
	s_waitcnt lgkmcnt(0)
	v_mul_f32_e32 v35, v34, v32
	v_mul_f32_e32 v32, v33, v32
	v_fma_f32 v33, v33, v31, -v35
	v_fmac_f32_e32 v32, v34, v31
	v_add_f32_e32 v26, v26, v33
	v_add_f32_e32 v29, v29, v32
.LBB72_313:
	s_or_b64 exec, exec, s[20:21]
	s_movk_i32 s16, 0x50
	v_cmp_gt_u32_e64 s[16:17], s16, v1
	s_and_saveexec_b64 s[20:21], s[16:17]
	s_cbranch_execnz .LBB72_1134
; %bb.314:
	s_or_b64 exec, exec, s[20:21]
	v_cmp_gt_u32_e64 s[16:17], 64, v1
	s_and_saveexec_b64 s[20:21], s[16:17]
	s_cbranch_execnz .LBB72_1135
.LBB72_315:
	s_or_b64 exec, exec, s[20:21]
	v_cmp_gt_u32_e64 s[16:17], 48, v1
	s_and_saveexec_b64 s[20:21], s[16:17]
	s_cbranch_execnz .LBB72_1136
.LBB72_316:
	s_or_b64 exec, exec, s[20:21]
	v_cmp_gt_u32_e64 s[16:17], 32, v1
	s_and_saveexec_b64 s[20:21], s[16:17]
	s_cbranch_execnz .LBB72_1137
.LBB72_317:
	s_or_b64 exec, exec, s[20:21]
	v_cmp_gt_u32_e64 s[16:17], 16, v1
	s_and_saveexec_b64 s[20:21], s[16:17]
	s_cbranch_execz .LBB72_319
.LBB72_318:
	v_lshlrev_b32_e32 v30, 3, v0
	v_mov_b32_e32 v32, 0
	ds_read_b64 v[30:31], v30 offset:7808
	ds_read_b64 v[32:33], v32 offset:120
	s_waitcnt lgkmcnt(0)
	v_mul_f32_e32 v34, v33, v31
	v_mul_f32_e32 v31, v32, v31
	v_fma_f32 v32, v32, v30, -v34
	v_fmac_f32_e32 v31, v33, v30
	v_add_f32_e32 v26, v26, v32
	v_add_f32_e32 v29, v29, v31
.LBB72_319:
	s_or_b64 exec, exec, s[20:21]
	v_xor_b32_e32 v30, 0x80000000, v26
	v_xor_b32_e32 v29, 0x80000000, v29
.LBB72_320:
	s_or_b64 exec, exec, s[0:1]
	v_mov_b32_e32 v26, 0x8000
	v_lshl_add_u32 v26, v28, 3, v26
	v_cmp_eq_u32_e64 s[16:17], 0, v25
	s_xor_b64 s[0:1], s[14:15], -1
	s_and_b64 s[16:17], s[16:17], s[0:1]
	s_mov_b64 s[14:15], exec
	v_writelane_b32 v42, s16, 3
	v_writelane_b32 v42, s17, 4
	s_and_b64 s[16:17], s[14:15], s[16:17]
	s_mov_b64 exec, s[16:17]
	s_cbranch_execz .LBB72_322
; %bb.321:
	v_mov_b32_e32 v31, 0
	ds_read_b64 v[31:32], v31 offset:8320
	s_waitcnt lgkmcnt(0)
	v_mul_f32_e32 v34, v29, v32
	v_mul_f32_e32 v33, v30, v32
	v_fma_f32 v32, v30, v31, -v34
	v_fmac_f32_e32 v33, v29, v31
	v_mov_b32_e32 v30, v32
	v_mov_b32_e32 v29, v33
	ds_write_b64 v26, v[32:33]
.LBB72_322:
	s_or_b64 exec, exec, s[14:15]
	v_cmp_ne_u32_e64 s[14:15], 0, v25
	s_waitcnt lgkmcnt(0)
	s_barrier
	s_and_b64 s[16:17], s[14:15], s[0:1]
	s_mov_b64 s[14:15], exec
	v_writelane_b32 v42, s16, 5
	v_writelane_b32 v42, s17, 6
	s_and_b64 s[16:17], s[14:15], s[16:17]
	s_mov_b64 exec, s[16:17]
	s_cbranch_execz .LBB72_324
; %bb.323:
	v_lshlrev_b32_e32 v31, 3, v25
	ds_read_b64 v[31:32], v31 offset:8320
	ds_read_b64 v[33:34], v26
	s_waitcnt lgkmcnt(0)
	v_mul_f32_e32 v35, v34, v32
	v_mul_f32_e32 v32, v33, v32
	v_fma_f32 v33, v33, v31, -v35
	v_fmac_f32_e32 v32, v34, v31
	v_add_f32_e32 v30, v30, v33
	v_add_f32_e32 v29, v29, v32
.LBB72_324:
	s_or_b64 exec, exec, s[14:15]
	v_cmp_eq_u32_e64 s[14:15], 1, v25
	s_barrier
	s_and_b64 s[16:17], s[14:15], s[0:1]
	s_mov_b64 s[14:15], exec
	v_writelane_b32 v42, s16, 7
	v_writelane_b32 v42, s17, 8
	s_and_b64 s[16:17], s[14:15], s[16:17]
	s_mov_b64 exec, s[16:17]
	s_cbranch_execz .LBB72_326
; %bb.325:
	v_mov_b32_e32 v31, 0
	ds_read_b64 v[31:32], v31 offset:8840
	s_waitcnt lgkmcnt(0)
	v_mul_f32_e32 v34, v29, v32
	v_mul_f32_e32 v33, v30, v32
	v_fma_f32 v32, v30, v31, -v34
	v_fmac_f32_e32 v33, v29, v31
	v_mov_b32_e32 v30, v32
	v_mov_b32_e32 v29, v33
	ds_write_b64 v26, v[32:33]
.LBB72_326:
	s_or_b64 exec, exec, s[14:15]
	v_cmp_lt_u32_e64 s[14:15], 1, v25
	s_waitcnt lgkmcnt(0)
	s_barrier
	s_and_b64 s[16:17], s[14:15], s[0:1]
	s_mov_b64 s[14:15], exec
	v_writelane_b32 v42, s16, 9
	v_writelane_b32 v42, s17, 10
	s_and_b64 s[16:17], s[14:15], s[16:17]
	s_mov_b64 exec, s[16:17]
	s_cbranch_execz .LBB72_328
; %bb.327:
	v_lshlrev_b32_e32 v31, 3, v25
	ds_read_b64 v[31:32], v31 offset:8832
	ds_read_b64 v[33:34], v26
	s_waitcnt lgkmcnt(0)
	v_mul_f32_e32 v35, v34, v32
	v_mul_f32_e32 v32, v33, v32
	v_fma_f32 v33, v33, v31, -v35
	v_fmac_f32_e32 v32, v34, v31
	v_add_f32_e32 v30, v30, v33
	v_add_f32_e32 v29, v29, v32
.LBB72_328:
	s_or_b64 exec, exec, s[14:15]
	v_cmp_eq_u32_e64 s[14:15], 2, v25
	s_barrier
	s_and_b64 s[16:17], s[14:15], s[0:1]
	s_mov_b64 s[14:15], exec
	v_writelane_b32 v42, s16, 11
	v_writelane_b32 v42, s17, 12
	s_and_b64 s[16:17], s[14:15], s[16:17]
	s_mov_b64 exec, s[16:17]
	s_cbranch_execz .LBB72_330
; %bb.329:
	v_mov_b32_e32 v31, 0
	ds_read_b64 v[31:32], v31 offset:9360
	s_waitcnt lgkmcnt(0)
	v_mul_f32_e32 v34, v29, v32
	v_mul_f32_e32 v33, v30, v32
	v_fma_f32 v32, v30, v31, -v34
	v_fmac_f32_e32 v33, v29, v31
	v_mov_b32_e32 v30, v32
	v_mov_b32_e32 v29, v33
	ds_write_b64 v26, v[32:33]
.LBB72_330:
	s_or_b64 exec, exec, s[14:15]
	v_cmp_lt_u32_e64 s[14:15], 2, v25
	;; [unrolled: 45-line block ×13, first 2 shown]
	s_and_b64 s[92:93], s[14:15], s[0:1]
	s_waitcnt lgkmcnt(0)
	s_barrier
	s_and_saveexec_b64 s[14:15], s[92:93]
	s_cbranch_execz .LBB72_376
; %bb.375:
	v_lshlrev_b32_e32 v31, 3, v25
	ds_read_b64 v[31:32], v31 offset:14976
	ds_read_b64 v[33:34], v26
	s_waitcnt lgkmcnt(0)
	v_mul_f32_e32 v35, v34, v32
	v_mul_f32_e32 v32, v33, v32
	v_fma_f32 v33, v33, v31, -v35
	v_fmac_f32_e32 v32, v34, v31
	v_add_f32_e32 v30, v30, v33
	v_add_f32_e32 v29, v29, v32
.LBB72_376:
	s_or_b64 exec, exec, s[14:15]
	v_cmp_eq_u32_e64 s[14:15], 14, v25
	s_and_b64 s[94:95], s[14:15], s[0:1]
	s_barrier
	s_and_saveexec_b64 s[14:15], s[94:95]
	s_cbranch_execz .LBB72_378
; %bb.377:
	v_mov_b32_e32 v31, 0
	ds_read_b64 v[31:32], v31 offset:15600
	s_waitcnt lgkmcnt(0)
	v_mul_f32_e32 v34, v29, v32
	v_mul_f32_e32 v33, v30, v32
	v_fma_f32 v32, v30, v31, -v34
	v_fmac_f32_e32 v33, v29, v31
	v_mov_b32_e32 v30, v32
	v_mov_b32_e32 v29, v33
	ds_write_b64 v26, v[32:33]
.LBB72_378:
	s_or_b64 exec, exec, s[14:15]
	v_cmp_eq_u32_e64 s[14:15], 15, v25
	s_and_b64 s[90:91], s[14:15], s[0:1]
	s_waitcnt lgkmcnt(0)
	s_barrier
	s_and_saveexec_b64 s[0:1], s[90:91]
	s_cbranch_execz .LBB72_380
; %bb.379:
	v_mov_b32_e32 v31, 0
	ds_read_b64 v[31:32], v31 offset:15608
	ds_read_b64 v[33:34], v26
	s_waitcnt lgkmcnt(0)
	v_mul_f32_e32 v35, v34, v32
	v_mul_f32_e32 v32, v33, v32
	v_fma_f32 v33, v33, v31, -v35
	v_fmac_f32_e32 v32, v34, v31
	v_add_f32_e32 v30, v30, v33
	v_add_f32_e32 v29, v29, v32
.LBB72_380:
	s_or_b64 exec, exec, s[0:1]
	s_barrier
	s_and_saveexec_b64 s[0:1], s[90:91]
	s_cbranch_execz .LBB72_382
; %bb.381:
	v_mov_b32_e32 v31, 0
	ds_read_b64 v[31:32], v31 offset:16120
	s_waitcnt lgkmcnt(0)
	v_mul_f32_e32 v34, v29, v32
	v_mul_f32_e32 v33, v30, v32
	v_fma_f32 v32, v30, v31, -v34
	v_fmac_f32_e32 v33, v29, v31
	v_mov_b32_e32 v30, v32
	v_mov_b32_e32 v29, v33
	ds_write_b64 v26, v[32:33]
.LBB72_382:
	s_or_b64 exec, exec, s[0:1]
	s_waitcnt lgkmcnt(0)
	s_barrier
	s_barrier
	s_and_saveexec_b64 s[0:1], s[10:11]
; %bb.383:
	v_xor_b32_e32 v30, 0x80000000, v30
	v_xor_b32_e32 v31, 0x80000000, v29
	ds_write_b64 v24, v[30:31] offset:128
; %bb.384:
	s_or_b64 exec, exec, s[0:1]
	v_cmp_gt_u32_e64 s[14:15], 16, v0
	s_and_b64 s[0:1], s[12:13], s[14:15]
	s_waitcnt lgkmcnt(0)
	s_barrier
	s_barrier
	s_and_saveexec_b64 s[14:15], s[0:1]
	s_cbranch_execz .LBB72_386
; %bb.385:
	v_lshlrev_b32_e32 v31, 9, v0
	ds_read_b64 v[29:30], v31 offset:128
	s_movk_i32 s16, 0xfe08
	v_mad_i32_i24 v32, v0, s16, v31
	s_waitcnt lgkmcnt(0)
	ds_write_b64 v32, v[29:30] offset:8192
	ds_read_b64 v[29:30], v31 offset:136
	s_waitcnt lgkmcnt(0)
	ds_write_b64 v32, v[29:30] offset:8704
	ds_read_b64 v[29:30], v31 offset:144
	;; [unrolled: 3-line block ×15, first 2 shown]
	s_waitcnt lgkmcnt(0)
	ds_write_b64 v32, v[29:30] offset:15872
.LBB72_386:
	s_or_b64 exec, exec, s[14:15]
	s_waitcnt lgkmcnt(0)
	s_barrier
	s_and_saveexec_b64 s[14:15], vcc
	s_cbranch_execz .LBB72_388
; %bb.387:
	v_mov_b32_e32 v33, 0
	ds_read_b128 v[29:32], v33 offset:8320
	ds_read_b64 v[33:34], v33 offset:8840
	s_movk_i32 s16, 0x2000
	s_waitcnt lgkmcnt(0)
	v_mul_f32_e32 v35, v34, v30
	v_mul_f32_e32 v36, v33, v30
	v_fma_f32 v33, v33, v29, -v35
	v_fmac_f32_e32 v36, v34, v29
	v_mul_f32_e32 v29, v36, v32
	v_mul_f32_e32 v30, v33, v32
	v_fma_f32 v29, v33, v31, -v29
	v_fmac_f32_e32 v30, v36, v31
	v_add_u32_e64 v31, s16, 0
	ds_write2_b64 v31, v[29:30], v[29:30] offset0:17 offset1:80
.LBB72_388:
	s_or_b64 exec, exec, s[14:15]
	v_mov_b32_e32 v29, 0
	v_mov_b32_e32 v30, 0
	s_waitcnt lgkmcnt(0)
	s_barrier
	s_and_saveexec_b64 s[16:17], s[2:3]
	s_cbranch_execz .LBB72_392
; %bb.389:
	v_mul_u32_u24_e32 v31, 0x208, v13
	ds_read_b64 v[29:30], v11 offset:8336
	ds_read_b64 v[31:32], v31 offset:8320
	v_cmp_gt_u32_e64 s[14:15], 2, v1
	s_waitcnt lgkmcnt(0)
	v_mul_f32_e32 v33, v32, v30
	v_mul_f32_e32 v30, v31, v30
	v_fma_f32 v31, v31, v29, -v33
	v_fmac_f32_e32 v30, v32, v29
	v_add_f32_e32 v29, 0, v31
	v_add_f32_e32 v31, 0, v30
	s_and_saveexec_b64 s[20:21], s[14:15]
	s_cbranch_execz .LBB72_391
; %bb.390:
	v_lshlrev_b32_e32 v30, 3, v0
	v_mov_b32_e32 v34, 0
	ds_read_b64 v[32:33], v30 offset:8848
	ds_read_b64 v[34:35], v34 offset:8328
	s_waitcnt lgkmcnt(0)
	v_mul_f32_e32 v30, v35, v33
	v_mul_f32_e32 v33, v34, v33
	v_fma_f32 v30, v34, v32, -v30
	v_fmac_f32_e32 v33, v35, v32
	v_add_f32_e32 v29, v29, v30
	v_add_f32_e32 v31, v31, v33
.LBB72_391:
	s_or_b64 exec, exec, s[20:21]
	v_xor_b32_e32 v30, 0x80000000, v29
	v_xor_b32_e32 v29, 0x80000000, v31
.LBB72_392:
	s_or_b64 exec, exec, s[16:17]
	s_and_saveexec_b64 s[14:15], s[34:35]
	s_cbranch_execz .LBB72_394
; %bb.393:
	v_mov_b32_e32 v31, 0
	ds_read_b64 v[31:32], v31 offset:9360
	s_waitcnt lgkmcnt(0)
	v_mul_f32_e32 v34, v29, v32
	v_mul_f32_e32 v33, v30, v32
	v_fma_f32 v32, v30, v31, -v34
	v_fmac_f32_e32 v33, v29, v31
	v_mov_b32_e32 v30, v32
	v_mov_b32_e32 v29, v33
	ds_write_b64 v12, v[32:33]
.LBB72_394:
	s_or_b64 exec, exec, s[14:15]
	s_waitcnt lgkmcnt(0)
	s_barrier
	s_and_saveexec_b64 s[14:15], s[26:27]
	s_cbranch_execz .LBB72_396
; %bb.395:
	v_mov_b32_e32 v31, 0
	ds_read_b64 v[31:32], v31 offset:9368
	ds_read_b64 v[33:34], v12
	s_waitcnt lgkmcnt(0)
	v_mul_f32_e32 v35, v34, v32
	v_mul_f32_e32 v32, v33, v32
	v_fma_f32 v33, v33, v31, -v35
	v_fmac_f32_e32 v32, v34, v31
	v_add_f32_e32 v30, v30, v33
	v_add_f32_e32 v29, v29, v32
.LBB72_396:
	s_or_b64 exec, exec, s[14:15]
	s_barrier
	s_and_saveexec_b64 s[14:15], s[26:27]
	s_cbranch_execz .LBB72_398
; %bb.397:
	v_mov_b32_e32 v31, 0
	ds_read_b64 v[31:32], v31 offset:9880
	s_waitcnt lgkmcnt(0)
	v_mul_f32_e32 v34, v29, v32
	v_mul_f32_e32 v33, v30, v32
	v_fma_f32 v32, v30, v31, -v34
	v_fmac_f32_e32 v33, v29, v31
	v_mov_b32_e32 v30, v32
	v_mov_b32_e32 v29, v33
	ds_write_b64 v12, v[32:33]
.LBB72_398:
	s_or_b64 exec, exec, s[14:15]
	s_waitcnt lgkmcnt(0)
	s_barrier
	s_barrier
	s_and_saveexec_b64 s[14:15], s[2:3]
; %bb.399:
	v_xor_b32_e32 v31, 0x80000000, v29
	v_xor_b32_e32 v30, 0x80000000, v30
	ds_write_b64 v11, v[30:31] offset:8336
; %bb.400:
	s_or_b64 exec, exec, s[14:15]
	s_waitcnt lgkmcnt(0)
	s_barrier
	s_barrier
	s_and_saveexec_b64 s[14:15], s[36:37]
	s_cbranch_execz .LBB72_402
; %bb.401:
	v_lshlrev_b32_e32 v31, 3, v0
	s_movk_i32 s16, 0x1f8
	v_mad_u32_u24 v32, v0, s16, v31
	ds_read_b64 v[29:30], v32 offset:8336
	s_waitcnt lgkmcnt(0)
	ds_write_b64 v31, v[29:30] offset:9344
	ds_read_b64 v[29:30], v32 offset:8344
	s_waitcnt lgkmcnt(0)
	ds_write_b64 v31, v[29:30] offset:9856
.LBB72_402:
	s_or_b64 exec, exec, s[14:15]
	s_waitcnt lgkmcnt(0)
	s_barrier
	s_and_saveexec_b64 s[14:15], vcc
	s_cbranch_execz .LBB72_404
; %bb.403:
	v_mov_b32_e32 v33, 0
	ds_read_b128 v[29:32], v33 offset:9360
	ds_read_b64 v[33:34], v33 offset:9880
	s_movk_i32 s16, 0x2000
	s_waitcnt lgkmcnt(0)
	v_mul_f32_e32 v35, v34, v30
	v_mul_f32_e32 v36, v33, v30
	v_fma_f32 v33, v33, v29, -v35
	v_fmac_f32_e32 v36, v34, v29
	v_mul_f32_e32 v29, v36, v32
	v_mul_f32_e32 v30, v33, v32
	v_fma_f32 v29, v33, v31, -v29
	v_fmac_f32_e32 v30, v36, v31
	v_add_u32_e64 v31, s16, 0
	ds_write2_b64 v31, v[29:30], v[29:30] offset0:147 offset1:210
.LBB72_404:
	s_or_b64 exec, exec, s[14:15]
	v_mov_b32_e32 v29, 0
	v_mov_b32_e32 v30, 0
	s_waitcnt lgkmcnt(0)
	s_barrier
	s_and_saveexec_b64 s[16:17], s[18:19]
	s_cbranch_execz .LBB72_410
; %bb.405:
	v_mul_u32_u24_e32 v30, 0x208, v18
	ds_read_b64 v[31:32], v14 offset:8352
	ds_read_b64 v[33:34], v30 offset:8320
	v_cmp_gt_u32_e64 s[14:15], 12, v1
	s_waitcnt lgkmcnt(0)
	v_mul_f32_e32 v29, v34, v32
	v_mul_f32_e32 v32, v33, v32
	v_fma_f32 v29, v33, v31, -v29
	v_fmac_f32_e32 v32, v34, v31
	v_add_f32_e32 v29, 0, v29
	v_add_f32_e32 v31, 0, v32
	s_and_saveexec_b64 s[20:21], s[14:15]
	s_cbranch_execnz .LBB72_1138
; %bb.406:
	s_or_b64 exec, exec, s[20:21]
	v_cmp_gt_u32_e64 s[14:15], 8, v1
	s_and_saveexec_b64 s[20:21], s[14:15]
	s_cbranch_execnz .LBB72_1139
.LBB72_407:
	s_or_b64 exec, exec, s[20:21]
	v_cmp_gt_u32_e64 s[14:15], 4, v1
	s_and_saveexec_b64 s[20:21], s[14:15]
	s_cbranch_execz .LBB72_409
.LBB72_408:
	v_lshlrev_b32_e32 v30, 3, v0
	v_mov_b32_e32 v34, 0
	ds_read_b64 v[32:33], v30 offset:9888
	ds_read_b64 v[34:35], v34 offset:8344
	s_waitcnt lgkmcnt(0)
	v_mul_f32_e32 v30, v35, v33
	v_mul_f32_e32 v33, v34, v33
	v_fma_f32 v30, v34, v32, -v30
	v_fmac_f32_e32 v33, v35, v32
	v_add_f32_e32 v29, v29, v30
	v_add_f32_e32 v31, v31, v33
.LBB72_409:
	s_or_b64 exec, exec, s[20:21]
	v_xor_b32_e32 v30, 0x80000000, v29
	v_xor_b32_e32 v29, 0x80000000, v31
.LBB72_410:
	s_or_b64 exec, exec, s[16:17]
	s_and_saveexec_b64 s[14:15], s[40:41]
	s_cbranch_execz .LBB72_412
; %bb.411:
	v_mov_b32_e32 v31, 0
	ds_read_b64 v[31:32], v31 offset:10400
	s_waitcnt lgkmcnt(0)
	v_mul_f32_e32 v34, v29, v32
	v_mul_f32_e32 v33, v30, v32
	v_fma_f32 v32, v30, v31, -v34
	v_fmac_f32_e32 v33, v29, v31
	v_mov_b32_e32 v30, v32
	v_mov_b32_e32 v29, v33
	ds_write_b64 v16, v[32:33]
.LBB72_412:
	s_or_b64 exec, exec, s[14:15]
	s_waitcnt lgkmcnt(0)
	s_barrier
	s_and_saveexec_b64 s[14:15], s[42:43]
	s_cbranch_execz .LBB72_414
; %bb.413:
	ds_read_b64 v[31:32], v15 offset:10400
	ds_read_b64 v[33:34], v16
	s_waitcnt lgkmcnt(0)
	v_mul_f32_e32 v35, v34, v32
	v_mul_f32_e32 v32, v33, v32
	v_fma_f32 v33, v33, v31, -v35
	v_fmac_f32_e32 v32, v34, v31
	v_add_f32_e32 v30, v30, v33
	v_add_f32_e32 v29, v29, v32
.LBB72_414:
	s_or_b64 exec, exec, s[14:15]
	s_barrier
	s_and_saveexec_b64 s[14:15], s[44:45]
	s_cbranch_execz .LBB72_416
; %bb.415:
	v_mov_b32_e32 v31, 0
	ds_read_b64 v[31:32], v31 offset:10920
	s_waitcnt lgkmcnt(0)
	v_mul_f32_e32 v34, v29, v32
	v_mul_f32_e32 v33, v30, v32
	v_fma_f32 v32, v30, v31, -v34
	v_fmac_f32_e32 v33, v29, v31
	v_mov_b32_e32 v30, v32
	v_mov_b32_e32 v29, v33
	ds_write_b64 v16, v[32:33]
.LBB72_416:
	s_or_b64 exec, exec, s[14:15]
	s_waitcnt lgkmcnt(0)
	s_barrier
	s_and_saveexec_b64 s[14:15], s[46:47]
	s_cbranch_execz .LBB72_418
; %bb.417:
	ds_read_b64 v[31:32], v15 offset:10912
	ds_read_b64 v[33:34], v16
	s_waitcnt lgkmcnt(0)
	v_mul_f32_e32 v35, v34, v32
	v_mul_f32_e32 v32, v33, v32
	v_fma_f32 v33, v33, v31, -v35
	v_fmac_f32_e32 v32, v34, v31
	v_add_f32_e32 v30, v30, v33
	v_add_f32_e32 v29, v29, v32
.LBB72_418:
	s_or_b64 exec, exec, s[14:15]
	s_barrier
	s_and_saveexec_b64 s[14:15], s[48:49]
	s_cbranch_execz .LBB72_420
; %bb.419:
	v_mov_b32_e32 v31, 0
	ds_read_b64 v[31:32], v31 offset:11440
	s_waitcnt lgkmcnt(0)
	v_mul_f32_e32 v34, v29, v32
	v_mul_f32_e32 v33, v30, v32
	v_fma_f32 v32, v30, v31, -v34
	v_fmac_f32_e32 v33, v29, v31
	v_mov_b32_e32 v30, v32
	v_mov_b32_e32 v29, v33
	ds_write_b64 v16, v[32:33]
.LBB72_420:
	s_or_b64 exec, exec, s[14:15]
	s_waitcnt lgkmcnt(0)
	s_barrier
	s_and_saveexec_b64 s[14:15], s[38:39]
	s_cbranch_execz .LBB72_422
; %bb.421:
	v_mov_b32_e32 v31, 0
	ds_read_b64 v[31:32], v31 offset:11448
	ds_read_b64 v[33:34], v16
	s_waitcnt lgkmcnt(0)
	v_mul_f32_e32 v35, v34, v32
	v_mul_f32_e32 v32, v33, v32
	v_fma_f32 v33, v33, v31, -v35
	v_fmac_f32_e32 v32, v34, v31
	v_add_f32_e32 v30, v30, v33
	v_add_f32_e32 v29, v29, v32
.LBB72_422:
	s_or_b64 exec, exec, s[14:15]
	s_barrier
	s_and_saveexec_b64 s[14:15], s[38:39]
	s_cbranch_execz .LBB72_424
; %bb.423:
	v_mov_b32_e32 v31, 0
	ds_read_b64 v[31:32], v31 offset:11960
	s_waitcnt lgkmcnt(0)
	v_mul_f32_e32 v34, v29, v32
	v_mul_f32_e32 v33, v30, v32
	v_fma_f32 v32, v30, v31, -v34
	v_fmac_f32_e32 v33, v29, v31
	v_mov_b32_e32 v30, v32
	v_mov_b32_e32 v29, v33
	ds_write_b64 v16, v[32:33]
.LBB72_424:
	s_or_b64 exec, exec, s[14:15]
	s_waitcnt lgkmcnt(0)
	s_barrier
	s_barrier
	s_and_saveexec_b64 s[14:15], s[18:19]
; %bb.425:
	v_xor_b32_e32 v30, 0x80000000, v30
	v_xor_b32_e32 v31, 0x80000000, v29
	ds_write_b64 v14, v[30:31] offset:8352
; %bb.426:
	s_or_b64 exec, exec, s[14:15]
	s_waitcnt lgkmcnt(0)
	s_barrier
	s_barrier
	s_and_saveexec_b64 s[14:15], s[50:51]
	s_cbranch_execz .LBB72_428
; %bb.427:
	v_lshlrev_b32_e32 v31, 9, v0
	ds_read_b64 v[29:30], v31 offset:8352
	s_movk_i32 s16, 0xfe08
	v_mad_i32_i24 v32, v0, s16, v31
	s_waitcnt lgkmcnt(0)
	ds_write_b64 v32, v[29:30] offset:10368
	ds_read_b64 v[29:30], v31 offset:8360
	s_waitcnt lgkmcnt(0)
	ds_write_b64 v32, v[29:30] offset:10880
	ds_read_b64 v[29:30], v31 offset:8368
	;; [unrolled: 3-line block ×3, first 2 shown]
	s_waitcnt lgkmcnt(0)
	ds_write_b64 v32, v[29:30] offset:11904
.LBB72_428:
	s_or_b64 exec, exec, s[14:15]
	s_waitcnt lgkmcnt(0)
	s_barrier
	s_and_saveexec_b64 s[14:15], vcc
	s_cbranch_execz .LBB72_430
; %bb.429:
	v_mov_b32_e32 v33, 0
	ds_read_b128 v[29:32], v33 offset:10400
	ds_read_b64 v[33:34], v33 offset:10920
	s_movk_i32 s16, 0x2800
	s_waitcnt lgkmcnt(0)
	v_mul_f32_e32 v35, v34, v30
	v_mul_f32_e32 v36, v33, v30
	v_fma_f32 v33, v33, v29, -v35
	v_fmac_f32_e32 v36, v34, v29
	v_mul_f32_e32 v29, v36, v32
	v_mul_f32_e32 v30, v33, v32
	v_fma_f32 v29, v33, v31, -v29
	v_fmac_f32_e32 v30, v36, v31
	v_add_u32_e64 v31, s16, 0
	ds_write2_b64 v31, v[29:30], v[29:30] offset0:21 offset1:84
.LBB72_430:
	s_or_b64 exec, exec, s[14:15]
	v_mov_b32_e32 v29, 0
	v_mov_b32_e32 v30, 0
	s_waitcnt lgkmcnt(0)
	s_barrier
	s_and_saveexec_b64 s[16:17], s[2:3]
	s_cbranch_execz .LBB72_434
; %bb.431:
	v_mul_u32_u24_e32 v31, 0x208, v13
	ds_read_b64 v[29:30], v11 offset:10416
	ds_read_b64 v[31:32], v31 offset:10400
	v_cmp_gt_u32_e64 s[14:15], 2, v1
	s_waitcnt lgkmcnt(0)
	v_mul_f32_e32 v33, v32, v30
	v_mul_f32_e32 v30, v31, v30
	v_fma_f32 v31, v31, v29, -v33
	v_fmac_f32_e32 v30, v32, v29
	v_add_f32_e32 v29, 0, v31
	v_add_f32_e32 v31, 0, v30
	s_and_saveexec_b64 s[20:21], s[14:15]
	s_cbranch_execz .LBB72_433
; %bb.432:
	v_lshlrev_b32_e32 v30, 3, v0
	v_mov_b32_e32 v34, 0
	ds_read_b64 v[32:33], v30 offset:10928
	ds_read_b64 v[34:35], v34 offset:10408
	s_waitcnt lgkmcnt(0)
	v_mul_f32_e32 v30, v35, v33
	v_mul_f32_e32 v33, v34, v33
	v_fma_f32 v30, v34, v32, -v30
	v_fmac_f32_e32 v33, v35, v32
	v_add_f32_e32 v29, v29, v30
	v_add_f32_e32 v31, v31, v33
.LBB72_433:
	s_or_b64 exec, exec, s[20:21]
	v_xor_b32_e32 v30, 0x80000000, v29
	v_xor_b32_e32 v29, 0x80000000, v31
.LBB72_434:
	s_or_b64 exec, exec, s[16:17]
	s_and_saveexec_b64 s[14:15], s[34:35]
	s_cbranch_execz .LBB72_436
; %bb.435:
	v_mov_b32_e32 v31, 0
	ds_read_b64 v[31:32], v31 offset:11440
	s_waitcnt lgkmcnt(0)
	v_mul_f32_e32 v34, v29, v32
	v_mul_f32_e32 v33, v30, v32
	v_fma_f32 v32, v30, v31, -v34
	v_fmac_f32_e32 v33, v29, v31
	v_mov_b32_e32 v30, v32
	v_mov_b32_e32 v29, v33
	ds_write_b64 v12, v[32:33]
.LBB72_436:
	s_or_b64 exec, exec, s[14:15]
	s_waitcnt lgkmcnt(0)
	s_barrier
	s_and_saveexec_b64 s[14:15], s[26:27]
	s_cbranch_execz .LBB72_438
; %bb.437:
	v_mov_b32_e32 v31, 0
	ds_read_b64 v[31:32], v31 offset:11448
	ds_read_b64 v[33:34], v12
	s_waitcnt lgkmcnt(0)
	v_mul_f32_e32 v35, v34, v32
	v_mul_f32_e32 v32, v33, v32
	v_fma_f32 v33, v33, v31, -v35
	v_fmac_f32_e32 v32, v34, v31
	v_add_f32_e32 v30, v30, v33
	v_add_f32_e32 v29, v29, v32
.LBB72_438:
	s_or_b64 exec, exec, s[14:15]
	s_barrier
	s_and_saveexec_b64 s[14:15], s[26:27]
	s_cbranch_execz .LBB72_440
; %bb.439:
	v_mov_b32_e32 v31, 0
	ds_read_b64 v[31:32], v31 offset:11960
	s_waitcnt lgkmcnt(0)
	v_mul_f32_e32 v34, v29, v32
	v_mul_f32_e32 v33, v30, v32
	v_fma_f32 v32, v30, v31, -v34
	v_fmac_f32_e32 v33, v29, v31
	v_mov_b32_e32 v30, v32
	v_mov_b32_e32 v29, v33
	ds_write_b64 v12, v[32:33]
.LBB72_440:
	s_or_b64 exec, exec, s[14:15]
	s_waitcnt lgkmcnt(0)
	s_barrier
	s_barrier
	s_and_saveexec_b64 s[14:15], s[2:3]
; %bb.441:
	v_xor_b32_e32 v31, 0x80000000, v29
	v_xor_b32_e32 v30, 0x80000000, v30
	ds_write_b64 v11, v[30:31] offset:10416
; %bb.442:
	s_or_b64 exec, exec, s[14:15]
	s_waitcnt lgkmcnt(0)
	s_barrier
	s_barrier
	s_and_saveexec_b64 s[14:15], s[36:37]
	s_cbranch_execz .LBB72_444
; %bb.443:
	v_lshlrev_b32_e32 v31, 3, v0
	s_movk_i32 s16, 0x1f8
	v_mad_u32_u24 v32, v0, s16, v31
	ds_read_b64 v[29:30], v32 offset:10416
	s_waitcnt lgkmcnt(0)
	ds_write_b64 v31, v[29:30] offset:11424
	ds_read_b64 v[29:30], v32 offset:10424
	s_waitcnt lgkmcnt(0)
	ds_write_b64 v31, v[29:30] offset:11936
.LBB72_444:
	s_or_b64 exec, exec, s[14:15]
	s_waitcnt lgkmcnt(0)
	s_barrier
	s_and_saveexec_b64 s[14:15], vcc
	s_cbranch_execz .LBB72_446
; %bb.445:
	v_mov_b32_e32 v33, 0
	ds_read_b128 v[29:32], v33 offset:11440
	ds_read_b64 v[33:34], v33 offset:11960
	s_movk_i32 s16, 0x2800
	s_waitcnt lgkmcnt(0)
	v_mul_f32_e32 v35, v34, v30
	v_mul_f32_e32 v36, v33, v30
	v_fma_f32 v33, v33, v29, -v35
	v_fmac_f32_e32 v36, v34, v29
	v_mul_f32_e32 v29, v36, v32
	v_mul_f32_e32 v30, v33, v32
	v_fma_f32 v29, v33, v31, -v29
	v_fmac_f32_e32 v30, v36, v31
	v_add_u32_e64 v31, s16, 0
	ds_write2_b64 v31, v[29:30], v[29:30] offset0:151 offset1:214
.LBB72_446:
	s_or_b64 exec, exec, s[14:15]
	v_mov_b32_e32 v29, 0
	v_mov_b32_e32 v30, 0
	s_waitcnt lgkmcnt(0)
	s_barrier
	s_and_saveexec_b64 s[16:17], s[8:9]
	s_cbranch_execz .LBB72_456
; %bb.447:
	v_mul_u32_u24_e32 v30, 0x208, v23
	ds_read_b64 v[31:32], v19 offset:8384
	ds_read_b64 v[33:34], v30 offset:8320
	v_cmp_gt_u32_e64 s[14:15], 56, v1
	s_waitcnt lgkmcnt(0)
	v_mul_f32_e32 v29, v34, v32
	v_mul_f32_e32 v32, v33, v32
	v_fma_f32 v29, v33, v31, -v29
	v_fmac_f32_e32 v32, v34, v31
	v_add_f32_e32 v29, 0, v29
	v_add_f32_e32 v31, 0, v32
	s_and_saveexec_b64 s[20:21], s[14:15]
	s_cbranch_execnz .LBB72_1140
; %bb.448:
	s_or_b64 exec, exec, s[20:21]
	v_cmp_gt_u32_e64 s[14:15], 48, v1
	s_and_saveexec_b64 s[20:21], s[14:15]
	s_cbranch_execnz .LBB72_1141
.LBB72_449:
	s_or_b64 exec, exec, s[20:21]
	v_cmp_gt_u32_e64 s[14:15], 40, v1
	s_and_saveexec_b64 s[20:21], s[14:15]
	s_cbranch_execnz .LBB72_1142
.LBB72_450:
	s_or_b64 exec, exec, s[20:21]
	v_cmp_gt_u32_e64 s[14:15], 32, v1
	s_and_saveexec_b64 s[20:21], s[14:15]
	s_cbranch_execnz .LBB72_1143
.LBB72_451:
	s_or_b64 exec, exec, s[20:21]
	v_cmp_gt_u32_e64 s[14:15], 24, v1
	s_and_saveexec_b64 s[20:21], s[14:15]
	s_cbranch_execnz .LBB72_1144
.LBB72_452:
	s_or_b64 exec, exec, s[20:21]
	v_cmp_gt_u32_e64 s[14:15], 16, v1
	s_and_saveexec_b64 s[20:21], s[14:15]
	s_cbranch_execnz .LBB72_1145
.LBB72_453:
	s_or_b64 exec, exec, s[20:21]
	v_cmp_gt_u32_e64 s[14:15], 8, v1
	s_and_saveexec_b64 s[20:21], s[14:15]
	s_cbranch_execz .LBB72_455
.LBB72_454:
	v_lshlrev_b32_e32 v30, 3, v0
	v_mov_b32_e32 v34, 0
	ds_read_b64 v[32:33], v30 offset:11968
	ds_read_b64 v[34:35], v34 offset:8376
	s_waitcnt lgkmcnt(0)
	v_mul_f32_e32 v30, v35, v33
	v_mul_f32_e32 v33, v34, v33
	v_fma_f32 v30, v34, v32, -v30
	v_fmac_f32_e32 v33, v35, v32
	v_add_f32_e32 v29, v29, v30
	v_add_f32_e32 v31, v31, v33
.LBB72_455:
	s_or_b64 exec, exec, s[20:21]
	v_xor_b32_e32 v30, 0x80000000, v29
	v_xor_b32_e32 v29, 0x80000000, v31
.LBB72_456:
	s_or_b64 exec, exec, s[16:17]
	s_and_saveexec_b64 s[14:15], s[54:55]
	s_cbranch_execz .LBB72_458
; %bb.457:
	v_mov_b32_e32 v31, 0
	ds_read_b64 v[31:32], v31 offset:12480
	s_waitcnt lgkmcnt(0)
	v_mul_f32_e32 v34, v29, v32
	v_mul_f32_e32 v33, v30, v32
	v_fma_f32 v32, v30, v31, -v34
	v_fmac_f32_e32 v33, v29, v31
	v_mov_b32_e32 v30, v32
	v_mov_b32_e32 v29, v33
	ds_write_b64 v21, v[32:33]
.LBB72_458:
	s_or_b64 exec, exec, s[14:15]
	s_waitcnt lgkmcnt(0)
	s_barrier
	s_and_saveexec_b64 s[14:15], s[56:57]
	s_cbranch_execz .LBB72_460
; %bb.459:
	ds_read_b64 v[31:32], v20 offset:12480
	ds_read_b64 v[33:34], v21
	s_waitcnt lgkmcnt(0)
	v_mul_f32_e32 v35, v34, v32
	v_mul_f32_e32 v32, v33, v32
	v_fma_f32 v33, v33, v31, -v35
	v_fmac_f32_e32 v32, v34, v31
	v_add_f32_e32 v30, v30, v33
	v_add_f32_e32 v29, v29, v32
.LBB72_460:
	s_or_b64 exec, exec, s[14:15]
	s_barrier
	s_and_saveexec_b64 s[14:15], s[58:59]
	s_cbranch_execz .LBB72_462
; %bb.461:
	v_mov_b32_e32 v31, 0
	ds_read_b64 v[31:32], v31 offset:13000
	s_waitcnt lgkmcnt(0)
	v_mul_f32_e32 v34, v29, v32
	v_mul_f32_e32 v33, v30, v32
	v_fma_f32 v32, v30, v31, -v34
	v_fmac_f32_e32 v33, v29, v31
	v_mov_b32_e32 v30, v32
	v_mov_b32_e32 v29, v33
	ds_write_b64 v21, v[32:33]
.LBB72_462:
	s_or_b64 exec, exec, s[14:15]
	s_waitcnt lgkmcnt(0)
	s_barrier
	s_and_saveexec_b64 s[14:15], s[60:61]
	s_cbranch_execz .LBB72_464
; %bb.463:
	ds_read_b64 v[31:32], v20 offset:12992
	ds_read_b64 v[33:34], v21
	s_waitcnt lgkmcnt(0)
	v_mul_f32_e32 v35, v34, v32
	v_mul_f32_e32 v32, v33, v32
	v_fma_f32 v33, v33, v31, -v35
	v_fmac_f32_e32 v32, v34, v31
	v_add_f32_e32 v30, v30, v33
	v_add_f32_e32 v29, v29, v32
.LBB72_464:
	s_or_b64 exec, exec, s[14:15]
	s_barrier
	;; [unrolled: 32-line block ×6, first 2 shown]
	s_and_saveexec_b64 s[14:15], s[78:79]
	s_cbranch_execz .LBB72_482
; %bb.481:
	v_mov_b32_e32 v31, 0
	ds_read_b64 v[31:32], v31 offset:15600
	s_waitcnt lgkmcnt(0)
	v_mul_f32_e32 v34, v29, v32
	v_mul_f32_e32 v33, v30, v32
	v_fma_f32 v32, v30, v31, -v34
	v_fmac_f32_e32 v33, v29, v31
	v_mov_b32_e32 v30, v32
	v_mov_b32_e32 v29, v33
	ds_write_b64 v21, v[32:33]
.LBB72_482:
	s_or_b64 exec, exec, s[14:15]
	s_waitcnt lgkmcnt(0)
	s_barrier
	s_and_saveexec_b64 s[14:15], s[52:53]
	s_cbranch_execz .LBB72_484
; %bb.483:
	v_mov_b32_e32 v31, 0
	ds_read_b64 v[31:32], v31 offset:15608
	ds_read_b64 v[33:34], v21
	s_waitcnt lgkmcnt(0)
	v_mul_f32_e32 v35, v34, v32
	v_mul_f32_e32 v32, v33, v32
	v_fma_f32 v33, v33, v31, -v35
	v_fmac_f32_e32 v32, v34, v31
	v_add_f32_e32 v30, v30, v33
	v_add_f32_e32 v29, v29, v32
.LBB72_484:
	s_or_b64 exec, exec, s[14:15]
	s_barrier
	s_and_saveexec_b64 s[14:15], s[52:53]
	s_cbranch_execz .LBB72_486
; %bb.485:
	v_mov_b32_e32 v31, 0
	ds_read_b64 v[31:32], v31 offset:16120
	s_waitcnt lgkmcnt(0)
	v_mul_f32_e32 v34, v29, v32
	v_mul_f32_e32 v33, v30, v32
	v_fma_f32 v32, v30, v31, -v34
	v_fmac_f32_e32 v33, v29, v31
	v_mov_b32_e32 v30, v32
	v_mov_b32_e32 v29, v33
	ds_write_b64 v21, v[32:33]
.LBB72_486:
	s_or_b64 exec, exec, s[14:15]
	s_waitcnt lgkmcnt(0)
	s_barrier
	s_barrier
	s_and_saveexec_b64 s[14:15], s[8:9]
; %bb.487:
	v_xor_b32_e32 v31, 0x80000000, v29
	v_xor_b32_e32 v30, 0x80000000, v30
	ds_write_b64 v19, v[30:31] offset:8384
; %bb.488:
	s_or_b64 exec, exec, s[14:15]
	s_waitcnt lgkmcnt(0)
	s_barrier
	s_barrier
	s_and_saveexec_b64 s[14:15], s[80:81]
	s_cbranch_execz .LBB72_490
; %bb.489:
	v_lshlrev_b32_e32 v31, 9, v0
	ds_read_b64 v[29:30], v31 offset:8384
	s_movk_i32 s16, 0xfe08
	v_mad_i32_i24 v32, v0, s16, v31
	s_waitcnt lgkmcnt(0)
	ds_write_b64 v32, v[29:30] offset:12416
	ds_read_b64 v[29:30], v31 offset:8392
	s_waitcnt lgkmcnt(0)
	ds_write_b64 v32, v[29:30] offset:12928
	ds_read_b64 v[29:30], v31 offset:8400
	;; [unrolled: 3-line block ×7, first 2 shown]
	s_waitcnt lgkmcnt(0)
	ds_write_b64 v32, v[29:30] offset:16000
.LBB72_490:
	s_or_b64 exec, exec, s[14:15]
	s_waitcnt lgkmcnt(0)
	s_barrier
	s_and_saveexec_b64 s[14:15], vcc
	s_cbranch_execz .LBB72_492
; %bb.491:
	v_mov_b32_e32 v33, 0
	ds_read_b128 v[29:32], v33 offset:12480
	ds_read_b64 v[33:34], v33 offset:13000
	s_movk_i32 s16, 0x3000
	s_waitcnt lgkmcnt(0)
	v_mul_f32_e32 v35, v34, v30
	v_mul_f32_e32 v36, v33, v30
	v_fma_f32 v33, v33, v29, -v35
	v_fmac_f32_e32 v36, v34, v29
	v_mul_f32_e32 v29, v36, v32
	v_mul_f32_e32 v30, v33, v32
	v_fma_f32 v29, v33, v31, -v29
	v_fmac_f32_e32 v30, v36, v31
	v_add_u32_e64 v31, s16, 0
	ds_write2_b64 v31, v[29:30], v[29:30] offset0:25 offset1:88
.LBB72_492:
	s_or_b64 exec, exec, s[14:15]
	v_mov_b32_e32 v29, 0
	v_mov_b32_e32 v30, 0
	s_waitcnt lgkmcnt(0)
	s_barrier
	s_and_saveexec_b64 s[16:17], s[2:3]
	s_cbranch_execz .LBB72_496
; %bb.493:
	v_mul_u32_u24_e32 v31, 0x208, v13
	ds_read_b64 v[29:30], v11 offset:12496
	ds_read_b64 v[31:32], v31 offset:12480
	v_cmp_gt_u32_e64 s[14:15], 2, v1
	s_waitcnt lgkmcnt(0)
	v_mul_f32_e32 v33, v32, v30
	v_mul_f32_e32 v30, v31, v30
	v_fma_f32 v31, v31, v29, -v33
	v_fmac_f32_e32 v30, v32, v29
	v_add_f32_e32 v29, 0, v31
	v_add_f32_e32 v31, 0, v30
	s_and_saveexec_b64 s[20:21], s[14:15]
	s_cbranch_execz .LBB72_495
; %bb.494:
	v_lshlrev_b32_e32 v30, 3, v0
	v_mov_b32_e32 v34, 0
	ds_read_b64 v[32:33], v30 offset:13008
	ds_read_b64 v[34:35], v34 offset:12488
	s_waitcnt lgkmcnt(0)
	v_mul_f32_e32 v30, v35, v33
	v_mul_f32_e32 v33, v34, v33
	v_fma_f32 v30, v34, v32, -v30
	v_fmac_f32_e32 v33, v35, v32
	v_add_f32_e32 v29, v29, v30
	v_add_f32_e32 v31, v31, v33
.LBB72_495:
	s_or_b64 exec, exec, s[20:21]
	v_xor_b32_e32 v30, 0x80000000, v29
	v_xor_b32_e32 v29, 0x80000000, v31
.LBB72_496:
	s_or_b64 exec, exec, s[16:17]
	s_and_saveexec_b64 s[14:15], s[34:35]
	s_cbranch_execz .LBB72_498
; %bb.497:
	v_mov_b32_e32 v31, 0
	ds_read_b64 v[31:32], v31 offset:13520
	s_waitcnt lgkmcnt(0)
	v_mul_f32_e32 v34, v29, v32
	v_mul_f32_e32 v33, v30, v32
	v_fma_f32 v32, v30, v31, -v34
	v_fmac_f32_e32 v33, v29, v31
	v_mov_b32_e32 v30, v32
	v_mov_b32_e32 v29, v33
	ds_write_b64 v12, v[32:33]
.LBB72_498:
	s_or_b64 exec, exec, s[14:15]
	s_waitcnt lgkmcnt(0)
	s_barrier
	s_and_saveexec_b64 s[14:15], s[26:27]
	s_cbranch_execz .LBB72_500
; %bb.499:
	v_mov_b32_e32 v31, 0
	ds_read_b64 v[31:32], v31 offset:13528
	ds_read_b64 v[33:34], v12
	s_waitcnt lgkmcnt(0)
	v_mul_f32_e32 v35, v34, v32
	v_mul_f32_e32 v32, v33, v32
	v_fma_f32 v33, v33, v31, -v35
	v_fmac_f32_e32 v32, v34, v31
	v_add_f32_e32 v30, v30, v33
	v_add_f32_e32 v29, v29, v32
.LBB72_500:
	s_or_b64 exec, exec, s[14:15]
	s_barrier
	s_and_saveexec_b64 s[14:15], s[26:27]
	s_cbranch_execz .LBB72_502
; %bb.501:
	v_mov_b32_e32 v31, 0
	ds_read_b64 v[31:32], v31 offset:14040
	s_waitcnt lgkmcnt(0)
	v_mul_f32_e32 v34, v29, v32
	v_mul_f32_e32 v33, v30, v32
	v_fma_f32 v32, v30, v31, -v34
	v_fmac_f32_e32 v33, v29, v31
	v_mov_b32_e32 v30, v32
	v_mov_b32_e32 v29, v33
	ds_write_b64 v12, v[32:33]
.LBB72_502:
	s_or_b64 exec, exec, s[14:15]
	s_waitcnt lgkmcnt(0)
	s_barrier
	s_barrier
	s_and_saveexec_b64 s[14:15], s[2:3]
; %bb.503:
	v_xor_b32_e32 v31, 0x80000000, v29
	v_xor_b32_e32 v30, 0x80000000, v30
	ds_write_b64 v11, v[30:31] offset:12496
; %bb.504:
	s_or_b64 exec, exec, s[14:15]
	s_waitcnt lgkmcnt(0)
	s_barrier
	s_barrier
	s_and_saveexec_b64 s[14:15], s[36:37]
	s_cbranch_execz .LBB72_506
; %bb.505:
	v_lshlrev_b32_e32 v31, 3, v0
	s_movk_i32 s16, 0x1f8
	v_mad_u32_u24 v32, v0, s16, v31
	ds_read_b64 v[29:30], v32 offset:12496
	s_waitcnt lgkmcnt(0)
	ds_write_b64 v31, v[29:30] offset:13504
	ds_read_b64 v[29:30], v32 offset:12504
	s_waitcnt lgkmcnt(0)
	ds_write_b64 v31, v[29:30] offset:14016
.LBB72_506:
	s_or_b64 exec, exec, s[14:15]
	s_waitcnt lgkmcnt(0)
	s_barrier
	s_and_saveexec_b64 s[14:15], vcc
	s_cbranch_execz .LBB72_508
; %bb.507:
	v_mov_b32_e32 v33, 0
	ds_read_b128 v[29:32], v33 offset:13520
	ds_read_b64 v[33:34], v33 offset:14040
	s_movk_i32 s16, 0x3000
	s_waitcnt lgkmcnt(0)
	v_mul_f32_e32 v35, v34, v30
	v_mul_f32_e32 v36, v33, v30
	v_fma_f32 v33, v33, v29, -v35
	v_fmac_f32_e32 v36, v34, v29
	v_mul_f32_e32 v29, v36, v32
	v_mul_f32_e32 v30, v33, v32
	v_fma_f32 v29, v33, v31, -v29
	v_fmac_f32_e32 v30, v36, v31
	v_add_u32_e64 v31, s16, 0
	ds_write2_b64 v31, v[29:30], v[29:30] offset0:155 offset1:218
.LBB72_508:
	s_or_b64 exec, exec, s[14:15]
	v_mov_b32_e32 v29, 0
	v_mov_b32_e32 v30, 0
	s_waitcnt lgkmcnt(0)
	s_barrier
	s_and_saveexec_b64 s[16:17], s[18:19]
	s_cbranch_execz .LBB72_514
; %bb.509:
	v_mul_u32_u24_e32 v30, 0x208, v18
	ds_read_b64 v[31:32], v14 offset:12512
	ds_read_b64 v[33:34], v30 offset:12480
	v_cmp_gt_u32_e64 s[14:15], 12, v1
	s_waitcnt lgkmcnt(0)
	v_mul_f32_e32 v29, v34, v32
	v_mul_f32_e32 v32, v33, v32
	v_fma_f32 v29, v33, v31, -v29
	v_fmac_f32_e32 v32, v34, v31
	v_add_f32_e32 v29, 0, v29
	v_add_f32_e32 v31, 0, v32
	s_and_saveexec_b64 s[20:21], s[14:15]
	s_cbranch_execnz .LBB72_1146
; %bb.510:
	s_or_b64 exec, exec, s[20:21]
	v_cmp_gt_u32_e64 s[14:15], 8, v1
	s_and_saveexec_b64 s[20:21], s[14:15]
	s_cbranch_execnz .LBB72_1147
.LBB72_511:
	s_or_b64 exec, exec, s[20:21]
	v_cmp_gt_u32_e64 s[14:15], 4, v1
	s_and_saveexec_b64 s[20:21], s[14:15]
	s_cbranch_execz .LBB72_513
.LBB72_512:
	v_lshlrev_b32_e32 v30, 3, v0
	v_mov_b32_e32 v34, 0
	ds_read_b64 v[32:33], v30 offset:14048
	ds_read_b64 v[34:35], v34 offset:12504
	s_waitcnt lgkmcnt(0)
	v_mul_f32_e32 v30, v35, v33
	v_mul_f32_e32 v33, v34, v33
	v_fma_f32 v30, v34, v32, -v30
	v_fmac_f32_e32 v33, v35, v32
	v_add_f32_e32 v29, v29, v30
	v_add_f32_e32 v31, v31, v33
.LBB72_513:
	s_or_b64 exec, exec, s[20:21]
	v_xor_b32_e32 v30, 0x80000000, v29
	v_xor_b32_e32 v29, 0x80000000, v31
.LBB72_514:
	s_or_b64 exec, exec, s[16:17]
	s_and_saveexec_b64 s[14:15], s[40:41]
	s_cbranch_execz .LBB72_516
; %bb.515:
	v_mov_b32_e32 v31, 0
	ds_read_b64 v[31:32], v31 offset:14560
	s_waitcnt lgkmcnt(0)
	v_mul_f32_e32 v34, v29, v32
	v_mul_f32_e32 v33, v30, v32
	v_fma_f32 v32, v30, v31, -v34
	v_fmac_f32_e32 v33, v29, v31
	v_mov_b32_e32 v30, v32
	v_mov_b32_e32 v29, v33
	ds_write_b64 v16, v[32:33]
.LBB72_516:
	s_or_b64 exec, exec, s[14:15]
	s_waitcnt lgkmcnt(0)
	s_barrier
	s_and_saveexec_b64 s[14:15], s[42:43]
	s_cbranch_execz .LBB72_518
; %bb.517:
	ds_read_b64 v[31:32], v15 offset:14560
	ds_read_b64 v[33:34], v16
	s_waitcnt lgkmcnt(0)
	v_mul_f32_e32 v35, v34, v32
	v_mul_f32_e32 v32, v33, v32
	v_fma_f32 v33, v33, v31, -v35
	v_fmac_f32_e32 v32, v34, v31
	v_add_f32_e32 v30, v30, v33
	v_add_f32_e32 v29, v29, v32
.LBB72_518:
	s_or_b64 exec, exec, s[14:15]
	s_barrier
	s_and_saveexec_b64 s[14:15], s[44:45]
	s_cbranch_execz .LBB72_520
; %bb.519:
	v_mov_b32_e32 v31, 0
	ds_read_b64 v[31:32], v31 offset:15080
	s_waitcnt lgkmcnt(0)
	v_mul_f32_e32 v34, v29, v32
	v_mul_f32_e32 v33, v30, v32
	v_fma_f32 v32, v30, v31, -v34
	v_fmac_f32_e32 v33, v29, v31
	v_mov_b32_e32 v30, v32
	v_mov_b32_e32 v29, v33
	ds_write_b64 v16, v[32:33]
.LBB72_520:
	s_or_b64 exec, exec, s[14:15]
	s_waitcnt lgkmcnt(0)
	s_barrier
	s_and_saveexec_b64 s[14:15], s[46:47]
	s_cbranch_execz .LBB72_522
; %bb.521:
	ds_read_b64 v[31:32], v15 offset:15072
	ds_read_b64 v[33:34], v16
	s_waitcnt lgkmcnt(0)
	v_mul_f32_e32 v35, v34, v32
	v_mul_f32_e32 v32, v33, v32
	v_fma_f32 v33, v33, v31, -v35
	v_fmac_f32_e32 v32, v34, v31
	v_add_f32_e32 v30, v30, v33
	v_add_f32_e32 v29, v29, v32
.LBB72_522:
	s_or_b64 exec, exec, s[14:15]
	s_barrier
	s_and_saveexec_b64 s[14:15], s[48:49]
	s_cbranch_execz .LBB72_524
; %bb.523:
	v_mov_b32_e32 v31, 0
	ds_read_b64 v[31:32], v31 offset:15600
	s_waitcnt lgkmcnt(0)
	v_mul_f32_e32 v34, v29, v32
	v_mul_f32_e32 v33, v30, v32
	v_fma_f32 v32, v30, v31, -v34
	v_fmac_f32_e32 v33, v29, v31
	v_mov_b32_e32 v30, v32
	v_mov_b32_e32 v29, v33
	ds_write_b64 v16, v[32:33]
.LBB72_524:
	s_or_b64 exec, exec, s[14:15]
	s_waitcnt lgkmcnt(0)
	s_barrier
	s_and_saveexec_b64 s[14:15], s[38:39]
	s_cbranch_execz .LBB72_526
; %bb.525:
	v_mov_b32_e32 v31, 0
	ds_read_b64 v[31:32], v31 offset:15608
	ds_read_b64 v[33:34], v16
	s_waitcnt lgkmcnt(0)
	v_mul_f32_e32 v35, v34, v32
	v_mul_f32_e32 v32, v33, v32
	v_fma_f32 v33, v33, v31, -v35
	v_fmac_f32_e32 v32, v34, v31
	v_add_f32_e32 v30, v30, v33
	v_add_f32_e32 v29, v29, v32
.LBB72_526:
	s_or_b64 exec, exec, s[14:15]
	s_barrier
	s_and_saveexec_b64 s[14:15], s[38:39]
	s_cbranch_execz .LBB72_528
; %bb.527:
	v_mov_b32_e32 v31, 0
	ds_read_b64 v[31:32], v31 offset:16120
	s_waitcnt lgkmcnt(0)
	v_mul_f32_e32 v34, v29, v32
	v_mul_f32_e32 v33, v30, v32
	v_fma_f32 v32, v30, v31, -v34
	v_fmac_f32_e32 v33, v29, v31
	v_mov_b32_e32 v30, v32
	v_mov_b32_e32 v29, v33
	ds_write_b64 v16, v[32:33]
.LBB72_528:
	s_or_b64 exec, exec, s[14:15]
	s_waitcnt lgkmcnt(0)
	s_barrier
	s_barrier
	s_and_saveexec_b64 s[14:15], s[18:19]
; %bb.529:
	v_xor_b32_e32 v30, 0x80000000, v30
	v_xor_b32_e32 v31, 0x80000000, v29
	ds_write_b64 v14, v[30:31] offset:12512
; %bb.530:
	s_or_b64 exec, exec, s[14:15]
	s_waitcnt lgkmcnt(0)
	s_barrier
	s_barrier
	s_and_saveexec_b64 s[14:15], s[50:51]
	s_cbranch_execz .LBB72_532
; %bb.531:
	v_lshlrev_b32_e32 v31, 9, v0
	ds_read_b64 v[29:30], v31 offset:12512
	s_movk_i32 s16, 0xfe08
	v_mad_i32_i24 v32, v0, s16, v31
	s_waitcnt lgkmcnt(0)
	ds_write_b64 v32, v[29:30] offset:14528
	ds_read_b64 v[29:30], v31 offset:12520
	s_waitcnt lgkmcnt(0)
	ds_write_b64 v32, v[29:30] offset:15040
	ds_read_b64 v[29:30], v31 offset:12528
	;; [unrolled: 3-line block ×3, first 2 shown]
	s_waitcnt lgkmcnt(0)
	ds_write_b64 v32, v[29:30] offset:16064
.LBB72_532:
	s_or_b64 exec, exec, s[14:15]
	s_waitcnt lgkmcnt(0)
	s_barrier
	s_and_saveexec_b64 s[14:15], vcc
	s_cbranch_execz .LBB72_534
; %bb.533:
	v_mov_b32_e32 v33, 0
	ds_read_b128 v[29:32], v33 offset:14560
	ds_read_b64 v[33:34], v33 offset:15080
	s_movk_i32 s16, 0x3800
	s_waitcnt lgkmcnt(0)
	v_mul_f32_e32 v35, v34, v30
	v_mul_f32_e32 v36, v33, v30
	v_fma_f32 v33, v33, v29, -v35
	v_fmac_f32_e32 v36, v34, v29
	v_mul_f32_e32 v29, v36, v32
	v_mul_f32_e32 v30, v33, v32
	v_fma_f32 v29, v33, v31, -v29
	v_fmac_f32_e32 v30, v36, v31
	v_add_u32_e64 v31, s16, 0
	ds_write2_b64 v31, v[29:30], v[29:30] offset0:29 offset1:92
.LBB72_534:
	s_or_b64 exec, exec, s[14:15]
	v_mov_b32_e32 v29, 0
	v_mov_b32_e32 v30, 0
	s_waitcnt lgkmcnt(0)
	s_barrier
	s_and_saveexec_b64 s[16:17], s[2:3]
	s_cbranch_execz .LBB72_538
; %bb.535:
	v_mul_u32_u24_e32 v31, 0x208, v13
	ds_read_b64 v[29:30], v11 offset:14576
	ds_read_b64 v[31:32], v31 offset:14560
	v_cmp_gt_u32_e64 s[14:15], 2, v1
	s_waitcnt lgkmcnt(0)
	v_mul_f32_e32 v33, v32, v30
	v_mul_f32_e32 v30, v31, v30
	v_fma_f32 v31, v31, v29, -v33
	v_fmac_f32_e32 v30, v32, v29
	v_add_f32_e32 v29, 0, v31
	v_add_f32_e32 v31, 0, v30
	s_and_saveexec_b64 s[20:21], s[14:15]
	s_cbranch_execz .LBB72_537
; %bb.536:
	v_lshlrev_b32_e32 v30, 3, v0
	v_mov_b32_e32 v34, 0
	ds_read_b64 v[32:33], v30 offset:15088
	ds_read_b64 v[34:35], v34 offset:14568
	s_waitcnt lgkmcnt(0)
	v_mul_f32_e32 v30, v35, v33
	v_mul_f32_e32 v33, v34, v33
	v_fma_f32 v30, v34, v32, -v30
	v_fmac_f32_e32 v33, v35, v32
	v_add_f32_e32 v29, v29, v30
	v_add_f32_e32 v31, v31, v33
.LBB72_537:
	s_or_b64 exec, exec, s[20:21]
	v_xor_b32_e32 v30, 0x80000000, v29
	v_xor_b32_e32 v29, 0x80000000, v31
.LBB72_538:
	s_or_b64 exec, exec, s[16:17]
	s_and_saveexec_b64 s[14:15], s[34:35]
	s_cbranch_execz .LBB72_540
; %bb.539:
	v_mov_b32_e32 v31, 0
	ds_read_b64 v[31:32], v31 offset:15600
	s_waitcnt lgkmcnt(0)
	v_mul_f32_e32 v34, v29, v32
	v_mul_f32_e32 v33, v30, v32
	v_fma_f32 v32, v30, v31, -v34
	v_fmac_f32_e32 v33, v29, v31
	v_mov_b32_e32 v30, v32
	v_mov_b32_e32 v29, v33
	ds_write_b64 v12, v[32:33]
.LBB72_540:
	s_or_b64 exec, exec, s[14:15]
	s_waitcnt lgkmcnt(0)
	s_barrier
	s_and_saveexec_b64 s[14:15], s[26:27]
	s_cbranch_execz .LBB72_542
; %bb.541:
	v_mov_b32_e32 v31, 0
	ds_read_b64 v[31:32], v31 offset:15608
	ds_read_b64 v[33:34], v12
	s_waitcnt lgkmcnt(0)
	v_mul_f32_e32 v35, v34, v32
	v_mul_f32_e32 v32, v33, v32
	v_fma_f32 v33, v33, v31, -v35
	v_fmac_f32_e32 v32, v34, v31
	v_add_f32_e32 v30, v30, v33
	v_add_f32_e32 v29, v29, v32
.LBB72_542:
	s_or_b64 exec, exec, s[14:15]
	s_barrier
	s_and_saveexec_b64 s[14:15], s[26:27]
	s_cbranch_execz .LBB72_544
; %bb.543:
	v_mov_b32_e32 v31, 0
	ds_read_b64 v[31:32], v31 offset:16120
	s_waitcnt lgkmcnt(0)
	v_mul_f32_e32 v34, v29, v32
	v_mul_f32_e32 v33, v30, v32
	v_fma_f32 v32, v30, v31, -v34
	v_fmac_f32_e32 v33, v29, v31
	v_mov_b32_e32 v30, v32
	v_mov_b32_e32 v29, v33
	ds_write_b64 v12, v[32:33]
.LBB72_544:
	s_or_b64 exec, exec, s[14:15]
	s_waitcnt lgkmcnt(0)
	s_barrier
	s_barrier
	s_and_saveexec_b64 s[14:15], s[2:3]
; %bb.545:
	v_xor_b32_e32 v31, 0x80000000, v29
	v_xor_b32_e32 v30, 0x80000000, v30
	ds_write_b64 v11, v[30:31] offset:14576
; %bb.546:
	s_or_b64 exec, exec, s[14:15]
	s_waitcnt lgkmcnt(0)
	s_barrier
	s_barrier
	s_and_saveexec_b64 s[14:15], s[36:37]
	s_cbranch_execz .LBB72_548
; %bb.547:
	v_lshlrev_b32_e32 v31, 3, v0
	s_movk_i32 s16, 0x1f8
	v_mad_u32_u24 v32, v0, s16, v31
	ds_read_b64 v[29:30], v32 offset:14576
	s_waitcnt lgkmcnt(0)
	ds_write_b64 v31, v[29:30] offset:15584
	ds_read_b64 v[29:30], v32 offset:14584
	s_waitcnt lgkmcnt(0)
	ds_write_b64 v31, v[29:30] offset:16096
.LBB72_548:
	s_or_b64 exec, exec, s[14:15]
	s_waitcnt lgkmcnt(0)
	s_barrier
	s_and_saveexec_b64 s[14:15], vcc
	s_cbranch_execz .LBB72_550
; %bb.549:
	v_mov_b32_e32 v33, 0
	ds_read_b128 v[29:32], v33 offset:15600
	ds_read_b64 v[33:34], v33 offset:16120
	s_movk_i32 s16, 0x3800
	s_waitcnt lgkmcnt(0)
	v_mul_f32_e32 v35, v34, v30
	v_mul_f32_e32 v36, v33, v30
	v_fma_f32 v33, v33, v29, -v35
	v_fmac_f32_e32 v36, v34, v29
	v_mul_f32_e32 v29, v36, v32
	v_mul_f32_e32 v30, v33, v32
	v_fma_f32 v29, v33, v31, -v29
	v_fmac_f32_e32 v30, v36, v31
	v_add_u32_e64 v31, s16, 0
	ds_write2_b64 v31, v[29:30], v[29:30] offset0:159 offset1:222
.LBB72_550:
	s_or_b64 exec, exec, s[14:15]
	s_movk_i32 s14, 0x3ff
	v_lshrrev_b32_e32 v31, 5, v1
	v_cmp_lt_u32_e64 s[16:17], s14, v1
	s_movk_i32 s14, 0x400
	v_and_b32_e32 v29, 31, v0
	v_cmp_gt_u32_e64 s[14:15], s14, v1
	v_lshlrev_b32_e32 v30, 9, v31
	v_mov_b32_e32 v32, 0
	v_mov_b32_e32 v34, 0
	s_waitcnt lgkmcnt(0)
	s_barrier
	s_and_saveexec_b64 s[82:83], s[14:15]
	s_cbranch_execz .LBB72_612
; %bb.551:
	v_lshlrev_b32_e32 v34, 3, v29
	v_add_u32_e32 v36, v34, v30
	v_mul_u32_u24_e32 v35, 0x208, v31
	ds_read_b64 v[32:33], v36 offset:256
	ds_read_b64 v[37:38], v35
	s_movk_i32 s20, 0x3e0
	v_cmp_gt_u32_e64 s[20:21], s20, v1
	s_waitcnt lgkmcnt(0)
	v_mul_f32_e32 v39, v38, v33
	v_mul_f32_e32 v33, v37, v33
	v_fma_f32 v37, v37, v32, -v39
	v_fmac_f32_e32 v33, v38, v32
	v_add_f32_e32 v32, 0, v37
	v_add_f32_e32 v33, 0, v33
	s_and_saveexec_b64 s[84:85], s[20:21]
	s_cbranch_execz .LBB72_553
; %bb.552:
	ds_read_b64 v[37:38], v36 offset:768
	ds_read_b64 v[39:40], v35 offset:8
	s_waitcnt lgkmcnt(0)
	v_mul_f32_e32 v41, v40, v38
	v_mul_f32_e32 v38, v39, v38
	v_fma_f32 v39, v39, v37, -v41
	v_fmac_f32_e32 v38, v40, v37
	v_add_f32_e32 v32, v32, v39
	v_add_f32_e32 v33, v33, v38
.LBB72_553:
	s_or_b64 exec, exec, s[84:85]
	s_movk_i32 s20, 0x3c0
	v_cmp_gt_u32_e64 s[20:21], s20, v1
	s_and_saveexec_b64 s[84:85], s[20:21]
	s_cbranch_execz .LBB72_555
; %bb.554:
	ds_read_b64 v[37:38], v36 offset:1280
	ds_read_b64 v[39:40], v35 offset:16
	s_waitcnt lgkmcnt(0)
	v_mul_f32_e32 v41, v40, v38
	v_mul_f32_e32 v38, v39, v38
	v_fma_f32 v39, v39, v37, -v41
	v_fmac_f32_e32 v38, v40, v37
	v_add_f32_e32 v32, v32, v39
	v_add_f32_e32 v33, v33, v38
.LBB72_555:
	s_or_b64 exec, exec, s[84:85]
	s_movk_i32 s20, 0x3a0
	v_cmp_gt_u32_e64 s[20:21], s20, v1
	;; [unrolled: 16-line block ×28, first 2 shown]
	s_and_saveexec_b64 s[84:85], s[20:21]
	s_cbranch_execnz .LBB72_1148
; %bb.608:
	s_or_b64 exec, exec, s[84:85]
	v_cmp_gt_u32_e64 s[20:21], 64, v1
	s_and_saveexec_b64 s[84:85], s[20:21]
	s_cbranch_execnz .LBB72_1149
.LBB72_609:
	s_or_b64 exec, exec, s[84:85]
	v_cmp_gt_u32_e64 s[20:21], 32, v1
	s_and_saveexec_b64 s[84:85], s[20:21]
	s_cbranch_execz .LBB72_611
.LBB72_610:
	ds_read_b64 v[36:37], v34 offset:16128
	ds_read_b64 v[34:35], v35 offset:248
	s_waitcnt lgkmcnt(0)
	v_mul_f32_e32 v38, v35, v37
	v_mul_f32_e32 v37, v34, v37
	v_fma_f32 v34, v34, v36, -v38
	v_fmac_f32_e32 v37, v35, v36
	v_add_f32_e32 v32, v32, v34
	v_add_f32_e32 v33, v33, v37
.LBB72_611:
	s_or_b64 exec, exec, s[84:85]
	v_xor_b32_e32 v34, 0x80000000, v32
	v_xor_b32_e32 v32, 0x80000000, v33
.LBB72_612:
	s_or_b64 exec, exec, s[82:83]
	v_mov_b32_e32 v33, 0x8000
	v_lshl_or_b32 v31, v31, 3, v33
	v_mul_u32_u24_e32 v33, 0x208, v29
	v_lshlrev_b32_e32 v35, 9, v29
	v_sub_u32_e32 v35, v33, v35
	v_add_u32_e32 v35, 0x4100, v35
	s_mov_b32 s82, 0
	s_xor_b64 s[20:21], s[16:17], -1
	v_mov_b32_e32 v36, v29
	s_branch .LBB72_614
.LBB72_613:                             ;   in Loop: Header=BB72_614 Depth=1
	s_or_b64 exec, exec, s[16:17]
	s_add_i32 s82, s82, 2
	v_add_u32_e32 v35, 0x400, v35
	s_cmp_eq_u32 s82, 32
	v_add_u32_e32 v36, -2, v36
	s_barrier
	s_cbranch_scc1 .LBB72_622
.LBB72_614:                             ; =>This Inner Loop Header: Depth=1
	v_cmp_eq_u32_e64 s[16:17], 0, v36
	s_and_b64 s[84:85], s[20:21], s[16:17]
	s_and_saveexec_b64 s[16:17], s[84:85]
	s_cbranch_execz .LBB72_616
; %bb.615:                              ;   in Loop: Header=BB72_614 Depth=1
	ds_read_b64 v[37:38], v33 offset:16640
	s_waitcnt lgkmcnt(0)
	v_mul_f32_e32 v40, v32, v38
	v_mul_f32_e32 v39, v34, v38
	v_fma_f32 v38, v34, v37, -v40
	v_fmac_f32_e32 v39, v32, v37
	v_mov_b32_e32 v34, v38
	v_mov_b32_e32 v32, v39
	ds_write_b64 v31, v[38:39]
.LBB72_616:                             ;   in Loop: Header=BB72_614 Depth=1
	s_or_b64 exec, exec, s[16:17]
	v_cmp_lt_u32_e64 s[16:17], s82, v29
	s_and_b64 s[84:85], s[20:21], s[16:17]
	s_waitcnt lgkmcnt(0)
	s_barrier
	s_and_saveexec_b64 s[16:17], s[84:85]
	s_cbranch_execz .LBB72_618
; %bb.617:                              ;   in Loop: Header=BB72_614 Depth=1
	ds_read_b64 v[37:38], v35
	ds_read_b64 v[39:40], v31
	s_waitcnt lgkmcnt(0)
	v_mul_f32_e32 v41, v40, v38
	v_mul_f32_e32 v38, v39, v38
	v_fma_f32 v39, v39, v37, -v41
	v_fmac_f32_e32 v38, v40, v37
	v_add_f32_e32 v34, v34, v39
	v_add_f32_e32 v32, v32, v38
.LBB72_618:                             ;   in Loop: Header=BB72_614 Depth=1
	s_or_b64 exec, exec, s[16:17]
	s_or_b32 s83, s82, 1
	v_cmp_eq_u32_e64 s[16:17], s83, v29
	s_and_b64 s[84:85], s[20:21], s[16:17]
	s_barrier
	s_and_saveexec_b64 s[16:17], s[84:85]
	s_cbranch_execz .LBB72_620
; %bb.619:                              ;   in Loop: Header=BB72_614 Depth=1
	ds_read_b64 v[37:38], v33 offset:16640
	s_waitcnt lgkmcnt(0)
	v_mul_f32_e32 v40, v32, v38
	v_mul_f32_e32 v39, v34, v38
	v_fma_f32 v38, v34, v37, -v40
	v_fmac_f32_e32 v39, v32, v37
	v_mov_b32_e32 v34, v38
	v_mov_b32_e32 v32, v39
	ds_write_b64 v31, v[38:39]
.LBB72_620:                             ;   in Loop: Header=BB72_614 Depth=1
	s_or_b64 exec, exec, s[16:17]
	v_cmp_lt_u32_e64 s[16:17], s83, v29
	s_and_b64 s[84:85], s[20:21], s[16:17]
	s_waitcnt lgkmcnt(0)
	s_barrier
	s_and_saveexec_b64 s[16:17], s[84:85]
	s_cbranch_execz .LBB72_613
; %bb.621:                              ;   in Loop: Header=BB72_614 Depth=1
	ds_read_b64 v[37:38], v35 offset:512
	ds_read_b64 v[39:40], v31
	s_waitcnt lgkmcnt(0)
	v_mul_f32_e32 v41, v40, v38
	v_mul_f32_e32 v38, v39, v38
	v_fma_f32 v39, v39, v37, -v41
	v_fmac_f32_e32 v38, v40, v37
	v_add_f32_e32 v34, v34, v39
	v_add_f32_e32 v32, v32, v38
	s_branch .LBB72_613
.LBB72_622:
	s_and_saveexec_b64 s[16:17], s[14:15]
; %bb.623:
	v_lshl_add_u32 v31, v29, 3, v30
	v_xor_b32_e32 v30, 0x80000000, v32
	v_xor_b32_e32 v29, 0x80000000, v34
	ds_write_b64 v31, v[29:30] offset:256
; %bb.624:
	s_or_b64 exec, exec, s[16:17]
	v_cmp_gt_u32_e64 s[14:15], 32, v0
	s_and_b64 s[14:15], s[12:13], s[14:15]
	s_waitcnt lgkmcnt(0)
	s_barrier
	s_barrier
	s_and_saveexec_b64 s[12:13], s[14:15]
	s_cbranch_execz .LBB72_626
; %bb.625:
	v_lshlrev_b32_e32 v31, 9, v0
	ds_read_b64 v[29:30], v31 offset:256
	s_movk_i32 s14, 0xfe08
	v_mad_i32_i24 v32, v0, s14, v31
	s_waitcnt lgkmcnt(0)
	ds_write_b64 v32, v[29:30] offset:16384
	ds_read_b64 v[29:30], v31 offset:264
	s_waitcnt lgkmcnt(0)
	ds_write_b64 v32, v[29:30] offset:16896
	ds_read_b64 v[29:30], v31 offset:272
	;; [unrolled: 3-line block ×31, first 2 shown]
	s_waitcnt lgkmcnt(0)
	ds_write_b64 v32, v[29:30] offset:32256
.LBB72_626:
	s_or_b64 exec, exec, s[12:13]
	s_waitcnt lgkmcnt(0)
	s_barrier
	s_and_saveexec_b64 s[12:13], vcc
	s_cbranch_execz .LBB72_628
; %bb.627:
	v_mov_b32_e32 v33, 0
	ds_read_b128 v[29:32], v33 offset:16640
	ds_read_b64 v[33:34], v33 offset:17160
	s_movk_i32 s14, 0x4000
	s_waitcnt lgkmcnt(0)
	v_mul_f32_e32 v35, v34, v30
	v_mul_f32_e32 v36, v33, v30
	v_fma_f32 v33, v33, v29, -v35
	v_fmac_f32_e32 v36, v34, v29
	v_mul_f32_e32 v29, v36, v32
	v_mul_f32_e32 v30, v33, v32
	v_fma_f32 v29, v33, v31, -v29
	v_fmac_f32_e32 v30, v36, v31
	v_add_u32_e64 v31, s14, 0
	ds_write2_b64 v31, v[29:30], v[29:30] offset0:33 offset1:96
.LBB72_628:
	s_or_b64 exec, exec, s[12:13]
	v_mov_b32_e32 v29, 0
	v_mov_b32_e32 v30, 0
	s_waitcnt lgkmcnt(0)
	s_barrier
	s_and_saveexec_b64 s[14:15], s[2:3]
	s_cbranch_execz .LBB72_632
; %bb.629:
	v_mul_u32_u24_e32 v31, 0x208, v13
	ds_read_b64 v[29:30], v11 offset:16656
	ds_read_b64 v[31:32], v31 offset:16640
	v_cmp_gt_u32_e64 s[12:13], 2, v1
	s_waitcnt lgkmcnt(0)
	v_mul_f32_e32 v33, v32, v30
	v_mul_f32_e32 v30, v31, v30
	v_fma_f32 v31, v31, v29, -v33
	v_fmac_f32_e32 v30, v32, v29
	v_add_f32_e32 v29, 0, v31
	v_add_f32_e32 v31, 0, v30
	s_and_saveexec_b64 s[16:17], s[12:13]
	s_cbranch_execz .LBB72_631
; %bb.630:
	v_lshlrev_b32_e32 v30, 3, v0
	v_mov_b32_e32 v34, 0
	ds_read_b64 v[32:33], v30 offset:17168
	ds_read_b64 v[34:35], v34 offset:16648
	s_waitcnt lgkmcnt(0)
	v_mul_f32_e32 v30, v35, v33
	v_mul_f32_e32 v33, v34, v33
	v_fma_f32 v30, v34, v32, -v30
	v_fmac_f32_e32 v33, v35, v32
	v_add_f32_e32 v29, v29, v30
	v_add_f32_e32 v31, v31, v33
.LBB72_631:
	s_or_b64 exec, exec, s[16:17]
	v_xor_b32_e32 v30, 0x80000000, v29
	v_xor_b32_e32 v29, 0x80000000, v31
.LBB72_632:
	s_or_b64 exec, exec, s[14:15]
	s_and_saveexec_b64 s[12:13], s[34:35]
	s_cbranch_execz .LBB72_634
; %bb.633:
	v_mov_b32_e32 v31, 0
	ds_read_b64 v[31:32], v31 offset:17680
	s_waitcnt lgkmcnt(0)
	v_mul_f32_e32 v34, v29, v32
	v_mul_f32_e32 v33, v30, v32
	v_fma_f32 v32, v30, v31, -v34
	v_fmac_f32_e32 v33, v29, v31
	v_mov_b32_e32 v30, v32
	v_mov_b32_e32 v29, v33
	ds_write_b64 v12, v[32:33]
.LBB72_634:
	s_or_b64 exec, exec, s[12:13]
	s_waitcnt lgkmcnt(0)
	s_barrier
	s_and_saveexec_b64 s[12:13], s[26:27]
	s_cbranch_execz .LBB72_636
; %bb.635:
	v_mov_b32_e32 v31, 0
	ds_read_b64 v[31:32], v31 offset:17688
	ds_read_b64 v[33:34], v12
	s_waitcnt lgkmcnt(0)
	v_mul_f32_e32 v35, v34, v32
	v_mul_f32_e32 v32, v33, v32
	v_fma_f32 v33, v33, v31, -v35
	v_fmac_f32_e32 v32, v34, v31
	v_add_f32_e32 v30, v30, v33
	v_add_f32_e32 v29, v29, v32
.LBB72_636:
	s_or_b64 exec, exec, s[12:13]
	s_barrier
	s_and_saveexec_b64 s[12:13], s[26:27]
	s_cbranch_execz .LBB72_638
; %bb.637:
	v_mov_b32_e32 v31, 0
	ds_read_b64 v[31:32], v31 offset:18200
	s_waitcnt lgkmcnt(0)
	v_mul_f32_e32 v34, v29, v32
	v_mul_f32_e32 v33, v30, v32
	v_fma_f32 v32, v30, v31, -v34
	v_fmac_f32_e32 v33, v29, v31
	v_mov_b32_e32 v30, v32
	v_mov_b32_e32 v29, v33
	ds_write_b64 v12, v[32:33]
.LBB72_638:
	s_or_b64 exec, exec, s[12:13]
	s_waitcnt lgkmcnt(0)
	s_barrier
	s_barrier
	s_and_saveexec_b64 s[12:13], s[2:3]
; %bb.639:
	v_xor_b32_e32 v31, 0x80000000, v29
	v_xor_b32_e32 v30, 0x80000000, v30
	ds_write_b64 v11, v[30:31] offset:16656
; %bb.640:
	s_or_b64 exec, exec, s[12:13]
	s_waitcnt lgkmcnt(0)
	s_barrier
	s_barrier
	s_and_saveexec_b64 s[12:13], s[36:37]
	s_cbranch_execz .LBB72_642
; %bb.641:
	v_lshlrev_b32_e32 v31, 3, v0
	s_movk_i32 s14, 0x1f8
	v_mad_u32_u24 v32, v0, s14, v31
	ds_read_b64 v[29:30], v32 offset:16656
	s_waitcnt lgkmcnt(0)
	ds_write_b64 v31, v[29:30] offset:17664
	ds_read_b64 v[29:30], v32 offset:16664
	s_waitcnt lgkmcnt(0)
	ds_write_b64 v31, v[29:30] offset:18176
.LBB72_642:
	s_or_b64 exec, exec, s[12:13]
	s_waitcnt lgkmcnt(0)
	s_barrier
	s_and_saveexec_b64 s[12:13], vcc
	s_cbranch_execz .LBB72_644
; %bb.643:
	v_mov_b32_e32 v33, 0
	ds_read_b128 v[29:32], v33 offset:17680
	ds_read_b64 v[33:34], v33 offset:18200
	s_movk_i32 s14, 0x4000
	s_waitcnt lgkmcnt(0)
	v_mul_f32_e32 v35, v34, v30
	v_mul_f32_e32 v36, v33, v30
	v_fma_f32 v33, v33, v29, -v35
	v_fmac_f32_e32 v36, v34, v29
	v_mul_f32_e32 v29, v36, v32
	v_mul_f32_e32 v30, v33, v32
	v_fma_f32 v29, v33, v31, -v29
	v_fmac_f32_e32 v30, v36, v31
	v_add_u32_e64 v31, s14, 0
	ds_write2_b64 v31, v[29:30], v[29:30] offset0:163 offset1:226
.LBB72_644:
	s_or_b64 exec, exec, s[12:13]
	v_mov_b32_e32 v29, 0
	v_mov_b32_e32 v30, 0
	s_waitcnt lgkmcnt(0)
	s_barrier
	s_and_saveexec_b64 s[14:15], s[18:19]
	s_cbranch_execz .LBB72_650
; %bb.645:
	v_mul_u32_u24_e32 v30, 0x208, v18
	ds_read_b64 v[31:32], v14 offset:16672
	ds_read_b64 v[33:34], v30 offset:16640
	v_cmp_gt_u32_e64 s[12:13], 12, v1
	s_waitcnt lgkmcnt(0)
	v_mul_f32_e32 v29, v34, v32
	v_mul_f32_e32 v32, v33, v32
	v_fma_f32 v29, v33, v31, -v29
	v_fmac_f32_e32 v32, v34, v31
	v_add_f32_e32 v29, 0, v29
	v_add_f32_e32 v31, 0, v32
	s_and_saveexec_b64 s[16:17], s[12:13]
	s_cbranch_execnz .LBB72_1150
; %bb.646:
	s_or_b64 exec, exec, s[16:17]
	v_cmp_gt_u32_e64 s[12:13], 8, v1
	s_and_saveexec_b64 s[16:17], s[12:13]
	s_cbranch_execnz .LBB72_1151
.LBB72_647:
	s_or_b64 exec, exec, s[16:17]
	v_cmp_gt_u32_e64 s[12:13], 4, v1
	s_and_saveexec_b64 s[16:17], s[12:13]
	s_cbranch_execz .LBB72_649
.LBB72_648:
	v_lshlrev_b32_e32 v30, 3, v0
	v_mov_b32_e32 v34, 0
	ds_read_b64 v[32:33], v30 offset:18208
	ds_read_b64 v[34:35], v34 offset:16664
	s_waitcnt lgkmcnt(0)
	v_mul_f32_e32 v30, v35, v33
	v_mul_f32_e32 v33, v34, v33
	v_fma_f32 v30, v34, v32, -v30
	v_fmac_f32_e32 v33, v35, v32
	v_add_f32_e32 v29, v29, v30
	v_add_f32_e32 v31, v31, v33
.LBB72_649:
	s_or_b64 exec, exec, s[16:17]
	v_xor_b32_e32 v30, 0x80000000, v29
	v_xor_b32_e32 v29, 0x80000000, v31
.LBB72_650:
	s_or_b64 exec, exec, s[14:15]
	s_and_saveexec_b64 s[12:13], s[40:41]
	s_cbranch_execz .LBB72_652
; %bb.651:
	v_mov_b32_e32 v31, 0
	ds_read_b64 v[31:32], v31 offset:18720
	s_waitcnt lgkmcnt(0)
	v_mul_f32_e32 v34, v29, v32
	v_mul_f32_e32 v33, v30, v32
	v_fma_f32 v32, v30, v31, -v34
	v_fmac_f32_e32 v33, v29, v31
	v_mov_b32_e32 v30, v32
	v_mov_b32_e32 v29, v33
	ds_write_b64 v16, v[32:33]
.LBB72_652:
	s_or_b64 exec, exec, s[12:13]
	s_waitcnt lgkmcnt(0)
	s_barrier
	s_and_saveexec_b64 s[12:13], s[42:43]
	s_cbranch_execz .LBB72_654
; %bb.653:
	ds_read_b64 v[31:32], v15 offset:18720
	ds_read_b64 v[33:34], v16
	s_waitcnt lgkmcnt(0)
	v_mul_f32_e32 v35, v34, v32
	v_mul_f32_e32 v32, v33, v32
	v_fma_f32 v33, v33, v31, -v35
	v_fmac_f32_e32 v32, v34, v31
	v_add_f32_e32 v30, v30, v33
	v_add_f32_e32 v29, v29, v32
.LBB72_654:
	s_or_b64 exec, exec, s[12:13]
	s_barrier
	s_and_saveexec_b64 s[12:13], s[44:45]
	s_cbranch_execz .LBB72_656
; %bb.655:
	v_mov_b32_e32 v31, 0
	ds_read_b64 v[31:32], v31 offset:19240
	s_waitcnt lgkmcnt(0)
	v_mul_f32_e32 v34, v29, v32
	v_mul_f32_e32 v33, v30, v32
	v_fma_f32 v32, v30, v31, -v34
	v_fmac_f32_e32 v33, v29, v31
	v_mov_b32_e32 v30, v32
	v_mov_b32_e32 v29, v33
	ds_write_b64 v16, v[32:33]
.LBB72_656:
	s_or_b64 exec, exec, s[12:13]
	s_waitcnt lgkmcnt(0)
	s_barrier
	s_and_saveexec_b64 s[12:13], s[46:47]
	s_cbranch_execz .LBB72_658
; %bb.657:
	ds_read_b64 v[31:32], v15 offset:19232
	ds_read_b64 v[33:34], v16
	s_waitcnt lgkmcnt(0)
	v_mul_f32_e32 v35, v34, v32
	v_mul_f32_e32 v32, v33, v32
	v_fma_f32 v33, v33, v31, -v35
	v_fmac_f32_e32 v32, v34, v31
	v_add_f32_e32 v30, v30, v33
	v_add_f32_e32 v29, v29, v32
.LBB72_658:
	s_or_b64 exec, exec, s[12:13]
	s_barrier
	s_and_saveexec_b64 s[12:13], s[48:49]
	s_cbranch_execz .LBB72_660
; %bb.659:
	v_mov_b32_e32 v31, 0
	ds_read_b64 v[31:32], v31 offset:19760
	s_waitcnt lgkmcnt(0)
	v_mul_f32_e32 v34, v29, v32
	v_mul_f32_e32 v33, v30, v32
	v_fma_f32 v32, v30, v31, -v34
	v_fmac_f32_e32 v33, v29, v31
	v_mov_b32_e32 v30, v32
	v_mov_b32_e32 v29, v33
	ds_write_b64 v16, v[32:33]
.LBB72_660:
	s_or_b64 exec, exec, s[12:13]
	s_waitcnt lgkmcnt(0)
	s_barrier
	s_and_saveexec_b64 s[12:13], s[38:39]
	s_cbranch_execz .LBB72_662
; %bb.661:
	v_mov_b32_e32 v31, 0
	ds_read_b64 v[31:32], v31 offset:19768
	ds_read_b64 v[33:34], v16
	s_waitcnt lgkmcnt(0)
	v_mul_f32_e32 v35, v34, v32
	v_mul_f32_e32 v32, v33, v32
	v_fma_f32 v33, v33, v31, -v35
	v_fmac_f32_e32 v32, v34, v31
	v_add_f32_e32 v30, v30, v33
	v_add_f32_e32 v29, v29, v32
.LBB72_662:
	s_or_b64 exec, exec, s[12:13]
	s_barrier
	s_and_saveexec_b64 s[12:13], s[38:39]
	s_cbranch_execz .LBB72_664
; %bb.663:
	v_mov_b32_e32 v31, 0
	ds_read_b64 v[31:32], v31 offset:20280
	s_waitcnt lgkmcnt(0)
	v_mul_f32_e32 v34, v29, v32
	v_mul_f32_e32 v33, v30, v32
	v_fma_f32 v32, v30, v31, -v34
	v_fmac_f32_e32 v33, v29, v31
	v_mov_b32_e32 v30, v32
	v_mov_b32_e32 v29, v33
	ds_write_b64 v16, v[32:33]
.LBB72_664:
	s_or_b64 exec, exec, s[12:13]
	s_waitcnt lgkmcnt(0)
	s_barrier
	s_barrier
	s_and_saveexec_b64 s[12:13], s[18:19]
; %bb.665:
	v_xor_b32_e32 v30, 0x80000000, v30
	v_xor_b32_e32 v31, 0x80000000, v29
	ds_write_b64 v14, v[30:31] offset:16672
; %bb.666:
	s_or_b64 exec, exec, s[12:13]
	s_waitcnt lgkmcnt(0)
	s_barrier
	s_barrier
	s_and_saveexec_b64 s[12:13], s[50:51]
	s_cbranch_execz .LBB72_668
; %bb.667:
	v_lshlrev_b32_e32 v31, 9, v0
	ds_read_b64 v[29:30], v31 offset:16672
	s_movk_i32 s14, 0xfe08
	v_mad_i32_i24 v32, v0, s14, v31
	s_waitcnt lgkmcnt(0)
	ds_write_b64 v32, v[29:30] offset:18688
	ds_read_b64 v[29:30], v31 offset:16680
	s_waitcnt lgkmcnt(0)
	ds_write_b64 v32, v[29:30] offset:19200
	ds_read_b64 v[29:30], v31 offset:16688
	;; [unrolled: 3-line block ×3, first 2 shown]
	s_waitcnt lgkmcnt(0)
	ds_write_b64 v32, v[29:30] offset:20224
.LBB72_668:
	s_or_b64 exec, exec, s[12:13]
	s_waitcnt lgkmcnt(0)
	s_barrier
	s_and_saveexec_b64 s[12:13], vcc
	s_cbranch_execz .LBB72_670
; %bb.669:
	v_mov_b32_e32 v33, 0
	ds_read_b128 v[29:32], v33 offset:18720
	ds_read_b64 v[33:34], v33 offset:19240
	s_movk_i32 s14, 0x4800
	s_waitcnt lgkmcnt(0)
	v_mul_f32_e32 v35, v34, v30
	v_mul_f32_e32 v36, v33, v30
	v_fma_f32 v33, v33, v29, -v35
	v_fmac_f32_e32 v36, v34, v29
	v_mul_f32_e32 v29, v36, v32
	v_mul_f32_e32 v30, v33, v32
	v_fma_f32 v29, v33, v31, -v29
	v_fmac_f32_e32 v30, v36, v31
	v_add_u32_e64 v31, s14, 0
	ds_write2_b64 v31, v[29:30], v[29:30] offset0:37 offset1:100
.LBB72_670:
	s_or_b64 exec, exec, s[12:13]
	v_mov_b32_e32 v29, 0
	v_mov_b32_e32 v30, 0
	s_waitcnt lgkmcnt(0)
	s_barrier
	s_and_saveexec_b64 s[14:15], s[2:3]
	s_cbranch_execz .LBB72_674
; %bb.671:
	v_mul_u32_u24_e32 v31, 0x208, v13
	ds_read_b64 v[29:30], v11 offset:18736
	ds_read_b64 v[31:32], v31 offset:18720
	v_cmp_gt_u32_e64 s[12:13], 2, v1
	s_waitcnt lgkmcnt(0)
	v_mul_f32_e32 v33, v32, v30
	v_mul_f32_e32 v30, v31, v30
	v_fma_f32 v31, v31, v29, -v33
	v_fmac_f32_e32 v30, v32, v29
	v_add_f32_e32 v29, 0, v31
	v_add_f32_e32 v31, 0, v30
	s_and_saveexec_b64 s[16:17], s[12:13]
	s_cbranch_execz .LBB72_673
; %bb.672:
	v_lshlrev_b32_e32 v30, 3, v0
	v_mov_b32_e32 v34, 0
	ds_read_b64 v[32:33], v30 offset:19248
	ds_read_b64 v[34:35], v34 offset:18728
	s_waitcnt lgkmcnt(0)
	v_mul_f32_e32 v30, v35, v33
	v_mul_f32_e32 v33, v34, v33
	v_fma_f32 v30, v34, v32, -v30
	v_fmac_f32_e32 v33, v35, v32
	v_add_f32_e32 v29, v29, v30
	v_add_f32_e32 v31, v31, v33
.LBB72_673:
	s_or_b64 exec, exec, s[16:17]
	v_xor_b32_e32 v30, 0x80000000, v29
	v_xor_b32_e32 v29, 0x80000000, v31
.LBB72_674:
	s_or_b64 exec, exec, s[14:15]
	s_and_saveexec_b64 s[12:13], s[34:35]
	s_cbranch_execz .LBB72_676
; %bb.675:
	v_mov_b32_e32 v31, 0
	ds_read_b64 v[31:32], v31 offset:19760
	s_waitcnt lgkmcnt(0)
	v_mul_f32_e32 v34, v29, v32
	v_mul_f32_e32 v33, v30, v32
	v_fma_f32 v32, v30, v31, -v34
	v_fmac_f32_e32 v33, v29, v31
	v_mov_b32_e32 v30, v32
	v_mov_b32_e32 v29, v33
	ds_write_b64 v12, v[32:33]
.LBB72_676:
	s_or_b64 exec, exec, s[12:13]
	s_waitcnt lgkmcnt(0)
	s_barrier
	s_and_saveexec_b64 s[12:13], s[26:27]
	s_cbranch_execz .LBB72_678
; %bb.677:
	v_mov_b32_e32 v31, 0
	ds_read_b64 v[31:32], v31 offset:19768
	ds_read_b64 v[33:34], v12
	s_waitcnt lgkmcnt(0)
	v_mul_f32_e32 v35, v34, v32
	v_mul_f32_e32 v32, v33, v32
	v_fma_f32 v33, v33, v31, -v35
	v_fmac_f32_e32 v32, v34, v31
	v_add_f32_e32 v30, v30, v33
	v_add_f32_e32 v29, v29, v32
.LBB72_678:
	s_or_b64 exec, exec, s[12:13]
	s_barrier
	s_and_saveexec_b64 s[12:13], s[26:27]
	s_cbranch_execz .LBB72_680
; %bb.679:
	v_mov_b32_e32 v31, 0
	ds_read_b64 v[31:32], v31 offset:20280
	s_waitcnt lgkmcnt(0)
	v_mul_f32_e32 v34, v29, v32
	v_mul_f32_e32 v33, v30, v32
	v_fma_f32 v32, v30, v31, -v34
	v_fmac_f32_e32 v33, v29, v31
	v_mov_b32_e32 v30, v32
	v_mov_b32_e32 v29, v33
	ds_write_b64 v12, v[32:33]
.LBB72_680:
	s_or_b64 exec, exec, s[12:13]
	s_waitcnt lgkmcnt(0)
	s_barrier
	s_barrier
	s_and_saveexec_b64 s[12:13], s[2:3]
; %bb.681:
	v_xor_b32_e32 v31, 0x80000000, v29
	v_xor_b32_e32 v30, 0x80000000, v30
	ds_write_b64 v11, v[30:31] offset:18736
; %bb.682:
	s_or_b64 exec, exec, s[12:13]
	s_waitcnt lgkmcnt(0)
	s_barrier
	s_barrier
	s_and_saveexec_b64 s[12:13], s[36:37]
	s_cbranch_execz .LBB72_684
; %bb.683:
	v_lshlrev_b32_e32 v31, 3, v0
	s_movk_i32 s14, 0x1f8
	v_mad_u32_u24 v32, v0, s14, v31
	ds_read_b64 v[29:30], v32 offset:18736
	s_waitcnt lgkmcnt(0)
	ds_write_b64 v31, v[29:30] offset:19744
	ds_read_b64 v[29:30], v32 offset:18744
	s_waitcnt lgkmcnt(0)
	ds_write_b64 v31, v[29:30] offset:20256
.LBB72_684:
	s_or_b64 exec, exec, s[12:13]
	s_waitcnt lgkmcnt(0)
	s_barrier
	s_and_saveexec_b64 s[12:13], vcc
	s_cbranch_execz .LBB72_686
; %bb.685:
	v_mov_b32_e32 v33, 0
	ds_read_b128 v[29:32], v33 offset:19760
	ds_read_b64 v[33:34], v33 offset:20280
	s_movk_i32 s14, 0x4800
	s_waitcnt lgkmcnt(0)
	v_mul_f32_e32 v35, v34, v30
	v_mul_f32_e32 v36, v33, v30
	v_fma_f32 v33, v33, v29, -v35
	v_fmac_f32_e32 v36, v34, v29
	v_mul_f32_e32 v29, v36, v32
	v_mul_f32_e32 v30, v33, v32
	v_fma_f32 v29, v33, v31, -v29
	v_fmac_f32_e32 v30, v36, v31
	v_add_u32_e64 v31, s14, 0
	ds_write2_b64 v31, v[29:30], v[29:30] offset0:167 offset1:230
.LBB72_686:
	s_or_b64 exec, exec, s[12:13]
	v_mov_b32_e32 v29, 0
	v_mov_b32_e32 v30, 0
	s_waitcnt lgkmcnt(0)
	s_barrier
	s_and_saveexec_b64 s[14:15], s[8:9]
	s_cbranch_execz .LBB72_696
; %bb.687:
	v_mul_u32_u24_e32 v30, 0x208, v23
	ds_read_b64 v[31:32], v19 offset:16704
	ds_read_b64 v[33:34], v30 offset:16640
	v_cmp_gt_u32_e64 s[12:13], 56, v1
	s_waitcnt lgkmcnt(0)
	v_mul_f32_e32 v29, v34, v32
	v_mul_f32_e32 v32, v33, v32
	v_fma_f32 v29, v33, v31, -v29
	v_fmac_f32_e32 v32, v34, v31
	v_add_f32_e32 v29, 0, v29
	v_add_f32_e32 v31, 0, v32
	s_and_saveexec_b64 s[16:17], s[12:13]
	s_cbranch_execnz .LBB72_1152
; %bb.688:
	s_or_b64 exec, exec, s[16:17]
	v_cmp_gt_u32_e64 s[12:13], 48, v1
	s_and_saveexec_b64 s[16:17], s[12:13]
	s_cbranch_execnz .LBB72_1153
.LBB72_689:
	s_or_b64 exec, exec, s[16:17]
	v_cmp_gt_u32_e64 s[12:13], 40, v1
	s_and_saveexec_b64 s[16:17], s[12:13]
	s_cbranch_execnz .LBB72_1154
.LBB72_690:
	s_or_b64 exec, exec, s[16:17]
	v_cmp_gt_u32_e64 s[12:13], 32, v1
	s_and_saveexec_b64 s[16:17], s[12:13]
	s_cbranch_execnz .LBB72_1155
.LBB72_691:
	s_or_b64 exec, exec, s[16:17]
	v_cmp_gt_u32_e64 s[12:13], 24, v1
	s_and_saveexec_b64 s[16:17], s[12:13]
	s_cbranch_execnz .LBB72_1156
.LBB72_692:
	s_or_b64 exec, exec, s[16:17]
	v_cmp_gt_u32_e64 s[12:13], 16, v1
	s_and_saveexec_b64 s[16:17], s[12:13]
	s_cbranch_execnz .LBB72_1157
.LBB72_693:
	s_or_b64 exec, exec, s[16:17]
	v_cmp_gt_u32_e64 s[12:13], 8, v1
	s_and_saveexec_b64 s[16:17], s[12:13]
	s_cbranch_execz .LBB72_695
.LBB72_694:
	v_lshlrev_b32_e32 v30, 3, v0
	v_mov_b32_e32 v34, 0
	ds_read_b64 v[32:33], v30 offset:20288
	ds_read_b64 v[34:35], v34 offset:16696
	s_waitcnt lgkmcnt(0)
	v_mul_f32_e32 v30, v35, v33
	v_mul_f32_e32 v33, v34, v33
	v_fma_f32 v30, v34, v32, -v30
	v_fmac_f32_e32 v33, v35, v32
	v_add_f32_e32 v29, v29, v30
	v_add_f32_e32 v31, v31, v33
.LBB72_695:
	s_or_b64 exec, exec, s[16:17]
	v_xor_b32_e32 v30, 0x80000000, v29
	v_xor_b32_e32 v29, 0x80000000, v31
.LBB72_696:
	s_or_b64 exec, exec, s[14:15]
	s_and_saveexec_b64 s[12:13], s[54:55]
	s_cbranch_execz .LBB72_698
; %bb.697:
	v_mov_b32_e32 v31, 0
	ds_read_b64 v[31:32], v31 offset:20800
	s_waitcnt lgkmcnt(0)
	v_mul_f32_e32 v34, v29, v32
	v_mul_f32_e32 v33, v30, v32
	v_fma_f32 v32, v30, v31, -v34
	v_fmac_f32_e32 v33, v29, v31
	v_mov_b32_e32 v30, v32
	v_mov_b32_e32 v29, v33
	ds_write_b64 v21, v[32:33]
.LBB72_698:
	s_or_b64 exec, exec, s[12:13]
	s_waitcnt lgkmcnt(0)
	s_barrier
	s_and_saveexec_b64 s[12:13], s[56:57]
	s_cbranch_execz .LBB72_700
; %bb.699:
	ds_read_b64 v[31:32], v20 offset:20800
	ds_read_b64 v[33:34], v21
	s_waitcnt lgkmcnt(0)
	v_mul_f32_e32 v35, v34, v32
	v_mul_f32_e32 v32, v33, v32
	v_fma_f32 v33, v33, v31, -v35
	v_fmac_f32_e32 v32, v34, v31
	v_add_f32_e32 v30, v30, v33
	v_add_f32_e32 v29, v29, v32
.LBB72_700:
	s_or_b64 exec, exec, s[12:13]
	s_barrier
	s_and_saveexec_b64 s[12:13], s[58:59]
	s_cbranch_execz .LBB72_702
; %bb.701:
	v_mov_b32_e32 v31, 0
	ds_read_b64 v[31:32], v31 offset:21320
	s_waitcnt lgkmcnt(0)
	v_mul_f32_e32 v34, v29, v32
	v_mul_f32_e32 v33, v30, v32
	v_fma_f32 v32, v30, v31, -v34
	v_fmac_f32_e32 v33, v29, v31
	v_mov_b32_e32 v30, v32
	v_mov_b32_e32 v29, v33
	ds_write_b64 v21, v[32:33]
.LBB72_702:
	s_or_b64 exec, exec, s[12:13]
	s_waitcnt lgkmcnt(0)
	s_barrier
	s_and_saveexec_b64 s[12:13], s[60:61]
	s_cbranch_execz .LBB72_704
; %bb.703:
	ds_read_b64 v[31:32], v20 offset:21312
	ds_read_b64 v[33:34], v21
	s_waitcnt lgkmcnt(0)
	v_mul_f32_e32 v35, v34, v32
	v_mul_f32_e32 v32, v33, v32
	v_fma_f32 v33, v33, v31, -v35
	v_fmac_f32_e32 v32, v34, v31
	v_add_f32_e32 v30, v30, v33
	v_add_f32_e32 v29, v29, v32
.LBB72_704:
	s_or_b64 exec, exec, s[12:13]
	s_barrier
	;; [unrolled: 32-line block ×6, first 2 shown]
	s_and_saveexec_b64 s[12:13], s[78:79]
	s_cbranch_execz .LBB72_722
; %bb.721:
	v_mov_b32_e32 v31, 0
	ds_read_b64 v[31:32], v31 offset:23920
	s_waitcnt lgkmcnt(0)
	v_mul_f32_e32 v34, v29, v32
	v_mul_f32_e32 v33, v30, v32
	v_fma_f32 v32, v30, v31, -v34
	v_fmac_f32_e32 v33, v29, v31
	v_mov_b32_e32 v30, v32
	v_mov_b32_e32 v29, v33
	ds_write_b64 v21, v[32:33]
.LBB72_722:
	s_or_b64 exec, exec, s[12:13]
	s_waitcnt lgkmcnt(0)
	s_barrier
	s_and_saveexec_b64 s[12:13], s[52:53]
	s_cbranch_execz .LBB72_724
; %bb.723:
	v_mov_b32_e32 v31, 0
	ds_read_b64 v[31:32], v31 offset:23928
	ds_read_b64 v[33:34], v21
	s_waitcnt lgkmcnt(0)
	v_mul_f32_e32 v35, v34, v32
	v_mul_f32_e32 v32, v33, v32
	v_fma_f32 v33, v33, v31, -v35
	v_fmac_f32_e32 v32, v34, v31
	v_add_f32_e32 v30, v30, v33
	v_add_f32_e32 v29, v29, v32
.LBB72_724:
	s_or_b64 exec, exec, s[12:13]
	s_barrier
	s_and_saveexec_b64 s[12:13], s[52:53]
	s_cbranch_execz .LBB72_726
; %bb.725:
	v_mov_b32_e32 v31, 0
	ds_read_b64 v[31:32], v31 offset:24440
	s_waitcnt lgkmcnt(0)
	v_mul_f32_e32 v34, v29, v32
	v_mul_f32_e32 v33, v30, v32
	v_fma_f32 v32, v30, v31, -v34
	v_fmac_f32_e32 v33, v29, v31
	v_mov_b32_e32 v30, v32
	v_mov_b32_e32 v29, v33
	ds_write_b64 v21, v[32:33]
.LBB72_726:
	s_or_b64 exec, exec, s[12:13]
	s_waitcnt lgkmcnt(0)
	s_barrier
	s_barrier
	s_and_saveexec_b64 s[12:13], s[8:9]
; %bb.727:
	v_xor_b32_e32 v31, 0x80000000, v29
	v_xor_b32_e32 v30, 0x80000000, v30
	ds_write_b64 v19, v[30:31] offset:16704
; %bb.728:
	s_or_b64 exec, exec, s[12:13]
	s_waitcnt lgkmcnt(0)
	s_barrier
	s_barrier
	s_and_saveexec_b64 s[12:13], s[80:81]
	s_cbranch_execz .LBB72_730
; %bb.729:
	v_lshlrev_b32_e32 v31, 9, v0
	ds_read_b64 v[29:30], v31 offset:16704
	s_movk_i32 s14, 0xfe08
	v_mad_i32_i24 v32, v0, s14, v31
	s_waitcnt lgkmcnt(0)
	ds_write_b64 v32, v[29:30] offset:20736
	ds_read_b64 v[29:30], v31 offset:16712
	s_waitcnt lgkmcnt(0)
	ds_write_b64 v32, v[29:30] offset:21248
	ds_read_b64 v[29:30], v31 offset:16720
	;; [unrolled: 3-line block ×7, first 2 shown]
	s_waitcnt lgkmcnt(0)
	ds_write_b64 v32, v[29:30] offset:24320
.LBB72_730:
	s_or_b64 exec, exec, s[12:13]
	s_waitcnt lgkmcnt(0)
	s_barrier
	s_and_saveexec_b64 s[12:13], vcc
	s_cbranch_execz .LBB72_732
; %bb.731:
	v_mov_b32_e32 v33, 0
	ds_read_b128 v[29:32], v33 offset:20800
	ds_read_b64 v[33:34], v33 offset:21320
	s_movk_i32 s14, 0x5000
	s_waitcnt lgkmcnt(0)
	v_mul_f32_e32 v35, v34, v30
	v_mul_f32_e32 v36, v33, v30
	v_fma_f32 v33, v33, v29, -v35
	v_fmac_f32_e32 v36, v34, v29
	v_mul_f32_e32 v29, v36, v32
	v_mul_f32_e32 v30, v33, v32
	v_fma_f32 v29, v33, v31, -v29
	v_fmac_f32_e32 v30, v36, v31
	v_add_u32_e64 v31, s14, 0
	ds_write2_b64 v31, v[29:30], v[29:30] offset0:41 offset1:104
.LBB72_732:
	s_or_b64 exec, exec, s[12:13]
	v_mov_b32_e32 v29, 0
	v_mov_b32_e32 v30, 0
	s_waitcnt lgkmcnt(0)
	s_barrier
	s_and_saveexec_b64 s[14:15], s[2:3]
	s_cbranch_execz .LBB72_736
; %bb.733:
	v_mul_u32_u24_e32 v31, 0x208, v13
	ds_read_b64 v[29:30], v11 offset:20816
	ds_read_b64 v[31:32], v31 offset:20800
	v_cmp_gt_u32_e64 s[12:13], 2, v1
	s_waitcnt lgkmcnt(0)
	v_mul_f32_e32 v33, v32, v30
	v_mul_f32_e32 v30, v31, v30
	v_fma_f32 v31, v31, v29, -v33
	v_fmac_f32_e32 v30, v32, v29
	v_add_f32_e32 v29, 0, v31
	v_add_f32_e32 v31, 0, v30
	s_and_saveexec_b64 s[16:17], s[12:13]
	s_cbranch_execz .LBB72_735
; %bb.734:
	v_lshlrev_b32_e32 v30, 3, v0
	v_mov_b32_e32 v34, 0
	ds_read_b64 v[32:33], v30 offset:21328
	ds_read_b64 v[34:35], v34 offset:20808
	s_waitcnt lgkmcnt(0)
	v_mul_f32_e32 v30, v35, v33
	v_mul_f32_e32 v33, v34, v33
	v_fma_f32 v30, v34, v32, -v30
	v_fmac_f32_e32 v33, v35, v32
	v_add_f32_e32 v29, v29, v30
	v_add_f32_e32 v31, v31, v33
.LBB72_735:
	s_or_b64 exec, exec, s[16:17]
	v_xor_b32_e32 v30, 0x80000000, v29
	v_xor_b32_e32 v29, 0x80000000, v31
.LBB72_736:
	s_or_b64 exec, exec, s[14:15]
	s_and_saveexec_b64 s[12:13], s[34:35]
	s_cbranch_execz .LBB72_738
; %bb.737:
	v_mov_b32_e32 v31, 0
	ds_read_b64 v[31:32], v31 offset:21840
	s_waitcnt lgkmcnt(0)
	v_mul_f32_e32 v34, v29, v32
	v_mul_f32_e32 v33, v30, v32
	v_fma_f32 v32, v30, v31, -v34
	v_fmac_f32_e32 v33, v29, v31
	v_mov_b32_e32 v30, v32
	v_mov_b32_e32 v29, v33
	ds_write_b64 v12, v[32:33]
.LBB72_738:
	s_or_b64 exec, exec, s[12:13]
	s_waitcnt lgkmcnt(0)
	s_barrier
	s_and_saveexec_b64 s[12:13], s[26:27]
	s_cbranch_execz .LBB72_740
; %bb.739:
	v_mov_b32_e32 v31, 0
	ds_read_b64 v[31:32], v31 offset:21848
	ds_read_b64 v[33:34], v12
	s_waitcnt lgkmcnt(0)
	v_mul_f32_e32 v35, v34, v32
	v_mul_f32_e32 v32, v33, v32
	v_fma_f32 v33, v33, v31, -v35
	v_fmac_f32_e32 v32, v34, v31
	v_add_f32_e32 v30, v30, v33
	v_add_f32_e32 v29, v29, v32
.LBB72_740:
	s_or_b64 exec, exec, s[12:13]
	s_barrier
	s_and_saveexec_b64 s[12:13], s[26:27]
	s_cbranch_execz .LBB72_742
; %bb.741:
	v_mov_b32_e32 v31, 0
	ds_read_b64 v[31:32], v31 offset:22360
	s_waitcnt lgkmcnt(0)
	v_mul_f32_e32 v34, v29, v32
	v_mul_f32_e32 v33, v30, v32
	v_fma_f32 v32, v30, v31, -v34
	v_fmac_f32_e32 v33, v29, v31
	v_mov_b32_e32 v30, v32
	v_mov_b32_e32 v29, v33
	ds_write_b64 v12, v[32:33]
.LBB72_742:
	s_or_b64 exec, exec, s[12:13]
	s_waitcnt lgkmcnt(0)
	s_barrier
	s_barrier
	s_and_saveexec_b64 s[12:13], s[2:3]
; %bb.743:
	v_xor_b32_e32 v31, 0x80000000, v29
	v_xor_b32_e32 v30, 0x80000000, v30
	ds_write_b64 v11, v[30:31] offset:20816
; %bb.744:
	s_or_b64 exec, exec, s[12:13]
	s_waitcnt lgkmcnt(0)
	s_barrier
	s_barrier
	s_and_saveexec_b64 s[12:13], s[36:37]
	s_cbranch_execz .LBB72_746
; %bb.745:
	v_lshlrev_b32_e32 v31, 3, v0
	s_movk_i32 s14, 0x1f8
	v_mad_u32_u24 v32, v0, s14, v31
	ds_read_b64 v[29:30], v32 offset:20816
	s_waitcnt lgkmcnt(0)
	ds_write_b64 v31, v[29:30] offset:21824
	ds_read_b64 v[29:30], v32 offset:20824
	s_waitcnt lgkmcnt(0)
	ds_write_b64 v31, v[29:30] offset:22336
.LBB72_746:
	s_or_b64 exec, exec, s[12:13]
	s_waitcnt lgkmcnt(0)
	s_barrier
	s_and_saveexec_b64 s[12:13], vcc
	s_cbranch_execz .LBB72_748
; %bb.747:
	v_mov_b32_e32 v33, 0
	ds_read_b128 v[29:32], v33 offset:21840
	ds_read_b64 v[33:34], v33 offset:22360
	s_movk_i32 s14, 0x5000
	s_waitcnt lgkmcnt(0)
	v_mul_f32_e32 v35, v34, v30
	v_mul_f32_e32 v36, v33, v30
	v_fma_f32 v33, v33, v29, -v35
	v_fmac_f32_e32 v36, v34, v29
	v_mul_f32_e32 v29, v36, v32
	v_mul_f32_e32 v30, v33, v32
	v_fma_f32 v29, v33, v31, -v29
	v_fmac_f32_e32 v30, v36, v31
	v_add_u32_e64 v31, s14, 0
	ds_write2_b64 v31, v[29:30], v[29:30] offset0:171 offset1:234
.LBB72_748:
	s_or_b64 exec, exec, s[12:13]
	v_mov_b32_e32 v29, 0
	v_mov_b32_e32 v30, 0
	s_waitcnt lgkmcnt(0)
	s_barrier
	s_and_saveexec_b64 s[14:15], s[18:19]
	s_cbranch_execz .LBB72_754
; %bb.749:
	v_mul_u32_u24_e32 v30, 0x208, v18
	ds_read_b64 v[31:32], v14 offset:20832
	ds_read_b64 v[33:34], v30 offset:20800
	v_cmp_gt_u32_e64 s[12:13], 12, v1
	s_waitcnt lgkmcnt(0)
	v_mul_f32_e32 v29, v34, v32
	v_mul_f32_e32 v32, v33, v32
	v_fma_f32 v29, v33, v31, -v29
	v_fmac_f32_e32 v32, v34, v31
	v_add_f32_e32 v29, 0, v29
	v_add_f32_e32 v31, 0, v32
	s_and_saveexec_b64 s[16:17], s[12:13]
	s_cbranch_execnz .LBB72_1158
; %bb.750:
	s_or_b64 exec, exec, s[16:17]
	v_cmp_gt_u32_e64 s[12:13], 8, v1
	s_and_saveexec_b64 s[16:17], s[12:13]
	s_cbranch_execnz .LBB72_1159
.LBB72_751:
	s_or_b64 exec, exec, s[16:17]
	v_cmp_gt_u32_e64 s[12:13], 4, v1
	s_and_saveexec_b64 s[16:17], s[12:13]
	s_cbranch_execz .LBB72_753
.LBB72_752:
	v_lshlrev_b32_e32 v30, 3, v0
	v_mov_b32_e32 v34, 0
	ds_read_b64 v[32:33], v30 offset:22368
	ds_read_b64 v[34:35], v34 offset:20824
	s_waitcnt lgkmcnt(0)
	v_mul_f32_e32 v30, v35, v33
	v_mul_f32_e32 v33, v34, v33
	v_fma_f32 v30, v34, v32, -v30
	v_fmac_f32_e32 v33, v35, v32
	v_add_f32_e32 v29, v29, v30
	v_add_f32_e32 v31, v31, v33
.LBB72_753:
	s_or_b64 exec, exec, s[16:17]
	v_xor_b32_e32 v30, 0x80000000, v29
	v_xor_b32_e32 v29, 0x80000000, v31
.LBB72_754:
	s_or_b64 exec, exec, s[14:15]
	s_and_saveexec_b64 s[12:13], s[40:41]
	s_cbranch_execz .LBB72_756
; %bb.755:
	v_mov_b32_e32 v31, 0
	ds_read_b64 v[31:32], v31 offset:22880
	s_waitcnt lgkmcnt(0)
	v_mul_f32_e32 v34, v29, v32
	v_mul_f32_e32 v33, v30, v32
	v_fma_f32 v32, v30, v31, -v34
	v_fmac_f32_e32 v33, v29, v31
	v_mov_b32_e32 v30, v32
	v_mov_b32_e32 v29, v33
	ds_write_b64 v16, v[32:33]
.LBB72_756:
	s_or_b64 exec, exec, s[12:13]
	s_waitcnt lgkmcnt(0)
	s_barrier
	s_and_saveexec_b64 s[12:13], s[42:43]
	s_cbranch_execz .LBB72_758
; %bb.757:
	ds_read_b64 v[31:32], v15 offset:22880
	ds_read_b64 v[33:34], v16
	s_waitcnt lgkmcnt(0)
	v_mul_f32_e32 v35, v34, v32
	v_mul_f32_e32 v32, v33, v32
	v_fma_f32 v33, v33, v31, -v35
	v_fmac_f32_e32 v32, v34, v31
	v_add_f32_e32 v30, v30, v33
	v_add_f32_e32 v29, v29, v32
.LBB72_758:
	s_or_b64 exec, exec, s[12:13]
	s_barrier
	s_and_saveexec_b64 s[12:13], s[44:45]
	s_cbranch_execz .LBB72_760
; %bb.759:
	v_mov_b32_e32 v31, 0
	ds_read_b64 v[31:32], v31 offset:23400
	s_waitcnt lgkmcnt(0)
	v_mul_f32_e32 v34, v29, v32
	v_mul_f32_e32 v33, v30, v32
	v_fma_f32 v32, v30, v31, -v34
	v_fmac_f32_e32 v33, v29, v31
	v_mov_b32_e32 v30, v32
	v_mov_b32_e32 v29, v33
	ds_write_b64 v16, v[32:33]
.LBB72_760:
	s_or_b64 exec, exec, s[12:13]
	s_waitcnt lgkmcnt(0)
	s_barrier
	s_and_saveexec_b64 s[12:13], s[46:47]
	s_cbranch_execz .LBB72_762
; %bb.761:
	ds_read_b64 v[31:32], v15 offset:23392
	ds_read_b64 v[33:34], v16
	s_waitcnt lgkmcnt(0)
	v_mul_f32_e32 v35, v34, v32
	v_mul_f32_e32 v32, v33, v32
	v_fma_f32 v33, v33, v31, -v35
	v_fmac_f32_e32 v32, v34, v31
	v_add_f32_e32 v30, v30, v33
	v_add_f32_e32 v29, v29, v32
.LBB72_762:
	s_or_b64 exec, exec, s[12:13]
	s_barrier
	s_and_saveexec_b64 s[12:13], s[48:49]
	s_cbranch_execz .LBB72_764
; %bb.763:
	v_mov_b32_e32 v31, 0
	ds_read_b64 v[31:32], v31 offset:23920
	s_waitcnt lgkmcnt(0)
	v_mul_f32_e32 v34, v29, v32
	v_mul_f32_e32 v33, v30, v32
	v_fma_f32 v32, v30, v31, -v34
	v_fmac_f32_e32 v33, v29, v31
	v_mov_b32_e32 v30, v32
	v_mov_b32_e32 v29, v33
	ds_write_b64 v16, v[32:33]
.LBB72_764:
	s_or_b64 exec, exec, s[12:13]
	s_waitcnt lgkmcnt(0)
	s_barrier
	s_and_saveexec_b64 s[12:13], s[38:39]
	s_cbranch_execz .LBB72_766
; %bb.765:
	v_mov_b32_e32 v31, 0
	ds_read_b64 v[31:32], v31 offset:23928
	ds_read_b64 v[33:34], v16
	s_waitcnt lgkmcnt(0)
	v_mul_f32_e32 v35, v34, v32
	v_mul_f32_e32 v32, v33, v32
	v_fma_f32 v33, v33, v31, -v35
	v_fmac_f32_e32 v32, v34, v31
	v_add_f32_e32 v30, v30, v33
	v_add_f32_e32 v29, v29, v32
.LBB72_766:
	s_or_b64 exec, exec, s[12:13]
	s_barrier
	s_and_saveexec_b64 s[12:13], s[38:39]
	s_cbranch_execz .LBB72_768
; %bb.767:
	v_mov_b32_e32 v31, 0
	ds_read_b64 v[31:32], v31 offset:24440
	s_waitcnt lgkmcnt(0)
	v_mul_f32_e32 v34, v29, v32
	v_mul_f32_e32 v33, v30, v32
	v_fma_f32 v32, v30, v31, -v34
	v_fmac_f32_e32 v33, v29, v31
	v_mov_b32_e32 v30, v32
	v_mov_b32_e32 v29, v33
	ds_write_b64 v16, v[32:33]
.LBB72_768:
	s_or_b64 exec, exec, s[12:13]
	s_waitcnt lgkmcnt(0)
	s_barrier
	s_barrier
	s_and_saveexec_b64 s[12:13], s[18:19]
; %bb.769:
	v_xor_b32_e32 v30, 0x80000000, v30
	v_xor_b32_e32 v31, 0x80000000, v29
	ds_write_b64 v14, v[30:31] offset:20832
; %bb.770:
	s_or_b64 exec, exec, s[12:13]
	s_waitcnt lgkmcnt(0)
	s_barrier
	s_barrier
	s_and_saveexec_b64 s[12:13], s[50:51]
	s_cbranch_execz .LBB72_772
; %bb.771:
	v_lshlrev_b32_e32 v31, 9, v0
	ds_read_b64 v[29:30], v31 offset:20832
	s_movk_i32 s14, 0xfe08
	v_mad_i32_i24 v32, v0, s14, v31
	s_waitcnt lgkmcnt(0)
	ds_write_b64 v32, v[29:30] offset:22848
	ds_read_b64 v[29:30], v31 offset:20840
	s_waitcnt lgkmcnt(0)
	ds_write_b64 v32, v[29:30] offset:23360
	ds_read_b64 v[29:30], v31 offset:20848
	;; [unrolled: 3-line block ×3, first 2 shown]
	s_waitcnt lgkmcnt(0)
	ds_write_b64 v32, v[29:30] offset:24384
.LBB72_772:
	s_or_b64 exec, exec, s[12:13]
	s_waitcnt lgkmcnt(0)
	s_barrier
	s_and_saveexec_b64 s[12:13], vcc
	s_cbranch_execz .LBB72_774
; %bb.773:
	v_mov_b32_e32 v33, 0
	ds_read_b128 v[29:32], v33 offset:22880
	ds_read_b64 v[33:34], v33 offset:23400
	s_movk_i32 s14, 0x5800
	s_waitcnt lgkmcnt(0)
	v_mul_f32_e32 v35, v34, v30
	v_mul_f32_e32 v36, v33, v30
	v_fma_f32 v33, v33, v29, -v35
	v_fmac_f32_e32 v36, v34, v29
	v_mul_f32_e32 v29, v36, v32
	v_mul_f32_e32 v30, v33, v32
	v_fma_f32 v29, v33, v31, -v29
	v_fmac_f32_e32 v30, v36, v31
	v_add_u32_e64 v31, s14, 0
	ds_write2_b64 v31, v[29:30], v[29:30] offset0:45 offset1:108
.LBB72_774:
	s_or_b64 exec, exec, s[12:13]
	v_mov_b32_e32 v29, 0
	v_mov_b32_e32 v30, 0
	s_waitcnt lgkmcnt(0)
	s_barrier
	s_and_saveexec_b64 s[14:15], s[2:3]
	s_cbranch_execz .LBB72_778
; %bb.775:
	v_mul_u32_u24_e32 v31, 0x208, v13
	ds_read_b64 v[29:30], v11 offset:22896
	ds_read_b64 v[31:32], v31 offset:22880
	v_cmp_gt_u32_e64 s[12:13], 2, v1
	s_waitcnt lgkmcnt(0)
	v_mul_f32_e32 v33, v32, v30
	v_mul_f32_e32 v30, v31, v30
	v_fma_f32 v31, v31, v29, -v33
	v_fmac_f32_e32 v30, v32, v29
	v_add_f32_e32 v29, 0, v31
	v_add_f32_e32 v31, 0, v30
	s_and_saveexec_b64 s[16:17], s[12:13]
	s_cbranch_execz .LBB72_777
; %bb.776:
	v_lshlrev_b32_e32 v30, 3, v0
	v_mov_b32_e32 v34, 0
	ds_read_b64 v[32:33], v30 offset:23408
	ds_read_b64 v[34:35], v34 offset:22888
	s_waitcnt lgkmcnt(0)
	v_mul_f32_e32 v30, v35, v33
	v_mul_f32_e32 v33, v34, v33
	v_fma_f32 v30, v34, v32, -v30
	v_fmac_f32_e32 v33, v35, v32
	v_add_f32_e32 v29, v29, v30
	v_add_f32_e32 v31, v31, v33
.LBB72_777:
	s_or_b64 exec, exec, s[16:17]
	v_xor_b32_e32 v30, 0x80000000, v29
	v_xor_b32_e32 v29, 0x80000000, v31
.LBB72_778:
	s_or_b64 exec, exec, s[14:15]
	s_and_saveexec_b64 s[12:13], s[34:35]
	s_cbranch_execz .LBB72_780
; %bb.779:
	v_mov_b32_e32 v31, 0
	ds_read_b64 v[31:32], v31 offset:23920
	s_waitcnt lgkmcnt(0)
	v_mul_f32_e32 v34, v29, v32
	v_mul_f32_e32 v33, v30, v32
	v_fma_f32 v32, v30, v31, -v34
	v_fmac_f32_e32 v33, v29, v31
	v_mov_b32_e32 v30, v32
	v_mov_b32_e32 v29, v33
	ds_write_b64 v12, v[32:33]
.LBB72_780:
	s_or_b64 exec, exec, s[12:13]
	s_waitcnt lgkmcnt(0)
	s_barrier
	s_and_saveexec_b64 s[12:13], s[26:27]
	s_cbranch_execz .LBB72_782
; %bb.781:
	v_mov_b32_e32 v31, 0
	ds_read_b64 v[31:32], v31 offset:23928
	ds_read_b64 v[33:34], v12
	s_waitcnt lgkmcnt(0)
	v_mul_f32_e32 v35, v34, v32
	v_mul_f32_e32 v32, v33, v32
	v_fma_f32 v33, v33, v31, -v35
	v_fmac_f32_e32 v32, v34, v31
	v_add_f32_e32 v30, v30, v33
	v_add_f32_e32 v29, v29, v32
.LBB72_782:
	s_or_b64 exec, exec, s[12:13]
	s_barrier
	s_and_saveexec_b64 s[12:13], s[26:27]
	s_cbranch_execz .LBB72_784
; %bb.783:
	v_mov_b32_e32 v31, 0
	ds_read_b64 v[31:32], v31 offset:24440
	s_waitcnt lgkmcnt(0)
	v_mul_f32_e32 v34, v29, v32
	v_mul_f32_e32 v33, v30, v32
	v_fma_f32 v32, v30, v31, -v34
	v_fmac_f32_e32 v33, v29, v31
	v_mov_b32_e32 v30, v32
	v_mov_b32_e32 v29, v33
	ds_write_b64 v12, v[32:33]
.LBB72_784:
	s_or_b64 exec, exec, s[12:13]
	s_waitcnt lgkmcnt(0)
	s_barrier
	s_barrier
	s_and_saveexec_b64 s[12:13], s[2:3]
; %bb.785:
	v_xor_b32_e32 v31, 0x80000000, v29
	v_xor_b32_e32 v30, 0x80000000, v30
	ds_write_b64 v11, v[30:31] offset:22896
; %bb.786:
	s_or_b64 exec, exec, s[12:13]
	s_waitcnt lgkmcnt(0)
	s_barrier
	s_barrier
	s_and_saveexec_b64 s[12:13], s[36:37]
	s_cbranch_execz .LBB72_788
; %bb.787:
	v_lshlrev_b32_e32 v31, 3, v0
	s_movk_i32 s14, 0x1f8
	v_mad_u32_u24 v32, v0, s14, v31
	ds_read_b64 v[29:30], v32 offset:22896
	s_waitcnt lgkmcnt(0)
	ds_write_b64 v31, v[29:30] offset:23904
	ds_read_b64 v[29:30], v32 offset:22904
	s_waitcnt lgkmcnt(0)
	ds_write_b64 v31, v[29:30] offset:24416
.LBB72_788:
	s_or_b64 exec, exec, s[12:13]
	s_waitcnt lgkmcnt(0)
	s_barrier
	s_and_saveexec_b64 s[12:13], vcc
	s_cbranch_execz .LBB72_790
; %bb.789:
	v_mov_b32_e32 v33, 0
	ds_read_b128 v[29:32], v33 offset:23920
	ds_read_b64 v[33:34], v33 offset:24440
	s_movk_i32 s14, 0x5800
	s_waitcnt lgkmcnt(0)
	v_mul_f32_e32 v35, v34, v30
	v_mul_f32_e32 v36, v33, v30
	v_fma_f32 v33, v33, v29, -v35
	v_fmac_f32_e32 v36, v34, v29
	v_mul_f32_e32 v29, v36, v32
	v_mul_f32_e32 v30, v33, v32
	v_fma_f32 v29, v33, v31, -v29
	v_fmac_f32_e32 v30, v36, v31
	v_add_u32_e64 v31, s14, 0
	ds_write2_b64 v31, v[29:30], v[29:30] offset0:175 offset1:238
.LBB72_790:
	s_or_b64 exec, exec, s[12:13]
	v_mov_b32_e32 v29, 0
	v_mov_b32_e32 v30, 0
	s_waitcnt lgkmcnt(0)
	s_barrier
	s_and_saveexec_b64 s[14:15], s[10:11]
	s_cbranch_execz .LBB72_818
; %bb.791:
	v_mul_u32_u24_e32 v30, 0x208, v28
	ds_read_b64 v[31:32], v24 offset:16768
	ds_read_b64 v[33:34], v30 offset:16640
	s_movk_i32 s12, 0xf0
	v_cmp_gt_u32_e64 s[12:13], s12, v1
	s_waitcnt lgkmcnt(0)
	v_mul_f32_e32 v29, v34, v32
	v_mul_f32_e32 v32, v33, v32
	v_fma_f32 v29, v33, v31, -v29
	v_fmac_f32_e32 v32, v34, v31
	v_add_f32_e32 v29, 0, v29
	v_add_f32_e32 v31, 0, v32
	s_and_saveexec_b64 s[16:17], s[12:13]
	s_cbranch_execz .LBB72_793
; %bb.792:
	v_lshlrev_b32_e32 v32, 3, v28
	v_sub_u32_e32 v32, v30, v32
	v_lshl_add_u32 v32, v25, 3, v32
	ds_read_b64 v[32:33], v32 offset:17280
	ds_read_b64 v[34:35], v30 offset:16648
	s_waitcnt lgkmcnt(0)
	v_mul_f32_e32 v36, v35, v33
	v_mul_f32_e32 v33, v34, v33
	v_fma_f32 v34, v34, v32, -v36
	v_fmac_f32_e32 v33, v35, v32
	v_add_f32_e32 v29, v29, v34
	v_add_f32_e32 v31, v31, v33
.LBB72_793:
	s_or_b64 exec, exec, s[16:17]
	s_movk_i32 s12, 0xe0
	v_cmp_gt_u32_e64 s[12:13], s12, v1
	s_and_saveexec_b64 s[16:17], s[12:13]
	s_cbranch_execz .LBB72_795
; %bb.794:
	v_lshlrev_b32_e32 v32, 3, v28
	v_sub_u32_e32 v32, v30, v32
	v_lshl_add_u32 v32, v25, 3, v32
	ds_read_b64 v[32:33], v32 offset:17792
	ds_read_b64 v[34:35], v30 offset:16656
	s_waitcnt lgkmcnt(0)
	v_mul_f32_e32 v36, v35, v33
	v_mul_f32_e32 v33, v34, v33
	v_fma_f32 v34, v34, v32, -v36
	v_fmac_f32_e32 v33, v35, v32
	v_add_f32_e32 v29, v29, v34
	v_add_f32_e32 v31, v31, v33
.LBB72_795:
	s_or_b64 exec, exec, s[16:17]
	s_movk_i32 s12, 0xd0
	v_cmp_gt_u32_e64 s[12:13], s12, v1
	;; [unrolled: 19-line block ×6, first 2 shown]
	s_and_saveexec_b64 s[16:17], s[12:13]
	s_cbranch_execz .LBB72_805
; %bb.804:
	v_lshlrev_b32_e32 v28, 3, v25
	v_lshl_add_u32 v28, v27, 3, v28
	ds_read_b64 v[32:33], v28 offset:20352
	ds_read_b64 v[34:35], v30 offset:16696
	s_waitcnt lgkmcnt(0)
	v_mul_f32_e32 v28, v35, v33
	v_mul_f32_e32 v33, v34, v33
	v_fma_f32 v28, v34, v32, -v28
	v_fmac_f32_e32 v33, v35, v32
	v_add_f32_e32 v29, v29, v28
	v_add_f32_e32 v31, v31, v33
.LBB72_805:
	s_or_b64 exec, exec, s[16:17]
	s_movk_i32 s12, 0x80
	v_cmp_gt_u32_e64 s[12:13], s12, v1
	s_and_saveexec_b64 s[16:17], s[12:13]
	s_cbranch_execz .LBB72_807
; %bb.806:
	ds_read_b64 v[32:33], v24 offset:20864
	ds_read_b64 v[34:35], v30 offset:16704
	s_waitcnt lgkmcnt(0)
	v_mul_f32_e32 v28, v35, v33
	v_mul_f32_e32 v33, v34, v33
	v_fma_f32 v28, v34, v32, -v28
	v_fmac_f32_e32 v33, v35, v32
	v_add_f32_e32 v29, v29, v28
	v_add_f32_e32 v31, v31, v33
.LBB72_807:
	s_or_b64 exec, exec, s[16:17]
	s_movk_i32 s12, 0x70
	v_cmp_gt_u32_e64 s[12:13], s12, v1
	s_and_saveexec_b64 s[16:17], s[12:13]
	s_cbranch_execz .LBB72_809
; %bb.808:
	v_lshlrev_b32_e32 v28, 3, v25
	v_lshl_add_u32 v28, v27, 3, v28
	ds_read_b64 v[32:33], v28 offset:21376
	ds_read_b64 v[34:35], v30 offset:16712
	s_waitcnt lgkmcnt(0)
	v_mul_f32_e32 v28, v35, v33
	v_mul_f32_e32 v33, v34, v33
	v_fma_f32 v28, v34, v32, -v28
	v_fmac_f32_e32 v33, v35, v32
	v_add_f32_e32 v29, v29, v28
	v_add_f32_e32 v31, v31, v33
.LBB72_809:
	s_or_b64 exec, exec, s[16:17]
	s_movk_i32 s12, 0x60
	v_cmp_gt_u32_e64 s[12:13], s12, v1
	s_and_saveexec_b64 s[16:17], s[12:13]
	s_cbranch_execz .LBB72_811
; %bb.810:
	v_lshlrev_b32_e32 v28, 3, v25
	v_lshl_add_u32 v28, v27, 3, v28
	ds_read_b64 v[32:33], v28 offset:21888
	ds_read_b64 v[34:35], v30 offset:16720
	s_waitcnt lgkmcnt(0)
	v_mul_f32_e32 v28, v35, v33
	v_mul_f32_e32 v33, v34, v33
	v_fma_f32 v28, v34, v32, -v28
	v_fmac_f32_e32 v33, v35, v32
	v_add_f32_e32 v29, v29, v28
	v_add_f32_e32 v31, v31, v33
.LBB72_811:
	s_or_b64 exec, exec, s[16:17]
	s_movk_i32 s12, 0x50
	v_cmp_gt_u32_e64 s[12:13], s12, v1
	s_and_saveexec_b64 s[16:17], s[12:13]
	s_cbranch_execnz .LBB72_1160
; %bb.812:
	s_or_b64 exec, exec, s[16:17]
	v_cmp_gt_u32_e64 s[12:13], 64, v1
	s_and_saveexec_b64 s[16:17], s[12:13]
	s_cbranch_execnz .LBB72_1161
.LBB72_813:
	s_or_b64 exec, exec, s[16:17]
	v_cmp_gt_u32_e64 s[12:13], 48, v1
	s_and_saveexec_b64 s[16:17], s[12:13]
	s_cbranch_execnz .LBB72_1162
.LBB72_814:
	s_or_b64 exec, exec, s[16:17]
	v_cmp_gt_u32_e64 s[12:13], 32, v1
	s_and_saveexec_b64 s[16:17], s[12:13]
	s_cbranch_execnz .LBB72_1163
.LBB72_815:
	s_or_b64 exec, exec, s[16:17]
	v_cmp_gt_u32_e64 s[12:13], 16, v1
	s_and_saveexec_b64 s[16:17], s[12:13]
	s_cbranch_execz .LBB72_817
.LBB72_816:
	v_lshlrev_b32_e32 v27, 3, v0
	v_mov_b32_e32 v30, 0
	ds_read_b64 v[27:28], v27 offset:24448
	ds_read_b64 v[32:33], v30 offset:16760
	s_waitcnt lgkmcnt(0)
	v_mul_f32_e32 v30, v33, v28
	v_mul_f32_e32 v28, v32, v28
	v_fma_f32 v30, v32, v27, -v30
	v_fmac_f32_e32 v28, v33, v27
	v_add_f32_e32 v29, v29, v30
	v_add_f32_e32 v31, v31, v28
.LBB72_817:
	s_or_b64 exec, exec, s[16:17]
	v_xor_b32_e32 v30, 0x80000000, v29
	v_xor_b32_e32 v29, 0x80000000, v31
.LBB72_818:
	s_or_b64 exec, exec, s[14:15]
	s_mov_b64 s[12:13], exec
	v_readlane_b32 s14, v42, 3
	v_readlane_b32 s15, v42, 4
	s_and_b64 s[14:15], s[12:13], s[14:15]
	s_mov_b64 exec, s[14:15]
	s_cbranch_execz .LBB72_820
; %bb.819:
	v_mov_b32_e32 v27, 0
	ds_read_b64 v[27:28], v27 offset:24960
	s_waitcnt lgkmcnt(0)
	v_mul_f32_e32 v31, v30, v28
	v_mul_f32_e32 v32, v29, v28
	v_fmac_f32_e32 v31, v29, v27
	v_fma_f32 v30, v30, v27, -v32
	v_mov_b32_e32 v29, v31
	ds_write_b64 v26, v[30:31]
.LBB72_820:
	s_or_b64 exec, exec, s[12:13]
	s_waitcnt lgkmcnt(0)
	s_barrier
	s_mov_b64 s[12:13], exec
	v_readlane_b32 s14, v42, 5
	v_readlane_b32 s15, v42, 6
	s_and_b64 s[14:15], s[12:13], s[14:15]
	s_mov_b64 exec, s[14:15]
	s_cbranch_execz .LBB72_822
; %bb.821:
	v_lshlrev_b32_e32 v27, 3, v25
	ds_read_b64 v[27:28], v27 offset:24960
	ds_read_b64 v[31:32], v26
	s_waitcnt lgkmcnt(0)
	v_mul_f32_e32 v33, v32, v28
	v_mul_f32_e32 v28, v31, v28
	v_fma_f32 v31, v31, v27, -v33
	v_fmac_f32_e32 v28, v32, v27
	v_add_f32_e32 v30, v30, v31
	v_add_f32_e32 v29, v29, v28
.LBB72_822:
	s_or_b64 exec, exec, s[12:13]
	s_barrier
	s_mov_b64 s[12:13], exec
	v_readlane_b32 s14, v42, 7
	v_readlane_b32 s15, v42, 8
	s_and_b64 s[14:15], s[12:13], s[14:15]
	s_mov_b64 exec, s[14:15]
	s_cbranch_execz .LBB72_824
; %bb.823:
	v_mov_b32_e32 v27, 0
	ds_read_b64 v[27:28], v27 offset:25480
	s_waitcnt lgkmcnt(0)
	v_mul_f32_e32 v31, v30, v28
	v_mul_f32_e32 v32, v29, v28
	v_fmac_f32_e32 v31, v29, v27
	v_fma_f32 v30, v30, v27, -v32
	v_mov_b32_e32 v29, v31
	ds_write_b64 v26, v[30:31]
.LBB72_824:
	s_or_b64 exec, exec, s[12:13]
	s_waitcnt lgkmcnt(0)
	s_barrier
	s_mov_b64 s[12:13], exec
	v_readlane_b32 s14, v42, 9
	v_readlane_b32 s15, v42, 10
	s_and_b64 s[14:15], s[12:13], s[14:15]
	s_mov_b64 exec, s[14:15]
	s_cbranch_execz .LBB72_826
; %bb.825:
	v_lshlrev_b32_e32 v27, 3, v25
	ds_read_b64 v[27:28], v27 offset:25472
	ds_read_b64 v[31:32], v26
	s_waitcnt lgkmcnt(0)
	v_mul_f32_e32 v33, v32, v28
	v_mul_f32_e32 v28, v31, v28
	v_fma_f32 v31, v31, v27, -v33
	v_fmac_f32_e32 v28, v32, v27
	v_add_f32_e32 v30, v30, v31
	v_add_f32_e32 v29, v29, v28
.LBB72_826:
	s_or_b64 exec, exec, s[12:13]
	s_barrier
	;; [unrolled: 40-line block ×13, first 2 shown]
	s_mov_b64 s[12:13], exec
	v_readlane_b32 s14, v42, 55
	v_readlane_b32 s15, v42, 56
	s_and_b64 s[14:15], s[12:13], s[14:15]
	s_mov_b64 exec, s[14:15]
	s_cbranch_execz .LBB72_872
; %bb.871:
	v_mov_b32_e32 v27, 0
	ds_read_b64 v[27:28], v27 offset:31720
	s_waitcnt lgkmcnt(0)
	v_mul_f32_e32 v31, v30, v28
	v_mul_f32_e32 v32, v29, v28
	v_fmac_f32_e32 v31, v29, v27
	v_fma_f32 v30, v30, v27, -v32
	v_mov_b32_e32 v29, v31
	ds_write_b64 v26, v[30:31]
.LBB72_872:
	s_or_b64 exec, exec, s[12:13]
	s_waitcnt lgkmcnt(0)
	s_barrier
	s_and_saveexec_b64 s[12:13], s[92:93]
	s_cbranch_execz .LBB72_874
; %bb.873:
	v_lshlrev_b32_e32 v25, 3, v25
	ds_read_b64 v[27:28], v25 offset:31616
	ds_read_b64 v[31:32], v26
	s_waitcnt lgkmcnt(0)
	v_mul_f32_e32 v25, v32, v28
	v_mul_f32_e32 v28, v31, v28
	v_fma_f32 v25, v31, v27, -v25
	v_fmac_f32_e32 v28, v32, v27
	v_add_f32_e32 v30, v30, v25
	v_add_f32_e32 v29, v29, v28
.LBB72_874:
	s_or_b64 exec, exec, s[12:13]
	s_barrier
	s_and_saveexec_b64 s[12:13], s[94:95]
	s_cbranch_execz .LBB72_876
; %bb.875:
	v_mov_b32_e32 v25, 0
	ds_read_b64 v[27:28], v25 offset:32240
	s_waitcnt lgkmcnt(0)
	v_mul_f32_e32 v31, v30, v28
	v_mul_f32_e32 v25, v29, v28
	v_fmac_f32_e32 v31, v29, v27
	v_fma_f32 v30, v30, v27, -v25
	v_mov_b32_e32 v29, v31
	ds_write_b64 v26, v[30:31]
.LBB72_876:
	s_or_b64 exec, exec, s[12:13]
	s_waitcnt lgkmcnt(0)
	s_barrier
	s_and_saveexec_b64 s[12:13], s[90:91]
	s_cbranch_execz .LBB72_878
; %bb.877:
	v_mov_b32_e32 v25, 0
	ds_read_b64 v[27:28], v25 offset:32248
	ds_read_b64 v[31:32], v26
	s_waitcnt lgkmcnt(0)
	v_mul_f32_e32 v25, v32, v28
	v_mul_f32_e32 v28, v31, v28
	v_fma_f32 v25, v31, v27, -v25
	v_fmac_f32_e32 v28, v32, v27
	v_add_f32_e32 v30, v30, v25
	v_add_f32_e32 v29, v29, v28
.LBB72_878:
	s_or_b64 exec, exec, s[12:13]
	s_barrier
	s_and_saveexec_b64 s[12:13], s[90:91]
	s_cbranch_execz .LBB72_880
; %bb.879:
	v_mov_b32_e32 v25, 0
	ds_read_b64 v[27:28], v25 offset:32760
	s_waitcnt lgkmcnt(0)
	v_mul_f32_e32 v31, v30, v28
	v_mul_f32_e32 v25, v29, v28
	v_fmac_f32_e32 v31, v29, v27
	v_fma_f32 v30, v30, v27, -v25
	v_mov_b32_e32 v29, v31
	ds_write_b64 v26, v[30:31]
.LBB72_880:
	s_or_b64 exec, exec, s[12:13]
	s_waitcnt lgkmcnt(0)
	s_barrier
	s_barrier
	s_and_saveexec_b64 s[12:13], s[10:11]
; %bb.881:
	v_xor_b32_e32 v25, 0x80000000, v30
	v_xor_b32_e32 v26, 0x80000000, v29
	ds_write_b64 v24, v[25:26] offset:16768
; %bb.882:
	s_or_b64 exec, exec, s[12:13]
	s_waitcnt lgkmcnt(0)
	s_barrier
	s_barrier
	s_and_saveexec_b64 s[10:11], s[0:1]
	s_cbranch_execz .LBB72_884
; %bb.883:
	v_lshlrev_b32_e32 v26, 9, v0
	ds_read_b64 v[24:25], v26 offset:16768
	s_movk_i32 s0, 0xfe08
	v_mad_i32_i24 v27, v0, s0, v26
	s_waitcnt lgkmcnt(0)
	ds_write_b64 v27, v[24:25] offset:24832
	ds_read_b64 v[24:25], v26 offset:16776
	s_waitcnt lgkmcnt(0)
	ds_write_b64 v27, v[24:25] offset:25344
	ds_read_b64 v[24:25], v26 offset:16784
	;; [unrolled: 3-line block ×15, first 2 shown]
	s_waitcnt lgkmcnt(0)
	ds_write_b64 v27, v[24:25] offset:32512
.LBB72_884:
	s_or_b64 exec, exec, s[10:11]
	s_waitcnt lgkmcnt(0)
	s_barrier
	s_and_saveexec_b64 s[0:1], vcc
	s_cbranch_execz .LBB72_886
; %bb.885:
	v_mov_b32_e32 v28, 0
	ds_read_b128 v[24:27], v28 offset:24960
	ds_read_b64 v[28:29], v28 offset:25480
	s_movk_i32 s10, 0x6000
	s_waitcnt lgkmcnt(0)
	v_mul_f32_e32 v30, v29, v25
	v_mul_f32_e32 v31, v28, v25
	v_fma_f32 v28, v28, v24, -v30
	v_fmac_f32_e32 v31, v29, v24
	v_mul_f32_e32 v24, v31, v27
	v_mul_f32_e32 v25, v28, v27
	v_fma_f32 v24, v28, v26, -v24
	v_fmac_f32_e32 v25, v31, v26
	v_add_u32_e64 v26, s10, 0
	ds_write2_b64 v26, v[24:25], v[24:25] offset0:49 offset1:112
.LBB72_886:
	s_or_b64 exec, exec, s[0:1]
	v_mov_b32_e32 v24, 0
	v_mov_b32_e32 v25, 0
	s_waitcnt lgkmcnt(0)
	s_barrier
	s_and_saveexec_b64 s[0:1], s[2:3]
	s_cbranch_execz .LBB72_890
; %bb.887:
	v_mul_u32_u24_e32 v26, 0x208, v13
	ds_read_b64 v[24:25], v11 offset:24976
	ds_read_b64 v[26:27], v26 offset:24960
	v_cmp_gt_u32_e64 s[10:11], 2, v1
	s_waitcnt lgkmcnt(0)
	v_mul_f32_e32 v28, v27, v25
	v_mul_f32_e32 v25, v26, v25
	v_fma_f32 v26, v26, v24, -v28
	v_fmac_f32_e32 v25, v27, v24
	v_add_f32_e32 v24, 0, v26
	v_add_f32_e32 v26, 0, v25
	s_and_saveexec_b64 s[12:13], s[10:11]
	s_cbranch_execz .LBB72_889
; %bb.888:
	v_lshlrev_b32_e32 v25, 3, v0
	v_mov_b32_e32 v29, 0
	ds_read_b64 v[27:28], v25 offset:25488
	ds_read_b64 v[29:30], v29 offset:24968
	s_waitcnt lgkmcnt(0)
	v_mul_f32_e32 v25, v30, v28
	v_mul_f32_e32 v28, v29, v28
	v_fma_f32 v25, v29, v27, -v25
	v_fmac_f32_e32 v28, v30, v27
	v_add_f32_e32 v24, v24, v25
	v_add_f32_e32 v26, v26, v28
.LBB72_889:
	s_or_b64 exec, exec, s[12:13]
	v_xor_b32_e32 v25, 0x80000000, v24
	v_xor_b32_e32 v24, 0x80000000, v26
.LBB72_890:
	s_or_b64 exec, exec, s[0:1]
	s_and_saveexec_b64 s[0:1], s[34:35]
	s_cbranch_execz .LBB72_892
; %bb.891:
	v_mov_b32_e32 v26, 0
	ds_read_b64 v[26:27], v26 offset:26000
	s_waitcnt lgkmcnt(0)
	v_mul_f32_e32 v29, v24, v27
	v_mul_f32_e32 v28, v25, v27
	v_fma_f32 v27, v25, v26, -v29
	v_fmac_f32_e32 v28, v24, v26
	v_mov_b32_e32 v25, v27
	v_mov_b32_e32 v24, v28
	ds_write_b64 v12, v[27:28]
.LBB72_892:
	s_or_b64 exec, exec, s[0:1]
	s_waitcnt lgkmcnt(0)
	s_barrier
	s_and_saveexec_b64 s[0:1], s[26:27]
	s_cbranch_execz .LBB72_894
; %bb.893:
	v_mov_b32_e32 v26, 0
	ds_read_b64 v[26:27], v26 offset:26008
	ds_read_b64 v[28:29], v12
	s_waitcnt lgkmcnt(0)
	v_mul_f32_e32 v30, v29, v27
	v_mul_f32_e32 v27, v28, v27
	v_fma_f32 v28, v28, v26, -v30
	v_fmac_f32_e32 v27, v29, v26
	v_add_f32_e32 v25, v25, v28
	v_add_f32_e32 v24, v24, v27
.LBB72_894:
	s_or_b64 exec, exec, s[0:1]
	s_barrier
	s_and_saveexec_b64 s[0:1], s[26:27]
	s_cbranch_execz .LBB72_896
; %bb.895:
	v_mov_b32_e32 v26, 0
	ds_read_b64 v[26:27], v26 offset:26520
	s_waitcnt lgkmcnt(0)
	v_mul_f32_e32 v29, v24, v27
	v_mul_f32_e32 v28, v25, v27
	v_fma_f32 v27, v25, v26, -v29
	v_fmac_f32_e32 v28, v24, v26
	v_mov_b32_e32 v25, v27
	v_mov_b32_e32 v24, v28
	ds_write_b64 v12, v[27:28]
.LBB72_896:
	s_or_b64 exec, exec, s[0:1]
	s_waitcnt lgkmcnt(0)
	s_barrier
	s_barrier
	s_and_saveexec_b64 s[0:1], s[2:3]
; %bb.897:
	v_xor_b32_e32 v26, 0x80000000, v24
	v_xor_b32_e32 v25, 0x80000000, v25
	ds_write_b64 v11, v[25:26] offset:24976
; %bb.898:
	s_or_b64 exec, exec, s[0:1]
	s_waitcnt lgkmcnt(0)
	s_barrier
	s_barrier
	s_and_saveexec_b64 s[0:1], s[36:37]
	s_cbranch_execz .LBB72_900
; %bb.899:
	v_lshlrev_b32_e32 v26, 3, v0
	s_movk_i32 s10, 0x1f8
	v_mad_u32_u24 v27, v0, s10, v26
	ds_read_b64 v[24:25], v27 offset:24976
	s_waitcnt lgkmcnt(0)
	ds_write_b64 v26, v[24:25] offset:25984
	ds_read_b64 v[24:25], v27 offset:24984
	s_waitcnt lgkmcnt(0)
	ds_write_b64 v26, v[24:25] offset:26496
.LBB72_900:
	s_or_b64 exec, exec, s[0:1]
	s_waitcnt lgkmcnt(0)
	s_barrier
	s_and_saveexec_b64 s[0:1], vcc
	s_cbranch_execz .LBB72_902
; %bb.901:
	v_mov_b32_e32 v28, 0
	ds_read_b128 v[24:27], v28 offset:26000
	ds_read_b64 v[28:29], v28 offset:26520
	s_movk_i32 s10, 0x6000
	s_waitcnt lgkmcnt(0)
	v_mul_f32_e32 v30, v29, v25
	v_mul_f32_e32 v31, v28, v25
	v_fma_f32 v28, v28, v24, -v30
	v_fmac_f32_e32 v31, v29, v24
	v_mul_f32_e32 v24, v31, v27
	v_mul_f32_e32 v25, v28, v27
	v_fma_f32 v24, v28, v26, -v24
	v_fmac_f32_e32 v25, v31, v26
	v_add_u32_e64 v26, s10, 0
	ds_write2_b64 v26, v[24:25], v[24:25] offset0:179 offset1:242
.LBB72_902:
	s_or_b64 exec, exec, s[0:1]
	v_mov_b32_e32 v24, 0
	v_mov_b32_e32 v25, 0
	s_waitcnt lgkmcnt(0)
	s_barrier
	s_and_saveexec_b64 s[0:1], s[18:19]
	s_cbranch_execz .LBB72_908
; %bb.903:
	v_mul_u32_u24_e32 v25, 0x208, v18
	ds_read_b64 v[26:27], v14 offset:24992
	ds_read_b64 v[28:29], v25 offset:24960
	v_cmp_gt_u32_e64 s[10:11], 12, v1
	s_waitcnt lgkmcnt(0)
	v_mul_f32_e32 v24, v29, v27
	v_mul_f32_e32 v27, v28, v27
	v_fma_f32 v24, v28, v26, -v24
	v_fmac_f32_e32 v27, v29, v26
	v_add_f32_e32 v24, 0, v24
	v_add_f32_e32 v26, 0, v27
	s_and_saveexec_b64 s[12:13], s[10:11]
	s_cbranch_execnz .LBB72_1164
; %bb.904:
	s_or_b64 exec, exec, s[12:13]
	v_cmp_gt_u32_e64 s[10:11], 8, v1
	s_and_saveexec_b64 s[12:13], s[10:11]
	s_cbranch_execnz .LBB72_1165
.LBB72_905:
	s_or_b64 exec, exec, s[12:13]
	v_cmp_gt_u32_e64 s[10:11], 4, v1
	s_and_saveexec_b64 s[12:13], s[10:11]
	s_cbranch_execz .LBB72_907
.LBB72_906:
	v_lshlrev_b32_e32 v25, 3, v0
	v_mov_b32_e32 v29, 0
	ds_read_b64 v[27:28], v25 offset:26528
	ds_read_b64 v[29:30], v29 offset:24984
	s_waitcnt lgkmcnt(0)
	v_mul_f32_e32 v25, v30, v28
	v_mul_f32_e32 v28, v29, v28
	v_fma_f32 v25, v29, v27, -v25
	v_fmac_f32_e32 v28, v30, v27
	v_add_f32_e32 v24, v24, v25
	v_add_f32_e32 v26, v26, v28
.LBB72_907:
	s_or_b64 exec, exec, s[12:13]
	v_xor_b32_e32 v25, 0x80000000, v24
	v_xor_b32_e32 v24, 0x80000000, v26
.LBB72_908:
	s_or_b64 exec, exec, s[0:1]
	s_and_saveexec_b64 s[0:1], s[40:41]
	s_cbranch_execz .LBB72_910
; %bb.909:
	v_mov_b32_e32 v26, 0
	ds_read_b64 v[26:27], v26 offset:27040
	s_waitcnt lgkmcnt(0)
	v_mul_f32_e32 v29, v24, v27
	v_mul_f32_e32 v28, v25, v27
	v_fma_f32 v27, v25, v26, -v29
	v_fmac_f32_e32 v28, v24, v26
	v_mov_b32_e32 v25, v27
	v_mov_b32_e32 v24, v28
	ds_write_b64 v16, v[27:28]
.LBB72_910:
	s_or_b64 exec, exec, s[0:1]
	s_waitcnt lgkmcnt(0)
	s_barrier
	s_and_saveexec_b64 s[0:1], s[42:43]
	s_cbranch_execz .LBB72_912
; %bb.911:
	ds_read_b64 v[26:27], v15 offset:27040
	ds_read_b64 v[28:29], v16
	s_waitcnt lgkmcnt(0)
	v_mul_f32_e32 v30, v29, v27
	v_mul_f32_e32 v27, v28, v27
	v_fma_f32 v28, v28, v26, -v30
	v_fmac_f32_e32 v27, v29, v26
	v_add_f32_e32 v25, v25, v28
	v_add_f32_e32 v24, v24, v27
.LBB72_912:
	s_or_b64 exec, exec, s[0:1]
	s_barrier
	s_and_saveexec_b64 s[0:1], s[44:45]
	s_cbranch_execz .LBB72_914
; %bb.913:
	v_mov_b32_e32 v26, 0
	ds_read_b64 v[26:27], v26 offset:27560
	s_waitcnt lgkmcnt(0)
	v_mul_f32_e32 v29, v24, v27
	v_mul_f32_e32 v28, v25, v27
	v_fma_f32 v27, v25, v26, -v29
	v_fmac_f32_e32 v28, v24, v26
	v_mov_b32_e32 v25, v27
	v_mov_b32_e32 v24, v28
	ds_write_b64 v16, v[27:28]
.LBB72_914:
	s_or_b64 exec, exec, s[0:1]
	s_waitcnt lgkmcnt(0)
	s_barrier
	s_and_saveexec_b64 s[0:1], s[46:47]
	s_cbranch_execz .LBB72_916
; %bb.915:
	ds_read_b64 v[26:27], v15 offset:27552
	ds_read_b64 v[28:29], v16
	s_waitcnt lgkmcnt(0)
	v_mul_f32_e32 v30, v29, v27
	v_mul_f32_e32 v27, v28, v27
	v_fma_f32 v28, v28, v26, -v30
	v_fmac_f32_e32 v27, v29, v26
	v_add_f32_e32 v25, v25, v28
	v_add_f32_e32 v24, v24, v27
.LBB72_916:
	s_or_b64 exec, exec, s[0:1]
	s_barrier
	s_and_saveexec_b64 s[0:1], s[48:49]
	s_cbranch_execz .LBB72_918
; %bb.917:
	v_mov_b32_e32 v26, 0
	ds_read_b64 v[26:27], v26 offset:28080
	s_waitcnt lgkmcnt(0)
	v_mul_f32_e32 v29, v24, v27
	v_mul_f32_e32 v28, v25, v27
	v_fma_f32 v27, v25, v26, -v29
	v_fmac_f32_e32 v28, v24, v26
	v_mov_b32_e32 v25, v27
	v_mov_b32_e32 v24, v28
	ds_write_b64 v16, v[27:28]
.LBB72_918:
	s_or_b64 exec, exec, s[0:1]
	s_waitcnt lgkmcnt(0)
	s_barrier
	s_and_saveexec_b64 s[0:1], s[38:39]
	s_cbranch_execz .LBB72_920
; %bb.919:
	v_mov_b32_e32 v26, 0
	ds_read_b64 v[26:27], v26 offset:28088
	ds_read_b64 v[28:29], v16
	s_waitcnt lgkmcnt(0)
	v_mul_f32_e32 v30, v29, v27
	v_mul_f32_e32 v27, v28, v27
	v_fma_f32 v28, v28, v26, -v30
	v_fmac_f32_e32 v27, v29, v26
	v_add_f32_e32 v25, v25, v28
	v_add_f32_e32 v24, v24, v27
.LBB72_920:
	s_or_b64 exec, exec, s[0:1]
	s_barrier
	s_and_saveexec_b64 s[0:1], s[38:39]
	s_cbranch_execz .LBB72_922
; %bb.921:
	v_mov_b32_e32 v26, 0
	ds_read_b64 v[26:27], v26 offset:28600
	s_waitcnt lgkmcnt(0)
	v_mul_f32_e32 v29, v24, v27
	v_mul_f32_e32 v28, v25, v27
	v_fma_f32 v27, v25, v26, -v29
	v_fmac_f32_e32 v28, v24, v26
	v_mov_b32_e32 v25, v27
	v_mov_b32_e32 v24, v28
	ds_write_b64 v16, v[27:28]
.LBB72_922:
	s_or_b64 exec, exec, s[0:1]
	s_waitcnt lgkmcnt(0)
	s_barrier
	s_barrier
	s_and_saveexec_b64 s[0:1], s[18:19]
; %bb.923:
	v_xor_b32_e32 v25, 0x80000000, v25
	v_xor_b32_e32 v26, 0x80000000, v24
	ds_write_b64 v14, v[25:26] offset:24992
; %bb.924:
	s_or_b64 exec, exec, s[0:1]
	s_waitcnt lgkmcnt(0)
	s_barrier
	s_barrier
	s_and_saveexec_b64 s[0:1], s[50:51]
	s_cbranch_execz .LBB72_926
; %bb.925:
	v_lshlrev_b32_e32 v26, 9, v0
	ds_read_b64 v[24:25], v26 offset:24992
	s_movk_i32 s10, 0xfe08
	v_mad_i32_i24 v27, v0, s10, v26
	s_waitcnt lgkmcnt(0)
	ds_write_b64 v27, v[24:25] offset:27008
	ds_read_b64 v[24:25], v26 offset:25000
	s_waitcnt lgkmcnt(0)
	ds_write_b64 v27, v[24:25] offset:27520
	ds_read_b64 v[24:25], v26 offset:25008
	;; [unrolled: 3-line block ×3, first 2 shown]
	s_waitcnt lgkmcnt(0)
	ds_write_b64 v27, v[24:25] offset:28544
.LBB72_926:
	s_or_b64 exec, exec, s[0:1]
	s_waitcnt lgkmcnt(0)
	s_barrier
	s_and_saveexec_b64 s[0:1], vcc
	s_cbranch_execz .LBB72_928
; %bb.927:
	v_mov_b32_e32 v28, 0
	ds_read_b128 v[24:27], v28 offset:27040
	ds_read_b64 v[28:29], v28 offset:27560
	s_movk_i32 s10, 0x6800
	s_waitcnt lgkmcnt(0)
	v_mul_f32_e32 v30, v29, v25
	v_mul_f32_e32 v31, v28, v25
	v_fma_f32 v28, v28, v24, -v30
	v_fmac_f32_e32 v31, v29, v24
	v_mul_f32_e32 v24, v31, v27
	v_mul_f32_e32 v25, v28, v27
	v_fma_f32 v24, v28, v26, -v24
	v_fmac_f32_e32 v25, v31, v26
	v_add_u32_e64 v26, s10, 0
	ds_write2_b64 v26, v[24:25], v[24:25] offset0:53 offset1:116
.LBB72_928:
	s_or_b64 exec, exec, s[0:1]
	v_mov_b32_e32 v24, 0
	v_mov_b32_e32 v25, 0
	s_waitcnt lgkmcnt(0)
	s_barrier
	s_and_saveexec_b64 s[0:1], s[2:3]
	s_cbranch_execz .LBB72_932
; %bb.929:
	v_mul_u32_u24_e32 v26, 0x208, v13
	ds_read_b64 v[24:25], v11 offset:27056
	ds_read_b64 v[26:27], v26 offset:27040
	v_cmp_gt_u32_e64 s[10:11], 2, v1
	s_waitcnt lgkmcnt(0)
	v_mul_f32_e32 v28, v27, v25
	v_mul_f32_e32 v25, v26, v25
	v_fma_f32 v26, v26, v24, -v28
	v_fmac_f32_e32 v25, v27, v24
	v_add_f32_e32 v24, 0, v26
	v_add_f32_e32 v26, 0, v25
	s_and_saveexec_b64 s[12:13], s[10:11]
	s_cbranch_execz .LBB72_931
; %bb.930:
	v_lshlrev_b32_e32 v25, 3, v0
	v_mov_b32_e32 v29, 0
	ds_read_b64 v[27:28], v25 offset:27568
	ds_read_b64 v[29:30], v29 offset:27048
	s_waitcnt lgkmcnt(0)
	v_mul_f32_e32 v25, v30, v28
	v_mul_f32_e32 v28, v29, v28
	v_fma_f32 v25, v29, v27, -v25
	v_fmac_f32_e32 v28, v30, v27
	v_add_f32_e32 v24, v24, v25
	v_add_f32_e32 v26, v26, v28
.LBB72_931:
	s_or_b64 exec, exec, s[12:13]
	v_xor_b32_e32 v25, 0x80000000, v24
	v_xor_b32_e32 v24, 0x80000000, v26
.LBB72_932:
	s_or_b64 exec, exec, s[0:1]
	s_and_saveexec_b64 s[0:1], s[34:35]
	s_cbranch_execz .LBB72_934
; %bb.933:
	v_mov_b32_e32 v26, 0
	ds_read_b64 v[26:27], v26 offset:28080
	s_waitcnt lgkmcnt(0)
	v_mul_f32_e32 v29, v24, v27
	v_mul_f32_e32 v28, v25, v27
	v_fma_f32 v27, v25, v26, -v29
	v_fmac_f32_e32 v28, v24, v26
	v_mov_b32_e32 v25, v27
	v_mov_b32_e32 v24, v28
	ds_write_b64 v12, v[27:28]
.LBB72_934:
	s_or_b64 exec, exec, s[0:1]
	s_waitcnt lgkmcnt(0)
	s_barrier
	s_and_saveexec_b64 s[0:1], s[26:27]
	s_cbranch_execz .LBB72_936
; %bb.935:
	v_mov_b32_e32 v26, 0
	ds_read_b64 v[26:27], v26 offset:28088
	ds_read_b64 v[28:29], v12
	s_waitcnt lgkmcnt(0)
	v_mul_f32_e32 v30, v29, v27
	v_mul_f32_e32 v27, v28, v27
	v_fma_f32 v28, v28, v26, -v30
	v_fmac_f32_e32 v27, v29, v26
	v_add_f32_e32 v25, v25, v28
	v_add_f32_e32 v24, v24, v27
.LBB72_936:
	s_or_b64 exec, exec, s[0:1]
	s_barrier
	s_and_saveexec_b64 s[0:1], s[26:27]
	s_cbranch_execz .LBB72_938
; %bb.937:
	v_mov_b32_e32 v26, 0
	ds_read_b64 v[26:27], v26 offset:28600
	s_waitcnt lgkmcnt(0)
	v_mul_f32_e32 v29, v24, v27
	v_mul_f32_e32 v28, v25, v27
	v_fma_f32 v27, v25, v26, -v29
	v_fmac_f32_e32 v28, v24, v26
	v_mov_b32_e32 v25, v27
	v_mov_b32_e32 v24, v28
	ds_write_b64 v12, v[27:28]
.LBB72_938:
	s_or_b64 exec, exec, s[0:1]
	s_waitcnt lgkmcnt(0)
	s_barrier
	s_barrier
	s_and_saveexec_b64 s[0:1], s[2:3]
; %bb.939:
	v_xor_b32_e32 v26, 0x80000000, v24
	v_xor_b32_e32 v25, 0x80000000, v25
	ds_write_b64 v11, v[25:26] offset:27056
; %bb.940:
	s_or_b64 exec, exec, s[0:1]
	s_waitcnt lgkmcnt(0)
	s_barrier
	s_barrier
	s_and_saveexec_b64 s[0:1], s[36:37]
	s_cbranch_execz .LBB72_942
; %bb.941:
	v_lshlrev_b32_e32 v26, 3, v0
	s_movk_i32 s10, 0x1f8
	v_mad_u32_u24 v27, v0, s10, v26
	ds_read_b64 v[24:25], v27 offset:27056
	s_waitcnt lgkmcnt(0)
	ds_write_b64 v26, v[24:25] offset:28064
	ds_read_b64 v[24:25], v27 offset:27064
	s_waitcnt lgkmcnt(0)
	ds_write_b64 v26, v[24:25] offset:28576
.LBB72_942:
	s_or_b64 exec, exec, s[0:1]
	s_waitcnt lgkmcnt(0)
	s_barrier
	s_and_saveexec_b64 s[0:1], vcc
	s_cbranch_execz .LBB72_944
; %bb.943:
	v_mov_b32_e32 v28, 0
	ds_read_b128 v[24:27], v28 offset:28080
	ds_read_b64 v[28:29], v28 offset:28600
	s_movk_i32 s10, 0x6800
	s_waitcnt lgkmcnt(0)
	v_mul_f32_e32 v30, v29, v25
	v_mul_f32_e32 v31, v28, v25
	v_fma_f32 v28, v28, v24, -v30
	v_fmac_f32_e32 v31, v29, v24
	v_mul_f32_e32 v24, v31, v27
	v_mul_f32_e32 v25, v28, v27
	v_fma_f32 v24, v28, v26, -v24
	v_fmac_f32_e32 v25, v31, v26
	v_add_u32_e64 v26, s10, 0
	ds_write2_b64 v26, v[24:25], v[24:25] offset0:183 offset1:246
.LBB72_944:
	s_or_b64 exec, exec, s[0:1]
	v_mov_b32_e32 v24, 0
	v_mov_b32_e32 v25, 0
	s_waitcnt lgkmcnt(0)
	s_barrier
	s_and_saveexec_b64 s[0:1], s[8:9]
	s_cbranch_execz .LBB72_954
; %bb.945:
	v_mul_u32_u24_e32 v25, 0x208, v23
	ds_read_b64 v[26:27], v19 offset:25024
	ds_read_b64 v[28:29], v25 offset:24960
	v_cmp_gt_u32_e64 s[10:11], 56, v1
	s_waitcnt lgkmcnt(0)
	v_mul_f32_e32 v24, v29, v27
	v_mul_f32_e32 v27, v28, v27
	v_fma_f32 v24, v28, v26, -v24
	v_fmac_f32_e32 v27, v29, v26
	v_add_f32_e32 v24, 0, v24
	v_add_f32_e32 v26, 0, v27
	s_and_saveexec_b64 s[12:13], s[10:11]
	s_cbranch_execnz .LBB72_1166
; %bb.946:
	s_or_b64 exec, exec, s[12:13]
	v_cmp_gt_u32_e64 s[10:11], 48, v1
	s_and_saveexec_b64 s[12:13], s[10:11]
	s_cbranch_execnz .LBB72_1167
.LBB72_947:
	s_or_b64 exec, exec, s[12:13]
	v_cmp_gt_u32_e64 s[10:11], 40, v1
	s_and_saveexec_b64 s[12:13], s[10:11]
	s_cbranch_execnz .LBB72_1168
.LBB72_948:
	s_or_b64 exec, exec, s[12:13]
	v_cmp_gt_u32_e64 s[10:11], 32, v1
	s_and_saveexec_b64 s[12:13], s[10:11]
	s_cbranch_execnz .LBB72_1169
.LBB72_949:
	s_or_b64 exec, exec, s[12:13]
	v_cmp_gt_u32_e64 s[10:11], 24, v1
	s_and_saveexec_b64 s[12:13], s[10:11]
	s_cbranch_execnz .LBB72_1170
.LBB72_950:
	s_or_b64 exec, exec, s[12:13]
	v_cmp_gt_u32_e64 s[10:11], 16, v1
	s_and_saveexec_b64 s[12:13], s[10:11]
	s_cbranch_execnz .LBB72_1171
.LBB72_951:
	s_or_b64 exec, exec, s[12:13]
	v_cmp_gt_u32_e64 s[10:11], 8, v1
	s_and_saveexec_b64 s[12:13], s[10:11]
	s_cbranch_execz .LBB72_953
.LBB72_952:
	v_lshlrev_b32_e32 v22, 3, v0
	v_mov_b32_e32 v25, 0
	ds_read_b64 v[22:23], v22 offset:28608
	ds_read_b64 v[27:28], v25 offset:25016
	s_waitcnt lgkmcnt(0)
	v_mul_f32_e32 v25, v28, v23
	v_mul_f32_e32 v23, v27, v23
	v_fma_f32 v25, v27, v22, -v25
	v_fmac_f32_e32 v23, v28, v22
	v_add_f32_e32 v24, v24, v25
	v_add_f32_e32 v26, v26, v23
.LBB72_953:
	s_or_b64 exec, exec, s[12:13]
	v_xor_b32_e32 v25, 0x80000000, v24
	v_xor_b32_e32 v24, 0x80000000, v26
.LBB72_954:
	s_or_b64 exec, exec, s[0:1]
	s_and_saveexec_b64 s[0:1], s[54:55]
	s_cbranch_execz .LBB72_956
; %bb.955:
	v_mov_b32_e32 v22, 0
	ds_read_b64 v[22:23], v22 offset:29120
	s_waitcnt lgkmcnt(0)
	v_mul_f32_e32 v26, v25, v23
	v_mul_f32_e32 v27, v24, v23
	v_fmac_f32_e32 v26, v24, v22
	v_fma_f32 v25, v25, v22, -v27
	v_mov_b32_e32 v24, v26
	ds_write_b64 v21, v[25:26]
.LBB72_956:
	s_or_b64 exec, exec, s[0:1]
	s_waitcnt lgkmcnt(0)
	s_barrier
	s_and_saveexec_b64 s[0:1], s[56:57]
	v_readlane_b32 s54, v42, 1
	v_readlane_b32 s55, v42, 2
	s_cbranch_execz .LBB72_958
; %bb.957:
	ds_read_b64 v[22:23], v20 offset:29120
	ds_read_b64 v[26:27], v21
	s_waitcnt lgkmcnt(0)
	v_mul_f32_e32 v28, v27, v23
	v_mul_f32_e32 v23, v26, v23
	v_fma_f32 v26, v26, v22, -v28
	v_fmac_f32_e32 v23, v27, v22
	v_add_f32_e32 v25, v25, v26
	v_add_f32_e32 v24, v24, v23
.LBB72_958:
	s_or_b64 exec, exec, s[0:1]
	s_barrier
	s_and_saveexec_b64 s[0:1], s[58:59]
	s_cbranch_execz .LBB72_960
; %bb.959:
	v_mov_b32_e32 v22, 0
	ds_read_b64 v[22:23], v22 offset:29640
	s_waitcnt lgkmcnt(0)
	v_mul_f32_e32 v26, v25, v23
	v_mul_f32_e32 v27, v24, v23
	v_fmac_f32_e32 v26, v24, v22
	v_fma_f32 v25, v25, v22, -v27
	v_mov_b32_e32 v24, v26
	ds_write_b64 v21, v[25:26]
.LBB72_960:
	s_or_b64 exec, exec, s[0:1]
	s_waitcnt lgkmcnt(0)
	s_barrier
	s_and_saveexec_b64 s[0:1], s[60:61]
	s_cbranch_execz .LBB72_962
; %bb.961:
	ds_read_b64 v[22:23], v20 offset:29632
	ds_read_b64 v[26:27], v21
	s_waitcnt lgkmcnt(0)
	v_mul_f32_e32 v28, v27, v23
	v_mul_f32_e32 v23, v26, v23
	v_fma_f32 v26, v26, v22, -v28
	v_fmac_f32_e32 v23, v27, v22
	v_add_f32_e32 v25, v25, v26
	v_add_f32_e32 v24, v24, v23
.LBB72_962:
	s_or_b64 exec, exec, s[0:1]
	s_barrier
	s_and_saveexec_b64 s[0:1], s[62:63]
	s_cbranch_execz .LBB72_964
; %bb.963:
	v_mov_b32_e32 v22, 0
	ds_read_b64 v[22:23], v22 offset:30160
	s_waitcnt lgkmcnt(0)
	v_mul_f32_e32 v26, v25, v23
	v_mul_f32_e32 v27, v24, v23
	v_fmac_f32_e32 v26, v24, v22
	v_fma_f32 v25, v25, v22, -v27
	v_mov_b32_e32 v24, v26
	ds_write_b64 v21, v[25:26]
.LBB72_964:
	s_or_b64 exec, exec, s[0:1]
	s_waitcnt lgkmcnt(0)
	s_barrier
	s_and_saveexec_b64 s[0:1], s[64:65]
	;; [unrolled: 31-line block ×6, first 2 shown]
	s_cbranch_execz .LBB72_982
; %bb.981:
	v_mov_b32_e32 v20, 0
	ds_read_b64 v[22:23], v20 offset:32248
	ds_read_b64 v[26:27], v21
	s_waitcnt lgkmcnt(0)
	v_mul_f32_e32 v20, v27, v23
	v_mul_f32_e32 v23, v26, v23
	v_fma_f32 v20, v26, v22, -v20
	v_fmac_f32_e32 v23, v27, v22
	v_add_f32_e32 v25, v25, v20
	v_add_f32_e32 v24, v24, v23
.LBB72_982:
	s_or_b64 exec, exec, s[0:1]
	s_barrier
	s_and_saveexec_b64 s[0:1], s[52:53]
	s_cbranch_execz .LBB72_984
; %bb.983:
	v_mov_b32_e32 v20, 0
	ds_read_b64 v[22:23], v20 offset:32760
	s_waitcnt lgkmcnt(0)
	v_mul_f32_e32 v26, v25, v23
	v_mul_f32_e32 v20, v24, v23
	v_fmac_f32_e32 v26, v24, v22
	v_fma_f32 v25, v25, v22, -v20
	v_mov_b32_e32 v24, v26
	ds_write_b64 v21, v[25:26]
.LBB72_984:
	s_or_b64 exec, exec, s[0:1]
	s_waitcnt lgkmcnt(0)
	s_barrier
	s_barrier
	s_and_saveexec_b64 s[0:1], s[8:9]
; %bb.985:
	v_xor_b32_e32 v21, 0x80000000, v24
	v_xor_b32_e32 v20, 0x80000000, v25
	ds_write_b64 v19, v[20:21] offset:25024
; %bb.986:
	s_or_b64 exec, exec, s[0:1]
	s_waitcnt lgkmcnt(0)
	s_barrier
	s_barrier
	s_and_saveexec_b64 s[0:1], s[80:81]
	s_cbranch_execz .LBB72_988
; %bb.987:
	v_lshlrev_b32_e32 v21, 9, v0
	ds_read_b64 v[19:20], v21 offset:25024
	s_movk_i32 s8, 0xfe08
	v_mad_i32_i24 v22, v0, s8, v21
	s_waitcnt lgkmcnt(0)
	ds_write_b64 v22, v[19:20] offset:29056
	ds_read_b64 v[19:20], v21 offset:25032
	s_waitcnt lgkmcnt(0)
	ds_write_b64 v22, v[19:20] offset:29568
	ds_read_b64 v[19:20], v21 offset:25040
	;; [unrolled: 3-line block ×7, first 2 shown]
	s_waitcnt lgkmcnt(0)
	ds_write_b64 v22, v[19:20] offset:32640
.LBB72_988:
	s_or_b64 exec, exec, s[0:1]
	s_waitcnt lgkmcnt(0)
	s_barrier
	s_and_saveexec_b64 s[0:1], vcc
	s_cbranch_execz .LBB72_990
; %bb.989:
	v_mov_b32_e32 v23, 0
	ds_read_b128 v[19:22], v23 offset:29120
	ds_read_b64 v[23:24], v23 offset:29640
	s_movk_i32 s8, 0x7000
	s_waitcnt lgkmcnt(0)
	v_mul_f32_e32 v25, v24, v20
	v_mul_f32_e32 v26, v23, v20
	v_fma_f32 v23, v23, v19, -v25
	v_fmac_f32_e32 v26, v24, v19
	v_mul_f32_e32 v19, v26, v22
	v_mul_f32_e32 v20, v23, v22
	v_fma_f32 v19, v23, v21, -v19
	v_fmac_f32_e32 v20, v26, v21
	v_add_u32_e64 v21, s8, 0
	ds_write2_b64 v21, v[19:20], v[19:20] offset0:57 offset1:120
.LBB72_990:
	s_or_b64 exec, exec, s[0:1]
	v_mov_b32_e32 v19, 0
	v_mov_b32_e32 v20, 0
	s_waitcnt lgkmcnt(0)
	s_barrier
	s_and_saveexec_b64 s[0:1], s[2:3]
	s_cbranch_execz .LBB72_994
; %bb.991:
	v_mul_u32_u24_e32 v21, 0x208, v13
	ds_read_b64 v[19:20], v11 offset:29136
	ds_read_b64 v[21:22], v21 offset:29120
	v_cmp_gt_u32_e64 s[8:9], 2, v1
	s_waitcnt lgkmcnt(0)
	v_mul_f32_e32 v23, v22, v20
	v_mul_f32_e32 v20, v21, v20
	v_fma_f32 v21, v21, v19, -v23
	v_fmac_f32_e32 v20, v22, v19
	v_add_f32_e32 v19, 0, v21
	v_add_f32_e32 v21, 0, v20
	s_and_saveexec_b64 s[10:11], s[8:9]
	s_cbranch_execz .LBB72_993
; %bb.992:
	v_lshlrev_b32_e32 v20, 3, v0
	v_mov_b32_e32 v24, 0
	ds_read_b64 v[22:23], v20 offset:29648
	ds_read_b64 v[24:25], v24 offset:29128
	s_waitcnt lgkmcnt(0)
	v_mul_f32_e32 v20, v25, v23
	v_mul_f32_e32 v23, v24, v23
	v_fma_f32 v20, v24, v22, -v20
	v_fmac_f32_e32 v23, v25, v22
	v_add_f32_e32 v19, v19, v20
	v_add_f32_e32 v21, v21, v23
.LBB72_993:
	s_or_b64 exec, exec, s[10:11]
	v_xor_b32_e32 v20, 0x80000000, v19
	v_xor_b32_e32 v19, 0x80000000, v21
.LBB72_994:
	s_or_b64 exec, exec, s[0:1]
	s_and_saveexec_b64 s[0:1], s[34:35]
	s_cbranch_execz .LBB72_996
; %bb.995:
	v_mov_b32_e32 v21, 0
	ds_read_b64 v[21:22], v21 offset:30160
	s_waitcnt lgkmcnt(0)
	v_mul_f32_e32 v24, v19, v22
	v_mul_f32_e32 v23, v20, v22
	v_fma_f32 v22, v20, v21, -v24
	v_fmac_f32_e32 v23, v19, v21
	v_mov_b32_e32 v20, v22
	v_mov_b32_e32 v19, v23
	ds_write_b64 v12, v[22:23]
.LBB72_996:
	s_or_b64 exec, exec, s[0:1]
	s_waitcnt lgkmcnt(0)
	s_barrier
	s_and_saveexec_b64 s[0:1], s[26:27]
	s_cbranch_execz .LBB72_998
; %bb.997:
	v_mov_b32_e32 v21, 0
	ds_read_b64 v[21:22], v21 offset:30168
	ds_read_b64 v[23:24], v12
	s_waitcnt lgkmcnt(0)
	v_mul_f32_e32 v25, v24, v22
	v_mul_f32_e32 v22, v23, v22
	v_fma_f32 v23, v23, v21, -v25
	v_fmac_f32_e32 v22, v24, v21
	v_add_f32_e32 v20, v20, v23
	v_add_f32_e32 v19, v19, v22
.LBB72_998:
	s_or_b64 exec, exec, s[0:1]
	s_barrier
	s_and_saveexec_b64 s[0:1], s[26:27]
	s_cbranch_execz .LBB72_1000
; %bb.999:
	v_mov_b32_e32 v21, 0
	ds_read_b64 v[21:22], v21 offset:30680
	s_waitcnt lgkmcnt(0)
	v_mul_f32_e32 v24, v19, v22
	v_mul_f32_e32 v23, v20, v22
	v_fma_f32 v22, v20, v21, -v24
	v_fmac_f32_e32 v23, v19, v21
	v_mov_b32_e32 v20, v22
	v_mov_b32_e32 v19, v23
	ds_write_b64 v12, v[22:23]
.LBB72_1000:
	s_or_b64 exec, exec, s[0:1]
	s_waitcnt lgkmcnt(0)
	s_barrier
	s_barrier
	s_and_saveexec_b64 s[0:1], s[2:3]
; %bb.1001:
	v_xor_b32_e32 v21, 0x80000000, v19
	v_xor_b32_e32 v20, 0x80000000, v20
	ds_write_b64 v11, v[20:21] offset:29136
; %bb.1002:
	s_or_b64 exec, exec, s[0:1]
	s_waitcnt lgkmcnt(0)
	s_barrier
	s_barrier
	s_and_saveexec_b64 s[0:1], s[36:37]
	s_cbranch_execz .LBB72_1004
; %bb.1003:
	v_lshlrev_b32_e32 v21, 3, v0
	s_movk_i32 s8, 0x1f8
	v_mad_u32_u24 v22, v0, s8, v21
	ds_read_b64 v[19:20], v22 offset:29136
	s_waitcnt lgkmcnt(0)
	ds_write_b64 v21, v[19:20] offset:30144
	ds_read_b64 v[19:20], v22 offset:29144
	s_waitcnt lgkmcnt(0)
	ds_write_b64 v21, v[19:20] offset:30656
.LBB72_1004:
	s_or_b64 exec, exec, s[0:1]
	s_waitcnt lgkmcnt(0)
	s_barrier
	s_and_saveexec_b64 s[0:1], vcc
	s_cbranch_execz .LBB72_1006
; %bb.1005:
	v_mov_b32_e32 v23, 0
	ds_read_b128 v[19:22], v23 offset:30160
	ds_read_b64 v[23:24], v23 offset:30680
	s_movk_i32 s8, 0x7000
	s_waitcnt lgkmcnt(0)
	v_mul_f32_e32 v25, v24, v20
	v_mul_f32_e32 v26, v23, v20
	v_fma_f32 v23, v23, v19, -v25
	v_fmac_f32_e32 v26, v24, v19
	v_mul_f32_e32 v19, v26, v22
	v_mul_f32_e32 v20, v23, v22
	v_fma_f32 v19, v23, v21, -v19
	v_fmac_f32_e32 v20, v26, v21
	v_add_u32_e64 v21, s8, 0
	ds_write2_b64 v21, v[19:20], v[19:20] offset0:187 offset1:250
.LBB72_1006:
	s_or_b64 exec, exec, s[0:1]
	v_mov_b32_e32 v19, 0
	v_mov_b32_e32 v20, 0
	s_waitcnt lgkmcnt(0)
	s_barrier
	s_and_saveexec_b64 s[0:1], s[18:19]
	s_cbranch_execz .LBB72_1012
; %bb.1007:
	v_mul_u32_u24_e32 v20, 0x208, v18
	ds_read_b64 v[21:22], v14 offset:29152
	ds_read_b64 v[23:24], v20 offset:29120
	v_cmp_gt_u32_e64 s[8:9], 12, v1
	s_waitcnt lgkmcnt(0)
	v_mul_f32_e32 v19, v24, v22
	v_mul_f32_e32 v22, v23, v22
	v_fma_f32 v19, v23, v21, -v19
	v_fmac_f32_e32 v22, v24, v21
	v_add_f32_e32 v19, 0, v19
	v_add_f32_e32 v21, 0, v22
	s_and_saveexec_b64 s[10:11], s[8:9]
	s_cbranch_execnz .LBB72_1172
; %bb.1008:
	s_or_b64 exec, exec, s[10:11]
	v_cmp_gt_u32_e64 s[8:9], 8, v1
	s_and_saveexec_b64 s[10:11], s[8:9]
	s_cbranch_execnz .LBB72_1173
.LBB72_1009:
	s_or_b64 exec, exec, s[10:11]
	v_cmp_gt_u32_e64 s[8:9], 4, v1
	s_and_saveexec_b64 s[10:11], s[8:9]
	s_cbranch_execz .LBB72_1011
.LBB72_1010:
	v_lshlrev_b32_e32 v17, 3, v0
	v_mov_b32_e32 v20, 0
	ds_read_b64 v[17:18], v17 offset:30688
	ds_read_b64 v[22:23], v20 offset:29144
	s_waitcnt lgkmcnt(0)
	v_mul_f32_e32 v20, v23, v18
	v_mul_f32_e32 v18, v22, v18
	v_fma_f32 v20, v22, v17, -v20
	v_fmac_f32_e32 v18, v23, v17
	v_add_f32_e32 v19, v19, v20
	v_add_f32_e32 v21, v21, v18
.LBB72_1011:
	s_or_b64 exec, exec, s[10:11]
	v_xor_b32_e32 v20, 0x80000000, v19
	v_xor_b32_e32 v19, 0x80000000, v21
.LBB72_1012:
	s_or_b64 exec, exec, s[0:1]
	s_and_saveexec_b64 s[0:1], s[40:41]
	s_cbranch_execz .LBB72_1014
; %bb.1013:
	v_mov_b32_e32 v17, 0
	ds_read_b64 v[17:18], v17 offset:31200
	s_waitcnt lgkmcnt(0)
	v_mul_f32_e32 v21, v20, v18
	v_mul_f32_e32 v22, v19, v18
	v_fmac_f32_e32 v21, v19, v17
	v_fma_f32 v20, v20, v17, -v22
	v_mov_b32_e32 v19, v21
	ds_write_b64 v16, v[20:21]
.LBB72_1014:
	s_or_b64 exec, exec, s[0:1]
	s_waitcnt lgkmcnt(0)
	s_barrier
	s_and_saveexec_b64 s[0:1], s[42:43]
	v_readlane_b32 s40, v42, 0
	s_cbranch_execz .LBB72_1016
; %bb.1015:
	ds_read_b64 v[17:18], v15 offset:31200
	ds_read_b64 v[21:22], v16
	s_waitcnt lgkmcnt(0)
	v_mul_f32_e32 v23, v22, v18
	v_mul_f32_e32 v18, v21, v18
	v_fma_f32 v21, v21, v17, -v23
	v_fmac_f32_e32 v18, v22, v17
	v_add_f32_e32 v20, v20, v21
	v_add_f32_e32 v19, v19, v18
.LBB72_1016:
	s_or_b64 exec, exec, s[0:1]
	s_barrier
	s_and_saveexec_b64 s[0:1], s[44:45]
	s_cbranch_execz .LBB72_1018
; %bb.1017:
	v_mov_b32_e32 v17, 0
	ds_read_b64 v[17:18], v17 offset:31720
	s_waitcnt lgkmcnt(0)
	v_mul_f32_e32 v21, v20, v18
	v_mul_f32_e32 v22, v19, v18
	v_fmac_f32_e32 v21, v19, v17
	v_fma_f32 v20, v20, v17, -v22
	v_mov_b32_e32 v19, v21
	ds_write_b64 v16, v[20:21]
.LBB72_1018:
	s_or_b64 exec, exec, s[0:1]
	s_waitcnt lgkmcnt(0)
	s_barrier
	s_and_saveexec_b64 s[0:1], s[46:47]
	s_cbranch_execz .LBB72_1020
; %bb.1019:
	ds_read_b64 v[17:18], v15 offset:31712
	ds_read_b64 v[21:22], v16
	s_waitcnt lgkmcnt(0)
	v_mul_f32_e32 v15, v22, v18
	v_mul_f32_e32 v18, v21, v18
	v_fma_f32 v15, v21, v17, -v15
	v_fmac_f32_e32 v18, v22, v17
	v_add_f32_e32 v20, v20, v15
	v_add_f32_e32 v19, v19, v18
.LBB72_1020:
	s_or_b64 exec, exec, s[0:1]
	s_barrier
	s_and_saveexec_b64 s[0:1], s[48:49]
	s_cbranch_execz .LBB72_1022
; %bb.1021:
	v_mov_b32_e32 v15, 0
	ds_read_b64 v[17:18], v15 offset:32240
	s_waitcnt lgkmcnt(0)
	v_mul_f32_e32 v21, v20, v18
	v_mul_f32_e32 v15, v19, v18
	v_fmac_f32_e32 v21, v19, v17
	v_fma_f32 v20, v20, v17, -v15
	v_mov_b32_e32 v19, v21
	ds_write_b64 v16, v[20:21]
.LBB72_1022:
	s_or_b64 exec, exec, s[0:1]
	s_waitcnt lgkmcnt(0)
	s_barrier
	s_and_saveexec_b64 s[0:1], s[38:39]
	s_cbranch_execz .LBB72_1024
; %bb.1023:
	v_mov_b32_e32 v15, 0
	ds_read_b64 v[17:18], v15 offset:32248
	ds_read_b64 v[21:22], v16
	s_waitcnt lgkmcnt(0)
	v_mul_f32_e32 v15, v22, v18
	v_mul_f32_e32 v18, v21, v18
	v_fma_f32 v15, v21, v17, -v15
	v_fmac_f32_e32 v18, v22, v17
	v_add_f32_e32 v20, v20, v15
	v_add_f32_e32 v19, v19, v18
.LBB72_1024:
	s_or_b64 exec, exec, s[0:1]
	s_barrier
	s_and_saveexec_b64 s[0:1], s[38:39]
	s_cbranch_execz .LBB72_1026
; %bb.1025:
	v_mov_b32_e32 v15, 0
	ds_read_b64 v[17:18], v15 offset:32760
	s_waitcnt lgkmcnt(0)
	v_mul_f32_e32 v21, v20, v18
	v_mul_f32_e32 v15, v19, v18
	v_fmac_f32_e32 v21, v19, v17
	v_fma_f32 v20, v20, v17, -v15
	v_mov_b32_e32 v19, v21
	ds_write_b64 v16, v[20:21]
.LBB72_1026:
	s_or_b64 exec, exec, s[0:1]
	s_waitcnt lgkmcnt(0)
	s_barrier
	s_barrier
	s_and_saveexec_b64 s[0:1], s[18:19]
; %bb.1027:
	v_xor_b32_e32 v15, 0x80000000, v20
	v_xor_b32_e32 v16, 0x80000000, v19
	ds_write_b64 v14, v[15:16] offset:29152
; %bb.1028:
	s_or_b64 exec, exec, s[0:1]
	s_waitcnt lgkmcnt(0)
	s_barrier
	s_barrier
	s_and_saveexec_b64 s[0:1], s[50:51]
	s_cbranch_execz .LBB72_1030
; %bb.1029:
	v_lshlrev_b32_e32 v16, 9, v0
	ds_read_b64 v[14:15], v16 offset:29152
	s_movk_i32 s8, 0xfe08
	v_mad_i32_i24 v17, v0, s8, v16
	s_waitcnt lgkmcnt(0)
	ds_write_b64 v17, v[14:15] offset:31168
	ds_read_b64 v[14:15], v16 offset:29160
	s_waitcnt lgkmcnt(0)
	ds_write_b64 v17, v[14:15] offset:31680
	ds_read_b64 v[14:15], v16 offset:29168
	;; [unrolled: 3-line block ×3, first 2 shown]
	s_waitcnt lgkmcnt(0)
	ds_write_b64 v17, v[14:15] offset:32704
.LBB72_1030:
	s_or_b64 exec, exec, s[0:1]
	s_waitcnt lgkmcnt(0)
	s_barrier
	s_and_saveexec_b64 s[0:1], vcc
	s_cbranch_execz .LBB72_1032
; %bb.1031:
	v_mov_b32_e32 v18, 0
	ds_read_b128 v[14:17], v18 offset:31200
	ds_read_b64 v[18:19], v18 offset:31720
	s_movk_i32 s8, 0x7800
	s_waitcnt lgkmcnt(0)
	v_mul_f32_e32 v20, v19, v15
	v_mul_f32_e32 v21, v18, v15
	v_fma_f32 v18, v18, v14, -v20
	v_fmac_f32_e32 v21, v19, v14
	v_mul_f32_e32 v14, v21, v17
	v_mul_f32_e32 v15, v18, v17
	v_fma_f32 v14, v18, v16, -v14
	v_fmac_f32_e32 v15, v21, v16
	v_add_u32_e64 v16, s8, 0
	ds_write2_b64 v16, v[14:15], v[14:15] offset0:61 offset1:124
.LBB72_1032:
	s_or_b64 exec, exec, s[0:1]
	v_mov_b32_e32 v14, 0
	v_mov_b32_e32 v15, 0
	s_waitcnt lgkmcnt(0)
	s_barrier
	s_and_saveexec_b64 s[0:1], s[2:3]
	s_cbranch_execz .LBB72_1036
; %bb.1033:
	v_mul_u32_u24_e32 v15, 0x208, v13
	ds_read_b64 v[13:14], v11 offset:31216
	ds_read_b64 v[15:16], v15 offset:31200
	v_cmp_gt_u32_e64 s[8:9], 2, v1
	s_waitcnt lgkmcnt(0)
	v_mul_f32_e32 v17, v16, v14
	v_mul_f32_e32 v14, v15, v14
	v_fma_f32 v15, v15, v13, -v17
	v_fmac_f32_e32 v14, v16, v13
	v_add_f32_e32 v13, 0, v15
	v_add_f32_e32 v14, 0, v14
	s_and_saveexec_b64 s[10:11], s[8:9]
	s_cbranch_execz .LBB72_1035
; %bb.1034:
	v_lshlrev_b32_e32 v15, 3, v0
	v_mov_b32_e32 v17, 0
	ds_read_b64 v[15:16], v15 offset:31728
	ds_read_b64 v[17:18], v17 offset:31208
	s_waitcnt lgkmcnt(0)
	v_mul_f32_e32 v19, v18, v16
	v_mul_f32_e32 v16, v17, v16
	v_fma_f32 v17, v17, v15, -v19
	v_fmac_f32_e32 v16, v18, v15
	v_add_f32_e32 v13, v13, v17
	v_add_f32_e32 v14, v14, v16
.LBB72_1035:
	s_or_b64 exec, exec, s[10:11]
	v_xor_b32_e32 v15, 0x80000000, v13
	v_xor_b32_e32 v14, 0x80000000, v14
.LBB72_1036:
	s_or_b64 exec, exec, s[0:1]
	s_and_saveexec_b64 s[0:1], s[34:35]
	s_cbranch_execz .LBB72_1038
; %bb.1037:
	v_mov_b32_e32 v13, 0
	ds_read_b64 v[16:17], v13 offset:32240
	s_waitcnt lgkmcnt(0)
	v_mul_f32_e32 v13, v14, v17
	v_mul_f32_e32 v18, v15, v17
	v_fma_f32 v17, v15, v16, -v13
	v_fmac_f32_e32 v18, v14, v16
	v_mov_b32_e32 v15, v17
	v_mov_b32_e32 v14, v18
	ds_write_b64 v12, v[17:18]
.LBB72_1038:
	s_or_b64 exec, exec, s[0:1]
	s_waitcnt lgkmcnt(0)
	s_barrier
	s_and_saveexec_b64 s[0:1], s[26:27]
	s_load_dword s20, s[4:5], 0x6c
	s_cbranch_execz .LBB72_1040
; %bb.1039:
	v_mov_b32_e32 v13, 0
	ds_read_b64 v[16:17], v13 offset:32248
	ds_read_b64 v[18:19], v12
	s_waitcnt lgkmcnt(0)
	v_mul_f32_e32 v13, v19, v17
	v_mul_f32_e32 v17, v18, v17
	v_fma_f32 v13, v18, v16, -v13
	v_fmac_f32_e32 v17, v19, v16
	v_add_f32_e32 v15, v15, v13
	v_add_f32_e32 v14, v14, v17
.LBB72_1040:
	s_or_b64 exec, exec, s[0:1]
	s_waitcnt lgkmcnt(0)
	s_barrier
	s_and_saveexec_b64 s[0:1], s[26:27]
	s_cbranch_execz .LBB72_1042
; %bb.1041:
	v_mov_b32_e32 v13, 0
	ds_read_b64 v[16:17], v13 offset:32760
	s_waitcnt lgkmcnt(0)
	v_mul_f32_e32 v13, v14, v17
	v_mul_f32_e32 v18, v15, v17
	v_fma_f32 v17, v15, v16, -v13
	v_fmac_f32_e32 v18, v14, v16
	v_mov_b32_e32 v15, v17
	v_mov_b32_e32 v14, v18
	ds_write_b64 v12, v[17:18]
.LBB72_1042:
	s_or_b64 exec, exec, s[0:1]
	s_waitcnt lgkmcnt(0)
	s_barrier
	s_barrier
	s_and_saveexec_b64 s[0:1], s[2:3]
; %bb.1043:
	v_xor_b32_e32 v13, 0x80000000, v14
	v_xor_b32_e32 v12, 0x80000000, v15
	ds_write_b64 v11, v[12:13] offset:31216
; %bb.1044:
	s_or_b64 exec, exec, s[0:1]
	s_waitcnt lgkmcnt(0)
	s_barrier
	s_barrier
	s_and_saveexec_b64 s[0:1], s[36:37]
	s_cbranch_execz .LBB72_1046
; %bb.1045:
	v_lshlrev_b32_e32 v13, 3, v0
	s_movk_i32 s2, 0x1f8
	v_mad_u32_u24 v14, v0, s2, v13
	ds_read_b64 v[11:12], v14 offset:31216
	s_waitcnt lgkmcnt(0)
	ds_write_b64 v13, v[11:12] offset:32224
	ds_read_b64 v[11:12], v14 offset:31224
	s_waitcnt lgkmcnt(0)
	ds_write_b64 v13, v[11:12] offset:32736
.LBB72_1046:
	s_or_b64 exec, exec, s[0:1]
	s_waitcnt lgkmcnt(0)
	s_barrier
	s_and_saveexec_b64 s[0:1], vcc
	s_cbranch_execz .LBB72_1048
; %bb.1047:
	v_mov_b32_e32 v15, 0
	ds_read_b128 v[11:14], v15 offset:32240
	ds_read_b64 v[15:16], v15 offset:32760
	s_movk_i32 s2, 0x7800
	s_waitcnt lgkmcnt(0)
	v_mul_f32_e32 v17, v16, v12
	v_mul_f32_e32 v18, v15, v12
	v_fma_f32 v15, v15, v11, -v17
	v_fmac_f32_e32 v18, v16, v11
	v_mul_f32_e32 v11, v18, v14
	v_mul_f32_e32 v12, v15, v14
	v_fma_f32 v11, v15, v13, -v11
	v_fmac_f32_e32 v12, v18, v13
	v_add_u32_e64 v13, s2, 0
	ds_write2_b64 v13, v[11:12], v[11:12] offset0:191 offset1:254
.LBB72_1048:
	s_or_b64 exec, exec, s[0:1]
.LBB72_1049:
	s_load_dwordx8 s[12:19], s[4:5], 0x30
	s_load_dwordx2 s[0:1], s[4:5], 0x50
	v_cmp_le_i32_e32 vcc, s86, v0
	v_mov_b32_e32 v11, 0
	v_add_u32_e32 v13, s33, v0
	s_waitcnt lgkmcnt(0)
	s_mul_i32 s3, s19, s28
	s_mul_hi_u32 s8, s18, s28
	s_mul_i32 s2, s18, s28
	s_add_i32 s3, s8, s3
	s_lshl_b64 s[2:3], s[2:3], 3
	s_add_u32 s8, s12, s2
	s_addc_u32 s9, s13, s3
	s_lshl_b64 s[2:3], s[14:15], 3
	s_add_u32 s26, s8, s2
	s_addc_u32 s27, s9, s3
	s_and_b64 s[14:15], vcc, s[22:23]
	v_cmp_eq_u32_e64 s[2:3], 0, v2
	s_xor_b64 s[8:9], s[14:15], -1
	s_and_b64 s[10:11], s[2:3], s[8:9]
	v_mov_b32_e32 v12, 0
	s_barrier
	s_and_saveexec_b64 s[8:9], s[10:11]
	s_cbranch_execz .LBB72_1051
; %bb.1050:
	v_ashrrev_i32_e32 v14, 31, v13
	v_mul_lo_u32 v15, s17, v13
	v_mad_u64_u32 v[11:12], s[10:11], s16, v13, 0
	v_mul_lo_u32 v14, s16, v14
	s_load_dwordx2 s[10:11], s[4:5], 0x28
	v_add3_u32 v12, v12, v14, v15
	v_lshlrev_b64 v[11:12], 3, v[11:12]
	v_mov_b32_e32 v14, s27
	v_add_co_u32_e32 v11, vcc, s26, v11
	v_addc_co_u32_e32 v12, vcc, v14, v12, vcc
	global_load_dwordx2 v[14:15], v[11:12], off
	s_waitcnt vmcnt(0) lgkmcnt(0)
	v_mul_f32_e32 v11, s10, v14
	v_mul_f32_e32 v12, s10, v15
	v_fma_f32 v11, s11, v15, -v11
	v_fma_f32 v12, v14, -s11, -v12
.LBB72_1051:
	s_or_b64 exec, exec, s[8:9]
	s_and_b32 s4, 0xffff, s20
	v_mad_u32_u24 v18, v2, s4, v0
	s_cmp_lt_i32 s6, 1
	v_cmp_eq_u32_e64 s[4:5], 0, v18
	s_cbranch_scc1 .LBB72_1086
; %bb.1052:
	v_ashrrev_i32_e32 v16, 31, v13
	v_mul_lo_u32 v17, s25, v13
	v_mad_u64_u32 v[14:15], s[8:9], s24, v13, 0
	v_mul_lo_u32 v16, s24, v16
	s_lshl_b64 s[8:9], s[28:29], 2
	s_add_u32 s18, s0, s8
	s_addc_u32 s19, s1, s9
	v_add3_u32 v15, v15, v16, v17
	v_cmp_gt_i32_e64 s[8:9], s30, v13
	v_lshlrev_b64 v[13:14], 3, v[14:15]
	v_mov_b32_e32 v16, 0xa000
	v_mov_b32_e32 v15, s88
	v_add_co_u32_e32 v21, vcc, s87, v13
	s_mov_b32 s24, 0
	v_cmp_gt_u32_e64 s[12:13], 64, v18
	v_lshl_add_u32 v19, v18, 3, v16
	v_lshl_or_b32 v20, v2, 3, v16
	s_add_i32 s89, s89, 1
	v_addc_co_u32_e32 v22, vcc, v15, v14, vcc
	v_mov_b32_e32 v23, -1
	v_mov_b32_e32 v13, 0
	s_branch .LBB72_1055
.LBB72_1053:                            ;   in Loop: Header=BB72_1055 Depth=1
	ds_read_b64 v[14:15], v20 offset:384
	s_waitcnt vmcnt(0) lgkmcnt(0)
	v_mul_f32_e32 v24, v17, v15
	v_mul_f32_e32 v17, v17, v14
	v_fmac_f32_e32 v24, v16, v14
	v_fma_f32 v14, v16, v15, -v17
	v_add_f32_e32 v11, v11, v24
	v_add_f32_e32 v12, v12, v14
.LBB72_1054:                            ;   in Loop: Header=BB72_1055 Depth=1
	s_or_b64 exec, exec, s[20:21]
	s_add_i32 s24, s24, 1
	s_cmp_eq_u32 s24, s6
	s_cbranch_scc1 .LBB72_1086
.LBB72_1055:                            ; =>This Loop Header: Depth=1
                                        ;     Child Loop BB72_1057 Depth 2
	v_cmp_gt_i32_e32 vcc, s24, v23
	s_and_b64 s[20:21], s[4:5], vcc
	s_and_saveexec_b64 s[10:11], s[20:21]
	s_cbranch_execz .LBB72_1058
; %bb.1056:                             ;   in Loop: Header=BB72_1055 Depth=1
	global_load_dword v23, v13, s[18:19]
	s_waitcnt vmcnt(0)
	v_cmp_le_i32_e32 vcc, s24, v23
	s_cbranch_vccnz .LBB72_1058
.LBB72_1057:                            ;   Parent Loop BB72_1055 Depth=1
                                        ; =>  This Inner Loop Header: Depth=2
	buffer_wbinvl1_vol
	global_load_dword v23, v13, s[18:19]
	s_waitcnt vmcnt(0)
	v_cmp_gt_i32_e32 vcc, s24, v23
	s_cbranch_vccnz .LBB72_1057
.LBB72_1058:                            ;   in Loop: Header=BB72_1055 Depth=1
	s_or_b64 exec, exec, s[10:11]
	s_sub_i32 s25, s7, s24
	s_lshl_b32 s34, s25, 6
	buffer_wbinvl1_vol
	s_barrier
	s_and_saveexec_b64 s[10:11], s[12:13]
	s_cbranch_execz .LBB72_1063
; %bb.1059:                             ;   in Loop: Header=BB72_1055 Depth=1
	s_ashr_i32 s20, s34, 31
	v_mov_b32_e32 v15, s20
	v_or_b32_e32 v14, s34, v18
	v_cmp_le_i64_e32 vcc, s[30:31], v[14:15]
	s_and_saveexec_b64 s[20:21], vcc
	s_xor_b64 s[20:21], exec, s[20:21]
; %bb.1060:                             ;   in Loop: Header=BB72_1055 Depth=1
	v_mov_b32_e32 v14, v13
	ds_write_b64 v19, v[13:14]
                                        ; implicit-def: $vgpr14_vgpr15
; %bb.1061:                             ;   in Loop: Header=BB72_1055 Depth=1
	s_andn2_saveexec_b64 s[20:21], s[20:21]
	s_cbranch_execz .LBB72_1063
; %bb.1062:                             ;   in Loop: Header=BB72_1055 Depth=1
	v_mul_lo_u32 v16, v15, s16
	v_mul_lo_u32 v17, v14, s17
	v_mad_u64_u32 v[14:15], s[20:21], v14, s16, 0
	v_add3_u32 v15, v15, v17, v16
	v_lshlrev_b64 v[14:15], 3, v[14:15]
	v_mov_b32_e32 v16, s27
	v_add_co_u32_e32 v14, vcc, s26, v14
	v_addc_co_u32_e32 v15, vcc, v16, v15, vcc
	global_load_dwordx2 v[14:15], v[14:15], off
	s_waitcnt vmcnt(0)
	ds_write_b64 v19, v[14:15]
.LBB72_1063:                            ;   in Loop: Header=BB72_1055 Depth=1
	s_or_b64 exec, exec, s[10:11]
	v_add_u32_e32 v16, s34, v2
	v_ashrrev_i32_e32 v17, 31, v16
	v_lshlrev_b64 v[14:15], 3, v[16:17]
	s_cmp_lg_u32 s25, s89
	v_add_co_u32_e32 v14, vcc, v21, v14
	s_cselect_b64 s[10:11], -1, 0
	v_addc_co_u32_e32 v15, vcc, v22, v15, vcc
	v_cmp_gt_i32_e32 vcc, s30, v16
	v_cndmask_b32_e64 v17, 0, 1, s[10:11]
	s_and_b64 s[34:35], vcc, s[8:9]
	v_cmp_ne_u32_e64 s[10:11], 1, v17
	s_waitcnt lgkmcnt(0)
	s_barrier
	s_and_saveexec_b64 s[20:21], s[34:35]
	s_cbranch_execz .LBB72_1069
; %bb.1064:                             ;   in Loop: Header=BB72_1055 Depth=1
	s_and_b64 vcc, exec, s[10:11]
	v_mov_b32_e32 v17, v5
	s_cbranch_vccnz .LBB72_1066
; %bb.1065:                             ;   in Loop: Header=BB72_1055 Depth=1
	global_load_dword v17, v[14:15], off
.LBB72_1066:                            ;   in Loop: Header=BB72_1055 Depth=1
	s_and_b64 vcc, exec, s[10:11]
	v_mov_b32_e32 v24, v6
	s_cbranch_vccnz .LBB72_1068
; %bb.1067:                             ;   in Loop: Header=BB72_1055 Depth=1
	global_load_dword v24, v[14:15], off offset:4
.LBB72_1068:                            ;   in Loop: Header=BB72_1055 Depth=1
	ds_read_b64 v[25:26], v20
	s_waitcnt vmcnt(0) lgkmcnt(0)
	v_mul_f32_e32 v27, v24, v26
	v_mul_f32_e32 v24, v24, v25
	v_fmac_f32_e32 v27, v17, v25
	v_fma_f32 v17, v17, v26, -v24
	v_add_f32_e32 v11, v11, v27
	v_add_f32_e32 v12, v12, v17
.LBB72_1069:                            ;   in Loop: Header=BB72_1055 Depth=1
	s_or_b64 exec, exec, s[20:21]
	v_add_u32_e32 v17, 16, v16
	v_cmp_gt_i32_e32 vcc, s30, v17
	s_and_b64 s[34:35], vcc, s[8:9]
	s_and_saveexec_b64 s[20:21], s[34:35]
	s_cbranch_execz .LBB72_1075
; %bb.1070:                             ;   in Loop: Header=BB72_1055 Depth=1
	s_and_b64 vcc, exec, s[10:11]
	v_mov_b32_e32 v17, v3
	s_cbranch_vccnz .LBB72_1072
; %bb.1071:                             ;   in Loop: Header=BB72_1055 Depth=1
	global_load_dword v17, v[14:15], off offset:128
.LBB72_1072:                            ;   in Loop: Header=BB72_1055 Depth=1
	s_and_b64 vcc, exec, s[10:11]
	v_mov_b32_e32 v24, v4
	s_cbranch_vccnz .LBB72_1074
; %bb.1073:                             ;   in Loop: Header=BB72_1055 Depth=1
	global_load_dword v24, v[14:15], off offset:132
.LBB72_1074:                            ;   in Loop: Header=BB72_1055 Depth=1
	ds_read_b64 v[25:26], v20 offset:128
	s_waitcnt vmcnt(0) lgkmcnt(0)
	v_mul_f32_e32 v27, v24, v26
	v_mul_f32_e32 v24, v24, v25
	v_fmac_f32_e32 v27, v17, v25
	v_fma_f32 v17, v17, v26, -v24
	v_add_f32_e32 v11, v11, v27
	v_add_f32_e32 v12, v12, v17
.LBB72_1075:                            ;   in Loop: Header=BB72_1055 Depth=1
	s_or_b64 exec, exec, s[20:21]
	v_add_u32_e32 v17, 32, v16
	v_cmp_gt_i32_e32 vcc, s30, v17
	s_and_b64 s[34:35], vcc, s[8:9]
	s_and_saveexec_b64 s[20:21], s[34:35]
	s_cbranch_execz .LBB72_1081
; %bb.1076:                             ;   in Loop: Header=BB72_1055 Depth=1
	s_and_b64 vcc, exec, s[10:11]
	v_mov_b32_e32 v17, v9
	s_cbranch_vccnz .LBB72_1078
; %bb.1077:                             ;   in Loop: Header=BB72_1055 Depth=1
	global_load_dword v17, v[14:15], off offset:256
.LBB72_1078:                            ;   in Loop: Header=BB72_1055 Depth=1
	s_and_b64 vcc, exec, s[10:11]
	v_mov_b32_e32 v24, v10
	s_cbranch_vccnz .LBB72_1080
; %bb.1079:                             ;   in Loop: Header=BB72_1055 Depth=1
	global_load_dword v24, v[14:15], off offset:260
.LBB72_1080:                            ;   in Loop: Header=BB72_1055 Depth=1
	ds_read_b64 v[25:26], v20 offset:256
	s_waitcnt vmcnt(0) lgkmcnt(0)
	v_mul_f32_e32 v27, v24, v26
	v_mul_f32_e32 v24, v24, v25
	v_fmac_f32_e32 v27, v17, v25
	v_fma_f32 v17, v17, v26, -v24
	v_add_f32_e32 v11, v11, v27
	v_add_f32_e32 v12, v12, v17
.LBB72_1081:                            ;   in Loop: Header=BB72_1055 Depth=1
	s_or_b64 exec, exec, s[20:21]
	v_add_u32_e32 v16, 48, v16
	v_cmp_gt_i32_e32 vcc, s30, v16
	s_and_b64 s[34:35], vcc, s[8:9]
	s_and_saveexec_b64 s[20:21], s[34:35]
	s_cbranch_execz .LBB72_1054
; %bb.1082:                             ;   in Loop: Header=BB72_1055 Depth=1
	s_and_b64 vcc, exec, s[10:11]
	v_mov_b32_e32 v16, v7
	s_cbranch_vccnz .LBB72_1084
; %bb.1083:                             ;   in Loop: Header=BB72_1055 Depth=1
	global_load_dword v16, v[14:15], off offset:384
.LBB72_1084:                            ;   in Loop: Header=BB72_1055 Depth=1
	s_and_b64 vcc, exec, s[10:11]
	v_mov_b32_e32 v17, v8
	s_cbranch_vccnz .LBB72_1053
; %bb.1085:                             ;   in Loop: Header=BB72_1055 Depth=1
	global_load_dword v17, v[14:15], off offset:388
	s_branch .LBB72_1053
.LBB72_1086:
	s_xor_b64 s[4:5], s[22:23], -1
	v_lshlrev_b32_e32 v1, 3, v1
	ds_write_b64 v1, v[11:12] offset:32768
	s_waitcnt lgkmcnt(0)
	s_barrier
	s_and_saveexec_b64 s[6:7], s[2:3]
	s_cbranch_execz .LBB72_1088
; %bb.1087:
	v_lshlrev_b32_e32 v15, 3, v0
	ds_read2st64_b64 v[3:6], v15 offset0:65 offset1:66
	ds_read2st64_b64 v[7:10], v15 offset0:67 offset1:68
	ds_read_b64 v[13:14], v15 offset:40448
	s_waitcnt lgkmcnt(2)
	v_add_f32_e32 v3, v11, v3
	v_add_f32_e32 v4, v12, v4
	;; [unrolled: 1-line block ×4, first 2 shown]
	ds_read2st64_b64 v[3:6], v15 offset0:69 offset1:70
	s_waitcnt lgkmcnt(2)
	v_add_f32_e32 v7, v11, v7
	v_add_f32_e32 v8, v12, v8
	;; [unrolled: 1-line block ×4, first 2 shown]
	s_waitcnt lgkmcnt(0)
	v_add_f32_e32 v3, v7, v3
	ds_read2st64_b64 v[7:10], v15 offset0:71 offset1:72
	v_add_f32_e32 v4, v11, v4
	v_add_f32_e32 v11, v3, v5
	;; [unrolled: 1-line block ×3, first 2 shown]
	ds_read2st64_b64 v[3:6], v15 offset0:73 offset1:74
	s_waitcnt lgkmcnt(1)
	v_add_f32_e32 v7, v11, v7
	v_add_f32_e32 v8, v12, v8
	;; [unrolled: 1-line block ×4, first 2 shown]
	s_waitcnt lgkmcnt(0)
	v_add_f32_e32 v3, v7, v3
	ds_read2st64_b64 v[7:10], v15 offset0:75 offset1:76
	v_add_f32_e32 v4, v11, v4
	v_add_f32_e32 v11, v3, v5
	;; [unrolled: 1-line block ×3, first 2 shown]
	ds_read2st64_b64 v[3:6], v15 offset0:77 offset1:78
	s_waitcnt lgkmcnt(1)
	v_add_f32_e32 v7, v11, v7
	v_add_f32_e32 v8, v12, v8
	;; [unrolled: 1-line block ×4, first 2 shown]
	s_waitcnt lgkmcnt(0)
	v_add_f32_e32 v3, v7, v3
	v_add_f32_e32 v4, v8, v4
	;; [unrolled: 1-line block ×6, first 2 shown]
	v_cndmask_b32_e64 v11, -v3, 0, s[14:15]
	v_cndmask_b32_e64 v12, -v4, 0, s[14:15]
.LBB72_1088:
	s_or_b64 exec, exec, s[6:7]
	s_and_b64 vcc, exec, s[54:55]
	s_cbranch_vccnz .LBB72_1101
; %bb.1089:
	v_mov_b32_e32 v3, 0xa000
	v_lshl_or_b32 v5, v2, 3, v3
	s_and_saveexec_b64 s[6:7], s[2:3]
; %bb.1090:
	v_lshl_add_u32 v3, v0, 3, v5
	ds_write_b64 v3, v[11:12]
; %bb.1091:
	s_or_b64 exec, exec, s[6:7]
	v_cmp_le_u32_e32 vcc, v0, v2
	v_mov_b32_e32 v3, 0
	v_mov_b32_e32 v4, 0
	s_waitcnt lgkmcnt(0)
	s_barrier
	s_and_saveexec_b64 s[6:7], vcc
	s_cbranch_execz .LBB72_1093
; %bb.1092:
	ds_read_b64 v[3:4], v1
	ds_read_b64 v[6:7], v5
	s_waitcnt lgkmcnt(0)
	v_mul_f32_e32 v8, v7, v4
	v_mul_f32_e32 v4, v6, v4
	v_fma_f32 v6, v6, v3, -v8
	v_fmac_f32_e32 v4, v7, v3
	v_add_f32_e32 v3, 0, v6
	v_add_f32_e32 v4, 0, v4
.LBB72_1093:
	s_or_b64 exec, exec, s[6:7]
	v_add_u32_e32 v6, 16, v2
	v_cmp_le_u32_e32 vcc, v0, v6
	s_and_saveexec_b64 s[6:7], vcc
	s_cbranch_execz .LBB72_1095
; %bb.1094:
	ds_read_b64 v[6:7], v1 offset:8192
	ds_read_b64 v[8:9], v5 offset:128
	s_waitcnt lgkmcnt(0)
	v_mul_f32_e32 v10, v9, v7
	v_mul_f32_e32 v7, v8, v7
	v_fma_f32 v8, v8, v6, -v10
	v_fmac_f32_e32 v7, v9, v6
	v_add_f32_e32 v3, v3, v8
	v_add_f32_e32 v4, v4, v7
.LBB72_1095:
	s_or_b64 exec, exec, s[6:7]
	v_add_u32_e32 v6, 32, v2
	v_cmp_le_u32_e32 vcc, v0, v6
	s_and_saveexec_b64 s[6:7], vcc
	s_cbranch_execz .LBB72_1097
; %bb.1096:
	ds_read_b64 v[6:7], v1 offset:16384
	ds_read_b64 v[8:9], v5 offset:256
	s_waitcnt lgkmcnt(0)
	v_mul_f32_e32 v10, v9, v7
	v_mul_f32_e32 v7, v8, v7
	v_fma_f32 v8, v8, v6, -v10
	v_fmac_f32_e32 v7, v9, v6
	v_add_f32_e32 v3, v3, v8
	v_add_f32_e32 v4, v4, v7
.LBB72_1097:
	s_or_b64 exec, exec, s[6:7]
	v_add_u32_e32 v2, 48, v2
	v_add_u32_e32 v6, 0x8000, v1
	v_cmp_le_u32_e32 vcc, v0, v2
	s_and_saveexec_b64 s[6:7], vcc
	s_cbranch_execz .LBB72_1099
; %bb.1098:
	ds_read_b64 v[1:2], v1 offset:24576
	ds_read_b64 v[7:8], v5 offset:384
	s_waitcnt lgkmcnt(0)
	v_mul_f32_e32 v5, v8, v2
	v_mul_f32_e32 v2, v7, v2
	v_fma_f32 v5, v7, v1, -v5
	v_fmac_f32_e32 v2, v8, v1
	v_add_f32_e32 v3, v3, v5
	v_add_f32_e32 v4, v4, v2
.LBB72_1099:
	s_or_b64 exec, exec, s[6:7]
	s_mov_b64 s[8:9], 0
	s_mov_b64 s[6:7], 0
	ds_write_b64 v6, v[3:4]
	s_waitcnt lgkmcnt(0)
	s_barrier
                                        ; implicit-def: $vgpr1
                                        ; implicit-def: $vgpr2
	s_and_saveexec_b64 s[10:11], s[2:3]
	s_cbranch_execz .LBB72_1120
; %bb.1100:
	v_lshlrev_b32_e32 v17, 3, v0
	ds_read2st64_b64 v[5:8], v17 offset0:65 offset1:66
	ds_read2st64_b64 v[13:16], v17 offset0:67 offset1:68
	ds_read_b64 v[9:10], v17 offset:40448
	s_mov_b64 s[6:7], exec
	s_waitcnt lgkmcnt(2)
	v_add_f32_e32 v1, v3, v5
	v_add_f32_e32 v2, v4, v6
	;; [unrolled: 1-line block ×4, first 2 shown]
	ds_read2st64_b64 v[1:4], v17 offset0:69 offset1:70
	s_waitcnt lgkmcnt(2)
	v_add_f32_e32 v5, v5, v13
	v_add_f32_e32 v6, v6, v14
	;; [unrolled: 1-line block ×4, first 2 shown]
	s_waitcnt lgkmcnt(0)
	v_add_f32_e32 v1, v5, v1
	ds_read2st64_b64 v[5:8], v17 offset0:71 offset1:72
	v_add_f32_e32 v2, v13, v2
	v_add_f32_e32 v13, v1, v3
	v_add_f32_e32 v14, v2, v4
	ds_read2st64_b64 v[1:4], v17 offset0:73 offset1:74
	s_waitcnt lgkmcnt(1)
	v_add_f32_e32 v5, v13, v5
	v_add_f32_e32 v6, v14, v6
	;; [unrolled: 1-line block ×4, first 2 shown]
	s_waitcnt lgkmcnt(0)
	v_add_f32_e32 v1, v5, v1
	ds_read2st64_b64 v[5:8], v17 offset0:75 offset1:76
	v_add_f32_e32 v2, v13, v2
	v_add_f32_e32 v13, v1, v3
	;; [unrolled: 1-line block ×3, first 2 shown]
	ds_read2st64_b64 v[1:4], v17 offset0:77 offset1:78
	s_waitcnt lgkmcnt(1)
	v_add_f32_e32 v5, v13, v5
	v_add_f32_e32 v6, v14, v6
	;; [unrolled: 1-line block ×4, first 2 shown]
	s_waitcnt lgkmcnt(0)
	v_add_f32_e32 v1, v5, v1
	v_add_f32_e32 v2, v6, v2
	;; [unrolled: 1-line block ×6, first 2 shown]
	s_or_b64 exec, exec, s[10:11]
	s_and_b64 vcc, exec, s[8:9]
	s_cbranch_vccnz .LBB72_1102
	s_branch .LBB72_1121
.LBB72_1101:
	s_mov_b64 s[6:7], 0
                                        ; implicit-def: $vgpr1
                                        ; implicit-def: $vgpr2
	s_cbranch_execz .LBB72_1121
.LBB72_1102:
	s_movk_i32 s8, 0x208
	v_lshlrev_b32_e32 v2, 9, v0
	v_mov_b32_e32 v3, 0x7c00
	v_mul_u32_u24_e32 v1, 0x208, v0
	v_sub_u32_e32 v2, 0, v2
	v_mad_u32_u24 v3, v0, s8, v3
	s_mov_b32 s10, 63
	s_movk_i32 s11, 0x8200
	v_mov_b32_e32 v4, 0
	s_branch .LBB72_1104
.LBB72_1103:                            ;   in Loop: Header=BB72_1104 Depth=1
	s_or_b64 exec, exec, s[8:9]
	s_add_i32 s10, s10, -2
	s_cmp_lg_u32 s12, 0
	v_add_u32_e32 v2, 0xfffffc00, v2
	s_barrier
	s_cbranch_scc0 .LBB72_1112
.LBB72_1104:                            ; =>This Inner Loop Header: Depth=1
	v_cmp_eq_u32_e32 vcc, s11, v2
	s_and_b64 s[12:13], s[2:3], vcc
	s_and_saveexec_b64 s[8:9], s[12:13]
	s_cbranch_execz .LBB72_1106
; %bb.1105:                             ;   in Loop: Header=BB72_1104 Depth=1
	ds_read_b64 v[5:6], v1
	s_waitcnt lgkmcnt(0)
	v_mul_f32_e32 v8, v12, v6
	v_mul_f32_e32 v7, v11, v6
	v_fma_f32 v6, v11, v5, -v8
	v_fmac_f32_e32 v7, v12, v5
	v_mov_b32_e32 v11, v6
	v_mov_b32_e32 v12, v7
	ds_write_b64 v4, v[6:7] offset:41472
.LBB72_1106:                            ;   in Loop: Header=BB72_1104 Depth=1
	s_or_b64 exec, exec, s[8:9]
	v_cmp_gt_u32_e32 vcc, s10, v0
	s_and_b64 s[12:13], s[2:3], vcc
	v_add_u32_e32 v5, v3, v2
	s_waitcnt lgkmcnt(0)
	s_barrier
	s_and_saveexec_b64 s[8:9], s[12:13]
	s_cbranch_execz .LBB72_1108
; %bb.1107:                             ;   in Loop: Header=BB72_1104 Depth=1
	ds_read_b64 v[6:7], v5 offset:512
	ds_read_b64 v[8:9], v4 offset:41472
	s_waitcnt lgkmcnt(0)
	v_mul_f32_e32 v10, v9, v7
	v_mul_f32_e32 v7, v8, v7
	v_fma_f32 v8, v8, v6, -v10
	v_fmac_f32_e32 v7, v9, v6
	v_add_f32_e32 v11, v11, v8
	v_add_f32_e32 v12, v12, v7
.LBB72_1108:                            ;   in Loop: Header=BB72_1104 Depth=1
	s_or_b64 exec, exec, s[8:9]
	s_add_i32 s12, s10, -1
	v_cmp_eq_u32_e32 vcc, s12, v0
	s_and_b64 s[14:15], s[2:3], vcc
	s_barrier
	s_and_saveexec_b64 s[8:9], s[14:15]
	s_cbranch_execz .LBB72_1110
; %bb.1109:                             ;   in Loop: Header=BB72_1104 Depth=1
	ds_read_b64 v[6:7], v1
	s_waitcnt lgkmcnt(0)
	v_mul_f32_e32 v9, v12, v7
	v_mul_f32_e32 v8, v11, v7
	v_fma_f32 v7, v11, v6, -v9
	v_fmac_f32_e32 v8, v12, v6
	v_mov_b32_e32 v11, v7
	v_mov_b32_e32 v12, v8
	ds_write_b64 v4, v[7:8] offset:41472
.LBB72_1110:                            ;   in Loop: Header=BB72_1104 Depth=1
	s_or_b64 exec, exec, s[8:9]
	v_cmp_gt_u32_e32 vcc, s12, v0
	s_and_b64 s[14:15], s[2:3], vcc
	s_waitcnt lgkmcnt(0)
	s_barrier
	s_and_saveexec_b64 s[8:9], s[14:15]
	s_cbranch_execz .LBB72_1103
; %bb.1111:                             ;   in Loop: Header=BB72_1104 Depth=1
	ds_read_b64 v[5:6], v5
	ds_read_b64 v[7:8], v4 offset:41472
	s_waitcnt lgkmcnt(0)
	v_mul_f32_e32 v9, v8, v6
	v_mul_f32_e32 v6, v7, v6
	v_fma_f32 v7, v7, v5, -v9
	v_fmac_f32_e32 v6, v8, v5
	v_add_f32_e32 v11, v11, v7
	v_add_f32_e32 v12, v12, v6
	s_branch .LBB72_1103
.LBB72_1112:
	s_mov_b64 s[8:9], -1
	s_and_b64 vcc, exec, s[4:5]
	s_cbranch_vccnz .LBB72_1122
; %bb.1113:
	s_andn2_b64 vcc, exec, s[8:9]
	s_cbranch_vccz .LBB72_1123
.LBB72_1114:
	s_and_saveexec_b64 s[2:3], s[6:7]
	s_cbranch_execz .LBB72_1116
.LBB72_1115:
	v_mov_b32_e32 v0, s40
	v_add_co_u32_e32 v1, vcc, s33, v18
	v_addc_co_u32_e32 v0, vcc, 0, v0, vcc
	v_mul_lo_u32 v2, v0, s16
	v_mul_lo_u32 v3, v1, s17
	v_mad_u64_u32 v[0:1], s[4:5], v1, s16, 0
	v_add3_u32 v1, v1, v3, v2
	v_lshlrev_b64 v[0:1], 3, v[0:1]
	v_mov_b32_e32 v2, s27
	v_add_co_u32_e32 v0, vcc, s26, v0
	v_addc_co_u32_e32 v1, vcc, v2, v1, vcc
	global_store_dwordx2 v[0:1], v[11:12], off
.LBB72_1116:
	s_or_b64 exec, exec, s[2:3]
	v_cmp_eq_u32_e32 vcc, 0, v18
	s_waitcnt vmcnt(0)
	buffer_wbinvl1_vol
	s_barrier
	s_and_saveexec_b64 s[2:3], vcc
	s_cbranch_execz .LBB72_1118
; %bb.1117:
	s_lshl_b64 s[4:5], s[28:29], 2
	s_add_u32 s0, s0, s4
	s_addc_u32 s1, s1, s5
	v_mov_b32_e32 v0, 0
	global_load_dword v1, v0, s[0:1]
	s_waitcnt vmcnt(0)
	v_add_u32_e32 v1, 1, v1
	global_store_dword v0, v1, s[0:1]
.LBB72_1118:
	s_or_b64 exec, exec, s[2:3]
	s_waitcnt vmcnt(0)
	buffer_wbinvl1_vol
	s_endpgm
.LBB72_1119:
                                        ; implicit-def: $vgpr8
                                        ; implicit-def: $vgpr10
                                        ; implicit-def: $vgpr4
                                        ; implicit-def: $vgpr6
                                        ; implicit-def: $sgpr33
	s_cbranch_execnz .LBB72_10
	s_branch .LBB72_11
.LBB72_1120:
	s_or_b64 exec, exec, s[10:11]
	s_and_b64 vcc, exec, s[8:9]
	s_cbranch_vccnz .LBB72_1102
.LBB72_1121:
	v_mov_b32_e32 v12, v1
	v_mov_b32_e32 v11, v2
	s_and_saveexec_b64 s[2:3], s[6:7]
	s_cbranch_execnz .LBB72_1115
	s_branch .LBB72_1116
.LBB72_1122:
	s_andn2_b64 s[4:5], s[6:7], exec
	s_and_b64 s[6:7], s[2:3], exec
	s_or_b64 s[6:7], s[4:5], s[6:7]
	s_cbranch_execnz .LBB72_1114
.LBB72_1123:
	v_cmp_gt_i32_e32 vcc, s86, v0
	s_and_b64 s[2:3], s[2:3], vcc
	s_andn2_b64 s[4:5], s[6:7], exec
	s_and_b64 s[2:3], s[2:3], exec
	s_or_b64 s[6:7], s[4:5], s[2:3]
	s_and_saveexec_b64 s[2:3], s[6:7]
	s_cbranch_execnz .LBB72_1115
	s_branch .LBB72_1116
.LBB72_1124:
	v_lshlrev_b32_e32 v21, 3, v18
	v_sub_u32_e32 v21, v20, v21
	v_lshl_add_u32 v21, v17, 3, v21
	ds_read_b64 v[21:22], v21 offset:544
	ds_read_b64 v[23:24], v20 offset:8
	s_waitcnt lgkmcnt(0)
	v_mul_f32_e32 v25, v24, v22
	v_mul_f32_e32 v22, v23, v22
	v_fma_f32 v23, v23, v21, -v25
	v_fmac_f32_e32 v22, v24, v21
	v_add_f32_e32 v16, v16, v23
	v_add_f32_e32 v19, v19, v22
	s_or_b64 exec, exec, s[14:15]
	v_cmp_gt_u32_e64 s[10:11], 8, v1
	s_and_saveexec_b64 s[14:15], s[10:11]
	s_cbranch_execz .LBB72_149
.LBB72_1125:
	ds_read_b64 v[21:22], v14 offset:1056
	ds_read_b64 v[23:24], v20 offset:16
	s_waitcnt lgkmcnt(0)
	v_mul_f32_e32 v20, v24, v22
	v_mul_f32_e32 v22, v23, v22
	v_fma_f32 v20, v23, v21, -v20
	v_fmac_f32_e32 v22, v24, v21
	v_add_f32_e32 v16, v16, v20
	v_add_f32_e32 v19, v19, v22
	s_or_b64 exec, exec, s[14:15]
	v_cmp_gt_u32_e64 s[10:11], 4, v1
	s_and_saveexec_b64 s[14:15], s[10:11]
	s_cbranch_execnz .LBB72_150
	s_branch .LBB72_151
.LBB72_1126:
	v_lshlrev_b32_e32 v26, 3, v23
	v_sub_u32_e32 v26, v25, v26
	v_lshl_add_u32 v26, v22, 3, v26
	ds_read_b64 v[26:27], v26 offset:576
	ds_read_b64 v[28:29], v25 offset:8
	s_waitcnt lgkmcnt(0)
	v_mul_f32_e32 v30, v29, v27
	v_mul_f32_e32 v27, v28, v27
	v_fma_f32 v28, v28, v26, -v30
	v_fmac_f32_e32 v27, v29, v26
	v_add_f32_e32 v21, v21, v28
	v_add_f32_e32 v24, v24, v27
	s_or_b64 exec, exec, s[16:17]
	v_cmp_gt_u32_e64 s[14:15], 48, v1
	s_and_saveexec_b64 s[16:17], s[14:15]
	s_cbranch_execz .LBB72_191
.LBB72_1127:
	v_lshlrev_b32_e32 v26, 3, v23
	v_sub_u32_e32 v26, v25, v26
	v_lshl_add_u32 v26, v22, 3, v26
	ds_read_b64 v[26:27], v26 offset:1088
	ds_read_b64 v[28:29], v25 offset:16
	s_waitcnt lgkmcnt(0)
	v_mul_f32_e32 v30, v29, v27
	v_mul_f32_e32 v27, v28, v27
	v_fma_f32 v28, v28, v26, -v30
	v_fmac_f32_e32 v27, v29, v26
	v_add_f32_e32 v21, v21, v28
	v_add_f32_e32 v24, v24, v27
	s_or_b64 exec, exec, s[16:17]
	v_cmp_gt_u32_e64 s[14:15], 40, v1
	s_and_saveexec_b64 s[16:17], s[14:15]
	s_cbranch_execz .LBB72_192
.LBB72_1128:
	v_lshlrev_b32_e32 v26, 3, v23
	v_sub_u32_e32 v26, v25, v26
	v_lshl_add_u32 v26, v22, 3, v26
	ds_read_b64 v[26:27], v26 offset:1600
	ds_read_b64 v[28:29], v25 offset:24
	s_waitcnt lgkmcnt(0)
	v_mul_f32_e32 v30, v29, v27
	v_mul_f32_e32 v27, v28, v27
	v_fma_f32 v28, v28, v26, -v30
	v_fmac_f32_e32 v27, v29, v26
	v_add_f32_e32 v21, v21, v28
	v_add_f32_e32 v24, v24, v27
	s_or_b64 exec, exec, s[16:17]
	v_cmp_gt_u32_e64 s[14:15], 32, v1
	s_and_saveexec_b64 s[16:17], s[14:15]
	s_cbranch_execz .LBB72_193
.LBB72_1129:
	ds_read_b64 v[26:27], v19 offset:2112
	ds_read_b64 v[28:29], v25 offset:32
	s_waitcnt lgkmcnt(0)
	v_mul_f32_e32 v30, v29, v27
	v_mul_f32_e32 v27, v28, v27
	v_fma_f32 v28, v28, v26, -v30
	v_fmac_f32_e32 v27, v29, v26
	v_add_f32_e32 v21, v21, v28
	v_add_f32_e32 v24, v24, v27
	s_or_b64 exec, exec, s[16:17]
	v_cmp_gt_u32_e64 s[14:15], 24, v1
	s_and_saveexec_b64 s[16:17], s[14:15]
	s_cbranch_execz .LBB72_194
.LBB72_1130:
	v_lshlrev_b32_e32 v26, 3, v23
	v_sub_u32_e32 v26, v25, v26
	v_lshl_add_u32 v26, v22, 3, v26
	ds_read_b64 v[26:27], v26 offset:2624
	ds_read_b64 v[28:29], v25 offset:40
	s_waitcnt lgkmcnt(0)
	v_mul_f32_e32 v30, v29, v27
	v_mul_f32_e32 v27, v28, v27
	v_fma_f32 v28, v28, v26, -v30
	v_fmac_f32_e32 v27, v29, v26
	v_add_f32_e32 v21, v21, v28
	v_add_f32_e32 v24, v24, v27
	s_or_b64 exec, exec, s[16:17]
	v_cmp_gt_u32_e64 s[14:15], 16, v1
	s_and_saveexec_b64 s[16:17], s[14:15]
	s_cbranch_execz .LBB72_195
.LBB72_1131:
	ds_read_b64 v[26:27], v19 offset:3136
	ds_read_b64 v[28:29], v25 offset:48
	s_waitcnt lgkmcnt(0)
	v_mul_f32_e32 v25, v29, v27
	v_mul_f32_e32 v27, v28, v27
	v_fma_f32 v25, v28, v26, -v25
	v_fmac_f32_e32 v27, v29, v26
	v_add_f32_e32 v21, v21, v25
	v_add_f32_e32 v24, v24, v27
	s_or_b64 exec, exec, s[16:17]
	v_cmp_gt_u32_e64 s[14:15], 8, v1
	s_and_saveexec_b64 s[16:17], s[14:15]
	s_cbranch_execnz .LBB72_196
	s_branch .LBB72_197
.LBB72_1132:
	v_lshlrev_b32_e32 v27, 3, v18
	v_sub_u32_e32 v27, v25, v27
	v_lshl_add_u32 v27, v17, 3, v27
	ds_read_b64 v[27:28], v27 offset:4704
	ds_read_b64 v[29:30], v25 offset:4168
	s_waitcnt lgkmcnt(0)
	v_mul_f32_e32 v31, v30, v28
	v_mul_f32_e32 v28, v29, v28
	v_fma_f32 v29, v29, v27, -v31
	v_fmac_f32_e32 v28, v30, v27
	v_add_f32_e32 v24, v24, v29
	v_add_f32_e32 v26, v26, v28
	s_or_b64 exec, exec, s[14:15]
	v_cmp_gt_u32_e64 s[10:11], 8, v1
	s_and_saveexec_b64 s[14:15], s[10:11]
	s_cbranch_execz .LBB72_253
.LBB72_1133:
	ds_read_b64 v[27:28], v14 offset:5216
	ds_read_b64 v[29:30], v25 offset:4176
	s_waitcnt lgkmcnt(0)
	v_mul_f32_e32 v25, v30, v28
	v_mul_f32_e32 v28, v29, v28
	v_fma_f32 v25, v29, v27, -v25
	v_fmac_f32_e32 v28, v30, v27
	v_add_f32_e32 v24, v24, v25
	v_add_f32_e32 v26, v26, v28
	s_or_b64 exec, exec, s[14:15]
	v_cmp_gt_u32_e64 s[10:11], 4, v1
	s_and_saveexec_b64 s[14:15], s[10:11]
	s_cbranch_execnz .LBB72_254
	s_branch .LBB72_255
.LBB72_1134:
	v_lshlrev_b32_e32 v31, 3, v25
	v_lshl_add_u32 v31, v27, 3, v31
	ds_read_b64 v[31:32], v31 offset:5760
	ds_read_b64 v[33:34], v30 offset:88
	s_waitcnt lgkmcnt(0)
	v_mul_f32_e32 v35, v34, v32
	v_mul_f32_e32 v32, v33, v32
	v_fma_f32 v33, v33, v31, -v35
	v_fmac_f32_e32 v32, v34, v31
	v_add_f32_e32 v26, v26, v33
	v_add_f32_e32 v29, v29, v32
	s_or_b64 exec, exec, s[20:21]
	v_cmp_gt_u32_e64 s[16:17], 64, v1
	s_and_saveexec_b64 s[20:21], s[16:17]
	s_cbranch_execz .LBB72_315
.LBB72_1135:
	ds_read_b64 v[31:32], v24 offset:6272
	ds_read_b64 v[33:34], v30 offset:96
	s_waitcnt lgkmcnt(0)
	v_mul_f32_e32 v35, v34, v32
	v_mul_f32_e32 v32, v33, v32
	v_fma_f32 v33, v33, v31, -v35
	v_fmac_f32_e32 v32, v34, v31
	v_add_f32_e32 v26, v26, v33
	v_add_f32_e32 v29, v29, v32
	s_or_b64 exec, exec, s[20:21]
	v_cmp_gt_u32_e64 s[16:17], 48, v1
	s_and_saveexec_b64 s[20:21], s[16:17]
	s_cbranch_execz .LBB72_316
.LBB72_1136:
	v_lshlrev_b32_e32 v31, 3, v25
	v_lshl_add_u32 v31, v27, 3, v31
	ds_read_b64 v[31:32], v31 offset:6784
	ds_read_b64 v[33:34], v30 offset:104
	s_waitcnt lgkmcnt(0)
	v_mul_f32_e32 v35, v34, v32
	v_mul_f32_e32 v32, v33, v32
	v_fma_f32 v33, v33, v31, -v35
	v_fmac_f32_e32 v32, v34, v31
	v_add_f32_e32 v26, v26, v33
	v_add_f32_e32 v29, v29, v32
	s_or_b64 exec, exec, s[20:21]
	v_cmp_gt_u32_e64 s[16:17], 32, v1
	s_and_saveexec_b64 s[20:21], s[16:17]
	s_cbranch_execz .LBB72_317
.LBB72_1137:
	ds_read_b64 v[31:32], v24 offset:7296
	ds_read_b64 v[33:34], v30 offset:112
	s_waitcnt lgkmcnt(0)
	v_mul_f32_e32 v30, v34, v32
	v_mul_f32_e32 v32, v33, v32
	v_fma_f32 v30, v33, v31, -v30
	v_fmac_f32_e32 v32, v34, v31
	v_add_f32_e32 v26, v26, v30
	v_add_f32_e32 v29, v29, v32
	s_or_b64 exec, exec, s[20:21]
	v_cmp_gt_u32_e64 s[16:17], 16, v1
	s_and_saveexec_b64 s[20:21], s[16:17]
	s_cbranch_execnz .LBB72_318
	s_branch .LBB72_319
.LBB72_1138:
	v_lshlrev_b32_e32 v32, 3, v18
	v_sub_u32_e32 v32, v30, v32
	v_lshl_add_u32 v32, v17, 3, v32
	ds_read_b64 v[32:33], v32 offset:8864
	ds_read_b64 v[34:35], v30 offset:8328
	s_waitcnt lgkmcnt(0)
	v_mul_f32_e32 v36, v35, v33
	v_mul_f32_e32 v33, v34, v33
	v_fma_f32 v34, v34, v32, -v36
	v_fmac_f32_e32 v33, v35, v32
	v_add_f32_e32 v29, v29, v34
	v_add_f32_e32 v31, v31, v33
	s_or_b64 exec, exec, s[20:21]
	v_cmp_gt_u32_e64 s[14:15], 8, v1
	s_and_saveexec_b64 s[20:21], s[14:15]
	s_cbranch_execz .LBB72_407
.LBB72_1139:
	ds_read_b64 v[32:33], v14 offset:9376
	ds_read_b64 v[34:35], v30 offset:8336
	s_waitcnt lgkmcnt(0)
	v_mul_f32_e32 v30, v35, v33
	v_mul_f32_e32 v33, v34, v33
	v_fma_f32 v30, v34, v32, -v30
	v_fmac_f32_e32 v33, v35, v32
	v_add_f32_e32 v29, v29, v30
	v_add_f32_e32 v31, v31, v33
	s_or_b64 exec, exec, s[20:21]
	v_cmp_gt_u32_e64 s[14:15], 4, v1
	s_and_saveexec_b64 s[20:21], s[14:15]
	s_cbranch_execnz .LBB72_408
	s_branch .LBB72_409
.LBB72_1140:
	v_lshlrev_b32_e32 v32, 3, v23
	v_sub_u32_e32 v32, v30, v32
	v_lshl_add_u32 v32, v22, 3, v32
	ds_read_b64 v[32:33], v32 offset:8896
	ds_read_b64 v[34:35], v30 offset:8328
	s_waitcnt lgkmcnt(0)
	v_mul_f32_e32 v36, v35, v33
	v_mul_f32_e32 v33, v34, v33
	v_fma_f32 v34, v34, v32, -v36
	v_fmac_f32_e32 v33, v35, v32
	v_add_f32_e32 v29, v29, v34
	v_add_f32_e32 v31, v31, v33
	s_or_b64 exec, exec, s[20:21]
	v_cmp_gt_u32_e64 s[14:15], 48, v1
	s_and_saveexec_b64 s[20:21], s[14:15]
	s_cbranch_execz .LBB72_449
.LBB72_1141:
	v_lshlrev_b32_e32 v32, 3, v23
	v_sub_u32_e32 v32, v30, v32
	v_lshl_add_u32 v32, v22, 3, v32
	ds_read_b64 v[32:33], v32 offset:9408
	ds_read_b64 v[34:35], v30 offset:8336
	s_waitcnt lgkmcnt(0)
	v_mul_f32_e32 v36, v35, v33
	v_mul_f32_e32 v33, v34, v33
	v_fma_f32 v34, v34, v32, -v36
	v_fmac_f32_e32 v33, v35, v32
	v_add_f32_e32 v29, v29, v34
	v_add_f32_e32 v31, v31, v33
	s_or_b64 exec, exec, s[20:21]
	v_cmp_gt_u32_e64 s[14:15], 40, v1
	s_and_saveexec_b64 s[20:21], s[14:15]
	s_cbranch_execz .LBB72_450
.LBB72_1142:
	v_lshlrev_b32_e32 v32, 3, v23
	v_sub_u32_e32 v32, v30, v32
	v_lshl_add_u32 v32, v22, 3, v32
	ds_read_b64 v[32:33], v32 offset:9920
	ds_read_b64 v[34:35], v30 offset:8344
	s_waitcnt lgkmcnt(0)
	v_mul_f32_e32 v36, v35, v33
	v_mul_f32_e32 v33, v34, v33
	v_fma_f32 v34, v34, v32, -v36
	v_fmac_f32_e32 v33, v35, v32
	v_add_f32_e32 v29, v29, v34
	v_add_f32_e32 v31, v31, v33
	s_or_b64 exec, exec, s[20:21]
	v_cmp_gt_u32_e64 s[14:15], 32, v1
	s_and_saveexec_b64 s[20:21], s[14:15]
	s_cbranch_execz .LBB72_451
.LBB72_1143:
	ds_read_b64 v[32:33], v19 offset:10432
	ds_read_b64 v[34:35], v30 offset:8352
	s_waitcnt lgkmcnt(0)
	v_mul_f32_e32 v36, v35, v33
	v_mul_f32_e32 v33, v34, v33
	v_fma_f32 v34, v34, v32, -v36
	v_fmac_f32_e32 v33, v35, v32
	v_add_f32_e32 v29, v29, v34
	v_add_f32_e32 v31, v31, v33
	s_or_b64 exec, exec, s[20:21]
	v_cmp_gt_u32_e64 s[14:15], 24, v1
	s_and_saveexec_b64 s[20:21], s[14:15]
	s_cbranch_execz .LBB72_452
.LBB72_1144:
	v_lshlrev_b32_e32 v32, 3, v23
	v_sub_u32_e32 v32, v30, v32
	v_lshl_add_u32 v32, v22, 3, v32
	ds_read_b64 v[32:33], v32 offset:10944
	ds_read_b64 v[34:35], v30 offset:8360
	s_waitcnt lgkmcnt(0)
	v_mul_f32_e32 v36, v35, v33
	v_mul_f32_e32 v33, v34, v33
	v_fma_f32 v34, v34, v32, -v36
	v_fmac_f32_e32 v33, v35, v32
	v_add_f32_e32 v29, v29, v34
	v_add_f32_e32 v31, v31, v33
	s_or_b64 exec, exec, s[20:21]
	v_cmp_gt_u32_e64 s[14:15], 16, v1
	s_and_saveexec_b64 s[20:21], s[14:15]
	s_cbranch_execz .LBB72_453
.LBB72_1145:
	ds_read_b64 v[32:33], v19 offset:11456
	ds_read_b64 v[34:35], v30 offset:8368
	s_waitcnt lgkmcnt(0)
	v_mul_f32_e32 v30, v35, v33
	v_mul_f32_e32 v33, v34, v33
	v_fma_f32 v30, v34, v32, -v30
	v_fmac_f32_e32 v33, v35, v32
	v_add_f32_e32 v29, v29, v30
	v_add_f32_e32 v31, v31, v33
	s_or_b64 exec, exec, s[20:21]
	v_cmp_gt_u32_e64 s[14:15], 8, v1
	s_and_saveexec_b64 s[20:21], s[14:15]
	s_cbranch_execnz .LBB72_454
	s_branch .LBB72_455
.LBB72_1146:
	v_lshlrev_b32_e32 v32, 3, v18
	v_sub_u32_e32 v32, v30, v32
	v_lshl_add_u32 v32, v17, 3, v32
	ds_read_b64 v[32:33], v32 offset:13024
	ds_read_b64 v[34:35], v30 offset:12488
	s_waitcnt lgkmcnt(0)
	v_mul_f32_e32 v36, v35, v33
	v_mul_f32_e32 v33, v34, v33
	v_fma_f32 v34, v34, v32, -v36
	v_fmac_f32_e32 v33, v35, v32
	v_add_f32_e32 v29, v29, v34
	v_add_f32_e32 v31, v31, v33
	s_or_b64 exec, exec, s[20:21]
	v_cmp_gt_u32_e64 s[14:15], 8, v1
	s_and_saveexec_b64 s[20:21], s[14:15]
	s_cbranch_execz .LBB72_511
.LBB72_1147:
	ds_read_b64 v[32:33], v14 offset:13536
	ds_read_b64 v[34:35], v30 offset:12496
	s_waitcnt lgkmcnt(0)
	v_mul_f32_e32 v30, v35, v33
	v_mul_f32_e32 v33, v34, v33
	v_fma_f32 v30, v34, v32, -v30
	v_fmac_f32_e32 v33, v35, v32
	v_add_f32_e32 v29, v29, v30
	v_add_f32_e32 v31, v31, v33
	s_or_b64 exec, exec, s[20:21]
	v_cmp_gt_u32_e64 s[14:15], 4, v1
	s_and_saveexec_b64 s[20:21], s[14:15]
	s_cbranch_execnz .LBB72_512
	s_branch .LBB72_513
.LBB72_1148:
	ds_read_b64 v[37:38], v36 offset:15104
	ds_read_b64 v[39:40], v35 offset:232
	s_waitcnt lgkmcnt(0)
	v_mul_f32_e32 v41, v40, v38
	v_mul_f32_e32 v38, v39, v38
	v_fma_f32 v39, v39, v37, -v41
	v_fmac_f32_e32 v38, v40, v37
	v_add_f32_e32 v32, v32, v39
	v_add_f32_e32 v33, v33, v38
	s_or_b64 exec, exec, s[84:85]
	v_cmp_gt_u32_e64 s[20:21], 64, v1
	s_and_saveexec_b64 s[84:85], s[20:21]
	s_cbranch_execz .LBB72_609
.LBB72_1149:
	ds_read_b64 v[36:37], v36 offset:15616
	ds_read_b64 v[38:39], v35 offset:240
	s_waitcnt lgkmcnt(0)
	v_mul_f32_e32 v40, v39, v37
	v_mul_f32_e32 v37, v38, v37
	v_fma_f32 v38, v38, v36, -v40
	v_fmac_f32_e32 v37, v39, v36
	v_add_f32_e32 v32, v32, v38
	v_add_f32_e32 v33, v33, v37
	s_or_b64 exec, exec, s[84:85]
	v_cmp_gt_u32_e64 s[20:21], 32, v1
	s_and_saveexec_b64 s[84:85], s[20:21]
	s_cbranch_execnz .LBB72_610
	s_branch .LBB72_611
.LBB72_1150:
	v_lshlrev_b32_e32 v32, 3, v18
	v_sub_u32_e32 v32, v30, v32
	v_lshl_add_u32 v32, v17, 3, v32
	ds_read_b64 v[32:33], v32 offset:17184
	ds_read_b64 v[34:35], v30 offset:16648
	s_waitcnt lgkmcnt(0)
	v_mul_f32_e32 v36, v35, v33
	v_mul_f32_e32 v33, v34, v33
	v_fma_f32 v34, v34, v32, -v36
	v_fmac_f32_e32 v33, v35, v32
	v_add_f32_e32 v29, v29, v34
	v_add_f32_e32 v31, v31, v33
	s_or_b64 exec, exec, s[16:17]
	v_cmp_gt_u32_e64 s[12:13], 8, v1
	s_and_saveexec_b64 s[16:17], s[12:13]
	s_cbranch_execz .LBB72_647
.LBB72_1151:
	ds_read_b64 v[32:33], v14 offset:17696
	ds_read_b64 v[34:35], v30 offset:16656
	s_waitcnt lgkmcnt(0)
	v_mul_f32_e32 v30, v35, v33
	v_mul_f32_e32 v33, v34, v33
	v_fma_f32 v30, v34, v32, -v30
	v_fmac_f32_e32 v33, v35, v32
	v_add_f32_e32 v29, v29, v30
	v_add_f32_e32 v31, v31, v33
	s_or_b64 exec, exec, s[16:17]
	v_cmp_gt_u32_e64 s[12:13], 4, v1
	s_and_saveexec_b64 s[16:17], s[12:13]
	s_cbranch_execnz .LBB72_648
	s_branch .LBB72_649
.LBB72_1152:
	v_lshlrev_b32_e32 v32, 3, v23
	v_sub_u32_e32 v32, v30, v32
	v_lshl_add_u32 v32, v22, 3, v32
	ds_read_b64 v[32:33], v32 offset:17216
	ds_read_b64 v[34:35], v30 offset:16648
	s_waitcnt lgkmcnt(0)
	v_mul_f32_e32 v36, v35, v33
	v_mul_f32_e32 v33, v34, v33
	v_fma_f32 v34, v34, v32, -v36
	v_fmac_f32_e32 v33, v35, v32
	v_add_f32_e32 v29, v29, v34
	v_add_f32_e32 v31, v31, v33
	s_or_b64 exec, exec, s[16:17]
	v_cmp_gt_u32_e64 s[12:13], 48, v1
	s_and_saveexec_b64 s[16:17], s[12:13]
	s_cbranch_execz .LBB72_689
.LBB72_1153:
	v_lshlrev_b32_e32 v32, 3, v23
	v_sub_u32_e32 v32, v30, v32
	v_lshl_add_u32 v32, v22, 3, v32
	ds_read_b64 v[32:33], v32 offset:17728
	ds_read_b64 v[34:35], v30 offset:16656
	s_waitcnt lgkmcnt(0)
	v_mul_f32_e32 v36, v35, v33
	v_mul_f32_e32 v33, v34, v33
	v_fma_f32 v34, v34, v32, -v36
	v_fmac_f32_e32 v33, v35, v32
	v_add_f32_e32 v29, v29, v34
	v_add_f32_e32 v31, v31, v33
	s_or_b64 exec, exec, s[16:17]
	v_cmp_gt_u32_e64 s[12:13], 40, v1
	s_and_saveexec_b64 s[16:17], s[12:13]
	s_cbranch_execz .LBB72_690
.LBB72_1154:
	v_lshlrev_b32_e32 v32, 3, v23
	v_sub_u32_e32 v32, v30, v32
	v_lshl_add_u32 v32, v22, 3, v32
	ds_read_b64 v[32:33], v32 offset:18240
	ds_read_b64 v[34:35], v30 offset:16664
	s_waitcnt lgkmcnt(0)
	v_mul_f32_e32 v36, v35, v33
	v_mul_f32_e32 v33, v34, v33
	v_fma_f32 v34, v34, v32, -v36
	v_fmac_f32_e32 v33, v35, v32
	v_add_f32_e32 v29, v29, v34
	v_add_f32_e32 v31, v31, v33
	s_or_b64 exec, exec, s[16:17]
	v_cmp_gt_u32_e64 s[12:13], 32, v1
	s_and_saveexec_b64 s[16:17], s[12:13]
	s_cbranch_execz .LBB72_691
.LBB72_1155:
	ds_read_b64 v[32:33], v19 offset:18752
	ds_read_b64 v[34:35], v30 offset:16672
	s_waitcnt lgkmcnt(0)
	v_mul_f32_e32 v36, v35, v33
	v_mul_f32_e32 v33, v34, v33
	v_fma_f32 v34, v34, v32, -v36
	v_fmac_f32_e32 v33, v35, v32
	v_add_f32_e32 v29, v29, v34
	v_add_f32_e32 v31, v31, v33
	s_or_b64 exec, exec, s[16:17]
	v_cmp_gt_u32_e64 s[12:13], 24, v1
	s_and_saveexec_b64 s[16:17], s[12:13]
	s_cbranch_execz .LBB72_692
.LBB72_1156:
	v_lshlrev_b32_e32 v32, 3, v23
	v_sub_u32_e32 v32, v30, v32
	v_lshl_add_u32 v32, v22, 3, v32
	ds_read_b64 v[32:33], v32 offset:19264
	ds_read_b64 v[34:35], v30 offset:16680
	s_waitcnt lgkmcnt(0)
	v_mul_f32_e32 v36, v35, v33
	v_mul_f32_e32 v33, v34, v33
	v_fma_f32 v34, v34, v32, -v36
	v_fmac_f32_e32 v33, v35, v32
	v_add_f32_e32 v29, v29, v34
	v_add_f32_e32 v31, v31, v33
	s_or_b64 exec, exec, s[16:17]
	v_cmp_gt_u32_e64 s[12:13], 16, v1
	s_and_saveexec_b64 s[16:17], s[12:13]
	s_cbranch_execz .LBB72_693
.LBB72_1157:
	ds_read_b64 v[32:33], v19 offset:19776
	ds_read_b64 v[34:35], v30 offset:16688
	s_waitcnt lgkmcnt(0)
	v_mul_f32_e32 v30, v35, v33
	v_mul_f32_e32 v33, v34, v33
	v_fma_f32 v30, v34, v32, -v30
	v_fmac_f32_e32 v33, v35, v32
	v_add_f32_e32 v29, v29, v30
	v_add_f32_e32 v31, v31, v33
	s_or_b64 exec, exec, s[16:17]
	v_cmp_gt_u32_e64 s[12:13], 8, v1
	s_and_saveexec_b64 s[16:17], s[12:13]
	s_cbranch_execnz .LBB72_694
	s_branch .LBB72_695
.LBB72_1158:
	v_lshlrev_b32_e32 v32, 3, v18
	v_sub_u32_e32 v32, v30, v32
	v_lshl_add_u32 v32, v17, 3, v32
	ds_read_b64 v[32:33], v32 offset:21344
	ds_read_b64 v[34:35], v30 offset:20808
	s_waitcnt lgkmcnt(0)
	v_mul_f32_e32 v36, v35, v33
	v_mul_f32_e32 v33, v34, v33
	v_fma_f32 v34, v34, v32, -v36
	v_fmac_f32_e32 v33, v35, v32
	v_add_f32_e32 v29, v29, v34
	v_add_f32_e32 v31, v31, v33
	s_or_b64 exec, exec, s[16:17]
	v_cmp_gt_u32_e64 s[12:13], 8, v1
	s_and_saveexec_b64 s[16:17], s[12:13]
	s_cbranch_execz .LBB72_751
.LBB72_1159:
	ds_read_b64 v[32:33], v14 offset:21856
	ds_read_b64 v[34:35], v30 offset:20816
	s_waitcnt lgkmcnt(0)
	v_mul_f32_e32 v30, v35, v33
	v_mul_f32_e32 v33, v34, v33
	v_fma_f32 v30, v34, v32, -v30
	v_fmac_f32_e32 v33, v35, v32
	v_add_f32_e32 v29, v29, v30
	v_add_f32_e32 v31, v31, v33
	s_or_b64 exec, exec, s[16:17]
	v_cmp_gt_u32_e64 s[12:13], 4, v1
	s_and_saveexec_b64 s[16:17], s[12:13]
	s_cbranch_execnz .LBB72_752
	s_branch .LBB72_753
.LBB72_1160:
	v_lshlrev_b32_e32 v28, 3, v25
	v_lshl_add_u32 v28, v27, 3, v28
	ds_read_b64 v[32:33], v28 offset:22400
	ds_read_b64 v[34:35], v30 offset:16728
	s_waitcnt lgkmcnt(0)
	v_mul_f32_e32 v28, v35, v33
	v_mul_f32_e32 v33, v34, v33
	v_fma_f32 v28, v34, v32, -v28
	v_fmac_f32_e32 v33, v35, v32
	v_add_f32_e32 v29, v29, v28
	v_add_f32_e32 v31, v31, v33
	s_or_b64 exec, exec, s[16:17]
	v_cmp_gt_u32_e64 s[12:13], 64, v1
	s_and_saveexec_b64 s[16:17], s[12:13]
	s_cbranch_execz .LBB72_813
.LBB72_1161:
	ds_read_b64 v[32:33], v24 offset:22912
	ds_read_b64 v[34:35], v30 offset:16736
	s_waitcnt lgkmcnt(0)
	v_mul_f32_e32 v28, v35, v33
	v_mul_f32_e32 v33, v34, v33
	v_fma_f32 v28, v34, v32, -v28
	v_fmac_f32_e32 v33, v35, v32
	v_add_f32_e32 v29, v29, v28
	v_add_f32_e32 v31, v31, v33
	s_or_b64 exec, exec, s[16:17]
	v_cmp_gt_u32_e64 s[12:13], 48, v1
	s_and_saveexec_b64 s[16:17], s[12:13]
	s_cbranch_execz .LBB72_814
.LBB72_1162:
	v_lshlrev_b32_e32 v28, 3, v25
	v_lshl_add_u32 v27, v27, 3, v28
	ds_read_b64 v[27:28], v27 offset:23424
	ds_read_b64 v[32:33], v30 offset:16744
	s_waitcnt lgkmcnt(0)
	v_mul_f32_e32 v34, v33, v28
	v_mul_f32_e32 v28, v32, v28
	v_fma_f32 v32, v32, v27, -v34
	v_fmac_f32_e32 v28, v33, v27
	v_add_f32_e32 v29, v29, v32
	v_add_f32_e32 v31, v31, v28
	s_or_b64 exec, exec, s[16:17]
	v_cmp_gt_u32_e64 s[12:13], 32, v1
	s_and_saveexec_b64 s[16:17], s[12:13]
	s_cbranch_execz .LBB72_815
.LBB72_1163:
	ds_read_b64 v[27:28], v24 offset:23936
	ds_read_b64 v[32:33], v30 offset:16752
	s_waitcnt lgkmcnt(0)
	v_mul_f32_e32 v30, v33, v28
	v_mul_f32_e32 v28, v32, v28
	v_fma_f32 v30, v32, v27, -v30
	v_fmac_f32_e32 v28, v33, v27
	v_add_f32_e32 v29, v29, v30
	v_add_f32_e32 v31, v31, v28
	s_or_b64 exec, exec, s[16:17]
	v_cmp_gt_u32_e64 s[12:13], 16, v1
	s_and_saveexec_b64 s[16:17], s[12:13]
	s_cbranch_execnz .LBB72_816
	s_branch .LBB72_817
.LBB72_1164:
	v_lshlrev_b32_e32 v27, 3, v18
	v_sub_u32_e32 v27, v25, v27
	v_lshl_add_u32 v27, v17, 3, v27
	ds_read_b64 v[27:28], v27 offset:25504
	ds_read_b64 v[29:30], v25 offset:24968
	s_waitcnt lgkmcnt(0)
	v_mul_f32_e32 v31, v30, v28
	v_mul_f32_e32 v28, v29, v28
	v_fma_f32 v29, v29, v27, -v31
	v_fmac_f32_e32 v28, v30, v27
	v_add_f32_e32 v24, v24, v29
	v_add_f32_e32 v26, v26, v28
	s_or_b64 exec, exec, s[12:13]
	v_cmp_gt_u32_e64 s[10:11], 8, v1
	s_and_saveexec_b64 s[12:13], s[10:11]
	s_cbranch_execz .LBB72_905
.LBB72_1165:
	ds_read_b64 v[27:28], v14 offset:26016
	ds_read_b64 v[29:30], v25 offset:24976
	s_waitcnt lgkmcnt(0)
	v_mul_f32_e32 v25, v30, v28
	v_mul_f32_e32 v28, v29, v28
	v_fma_f32 v25, v29, v27, -v25
	v_fmac_f32_e32 v28, v30, v27
	v_add_f32_e32 v24, v24, v25
	v_add_f32_e32 v26, v26, v28
	s_or_b64 exec, exec, s[12:13]
	v_cmp_gt_u32_e64 s[10:11], 4, v1
	s_and_saveexec_b64 s[12:13], s[10:11]
	s_cbranch_execnz .LBB72_906
	s_branch .LBB72_907
.LBB72_1166:
	v_lshlrev_b32_e32 v27, 3, v23
	v_sub_u32_e32 v27, v25, v27
	v_lshl_add_u32 v27, v22, 3, v27
	ds_read_b64 v[27:28], v27 offset:25536
	ds_read_b64 v[29:30], v25 offset:24968
	s_waitcnt lgkmcnt(0)
	v_mul_f32_e32 v31, v30, v28
	v_mul_f32_e32 v28, v29, v28
	v_fma_f32 v29, v29, v27, -v31
	v_fmac_f32_e32 v28, v30, v27
	v_add_f32_e32 v24, v24, v29
	v_add_f32_e32 v26, v26, v28
	s_or_b64 exec, exec, s[12:13]
	v_cmp_gt_u32_e64 s[10:11], 48, v1
	s_and_saveexec_b64 s[12:13], s[10:11]
	s_cbranch_execz .LBB72_947
.LBB72_1167:
	v_lshlrev_b32_e32 v27, 3, v23
	v_sub_u32_e32 v27, v25, v27
	v_lshl_add_u32 v27, v22, 3, v27
	ds_read_b64 v[27:28], v27 offset:26048
	ds_read_b64 v[29:30], v25 offset:24976
	s_waitcnt lgkmcnt(0)
	v_mul_f32_e32 v31, v30, v28
	v_mul_f32_e32 v28, v29, v28
	v_fma_f32 v29, v29, v27, -v31
	v_fmac_f32_e32 v28, v30, v27
	v_add_f32_e32 v24, v24, v29
	v_add_f32_e32 v26, v26, v28
	s_or_b64 exec, exec, s[12:13]
	v_cmp_gt_u32_e64 s[10:11], 40, v1
	s_and_saveexec_b64 s[12:13], s[10:11]
	s_cbranch_execz .LBB72_948
.LBB72_1168:
	v_lshlrev_b32_e32 v27, 3, v23
	v_sub_u32_e32 v27, v25, v27
	v_lshl_add_u32 v27, v22, 3, v27
	ds_read_b64 v[27:28], v27 offset:26560
	ds_read_b64 v[29:30], v25 offset:24984
	s_waitcnt lgkmcnt(0)
	v_mul_f32_e32 v31, v30, v28
	v_mul_f32_e32 v28, v29, v28
	v_fma_f32 v29, v29, v27, -v31
	v_fmac_f32_e32 v28, v30, v27
	v_add_f32_e32 v24, v24, v29
	v_add_f32_e32 v26, v26, v28
	s_or_b64 exec, exec, s[12:13]
	v_cmp_gt_u32_e64 s[10:11], 32, v1
	s_and_saveexec_b64 s[12:13], s[10:11]
	s_cbranch_execz .LBB72_949
.LBB72_1169:
	ds_read_b64 v[27:28], v19 offset:27072
	ds_read_b64 v[29:30], v25 offset:24992
	s_waitcnt lgkmcnt(0)
	v_mul_f32_e32 v31, v30, v28
	v_mul_f32_e32 v28, v29, v28
	v_fma_f32 v29, v29, v27, -v31
	v_fmac_f32_e32 v28, v30, v27
	v_add_f32_e32 v24, v24, v29
	v_add_f32_e32 v26, v26, v28
	s_or_b64 exec, exec, s[12:13]
	v_cmp_gt_u32_e64 s[10:11], 24, v1
	s_and_saveexec_b64 s[12:13], s[10:11]
	s_cbranch_execz .LBB72_950
.LBB72_1170:
	v_lshlrev_b32_e32 v23, 3, v23
	v_sub_u32_e32 v23, v25, v23
	v_lshl_add_u32 v22, v22, 3, v23
	ds_read_b64 v[22:23], v22 offset:27584
	ds_read_b64 v[27:28], v25 offset:25000
	s_waitcnt lgkmcnt(0)
	v_mul_f32_e32 v29, v28, v23
	v_mul_f32_e32 v23, v27, v23
	v_fma_f32 v27, v27, v22, -v29
	v_fmac_f32_e32 v23, v28, v22
	v_add_f32_e32 v24, v24, v27
	v_add_f32_e32 v26, v26, v23
	s_or_b64 exec, exec, s[12:13]
	v_cmp_gt_u32_e64 s[10:11], 16, v1
	s_and_saveexec_b64 s[12:13], s[10:11]
	s_cbranch_execz .LBB72_951
.LBB72_1171:
	ds_read_b64 v[22:23], v19 offset:28096
	ds_read_b64 v[27:28], v25 offset:25008
	s_waitcnt lgkmcnt(0)
	v_mul_f32_e32 v25, v28, v23
	v_mul_f32_e32 v23, v27, v23
	v_fma_f32 v25, v27, v22, -v25
	v_fmac_f32_e32 v23, v28, v22
	v_add_f32_e32 v24, v24, v25
	v_add_f32_e32 v26, v26, v23
	s_or_b64 exec, exec, s[12:13]
	v_cmp_gt_u32_e64 s[10:11], 8, v1
	s_and_saveexec_b64 s[12:13], s[10:11]
	s_cbranch_execnz .LBB72_952
	s_branch .LBB72_953
.LBB72_1172:
	v_lshlrev_b32_e32 v18, 3, v18
	v_sub_u32_e32 v18, v20, v18
	v_lshl_add_u32 v17, v17, 3, v18
	ds_read_b64 v[17:18], v17 offset:29664
	ds_read_b64 v[22:23], v20 offset:29128
	s_waitcnt lgkmcnt(0)
	v_mul_f32_e32 v24, v23, v18
	v_mul_f32_e32 v18, v22, v18
	v_fma_f32 v22, v22, v17, -v24
	v_fmac_f32_e32 v18, v23, v17
	v_add_f32_e32 v19, v19, v22
	v_add_f32_e32 v21, v21, v18
	s_or_b64 exec, exec, s[10:11]
	v_cmp_gt_u32_e64 s[8:9], 8, v1
	s_and_saveexec_b64 s[10:11], s[8:9]
	s_cbranch_execz .LBB72_1009
.LBB72_1173:
	ds_read_b64 v[17:18], v14 offset:30176
	ds_read_b64 v[22:23], v20 offset:29136
	s_waitcnt lgkmcnt(0)
	v_mul_f32_e32 v20, v23, v18
	v_mul_f32_e32 v18, v22, v18
	v_fma_f32 v20, v22, v17, -v20
	v_fmac_f32_e32 v18, v23, v17
	v_add_f32_e32 v19, v19, v20
	v_add_f32_e32 v21, v21, v18
	s_or_b64 exec, exec, s[10:11]
	v_cmp_gt_u32_e64 s[8:9], 4, v1
	s_and_saveexec_b64 s[10:11], s[8:9]
	s_cbranch_execnz .LBB72_1010
	s_branch .LBB72_1011
	.section	.rodata,"a",@progbits
	.p2align	6, 0x0
	.amdhsa_kernel _ZL19rocblas_trsv_deviceILi64ELi16ELb1ELb1ELb1ELb0E19rocblas_complex_numIfES1_PKS1_PS1_EviT7_lllT6_T8_lllPii
		.amdhsa_group_segment_fixed_size 41480
		.amdhsa_private_segment_fixed_size 0
		.amdhsa_kernarg_size 352
		.amdhsa_user_sgpr_count 6
		.amdhsa_user_sgpr_private_segment_buffer 1
		.amdhsa_user_sgpr_dispatch_ptr 0
		.amdhsa_user_sgpr_queue_ptr 0
		.amdhsa_user_sgpr_kernarg_segment_ptr 1
		.amdhsa_user_sgpr_dispatch_id 0
		.amdhsa_user_sgpr_flat_scratch_init 0
		.amdhsa_user_sgpr_private_segment_size 0
		.amdhsa_uses_dynamic_stack 0
		.amdhsa_system_sgpr_private_segment_wavefront_offset 0
		.amdhsa_system_sgpr_workgroup_id_x 1
		.amdhsa_system_sgpr_workgroup_id_y 0
		.amdhsa_system_sgpr_workgroup_id_z 1
		.amdhsa_system_sgpr_workgroup_info 0
		.amdhsa_system_vgpr_workitem_id 1
		.amdhsa_next_free_vgpr 49
		.amdhsa_next_free_sgpr 98
		.amdhsa_reserve_vcc 1
		.amdhsa_reserve_flat_scratch 0
		.amdhsa_float_round_mode_32 0
		.amdhsa_float_round_mode_16_64 0
		.amdhsa_float_denorm_mode_32 3
		.amdhsa_float_denorm_mode_16_64 3
		.amdhsa_dx10_clamp 1
		.amdhsa_ieee_mode 1
		.amdhsa_fp16_overflow 0
		.amdhsa_exception_fp_ieee_invalid_op 0
		.amdhsa_exception_fp_denorm_src 0
		.amdhsa_exception_fp_ieee_div_zero 0
		.amdhsa_exception_fp_ieee_overflow 0
		.amdhsa_exception_fp_ieee_underflow 0
		.amdhsa_exception_fp_ieee_inexact 0
		.amdhsa_exception_int_div_zero 0
	.end_amdhsa_kernel
	.section	.text._ZL19rocblas_trsv_deviceILi64ELi16ELb1ELb1ELb1ELb0E19rocblas_complex_numIfES1_PKS1_PS1_EviT7_lllT6_T8_lllPii,"axG",@progbits,_ZL19rocblas_trsv_deviceILi64ELi16ELb1ELb1ELb1ELb0E19rocblas_complex_numIfES1_PKS1_PS1_EviT7_lllT6_T8_lllPii,comdat
.Lfunc_end72:
	.size	_ZL19rocblas_trsv_deviceILi64ELi16ELb1ELb1ELb1ELb0E19rocblas_complex_numIfES1_PKS1_PS1_EviT7_lllT6_T8_lllPii, .Lfunc_end72-_ZL19rocblas_trsv_deviceILi64ELi16ELb1ELb1ELb1ELb0E19rocblas_complex_numIfES1_PKS1_PS1_EviT7_lllT6_T8_lllPii
                                        ; -- End function
	.set _ZL19rocblas_trsv_deviceILi64ELi16ELb1ELb1ELb1ELb0E19rocblas_complex_numIfES1_PKS1_PS1_EviT7_lllT6_T8_lllPii.num_vgpr, 43
	.set _ZL19rocblas_trsv_deviceILi64ELi16ELb1ELb1ELb1ELb0E19rocblas_complex_numIfES1_PKS1_PS1_EviT7_lllT6_T8_lllPii.num_agpr, 0
	.set _ZL19rocblas_trsv_deviceILi64ELi16ELb1ELb1ELb1ELb0E19rocblas_complex_numIfES1_PKS1_PS1_EviT7_lllT6_T8_lllPii.numbered_sgpr, 96
	.set _ZL19rocblas_trsv_deviceILi64ELi16ELb1ELb1ELb1ELb0E19rocblas_complex_numIfES1_PKS1_PS1_EviT7_lllT6_T8_lllPii.num_named_barrier, 0
	.set _ZL19rocblas_trsv_deviceILi64ELi16ELb1ELb1ELb1ELb0E19rocblas_complex_numIfES1_PKS1_PS1_EviT7_lllT6_T8_lllPii.private_seg_size, 0
	.set _ZL19rocblas_trsv_deviceILi64ELi16ELb1ELb1ELb1ELb0E19rocblas_complex_numIfES1_PKS1_PS1_EviT7_lllT6_T8_lllPii.uses_vcc, 1
	.set _ZL19rocblas_trsv_deviceILi64ELi16ELb1ELb1ELb1ELb0E19rocblas_complex_numIfES1_PKS1_PS1_EviT7_lllT6_T8_lllPii.uses_flat_scratch, 0
	.set _ZL19rocblas_trsv_deviceILi64ELi16ELb1ELb1ELb1ELb0E19rocblas_complex_numIfES1_PKS1_PS1_EviT7_lllT6_T8_lllPii.has_dyn_sized_stack, 0
	.set _ZL19rocblas_trsv_deviceILi64ELi16ELb1ELb1ELb1ELb0E19rocblas_complex_numIfES1_PKS1_PS1_EviT7_lllT6_T8_lllPii.has_recursion, 0
	.set _ZL19rocblas_trsv_deviceILi64ELi16ELb1ELb1ELb1ELb0E19rocblas_complex_numIfES1_PKS1_PS1_EviT7_lllT6_T8_lllPii.has_indirect_call, 0
	.section	.AMDGPU.csdata,"",@progbits
; Kernel info:
; codeLenInByte = 49284
; TotalNumSgprs: 100
; NumVgprs: 43
; ScratchSize: 0
; MemoryBound: 0
; FloatMode: 240
; IeeeMode: 1
; LDSByteSize: 41480 bytes/workgroup (compile time only)
; SGPRBlocks: 12
; VGPRBlocks: 12
; NumSGPRsForWavesPerEU: 102
; NumVGPRsForWavesPerEU: 49
; Occupancy: 4
; WaveLimiterHint : 0
; COMPUTE_PGM_RSRC2:SCRATCH_EN: 0
; COMPUTE_PGM_RSRC2:USER_SGPR: 6
; COMPUTE_PGM_RSRC2:TRAP_HANDLER: 0
; COMPUTE_PGM_RSRC2:TGID_X_EN: 1
; COMPUTE_PGM_RSRC2:TGID_Y_EN: 0
; COMPUTE_PGM_RSRC2:TGID_Z_EN: 1
; COMPUTE_PGM_RSRC2:TIDIG_COMP_CNT: 1
	.section	.text._ZL19rocblas_trsv_deviceILi32ELi16ELb0ELb0ELb0ELb1E19rocblas_complex_numIdEPKS1_S3_PS1_EviT7_lllT6_T8_lllPii,"axG",@progbits,_ZL19rocblas_trsv_deviceILi32ELi16ELb0ELb0ELb0ELb1E19rocblas_complex_numIdEPKS1_S3_PS1_EviT7_lllT6_T8_lllPii,comdat
	.globl	_ZL19rocblas_trsv_deviceILi32ELi16ELb0ELb0ELb0ELb1E19rocblas_complex_numIdEPKS1_S3_PS1_EviT7_lllT6_T8_lllPii ; -- Begin function _ZL19rocblas_trsv_deviceILi32ELi16ELb0ELb0ELb0ELb1E19rocblas_complex_numIdEPKS1_S3_PS1_EviT7_lllT6_T8_lllPii
	.p2align	8
	.type	_ZL19rocblas_trsv_deviceILi32ELi16ELb0ELb0ELb0ELb1E19rocblas_complex_numIdEPKS1_S3_PS1_EviT7_lllT6_T8_lllPii,@function
_ZL19rocblas_trsv_deviceILi32ELi16ELb0ELb0ELb0ELb1E19rocblas_complex_numIdEPKS1_S3_PS1_EviT7_lllT6_T8_lllPii: ; @_ZL19rocblas_trsv_deviceILi32ELi16ELb0ELb0ELb0ELb1E19rocblas_complex_numIdEPKS1_S3_PS1_EviT7_lllT6_T8_lllPii
; %bb.0:
	s_load_dwordx16 s[12:27], s[4:5], 0x8
	s_load_dword s36, s[4:5], 0x0
	s_mov_b32 s34, s7
	s_mov_b32 s35, 0
	s_waitcnt lgkmcnt(0)
	s_mul_i32 s0, s19, s7
	s_mul_hi_u32 s1, s18, s7
	s_add_i32 s1, s1, s0
	s_mul_i32 s0, s18, s7
	s_load_dword s7, s[4:5], 0x60
	s_lshl_b64 s[0:1], s[0:1], 4
	s_add_u32 s2, s12, s0
	s_addc_u32 s3, s13, s1
	s_lshl_b64 s[0:1], s[14:15], 4
	s_load_dwordx4 s[28:31], s[20:21], 0x0
	s_load_dword s89, s[4:5], 0x6c
	s_add_u32 s87, s2, s0
	s_addc_u32 s88, s3, s1
	s_waitcnt lgkmcnt(0)
	s_add_i32 s7, s7, -1
	s_sub_i32 s33, s7, s6
	s_cmp_eq_u32 s6, 0
	s_cbranch_scc1 .LBB73_6
; %bb.1:
	s_lshl_b32 s2, s33, 5
	v_add3_u32 v6, v1, s2, 32
	v_ashrrev_i32_e32 v2, 31, v6
	v_mul_lo_u32 v7, s16, v2
	v_mul_lo_u32 v8, s17, v6
	v_mad_u64_u32 v[2:3], s[0:1], s16, v6, 0
	v_add_u32_e32 v4, s2, v0
	v_ashrrev_i32_e32 v5, 31, v4
	v_add3_u32 v3, v3, v7, v8
	v_lshlrev_b64 v[2:3], 4, v[2:3]
	v_mov_b32_e32 v7, s88
	v_add_co_u32_e64 v8, s[0:1], s87, v2
	v_addc_co_u32_e64 v7, s[0:1], v7, v3, s[0:1]
	v_lshlrev_b64 v[2:3], 4, v[4:5]
	v_cmp_gt_i32_e32 vcc, s36, v4
	v_add_co_u32_e64 v10, s[0:1], v8, v2
	v_addc_co_u32_e64 v11, s[0:1], v7, v3, s[0:1]
	v_cmp_gt_i32_e64 s[0:1], s36, v6
	v_mov_b32_e32 v8, 0
	v_mov_b32_e32 v2, 0
	;; [unrolled: 1-line block ×6, first 2 shown]
	s_and_b64 s[2:3], vcc, s[0:1]
	s_barrier
	s_and_saveexec_b64 s[0:1], s[2:3]
	s_cbranch_execz .LBB73_3
; %bb.2:
	global_load_dwordx4 v[2:5], v[10:11], off
.LBB73_3:
	s_or_b64 exec, exec, s[0:1]
	v_add_u32_e32 v6, 16, v6
	v_cmp_gt_i32_e64 s[0:1], s36, v6
	v_mov_b32_e32 v6, 0
	v_mov_b32_e32 v7, 0
	s_and_b64 s[2:3], vcc, s[0:1]
	s_waitcnt vmcnt(0)
	s_barrier
	s_and_saveexec_b64 s[0:1], s[2:3]
	s_cbranch_execz .LBB73_5
; %bb.4:
	s_lshl_b64 s[2:3], s[16:17], 8
	v_mov_b32_e32 v7, s3
	v_add_co_u32_e32 v6, vcc, s2, v10
	v_addc_co_u32_e32 v7, vcc, v11, v7, vcc
	global_load_dwordx4 v[6:9], v[6:7], off
.LBB73_5:
	s_or_b64 exec, exec, s[0:1]
	s_branch .LBB73_7
.LBB73_6:
                                        ; implicit-def: $vgpr8_vgpr9
                                        ; implicit-def: $vgpr4_vgpr5
.LBB73_7:
	s_ashr_i32 s37, s36, 31
	s_lshr_b32 s0, s37, 27
	s_add_i32 s0, s36, s0
	s_andn2_b32 s0, s0, 31
	s_sub_i32 s86, s36, s0
	s_add_i32 s0, s36, -1
	s_ashr_i32 s1, s0, 31
	s_lshr_b32 s1, s1, 27
	s_add_i32 s0, s0, s1
	s_ashr_i32 s0, s0, 5
	s_cmp_eq_u32 s0, s33
	s_cselect_b64 s[0:1], -1, 0
	s_cmp_lg_u32 s86, 0
	s_cselect_b64 s[2:3], -1, 0
	s_and_b64 s[18:19], s[2:3], s[0:1]
	s_mov_b64 s[2:3], -1
	s_and_b64 vcc, exec, s[18:19]
	v_cmp_le_u32_e64 s[0:1], v1, v0
	v_lshl_add_u32 v21, v1, 5, v0
	s_cbranch_vccnz .LBB73_21
; %bb.8:
	s_add_u32 s2, s16, 1
	s_addc_u32 s3, s17, 0
	s_lshl_b32 s8, s33, 5
	s_ashr_i32 s9, s8, 31
	s_mul_hi_u32 s10, s2, s8
	s_mul_i32 s9, s2, s9
	s_add_i32 s9, s10, s9
	s_mul_i32 s3, s3, s8
	s_add_i32 s3, s9, s3
	s_mul_i32 s2, s2, s8
	s_lshl_b64 s[2:3], s[2:3], 4
	s_add_u32 s2, s87, s2
	s_addc_u32 s3, s88, s3
	v_lshlrev_b32_e32 v10, 4, v0
	v_mov_b32_e32 v11, s3
	v_add_co_u32_e32 v10, vcc, s2, v10
	v_addc_co_u32_e32 v11, vcc, 0, v11, vcc
	s_and_saveexec_b64 s[2:3], s[0:1]
	s_xor_b64 s[0:1], exec, s[2:3]
	s_cbranch_execz .LBB73_12
; %bb.9:
	v_or_b32_e32 v12, v1, v0
	v_cmp_gt_u32_e32 vcc, 32, v12
	s_and_saveexec_b64 s[2:3], vcc
	s_cbranch_execz .LBB73_11
; %bb.10:
	v_mov_b32_e32 v12, 0
	v_lshlrev_b32_e32 v16, 4, v21
	v_mov_b32_e32 v13, v12
	v_mov_b32_e32 v14, v12
	v_mov_b32_e32 v15, v12
	ds_write_b128 v16, v[12:15]
.LBB73_11:
	s_or_b64 exec, exec, s[2:3]
.LBB73_12:
	s_andn2_saveexec_b64 s[0:1], s[0:1]
	s_cbranch_execz .LBB73_14
; %bb.13:
	v_mad_u64_u32 v[12:13], s[2:3], s16, v1, 0
	v_lshlrev_b32_e32 v16, 4, v21
	v_mad_u64_u32 v[13:14], s[2:3], s17, v1, v[13:14]
	v_lshlrev_b64 v[12:13], 4, v[12:13]
	v_add_co_u32_e32 v12, vcc, v10, v12
	v_addc_co_u32_e32 v13, vcc, v11, v13, vcc
	global_load_dwordx4 v[12:15], v[12:13], off
	s_waitcnt vmcnt(0)
	v_xor_b32_e32 v13, 0x80000000, v13
	v_xor_b32_e32 v15, 0x80000000, v15
	ds_write_b128 v16, v[12:15]
.LBB73_14:
	s_or_b64 exec, exec, s[0:1]
	v_add_u32_e32 v13, 16, v1
	v_lshl_add_u32 v12, v13, 5, v0
	v_cmp_le_u32_e32 vcc, v13, v0
	s_and_saveexec_b64 s[0:1], vcc
	s_xor_b64 s[0:1], exec, s[0:1]
	s_cbranch_execz .LBB73_18
; %bb.15:
	v_or_b32_e32 v10, v13, v0
	v_cmp_gt_u32_e32 vcc, 32, v10
	s_and_saveexec_b64 s[2:3], vcc
	s_cbranch_execz .LBB73_17
; %bb.16:
	v_mov_b32_e32 v10, 0
	v_lshlrev_b32_e32 v14, 4, v12
	v_mov_b32_e32 v11, v10
	v_mov_b32_e32 v12, v10
	;; [unrolled: 1-line block ×3, first 2 shown]
	ds_write_b128 v14, v[10:13]
.LBB73_17:
	s_or_b64 exec, exec, s[2:3]
                                        ; implicit-def: $vgpr13
                                        ; implicit-def: $vgpr10
                                        ; implicit-def: $vgpr11
                                        ; implicit-def: $vgpr12
.LBB73_18:
	s_andn2_saveexec_b64 s[0:1], s[0:1]
	s_cbranch_execz .LBB73_20
; %bb.19:
	v_mad_u64_u32 v[14:15], s[2:3], s16, v13, 0
	v_mad_u64_u32 v[15:16], s[2:3], s17, v13, v[15:16]
	v_lshlrev_b64 v[13:14], 4, v[14:15]
	v_add_co_u32_e32 v10, vcc, v10, v13
	v_addc_co_u32_e32 v11, vcc, v11, v14, vcc
	global_load_dwordx4 v[13:16], v[10:11], off
	v_lshlrev_b32_e32 v10, 4, v12
	s_waitcnt vmcnt(0)
	v_xor_b32_e32 v14, 0x80000000, v14
	v_xor_b32_e32 v16, 0x80000000, v16
	ds_write_b128 v10, v[13:16]
.LBB73_20:
	s_or_b64 exec, exec, s[0:1]
	s_mov_b64 s[2:3], 0
.LBB73_21:
	s_and_b64 vcc, exec, s[2:3]
	s_cbranch_vccz .LBB73_35
; %bb.22:
	s_add_u32 s0, s16, 1
	s_addc_u32 s1, s17, 0
	s_lshl_b32 s2, s33, 5
	s_ashr_i32 s3, s2, 31
	s_mul_hi_u32 s8, s0, s2
	s_mul_i32 s3, s0, s3
	s_add_i32 s3, s8, s3
	s_mul_i32 s1, s1, s2
	s_add_i32 s1, s3, s1
	s_mul_i32 s0, s0, s2
	s_lshl_b64 s[0:1], s[0:1], 4
	s_add_u32 s0, s87, s0
	s_addc_u32 s1, s88, s1
	v_lshlrev_b32_e32 v10, 4, v0
	v_mov_b32_e32 v11, s1
	v_add_co_u32_e64 v10, s[0:1], s0, v10
	v_addc_co_u32_e64 v11, s[0:1], 0, v11, s[0:1]
	v_max_i32_e32 v12, v1, v0
	v_cmp_le_u32_e64 s[0:1], v1, v0
	v_cmp_le_i32_e64 s[2:3], s86, v12
	v_cmp_gt_i32_e32 vcc, s86, v0
	s_or_b64 s[0:1], s[2:3], s[0:1]
	s_and_saveexec_b64 s[2:3], s[0:1]
	s_xor_b64 s[2:3], exec, s[2:3]
	s_cbranch_execz .LBB73_26
; %bb.23:
	v_or_b32_e32 v12, v1, v0
	v_cmp_gt_u32_e64 s[0:1], 32, v12
	s_and_saveexec_b64 s[8:9], s[0:1]
	s_cbranch_execz .LBB73_25
; %bb.24:
	v_mov_b32_e32 v12, 0
	v_lshlrev_b32_e32 v16, 4, v21
	v_mov_b32_e32 v13, v12
	v_mov_b32_e32 v14, v12
	;; [unrolled: 1-line block ×3, first 2 shown]
	ds_write_b128 v16, v[12:15]
.LBB73_25:
	s_or_b64 exec, exec, s[8:9]
.LBB73_26:
	s_andn2_saveexec_b64 s[2:3], s[2:3]
	s_cbranch_execz .LBB73_28
; %bb.27:
	v_mad_u64_u32 v[12:13], s[0:1], s16, v1, 0
	v_lshlrev_b32_e32 v16, 4, v21
	v_mad_u64_u32 v[13:14], s[0:1], s17, v1, v[13:14]
	v_lshlrev_b64 v[12:13], 4, v[12:13]
	v_add_co_u32_e64 v12, s[0:1], v10, v12
	v_addc_co_u32_e64 v13, s[0:1], v11, v13, s[0:1]
	global_load_dwordx4 v[12:15], v[12:13], off
	s_waitcnt vmcnt(0)
	v_xor_b32_e32 v13, 0x80000000, v13
	v_xor_b32_e32 v15, 0x80000000, v15
	ds_write_b128 v16, v[12:15]
.LBB73_28:
	s_or_b64 exec, exec, s[2:3]
	v_add_u32_e32 v13, 16, v1
	v_cmp_gt_u32_e64 s[0:1], v13, v0
	v_cmp_gt_i32_e64 s[2:3], s86, v13
	s_and_b64 s[0:1], s[0:1], s[2:3]
	s_and_b64 s[0:1], s[0:1], vcc
	v_lshl_add_u32 v12, v13, 5, v0
	s_xor_b64 s[0:1], s[0:1], -1
	s_and_saveexec_b64 s[2:3], s[0:1]
	s_xor_b64 s[0:1], exec, s[2:3]
	s_cbranch_execz .LBB73_32
; %bb.29:
	v_or_b32_e32 v10, v13, v0
	v_cmp_gt_u32_e32 vcc, 32, v10
	s_and_saveexec_b64 s[2:3], vcc
	s_cbranch_execz .LBB73_31
; %bb.30:
	v_mov_b32_e32 v10, 0
	v_lshlrev_b32_e32 v14, 4, v12
	v_mov_b32_e32 v11, v10
	v_mov_b32_e32 v12, v10
	v_mov_b32_e32 v13, v10
	ds_write_b128 v14, v[10:13]
.LBB73_31:
	s_or_b64 exec, exec, s[2:3]
                                        ; implicit-def: $vgpr13
                                        ; implicit-def: $vgpr10
                                        ; implicit-def: $vgpr11
                                        ; implicit-def: $vgpr12
.LBB73_32:
	s_andn2_saveexec_b64 s[0:1], s[0:1]
	s_cbranch_execz .LBB73_34
; %bb.33:
	v_mad_u64_u32 v[14:15], s[2:3], s16, v13, 0
	v_mad_u64_u32 v[15:16], s[2:3], s17, v13, v[15:16]
	v_lshlrev_b64 v[13:14], 4, v[14:15]
	v_add_co_u32_e32 v10, vcc, v10, v13
	v_addc_co_u32_e32 v11, vcc, v11, v14, vcc
	global_load_dwordx4 v[13:16], v[10:11], off
	v_lshlrev_b32_e32 v10, 4, v12
	s_waitcnt vmcnt(0)
	v_xor_b32_e32 v14, 0x80000000, v14
	v_xor_b32_e32 v16, 0x80000000, v16
	ds_write_b128 v10, v[13:16]
.LBB73_34:
	s_or_b64 exec, exec, s[0:1]
.LBB73_35:
	s_cmp_lt_i32 s6, 5
	s_cselect_b64 s[0:1], -1, 0
	s_or_b64 s[20:21], s[0:1], s[18:19]
	s_and_b64 vcc, exec, s[20:21]
	s_waitcnt vmcnt(0) lgkmcnt(0)
	s_barrier
	s_cbranch_vccnz .LBB73_429
; %bb.36:
	v_or_b32_e32 v10, v0, v1
	s_mov_b32 s0, 0
	v_cmp_eq_u32_e32 vcc, 0, v10
	s_and_saveexec_b64 s[8:9], vcc
	s_cbranch_execz .LBB73_38
; %bb.37:
	s_mov_b32 s3, s0
	s_mov_b32 s1, 0x3ff00000
	;; [unrolled: 1-line block ×3, first 2 shown]
	v_mov_b32_e32 v13, s3
	v_mov_b32_e32 v14, 0
	;; [unrolled: 1-line block ×5, first 2 shown]
	ds_write_b128 v14, v[10:13] offset:15840
	ds_write_b128 v14, v[10:13] offset:16368
.LBB73_38:
	s_or_b64 exec, exec, s[8:9]
	v_lshlrev_b32_e32 v10, 5, v1
	v_add_u32_e32 v17, v10, v0
	v_add_u16_e32 v10, v10, v0
	v_lshrrev_b16_e32 v16, 1, v10
	v_mov_b32_e32 v10, 0
	v_mov_b32_e32 v12, 0
	v_and_b32_e32 v14, 1, v0
	v_sub_u32_e32 v15, 1, v16
	v_cmp_lt_u32_e64 s[2:3], 3, v17
	v_mov_b32_e32 v11, 0
	v_mov_b32_e32 v13, 0
	v_cmp_gt_u32_e64 s[0:1], 4, v17
	s_waitcnt lgkmcnt(0)
	s_barrier
	buffer_wbinvl1_vol
	s_and_saveexec_b64 s[10:11], s[0:1]
	s_cbranch_execz .LBB73_42
; %bb.39:
	v_lshlrev_b32_e32 v10, 9, v15
	v_lshlrev_b32_e32 v18, 4, v14
	ds_read_b128 v[10:13], v10 offset:15840
	ds_read_b128 v[22:25], v18 offset:15808
	v_cmp_gt_u32_e64 s[8:9], 2, v17
	s_waitcnt lgkmcnt(0)
	v_mul_f64 v[18:19], v[12:13], v[24:25]
	v_mul_f64 v[24:25], v[10:11], v[24:25]
	v_fma_f64 v[10:11], v[10:11], v[22:23], -v[18:19]
	v_fma_f64 v[12:13], v[12:13], v[22:23], v[24:25]
	v_add_f64 v[10:11], v[10:11], 0
	v_add_f64 v[12:13], v[12:13], 0
	s_and_saveexec_b64 s[12:13], s[8:9]
	s_cbranch_execz .LBB73_41
; %bb.40:
	v_mov_b32_e32 v19, 0
	v_lshlrev_b32_e32 v18, 4, v0
	ds_read_b128 v[22:25], v19 offset:16368
	ds_read_b128 v[26:29], v18 offset:16320
	s_waitcnt lgkmcnt(0)
	v_mul_f64 v[18:19], v[24:25], v[28:29]
	v_mul_f64 v[28:29], v[22:23], v[28:29]
	v_fma_f64 v[18:19], v[22:23], v[26:27], -v[18:19]
	v_fma_f64 v[22:23], v[24:25], v[26:27], v[28:29]
	v_add_f64 v[10:11], v[10:11], v[18:19]
	v_add_f64 v[12:13], v[12:13], v[22:23]
.LBB73_41:
	s_or_b64 exec, exec, s[12:13]
.LBB73_42:
	s_or_b64 exec, exec, s[10:11]
	v_mov_b32_e32 v18, 0x4000
	v_cmp_ne_u32_e64 s[8:9], 0, v14
	s_xor_b64 s[10:11], s[2:3], -1
	v_lshl_add_u32 v16, v16, 4, v18
	s_and_b64 s[40:41], s[8:9], s[10:11]
	s_and_saveexec_b64 s[2:3], s[40:41]
; %bb.43:
	v_xor_b32_e32 v23, 0x80000000, v11
	v_xor_b32_e32 v25, 0x80000000, v13
	v_mov_b32_e32 v22, v10
	v_mov_b32_e32 v24, v12
	ds_write_b128 v16, v[22:25]
; %bb.44:
	s_or_b64 exec, exec, s[2:3]
	v_cmp_eq_u32_e64 s[2:3], 0, v14
	s_and_b64 s[38:39], s[2:3], s[10:11]
	s_waitcnt lgkmcnt(0)
	s_barrier
	s_and_saveexec_b64 s[2:3], s[38:39]
	s_cbranch_execz .LBB73_46
; %bb.45:
	v_mov_b32_e32 v18, 0
	ds_read_b128 v[22:25], v16
	ds_read_b128 v[26:29], v18 offset:15296
	s_waitcnt lgkmcnt(0)
	v_mul_f64 v[18:19], v[22:23], v[26:27]
	v_mul_f64 v[22:23], v[22:23], v[28:29]
	v_fma_f64 v[18:19], v[24:25], v[28:29], -v[18:19]
	v_fma_f64 v[22:23], v[24:25], v[26:27], v[22:23]
	v_add_f64 v[10:11], v[10:11], v[18:19]
	v_add_f64 v[12:13], v[12:13], -v[22:23]
.LBB73_46:
	s_or_b64 exec, exec, s[2:3]
	s_barrier
	s_and_saveexec_b64 s[2:3], s[38:39]
; %bb.47:
	v_xor_b32_e32 v23, 0x80000000, v11
	v_xor_b32_e32 v25, 0x80000000, v13
	v_mov_b32_e32 v22, v10
	v_mov_b32_e32 v24, v12
	ds_write_b128 v16, v[22:25]
; %bb.48:
	s_or_b64 exec, exec, s[2:3]
	s_waitcnt lgkmcnt(0)
	s_barrier
	s_barrier
	s_and_saveexec_b64 s[2:3], s[0:1]
; %bb.49:
	v_lshlrev_b32_e32 v18, 4, v14
	v_lshl_or_b32 v18, v15, 9, v18
	ds_write_b128 v18, v[10:13] offset:15808
; %bb.50:
	s_or_b64 exec, exec, s[2:3]
	s_waitcnt lgkmcnt(0)
	s_barrier
	s_barrier
	s_and_saveexec_b64 s[2:3], vcc
	s_cbranch_execz .LBB73_52
; %bb.51:
	s_mov_b32 s8, 0
	s_mov_b32 s11, s8
	;; [unrolled: 1-line block ×4, first 2 shown]
	v_mov_b32_e32 v13, s11
	v_mov_b32_e32 v18, 0
	;; [unrolled: 1-line block ×5, first 2 shown]
	ds_write_b128 v18, v[10:13] offset:14784
	ds_write_b128 v18, v[10:13] offset:15312
.LBB73_52:
	s_or_b64 exec, exec, s[2:3]
	v_lshrrev_b32_e32 v20, 2, v17
	v_mov_b32_e32 v12, 0
	v_mov_b32_e32 v10, 0
	v_and_b32_e32 v18, 3, v0
	v_sub_u32_e32 v19, 3, v20
	v_cmp_lt_u32_e64 s[8:9], 15, v17
	v_mov_b32_e32 v13, 0
	v_mov_b32_e32 v11, 0
	v_cmp_gt_u32_e64 s[2:3], 16, v17
	s_waitcnt lgkmcnt(0)
	s_barrier
	buffer_wbinvl1_vol
	s_and_saveexec_b64 s[12:13], s[2:3]
	s_cbranch_execz .LBB73_58
; %bb.53:
	v_lshlrev_b32_e32 v23, 9, v19
	v_lshlrev_b32_e32 v22, 4, v18
	ds_read_b128 v[10:13], v23 offset:14784
	ds_read_b128 v[24:27], v22 offset:14720
	v_cmp_gt_u32_e64 s[10:11], 12, v17
	s_waitcnt lgkmcnt(0)
	v_mul_f64 v[28:29], v[12:13], v[26:27]
	v_mul_f64 v[26:27], v[10:11], v[26:27]
	v_fma_f64 v[10:11], v[10:11], v[24:25], -v[28:29]
	v_fma_f64 v[12:13], v[12:13], v[24:25], v[26:27]
	v_add_f64 v[10:11], v[10:11], 0
	v_add_f64 v[12:13], v[12:13], 0
	s_and_saveexec_b64 s[14:15], s[10:11]
	s_cbranch_execnz .LBB73_487
; %bb.54:
	s_or_b64 exec, exec, s[14:15]
	v_cmp_gt_u32_e64 s[10:11], 8, v17
	s_and_saveexec_b64 s[14:15], s[10:11]
	s_cbranch_execnz .LBB73_488
.LBB73_55:
	s_or_b64 exec, exec, s[14:15]
	v_cmp_gt_u32_e64 s[10:11], 4, v17
	s_and_saveexec_b64 s[14:15], s[10:11]
	s_cbranch_execz .LBB73_57
.LBB73_56:
	v_lshlrev_b32_e32 v26, 4, v0
	v_mov_b32_e32 v22, 0
	ds_read_b128 v[22:25], v22 offset:16368
	ds_read_b128 v[26:29], v26 offset:16256
	s_waitcnt lgkmcnt(0)
	v_mul_f64 v[30:31], v[24:25], v[28:29]
	v_mul_f64 v[28:29], v[22:23], v[28:29]
	v_fma_f64 v[22:23], v[22:23], v[26:27], -v[30:31]
	v_fma_f64 v[24:25], v[24:25], v[26:27], v[28:29]
	v_add_f64 v[10:11], v[10:11], v[22:23]
	v_add_f64 v[12:13], v[12:13], v[24:25]
.LBB73_57:
	s_or_b64 exec, exec, s[14:15]
.LBB73_58:
	s_or_b64 exec, exec, s[12:13]
	v_mov_b32_e32 v22, 0x4000
	v_cmp_eq_u32_e64 s[10:11], 3, v18
	s_xor_b64 s[12:13], s[8:9], -1
	v_lshl_add_u32 v20, v20, 4, v22
	s_and_b64 s[44:45], s[10:11], s[12:13]
	s_and_saveexec_b64 s[8:9], s[44:45]
; %bb.59:
	v_xor_b32_e32 v25, 0x80000000, v13
	v_xor_b32_e32 v23, 0x80000000, v11
	v_mov_b32_e32 v22, v10
	v_mov_b32_e32 v24, v12
	ds_write_b128 v20, v[22:25]
; %bb.60:
	s_or_b64 exec, exec, s[8:9]
	v_cmp_ne_u32_e64 s[8:9], 3, v18
	s_and_b64 s[46:47], s[8:9], s[12:13]
	s_waitcnt lgkmcnt(0)
	s_barrier
	s_and_saveexec_b64 s[8:9], s[46:47]
	s_cbranch_execz .LBB73_62
; %bb.61:
	v_lshlrev_b32_e32 v26, 4, v18
	ds_read_b128 v[22:25], v20
	ds_read_b128 v[26:29], v26 offset:14208
	s_waitcnt lgkmcnt(0)
	v_mul_f64 v[30:31], v[24:25], v[28:29]
	v_mul_f64 v[28:29], v[22:23], v[28:29]
	v_fma_f64 v[22:23], v[22:23], v[26:27], -v[30:31]
	v_fma_f64 v[24:25], v[24:25], v[26:27], v[28:29]
	v_add_f64 v[10:11], v[10:11], -v[22:23]
	v_add_f64 v[12:13], v[12:13], -v[24:25]
.LBB73_62:
	s_or_b64 exec, exec, s[8:9]
	v_cmp_eq_u32_e64 s[8:9], 2, v18
	s_and_b64 s[48:49], s[8:9], s[12:13]
	s_barrier
	s_and_saveexec_b64 s[8:9], s[48:49]
; %bb.63:
	v_xor_b32_e32 v25, 0x80000000, v13
	v_xor_b32_e32 v23, 0x80000000, v11
	v_mov_b32_e32 v22, v10
	v_mov_b32_e32 v24, v12
	ds_write_b128 v20, v[22:25]
; %bb.64:
	s_or_b64 exec, exec, s[8:9]
	v_cmp_gt_u32_e64 s[8:9], 2, v18
	s_and_b64 s[50:51], s[8:9], s[12:13]
	s_waitcnt lgkmcnt(0)
	s_barrier
	s_and_saveexec_b64 s[8:9], s[50:51]
	s_cbranch_execz .LBB73_66
; %bb.65:
	v_lshlrev_b32_e32 v26, 4, v18
	ds_read_b128 v[22:25], v20
	ds_read_b128 v[26:29], v26 offset:13696
	s_waitcnt lgkmcnt(0)
	v_mul_f64 v[30:31], v[24:25], v[28:29]
	v_mul_f64 v[28:29], v[22:23], v[28:29]
	v_fma_f64 v[22:23], v[22:23], v[26:27], -v[30:31]
	v_fma_f64 v[24:25], v[24:25], v[26:27], v[28:29]
	v_add_f64 v[10:11], v[10:11], -v[22:23]
	v_add_f64 v[12:13], v[12:13], -v[24:25]
.LBB73_66:
	s_or_b64 exec, exec, s[8:9]
	v_cmp_eq_u32_e64 s[8:9], 1, v18
	s_and_b64 s[52:53], s[8:9], s[12:13]
	s_barrier
	s_and_saveexec_b64 s[8:9], s[52:53]
; %bb.67:
	v_xor_b32_e32 v25, 0x80000000, v13
	v_xor_b32_e32 v23, 0x80000000, v11
	v_mov_b32_e32 v22, v10
	v_mov_b32_e32 v24, v12
	ds_write_b128 v20, v[22:25]
; %bb.68:
	s_or_b64 exec, exec, s[8:9]
	v_cmp_eq_u32_e64 s[8:9], 0, v18
	s_and_b64 s[42:43], s[8:9], s[12:13]
	s_waitcnt lgkmcnt(0)
	s_barrier
	s_and_saveexec_b64 s[8:9], s[42:43]
	s_cbranch_execz .LBB73_70
; %bb.69:
	v_mov_b32_e32 v26, 0
	ds_read_b128 v[22:25], v20
	ds_read_b128 v[26:29], v26 offset:13184
	s_waitcnt lgkmcnt(0)
	v_mul_f64 v[30:31], v[24:25], v[28:29]
	v_mul_f64 v[28:29], v[22:23], v[28:29]
	v_fma_f64 v[22:23], v[22:23], v[26:27], -v[30:31]
	v_fma_f64 v[24:25], v[24:25], v[26:27], v[28:29]
	v_add_f64 v[10:11], v[10:11], -v[22:23]
	v_add_f64 v[12:13], v[12:13], -v[24:25]
.LBB73_70:
	s_or_b64 exec, exec, s[8:9]
	s_barrier
	s_and_saveexec_b64 s[8:9], s[42:43]
; %bb.71:
	v_xor_b32_e32 v25, 0x80000000, v13
	v_xor_b32_e32 v23, 0x80000000, v11
	v_mov_b32_e32 v22, v10
	v_mov_b32_e32 v24, v12
	ds_write_b128 v20, v[22:25]
; %bb.72:
	s_or_b64 exec, exec, s[8:9]
	s_waitcnt lgkmcnt(0)
	s_barrier
	s_barrier
	s_and_saveexec_b64 s[8:9], s[2:3]
; %bb.73:
	v_lshlrev_b32_e32 v22, 4, v18
	v_lshl_or_b32 v22, v19, 9, v22
	ds_write_b128 v22, v[10:13] offset:14720
; %bb.74:
	s_or_b64 exec, exec, s[8:9]
	s_waitcnt lgkmcnt(0)
	s_barrier
	s_barrier
	s_and_saveexec_b64 s[8:9], vcc
	s_cbranch_execz .LBB73_76
; %bb.75:
	s_mov_b32 s12, 0
	s_mov_b32 s13, 0x3ff00000
	;; [unrolled: 1-line block ×4, first 2 shown]
	v_mov_b32_e32 v10, s12
	v_mov_b32_e32 v22, 0
	;; [unrolled: 1-line block ×5, first 2 shown]
	ds_write_b128 v22, v[10:13] offset:13728
	ds_write_b128 v22, v[10:13] offset:14256
.LBB73_76:
	s_or_b64 exec, exec, s[8:9]
	v_mov_b32_e32 v10, 0
	v_mov_b32_e32 v12, 0
	;; [unrolled: 1-line block ×4, first 2 shown]
	s_waitcnt lgkmcnt(0)
	s_barrier
	buffer_wbinvl1_vol
	s_and_saveexec_b64 s[10:11], s[0:1]
	s_cbranch_execz .LBB73_80
; %bb.77:
	v_lshlrev_b32_e32 v22, 4, v14
	v_lshlrev_b32_e32 v10, 9, v15
	ds_read_b128 v[10:13], v10 offset:13728
	ds_read_b128 v[22:25], v22 offset:13696
	v_cmp_gt_u32_e64 s[8:9], 2, v17
	s_waitcnt lgkmcnt(0)
	v_mul_f64 v[26:27], v[12:13], v[24:25]
	v_mul_f64 v[24:25], v[10:11], v[24:25]
	v_fma_f64 v[10:11], v[10:11], v[22:23], -v[26:27]
	v_fma_f64 v[12:13], v[12:13], v[22:23], v[24:25]
	v_add_f64 v[10:11], v[10:11], 0
	v_add_f64 v[12:13], v[12:13], 0
	s_and_saveexec_b64 s[12:13], s[8:9]
	s_cbranch_execz .LBB73_79
; %bb.78:
	v_lshlrev_b32_e32 v26, 4, v0
	v_mov_b32_e32 v22, 0
	ds_read_b128 v[22:25], v22 offset:14256
	ds_read_b128 v[26:29], v26 offset:14208
	s_waitcnt lgkmcnt(0)
	v_mul_f64 v[30:31], v[24:25], v[28:29]
	v_mul_f64 v[28:29], v[22:23], v[28:29]
	v_fma_f64 v[22:23], v[22:23], v[26:27], -v[30:31]
	v_fma_f64 v[24:25], v[24:25], v[26:27], v[28:29]
	v_add_f64 v[10:11], v[10:11], v[22:23]
	v_add_f64 v[12:13], v[12:13], v[24:25]
.LBB73_79:
	s_or_b64 exec, exec, s[12:13]
.LBB73_80:
	s_or_b64 exec, exec, s[10:11]
	s_and_saveexec_b64 s[8:9], s[40:41]
; %bb.81:
	v_xor_b32_e32 v23, 0x80000000, v11
	v_xor_b32_e32 v25, 0x80000000, v13
	v_mov_b32_e32 v22, v10
	v_mov_b32_e32 v24, v12
	ds_write_b128 v16, v[22:25]
; %bb.82:
	s_or_b64 exec, exec, s[8:9]
	s_waitcnt lgkmcnt(0)
	s_barrier
	s_and_saveexec_b64 s[8:9], s[38:39]
	s_cbranch_execz .LBB73_84
; %bb.83:
	v_mov_b32_e32 v26, 0
	ds_read_b128 v[22:25], v16
	ds_read_b128 v[26:29], v26 offset:13184
	s_waitcnt lgkmcnt(0)
	v_mul_f64 v[30:31], v[22:23], v[26:27]
	v_mul_f64 v[22:23], v[22:23], v[28:29]
	v_fma_f64 v[28:29], v[24:25], v[28:29], -v[30:31]
	v_fma_f64 v[22:23], v[24:25], v[26:27], v[22:23]
	v_add_f64 v[10:11], v[10:11], v[28:29]
	v_add_f64 v[12:13], v[12:13], -v[22:23]
.LBB73_84:
	s_or_b64 exec, exec, s[8:9]
	s_barrier
	s_and_saveexec_b64 s[8:9], s[38:39]
; %bb.85:
	v_xor_b32_e32 v23, 0x80000000, v11
	v_xor_b32_e32 v25, 0x80000000, v13
	v_mov_b32_e32 v22, v10
	v_mov_b32_e32 v24, v12
	ds_write_b128 v16, v[22:25]
; %bb.86:
	s_or_b64 exec, exec, s[8:9]
	s_waitcnt lgkmcnt(0)
	s_barrier
	s_barrier
	s_and_saveexec_b64 s[8:9], s[0:1]
; %bb.87:
	v_lshlrev_b32_e32 v22, 4, v14
	v_lshl_or_b32 v22, v15, 9, v22
	ds_write_b128 v22, v[10:13] offset:13696
; %bb.88:
	s_or_b64 exec, exec, s[8:9]
	s_waitcnt lgkmcnt(0)
	s_barrier
	s_barrier
	s_and_saveexec_b64 s[8:9], vcc
	s_cbranch_execz .LBB73_90
; %bb.89:
	s_mov_b32 s12, 0
	s_mov_b32 s13, 0x3ff00000
	;; [unrolled: 1-line block ×4, first 2 shown]
	v_mov_b32_e32 v10, s12
	v_mov_b32_e32 v22, 0
	v_mov_b32_e32 v11, s13
	v_mov_b32_e32 v12, s14
	v_mov_b32_e32 v13, s15
	ds_write_b128 v22, v[10:13] offset:12672
	ds_write_b128 v22, v[10:13] offset:13200
.LBB73_90:
	s_or_b64 exec, exec, s[8:9]
	v_lshrrev_b32_e32 v24, 3, v17
	v_mov_b32_e32 v12, 0
	v_mov_b32_e32 v10, 0
	v_and_b32_e32 v22, 7, v0
	v_sub_u32_e32 v23, 7, v24
	v_cmp_lt_u32_e64 s[8:9], 63, v17
	v_mov_b32_e32 v13, 0
	v_mov_b32_e32 v11, 0
	v_cmp_gt_u32_e64 s[12:13], 64, v17
	s_waitcnt lgkmcnt(0)
	s_barrier
	buffer_wbinvl1_vol
	s_and_saveexec_b64 s[14:15], s[12:13]
	s_cbranch_execz .LBB73_100
; %bb.91:
	v_lshlrev_b32_e32 v26, 9, v23
	v_lshlrev_b32_e32 v25, 4, v22
	ds_read_b128 v[10:13], v26 offset:12672
	ds_read_b128 v[27:30], v25 offset:12544
	v_cmp_gt_u32_e64 s[10:11], 56, v17
	s_waitcnt lgkmcnt(0)
	v_mul_f64 v[31:32], v[12:13], v[29:30]
	v_mul_f64 v[29:30], v[10:11], v[29:30]
	v_fma_f64 v[10:11], v[10:11], v[27:28], -v[31:32]
	v_fma_f64 v[12:13], v[12:13], v[27:28], v[29:30]
	v_add_f64 v[10:11], v[10:11], 0
	v_add_f64 v[12:13], v[12:13], 0
	s_and_saveexec_b64 s[54:55], s[10:11]
	s_cbranch_execnz .LBB73_489
; %bb.92:
	s_or_b64 exec, exec, s[54:55]
	v_cmp_gt_u32_e64 s[10:11], 48, v17
	s_and_saveexec_b64 s[54:55], s[10:11]
	s_cbranch_execnz .LBB73_490
.LBB73_93:
	s_or_b64 exec, exec, s[54:55]
	v_cmp_gt_u32_e64 s[10:11], 40, v17
	s_and_saveexec_b64 s[54:55], s[10:11]
	s_cbranch_execnz .LBB73_491
.LBB73_94:
	s_or_b64 exec, exec, s[54:55]
	v_cmp_gt_u32_e64 s[10:11], 32, v17
	s_and_saveexec_b64 s[54:55], s[10:11]
	s_cbranch_execnz .LBB73_492
.LBB73_95:
	s_or_b64 exec, exec, s[54:55]
	v_cmp_gt_u32_e64 s[10:11], 24, v17
	s_and_saveexec_b64 s[54:55], s[10:11]
	s_cbranch_execnz .LBB73_493
.LBB73_96:
	s_or_b64 exec, exec, s[54:55]
	s_and_saveexec_b64 s[10:11], s[2:3]
	s_cbranch_execnz .LBB73_494
.LBB73_97:
	s_or_b64 exec, exec, s[10:11]
	v_cmp_gt_u32_e64 s[10:11], 8, v17
	s_and_saveexec_b64 s[54:55], s[10:11]
	s_cbranch_execz .LBB73_99
.LBB73_98:
	v_lshlrev_b32_e32 v29, 4, v0
	v_mov_b32_e32 v25, 0
	ds_read_b128 v[25:28], v25 offset:16368
	ds_read_b128 v[29:32], v29 offset:16128
	s_waitcnt lgkmcnt(0)
	v_mul_f64 v[33:34], v[27:28], v[31:32]
	v_mul_f64 v[31:32], v[25:26], v[31:32]
	v_fma_f64 v[25:26], v[25:26], v[29:30], -v[33:34]
	v_fma_f64 v[27:28], v[27:28], v[29:30], v[31:32]
	v_add_f64 v[10:11], v[10:11], v[25:26]
	v_add_f64 v[12:13], v[12:13], v[27:28]
.LBB73_99:
	s_or_b64 exec, exec, s[54:55]
.LBB73_100:
	s_or_b64 exec, exec, s[14:15]
	v_mov_b32_e32 v25, 0x4000
	v_cmp_eq_u32_e64 s[10:11], 7, v22
	s_xor_b64 s[14:15], s[8:9], -1
	v_lshl_add_u32 v24, v24, 4, v25
	s_and_b64 s[56:57], s[10:11], s[14:15]
	s_and_saveexec_b64 s[8:9], s[56:57]
; %bb.101:
	v_xor_b32_e32 v26, 0x80000000, v11
	v_xor_b32_e32 v28, 0x80000000, v13
	v_mov_b32_e32 v25, v10
	v_mov_b32_e32 v27, v12
	ds_write_b128 v24, v[25:28]
; %bb.102:
	s_or_b64 exec, exec, s[8:9]
	v_cmp_ne_u32_e64 s[8:9], 7, v22
	s_and_b64 s[58:59], s[8:9], s[14:15]
	s_waitcnt lgkmcnt(0)
	s_barrier
	s_and_saveexec_b64 s[8:9], s[58:59]
	s_cbranch_execz .LBB73_104
; %bb.103:
	v_lshlrev_b32_e32 v29, 4, v22
	ds_read_b128 v[25:28], v24
	ds_read_b128 v[29:32], v29 offset:12032
	s_waitcnt lgkmcnt(0)
	v_mul_f64 v[33:34], v[27:28], v[31:32]
	v_mul_f64 v[31:32], v[25:26], v[31:32]
	v_fma_f64 v[25:26], v[25:26], v[29:30], -v[33:34]
	v_fma_f64 v[27:28], v[27:28], v[29:30], v[31:32]
	v_add_f64 v[10:11], v[10:11], -v[25:26]
	v_add_f64 v[12:13], v[12:13], -v[27:28]
.LBB73_104:
	s_or_b64 exec, exec, s[8:9]
	v_cmp_eq_u32_e64 s[8:9], 6, v22
	s_and_b64 s[60:61], s[8:9], s[14:15]
	s_barrier
	s_and_saveexec_b64 s[8:9], s[60:61]
; %bb.105:
	v_xor_b32_e32 v26, 0x80000000, v11
	v_xor_b32_e32 v28, 0x80000000, v13
	v_mov_b32_e32 v25, v10
	v_mov_b32_e32 v27, v12
	ds_write_b128 v24, v[25:28]
; %bb.106:
	s_or_b64 exec, exec, s[8:9]
	v_cmp_gt_u32_e64 s[8:9], 6, v22
	s_and_b64 s[62:63], s[8:9], s[14:15]
	s_waitcnt lgkmcnt(0)
	s_barrier
	s_and_saveexec_b64 s[8:9], s[62:63]
	s_cbranch_execz .LBB73_108
; %bb.107:
	v_lshlrev_b32_e32 v29, 4, v22
	ds_read_b128 v[25:28], v24
	ds_read_b128 v[29:32], v29 offset:11520
	s_waitcnt lgkmcnt(0)
	v_mul_f64 v[33:34], v[27:28], v[31:32]
	v_mul_f64 v[31:32], v[25:26], v[31:32]
	v_fma_f64 v[25:26], v[25:26], v[29:30], -v[33:34]
	v_fma_f64 v[27:28], v[27:28], v[29:30], v[31:32]
	v_add_f64 v[10:11], v[10:11], -v[25:26]
	v_add_f64 v[12:13], v[12:13], -v[27:28]
.LBB73_108:
	s_or_b64 exec, exec, s[8:9]
	v_cmp_eq_u32_e64 s[8:9], 5, v22
	s_and_b64 s[64:65], s[8:9], s[14:15]
	s_barrier
	s_and_saveexec_b64 s[8:9], s[64:65]
; %bb.109:
	v_xor_b32_e32 v26, 0x80000000, v11
	v_xor_b32_e32 v28, 0x80000000, v13
	v_mov_b32_e32 v25, v10
	v_mov_b32_e32 v27, v12
	ds_write_b128 v24, v[25:28]
; %bb.110:
	s_or_b64 exec, exec, s[8:9]
	v_cmp_gt_u32_e64 s[8:9], 5, v22
	;; [unrolled: 31-line block ×5, first 2 shown]
	s_and_b64 s[78:79], s[8:9], s[14:15]
	s_waitcnt lgkmcnt(0)
	s_barrier
	s_and_saveexec_b64 s[8:9], s[78:79]
	s_cbranch_execz .LBB73_124
; %bb.123:
	v_lshlrev_b32_e32 v29, 4, v22
	ds_read_b128 v[25:28], v24
	ds_read_b128 v[29:32], v29 offset:9472
	s_waitcnt lgkmcnt(0)
	v_mul_f64 v[33:34], v[27:28], v[31:32]
	v_mul_f64 v[31:32], v[25:26], v[31:32]
	v_fma_f64 v[25:26], v[25:26], v[29:30], -v[33:34]
	v_fma_f64 v[27:28], v[27:28], v[29:30], v[31:32]
	v_add_f64 v[10:11], v[10:11], -v[25:26]
	v_add_f64 v[12:13], v[12:13], -v[27:28]
.LBB73_124:
	s_or_b64 exec, exec, s[8:9]
	v_cmp_eq_u32_e64 s[8:9], 1, v22
	s_and_b64 s[80:81], s[8:9], s[14:15]
	s_barrier
	s_and_saveexec_b64 s[8:9], s[80:81]
; %bb.125:
	v_xor_b32_e32 v26, 0x80000000, v11
	v_xor_b32_e32 v28, 0x80000000, v13
	v_mov_b32_e32 v25, v10
	v_mov_b32_e32 v27, v12
	ds_write_b128 v24, v[25:28]
; %bb.126:
	s_or_b64 exec, exec, s[8:9]
	v_cmp_eq_u32_e64 s[8:9], 0, v22
	s_and_b64 s[54:55], s[8:9], s[14:15]
	s_waitcnt lgkmcnt(0)
	s_barrier
	s_and_saveexec_b64 s[8:9], s[54:55]
	s_cbranch_execz .LBB73_128
; %bb.127:
	v_mov_b32_e32 v29, 0
	ds_read_b128 v[25:28], v24
	ds_read_b128 v[29:32], v29 offset:8960
	s_waitcnt lgkmcnt(0)
	v_mul_f64 v[33:34], v[27:28], v[31:32]
	v_mul_f64 v[31:32], v[25:26], v[31:32]
	v_fma_f64 v[25:26], v[25:26], v[29:30], -v[33:34]
	v_fma_f64 v[27:28], v[27:28], v[29:30], v[31:32]
	v_add_f64 v[10:11], v[10:11], -v[25:26]
	v_add_f64 v[12:13], v[12:13], -v[27:28]
.LBB73_128:
	s_or_b64 exec, exec, s[8:9]
	s_barrier
	s_and_saveexec_b64 s[8:9], s[54:55]
; %bb.129:
	v_xor_b32_e32 v26, 0x80000000, v11
	v_xor_b32_e32 v28, 0x80000000, v13
	v_mov_b32_e32 v25, v10
	v_mov_b32_e32 v27, v12
	ds_write_b128 v24, v[25:28]
; %bb.130:
	s_or_b64 exec, exec, s[8:9]
	s_waitcnt lgkmcnt(0)
	s_barrier
	s_barrier
	s_and_saveexec_b64 s[8:9], s[12:13]
; %bb.131:
	v_lshlrev_b32_e32 v25, 4, v22
	v_lshl_or_b32 v25, v23, 9, v25
	ds_write_b128 v25, v[10:13] offset:12544
; %bb.132:
	s_or_b64 exec, exec, s[8:9]
	s_waitcnt lgkmcnt(0)
	s_barrier
	s_barrier
	s_and_saveexec_b64 s[8:9], vcc
	s_cbranch_execz .LBB73_134
; %bb.133:
	s_mov_b32 s92, 0
	s_mov_b32 s93, 0x3ff00000
	;; [unrolled: 1-line block ×4, first 2 shown]
	v_mov_b32_e32 v10, s92
	v_mov_b32_e32 v25, 0
	;; [unrolled: 1-line block ×5, first 2 shown]
	ds_write_b128 v25, v[10:13] offset:11616
	ds_write_b128 v25, v[10:13] offset:12144
.LBB73_134:
	s_or_b64 exec, exec, s[8:9]
	v_mov_b32_e32 v10, 0
	v_mov_b32_e32 v12, 0
	;; [unrolled: 1-line block ×4, first 2 shown]
	s_waitcnt lgkmcnt(0)
	s_barrier
	buffer_wbinvl1_vol
	s_and_saveexec_b64 s[10:11], s[0:1]
	s_cbranch_execz .LBB73_138
; %bb.135:
	v_lshlrev_b32_e32 v25, 4, v14
	v_lshlrev_b32_e32 v10, 9, v15
	ds_read_b128 v[10:13], v10 offset:11616
	ds_read_b128 v[25:28], v25 offset:11584
	v_cmp_gt_u32_e64 s[8:9], 2, v17
	s_waitcnt lgkmcnt(0)
	v_mul_f64 v[29:30], v[12:13], v[27:28]
	v_mul_f64 v[27:28], v[10:11], v[27:28]
	v_fma_f64 v[10:11], v[10:11], v[25:26], -v[29:30]
	v_fma_f64 v[12:13], v[12:13], v[25:26], v[27:28]
	v_add_f64 v[10:11], v[10:11], 0
	v_add_f64 v[12:13], v[12:13], 0
	s_and_saveexec_b64 s[14:15], s[8:9]
	s_cbranch_execz .LBB73_137
; %bb.136:
	v_lshlrev_b32_e32 v29, 4, v0
	v_mov_b32_e32 v25, 0
	ds_read_b128 v[25:28], v25 offset:12144
	ds_read_b128 v[29:32], v29 offset:12096
	s_waitcnt lgkmcnt(0)
	v_mul_f64 v[33:34], v[27:28], v[31:32]
	v_mul_f64 v[31:32], v[25:26], v[31:32]
	v_fma_f64 v[25:26], v[25:26], v[29:30], -v[33:34]
	v_fma_f64 v[27:28], v[27:28], v[29:30], v[31:32]
	v_add_f64 v[10:11], v[10:11], v[25:26]
	v_add_f64 v[12:13], v[12:13], v[27:28]
.LBB73_137:
	s_or_b64 exec, exec, s[14:15]
.LBB73_138:
	s_or_b64 exec, exec, s[10:11]
	s_and_saveexec_b64 s[8:9], s[40:41]
; %bb.139:
	v_xor_b32_e32 v26, 0x80000000, v11
	v_xor_b32_e32 v28, 0x80000000, v13
	v_mov_b32_e32 v25, v10
	v_mov_b32_e32 v27, v12
	ds_write_b128 v16, v[25:28]
; %bb.140:
	s_or_b64 exec, exec, s[8:9]
	s_waitcnt lgkmcnt(0)
	s_barrier
	s_and_saveexec_b64 s[8:9], s[38:39]
	s_cbranch_execz .LBB73_142
; %bb.141:
	v_mov_b32_e32 v29, 0
	ds_read_b128 v[25:28], v16
	ds_read_b128 v[29:32], v29 offset:11072
	s_waitcnt lgkmcnt(0)
	v_mul_f64 v[33:34], v[25:26], v[29:30]
	v_mul_f64 v[25:26], v[25:26], v[31:32]
	v_fma_f64 v[31:32], v[27:28], v[31:32], -v[33:34]
	v_fma_f64 v[25:26], v[27:28], v[29:30], v[25:26]
	v_add_f64 v[10:11], v[10:11], v[31:32]
	v_add_f64 v[12:13], v[12:13], -v[25:26]
.LBB73_142:
	s_or_b64 exec, exec, s[8:9]
	s_barrier
	s_and_saveexec_b64 s[8:9], s[38:39]
; %bb.143:
	v_xor_b32_e32 v26, 0x80000000, v11
	v_xor_b32_e32 v28, 0x80000000, v13
	v_mov_b32_e32 v25, v10
	v_mov_b32_e32 v27, v12
	ds_write_b128 v16, v[25:28]
; %bb.144:
	s_or_b64 exec, exec, s[8:9]
	s_waitcnt lgkmcnt(0)
	s_barrier
	s_barrier
	s_and_saveexec_b64 s[8:9], s[0:1]
; %bb.145:
	v_lshlrev_b32_e32 v25, 4, v14
	v_lshl_or_b32 v25, v15, 9, v25
	ds_write_b128 v25, v[10:13] offset:11584
; %bb.146:
	s_or_b64 exec, exec, s[8:9]
	s_waitcnt lgkmcnt(0)
	s_barrier
	s_barrier
	s_and_saveexec_b64 s[8:9], vcc
	s_cbranch_execz .LBB73_148
; %bb.147:
	s_mov_b32 s92, 0
	s_mov_b32 s93, 0x3ff00000
	;; [unrolled: 1-line block ×4, first 2 shown]
	v_mov_b32_e32 v10, s92
	v_mov_b32_e32 v25, 0
	;; [unrolled: 1-line block ×5, first 2 shown]
	ds_write_b128 v25, v[10:13] offset:10560
	ds_write_b128 v25, v[10:13] offset:11088
.LBB73_148:
	s_or_b64 exec, exec, s[8:9]
	v_mov_b32_e32 v12, 0
	v_mov_b32_e32 v10, 0
	;; [unrolled: 1-line block ×4, first 2 shown]
	s_waitcnt lgkmcnt(0)
	s_barrier
	buffer_wbinvl1_vol
	s_and_saveexec_b64 s[10:11], s[2:3]
	s_cbranch_execz .LBB73_154
; %bb.149:
	v_lshlrev_b32_e32 v26, 9, v19
	v_lshlrev_b32_e32 v25, 4, v18
	ds_read_b128 v[10:13], v26 offset:10560
	ds_read_b128 v[27:30], v25 offset:10496
	v_cmp_gt_u32_e64 s[8:9], 12, v17
	s_waitcnt lgkmcnt(0)
	v_mul_f64 v[31:32], v[12:13], v[29:30]
	v_mul_f64 v[29:30], v[10:11], v[29:30]
	v_fma_f64 v[10:11], v[10:11], v[27:28], -v[31:32]
	v_fma_f64 v[12:13], v[12:13], v[27:28], v[29:30]
	v_add_f64 v[10:11], v[10:11], 0
	v_add_f64 v[12:13], v[12:13], 0
	s_and_saveexec_b64 s[14:15], s[8:9]
	s_cbranch_execnz .LBB73_495
; %bb.150:
	s_or_b64 exec, exec, s[14:15]
	v_cmp_gt_u32_e64 s[8:9], 8, v17
	s_and_saveexec_b64 s[14:15], s[8:9]
	s_cbranch_execnz .LBB73_496
.LBB73_151:
	s_or_b64 exec, exec, s[14:15]
	v_cmp_gt_u32_e64 s[8:9], 4, v17
	s_and_saveexec_b64 s[14:15], s[8:9]
	s_cbranch_execz .LBB73_153
.LBB73_152:
	v_lshlrev_b32_e32 v29, 4, v0
	v_mov_b32_e32 v25, 0
	ds_read_b128 v[25:28], v25 offset:12144
	ds_read_b128 v[29:32], v29 offset:12032
	s_waitcnt lgkmcnt(0)
	v_mul_f64 v[33:34], v[27:28], v[31:32]
	v_mul_f64 v[31:32], v[25:26], v[31:32]
	v_fma_f64 v[25:26], v[25:26], v[29:30], -v[33:34]
	v_fma_f64 v[27:28], v[27:28], v[29:30], v[31:32]
	v_add_f64 v[10:11], v[10:11], v[25:26]
	v_add_f64 v[12:13], v[12:13], v[27:28]
.LBB73_153:
	s_or_b64 exec, exec, s[14:15]
.LBB73_154:
	s_or_b64 exec, exec, s[10:11]
	s_and_saveexec_b64 s[8:9], s[44:45]
; %bb.155:
	v_xor_b32_e32 v28, 0x80000000, v13
	v_xor_b32_e32 v26, 0x80000000, v11
	v_mov_b32_e32 v25, v10
	v_mov_b32_e32 v27, v12
	ds_write_b128 v20, v[25:28]
; %bb.156:
	s_or_b64 exec, exec, s[8:9]
	s_waitcnt lgkmcnt(0)
	s_barrier
	s_and_saveexec_b64 s[8:9], s[46:47]
	s_cbranch_execz .LBB73_158
; %bb.157:
	v_lshlrev_b32_e32 v29, 4, v18
	ds_read_b128 v[25:28], v20
	ds_read_b128 v[29:32], v29 offset:9984
	s_waitcnt lgkmcnt(0)
	v_mul_f64 v[33:34], v[27:28], v[31:32]
	v_mul_f64 v[31:32], v[25:26], v[31:32]
	v_fma_f64 v[25:26], v[25:26], v[29:30], -v[33:34]
	v_fma_f64 v[27:28], v[27:28], v[29:30], v[31:32]
	v_add_f64 v[10:11], v[10:11], -v[25:26]
	v_add_f64 v[12:13], v[12:13], -v[27:28]
.LBB73_158:
	s_or_b64 exec, exec, s[8:9]
	s_barrier
	s_and_saveexec_b64 s[8:9], s[48:49]
; %bb.159:
	v_xor_b32_e32 v28, 0x80000000, v13
	v_xor_b32_e32 v26, 0x80000000, v11
	v_mov_b32_e32 v25, v10
	v_mov_b32_e32 v27, v12
	ds_write_b128 v20, v[25:28]
; %bb.160:
	s_or_b64 exec, exec, s[8:9]
	s_waitcnt lgkmcnt(0)
	s_barrier
	s_and_saveexec_b64 s[8:9], s[50:51]
	s_cbranch_execz .LBB73_162
; %bb.161:
	v_lshlrev_b32_e32 v29, 4, v18
	ds_read_b128 v[25:28], v20
	ds_read_b128 v[29:32], v29 offset:9472
	s_waitcnt lgkmcnt(0)
	v_mul_f64 v[33:34], v[27:28], v[31:32]
	v_mul_f64 v[31:32], v[25:26], v[31:32]
	v_fma_f64 v[25:26], v[25:26], v[29:30], -v[33:34]
	v_fma_f64 v[27:28], v[27:28], v[29:30], v[31:32]
	v_add_f64 v[10:11], v[10:11], -v[25:26]
	v_add_f64 v[12:13], v[12:13], -v[27:28]
.LBB73_162:
	s_or_b64 exec, exec, s[8:9]
	s_barrier
	s_and_saveexec_b64 s[8:9], s[52:53]
; %bb.163:
	v_xor_b32_e32 v28, 0x80000000, v13
	v_xor_b32_e32 v26, 0x80000000, v11
	v_mov_b32_e32 v25, v10
	v_mov_b32_e32 v27, v12
	ds_write_b128 v20, v[25:28]
; %bb.164:
	s_or_b64 exec, exec, s[8:9]
	s_waitcnt lgkmcnt(0)
	s_barrier
	s_and_saveexec_b64 s[8:9], s[42:43]
	s_cbranch_execz .LBB73_166
; %bb.165:
	v_mov_b32_e32 v29, 0
	ds_read_b128 v[25:28], v20
	ds_read_b128 v[29:32], v29 offset:8960
	s_waitcnt lgkmcnt(0)
	v_mul_f64 v[33:34], v[27:28], v[31:32]
	v_mul_f64 v[31:32], v[25:26], v[31:32]
	v_fma_f64 v[25:26], v[25:26], v[29:30], -v[33:34]
	v_fma_f64 v[27:28], v[27:28], v[29:30], v[31:32]
	v_add_f64 v[10:11], v[10:11], -v[25:26]
	v_add_f64 v[12:13], v[12:13], -v[27:28]
.LBB73_166:
	s_or_b64 exec, exec, s[8:9]
	s_barrier
	s_and_saveexec_b64 s[8:9], s[42:43]
; %bb.167:
	v_xor_b32_e32 v28, 0x80000000, v13
	v_xor_b32_e32 v26, 0x80000000, v11
	v_mov_b32_e32 v25, v10
	v_mov_b32_e32 v27, v12
	ds_write_b128 v20, v[25:28]
; %bb.168:
	s_or_b64 exec, exec, s[8:9]
	s_waitcnt lgkmcnt(0)
	s_barrier
	s_barrier
	s_and_saveexec_b64 s[8:9], s[2:3]
; %bb.169:
	v_lshlrev_b32_e32 v25, 4, v18
	v_lshl_or_b32 v25, v19, 9, v25
	ds_write_b128 v25, v[10:13] offset:10496
; %bb.170:
	s_or_b64 exec, exec, s[8:9]
	s_waitcnt lgkmcnt(0)
	s_barrier
	s_barrier
	s_and_saveexec_b64 s[8:9], vcc
	s_cbranch_execz .LBB73_172
; %bb.171:
	s_mov_b32 s92, 0
	s_mov_b32 s93, 0x3ff00000
	;; [unrolled: 1-line block ×4, first 2 shown]
	v_mov_b32_e32 v10, s92
	v_mov_b32_e32 v25, 0
	;; [unrolled: 1-line block ×5, first 2 shown]
	ds_write_b128 v25, v[10:13] offset:9504
	ds_write_b128 v25, v[10:13] offset:10032
.LBB73_172:
	s_or_b64 exec, exec, s[8:9]
	v_mov_b32_e32 v10, 0
	v_mov_b32_e32 v12, 0
	;; [unrolled: 1-line block ×4, first 2 shown]
	s_waitcnt lgkmcnt(0)
	s_barrier
	buffer_wbinvl1_vol
	s_and_saveexec_b64 s[10:11], s[0:1]
	s_cbranch_execz .LBB73_176
; %bb.173:
	v_lshlrev_b32_e32 v25, 4, v14
	v_lshlrev_b32_e32 v10, 9, v15
	ds_read_b128 v[10:13], v10 offset:9504
	ds_read_b128 v[25:28], v25 offset:9472
	v_cmp_gt_u32_e64 s[8:9], 2, v17
	s_waitcnt lgkmcnt(0)
	v_mul_f64 v[29:30], v[12:13], v[27:28]
	v_mul_f64 v[27:28], v[10:11], v[27:28]
	v_fma_f64 v[10:11], v[10:11], v[25:26], -v[29:30]
	v_fma_f64 v[12:13], v[12:13], v[25:26], v[27:28]
	v_add_f64 v[10:11], v[10:11], 0
	v_add_f64 v[12:13], v[12:13], 0
	s_and_saveexec_b64 s[14:15], s[8:9]
	s_cbranch_execz .LBB73_175
; %bb.174:
	v_lshlrev_b32_e32 v29, 4, v0
	v_mov_b32_e32 v25, 0
	ds_read_b128 v[25:28], v25 offset:10032
	ds_read_b128 v[29:32], v29 offset:9984
	s_waitcnt lgkmcnt(0)
	v_mul_f64 v[33:34], v[27:28], v[31:32]
	v_mul_f64 v[31:32], v[25:26], v[31:32]
	v_fma_f64 v[25:26], v[25:26], v[29:30], -v[33:34]
	v_fma_f64 v[27:28], v[27:28], v[29:30], v[31:32]
	v_add_f64 v[10:11], v[10:11], v[25:26]
	v_add_f64 v[12:13], v[12:13], v[27:28]
.LBB73_175:
	s_or_b64 exec, exec, s[14:15]
.LBB73_176:
	s_or_b64 exec, exec, s[10:11]
	s_and_saveexec_b64 s[8:9], s[40:41]
; %bb.177:
	v_xor_b32_e32 v26, 0x80000000, v11
	v_xor_b32_e32 v28, 0x80000000, v13
	v_mov_b32_e32 v25, v10
	v_mov_b32_e32 v27, v12
	ds_write_b128 v16, v[25:28]
; %bb.178:
	s_or_b64 exec, exec, s[8:9]
	s_waitcnt lgkmcnt(0)
	s_barrier
	s_and_saveexec_b64 s[8:9], s[38:39]
	s_cbranch_execz .LBB73_180
; %bb.179:
	v_mov_b32_e32 v29, 0
	ds_read_b128 v[25:28], v16
	ds_read_b128 v[29:32], v29 offset:8960
	s_waitcnt lgkmcnt(0)
	v_mul_f64 v[33:34], v[25:26], v[29:30]
	v_mul_f64 v[25:26], v[25:26], v[31:32]
	v_fma_f64 v[31:32], v[27:28], v[31:32], -v[33:34]
	v_fma_f64 v[25:26], v[27:28], v[29:30], v[25:26]
	v_add_f64 v[10:11], v[10:11], v[31:32]
	v_add_f64 v[12:13], v[12:13], -v[25:26]
.LBB73_180:
	s_or_b64 exec, exec, s[8:9]
	s_barrier
	s_and_saveexec_b64 s[8:9], s[38:39]
; %bb.181:
	v_xor_b32_e32 v26, 0x80000000, v11
	v_xor_b32_e32 v28, 0x80000000, v13
	v_mov_b32_e32 v25, v10
	v_mov_b32_e32 v27, v12
	ds_write_b128 v16, v[25:28]
; %bb.182:
	s_or_b64 exec, exec, s[8:9]
	s_waitcnt lgkmcnt(0)
	s_barrier
	s_barrier
	s_and_saveexec_b64 s[8:9], s[0:1]
; %bb.183:
	v_lshlrev_b32_e32 v25, 4, v14
	v_lshl_or_b32 v25, v15, 9, v25
	ds_write_b128 v25, v[10:13] offset:9472
; %bb.184:
	s_or_b64 exec, exec, s[8:9]
	s_waitcnt lgkmcnt(0)
	s_barrier
	s_barrier
	s_and_saveexec_b64 s[8:9], vcc
	s_cbranch_execz .LBB73_186
; %bb.185:
	s_mov_b32 s92, 0
	s_mov_b32 s93, 0x3ff00000
	s_mov_b32 s94, s92
	s_mov_b32 s95, s92
	v_mov_b32_e32 v10, s92
	v_mov_b32_e32 v25, 0
	;; [unrolled: 1-line block ×5, first 2 shown]
	ds_write_b128 v25, v[10:13] offset:8448
	ds_write_b128 v25, v[10:13] offset:8976
.LBB73_186:
	s_or_b64 exec, exec, s[8:9]
	s_movk_i32 s8, 0xff
	v_lshrrev_b32_e32 v27, 4, v17
	v_cmp_lt_u32_e64 s[10:11], s8, v17
	s_movk_i32 s8, 0x100
	v_mov_b32_e32 v12, 0
	v_mov_b32_e32 v10, 0
	v_and_b32_e32 v25, 15, v0
	v_sub_u32_e32 v26, 15, v27
	v_mov_b32_e32 v13, 0
	v_mov_b32_e32 v11, 0
	v_cmp_gt_u32_e64 s[8:9], s8, v17
	s_waitcnt lgkmcnt(0)
	s_barrier
	buffer_wbinvl1_vol
	s_and_saveexec_b64 s[82:83], s[8:9]
	s_cbranch_execz .LBB73_214
; %bb.187:
	v_lshlrev_b32_e32 v29, 9, v26
	v_lshlrev_b32_e32 v28, 4, v25
	ds_read_b128 v[10:13], v29 offset:8448
	ds_read_b128 v[30:33], v28 offset:8192
	s_movk_i32 s14, 0xf0
	v_cmp_gt_u32_e64 s[14:15], s14, v17
	s_waitcnt lgkmcnt(0)
	v_mul_f64 v[34:35], v[12:13], v[32:33]
	v_mul_f64 v[32:33], v[10:11], v[32:33]
	v_fma_f64 v[10:11], v[10:11], v[30:31], -v[34:35]
	v_fma_f64 v[12:13], v[12:13], v[30:31], v[32:33]
	v_add_f64 v[10:11], v[10:11], 0
	v_add_f64 v[12:13], v[12:13], 0
	s_and_saveexec_b64 s[84:85], s[14:15]
	s_cbranch_execz .LBB73_189
; %bb.188:
	ds_read_b128 v[30:33], v29 offset:8464
	ds_read_b128 v[34:37], v28 offset:8704
	s_waitcnt lgkmcnt(0)
	v_mul_f64 v[38:39], v[32:33], v[36:37]
	v_mul_f64 v[36:37], v[30:31], v[36:37]
	v_fma_f64 v[30:31], v[30:31], v[34:35], -v[38:39]
	v_fma_f64 v[32:33], v[32:33], v[34:35], v[36:37]
	v_add_f64 v[10:11], v[10:11], v[30:31]
	v_add_f64 v[12:13], v[12:13], v[32:33]
.LBB73_189:
	s_or_b64 exec, exec, s[84:85]
	s_movk_i32 s14, 0xe0
	v_cmp_gt_u32_e64 s[14:15], s14, v17
	s_and_saveexec_b64 s[84:85], s[14:15]
	s_cbranch_execz .LBB73_191
; %bb.190:
	ds_read_b128 v[30:33], v29 offset:8480
	ds_read_b128 v[34:37], v28 offset:9216
	s_waitcnt lgkmcnt(0)
	v_mul_f64 v[38:39], v[32:33], v[36:37]
	v_mul_f64 v[36:37], v[30:31], v[36:37]
	v_fma_f64 v[30:31], v[30:31], v[34:35], -v[38:39]
	v_fma_f64 v[32:33], v[32:33], v[34:35], v[36:37]
	v_add_f64 v[10:11], v[10:11], v[30:31]
	v_add_f64 v[12:13], v[12:13], v[32:33]
.LBB73_191:
	s_or_b64 exec, exec, s[84:85]
	s_movk_i32 s14, 0xd0
	v_cmp_gt_u32_e64 s[14:15], s14, v17
	;; [unrolled: 16-line block ×10, first 2 shown]
	s_and_saveexec_b64 s[84:85], s[14:15]
	s_cbranch_execnz .LBB73_497
; %bb.208:
	s_or_b64 exec, exec, s[84:85]
	s_and_saveexec_b64 s[14:15], s[12:13]
	s_cbranch_execnz .LBB73_498
.LBB73_209:
	s_or_b64 exec, exec, s[14:15]
	v_cmp_gt_u32_e64 s[14:15], 48, v17
	s_and_saveexec_b64 s[84:85], s[14:15]
	s_cbranch_execnz .LBB73_499
.LBB73_210:
	s_or_b64 exec, exec, s[84:85]
	v_cmp_gt_u32_e64 s[14:15], 32, v17
	s_and_saveexec_b64 s[84:85], s[14:15]
	s_cbranch_execnz .LBB73_500
.LBB73_211:
	s_or_b64 exec, exec, s[84:85]
	v_cmp_gt_u32_e64 s[14:15], 16, v17
	s_and_saveexec_b64 s[84:85], s[14:15]
	s_cbranch_execz .LBB73_213
.LBB73_212:
	v_lshlrev_b32_e32 v32, 4, v0
	v_mov_b32_e32 v28, 0
	ds_read_b128 v[28:31], v28 offset:16368
	ds_read_b128 v[32:35], v32 offset:15872
	s_waitcnt lgkmcnt(0)
	v_mul_f64 v[36:37], v[30:31], v[34:35]
	v_mul_f64 v[34:35], v[28:29], v[34:35]
	v_fma_f64 v[28:29], v[28:29], v[32:33], -v[36:37]
	v_fma_f64 v[30:31], v[30:31], v[32:33], v[34:35]
	v_add_f64 v[10:11], v[10:11], v[28:29]
	v_add_f64 v[12:13], v[12:13], v[30:31]
.LBB73_213:
	s_or_b64 exec, exec, s[84:85]
.LBB73_214:
	s_or_b64 exec, exec, s[82:83]
	v_mov_b32_e32 v28, 0x4000
	v_cmp_eq_u32_e64 s[14:15], 15, v25
	s_xor_b64 s[82:83], s[10:11], -1
	v_lshl_add_u32 v27, v27, 4, v28
	s_and_b64 s[14:15], s[14:15], s[82:83]
	s_and_saveexec_b64 s[10:11], s[14:15]
; %bb.215:
	v_xor_b32_e32 v31, 0x80000000, v13
	v_xor_b32_e32 v29, 0x80000000, v11
	v_mov_b32_e32 v28, v10
	v_mov_b32_e32 v30, v12
	ds_write_b128 v27, v[28:31]
; %bb.216:
	s_or_b64 exec, exec, s[10:11]
	v_cmp_ne_u32_e64 s[10:11], 15, v25
	s_and_b64 s[14:15], s[10:11], s[82:83]
	s_waitcnt lgkmcnt(0)
	s_barrier
	s_and_saveexec_b64 s[10:11], s[14:15]
	s_cbranch_execz .LBB73_218
; %bb.217:
	v_lshlrev_b32_e32 v32, 4, v25
	ds_read_b128 v[28:31], v27
	ds_read_b128 v[32:35], v32 offset:7680
	s_waitcnt lgkmcnt(0)
	v_mul_f64 v[36:37], v[30:31], v[34:35]
	v_mul_f64 v[34:35], v[28:29], v[34:35]
	v_fma_f64 v[28:29], v[28:29], v[32:33], -v[36:37]
	v_fma_f64 v[30:31], v[30:31], v[32:33], v[34:35]
	v_add_f64 v[10:11], v[10:11], -v[28:29]
	v_add_f64 v[12:13], v[12:13], -v[30:31]
.LBB73_218:
	s_or_b64 exec, exec, s[10:11]
	v_cmp_eq_u32_e64 s[10:11], 14, v25
	s_and_b64 s[14:15], s[10:11], s[82:83]
	s_barrier
	s_and_saveexec_b64 s[10:11], s[14:15]
; %bb.219:
	v_xor_b32_e32 v31, 0x80000000, v13
	v_xor_b32_e32 v29, 0x80000000, v11
	v_mov_b32_e32 v28, v10
	v_mov_b32_e32 v30, v12
	ds_write_b128 v27, v[28:31]
; %bb.220:
	s_or_b64 exec, exec, s[10:11]
	v_cmp_gt_u32_e64 s[10:11], 14, v25
	s_and_b64 s[14:15], s[10:11], s[82:83]
	s_waitcnt lgkmcnt(0)
	s_barrier
	s_and_saveexec_b64 s[10:11], s[14:15]
	s_cbranch_execz .LBB73_222
; %bb.221:
	v_lshlrev_b32_e32 v32, 4, v25
	ds_read_b128 v[28:31], v27
	ds_read_b128 v[32:35], v32 offset:7168
	s_waitcnt lgkmcnt(0)
	v_mul_f64 v[36:37], v[30:31], v[34:35]
	v_mul_f64 v[34:35], v[28:29], v[34:35]
	v_fma_f64 v[28:29], v[28:29], v[32:33], -v[36:37]
	v_fma_f64 v[30:31], v[30:31], v[32:33], v[34:35]
	v_add_f64 v[10:11], v[10:11], -v[28:29]
	v_add_f64 v[12:13], v[12:13], -v[30:31]
.LBB73_222:
	s_or_b64 exec, exec, s[10:11]
	v_cmp_eq_u32_e64 s[10:11], 13, v25
	s_and_b64 s[14:15], s[10:11], s[82:83]
	s_barrier
	s_and_saveexec_b64 s[10:11], s[14:15]
; %bb.223:
	v_xor_b32_e32 v31, 0x80000000, v13
	v_xor_b32_e32 v29, 0x80000000, v11
	v_mov_b32_e32 v28, v10
	v_mov_b32_e32 v30, v12
	ds_write_b128 v27, v[28:31]
; %bb.224:
	s_or_b64 exec, exec, s[10:11]
	v_cmp_gt_u32_e64 s[10:11], 13, v25
	;; [unrolled: 31-line block ×13, first 2 shown]
	s_and_b64 s[14:15], s[10:11], s[82:83]
	s_waitcnt lgkmcnt(0)
	s_barrier
	s_and_saveexec_b64 s[10:11], s[14:15]
	s_cbranch_execz .LBB73_270
; %bb.269:
	v_lshlrev_b32_e32 v32, 4, v25
	ds_read_b128 v[28:31], v27
	ds_read_b128 v[32:35], v32 offset:1024
	s_waitcnt lgkmcnt(0)
	v_mul_f64 v[36:37], v[30:31], v[34:35]
	v_mul_f64 v[34:35], v[28:29], v[34:35]
	v_fma_f64 v[28:29], v[28:29], v[32:33], -v[36:37]
	v_fma_f64 v[30:31], v[30:31], v[32:33], v[34:35]
	v_add_f64 v[10:11], v[10:11], -v[28:29]
	v_add_f64 v[12:13], v[12:13], -v[30:31]
.LBB73_270:
	s_or_b64 exec, exec, s[10:11]
	v_cmp_eq_u32_e64 s[10:11], 1, v25
	s_and_b64 s[14:15], s[10:11], s[82:83]
	s_barrier
	s_and_saveexec_b64 s[10:11], s[14:15]
; %bb.271:
	v_xor_b32_e32 v31, 0x80000000, v13
	v_xor_b32_e32 v29, 0x80000000, v11
	v_mov_b32_e32 v28, v10
	v_mov_b32_e32 v30, v12
	ds_write_b128 v27, v[28:31]
; %bb.272:
	s_or_b64 exec, exec, s[10:11]
	v_cmp_eq_u32_e64 s[10:11], 0, v25
	s_and_b64 s[10:11], s[10:11], s[82:83]
	s_waitcnt lgkmcnt(0)
	s_barrier
	s_and_saveexec_b64 s[14:15], s[10:11]
	s_cbranch_execz .LBB73_274
; %bb.273:
	v_mov_b32_e32 v32, 0
	ds_read_b128 v[28:31], v27
	ds_read_b128 v[32:35], v32 offset:512
	s_waitcnt lgkmcnt(0)
	v_mul_f64 v[36:37], v[30:31], v[34:35]
	v_mul_f64 v[34:35], v[28:29], v[34:35]
	v_fma_f64 v[28:29], v[28:29], v[32:33], -v[36:37]
	v_fma_f64 v[30:31], v[30:31], v[32:33], v[34:35]
	v_add_f64 v[10:11], v[10:11], -v[28:29]
	v_add_f64 v[12:13], v[12:13], -v[30:31]
.LBB73_274:
	s_or_b64 exec, exec, s[14:15]
	s_barrier
	s_and_saveexec_b64 s[14:15], s[10:11]
; %bb.275:
	v_xor_b32_e32 v31, 0x80000000, v13
	v_xor_b32_e32 v29, 0x80000000, v11
	v_mov_b32_e32 v28, v10
	v_mov_b32_e32 v30, v12
	ds_write_b128 v27, v[28:31]
; %bb.276:
	s_or_b64 exec, exec, s[14:15]
	s_waitcnt lgkmcnt(0)
	s_barrier
	s_barrier
	s_and_saveexec_b64 s[10:11], s[8:9]
; %bb.277:
	v_lshlrev_b32_e32 v25, 4, v25
	v_lshl_or_b32 v25, v26, 9, v25
	ds_write_b128 v25, v[10:13] offset:8192
; %bb.278:
	s_or_b64 exec, exec, s[10:11]
	s_waitcnt lgkmcnt(0)
	s_barrier
	s_barrier
	s_and_saveexec_b64 s[8:9], vcc
	s_cbranch_execz .LBB73_280
; %bb.279:
	s_mov_b32 s92, 0
	s_mov_b32 s93, 0x3ff00000
	;; [unrolled: 1-line block ×4, first 2 shown]
	v_mov_b32_e32 v10, s92
	v_mov_b32_e32 v25, 0
	;; [unrolled: 1-line block ×5, first 2 shown]
	ds_write_b128 v25, v[10:13] offset:7392
	ds_write_b128 v25, v[10:13] offset:7920
.LBB73_280:
	s_or_b64 exec, exec, s[8:9]
	v_mov_b32_e32 v10, 0
	v_mov_b32_e32 v12, 0
	;; [unrolled: 1-line block ×4, first 2 shown]
	s_waitcnt lgkmcnt(0)
	s_barrier
	buffer_wbinvl1_vol
	s_and_saveexec_b64 s[10:11], s[0:1]
	s_cbranch_execz .LBB73_284
; %bb.281:
	v_lshlrev_b32_e32 v25, 4, v14
	v_lshlrev_b32_e32 v10, 9, v15
	ds_read_b128 v[10:13], v10 offset:7392
	ds_read_b128 v[25:28], v25 offset:7360
	v_cmp_gt_u32_e64 s[8:9], 2, v17
	s_waitcnt lgkmcnt(0)
	v_mul_f64 v[29:30], v[12:13], v[27:28]
	v_mul_f64 v[27:28], v[10:11], v[27:28]
	v_fma_f64 v[10:11], v[10:11], v[25:26], -v[29:30]
	v_fma_f64 v[12:13], v[12:13], v[25:26], v[27:28]
	v_add_f64 v[10:11], v[10:11], 0
	v_add_f64 v[12:13], v[12:13], 0
	s_and_saveexec_b64 s[14:15], s[8:9]
	s_cbranch_execz .LBB73_283
; %bb.282:
	v_lshlrev_b32_e32 v29, 4, v0
	v_mov_b32_e32 v25, 0
	ds_read_b128 v[25:28], v25 offset:7920
	ds_read_b128 v[29:32], v29 offset:7872
	s_waitcnt lgkmcnt(0)
	v_mul_f64 v[33:34], v[27:28], v[31:32]
	v_mul_f64 v[31:32], v[25:26], v[31:32]
	v_fma_f64 v[25:26], v[25:26], v[29:30], -v[33:34]
	v_fma_f64 v[27:28], v[27:28], v[29:30], v[31:32]
	v_add_f64 v[10:11], v[10:11], v[25:26]
	v_add_f64 v[12:13], v[12:13], v[27:28]
.LBB73_283:
	s_or_b64 exec, exec, s[14:15]
.LBB73_284:
	s_or_b64 exec, exec, s[10:11]
	s_and_saveexec_b64 s[8:9], s[40:41]
; %bb.285:
	v_xor_b32_e32 v26, 0x80000000, v11
	v_xor_b32_e32 v28, 0x80000000, v13
	v_mov_b32_e32 v25, v10
	v_mov_b32_e32 v27, v12
	ds_write_b128 v16, v[25:28]
; %bb.286:
	s_or_b64 exec, exec, s[8:9]
	s_waitcnt lgkmcnt(0)
	s_barrier
	s_and_saveexec_b64 s[8:9], s[38:39]
	s_cbranch_execz .LBB73_288
; %bb.287:
	v_mov_b32_e32 v29, 0
	ds_read_b128 v[25:28], v16
	ds_read_b128 v[29:32], v29 offset:6848
	s_waitcnt lgkmcnt(0)
	v_mul_f64 v[33:34], v[25:26], v[29:30]
	v_mul_f64 v[25:26], v[25:26], v[31:32]
	v_fma_f64 v[31:32], v[27:28], v[31:32], -v[33:34]
	v_fma_f64 v[25:26], v[27:28], v[29:30], v[25:26]
	v_add_f64 v[10:11], v[10:11], v[31:32]
	v_add_f64 v[12:13], v[12:13], -v[25:26]
.LBB73_288:
	s_or_b64 exec, exec, s[8:9]
	s_barrier
	s_and_saveexec_b64 s[8:9], s[38:39]
; %bb.289:
	v_xor_b32_e32 v26, 0x80000000, v11
	v_xor_b32_e32 v28, 0x80000000, v13
	v_mov_b32_e32 v25, v10
	v_mov_b32_e32 v27, v12
	ds_write_b128 v16, v[25:28]
; %bb.290:
	s_or_b64 exec, exec, s[8:9]
	s_waitcnt lgkmcnt(0)
	s_barrier
	s_barrier
	s_and_saveexec_b64 s[8:9], s[0:1]
; %bb.291:
	v_lshlrev_b32_e32 v25, 4, v14
	v_lshl_or_b32 v25, v15, 9, v25
	ds_write_b128 v25, v[10:13] offset:7360
; %bb.292:
	s_or_b64 exec, exec, s[8:9]
	s_waitcnt lgkmcnt(0)
	s_barrier
	s_barrier
	s_and_saveexec_b64 s[8:9], vcc
	s_cbranch_execz .LBB73_294
; %bb.293:
	s_mov_b32 s92, 0
	s_mov_b32 s93, 0x3ff00000
	;; [unrolled: 1-line block ×4, first 2 shown]
	v_mov_b32_e32 v10, s92
	v_mov_b32_e32 v25, 0
	;; [unrolled: 1-line block ×5, first 2 shown]
	ds_write_b128 v25, v[10:13] offset:6336
	ds_write_b128 v25, v[10:13] offset:6864
.LBB73_294:
	s_or_b64 exec, exec, s[8:9]
	v_mov_b32_e32 v12, 0
	v_mov_b32_e32 v10, 0
	;; [unrolled: 1-line block ×4, first 2 shown]
	s_waitcnt lgkmcnt(0)
	s_barrier
	buffer_wbinvl1_vol
	s_and_saveexec_b64 s[10:11], s[2:3]
	s_cbranch_execz .LBB73_300
; %bb.295:
	v_lshlrev_b32_e32 v26, 9, v19
	v_lshlrev_b32_e32 v25, 4, v18
	ds_read_b128 v[10:13], v26 offset:6336
	ds_read_b128 v[27:30], v25 offset:6272
	v_cmp_gt_u32_e64 s[8:9], 12, v17
	s_waitcnt lgkmcnt(0)
	v_mul_f64 v[31:32], v[12:13], v[29:30]
	v_mul_f64 v[29:30], v[10:11], v[29:30]
	v_fma_f64 v[10:11], v[10:11], v[27:28], -v[31:32]
	v_fma_f64 v[12:13], v[12:13], v[27:28], v[29:30]
	v_add_f64 v[10:11], v[10:11], 0
	v_add_f64 v[12:13], v[12:13], 0
	s_and_saveexec_b64 s[14:15], s[8:9]
	s_cbranch_execnz .LBB73_501
; %bb.296:
	s_or_b64 exec, exec, s[14:15]
	v_cmp_gt_u32_e64 s[8:9], 8, v17
	s_and_saveexec_b64 s[14:15], s[8:9]
	s_cbranch_execnz .LBB73_502
.LBB73_297:
	s_or_b64 exec, exec, s[14:15]
	v_cmp_gt_u32_e64 s[8:9], 4, v17
	s_and_saveexec_b64 s[14:15], s[8:9]
	s_cbranch_execz .LBB73_299
.LBB73_298:
	v_lshlrev_b32_e32 v29, 4, v0
	v_mov_b32_e32 v25, 0
	ds_read_b128 v[25:28], v25 offset:7920
	ds_read_b128 v[29:32], v29 offset:7808
	s_waitcnt lgkmcnt(0)
	v_mul_f64 v[33:34], v[27:28], v[31:32]
	v_mul_f64 v[31:32], v[25:26], v[31:32]
	v_fma_f64 v[25:26], v[25:26], v[29:30], -v[33:34]
	v_fma_f64 v[27:28], v[27:28], v[29:30], v[31:32]
	v_add_f64 v[10:11], v[10:11], v[25:26]
	v_add_f64 v[12:13], v[12:13], v[27:28]
.LBB73_299:
	s_or_b64 exec, exec, s[14:15]
.LBB73_300:
	s_or_b64 exec, exec, s[10:11]
	s_and_saveexec_b64 s[8:9], s[44:45]
; %bb.301:
	v_xor_b32_e32 v28, 0x80000000, v13
	v_xor_b32_e32 v26, 0x80000000, v11
	v_mov_b32_e32 v25, v10
	v_mov_b32_e32 v27, v12
	ds_write_b128 v20, v[25:28]
; %bb.302:
	s_or_b64 exec, exec, s[8:9]
	s_waitcnt lgkmcnt(0)
	s_barrier
	s_and_saveexec_b64 s[8:9], s[46:47]
	s_cbranch_execz .LBB73_304
; %bb.303:
	v_lshlrev_b32_e32 v29, 4, v18
	ds_read_b128 v[25:28], v20
	ds_read_b128 v[29:32], v29 offset:5760
	s_waitcnt lgkmcnt(0)
	v_mul_f64 v[33:34], v[27:28], v[31:32]
	v_mul_f64 v[31:32], v[25:26], v[31:32]
	v_fma_f64 v[25:26], v[25:26], v[29:30], -v[33:34]
	v_fma_f64 v[27:28], v[27:28], v[29:30], v[31:32]
	v_add_f64 v[10:11], v[10:11], -v[25:26]
	v_add_f64 v[12:13], v[12:13], -v[27:28]
.LBB73_304:
	s_or_b64 exec, exec, s[8:9]
	s_barrier
	s_and_saveexec_b64 s[8:9], s[48:49]
; %bb.305:
	v_xor_b32_e32 v28, 0x80000000, v13
	v_xor_b32_e32 v26, 0x80000000, v11
	v_mov_b32_e32 v25, v10
	v_mov_b32_e32 v27, v12
	ds_write_b128 v20, v[25:28]
; %bb.306:
	s_or_b64 exec, exec, s[8:9]
	s_waitcnt lgkmcnt(0)
	s_barrier
	s_and_saveexec_b64 s[8:9], s[50:51]
	s_cbranch_execz .LBB73_308
; %bb.307:
	v_lshlrev_b32_e32 v29, 4, v18
	ds_read_b128 v[25:28], v20
	ds_read_b128 v[29:32], v29 offset:5248
	s_waitcnt lgkmcnt(0)
	v_mul_f64 v[33:34], v[27:28], v[31:32]
	v_mul_f64 v[31:32], v[25:26], v[31:32]
	v_fma_f64 v[25:26], v[25:26], v[29:30], -v[33:34]
	v_fma_f64 v[27:28], v[27:28], v[29:30], v[31:32]
	v_add_f64 v[10:11], v[10:11], -v[25:26]
	v_add_f64 v[12:13], v[12:13], -v[27:28]
.LBB73_308:
	s_or_b64 exec, exec, s[8:9]
	s_barrier
	s_and_saveexec_b64 s[8:9], s[52:53]
; %bb.309:
	v_xor_b32_e32 v28, 0x80000000, v13
	v_xor_b32_e32 v26, 0x80000000, v11
	v_mov_b32_e32 v25, v10
	v_mov_b32_e32 v27, v12
	ds_write_b128 v20, v[25:28]
; %bb.310:
	s_or_b64 exec, exec, s[8:9]
	s_waitcnt lgkmcnt(0)
	s_barrier
	s_and_saveexec_b64 s[8:9], s[42:43]
	s_cbranch_execz .LBB73_312
; %bb.311:
	v_mov_b32_e32 v29, 0
	ds_read_b128 v[25:28], v20
	ds_read_b128 v[29:32], v29 offset:4736
	s_waitcnt lgkmcnt(0)
	v_mul_f64 v[33:34], v[27:28], v[31:32]
	v_mul_f64 v[31:32], v[25:26], v[31:32]
	v_fma_f64 v[25:26], v[25:26], v[29:30], -v[33:34]
	v_fma_f64 v[27:28], v[27:28], v[29:30], v[31:32]
	v_add_f64 v[10:11], v[10:11], -v[25:26]
	v_add_f64 v[12:13], v[12:13], -v[27:28]
.LBB73_312:
	s_or_b64 exec, exec, s[8:9]
	s_barrier
	s_and_saveexec_b64 s[8:9], s[42:43]
; %bb.313:
	v_xor_b32_e32 v28, 0x80000000, v13
	v_xor_b32_e32 v26, 0x80000000, v11
	v_mov_b32_e32 v25, v10
	v_mov_b32_e32 v27, v12
	ds_write_b128 v20, v[25:28]
; %bb.314:
	s_or_b64 exec, exec, s[8:9]
	s_waitcnt lgkmcnt(0)
	s_barrier
	s_barrier
	s_and_saveexec_b64 s[8:9], s[2:3]
; %bb.315:
	v_lshlrev_b32_e32 v25, 4, v18
	v_lshl_or_b32 v25, v19, 9, v25
	ds_write_b128 v25, v[10:13] offset:6272
; %bb.316:
	s_or_b64 exec, exec, s[8:9]
	s_waitcnt lgkmcnt(0)
	s_barrier
	s_barrier
	s_and_saveexec_b64 s[8:9], vcc
	s_cbranch_execz .LBB73_318
; %bb.317:
	s_mov_b32 s92, 0
	s_mov_b32 s93, 0x3ff00000
	;; [unrolled: 1-line block ×4, first 2 shown]
	v_mov_b32_e32 v10, s92
	v_mov_b32_e32 v25, 0
	;; [unrolled: 1-line block ×5, first 2 shown]
	ds_write_b128 v25, v[10:13] offset:5280
	ds_write_b128 v25, v[10:13] offset:5808
.LBB73_318:
	s_or_b64 exec, exec, s[8:9]
	v_mov_b32_e32 v10, 0
	v_mov_b32_e32 v12, 0
	v_mov_b32_e32 v11, 0
	v_mov_b32_e32 v13, 0
	s_waitcnt lgkmcnt(0)
	s_barrier
	buffer_wbinvl1_vol
	s_and_saveexec_b64 s[10:11], s[0:1]
	s_cbranch_execz .LBB73_322
; %bb.319:
	v_lshlrev_b32_e32 v25, 4, v14
	v_lshlrev_b32_e32 v10, 9, v15
	ds_read_b128 v[10:13], v10 offset:5280
	ds_read_b128 v[25:28], v25 offset:5248
	v_cmp_gt_u32_e64 s[8:9], 2, v17
	s_waitcnt lgkmcnt(0)
	v_mul_f64 v[29:30], v[12:13], v[27:28]
	v_mul_f64 v[27:28], v[10:11], v[27:28]
	v_fma_f64 v[10:11], v[10:11], v[25:26], -v[29:30]
	v_fma_f64 v[12:13], v[12:13], v[25:26], v[27:28]
	v_add_f64 v[10:11], v[10:11], 0
	v_add_f64 v[12:13], v[12:13], 0
	s_and_saveexec_b64 s[14:15], s[8:9]
	s_cbranch_execz .LBB73_321
; %bb.320:
	v_lshlrev_b32_e32 v29, 4, v0
	v_mov_b32_e32 v25, 0
	ds_read_b128 v[25:28], v25 offset:5808
	ds_read_b128 v[29:32], v29 offset:5760
	s_waitcnt lgkmcnt(0)
	v_mul_f64 v[33:34], v[27:28], v[31:32]
	v_mul_f64 v[31:32], v[25:26], v[31:32]
	v_fma_f64 v[25:26], v[25:26], v[29:30], -v[33:34]
	v_fma_f64 v[27:28], v[27:28], v[29:30], v[31:32]
	v_add_f64 v[10:11], v[10:11], v[25:26]
	v_add_f64 v[12:13], v[12:13], v[27:28]
.LBB73_321:
	s_or_b64 exec, exec, s[14:15]
.LBB73_322:
	s_or_b64 exec, exec, s[10:11]
	s_and_saveexec_b64 s[8:9], s[40:41]
; %bb.323:
	v_xor_b32_e32 v26, 0x80000000, v11
	v_xor_b32_e32 v28, 0x80000000, v13
	v_mov_b32_e32 v25, v10
	v_mov_b32_e32 v27, v12
	ds_write_b128 v16, v[25:28]
; %bb.324:
	s_or_b64 exec, exec, s[8:9]
	s_waitcnt lgkmcnt(0)
	s_barrier
	s_and_saveexec_b64 s[8:9], s[38:39]
	s_cbranch_execz .LBB73_326
; %bb.325:
	v_mov_b32_e32 v29, 0
	ds_read_b128 v[25:28], v16
	ds_read_b128 v[29:32], v29 offset:4736
	s_waitcnt lgkmcnt(0)
	v_mul_f64 v[33:34], v[25:26], v[29:30]
	v_mul_f64 v[25:26], v[25:26], v[31:32]
	v_fma_f64 v[31:32], v[27:28], v[31:32], -v[33:34]
	v_fma_f64 v[25:26], v[27:28], v[29:30], v[25:26]
	v_add_f64 v[10:11], v[10:11], v[31:32]
	v_add_f64 v[12:13], v[12:13], -v[25:26]
.LBB73_326:
	s_or_b64 exec, exec, s[8:9]
	s_barrier
	s_and_saveexec_b64 s[8:9], s[38:39]
; %bb.327:
	v_xor_b32_e32 v26, 0x80000000, v11
	v_xor_b32_e32 v28, 0x80000000, v13
	v_mov_b32_e32 v25, v10
	v_mov_b32_e32 v27, v12
	ds_write_b128 v16, v[25:28]
; %bb.328:
	s_or_b64 exec, exec, s[8:9]
	s_waitcnt lgkmcnt(0)
	s_barrier
	s_barrier
	s_and_saveexec_b64 s[8:9], s[0:1]
; %bb.329:
	v_lshlrev_b32_e32 v25, 4, v14
	v_lshl_or_b32 v25, v15, 9, v25
	ds_write_b128 v25, v[10:13] offset:5248
; %bb.330:
	s_or_b64 exec, exec, s[8:9]
	s_waitcnt lgkmcnt(0)
	s_barrier
	s_barrier
	s_and_saveexec_b64 s[8:9], vcc
	s_cbranch_execz .LBB73_332
; %bb.331:
	s_mov_b32 s92, 0
	s_mov_b32 s93, 0x3ff00000
	;; [unrolled: 1-line block ×4, first 2 shown]
	v_mov_b32_e32 v10, s92
	v_mov_b32_e32 v25, 0
	;; [unrolled: 1-line block ×5, first 2 shown]
	ds_write_b128 v25, v[10:13] offset:4224
	ds_write_b128 v25, v[10:13] offset:4752
.LBB73_332:
	s_or_b64 exec, exec, s[8:9]
	v_mov_b32_e32 v12, 0
	v_mov_b32_e32 v10, 0
	;; [unrolled: 1-line block ×4, first 2 shown]
	s_waitcnt lgkmcnt(0)
	s_barrier
	buffer_wbinvl1_vol
	s_and_saveexec_b64 s[10:11], s[12:13]
	s_cbranch_execz .LBB73_342
; %bb.333:
	v_lshlrev_b32_e32 v26, 9, v23
	v_lshlrev_b32_e32 v25, 4, v22
	ds_read_b128 v[10:13], v26 offset:4224
	ds_read_b128 v[27:30], v25 offset:4096
	v_cmp_gt_u32_e64 s[8:9], 56, v17
	s_waitcnt lgkmcnt(0)
	v_mul_f64 v[31:32], v[12:13], v[29:30]
	v_mul_f64 v[29:30], v[10:11], v[29:30]
	v_fma_f64 v[10:11], v[10:11], v[27:28], -v[31:32]
	v_fma_f64 v[12:13], v[12:13], v[27:28], v[29:30]
	v_add_f64 v[10:11], v[10:11], 0
	v_add_f64 v[12:13], v[12:13], 0
	s_and_saveexec_b64 s[14:15], s[8:9]
	s_cbranch_execnz .LBB73_503
; %bb.334:
	s_or_b64 exec, exec, s[14:15]
	v_cmp_gt_u32_e64 s[8:9], 48, v17
	s_and_saveexec_b64 s[14:15], s[8:9]
	s_cbranch_execnz .LBB73_504
.LBB73_335:
	s_or_b64 exec, exec, s[14:15]
	v_cmp_gt_u32_e64 s[8:9], 40, v17
	s_and_saveexec_b64 s[14:15], s[8:9]
	s_cbranch_execnz .LBB73_505
.LBB73_336:
	s_or_b64 exec, exec, s[14:15]
	v_cmp_gt_u32_e64 s[8:9], 32, v17
	s_and_saveexec_b64 s[14:15], s[8:9]
	s_cbranch_execnz .LBB73_506
.LBB73_337:
	s_or_b64 exec, exec, s[14:15]
	v_cmp_gt_u32_e64 s[8:9], 24, v17
	s_and_saveexec_b64 s[14:15], s[8:9]
	s_cbranch_execnz .LBB73_507
.LBB73_338:
	s_or_b64 exec, exec, s[14:15]
	s_and_saveexec_b64 s[8:9], s[2:3]
	s_cbranch_execnz .LBB73_508
.LBB73_339:
	s_or_b64 exec, exec, s[8:9]
	v_cmp_gt_u32_e64 s[8:9], 8, v17
	s_and_saveexec_b64 s[14:15], s[8:9]
	s_cbranch_execz .LBB73_341
.LBB73_340:
	v_lshlrev_b32_e32 v29, 4, v0
	v_mov_b32_e32 v25, 0
	ds_read_b128 v[25:28], v25 offset:7920
	ds_read_b128 v[29:32], v29 offset:7680
	s_waitcnt lgkmcnt(0)
	v_mul_f64 v[33:34], v[27:28], v[31:32]
	v_mul_f64 v[31:32], v[25:26], v[31:32]
	v_fma_f64 v[25:26], v[25:26], v[29:30], -v[33:34]
	v_fma_f64 v[27:28], v[27:28], v[29:30], v[31:32]
	v_add_f64 v[10:11], v[10:11], v[25:26]
	v_add_f64 v[12:13], v[12:13], v[27:28]
.LBB73_341:
	s_or_b64 exec, exec, s[14:15]
.LBB73_342:
	s_or_b64 exec, exec, s[10:11]
	s_and_saveexec_b64 s[8:9], s[56:57]
; %bb.343:
	v_xor_b32_e32 v26, 0x80000000, v11
	v_xor_b32_e32 v28, 0x80000000, v13
	v_mov_b32_e32 v25, v10
	v_mov_b32_e32 v27, v12
	ds_write_b128 v24, v[25:28]
; %bb.344:
	s_or_b64 exec, exec, s[8:9]
	s_waitcnt lgkmcnt(0)
	s_barrier
	s_and_saveexec_b64 s[8:9], s[58:59]
	s_cbranch_execz .LBB73_346
; %bb.345:
	v_lshlrev_b32_e32 v29, 4, v22
	ds_read_b128 v[25:28], v24
	ds_read_b128 v[29:32], v29 offset:3584
	s_waitcnt lgkmcnt(0)
	v_mul_f64 v[33:34], v[27:28], v[31:32]
	v_mul_f64 v[31:32], v[25:26], v[31:32]
	v_fma_f64 v[25:26], v[25:26], v[29:30], -v[33:34]
	v_fma_f64 v[27:28], v[27:28], v[29:30], v[31:32]
	v_add_f64 v[10:11], v[10:11], -v[25:26]
	v_add_f64 v[12:13], v[12:13], -v[27:28]
.LBB73_346:
	s_or_b64 exec, exec, s[8:9]
	s_barrier
	s_and_saveexec_b64 s[8:9], s[60:61]
; %bb.347:
	v_xor_b32_e32 v26, 0x80000000, v11
	v_xor_b32_e32 v28, 0x80000000, v13
	v_mov_b32_e32 v25, v10
	v_mov_b32_e32 v27, v12
	ds_write_b128 v24, v[25:28]
; %bb.348:
	s_or_b64 exec, exec, s[8:9]
	s_waitcnt lgkmcnt(0)
	s_barrier
	s_and_saveexec_b64 s[8:9], s[62:63]
	s_cbranch_execz .LBB73_350
; %bb.349:
	v_lshlrev_b32_e32 v29, 4, v22
	ds_read_b128 v[25:28], v24
	ds_read_b128 v[29:32], v29 offset:3072
	s_waitcnt lgkmcnt(0)
	v_mul_f64 v[33:34], v[27:28], v[31:32]
	v_mul_f64 v[31:32], v[25:26], v[31:32]
	v_fma_f64 v[25:26], v[25:26], v[29:30], -v[33:34]
	v_fma_f64 v[27:28], v[27:28], v[29:30], v[31:32]
	v_add_f64 v[10:11], v[10:11], -v[25:26]
	v_add_f64 v[12:13], v[12:13], -v[27:28]
.LBB73_350:
	s_or_b64 exec, exec, s[8:9]
	s_barrier
	;; [unrolled: 27-line block ×6, first 2 shown]
	s_and_saveexec_b64 s[8:9], s[80:81]
; %bb.367:
	v_xor_b32_e32 v26, 0x80000000, v11
	v_xor_b32_e32 v28, 0x80000000, v13
	v_mov_b32_e32 v25, v10
	v_mov_b32_e32 v27, v12
	ds_write_b128 v24, v[25:28]
; %bb.368:
	s_or_b64 exec, exec, s[8:9]
	s_waitcnt lgkmcnt(0)
	s_barrier
	s_and_saveexec_b64 s[8:9], s[54:55]
	s_cbranch_execz .LBB73_370
; %bb.369:
	v_mov_b32_e32 v29, 0
	ds_read_b128 v[25:28], v24
	ds_read_b128 v[29:32], v29 offset:512
	s_waitcnt lgkmcnt(0)
	v_mul_f64 v[33:34], v[27:28], v[31:32]
	v_mul_f64 v[31:32], v[25:26], v[31:32]
	v_fma_f64 v[25:26], v[25:26], v[29:30], -v[33:34]
	v_fma_f64 v[27:28], v[27:28], v[29:30], v[31:32]
	v_add_f64 v[10:11], v[10:11], -v[25:26]
	v_add_f64 v[12:13], v[12:13], -v[27:28]
.LBB73_370:
	s_or_b64 exec, exec, s[8:9]
	s_barrier
	s_and_saveexec_b64 s[8:9], s[54:55]
; %bb.371:
	v_xor_b32_e32 v26, 0x80000000, v11
	v_xor_b32_e32 v28, 0x80000000, v13
	v_mov_b32_e32 v25, v10
	v_mov_b32_e32 v27, v12
	ds_write_b128 v24, v[25:28]
; %bb.372:
	s_or_b64 exec, exec, s[8:9]
	s_waitcnt lgkmcnt(0)
	s_barrier
	s_barrier
	s_and_saveexec_b64 s[8:9], s[12:13]
; %bb.373:
	v_lshlrev_b32_e32 v22, 4, v22
	v_lshl_or_b32 v22, v23, 9, v22
	ds_write_b128 v22, v[10:13] offset:4096
; %bb.374:
	s_or_b64 exec, exec, s[8:9]
	s_waitcnt lgkmcnt(0)
	s_barrier
	s_barrier
	s_and_saveexec_b64 s[8:9], vcc
	s_cbranch_execz .LBB73_376
; %bb.375:
	s_mov_b32 s12, 0
	s_mov_b32 s13, 0x3ff00000
	;; [unrolled: 1-line block ×4, first 2 shown]
	v_mov_b32_e32 v10, s12
	v_mov_b32_e32 v22, 0
	;; [unrolled: 1-line block ×5, first 2 shown]
	ds_write_b128 v22, v[10:13] offset:3168
	ds_write_b128 v22, v[10:13] offset:3696
.LBB73_376:
	s_or_b64 exec, exec, s[8:9]
	v_mov_b32_e32 v10, 0
	v_mov_b32_e32 v12, 0
	;; [unrolled: 1-line block ×4, first 2 shown]
	s_waitcnt lgkmcnt(0)
	s_barrier
	buffer_wbinvl1_vol
	s_and_saveexec_b64 s[10:11], s[0:1]
	s_cbranch_execz .LBB73_380
; %bb.377:
	v_lshlrev_b32_e32 v22, 4, v14
	v_lshlrev_b32_e32 v10, 9, v15
	ds_read_b128 v[10:13], v10 offset:3168
	ds_read_b128 v[22:25], v22 offset:3136
	v_cmp_gt_u32_e64 s[8:9], 2, v17
	s_waitcnt lgkmcnt(0)
	v_mul_f64 v[26:27], v[12:13], v[24:25]
	v_mul_f64 v[24:25], v[10:11], v[24:25]
	v_fma_f64 v[10:11], v[10:11], v[22:23], -v[26:27]
	v_fma_f64 v[12:13], v[12:13], v[22:23], v[24:25]
	v_add_f64 v[10:11], v[10:11], 0
	v_add_f64 v[12:13], v[12:13], 0
	s_and_saveexec_b64 s[12:13], s[8:9]
	s_cbranch_execz .LBB73_379
; %bb.378:
	v_lshlrev_b32_e32 v26, 4, v0
	v_mov_b32_e32 v22, 0
	ds_read_b128 v[22:25], v22 offset:3696
	ds_read_b128 v[26:29], v26 offset:3648
	s_waitcnt lgkmcnt(0)
	v_mul_f64 v[30:31], v[24:25], v[28:29]
	v_mul_f64 v[28:29], v[22:23], v[28:29]
	v_fma_f64 v[22:23], v[22:23], v[26:27], -v[30:31]
	v_fma_f64 v[24:25], v[24:25], v[26:27], v[28:29]
	v_add_f64 v[10:11], v[10:11], v[22:23]
	v_add_f64 v[12:13], v[12:13], v[24:25]
.LBB73_379:
	s_or_b64 exec, exec, s[12:13]
.LBB73_380:
	s_or_b64 exec, exec, s[10:11]
	s_and_saveexec_b64 s[8:9], s[40:41]
; %bb.381:
	v_xor_b32_e32 v23, 0x80000000, v11
	v_xor_b32_e32 v25, 0x80000000, v13
	v_mov_b32_e32 v22, v10
	v_mov_b32_e32 v24, v12
	ds_write_b128 v16, v[22:25]
; %bb.382:
	s_or_b64 exec, exec, s[8:9]
	s_waitcnt lgkmcnt(0)
	s_barrier
	s_and_saveexec_b64 s[8:9], s[38:39]
	s_cbranch_execz .LBB73_384
; %bb.383:
	v_mov_b32_e32 v26, 0
	ds_read_b128 v[22:25], v16
	ds_read_b128 v[26:29], v26 offset:2624
	s_waitcnt lgkmcnt(0)
	v_mul_f64 v[30:31], v[22:23], v[26:27]
	v_mul_f64 v[22:23], v[22:23], v[28:29]
	v_fma_f64 v[28:29], v[24:25], v[28:29], -v[30:31]
	v_fma_f64 v[22:23], v[24:25], v[26:27], v[22:23]
	v_add_f64 v[10:11], v[10:11], v[28:29]
	v_add_f64 v[12:13], v[12:13], -v[22:23]
.LBB73_384:
	s_or_b64 exec, exec, s[8:9]
	s_barrier
	s_and_saveexec_b64 s[8:9], s[38:39]
; %bb.385:
	v_xor_b32_e32 v23, 0x80000000, v11
	v_xor_b32_e32 v25, 0x80000000, v13
	v_mov_b32_e32 v22, v10
	v_mov_b32_e32 v24, v12
	ds_write_b128 v16, v[22:25]
; %bb.386:
	s_or_b64 exec, exec, s[8:9]
	s_waitcnt lgkmcnt(0)
	s_barrier
	s_barrier
	s_and_saveexec_b64 s[8:9], s[0:1]
; %bb.387:
	v_lshlrev_b32_e32 v22, 4, v14
	v_lshl_or_b32 v22, v15, 9, v22
	ds_write_b128 v22, v[10:13] offset:3136
; %bb.388:
	s_or_b64 exec, exec, s[8:9]
	s_waitcnt lgkmcnt(0)
	s_barrier
	s_barrier
	s_and_saveexec_b64 s[8:9], vcc
	s_cbranch_execz .LBB73_390
; %bb.389:
	s_mov_b32 s12, 0
	s_mov_b32 s13, 0x3ff00000
	;; [unrolled: 1-line block ×4, first 2 shown]
	v_mov_b32_e32 v10, s12
	v_mov_b32_e32 v22, 0
	;; [unrolled: 1-line block ×5, first 2 shown]
	ds_write_b128 v22, v[10:13] offset:2112
	ds_write_b128 v22, v[10:13] offset:2640
.LBB73_390:
	s_or_b64 exec, exec, s[8:9]
	v_mov_b32_e32 v12, 0
	v_mov_b32_e32 v10, 0
	;; [unrolled: 1-line block ×4, first 2 shown]
	s_waitcnt lgkmcnt(0)
	s_barrier
	buffer_wbinvl1_vol
	s_and_saveexec_b64 s[10:11], s[2:3]
	s_cbranch_execz .LBB73_396
; %bb.391:
	v_lshlrev_b32_e32 v23, 9, v19
	v_lshlrev_b32_e32 v22, 4, v18
	ds_read_b128 v[10:13], v23 offset:2112
	ds_read_b128 v[24:27], v22 offset:2048
	v_cmp_gt_u32_e64 s[8:9], 12, v17
	s_waitcnt lgkmcnt(0)
	v_mul_f64 v[28:29], v[12:13], v[26:27]
	v_mul_f64 v[26:27], v[10:11], v[26:27]
	v_fma_f64 v[10:11], v[10:11], v[24:25], -v[28:29]
	v_fma_f64 v[12:13], v[12:13], v[24:25], v[26:27]
	v_add_f64 v[10:11], v[10:11], 0
	v_add_f64 v[12:13], v[12:13], 0
	s_and_saveexec_b64 s[12:13], s[8:9]
	s_cbranch_execnz .LBB73_509
; %bb.392:
	s_or_b64 exec, exec, s[12:13]
	v_cmp_gt_u32_e64 s[8:9], 8, v17
	s_and_saveexec_b64 s[12:13], s[8:9]
	s_cbranch_execnz .LBB73_510
.LBB73_393:
	s_or_b64 exec, exec, s[12:13]
	v_cmp_gt_u32_e64 s[8:9], 4, v17
	s_and_saveexec_b64 s[12:13], s[8:9]
	s_cbranch_execz .LBB73_395
.LBB73_394:
	v_lshlrev_b32_e32 v26, 4, v0
	v_mov_b32_e32 v22, 0
	ds_read_b128 v[22:25], v22 offset:3696
	ds_read_b128 v[26:29], v26 offset:3584
	s_waitcnt lgkmcnt(0)
	v_mul_f64 v[30:31], v[24:25], v[28:29]
	v_mul_f64 v[28:29], v[22:23], v[28:29]
	v_fma_f64 v[22:23], v[22:23], v[26:27], -v[30:31]
	v_fma_f64 v[24:25], v[24:25], v[26:27], v[28:29]
	v_add_f64 v[10:11], v[10:11], v[22:23]
	v_add_f64 v[12:13], v[12:13], v[24:25]
.LBB73_395:
	s_or_b64 exec, exec, s[12:13]
.LBB73_396:
	s_or_b64 exec, exec, s[10:11]
	s_and_saveexec_b64 s[8:9], s[44:45]
; %bb.397:
	v_xor_b32_e32 v25, 0x80000000, v13
	v_xor_b32_e32 v23, 0x80000000, v11
	v_mov_b32_e32 v22, v10
	v_mov_b32_e32 v24, v12
	ds_write_b128 v20, v[22:25]
; %bb.398:
	s_or_b64 exec, exec, s[8:9]
	s_waitcnt lgkmcnt(0)
	s_barrier
	s_and_saveexec_b64 s[8:9], s[46:47]
	s_cbranch_execz .LBB73_400
; %bb.399:
	v_lshlrev_b32_e32 v26, 4, v18
	ds_read_b128 v[22:25], v20
	ds_read_b128 v[26:29], v26 offset:1536
	s_waitcnt lgkmcnt(0)
	v_mul_f64 v[30:31], v[24:25], v[28:29]
	v_mul_f64 v[28:29], v[22:23], v[28:29]
	v_fma_f64 v[22:23], v[22:23], v[26:27], -v[30:31]
	v_fma_f64 v[24:25], v[24:25], v[26:27], v[28:29]
	v_add_f64 v[10:11], v[10:11], -v[22:23]
	v_add_f64 v[12:13], v[12:13], -v[24:25]
.LBB73_400:
	s_or_b64 exec, exec, s[8:9]
	s_barrier
	s_and_saveexec_b64 s[8:9], s[48:49]
; %bb.401:
	v_xor_b32_e32 v25, 0x80000000, v13
	v_xor_b32_e32 v23, 0x80000000, v11
	v_mov_b32_e32 v22, v10
	v_mov_b32_e32 v24, v12
	ds_write_b128 v20, v[22:25]
; %bb.402:
	s_or_b64 exec, exec, s[8:9]
	s_waitcnt lgkmcnt(0)
	s_barrier
	s_and_saveexec_b64 s[8:9], s[50:51]
	s_cbranch_execz .LBB73_404
; %bb.403:
	v_lshlrev_b32_e32 v26, 4, v18
	ds_read_b128 v[22:25], v20
	ds_read_b128 v[26:29], v26 offset:1024
	s_waitcnt lgkmcnt(0)
	v_mul_f64 v[30:31], v[24:25], v[28:29]
	v_mul_f64 v[28:29], v[22:23], v[28:29]
	v_fma_f64 v[22:23], v[22:23], v[26:27], -v[30:31]
	v_fma_f64 v[24:25], v[24:25], v[26:27], v[28:29]
	v_add_f64 v[10:11], v[10:11], -v[22:23]
	v_add_f64 v[12:13], v[12:13], -v[24:25]
.LBB73_404:
	s_or_b64 exec, exec, s[8:9]
	s_barrier
	s_and_saveexec_b64 s[8:9], s[52:53]
; %bb.405:
	v_xor_b32_e32 v25, 0x80000000, v13
	v_xor_b32_e32 v23, 0x80000000, v11
	v_mov_b32_e32 v22, v10
	v_mov_b32_e32 v24, v12
	ds_write_b128 v20, v[22:25]
; %bb.406:
	s_or_b64 exec, exec, s[8:9]
	s_waitcnt lgkmcnt(0)
	s_barrier
	s_and_saveexec_b64 s[8:9], s[42:43]
	s_cbranch_execz .LBB73_408
; %bb.407:
	v_mov_b32_e32 v26, 0
	ds_read_b128 v[22:25], v20
	ds_read_b128 v[26:29], v26 offset:512
	s_waitcnt lgkmcnt(0)
	v_mul_f64 v[30:31], v[24:25], v[28:29]
	v_mul_f64 v[28:29], v[22:23], v[28:29]
	v_fma_f64 v[22:23], v[22:23], v[26:27], -v[30:31]
	v_fma_f64 v[24:25], v[24:25], v[26:27], v[28:29]
	v_add_f64 v[10:11], v[10:11], -v[22:23]
	v_add_f64 v[12:13], v[12:13], -v[24:25]
.LBB73_408:
	s_or_b64 exec, exec, s[8:9]
	s_barrier
	s_and_saveexec_b64 s[8:9], s[42:43]
; %bb.409:
	v_xor_b32_e32 v25, 0x80000000, v13
	v_xor_b32_e32 v23, 0x80000000, v11
	v_mov_b32_e32 v22, v10
	v_mov_b32_e32 v24, v12
	ds_write_b128 v20, v[22:25]
; %bb.410:
	s_or_b64 exec, exec, s[8:9]
	s_waitcnt lgkmcnt(0)
	s_barrier
	s_barrier
	s_and_saveexec_b64 s[8:9], s[2:3]
; %bb.411:
	v_lshlrev_b32_e32 v18, 4, v18
	v_lshl_or_b32 v18, v19, 9, v18
	ds_write_b128 v18, v[10:13] offset:2048
; %bb.412:
	s_or_b64 exec, exec, s[8:9]
	s_waitcnt lgkmcnt(0)
	s_barrier
	s_barrier
	s_and_saveexec_b64 s[2:3], vcc
	s_cbranch_execz .LBB73_414
; %bb.413:
	s_mov_b32 s8, 0
	s_mov_b32 s11, s8
	;; [unrolled: 1-line block ×4, first 2 shown]
	v_mov_b32_e32 v13, s11
	v_mov_b32_e32 v18, 0
	v_mov_b32_e32 v12, s10
	v_mov_b32_e32 v11, s9
	v_mov_b32_e32 v10, s8
	ds_write_b128 v18, v[10:13] offset:1056
	ds_write_b128 v18, v[10:13] offset:1584
.LBB73_414:
	s_or_b64 exec, exec, s[2:3]
	v_mov_b32_e32 v10, 0
	v_mov_b32_e32 v12, 0
	;; [unrolled: 1-line block ×4, first 2 shown]
	s_waitcnt lgkmcnt(0)
	s_barrier
	buffer_wbinvl1_vol
	s_and_saveexec_b64 s[8:9], s[0:1]
	s_cbranch_execz .LBB73_418
; %bb.415:
	v_lshlrev_b32_e32 v10, 9, v15
	v_lshlrev_b32_e32 v18, 4, v14
	ds_read_b128 v[10:13], v10 offset:1056
	ds_read_b128 v[22:25], v18 offset:1024
	v_cmp_gt_u32_e64 s[2:3], 2, v17
	s_waitcnt lgkmcnt(0)
	v_mul_f64 v[18:19], v[12:13], v[24:25]
	v_mul_f64 v[24:25], v[10:11], v[24:25]
	v_fma_f64 v[10:11], v[10:11], v[22:23], -v[18:19]
	v_fma_f64 v[12:13], v[12:13], v[22:23], v[24:25]
	v_add_f64 v[10:11], v[10:11], 0
	v_add_f64 v[12:13], v[12:13], 0
	s_and_saveexec_b64 s[10:11], s[2:3]
	s_cbranch_execz .LBB73_417
; %bb.416:
	v_lshlrev_b32_e32 v22, 4, v0
	v_mov_b32_e32 v17, 0
	ds_read_b128 v[17:20], v17 offset:1584
	ds_read_b128 v[22:25], v22 offset:1536
	s_waitcnt lgkmcnt(0)
	v_mul_f64 v[26:27], v[19:20], v[24:25]
	v_mul_f64 v[24:25], v[17:18], v[24:25]
	v_fma_f64 v[17:18], v[17:18], v[22:23], -v[26:27]
	v_fma_f64 v[19:20], v[19:20], v[22:23], v[24:25]
	v_add_f64 v[10:11], v[10:11], v[17:18]
	v_add_f64 v[12:13], v[12:13], v[19:20]
.LBB73_417:
	s_or_b64 exec, exec, s[10:11]
.LBB73_418:
	s_or_b64 exec, exec, s[8:9]
	s_and_saveexec_b64 s[2:3], s[40:41]
; %bb.419:
	v_xor_b32_e32 v18, 0x80000000, v11
	v_xor_b32_e32 v20, 0x80000000, v13
	v_mov_b32_e32 v17, v10
	v_mov_b32_e32 v19, v12
	ds_write_b128 v16, v[17:20]
; %bb.420:
	s_or_b64 exec, exec, s[2:3]
	s_waitcnt lgkmcnt(0)
	s_barrier
	s_and_saveexec_b64 s[2:3], s[38:39]
	s_cbranch_execz .LBB73_422
; %bb.421:
	v_mov_b32_e32 v22, 0
	ds_read_b128 v[17:20], v16
	ds_read_b128 v[22:25], v22 offset:512
	s_waitcnt lgkmcnt(0)
	v_mul_f64 v[26:27], v[17:18], v[22:23]
	v_mul_f64 v[17:18], v[17:18], v[24:25]
	v_fma_f64 v[24:25], v[19:20], v[24:25], -v[26:27]
	v_fma_f64 v[17:18], v[19:20], v[22:23], v[17:18]
	v_add_f64 v[10:11], v[10:11], v[24:25]
	v_add_f64 v[12:13], v[12:13], -v[17:18]
.LBB73_422:
	s_or_b64 exec, exec, s[2:3]
	s_barrier
	s_and_saveexec_b64 s[2:3], s[38:39]
; %bb.423:
	v_xor_b32_e32 v18, 0x80000000, v11
	v_xor_b32_e32 v20, 0x80000000, v13
	v_mov_b32_e32 v17, v10
	v_mov_b32_e32 v19, v12
	ds_write_b128 v16, v[17:20]
; %bb.424:
	s_or_b64 exec, exec, s[2:3]
	s_waitcnt lgkmcnt(0)
	s_barrier
	s_barrier
	s_and_saveexec_b64 s[2:3], s[0:1]
; %bb.425:
	v_lshlrev_b32_e32 v14, 4, v14
	v_lshl_or_b32 v14, v15, 9, v14
	ds_write_b128 v14, v[10:13] offset:1024
; %bb.426:
	s_or_b64 exec, exec, s[2:3]
	s_waitcnt lgkmcnt(0)
	s_barrier
	s_barrier
	s_and_saveexec_b64 s[0:1], vcc
	s_cbranch_execz .LBB73_428
; %bb.427:
	s_mov_b32 s8, 0
	s_mov_b32 s11, s8
	;; [unrolled: 1-line block ×4, first 2 shown]
	v_mov_b32_e32 v13, s11
	v_mov_b32_e32 v14, 0
	;; [unrolled: 1-line block ×5, first 2 shown]
	ds_write_b128 v14, v[10:13]
	ds_write_b128 v14, v[10:13] offset:528
.LBB73_428:
	s_or_b64 exec, exec, s[0:1]
.LBB73_429:
	s_load_dwordx4 s[12:15], s[4:5], 0x48
	v_cmp_le_i32_e32 vcc, s86, v0
	v_mov_b32_e32 v10, 0
	v_mov_b32_e32 v11, 0
	;; [unrolled: 1-line block ×3, first 2 shown]
	s_waitcnt lgkmcnt(0)
	s_mul_i32 s1, s13, s34
	s_mul_hi_u32 s2, s12, s34
	s_mul_i32 s0, s12, s34
	s_add_i32 s1, s2, s1
	s_lshl_b64 s[0:1], s[0:1], 4
	s_add_u32 s2, s22, s0
	s_addc_u32 s3, s23, s1
	s_lshl_b64 s[0:1], s[24:25], 4
	s_add_u32 s38, s2, s0
	s_addc_u32 s39, s3, s1
	s_and_b64 s[12:13], vcc, s[18:19]
	v_cmp_eq_u32_e64 s[0:1], 0, v1
	s_xor_b64 s[2:3], s[12:13], -1
	s_and_b64 s[4:5], s[0:1], s[2:3]
	v_lshl_add_u32 v15, s33, 5, v0
	v_mov_b32_e32 v12, v10
	s_barrier
	s_and_saveexec_b64 s[2:3], s[4:5]
	s_cbranch_execz .LBB73_431
; %bb.430:
	v_ashrrev_i32_e32 v12, 31, v15
	v_mul_lo_u32 v13, s27, v15
	v_mad_u64_u32 v[10:11], s[4:5], s26, v15, 0
	v_mul_lo_u32 v12, s26, v12
	v_add3_u32 v11, v11, v12, v13
	v_lshlrev_b64 v[10:11], 4, v[10:11]
	v_mov_b32_e32 v12, s39
	v_add_co_u32_e32 v10, vcc, s38, v10
	v_addc_co_u32_e32 v11, vcc, v12, v11, vcc
	global_load_dwordx4 v[16:19], v[10:11], off
	s_waitcnt vmcnt(0)
	v_mul_f64 v[10:11], s[28:29], v[16:17]
	v_mul_f64 v[12:13], s[28:29], v[18:19]
	v_fma_f64 v[10:11], s[30:31], v[18:19], -v[10:11]
	v_fma_f64 v[12:13], v[16:17], -s[30:31], -v[12:13]
.LBB73_431:
	s_or_b64 exec, exec, s[2:3]
	s_and_b32 s2, 0xffff, s89
	v_mad_u32_u24 v22, v1, s2, v0
	v_mov_b32_e32 v14, 0
	s_cmp_lt_i32 s6, 1
	v_cmp_eq_u32_e64 s[2:3], 0, v22
	s_cbranch_scc1 .LBB73_454
; %bb.432:
	v_ashrrev_i32_e32 v16, 31, v15
	v_cmp_gt_i32_e64 s[10:11], s36, v15
	v_lshlrev_b64 v[15:16], 4, v[15:16]
	s_lshl_b64 s[4:5], s[34:35], 2
	v_mov_b32_e32 v17, 0x6000
	s_add_u32 s22, s14, s4
	v_lshl_add_u32 v23, v22, 4, v17
	v_lshl_or_b32 v24, v1, 4, v17
	v_mov_b32_e32 v17, s88
	v_add_co_u32_e32 v25, vcc, s87, v15
	s_mov_b32 s30, 0
	s_addc_u32 s23, s15, s5
	v_cmp_gt_u32_e64 s[4:5], 32, v22
	s_add_i32 s31, s33, 1
	v_addc_co_u32_e32 v26, vcc, v17, v16, vcc
	s_lshl_b64 s[24:25], s[16:17], 8
	v_mov_b32_e32 v27, -1
	s_branch .LBB73_435
.LBB73_433:                             ;   in Loop: Header=BB73_435 Depth=1
	ds_read_b128 v[28:31], v24 offset:256
	s_waitcnt vmcnt(0) lgkmcnt(0)
	v_mul_f64 v[17:18], v[19:20], v[30:31]
	v_mul_f64 v[30:31], v[15:16], v[30:31]
	v_fma_f64 v[15:16], v[15:16], v[28:29], -v[17:18]
	v_fma_f64 v[17:18], v[19:20], v[28:29], v[30:31]
	v_add_f64 v[10:11], v[10:11], v[15:16]
	v_add_f64 v[12:13], v[12:13], v[17:18]
.LBB73_434:                             ;   in Loop: Header=BB73_435 Depth=1
	s_or_b64 exec, exec, s[28:29]
	s_add_i32 s30, s30, 1
	s_cmp_eq_u32 s30, s6
	s_cbranch_scc1 .LBB73_454
.LBB73_435:                             ; =>This Loop Header: Depth=1
                                        ;     Child Loop BB73_437 Depth 2
	v_cmp_gt_i32_e32 vcc, s30, v27
	s_and_b64 s[28:29], s[2:3], vcc
	s_and_saveexec_b64 s[8:9], s[28:29]
	s_cbranch_execz .LBB73_438
; %bb.436:                              ;   in Loop: Header=BB73_435 Depth=1
	global_load_dword v27, v14, s[22:23]
	s_waitcnt vmcnt(0)
	v_cmp_le_i32_e32 vcc, s30, v27
	s_cbranch_vccnz .LBB73_438
.LBB73_437:                             ;   Parent Loop BB73_435 Depth=1
                                        ; =>  This Inner Loop Header: Depth=2
	buffer_wbinvl1_vol
	global_load_dword v27, v14, s[22:23]
	s_waitcnt vmcnt(0)
	v_cmp_gt_i32_e32 vcc, s30, v27
	s_cbranch_vccnz .LBB73_437
.LBB73_438:                             ;   in Loop: Header=BB73_435 Depth=1
	s_or_b64 exec, exec, s[8:9]
	s_sub_i32 s40, s7, s30
	s_lshl_b32 s41, s40, 5
	buffer_wbinvl1_vol
	s_barrier
	s_and_saveexec_b64 s[8:9], s[4:5]
	s_cbranch_execz .LBB73_443
; %bb.439:                              ;   in Loop: Header=BB73_435 Depth=1
	s_ashr_i32 s28, s41, 31
	v_mov_b32_e32 v16, s28
	v_or_b32_e32 v15, s41, v22
	v_cmp_le_i64_e32 vcc, s[36:37], v[15:16]
	s_and_saveexec_b64 s[28:29], vcc
	s_xor_b64 s[28:29], exec, s[28:29]
; %bb.440:                              ;   in Loop: Header=BB73_435 Depth=1
	v_mov_b32_e32 v15, v14
	v_mov_b32_e32 v16, v14
	;; [unrolled: 1-line block ×3, first 2 shown]
	ds_write_b128 v23, v[14:17]
                                        ; implicit-def: $vgpr15_vgpr16
; %bb.441:                              ;   in Loop: Header=BB73_435 Depth=1
	s_andn2_saveexec_b64 s[28:29], s[28:29]
	s_cbranch_execz .LBB73_443
; %bb.442:                              ;   in Loop: Header=BB73_435 Depth=1
	v_mul_lo_u32 v17, v16, s26
	v_mul_lo_u32 v18, v15, s27
	v_mad_u64_u32 v[15:16], s[28:29], v15, s26, 0
	v_add3_u32 v16, v16, v18, v17
	v_lshlrev_b64 v[15:16], 4, v[15:16]
	v_mov_b32_e32 v17, s39
	v_add_co_u32_e32 v15, vcc, s38, v15
	v_addc_co_u32_e32 v16, vcc, v17, v16, vcc
	global_load_dwordx4 v[15:18], v[15:16], off
	s_waitcnt vmcnt(0)
	ds_write2_b64 v23, v[15:16], v[17:18] offset1:1
.LBB73_443:                             ;   in Loop: Header=BB73_435 Depth=1
	s_or_b64 exec, exec, s[8:9]
	v_add_u32_e32 v28, s41, v1
	v_ashrrev_i32_e32 v17, 31, v28
	v_mul_lo_u32 v18, s17, v28
	v_mad_u64_u32 v[15:16], s[8:9], s16, v28, 0
	v_mul_lo_u32 v17, s16, v17
	s_cmp_lg_u32 s40, s31
	s_cselect_b64 s[8:9], -1, 0
	s_waitcnt lgkmcnt(0)
	v_add3_u32 v16, v16, v17, v18
	v_lshlrev_b64 v[15:16], 4, v[15:16]
	v_cndmask_b32_e64 v17, 0, 1, s[8:9]
	v_add_co_u32_e32 v15, vcc, v25, v15
	v_addc_co_u32_e32 v16, vcc, v26, v16, vcc
	v_cmp_gt_i32_e32 vcc, s36, v28
	s_and_b64 s[40:41], s[10:11], vcc
	v_cmp_ne_u32_e64 s[8:9], 1, v17
	s_barrier
	s_and_saveexec_b64 s[28:29], s[40:41]
	s_cbranch_execz .LBB73_449
; %bb.444:                              ;   in Loop: Header=BB73_435 Depth=1
	v_mov_b32_e32 v18, v3
	s_and_b64 vcc, exec, s[8:9]
	v_mov_b32_e32 v17, v2
	s_cbranch_vccnz .LBB73_446
; %bb.445:                              ;   in Loop: Header=BB73_435 Depth=1
	global_load_dwordx2 v[17:18], v[15:16], off
.LBB73_446:                             ;   in Loop: Header=BB73_435 Depth=1
	v_mov_b32_e32 v20, v5
	s_and_b64 vcc, exec, s[8:9]
	v_mov_b32_e32 v19, v4
	s_cbranch_vccnz .LBB73_448
; %bb.447:                              ;   in Loop: Header=BB73_435 Depth=1
	global_load_dwordx2 v[19:20], v[15:16], off offset:8
.LBB73_448:                             ;   in Loop: Header=BB73_435 Depth=1
	ds_read_b128 v[29:32], v24
	s_waitcnt vmcnt(0) lgkmcnt(0)
	v_mul_f64 v[33:34], v[19:20], v[31:32]
	v_mul_f64 v[31:32], v[17:18], v[31:32]
	v_fma_f64 v[17:18], v[17:18], v[29:30], -v[33:34]
	v_fma_f64 v[19:20], v[19:20], v[29:30], v[31:32]
	v_add_f64 v[10:11], v[10:11], v[17:18]
	v_add_f64 v[12:13], v[12:13], v[19:20]
.LBB73_449:                             ;   in Loop: Header=BB73_435 Depth=1
	s_or_b64 exec, exec, s[28:29]
	v_add_u32_e32 v17, 16, v28
	v_cmp_gt_i32_e32 vcc, s36, v17
	s_and_b64 s[40:41], s[10:11], vcc
	s_and_saveexec_b64 s[28:29], s[40:41]
	s_cbranch_execz .LBB73_434
; %bb.450:                              ;   in Loop: Header=BB73_435 Depth=1
	v_mov_b32_e32 v18, s25
	v_add_co_u32_e32 v17, vcc, s24, v15
	v_addc_co_u32_e32 v18, vcc, v16, v18, vcc
	v_mov_b32_e32 v16, v7
	s_and_b64 vcc, exec, s[8:9]
	v_mov_b32_e32 v15, v6
	s_cbranch_vccnz .LBB73_452
; %bb.451:                              ;   in Loop: Header=BB73_435 Depth=1
	global_load_dwordx2 v[15:16], v[17:18], off
.LBB73_452:                             ;   in Loop: Header=BB73_435 Depth=1
	v_mov_b32_e32 v20, v9
	s_and_b64 vcc, exec, s[8:9]
	v_mov_b32_e32 v19, v8
	s_cbranch_vccnz .LBB73_433
; %bb.453:                              ;   in Loop: Header=BB73_435 Depth=1
	global_load_dwordx2 v[19:20], v[17:18], off offset:8
	s_branch .LBB73_433
.LBB73_454:
	s_xor_b64 s[2:3], s[18:19], -1
	s_xor_b64 s[4:5], s[20:21], -1
	v_lshlrev_b32_e32 v6, 4, v21
	ds_write_b128 v6, v[10:13] offset:16384
	s_waitcnt lgkmcnt(0)
	s_barrier
	s_and_saveexec_b64 s[6:7], s[0:1]
	s_cbranch_execz .LBB73_456
; %bb.455:
	v_lshlrev_b32_e32 v18, 4, v0
	ds_read_b128 v[2:5], v18 offset:16896
	ds_read_b128 v[14:17], v18 offset:17408
	s_waitcnt lgkmcnt(1)
	v_add_f64 v[2:3], v[10:11], v[2:3]
	v_add_f64 v[4:5], v[12:13], v[4:5]
	s_waitcnt lgkmcnt(0)
	v_add_f64 v[11:12], v[2:3], v[14:15]
	v_add_f64 v[13:14], v[4:5], v[16:17]
	ds_read_b128 v[2:5], v18 offset:17920
	ds_read_b128 v[7:10], v18 offset:18432
	s_waitcnt lgkmcnt(1)
	v_add_f64 v[2:3], v[11:12], v[2:3]
	v_add_f64 v[4:5], v[13:14], v[4:5]
	s_waitcnt lgkmcnt(0)
	v_add_f64 v[11:12], v[2:3], v[7:8]
	v_add_f64 v[13:14], v[4:5], v[9:10]
	ds_read_b128 v[2:5], v18 offset:18944
	ds_read_b128 v[7:10], v18 offset:19456
	s_waitcnt lgkmcnt(1)
	v_add_f64 v[2:3], v[11:12], v[2:3]
	v_add_f64 v[4:5], v[13:14], v[4:5]
	s_waitcnt lgkmcnt(0)
	v_add_f64 v[11:12], v[2:3], v[7:8]
	v_add_f64 v[13:14], v[4:5], v[9:10]
	ds_read_b128 v[2:5], v18 offset:19968
	ds_read_b128 v[7:10], v18 offset:20480
	s_waitcnt lgkmcnt(1)
	v_add_f64 v[2:3], v[11:12], v[2:3]
	v_add_f64 v[4:5], v[13:14], v[4:5]
	s_waitcnt lgkmcnt(0)
	v_add_f64 v[11:12], v[2:3], v[7:8]
	v_add_f64 v[13:14], v[4:5], v[9:10]
	ds_read_b128 v[2:5], v18 offset:20992
	ds_read_b128 v[7:10], v18 offset:21504
	s_waitcnt lgkmcnt(1)
	v_add_f64 v[2:3], v[11:12], v[2:3]
	v_add_f64 v[4:5], v[13:14], v[4:5]
	s_waitcnt lgkmcnt(0)
	v_add_f64 v[11:12], v[2:3], v[7:8]
	v_add_f64 v[13:14], v[4:5], v[9:10]
	ds_read_b128 v[2:5], v18 offset:22016
	ds_read_b128 v[7:10], v18 offset:22528
	s_waitcnt lgkmcnt(1)
	v_add_f64 v[2:3], v[11:12], v[2:3]
	v_add_f64 v[4:5], v[13:14], v[4:5]
	s_waitcnt lgkmcnt(0)
	v_add_f64 v[11:12], v[2:3], v[7:8]
	v_add_f64 v[13:14], v[4:5], v[9:10]
	ds_read_b128 v[2:5], v18 offset:23040
	ds_read_b128 v[7:10], v18 offset:23552
	s_waitcnt lgkmcnt(1)
	v_add_f64 v[2:3], v[11:12], v[2:3]
	v_add_f64 v[4:5], v[13:14], v[4:5]
	s_waitcnt lgkmcnt(0)
	v_add_f64 v[7:8], v[2:3], v[7:8]
	v_add_f64 v[9:10], v[4:5], v[9:10]
	ds_read_b128 v[2:5], v18 offset:24064
	s_waitcnt lgkmcnt(0)
	v_add_f64 v[2:3], v[7:8], v[2:3]
	v_add_f64 v[4:5], v[9:10], v[4:5]
	v_xor_b32_e32 v3, 0x80000000, v3
	v_xor_b32_e32 v5, 0x80000000, v5
	v_cndmask_b32_e64 v10, v2, 0, s[12:13]
	v_cndmask_b32_e64 v11, v3, 0, s[12:13]
	;; [unrolled: 1-line block ×4, first 2 shown]
.LBB73_456:
	s_or_b64 exec, exec, s[6:7]
	s_andn2_b64 vcc, exec, s[4:5]
	s_cbranch_vccnz .LBB73_465
; %bb.457:
	v_mov_b32_e32 v2, 0x6000
	v_lshl_or_b32 v7, v1, 4, v2
	s_and_saveexec_b64 s[4:5], s[0:1]
; %bb.458:
	v_lshl_add_u32 v2, v0, 4, v7
	ds_write_b128 v2, v[10:13]
; %bb.459:
	s_or_b64 exec, exec, s[4:5]
	v_mov_b32_e32 v2, 0
	v_mov_b32_e32 v4, 0
	;; [unrolled: 1-line block ×4, first 2 shown]
	v_cmp_le_u32_e32 vcc, v0, v1
	s_waitcnt lgkmcnt(0)
	s_barrier
	s_and_saveexec_b64 s[4:5], vcc
	s_cbranch_execz .LBB73_461
; %bb.460:
	ds_read_b128 v[2:5], v7
	ds_read_b128 v[14:17], v6
	s_waitcnt lgkmcnt(0)
	v_mul_f64 v[8:9], v[4:5], v[16:17]
	v_mul_f64 v[16:17], v[2:3], v[16:17]
	v_fma_f64 v[2:3], v[2:3], v[14:15], -v[8:9]
	v_fma_f64 v[4:5], v[4:5], v[14:15], v[16:17]
	v_add_f64 v[2:3], v[2:3], 0
	v_add_f64 v[4:5], v[4:5], 0
.LBB73_461:
	s_or_b64 exec, exec, s[4:5]
	v_add_u32_e32 v1, 16, v1
	v_add_u32_e32 v8, 0x4000, v6
	v_cmp_le_u32_e32 vcc, v0, v1
	s_and_saveexec_b64 s[4:5], vcc
	s_cbranch_execz .LBB73_463
; %bb.462:
	ds_read_b128 v[14:17], v7 offset:256
	ds_read_b128 v[18:21], v6 offset:8192
	s_waitcnt lgkmcnt(0)
	v_mul_f64 v[6:7], v[16:17], v[20:21]
	v_mul_f64 v[20:21], v[14:15], v[20:21]
	v_fma_f64 v[6:7], v[14:15], v[18:19], -v[6:7]
	v_fma_f64 v[14:15], v[16:17], v[18:19], v[20:21]
	v_add_f64 v[2:3], v[2:3], v[6:7]
	v_add_f64 v[4:5], v[4:5], v[14:15]
.LBB73_463:
	s_or_b64 exec, exec, s[4:5]
	s_mov_b64 s[6:7], 0
	s_mov_b64 s[4:5], 0
	ds_write_b128 v8, v[2:5]
	s_waitcnt lgkmcnt(0)
	s_barrier
                                        ; implicit-def: $vgpr6_vgpr7
                                        ; implicit-def: $vgpr8_vgpr9
	s_and_saveexec_b64 s[8:9], s[0:1]
	s_cbranch_execz .LBB73_483
; %bb.464:
	v_lshlrev_b32_e32 v18, 4, v0
	ds_read_b128 v[6:9], v18 offset:16896
	ds_read_b128 v[14:17], v18 offset:17408
	s_mov_b64 s[4:5], exec
	s_waitcnt lgkmcnt(1)
	v_add_f64 v[1:2], v[2:3], v[6:7]
	v_add_f64 v[3:4], v[4:5], v[8:9]
	s_waitcnt lgkmcnt(0)
	v_add_f64 v[14:15], v[1:2], v[14:15]
	v_add_f64 v[16:17], v[3:4], v[16:17]
	ds_read_b128 v[1:4], v18 offset:17920
	ds_read_b128 v[5:8], v18 offset:18432
	s_waitcnt lgkmcnt(1)
	v_add_f64 v[1:2], v[14:15], v[1:2]
	v_add_f64 v[3:4], v[16:17], v[3:4]
	s_waitcnt lgkmcnt(0)
	v_add_f64 v[14:15], v[1:2], v[5:6]
	v_add_f64 v[16:17], v[3:4], v[7:8]
	ds_read_b128 v[1:4], v18 offset:18944
	ds_read_b128 v[5:8], v18 offset:19456
	;; [unrolled: 8-line block ×6, first 2 shown]
	s_waitcnt lgkmcnt(1)
	v_add_f64 v[1:2], v[14:15], v[1:2]
	v_add_f64 v[3:4], v[16:17], v[3:4]
	s_waitcnt lgkmcnt(0)
	v_add_f64 v[5:6], v[1:2], v[5:6]
	v_add_f64 v[14:15], v[3:4], v[7:8]
	ds_read_b128 v[1:4], v18 offset:24064
	s_waitcnt lgkmcnt(0)
	v_add_f64 v[8:9], v[5:6], v[1:2]
	v_add_f64 v[6:7], v[14:15], v[3:4]
	s_or_b64 exec, exec, s[8:9]
	s_and_b64 vcc, exec, s[6:7]
	s_cbranch_vccnz .LBB73_466
	s_branch .LBB73_484
.LBB73_465:
	s_mov_b64 s[4:5], 0
                                        ; implicit-def: $vgpr6_vgpr7
                                        ; implicit-def: $vgpr8_vgpr9
	s_cbranch_execz .LBB73_484
.LBB73_466:
	v_mov_b32_e32 v1, 0x3c00
	v_lshl_add_u32 v1, v0, 4, v1
	v_mov_b32_e32 v3, 31
	v_mov_b32_e32 v2, 0
	s_branch .LBB73_468
.LBB73_467:                             ;   in Loop: Header=BB73_468 Depth=1
	s_or_b64 exec, exec, s[6:7]
	v_subrev_co_u32_e32 v3, vcc, 1, v3
	s_andn2_b64 vcc, exec, vcc
	v_add_u32_e32 v1, 0xfffffc00, v1
	s_barrier
	s_cbranch_vccz .LBB73_476
.LBB73_468:                             ; =>This Inner Loop Header: Depth=1
	v_cmp_eq_u32_e32 vcc, v0, v3
	s_and_b64 s[8:9], s[0:1], vcc
	s_and_saveexec_b64 s[6:7], s[8:9]
; %bb.469:                              ;   in Loop: Header=BB73_468 Depth=1
	ds_write_b128 v2, v[10:13] offset:25088
; %bb.470:                              ;   in Loop: Header=BB73_468 Depth=1
	s_or_b64 exec, exec, s[6:7]
	v_cmp_lt_u32_e32 vcc, v0, v3
	s_and_b64 s[8:9], s[0:1], vcc
	s_waitcnt lgkmcnt(0)
	s_barrier
	s_and_saveexec_b64 s[6:7], s[8:9]
	s_cbranch_execz .LBB73_472
; %bb.471:                              ;   in Loop: Header=BB73_468 Depth=1
	ds_read_b128 v[4:7], v2 offset:25088
	ds_read_b128 v[14:17], v1 offset:512
	s_waitcnt lgkmcnt(0)
	v_mul_f64 v[8:9], v[6:7], v[16:17]
	v_mul_f64 v[16:17], v[4:5], v[16:17]
	v_fma_f64 v[4:5], v[4:5], v[14:15], -v[8:9]
	v_fma_f64 v[6:7], v[6:7], v[14:15], v[16:17]
	v_add_f64 v[10:11], v[10:11], v[4:5]
	v_add_f64 v[12:13], v[12:13], v[6:7]
.LBB73_472:                             ;   in Loop: Header=BB73_468 Depth=1
	s_or_b64 exec, exec, s[6:7]
	v_add_u32_e32 v3, -1, v3
	v_cmp_eq_u32_e32 vcc, v0, v3
	s_and_b64 s[8:9], s[0:1], vcc
	s_barrier
	s_and_saveexec_b64 s[6:7], s[8:9]
; %bb.473:                              ;   in Loop: Header=BB73_468 Depth=1
	ds_write_b128 v2, v[10:13] offset:25088
; %bb.474:                              ;   in Loop: Header=BB73_468 Depth=1
	s_or_b64 exec, exec, s[6:7]
	v_cmp_lt_u32_e32 vcc, v0, v3
	s_and_b64 s[8:9], s[0:1], vcc
	s_waitcnt lgkmcnt(0)
	s_barrier
	s_and_saveexec_b64 s[6:7], s[8:9]
	s_cbranch_execz .LBB73_467
; %bb.475:                              ;   in Loop: Header=BB73_468 Depth=1
	ds_read_b128 v[4:7], v2 offset:25088
	ds_read_b128 v[14:17], v1
	s_waitcnt lgkmcnt(0)
	v_mul_f64 v[8:9], v[6:7], v[16:17]
	v_mul_f64 v[16:17], v[4:5], v[16:17]
	v_fma_f64 v[4:5], v[4:5], v[14:15], -v[8:9]
	v_fma_f64 v[6:7], v[6:7], v[14:15], v[16:17]
	v_add_f64 v[10:11], v[10:11], v[4:5]
	v_add_f64 v[12:13], v[12:13], v[6:7]
	s_branch .LBB73_467
.LBB73_476:
	s_mov_b64 s[6:7], -1
	s_and_b64 vcc, exec, s[2:3]
	s_cbranch_vccnz .LBB73_485
; %bb.477:
	s_andn2_b64 vcc, exec, s[6:7]
	s_cbranch_vccz .LBB73_486
.LBB73_478:
	s_and_saveexec_b64 s[0:1], s[4:5]
	s_cbranch_execz .LBB73_480
.LBB73_479:
	s_lshl_b32 s2, s33, 5
	s_ashr_i32 s3, s2, 31
	v_mov_b32_e32 v0, s3
	v_add_co_u32_e32 v1, vcc, s2, v22
	v_addc_co_u32_e32 v0, vcc, 0, v0, vcc
	v_mul_lo_u32 v2, v0, s26
	v_mul_lo_u32 v3, v1, s27
	v_mad_u64_u32 v[0:1], s[2:3], v1, s26, 0
	v_add3_u32 v1, v1, v3, v2
	v_lshlrev_b64 v[0:1], 4, v[0:1]
	v_mov_b32_e32 v2, s39
	v_add_co_u32_e32 v0, vcc, s38, v0
	v_addc_co_u32_e32 v1, vcc, v2, v1, vcc
	global_store_dwordx4 v[0:1], v[10:13], off
.LBB73_480:
	s_or_b64 exec, exec, s[0:1]
	v_cmp_eq_u32_e32 vcc, 0, v22
	s_waitcnt vmcnt(0)
	buffer_wbinvl1_vol
	s_barrier
	s_and_saveexec_b64 s[0:1], vcc
	s_cbranch_execz .LBB73_482
; %bb.481:
	s_lshl_b64 s[2:3], s[34:35], 2
	s_add_u32 s2, s14, s2
	s_addc_u32 s3, s15, s3
	v_mov_b32_e32 v0, 0
	global_load_dword v1, v0, s[2:3]
	s_waitcnt vmcnt(0)
	v_add_u32_e32 v1, 1, v1
	global_store_dword v0, v1, s[2:3]
.LBB73_482:
	s_or_b64 exec, exec, s[0:1]
	s_waitcnt vmcnt(0)
	buffer_wbinvl1_vol
	s_endpgm
.LBB73_483:
	s_or_b64 exec, exec, s[8:9]
	s_and_b64 vcc, exec, s[6:7]
	s_cbranch_vccnz .LBB73_466
.LBB73_484:
	v_mov_b32_e32 v13, v7
	v_mov_b32_e32 v11, v9
	;; [unrolled: 1-line block ×4, first 2 shown]
	s_and_saveexec_b64 s[0:1], s[4:5]
	s_cbranch_execnz .LBB73_479
	s_branch .LBB73_480
.LBB73_485:
	s_andn2_b64 s[2:3], s[4:5], exec
	s_and_b64 s[4:5], s[0:1], exec
	s_or_b64 s[4:5], s[2:3], s[4:5]
	s_cbranch_execnz .LBB73_478
.LBB73_486:
	v_cmp_gt_i32_e32 vcc, s86, v0
	s_and_b64 s[0:1], s[0:1], vcc
	s_andn2_b64 s[2:3], s[4:5], exec
	s_and_b64 s[0:1], s[0:1], exec
	s_or_b64 s[4:5], s[2:3], s[0:1]
	s_and_saveexec_b64 s[0:1], s[4:5]
	s_cbranch_execnz .LBB73_479
	s_branch .LBB73_480
.LBB73_487:
	ds_read_b128 v[24:27], v23 offset:14800
	ds_read_b128 v[28:31], v22 offset:15232
	s_waitcnt lgkmcnt(0)
	v_mul_f64 v[32:33], v[26:27], v[30:31]
	v_mul_f64 v[30:31], v[24:25], v[30:31]
	v_fma_f64 v[24:25], v[24:25], v[28:29], -v[32:33]
	v_fma_f64 v[26:27], v[26:27], v[28:29], v[30:31]
	v_add_f64 v[10:11], v[10:11], v[24:25]
	v_add_f64 v[12:13], v[12:13], v[26:27]
	s_or_b64 exec, exec, s[14:15]
	v_cmp_gt_u32_e64 s[10:11], 8, v17
	s_and_saveexec_b64 s[14:15], s[10:11]
	s_cbranch_execz .LBB73_55
.LBB73_488:
	ds_read_b128 v[23:26], v23 offset:14816
	ds_read_b128 v[27:30], v22 offset:15744
	s_waitcnt lgkmcnt(0)
	v_mul_f64 v[31:32], v[25:26], v[29:30]
	v_mul_f64 v[29:30], v[23:24], v[29:30]
	v_fma_f64 v[22:23], v[23:24], v[27:28], -v[31:32]
	v_fma_f64 v[24:25], v[25:26], v[27:28], v[29:30]
	v_add_f64 v[10:11], v[10:11], v[22:23]
	v_add_f64 v[12:13], v[12:13], v[24:25]
	s_or_b64 exec, exec, s[14:15]
	v_cmp_gt_u32_e64 s[10:11], 4, v17
	s_and_saveexec_b64 s[14:15], s[10:11]
	s_cbranch_execnz .LBB73_56
	s_branch .LBB73_57
.LBB73_489:
	ds_read_b128 v[27:30], v26 offset:12688
	ds_read_b128 v[31:34], v25 offset:13056
	s_waitcnt lgkmcnt(0)
	v_mul_f64 v[35:36], v[29:30], v[33:34]
	v_mul_f64 v[33:34], v[27:28], v[33:34]
	v_fma_f64 v[27:28], v[27:28], v[31:32], -v[35:36]
	v_fma_f64 v[29:30], v[29:30], v[31:32], v[33:34]
	v_add_f64 v[10:11], v[10:11], v[27:28]
	v_add_f64 v[12:13], v[12:13], v[29:30]
	s_or_b64 exec, exec, s[54:55]
	v_cmp_gt_u32_e64 s[10:11], 48, v17
	s_and_saveexec_b64 s[54:55], s[10:11]
	s_cbranch_execz .LBB73_93
.LBB73_490:
	ds_read_b128 v[27:30], v26 offset:12704
	ds_read_b128 v[31:34], v25 offset:13568
	s_waitcnt lgkmcnt(0)
	v_mul_f64 v[35:36], v[29:30], v[33:34]
	v_mul_f64 v[33:34], v[27:28], v[33:34]
	v_fma_f64 v[27:28], v[27:28], v[31:32], -v[35:36]
	v_fma_f64 v[29:30], v[29:30], v[31:32], v[33:34]
	v_add_f64 v[10:11], v[10:11], v[27:28]
	v_add_f64 v[12:13], v[12:13], v[29:30]
	s_or_b64 exec, exec, s[54:55]
	v_cmp_gt_u32_e64 s[10:11], 40, v17
	s_and_saveexec_b64 s[54:55], s[10:11]
	s_cbranch_execz .LBB73_94
.LBB73_491:
	ds_read_b128 v[27:30], v26 offset:12720
	ds_read_b128 v[31:34], v25 offset:14080
	s_waitcnt lgkmcnt(0)
	v_mul_f64 v[35:36], v[29:30], v[33:34]
	v_mul_f64 v[33:34], v[27:28], v[33:34]
	v_fma_f64 v[27:28], v[27:28], v[31:32], -v[35:36]
	v_fma_f64 v[29:30], v[29:30], v[31:32], v[33:34]
	v_add_f64 v[10:11], v[10:11], v[27:28]
	v_add_f64 v[12:13], v[12:13], v[29:30]
	s_or_b64 exec, exec, s[54:55]
	v_cmp_gt_u32_e64 s[10:11], 32, v17
	s_and_saveexec_b64 s[54:55], s[10:11]
	s_cbranch_execz .LBB73_95
.LBB73_492:
	ds_read_b128 v[27:30], v26 offset:12736
	ds_read_b128 v[31:34], v25 offset:14592
	s_waitcnt lgkmcnt(0)
	v_mul_f64 v[35:36], v[29:30], v[33:34]
	v_mul_f64 v[33:34], v[27:28], v[33:34]
	v_fma_f64 v[27:28], v[27:28], v[31:32], -v[35:36]
	v_fma_f64 v[29:30], v[29:30], v[31:32], v[33:34]
	v_add_f64 v[10:11], v[10:11], v[27:28]
	v_add_f64 v[12:13], v[12:13], v[29:30]
	s_or_b64 exec, exec, s[54:55]
	v_cmp_gt_u32_e64 s[10:11], 24, v17
	s_and_saveexec_b64 s[54:55], s[10:11]
	s_cbranch_execz .LBB73_96
.LBB73_493:
	ds_read_b128 v[27:30], v26 offset:12752
	ds_read_b128 v[31:34], v25 offset:15104
	s_waitcnt lgkmcnt(0)
	v_mul_f64 v[35:36], v[29:30], v[33:34]
	v_mul_f64 v[33:34], v[27:28], v[33:34]
	v_fma_f64 v[27:28], v[27:28], v[31:32], -v[35:36]
	v_fma_f64 v[29:30], v[29:30], v[31:32], v[33:34]
	v_add_f64 v[10:11], v[10:11], v[27:28]
	v_add_f64 v[12:13], v[12:13], v[29:30]
	s_or_b64 exec, exec, s[54:55]
	s_and_saveexec_b64 s[10:11], s[2:3]
	s_cbranch_execz .LBB73_97
.LBB73_494:
	ds_read_b128 v[26:29], v26 offset:12768
	ds_read_b128 v[30:33], v25 offset:15616
	s_waitcnt lgkmcnt(0)
	v_mul_f64 v[34:35], v[28:29], v[32:33]
	v_mul_f64 v[32:33], v[26:27], v[32:33]
	v_fma_f64 v[25:26], v[26:27], v[30:31], -v[34:35]
	v_fma_f64 v[27:28], v[28:29], v[30:31], v[32:33]
	v_add_f64 v[10:11], v[10:11], v[25:26]
	v_add_f64 v[12:13], v[12:13], v[27:28]
	s_or_b64 exec, exec, s[10:11]
	v_cmp_gt_u32_e64 s[10:11], 8, v17
	s_and_saveexec_b64 s[54:55], s[10:11]
	s_cbranch_execnz .LBB73_98
	s_branch .LBB73_99
.LBB73_495:
	ds_read_b128 v[27:30], v26 offset:10576
	ds_read_b128 v[31:34], v25 offset:11008
	s_waitcnt lgkmcnt(0)
	v_mul_f64 v[35:36], v[29:30], v[33:34]
	v_mul_f64 v[33:34], v[27:28], v[33:34]
	v_fma_f64 v[27:28], v[27:28], v[31:32], -v[35:36]
	v_fma_f64 v[29:30], v[29:30], v[31:32], v[33:34]
	v_add_f64 v[10:11], v[10:11], v[27:28]
	v_add_f64 v[12:13], v[12:13], v[29:30]
	s_or_b64 exec, exec, s[14:15]
	v_cmp_gt_u32_e64 s[8:9], 8, v17
	s_and_saveexec_b64 s[14:15], s[8:9]
	s_cbranch_execz .LBB73_151
.LBB73_496:
	ds_read_b128 v[26:29], v26 offset:10592
	ds_read_b128 v[30:33], v25 offset:11520
	s_waitcnt lgkmcnt(0)
	v_mul_f64 v[34:35], v[28:29], v[32:33]
	v_mul_f64 v[32:33], v[26:27], v[32:33]
	v_fma_f64 v[25:26], v[26:27], v[30:31], -v[34:35]
	v_fma_f64 v[27:28], v[28:29], v[30:31], v[32:33]
	v_add_f64 v[10:11], v[10:11], v[25:26]
	v_add_f64 v[12:13], v[12:13], v[27:28]
	s_or_b64 exec, exec, s[14:15]
	v_cmp_gt_u32_e64 s[8:9], 4, v17
	s_and_saveexec_b64 s[14:15], s[8:9]
	s_cbranch_execnz .LBB73_152
	s_branch .LBB73_153
.LBB73_497:
	ds_read_b128 v[30:33], v29 offset:8624
	ds_read_b128 v[34:37], v28 offset:13824
	s_waitcnt lgkmcnt(0)
	v_mul_f64 v[38:39], v[32:33], v[36:37]
	v_mul_f64 v[36:37], v[30:31], v[36:37]
	v_fma_f64 v[30:31], v[30:31], v[34:35], -v[38:39]
	v_fma_f64 v[32:33], v[32:33], v[34:35], v[36:37]
	v_add_f64 v[10:11], v[10:11], v[30:31]
	v_add_f64 v[12:13], v[12:13], v[32:33]
	s_or_b64 exec, exec, s[84:85]
	s_and_saveexec_b64 s[14:15], s[12:13]
	s_cbranch_execz .LBB73_209
.LBB73_498:
	ds_read_b128 v[30:33], v29 offset:8640
	ds_read_b128 v[34:37], v28 offset:14336
	s_waitcnt lgkmcnt(0)
	v_mul_f64 v[38:39], v[32:33], v[36:37]
	v_mul_f64 v[36:37], v[30:31], v[36:37]
	v_fma_f64 v[30:31], v[30:31], v[34:35], -v[38:39]
	v_fma_f64 v[32:33], v[32:33], v[34:35], v[36:37]
	v_add_f64 v[10:11], v[10:11], v[30:31]
	v_add_f64 v[12:13], v[12:13], v[32:33]
	s_or_b64 exec, exec, s[14:15]
	v_cmp_gt_u32_e64 s[14:15], 48, v17
	s_and_saveexec_b64 s[84:85], s[14:15]
	s_cbranch_execz .LBB73_210
.LBB73_499:
	ds_read_b128 v[30:33], v29 offset:8656
	ds_read_b128 v[34:37], v28 offset:14848
	s_waitcnt lgkmcnt(0)
	v_mul_f64 v[38:39], v[32:33], v[36:37]
	v_mul_f64 v[36:37], v[30:31], v[36:37]
	v_fma_f64 v[30:31], v[30:31], v[34:35], -v[38:39]
	v_fma_f64 v[32:33], v[32:33], v[34:35], v[36:37]
	v_add_f64 v[10:11], v[10:11], v[30:31]
	v_add_f64 v[12:13], v[12:13], v[32:33]
	s_or_b64 exec, exec, s[84:85]
	v_cmp_gt_u32_e64 s[14:15], 32, v17
	s_and_saveexec_b64 s[84:85], s[14:15]
	s_cbranch_execz .LBB73_211
.LBB73_500:
	ds_read_b128 v[29:32], v29 offset:8672
	ds_read_b128 v[33:36], v28 offset:15360
	s_waitcnt lgkmcnt(0)
	v_mul_f64 v[37:38], v[31:32], v[35:36]
	v_mul_f64 v[35:36], v[29:30], v[35:36]
	v_fma_f64 v[28:29], v[29:30], v[33:34], -v[37:38]
	v_fma_f64 v[30:31], v[31:32], v[33:34], v[35:36]
	v_add_f64 v[10:11], v[10:11], v[28:29]
	v_add_f64 v[12:13], v[12:13], v[30:31]
	s_or_b64 exec, exec, s[84:85]
	v_cmp_gt_u32_e64 s[14:15], 16, v17
	s_and_saveexec_b64 s[84:85], s[14:15]
	s_cbranch_execnz .LBB73_212
	s_branch .LBB73_213
.LBB73_501:
	ds_read_b128 v[27:30], v26 offset:6352
	ds_read_b128 v[31:34], v25 offset:6784
	s_waitcnt lgkmcnt(0)
	v_mul_f64 v[35:36], v[29:30], v[33:34]
	v_mul_f64 v[33:34], v[27:28], v[33:34]
	v_fma_f64 v[27:28], v[27:28], v[31:32], -v[35:36]
	v_fma_f64 v[29:30], v[29:30], v[31:32], v[33:34]
	v_add_f64 v[10:11], v[10:11], v[27:28]
	v_add_f64 v[12:13], v[12:13], v[29:30]
	s_or_b64 exec, exec, s[14:15]
	v_cmp_gt_u32_e64 s[8:9], 8, v17
	s_and_saveexec_b64 s[14:15], s[8:9]
	s_cbranch_execz .LBB73_297
.LBB73_502:
	ds_read_b128 v[26:29], v26 offset:6368
	ds_read_b128 v[30:33], v25 offset:7296
	s_waitcnt lgkmcnt(0)
	v_mul_f64 v[34:35], v[28:29], v[32:33]
	v_mul_f64 v[32:33], v[26:27], v[32:33]
	v_fma_f64 v[25:26], v[26:27], v[30:31], -v[34:35]
	v_fma_f64 v[27:28], v[28:29], v[30:31], v[32:33]
	v_add_f64 v[10:11], v[10:11], v[25:26]
	v_add_f64 v[12:13], v[12:13], v[27:28]
	s_or_b64 exec, exec, s[14:15]
	v_cmp_gt_u32_e64 s[8:9], 4, v17
	s_and_saveexec_b64 s[14:15], s[8:9]
	s_cbranch_execnz .LBB73_298
	s_branch .LBB73_299
.LBB73_503:
	ds_read_b128 v[27:30], v26 offset:4240
	ds_read_b128 v[31:34], v25 offset:4608
	s_waitcnt lgkmcnt(0)
	v_mul_f64 v[35:36], v[29:30], v[33:34]
	v_mul_f64 v[33:34], v[27:28], v[33:34]
	v_fma_f64 v[27:28], v[27:28], v[31:32], -v[35:36]
	v_fma_f64 v[29:30], v[29:30], v[31:32], v[33:34]
	v_add_f64 v[10:11], v[10:11], v[27:28]
	v_add_f64 v[12:13], v[12:13], v[29:30]
	s_or_b64 exec, exec, s[14:15]
	v_cmp_gt_u32_e64 s[8:9], 48, v17
	s_and_saveexec_b64 s[14:15], s[8:9]
	s_cbranch_execz .LBB73_335
.LBB73_504:
	ds_read_b128 v[27:30], v26 offset:4256
	ds_read_b128 v[31:34], v25 offset:5120
	s_waitcnt lgkmcnt(0)
	v_mul_f64 v[35:36], v[29:30], v[33:34]
	v_mul_f64 v[33:34], v[27:28], v[33:34]
	v_fma_f64 v[27:28], v[27:28], v[31:32], -v[35:36]
	v_fma_f64 v[29:30], v[29:30], v[31:32], v[33:34]
	v_add_f64 v[10:11], v[10:11], v[27:28]
	v_add_f64 v[12:13], v[12:13], v[29:30]
	s_or_b64 exec, exec, s[14:15]
	v_cmp_gt_u32_e64 s[8:9], 40, v17
	s_and_saveexec_b64 s[14:15], s[8:9]
	s_cbranch_execz .LBB73_336
.LBB73_505:
	ds_read_b128 v[27:30], v26 offset:4272
	ds_read_b128 v[31:34], v25 offset:5632
	s_waitcnt lgkmcnt(0)
	v_mul_f64 v[35:36], v[29:30], v[33:34]
	v_mul_f64 v[33:34], v[27:28], v[33:34]
	v_fma_f64 v[27:28], v[27:28], v[31:32], -v[35:36]
	v_fma_f64 v[29:30], v[29:30], v[31:32], v[33:34]
	v_add_f64 v[10:11], v[10:11], v[27:28]
	v_add_f64 v[12:13], v[12:13], v[29:30]
	s_or_b64 exec, exec, s[14:15]
	v_cmp_gt_u32_e64 s[8:9], 32, v17
	s_and_saveexec_b64 s[14:15], s[8:9]
	s_cbranch_execz .LBB73_337
.LBB73_506:
	ds_read_b128 v[27:30], v26 offset:4288
	ds_read_b128 v[31:34], v25 offset:6144
	s_waitcnt lgkmcnt(0)
	v_mul_f64 v[35:36], v[29:30], v[33:34]
	v_mul_f64 v[33:34], v[27:28], v[33:34]
	v_fma_f64 v[27:28], v[27:28], v[31:32], -v[35:36]
	v_fma_f64 v[29:30], v[29:30], v[31:32], v[33:34]
	v_add_f64 v[10:11], v[10:11], v[27:28]
	v_add_f64 v[12:13], v[12:13], v[29:30]
	s_or_b64 exec, exec, s[14:15]
	v_cmp_gt_u32_e64 s[8:9], 24, v17
	s_and_saveexec_b64 s[14:15], s[8:9]
	s_cbranch_execz .LBB73_338
.LBB73_507:
	ds_read_b128 v[27:30], v26 offset:4304
	ds_read_b128 v[31:34], v25 offset:6656
	s_waitcnt lgkmcnt(0)
	v_mul_f64 v[35:36], v[29:30], v[33:34]
	v_mul_f64 v[33:34], v[27:28], v[33:34]
	v_fma_f64 v[27:28], v[27:28], v[31:32], -v[35:36]
	v_fma_f64 v[29:30], v[29:30], v[31:32], v[33:34]
	v_add_f64 v[10:11], v[10:11], v[27:28]
	v_add_f64 v[12:13], v[12:13], v[29:30]
	s_or_b64 exec, exec, s[14:15]
	s_and_saveexec_b64 s[8:9], s[2:3]
	s_cbranch_execz .LBB73_339
.LBB73_508:
	ds_read_b128 v[26:29], v26 offset:4320
	ds_read_b128 v[30:33], v25 offset:7168
	s_waitcnt lgkmcnt(0)
	v_mul_f64 v[34:35], v[28:29], v[32:33]
	v_mul_f64 v[32:33], v[26:27], v[32:33]
	v_fma_f64 v[25:26], v[26:27], v[30:31], -v[34:35]
	v_fma_f64 v[27:28], v[28:29], v[30:31], v[32:33]
	v_add_f64 v[10:11], v[10:11], v[25:26]
	v_add_f64 v[12:13], v[12:13], v[27:28]
	s_or_b64 exec, exec, s[8:9]
	v_cmp_gt_u32_e64 s[8:9], 8, v17
	s_and_saveexec_b64 s[14:15], s[8:9]
	s_cbranch_execnz .LBB73_340
	s_branch .LBB73_341
.LBB73_509:
	ds_read_b128 v[24:27], v23 offset:2128
	ds_read_b128 v[28:31], v22 offset:2560
	s_waitcnt lgkmcnt(0)
	v_mul_f64 v[32:33], v[26:27], v[30:31]
	v_mul_f64 v[30:31], v[24:25], v[30:31]
	v_fma_f64 v[24:25], v[24:25], v[28:29], -v[32:33]
	v_fma_f64 v[26:27], v[26:27], v[28:29], v[30:31]
	v_add_f64 v[10:11], v[10:11], v[24:25]
	v_add_f64 v[12:13], v[12:13], v[26:27]
	s_or_b64 exec, exec, s[12:13]
	v_cmp_gt_u32_e64 s[8:9], 8, v17
	s_and_saveexec_b64 s[12:13], s[8:9]
	s_cbranch_execz .LBB73_393
.LBB73_510:
	ds_read_b128 v[23:26], v23 offset:2144
	ds_read_b128 v[27:30], v22 offset:3072
	s_waitcnt lgkmcnt(0)
	v_mul_f64 v[31:32], v[25:26], v[29:30]
	v_mul_f64 v[29:30], v[23:24], v[29:30]
	v_fma_f64 v[22:23], v[23:24], v[27:28], -v[31:32]
	v_fma_f64 v[24:25], v[25:26], v[27:28], v[29:30]
	v_add_f64 v[10:11], v[10:11], v[22:23]
	v_add_f64 v[12:13], v[12:13], v[24:25]
	s_or_b64 exec, exec, s[12:13]
	v_cmp_gt_u32_e64 s[8:9], 4, v17
	s_and_saveexec_b64 s[12:13], s[8:9]
	s_cbranch_execnz .LBB73_394
	s_branch .LBB73_395
	.section	.rodata,"a",@progbits
	.p2align	6, 0x0
	.amdhsa_kernel _ZL19rocblas_trsv_deviceILi32ELi16ELb0ELb0ELb0ELb1E19rocblas_complex_numIdEPKS1_S3_PS1_EviT7_lllT6_T8_lllPii
		.amdhsa_group_segment_fixed_size 25104
		.amdhsa_private_segment_fixed_size 0
		.amdhsa_kernarg_size 352
		.amdhsa_user_sgpr_count 6
		.amdhsa_user_sgpr_private_segment_buffer 1
		.amdhsa_user_sgpr_dispatch_ptr 0
		.amdhsa_user_sgpr_queue_ptr 0
		.amdhsa_user_sgpr_kernarg_segment_ptr 1
		.amdhsa_user_sgpr_dispatch_id 0
		.amdhsa_user_sgpr_flat_scratch_init 0
		.amdhsa_user_sgpr_private_segment_size 0
		.amdhsa_uses_dynamic_stack 0
		.amdhsa_system_sgpr_private_segment_wavefront_offset 0
		.amdhsa_system_sgpr_workgroup_id_x 1
		.amdhsa_system_sgpr_workgroup_id_y 0
		.amdhsa_system_sgpr_workgroup_id_z 1
		.amdhsa_system_sgpr_workgroup_info 0
		.amdhsa_system_vgpr_workitem_id 1
		.amdhsa_next_free_vgpr 49
		.amdhsa_next_free_sgpr 98
		.amdhsa_reserve_vcc 1
		.amdhsa_reserve_flat_scratch 0
		.amdhsa_float_round_mode_32 0
		.amdhsa_float_round_mode_16_64 0
		.amdhsa_float_denorm_mode_32 3
		.amdhsa_float_denorm_mode_16_64 3
		.amdhsa_dx10_clamp 1
		.amdhsa_ieee_mode 1
		.amdhsa_fp16_overflow 0
		.amdhsa_exception_fp_ieee_invalid_op 0
		.amdhsa_exception_fp_denorm_src 0
		.amdhsa_exception_fp_ieee_div_zero 0
		.amdhsa_exception_fp_ieee_overflow 0
		.amdhsa_exception_fp_ieee_underflow 0
		.amdhsa_exception_fp_ieee_inexact 0
		.amdhsa_exception_int_div_zero 0
	.end_amdhsa_kernel
	.section	.text._ZL19rocblas_trsv_deviceILi32ELi16ELb0ELb0ELb0ELb1E19rocblas_complex_numIdEPKS1_S3_PS1_EviT7_lllT6_T8_lllPii,"axG",@progbits,_ZL19rocblas_trsv_deviceILi32ELi16ELb0ELb0ELb0ELb1E19rocblas_complex_numIdEPKS1_S3_PS1_EviT7_lllT6_T8_lllPii,comdat
.Lfunc_end73:
	.size	_ZL19rocblas_trsv_deviceILi32ELi16ELb0ELb0ELb0ELb1E19rocblas_complex_numIdEPKS1_S3_PS1_EviT7_lllT6_T8_lllPii, .Lfunc_end73-_ZL19rocblas_trsv_deviceILi32ELi16ELb0ELb0ELb0ELb1E19rocblas_complex_numIdEPKS1_S3_PS1_EviT7_lllT6_T8_lllPii
                                        ; -- End function
	.set _ZL19rocblas_trsv_deviceILi32ELi16ELb0ELb0ELb0ELb1E19rocblas_complex_numIdEPKS1_S3_PS1_EviT7_lllT6_T8_lllPii.num_vgpr, 40
	.set _ZL19rocblas_trsv_deviceILi32ELi16ELb0ELb0ELb0ELb1E19rocblas_complex_numIdEPKS1_S3_PS1_EviT7_lllT6_T8_lllPii.num_agpr, 0
	.set _ZL19rocblas_trsv_deviceILi32ELi16ELb0ELb0ELb0ELb1E19rocblas_complex_numIdEPKS1_S3_PS1_EviT7_lllT6_T8_lllPii.numbered_sgpr, 96
	.set _ZL19rocblas_trsv_deviceILi32ELi16ELb0ELb0ELb0ELb1E19rocblas_complex_numIdEPKS1_S3_PS1_EviT7_lllT6_T8_lllPii.num_named_barrier, 0
	.set _ZL19rocblas_trsv_deviceILi32ELi16ELb0ELb0ELb0ELb1E19rocblas_complex_numIdEPKS1_S3_PS1_EviT7_lllT6_T8_lllPii.private_seg_size, 0
	.set _ZL19rocblas_trsv_deviceILi32ELi16ELb0ELb0ELb0ELb1E19rocblas_complex_numIdEPKS1_S3_PS1_EviT7_lllT6_T8_lllPii.uses_vcc, 1
	.set _ZL19rocblas_trsv_deviceILi32ELi16ELb0ELb0ELb0ELb1E19rocblas_complex_numIdEPKS1_S3_PS1_EviT7_lllT6_T8_lllPii.uses_flat_scratch, 0
	.set _ZL19rocblas_trsv_deviceILi32ELi16ELb0ELb0ELb0ELb1E19rocblas_complex_numIdEPKS1_S3_PS1_EviT7_lllT6_T8_lllPii.has_dyn_sized_stack, 0
	.set _ZL19rocblas_trsv_deviceILi32ELi16ELb0ELb0ELb0ELb1E19rocblas_complex_numIdEPKS1_S3_PS1_EviT7_lllT6_T8_lllPii.has_recursion, 0
	.set _ZL19rocblas_trsv_deviceILi32ELi16ELb0ELb0ELb0ELb1E19rocblas_complex_numIdEPKS1_S3_PS1_EviT7_lllT6_T8_lllPii.has_indirect_call, 0
	.section	.AMDGPU.csdata,"",@progbits
; Kernel info:
; codeLenInByte = 20800
; TotalNumSgprs: 100
; NumVgprs: 40
; ScratchSize: 0
; MemoryBound: 1
; FloatMode: 240
; IeeeMode: 1
; LDSByteSize: 25104 bytes/workgroup (compile time only)
; SGPRBlocks: 12
; VGPRBlocks: 12
; NumSGPRsForWavesPerEU: 102
; NumVGPRsForWavesPerEU: 49
; Occupancy: 4
; WaveLimiterHint : 0
; COMPUTE_PGM_RSRC2:SCRATCH_EN: 0
; COMPUTE_PGM_RSRC2:USER_SGPR: 6
; COMPUTE_PGM_RSRC2:TRAP_HANDLER: 0
; COMPUTE_PGM_RSRC2:TGID_X_EN: 1
; COMPUTE_PGM_RSRC2:TGID_Y_EN: 0
; COMPUTE_PGM_RSRC2:TGID_Z_EN: 1
; COMPUTE_PGM_RSRC2:TIDIG_COMP_CNT: 1
	.section	.text._ZL19rocblas_trsv_deviceILi32ELi16ELb0ELb1ELb0ELb1E19rocblas_complex_numIdEPKS1_S3_PS1_EviT7_lllT6_T8_lllPii,"axG",@progbits,_ZL19rocblas_trsv_deviceILi32ELi16ELb0ELb1ELb0ELb1E19rocblas_complex_numIdEPKS1_S3_PS1_EviT7_lllT6_T8_lllPii,comdat
	.globl	_ZL19rocblas_trsv_deviceILi32ELi16ELb0ELb1ELb0ELb1E19rocblas_complex_numIdEPKS1_S3_PS1_EviT7_lllT6_T8_lllPii ; -- Begin function _ZL19rocblas_trsv_deviceILi32ELi16ELb0ELb1ELb0ELb1E19rocblas_complex_numIdEPKS1_S3_PS1_EviT7_lllT6_T8_lllPii
	.p2align	8
	.type	_ZL19rocblas_trsv_deviceILi32ELi16ELb0ELb1ELb0ELb1E19rocblas_complex_numIdEPKS1_S3_PS1_EviT7_lllT6_T8_lllPii,@function
_ZL19rocblas_trsv_deviceILi32ELi16ELb0ELb1ELb0ELb1E19rocblas_complex_numIdEPKS1_S3_PS1_EviT7_lllT6_T8_lllPii: ; @_ZL19rocblas_trsv_deviceILi32ELi16ELb0ELb1ELb0ELb1E19rocblas_complex_numIdEPKS1_S3_PS1_EviT7_lllT6_T8_lllPii
; %bb.0:
	s_load_dwordx16 s[16:31], s[4:5], 0x8
	s_load_dword s33, s[4:5], 0x0
	s_mov_b32 s34, s7
	s_mov_b32 s35, 0
	s_waitcnt lgkmcnt(0)
	s_load_dwordx4 s[36:39], s[24:25], 0x0
	s_load_dword s94, s[4:5], 0x6c
	s_mul_i32 s0, s23, s7
	s_mul_hi_u32 s1, s22, s7
	s_add_i32 s1, s1, s0
	s_mul_i32 s0, s22, s7
	s_lshl_b64 s[0:1], s[0:1], 4
	s_add_u32 s2, s16, s0
	s_addc_u32 s3, s17, s1
	s_lshl_b64 s[0:1], s[18:19], 4
	s_add_u32 s92, s2, s0
	s_addc_u32 s93, s3, s1
	s_cmp_eq_u32 s6, 0
	s_cbranch_scc1 .LBB74_6
; %bb.1:
	s_lshl_b32 s2, s6, 5
	v_add_u32_e32 v6, s2, v0
	v_ashrrev_i32_e32 v2, 31, v6
	v_mul_lo_u32 v7, s20, v2
	v_mul_lo_u32 v8, s21, v6
	v_mad_u64_u32 v[4:5], s[0:1], s20, v6, 0
	v_add_u32_e32 v2, s2, v1
	v_subrev_u32_e32 v2, 32, v2
	v_add3_u32 v5, v5, v7, v8
	v_lshlrev_b64 v[4:5], 4, v[4:5]
	v_ashrrev_i32_e32 v3, 31, v2
	v_cmp_gt_i32_e32 vcc, s33, v6
	v_mov_b32_e32 v6, s93
	v_add_co_u32_e64 v7, s[0:1], s92, v4
	v_lshlrev_b64 v[3:4], 4, v[2:3]
	v_addc_co_u32_e64 v5, s[0:1], v6, v5, s[0:1]
	v_add_co_u32_e64 v10, s[0:1], v7, v3
	v_addc_co_u32_e64 v11, s[0:1], v5, v4, s[0:1]
	v_cmp_gt_i32_e64 s[0:1], s33, v2
	v_mov_b32_e32 v4, 0
	v_mov_b32_e32 v6, 0
	;; [unrolled: 1-line block ×6, first 2 shown]
	s_and_b64 s[2:3], s[0:1], vcc
	s_waitcnt lgkmcnt(0)
	s_barrier
	s_and_saveexec_b64 s[0:1], s[2:3]
	s_cbranch_execz .LBB74_3
; %bb.2:
	global_load_dwordx4 v[6:9], v[10:11], off
.LBB74_3:
	s_or_b64 exec, exec, s[0:1]
	v_add_u32_e32 v2, 16, v2
	v_cmp_gt_i32_e64 s[0:1], s33, v2
	v_mov_b32_e32 v2, 0
	v_mov_b32_e32 v3, 0
	s_and_b64 s[2:3], s[0:1], vcc
	s_waitcnt vmcnt(0)
	s_barrier
	s_and_saveexec_b64 s[0:1], s[2:3]
	s_cbranch_execz .LBB74_5
; %bb.4:
	global_load_dwordx4 v[2:5], v[10:11], off offset:256
.LBB74_5:
	s_or_b64 exec, exec, s[0:1]
	s_branch .LBB74_7
.LBB74_6:
                                        ; implicit-def: $vgpr4_vgpr5
                                        ; implicit-def: $vgpr8_vgpr9
.LBB74_7:
	s_ashr_i32 s0, s33, 31
	s_lshr_b32 s0, s0, 27
	s_add_i32 s0, s33, s0
	s_andn2_b32 s0, s0, 31
	s_sub_i32 s7, s33, s0
	s_add_i32 s0, s33, -1
	s_ashr_i32 s1, s0, 31
	s_lshr_b32 s1, s1, 27
	s_add_i32 s0, s0, s1
	s_ashr_i32 s0, s0, 5
	s_cmp_eq_u32 s0, s6
	s_cselect_b64 s[0:1], -1, 0
	s_cmp_lg_u32 s7, 0
	s_cselect_b64 s[2:3], -1, 0
	s_and_b64 s[22:23], s[2:3], s[0:1]
	s_cmp_lt_i32 s6, 5
	s_cselect_b64 s[2:3], -1, 0
	v_lshlrev_b32_e32 v10, 5, v0
	s_mov_b64 s[12:13], -1
	s_or_b64 s[0:1], s[2:3], s[22:23]
	s_and_b64 vcc, exec, s[22:23]
	v_add_u32_e32 v11, v1, v10
	v_cmp_le_u32_e64 s[8:9], v1, v0
	v_lshlrev_b32_e32 v22, 4, v0
	v_lshl_add_u32 v23, v1, 5, v0
	s_cbranch_vccnz .LBB74_21
; %bb.8:
	s_add_u32 s10, s20, 1
	s_addc_u32 s11, s21, 0
	s_lshl_b32 s12, s6, 5
	s_ashr_i32 s13, s12, 31
	s_mul_hi_u32 s14, s10, s12
	s_mul_i32 s13, s10, s13
	s_add_i32 s13, s14, s13
	s_mul_i32 s11, s11, s12
	s_add_i32 s11, s13, s11
	s_mul_i32 s10, s10, s12
	s_lshl_b64 s[10:11], s[10:11], 4
	s_add_u32 s10, s92, s10
	s_addc_u32 s11, s93, s11
	v_lshlrev_b32_e32 v12, 4, v0
	v_mov_b32_e32 v13, s11
	v_add_co_u32_e32 v12, vcc, s10, v12
	v_addc_co_u32_e32 v13, vcc, 0, v13, vcc
	v_cndmask_b32_e64 v14, v23, v11, s[2:3]
	s_and_saveexec_b64 s[2:3], s[8:9]
	s_xor_b64 s[2:3], exec, s[2:3]
	s_cbranch_execz .LBB74_12
; %bb.9:
	v_or_b32_e32 v15, v1, v0
	v_cmp_gt_u32_e32 vcc, 32, v15
	s_and_saveexec_b64 s[8:9], vcc
	s_cbranch_execz .LBB74_11
; %bb.10:
	v_lshlrev_b32_e32 v18, 4, v14
	v_mov_b32_e32 v14, 0
	v_mov_b32_e32 v15, v14
	;; [unrolled: 1-line block ×4, first 2 shown]
	ds_write_b128 v18, v[14:17]
.LBB74_11:
	s_or_b64 exec, exec, s[8:9]
                                        ; implicit-def: $vgpr14
.LBB74_12:
	s_andn2_saveexec_b64 s[2:3], s[2:3]
	s_cbranch_execz .LBB74_14
; %bb.13:
	v_mad_u64_u32 v[15:16], s[8:9], s20, v1, 0
	v_lshlrev_b32_e32 v14, 4, v14
	v_mad_u64_u32 v[16:17], s[8:9], s21, v1, v[16:17]
	v_lshlrev_b64 v[15:16], 4, v[15:16]
	v_add_co_u32_e32 v15, vcc, v12, v15
	v_addc_co_u32_e32 v16, vcc, v13, v16, vcc
	global_load_dwordx4 v[15:18], v[15:16], off
	s_waitcnt vmcnt(0)
	v_xor_b32_e32 v16, 0x80000000, v16
	v_xor_b32_e32 v18, 0x80000000, v18
	ds_write_b128 v14, v[15:18]
.LBB74_14:
	s_or_b64 exec, exec, s[2:3]
	v_add_u32_e32 v15, 16, v1
	v_add_u32_e32 v14, v15, v10
	v_lshl_add_u32 v16, v15, 5, v0
	v_cndmask_b32_e64 v14, v16, v14, s[0:1]
	v_cmp_le_u32_e32 vcc, v15, v0
	s_and_saveexec_b64 s[2:3], vcc
	s_xor_b64 s[2:3], exec, s[2:3]
	s_cbranch_execz .LBB74_18
; %bb.15:
	v_or_b32_e32 v12, v15, v0
	v_cmp_gt_u32_e32 vcc, 32, v12
	s_and_saveexec_b64 s[8:9], vcc
	s_cbranch_execz .LBB74_17
; %bb.16:
	v_mov_b32_e32 v12, 0
	v_lshlrev_b32_e32 v16, 4, v14
	v_mov_b32_e32 v13, v12
	v_mov_b32_e32 v14, v12
	v_mov_b32_e32 v15, v12
	ds_write_b128 v16, v[12:15]
.LBB74_17:
	s_or_b64 exec, exec, s[8:9]
                                        ; implicit-def: $vgpr15
                                        ; implicit-def: $vgpr12
                                        ; implicit-def: $vgpr13
                                        ; implicit-def: $vgpr14
.LBB74_18:
	s_andn2_saveexec_b64 s[2:3], s[2:3]
	s_cbranch_execz .LBB74_20
; %bb.19:
	v_mad_u64_u32 v[16:17], s[8:9], s20, v15, 0
	v_mad_u64_u32 v[17:18], s[8:9], s21, v15, v[17:18]
	v_lshlrev_b64 v[15:16], 4, v[16:17]
	v_add_co_u32_e32 v12, vcc, v12, v15
	v_addc_co_u32_e32 v13, vcc, v13, v16, vcc
	global_load_dwordx4 v[15:18], v[12:13], off
	v_lshlrev_b32_e32 v12, 4, v14
	s_waitcnt vmcnt(0)
	v_xor_b32_e32 v16, 0x80000000, v16
	v_xor_b32_e32 v18, 0x80000000, v18
	ds_write_b128 v12, v[15:18]
.LBB74_20:
	s_or_b64 exec, exec, s[2:3]
	s_mov_b64 s[12:13], 0
.LBB74_21:
	s_xor_b64 s[10:11], s[0:1], -1
	s_and_b64 vcc, exec, s[12:13]
	s_cbranch_vccz .LBB74_35
; %bb.22:
	s_add_u32 s2, s20, 1
	s_addc_u32 s3, s21, 0
	s_lshl_b32 s8, s6, 5
	s_ashr_i32 s9, s8, 31
	s_mul_hi_u32 s12, s2, s8
	s_mul_i32 s9, s2, s9
	s_add_i32 s9, s12, s9
	s_mul_i32 s3, s3, s8
	s_add_i32 s3, s9, s3
	s_mul_i32 s2, s2, s8
	s_lshl_b64 s[2:3], s[2:3], 4
	s_add_u32 s2, s92, s2
	s_addc_u32 s3, s93, s3
	v_lshlrev_b32_e32 v12, 4, v0
	v_mov_b32_e32 v13, s3
	v_add_co_u32_e64 v12, s[2:3], s2, v12
	v_addc_co_u32_e64 v13, s[2:3], 0, v13, s[2:3]
	v_max_i32_e32 v14, v1, v0
	v_cmp_le_u32_e64 s[2:3], v1, v0
	v_cmp_le_i32_e64 s[8:9], s7, v14
	v_cmp_gt_i32_e32 vcc, s7, v0
	s_or_b64 s[2:3], s[8:9], s[2:3]
	s_and_saveexec_b64 s[8:9], s[2:3]
	s_xor_b64 s[8:9], exec, s[8:9]
	s_cbranch_execz .LBB74_26
; %bb.23:
	v_or_b32_e32 v14, v1, v0
	v_cmp_gt_u32_e64 s[2:3], 32, v14
	s_and_saveexec_b64 s[12:13], s[2:3]
	s_cbranch_execz .LBB74_25
; %bb.24:
	v_mov_b32_e32 v14, 0
	v_lshlrev_b32_e32 v11, 4, v11
	v_mov_b32_e32 v15, v14
	v_mov_b32_e32 v16, v14
	;; [unrolled: 1-line block ×3, first 2 shown]
	ds_write_b128 v11, v[14:17]
.LBB74_25:
	s_or_b64 exec, exec, s[12:13]
                                        ; implicit-def: $vgpr11
.LBB74_26:
	s_andn2_saveexec_b64 s[8:9], s[8:9]
	s_cbranch_execz .LBB74_28
; %bb.27:
	v_mad_u64_u32 v[14:15], s[2:3], s20, v1, 0
	v_lshlrev_b32_e32 v11, 4, v11
	v_mad_u64_u32 v[15:16], s[2:3], s21, v1, v[15:16]
	v_lshlrev_b64 v[14:15], 4, v[14:15]
	v_add_co_u32_e64 v14, s[2:3], v12, v14
	v_addc_co_u32_e64 v15, s[2:3], v13, v15, s[2:3]
	global_load_dwordx4 v[14:17], v[14:15], off
	s_waitcnt vmcnt(0)
	v_xor_b32_e32 v15, 0x80000000, v15
	v_xor_b32_e32 v17, 0x80000000, v17
	ds_write_b128 v11, v[14:17]
.LBB74_28:
	s_or_b64 exec, exec, s[8:9]
	v_add_u32_e32 v11, 16, v1
	v_add_u32_e32 v10, v11, v10
	v_lshl_add_u32 v14, v11, 5, v0
	v_cndmask_b32_e64 v10, v14, v10, s[0:1]
	v_cmp_gt_u32_e64 s[0:1], v11, v0
	v_cmp_gt_i32_e64 s[2:3], s7, v11
	s_and_b64 s[0:1], s[0:1], s[2:3]
	s_and_b64 s[0:1], s[0:1], vcc
	s_xor_b64 s[0:1], s[0:1], -1
	s_and_saveexec_b64 s[2:3], s[0:1]
	s_xor_b64 s[0:1], exec, s[2:3]
	s_cbranch_execz .LBB74_32
; %bb.29:
	v_or_b32_e32 v11, v11, v0
	v_cmp_gt_u32_e32 vcc, 32, v11
	s_and_saveexec_b64 s[2:3], vcc
	s_cbranch_execz .LBB74_31
; %bb.30:
	v_lshlrev_b32_e32 v14, 4, v10
	v_mov_b32_e32 v10, 0
	v_mov_b32_e32 v11, v10
	;; [unrolled: 1-line block ×4, first 2 shown]
	ds_write_b128 v14, v[10:13]
.LBB74_31:
	s_or_b64 exec, exec, s[2:3]
                                        ; implicit-def: $vgpr11
                                        ; implicit-def: $vgpr12
                                        ; implicit-def: $vgpr13
                                        ; implicit-def: $vgpr10
.LBB74_32:
	s_andn2_saveexec_b64 s[0:1], s[0:1]
	s_cbranch_execz .LBB74_34
; %bb.33:
	v_mad_u64_u32 v[14:15], s[2:3], s20, v11, 0
	v_lshlrev_b32_e32 v10, 4, v10
	v_mad_u64_u32 v[15:16], s[2:3], s21, v11, v[15:16]
	v_lshlrev_b64 v[14:15], 4, v[14:15]
	v_add_co_u32_e32 v11, vcc, v12, v14
	v_addc_co_u32_e32 v12, vcc, v13, v15, vcc
	global_load_dwordx4 v[11:14], v[11:12], off
	s_waitcnt vmcnt(0)
	v_xor_b32_e32 v12, 0x80000000, v12
	v_xor_b32_e32 v14, 0x80000000, v14
	ds_write_b128 v10, v[11:14]
.LBB74_34:
	s_or_b64 exec, exec, s[0:1]
.LBB74_35:
	v_cndmask_b32_e64 v10, 0, 1, s[10:11]
	v_cmp_ne_u32_e64 s[0:1], 1, v10
	s_andn2_b64 vcc, exec, s[10:11]
	s_waitcnt vmcnt(0) lgkmcnt(0)
	s_barrier
	s_cbranch_vccnz .LBB74_459
; %bb.36:
	v_or_b32_e32 v10, v0, v1
	s_mov_b32 s8, 0
	v_cmp_eq_u32_e32 vcc, 0, v10
	s_and_saveexec_b64 s[2:3], vcc
	s_cbranch_execz .LBB74_38
; %bb.37:
	v_mov_b32_e32 v18, 0
	ds_read_b128 v[10:13], v18 offset:16352
	s_mov_b32 s11, s8
	s_mov_b32 s9, 0x3ff00000
	;; [unrolled: 1-line block ×3, first 2 shown]
	v_mov_b32_e32 v17, s11
	v_mov_b32_e32 v16, s10
	;; [unrolled: 1-line block ×4, first 2 shown]
	ds_write_b128 v18, v[14:17] offset:15840
	ds_write_b128 v18, v[14:17] offset:16368
	s_waitcnt lgkmcnt(2)
	ds_write_b128 v18, v[10:13] offset:15856
.LBB74_38:
	s_or_b64 exec, exec, s[2:3]
	v_lshlrev_b32_e32 v10, 5, v1
	v_add_u32_e32 v17, v10, v0
	v_add_u16_e32 v10, v10, v0
	v_lshrrev_b16_e32 v16, 1, v10
	v_mov_b32_e32 v10, 0
	v_mov_b32_e32 v12, 0
	v_and_b32_e32 v14, 1, v0
	v_sub_u32_e32 v15, 1, v16
	v_cmp_lt_u32_e64 s[8:9], 3, v17
	v_mov_b32_e32 v11, 0
	v_mov_b32_e32 v13, 0
	v_cmp_gt_u32_e64 s[2:3], 4, v17
	s_waitcnt lgkmcnt(0)
	s_barrier
	buffer_wbinvl1_vol
	s_and_saveexec_b64 s[12:13], s[2:3]
	s_cbranch_execz .LBB74_42
; %bb.39:
	v_lshlrev_b32_e32 v18, 4, v14
	v_lshlrev_b32_e32 v10, 9, v15
	ds_read_b128 v[10:13], v10 offset:15840
	ds_read_b128 v[18:21], v18 offset:15808
	v_cmp_gt_u32_e64 s[10:11], 2, v17
	s_waitcnt lgkmcnt(0)
	v_mul_f64 v[24:25], v[12:13], v[20:21]
	v_mul_f64 v[20:21], v[10:11], v[20:21]
	v_fma_f64 v[10:11], v[10:11], v[18:19], -v[24:25]
	v_fma_f64 v[12:13], v[12:13], v[18:19], v[20:21]
	v_add_f64 v[10:11], v[10:11], 0
	v_add_f64 v[12:13], v[12:13], 0
	s_and_saveexec_b64 s[14:15], s[10:11]
	s_cbranch_execz .LBB74_41
; %bb.40:
	v_lshlrev_b32_e32 v24, 4, v0
	v_mov_b32_e32 v18, 0
	ds_read_b128 v[18:21], v18 offset:16368
	ds_read_b128 v[24:27], v24 offset:16320
	s_waitcnt lgkmcnt(0)
	v_mul_f64 v[28:29], v[20:21], v[26:27]
	v_mul_f64 v[26:27], v[18:19], v[26:27]
	v_fma_f64 v[18:19], v[18:19], v[24:25], -v[28:29]
	v_fma_f64 v[20:21], v[20:21], v[24:25], v[26:27]
	v_add_f64 v[10:11], v[10:11], v[18:19]
	v_add_f64 v[12:13], v[12:13], v[20:21]
.LBB74_41:
	s_or_b64 exec, exec, s[14:15]
.LBB74_42:
	s_or_b64 exec, exec, s[12:13]
	v_mov_b32_e32 v18, 0x4000
	v_cmp_ne_u32_e64 s[10:11], 0, v14
	s_xor_b64 s[12:13], s[8:9], -1
	v_lshl_add_u32 v16, v16, 4, v18
	s_and_b64 s[40:41], s[10:11], s[12:13]
	s_and_saveexec_b64 s[8:9], s[40:41]
; %bb.43:
	v_xor_b32_e32 v19, 0x80000000, v11
	v_xor_b32_e32 v21, 0x80000000, v13
	v_mov_b32_e32 v18, v10
	v_mov_b32_e32 v20, v12
	ds_write_b128 v16, v[18:21]
; %bb.44:
	s_or_b64 exec, exec, s[8:9]
	v_cmp_eq_u32_e64 s[8:9], 0, v14
	s_and_b64 s[24:25], s[8:9], s[12:13]
	s_waitcnt lgkmcnt(0)
	s_barrier
	s_and_saveexec_b64 s[8:9], s[24:25]
	s_cbranch_execz .LBB74_46
; %bb.45:
	v_mov_b32_e32 v24, 0
	ds_read_b128 v[18:21], v16
	ds_read_b128 v[24:27], v24 offset:15296
	s_waitcnt lgkmcnt(0)
	v_mul_f64 v[28:29], v[18:19], v[24:25]
	v_mul_f64 v[18:19], v[18:19], v[26:27]
	v_fma_f64 v[26:27], v[20:21], v[26:27], -v[28:29]
	v_fma_f64 v[18:19], v[20:21], v[24:25], v[18:19]
	v_add_f64 v[10:11], v[10:11], v[26:27]
	v_add_f64 v[12:13], v[12:13], -v[18:19]
.LBB74_46:
	s_or_b64 exec, exec, s[8:9]
	s_barrier
	s_and_saveexec_b64 s[8:9], s[24:25]
; %bb.47:
	v_xor_b32_e32 v19, 0x80000000, v11
	v_xor_b32_e32 v21, 0x80000000, v13
	v_mov_b32_e32 v18, v10
	v_mov_b32_e32 v20, v12
	ds_write_b128 v16, v[18:21]
; %bb.48:
	s_or_b64 exec, exec, s[8:9]
	s_waitcnt lgkmcnt(0)
	s_barrier
	s_barrier
	s_and_saveexec_b64 s[8:9], s[2:3]
; %bb.49:
	v_lshlrev_b32_e32 v18, 4, v14
	v_lshl_or_b32 v18, v15, 9, v18
	ds_write_b128 v18, v[10:13] offset:15808
; %bb.50:
	s_or_b64 exec, exec, s[8:9]
	v_cmp_eq_u32_e64 s[10:11], 0, v1
	v_cmp_gt_u32_e64 s[8:9], 2, v0
	s_and_b64 s[42:43], s[10:11], s[8:9]
	s_waitcnt lgkmcnt(0)
	s_barrier
	s_barrier
	s_and_saveexec_b64 s[8:9], s[42:43]
	s_cbranch_execz .LBB74_52
; %bb.51:
	v_lshlrev_b32_e32 v18, 9, v0
	ds_read_b128 v[10:13], v18 offset:15808
	s_movk_i32 s12, 0xfe10
	v_mad_i32_i24 v19, v0, s12, v18
	s_waitcnt lgkmcnt(0)
	ds_write_b128 v19, v[10:13] offset:14816
	ds_read_b128 v[10:13], v18 offset:15824
	s_waitcnt lgkmcnt(0)
	ds_write_b128 v19, v[10:13] offset:15328
.LBB74_52:
	s_or_b64 exec, exec, s[8:9]
	s_waitcnt lgkmcnt(0)
	s_barrier
	s_and_saveexec_b64 s[8:9], vcc
	s_cbranch_execz .LBB74_54
; %bb.53:
	s_mov_b32 s12, 0
	v_mov_b32_e32 v24, 0
	ds_read_b128 v[10:13], v24 offset:15296
	s_mov_b32 s15, s12
	s_mov_b32 s13, 0x3ff00000
	;; [unrolled: 1-line block ×3, first 2 shown]
	v_mov_b32_e32 v21, s15
	v_mov_b32_e32 v20, s14
	;; [unrolled: 1-line block ×4, first 2 shown]
	ds_write_b128 v24, v[18:21] offset:14784
	ds_write_b128 v24, v[18:21] offset:15312
	s_waitcnt lgkmcnt(2)
	ds_write_b128 v24, v[10:13] offset:14800
.LBB74_54:
	s_or_b64 exec, exec, s[8:9]
	v_lshrrev_b32_e32 v20, 2, v17
	v_mov_b32_e32 v12, 0
	v_mov_b32_e32 v10, 0
	v_and_b32_e32 v18, 3, v0
	v_sub_u32_e32 v19, 3, v20
	v_cmp_lt_u32_e64 s[8:9], 15, v17
	v_mov_b32_e32 v13, 0
	v_mov_b32_e32 v11, 0
	v_cmp_gt_u32_e64 s[16:17], 16, v17
	s_waitcnt lgkmcnt(0)
	s_barrier
	buffer_wbinvl1_vol
	s_and_saveexec_b64 s[14:15], s[16:17]
	s_cbranch_execz .LBB74_60
; %bb.55:
	v_lshlrev_b32_e32 v24, 9, v19
	v_lshlrev_b32_e32 v21, 4, v18
	ds_read_b128 v[10:13], v24 offset:14784
	ds_read_b128 v[25:28], v21 offset:14720
	v_cmp_gt_u32_e64 s[12:13], 12, v17
	s_waitcnt lgkmcnt(0)
	v_mul_f64 v[29:30], v[12:13], v[27:28]
	v_mul_f64 v[27:28], v[10:11], v[27:28]
	v_fma_f64 v[10:11], v[10:11], v[25:26], -v[29:30]
	v_fma_f64 v[12:13], v[12:13], v[25:26], v[27:28]
	v_add_f64 v[10:11], v[10:11], 0
	v_add_f64 v[12:13], v[12:13], 0
	s_and_saveexec_b64 s[18:19], s[12:13]
	s_cbranch_execnz .LBB74_519
; %bb.56:
	s_or_b64 exec, exec, s[18:19]
	v_cmp_gt_u32_e64 s[12:13], 8, v17
	s_and_saveexec_b64 s[18:19], s[12:13]
	s_cbranch_execnz .LBB74_520
.LBB74_57:
	s_or_b64 exec, exec, s[18:19]
	v_cmp_gt_u32_e64 s[12:13], 4, v17
	s_and_saveexec_b64 s[18:19], s[12:13]
	s_cbranch_execz .LBB74_59
.LBB74_58:
	v_mov_b32_e32 v24, 0
	v_lshlrev_b32_e32 v21, 4, v0
	ds_read_b128 v[24:27], v24 offset:16368
	ds_read_b128 v[28:31], v21 offset:16256
	s_waitcnt lgkmcnt(0)
	v_mul_f64 v[32:33], v[26:27], v[30:31]
	v_mul_f64 v[30:31], v[24:25], v[30:31]
	v_fma_f64 v[24:25], v[24:25], v[28:29], -v[32:33]
	v_fma_f64 v[26:27], v[26:27], v[28:29], v[30:31]
	v_add_f64 v[10:11], v[10:11], v[24:25]
	v_add_f64 v[12:13], v[12:13], v[26:27]
.LBB74_59:
	s_or_b64 exec, exec, s[18:19]
.LBB74_60:
	s_or_b64 exec, exec, s[14:15]
	v_mov_b32_e32 v21, 0x4000
	v_cmp_eq_u32_e64 s[12:13], 3, v18
	s_xor_b64 s[14:15], s[8:9], -1
	v_lshl_add_u32 v20, v20, 4, v21
	s_and_b64 s[46:47], s[12:13], s[14:15]
	s_and_saveexec_b64 s[8:9], s[46:47]
; %bb.61:
	v_xor_b32_e32 v27, 0x80000000, v13
	v_xor_b32_e32 v25, 0x80000000, v11
	v_mov_b32_e32 v24, v10
	v_mov_b32_e32 v26, v12
	ds_write_b128 v20, v[24:27]
; %bb.62:
	s_or_b64 exec, exec, s[8:9]
	v_cmp_ne_u32_e64 s[8:9], 3, v18
	s_and_b64 s[48:49], s[8:9], s[14:15]
	s_waitcnt lgkmcnt(0)
	s_barrier
	s_and_saveexec_b64 s[8:9], s[48:49]
	s_cbranch_execz .LBB74_64
; %bb.63:
	v_lshlrev_b32_e32 v21, 4, v18
	ds_read_b128 v[24:27], v20
	ds_read_b128 v[28:31], v21 offset:14208
	s_waitcnt lgkmcnt(0)
	v_mul_f64 v[32:33], v[26:27], v[30:31]
	v_mul_f64 v[30:31], v[24:25], v[30:31]
	v_fma_f64 v[24:25], v[24:25], v[28:29], -v[32:33]
	v_fma_f64 v[26:27], v[26:27], v[28:29], v[30:31]
	v_add_f64 v[10:11], v[10:11], -v[24:25]
	v_add_f64 v[12:13], v[12:13], -v[26:27]
.LBB74_64:
	s_or_b64 exec, exec, s[8:9]
	v_cmp_eq_u32_e64 s[8:9], 2, v18
	s_and_b64 s[50:51], s[8:9], s[14:15]
	s_barrier
	s_and_saveexec_b64 s[8:9], s[50:51]
; %bb.65:
	v_xor_b32_e32 v27, 0x80000000, v13
	v_xor_b32_e32 v25, 0x80000000, v11
	v_mov_b32_e32 v24, v10
	v_mov_b32_e32 v26, v12
	ds_write_b128 v20, v[24:27]
; %bb.66:
	s_or_b64 exec, exec, s[8:9]
	v_cmp_gt_u32_e64 s[8:9], 2, v18
	s_and_b64 s[52:53], s[8:9], s[14:15]
	s_waitcnt lgkmcnt(0)
	s_barrier
	s_and_saveexec_b64 s[8:9], s[52:53]
	s_cbranch_execz .LBB74_68
; %bb.67:
	v_lshlrev_b32_e32 v21, 4, v18
	ds_read_b128 v[24:27], v20
	ds_read_b128 v[28:31], v21 offset:13696
	s_waitcnt lgkmcnt(0)
	v_mul_f64 v[32:33], v[26:27], v[30:31]
	v_mul_f64 v[30:31], v[24:25], v[30:31]
	v_fma_f64 v[24:25], v[24:25], v[28:29], -v[32:33]
	v_fma_f64 v[26:27], v[26:27], v[28:29], v[30:31]
	v_add_f64 v[10:11], v[10:11], -v[24:25]
	v_add_f64 v[12:13], v[12:13], -v[26:27]
.LBB74_68:
	s_or_b64 exec, exec, s[8:9]
	v_cmp_eq_u32_e64 s[8:9], 1, v18
	s_and_b64 s[54:55], s[8:9], s[14:15]
	s_barrier
	s_and_saveexec_b64 s[8:9], s[54:55]
; %bb.69:
	v_xor_b32_e32 v27, 0x80000000, v13
	v_xor_b32_e32 v25, 0x80000000, v11
	v_mov_b32_e32 v24, v10
	v_mov_b32_e32 v26, v12
	ds_write_b128 v20, v[24:27]
; %bb.70:
	s_or_b64 exec, exec, s[8:9]
	v_cmp_eq_u32_e64 s[8:9], 0, v18
	s_and_b64 s[44:45], s[8:9], s[14:15]
	s_waitcnt lgkmcnt(0)
	s_barrier
	s_and_saveexec_b64 s[8:9], s[44:45]
	s_cbranch_execz .LBB74_72
; %bb.71:
	v_mov_b32_e32 v21, 0
	ds_read_b128 v[24:27], v20
	ds_read_b128 v[28:31], v21 offset:13184
	s_waitcnt lgkmcnt(0)
	v_mul_f64 v[32:33], v[26:27], v[30:31]
	v_mul_f64 v[30:31], v[24:25], v[30:31]
	v_fma_f64 v[24:25], v[24:25], v[28:29], -v[32:33]
	v_fma_f64 v[26:27], v[26:27], v[28:29], v[30:31]
	v_add_f64 v[10:11], v[10:11], -v[24:25]
	v_add_f64 v[12:13], v[12:13], -v[26:27]
.LBB74_72:
	s_or_b64 exec, exec, s[8:9]
	s_barrier
	s_and_saveexec_b64 s[8:9], s[44:45]
; %bb.73:
	v_xor_b32_e32 v27, 0x80000000, v13
	v_xor_b32_e32 v25, 0x80000000, v11
	v_mov_b32_e32 v24, v10
	v_mov_b32_e32 v26, v12
	ds_write_b128 v20, v[24:27]
; %bb.74:
	s_or_b64 exec, exec, s[8:9]
	s_waitcnt lgkmcnt(0)
	s_barrier
	s_barrier
	s_and_saveexec_b64 s[8:9], s[16:17]
; %bb.75:
	v_lshlrev_b32_e32 v21, 4, v18
	v_lshl_or_b32 v21, v19, 9, v21
	ds_write_b128 v21, v[10:13] offset:14720
; %bb.76:
	s_or_b64 exec, exec, s[8:9]
	v_cmp_gt_u32_e64 s[8:9], 4, v0
	s_and_b64 s[56:57], s[10:11], s[8:9]
	s_waitcnt lgkmcnt(0)
	s_barrier
	s_barrier
	s_and_saveexec_b64 s[8:9], s[56:57]
	s_cbranch_execz .LBB74_78
; %bb.77:
	v_lshlrev_b32_e32 v21, 4, v0
	s_movk_i32 s12, 0x1f0
	v_mad_u32_u24 v24, v0, s12, v21
	ds_read_b128 v[10:13], v24 offset:14720
	s_waitcnt lgkmcnt(0)
	ds_write_b128 v21, v[10:13] offset:12736
	ds_read_b128 v[10:13], v24 offset:14736
	s_waitcnt lgkmcnt(0)
	ds_write_b128 v21, v[10:13] offset:13248
	;; [unrolled: 3-line block ×4, first 2 shown]
.LBB74_78:
	s_or_b64 exec, exec, s[8:9]
	s_waitcnt lgkmcnt(0)
	s_barrier
	s_and_saveexec_b64 s[8:9], vcc
	s_cbranch_execz .LBB74_80
; %bb.79:
	s_mov_b32 s12, 0
	v_mov_b32_e32 v21, 0
	ds_read_b128 v[10:13], v21 offset:14240
	s_mov_b32 s15, s12
	s_mov_b32 s13, 0x3ff00000
	s_mov_b32 s14, s12
	v_mov_b32_e32 v27, s15
	v_mov_b32_e32 v26, s14
	;; [unrolled: 1-line block ×4, first 2 shown]
	ds_write_b128 v21, v[24:27] offset:13728
	ds_write_b128 v21, v[24:27] offset:14256
	s_waitcnt lgkmcnt(2)
	ds_write_b128 v21, v[10:13] offset:13744
.LBB74_80:
	s_or_b64 exec, exec, s[8:9]
	v_mov_b32_e32 v10, 0
	v_mov_b32_e32 v12, 0
	;; [unrolled: 1-line block ×4, first 2 shown]
	s_waitcnt lgkmcnt(0)
	s_barrier
	buffer_wbinvl1_vol
	s_and_saveexec_b64 s[12:13], s[2:3]
	s_cbranch_execz .LBB74_84
; %bb.81:
	v_lshlrev_b32_e32 v10, 9, v15
	v_lshlrev_b32_e32 v21, 4, v14
	ds_read_b128 v[10:13], v10 offset:13728
	ds_read_b128 v[24:27], v21 offset:13696
	v_cmp_gt_u32_e64 s[8:9], 2, v17
	s_waitcnt lgkmcnt(0)
	v_mul_f64 v[28:29], v[12:13], v[26:27]
	v_mul_f64 v[26:27], v[10:11], v[26:27]
	v_fma_f64 v[10:11], v[10:11], v[24:25], -v[28:29]
	v_fma_f64 v[12:13], v[12:13], v[24:25], v[26:27]
	v_add_f64 v[10:11], v[10:11], 0
	v_add_f64 v[12:13], v[12:13], 0
	s_and_saveexec_b64 s[14:15], s[8:9]
	s_cbranch_execz .LBB74_83
; %bb.82:
	v_mov_b32_e32 v24, 0
	v_lshlrev_b32_e32 v21, 4, v0
	ds_read_b128 v[24:27], v24 offset:14256
	ds_read_b128 v[28:31], v21 offset:14208
	s_waitcnt lgkmcnt(0)
	v_mul_f64 v[32:33], v[26:27], v[30:31]
	v_mul_f64 v[30:31], v[24:25], v[30:31]
	v_fma_f64 v[24:25], v[24:25], v[28:29], -v[32:33]
	v_fma_f64 v[26:27], v[26:27], v[28:29], v[30:31]
	v_add_f64 v[10:11], v[10:11], v[24:25]
	v_add_f64 v[12:13], v[12:13], v[26:27]
.LBB74_83:
	s_or_b64 exec, exec, s[14:15]
.LBB74_84:
	s_or_b64 exec, exec, s[12:13]
	s_and_saveexec_b64 s[8:9], s[40:41]
; %bb.85:
	v_xor_b32_e32 v25, 0x80000000, v11
	v_xor_b32_e32 v27, 0x80000000, v13
	v_mov_b32_e32 v24, v10
	v_mov_b32_e32 v26, v12
	ds_write_b128 v16, v[24:27]
; %bb.86:
	s_or_b64 exec, exec, s[8:9]
	s_waitcnt lgkmcnt(0)
	s_barrier
	s_and_saveexec_b64 s[8:9], s[24:25]
	s_cbranch_execz .LBB74_88
; %bb.87:
	v_mov_b32_e32 v21, 0
	ds_read_b128 v[24:27], v16
	ds_read_b128 v[28:31], v21 offset:13184
	s_waitcnt lgkmcnt(0)
	v_mul_f64 v[32:33], v[24:25], v[28:29]
	v_mul_f64 v[24:25], v[24:25], v[30:31]
	v_fma_f64 v[30:31], v[26:27], v[30:31], -v[32:33]
	v_fma_f64 v[24:25], v[26:27], v[28:29], v[24:25]
	v_add_f64 v[10:11], v[10:11], v[30:31]
	v_add_f64 v[12:13], v[12:13], -v[24:25]
.LBB74_88:
	s_or_b64 exec, exec, s[8:9]
	s_barrier
	s_and_saveexec_b64 s[8:9], s[24:25]
; %bb.89:
	v_xor_b32_e32 v25, 0x80000000, v11
	v_xor_b32_e32 v27, 0x80000000, v13
	v_mov_b32_e32 v24, v10
	v_mov_b32_e32 v26, v12
	ds_write_b128 v16, v[24:27]
; %bb.90:
	s_or_b64 exec, exec, s[8:9]
	s_waitcnt lgkmcnt(0)
	s_barrier
	s_barrier
	s_and_saveexec_b64 s[8:9], s[2:3]
; %bb.91:
	v_lshlrev_b32_e32 v21, 4, v14
	v_lshl_or_b32 v21, v15, 9, v21
	ds_write_b128 v21, v[10:13] offset:13696
; %bb.92:
	s_or_b64 exec, exec, s[8:9]
	s_waitcnt lgkmcnt(0)
	s_barrier
	s_barrier
	s_and_saveexec_b64 s[8:9], s[42:43]
	s_cbranch_execz .LBB74_94
; %bb.93:
	v_lshlrev_b32_e32 v21, 9, v0
	ds_read_b128 v[10:13], v21 offset:13696
	s_movk_i32 s12, 0xfe10
	v_mad_i32_i24 v24, v0, s12, v21
	s_waitcnt lgkmcnt(0)
	ds_write_b128 v24, v[10:13] offset:12704
	ds_read_b128 v[10:13], v21 offset:13712
	s_waitcnt lgkmcnt(0)
	ds_write_b128 v24, v[10:13] offset:13216
.LBB74_94:
	s_or_b64 exec, exec, s[8:9]
	s_waitcnt lgkmcnt(0)
	s_barrier
	s_and_saveexec_b64 s[8:9], vcc
	s_cbranch_execz .LBB74_96
; %bb.95:
	s_mov_b32 s12, 0
	v_mov_b32_e32 v21, 0
	ds_read_b128 v[10:13], v21 offset:13184
	s_mov_b32 s15, s12
	s_mov_b32 s13, 0x3ff00000
	;; [unrolled: 1-line block ×3, first 2 shown]
	v_mov_b32_e32 v27, s15
	v_mov_b32_e32 v26, s14
	;; [unrolled: 1-line block ×4, first 2 shown]
	ds_write_b128 v21, v[24:27] offset:12672
	ds_write_b128 v21, v[24:27] offset:13200
	s_waitcnt lgkmcnt(2)
	ds_write_b128 v21, v[10:13] offset:12688
.LBB74_96:
	s_or_b64 exec, exec, s[8:9]
	v_lshrrev_b32_e32 v25, 3, v17
	v_mov_b32_e32 v12, 0
	v_mov_b32_e32 v10, 0
	v_and_b32_e32 v21, 7, v0
	v_sub_u32_e32 v24, 7, v25
	v_cmp_lt_u32_e64 s[12:13], 63, v17
	v_mov_b32_e32 v13, 0
	v_mov_b32_e32 v11, 0
	v_cmp_gt_u32_e64 s[8:9], 64, v17
	s_waitcnt lgkmcnt(0)
	s_barrier
	buffer_wbinvl1_vol
	s_and_saveexec_b64 s[18:19], s[8:9]
	s_cbranch_execz .LBB74_106
; %bb.97:
	v_lshlrev_b32_e32 v27, 9, v24
	v_lshlrev_b32_e32 v26, 4, v21
	ds_read_b128 v[10:13], v27 offset:12672
	ds_read_b128 v[28:31], v26 offset:12544
	v_cmp_gt_u32_e64 s[14:15], 56, v17
	s_waitcnt lgkmcnt(0)
	v_mul_f64 v[32:33], v[12:13], v[30:31]
	v_mul_f64 v[30:31], v[10:11], v[30:31]
	v_fma_f64 v[10:11], v[10:11], v[28:29], -v[32:33]
	v_fma_f64 v[12:13], v[12:13], v[28:29], v[30:31]
	v_add_f64 v[10:11], v[10:11], 0
	v_add_f64 v[12:13], v[12:13], 0
	s_and_saveexec_b64 s[58:59], s[14:15]
	s_cbranch_execnz .LBB74_521
; %bb.98:
	s_or_b64 exec, exec, s[58:59]
	v_cmp_gt_u32_e64 s[14:15], 48, v17
	s_and_saveexec_b64 s[58:59], s[14:15]
	s_cbranch_execnz .LBB74_522
.LBB74_99:
	s_or_b64 exec, exec, s[58:59]
	v_cmp_gt_u32_e64 s[14:15], 40, v17
	s_and_saveexec_b64 s[58:59], s[14:15]
	s_cbranch_execnz .LBB74_523
.LBB74_100:
	s_or_b64 exec, exec, s[58:59]
	v_cmp_gt_u32_e64 s[14:15], 32, v17
	s_and_saveexec_b64 s[58:59], s[14:15]
	s_cbranch_execnz .LBB74_524
.LBB74_101:
	s_or_b64 exec, exec, s[58:59]
	v_cmp_gt_u32_e64 s[14:15], 24, v17
	s_and_saveexec_b64 s[58:59], s[14:15]
	s_cbranch_execnz .LBB74_525
.LBB74_102:
	s_or_b64 exec, exec, s[58:59]
	s_and_saveexec_b64 s[14:15], s[16:17]
	s_cbranch_execnz .LBB74_526
.LBB74_103:
	s_or_b64 exec, exec, s[14:15]
	v_cmp_gt_u32_e64 s[14:15], 8, v17
	s_and_saveexec_b64 s[58:59], s[14:15]
	s_cbranch_execz .LBB74_105
.LBB74_104:
	v_lshlrev_b32_e32 v30, 4, v0
	v_mov_b32_e32 v26, 0
	ds_read_b128 v[26:29], v26 offset:16368
	ds_read_b128 v[30:33], v30 offset:16128
	s_waitcnt lgkmcnt(0)
	v_mul_f64 v[34:35], v[28:29], v[32:33]
	v_mul_f64 v[32:33], v[26:27], v[32:33]
	v_fma_f64 v[26:27], v[26:27], v[30:31], -v[34:35]
	v_fma_f64 v[28:29], v[28:29], v[30:31], v[32:33]
	v_add_f64 v[10:11], v[10:11], v[26:27]
	v_add_f64 v[12:13], v[12:13], v[28:29]
.LBB74_105:
	s_or_b64 exec, exec, s[58:59]
.LBB74_106:
	s_or_b64 exec, exec, s[18:19]
	v_mov_b32_e32 v26, 0x4000
	v_cmp_eq_u32_e64 s[14:15], 7, v21
	s_xor_b64 s[18:19], s[12:13], -1
	v_lshl_add_u32 v25, v25, 4, v26
	s_and_b64 s[60:61], s[14:15], s[18:19]
	s_and_saveexec_b64 s[12:13], s[60:61]
; %bb.107:
	v_xor_b32_e32 v27, 0x80000000, v11
	v_xor_b32_e32 v29, 0x80000000, v13
	v_mov_b32_e32 v26, v10
	v_mov_b32_e32 v28, v12
	ds_write_b128 v25, v[26:29]
; %bb.108:
	s_or_b64 exec, exec, s[12:13]
	v_cmp_ne_u32_e64 s[12:13], 7, v21
	s_and_b64 s[62:63], s[12:13], s[18:19]
	s_waitcnt lgkmcnt(0)
	s_barrier
	s_and_saveexec_b64 s[12:13], s[62:63]
	s_cbranch_execz .LBB74_110
; %bb.109:
	v_lshlrev_b32_e32 v30, 4, v21
	ds_read_b128 v[26:29], v25
	ds_read_b128 v[30:33], v30 offset:12032
	s_waitcnt lgkmcnt(0)
	v_mul_f64 v[34:35], v[28:29], v[32:33]
	v_mul_f64 v[32:33], v[26:27], v[32:33]
	v_fma_f64 v[26:27], v[26:27], v[30:31], -v[34:35]
	v_fma_f64 v[28:29], v[28:29], v[30:31], v[32:33]
	v_add_f64 v[10:11], v[10:11], -v[26:27]
	v_add_f64 v[12:13], v[12:13], -v[28:29]
.LBB74_110:
	s_or_b64 exec, exec, s[12:13]
	v_cmp_eq_u32_e64 s[12:13], 6, v21
	s_and_b64 s[64:65], s[12:13], s[18:19]
	s_barrier
	s_and_saveexec_b64 s[12:13], s[64:65]
; %bb.111:
	v_xor_b32_e32 v27, 0x80000000, v11
	v_xor_b32_e32 v29, 0x80000000, v13
	v_mov_b32_e32 v26, v10
	v_mov_b32_e32 v28, v12
	ds_write_b128 v25, v[26:29]
; %bb.112:
	s_or_b64 exec, exec, s[12:13]
	v_cmp_gt_u32_e64 s[12:13], 6, v21
	s_and_b64 s[66:67], s[12:13], s[18:19]
	s_waitcnt lgkmcnt(0)
	s_barrier
	s_and_saveexec_b64 s[12:13], s[66:67]
	s_cbranch_execz .LBB74_114
; %bb.113:
	v_lshlrev_b32_e32 v30, 4, v21
	ds_read_b128 v[26:29], v25
	ds_read_b128 v[30:33], v30 offset:11520
	s_waitcnt lgkmcnt(0)
	v_mul_f64 v[34:35], v[28:29], v[32:33]
	v_mul_f64 v[32:33], v[26:27], v[32:33]
	v_fma_f64 v[26:27], v[26:27], v[30:31], -v[34:35]
	v_fma_f64 v[28:29], v[28:29], v[30:31], v[32:33]
	v_add_f64 v[10:11], v[10:11], -v[26:27]
	v_add_f64 v[12:13], v[12:13], -v[28:29]
.LBB74_114:
	s_or_b64 exec, exec, s[12:13]
	v_cmp_eq_u32_e64 s[12:13], 5, v21
	s_and_b64 s[68:69], s[12:13], s[18:19]
	s_barrier
	s_and_saveexec_b64 s[12:13], s[68:69]
; %bb.115:
	v_xor_b32_e32 v27, 0x80000000, v11
	v_xor_b32_e32 v29, 0x80000000, v13
	v_mov_b32_e32 v26, v10
	v_mov_b32_e32 v28, v12
	ds_write_b128 v25, v[26:29]
; %bb.116:
	s_or_b64 exec, exec, s[12:13]
	v_cmp_gt_u32_e64 s[12:13], 5, v21
	;; [unrolled: 31-line block ×5, first 2 shown]
	s_and_b64 s[82:83], s[12:13], s[18:19]
	s_waitcnt lgkmcnt(0)
	s_barrier
	s_and_saveexec_b64 s[12:13], s[82:83]
	s_cbranch_execz .LBB74_130
; %bb.129:
	v_lshlrev_b32_e32 v30, 4, v21
	ds_read_b128 v[26:29], v25
	ds_read_b128 v[30:33], v30 offset:9472
	s_waitcnt lgkmcnt(0)
	v_mul_f64 v[34:35], v[28:29], v[32:33]
	v_mul_f64 v[32:33], v[26:27], v[32:33]
	v_fma_f64 v[26:27], v[26:27], v[30:31], -v[34:35]
	v_fma_f64 v[28:29], v[28:29], v[30:31], v[32:33]
	v_add_f64 v[10:11], v[10:11], -v[26:27]
	v_add_f64 v[12:13], v[12:13], -v[28:29]
.LBB74_130:
	s_or_b64 exec, exec, s[12:13]
	v_cmp_eq_u32_e64 s[12:13], 1, v21
	s_and_b64 s[84:85], s[12:13], s[18:19]
	s_barrier
	s_and_saveexec_b64 s[12:13], s[84:85]
; %bb.131:
	v_xor_b32_e32 v27, 0x80000000, v11
	v_xor_b32_e32 v29, 0x80000000, v13
	v_mov_b32_e32 v26, v10
	v_mov_b32_e32 v28, v12
	ds_write_b128 v25, v[26:29]
; %bb.132:
	s_or_b64 exec, exec, s[12:13]
	v_cmp_eq_u32_e64 s[12:13], 0, v21
	s_and_b64 s[58:59], s[12:13], s[18:19]
	s_waitcnt lgkmcnt(0)
	s_barrier
	s_and_saveexec_b64 s[12:13], s[58:59]
	s_cbranch_execz .LBB74_134
; %bb.133:
	v_mov_b32_e32 v30, 0
	ds_read_b128 v[26:29], v25
	ds_read_b128 v[30:33], v30 offset:8960
	s_waitcnt lgkmcnt(0)
	v_mul_f64 v[34:35], v[28:29], v[32:33]
	v_mul_f64 v[32:33], v[26:27], v[32:33]
	v_fma_f64 v[26:27], v[26:27], v[30:31], -v[34:35]
	v_fma_f64 v[28:29], v[28:29], v[30:31], v[32:33]
	v_add_f64 v[10:11], v[10:11], -v[26:27]
	v_add_f64 v[12:13], v[12:13], -v[28:29]
.LBB74_134:
	s_or_b64 exec, exec, s[12:13]
	s_barrier
	s_and_saveexec_b64 s[12:13], s[58:59]
; %bb.135:
	v_xor_b32_e32 v27, 0x80000000, v11
	v_xor_b32_e32 v29, 0x80000000, v13
	v_mov_b32_e32 v26, v10
	v_mov_b32_e32 v28, v12
	ds_write_b128 v25, v[26:29]
; %bb.136:
	s_or_b64 exec, exec, s[12:13]
	s_waitcnt lgkmcnt(0)
	s_barrier
	s_barrier
	s_and_saveexec_b64 s[12:13], s[8:9]
; %bb.137:
	v_lshlrev_b32_e32 v26, 4, v21
	v_lshl_or_b32 v26, v24, 9, v26
	ds_write_b128 v26, v[10:13] offset:12544
; %bb.138:
	s_or_b64 exec, exec, s[12:13]
	v_cmp_gt_u32_e64 s[12:13], 8, v0
	s_and_b64 s[86:87], s[10:11], s[12:13]
	s_waitcnt lgkmcnt(0)
	s_barrier
	s_barrier
	s_and_saveexec_b64 s[12:13], s[86:87]
	s_cbranch_execz .LBB74_140
; %bb.139:
	v_lshlrev_b32_e32 v26, 9, v0
	ds_read_b128 v[10:13], v26 offset:12544
	s_movk_i32 s14, 0xfe10
	v_mad_i32_i24 v27, v0, s14, v26
	s_waitcnt lgkmcnt(0)
	ds_write_b128 v27, v[10:13] offset:8576
	ds_read_b128 v[10:13], v26 offset:12560
	s_waitcnt lgkmcnt(0)
	ds_write_b128 v27, v[10:13] offset:9088
	ds_read_b128 v[10:13], v26 offset:12576
	;; [unrolled: 3-line block ×7, first 2 shown]
	s_waitcnt lgkmcnt(0)
	ds_write_b128 v27, v[10:13] offset:12160
.LBB74_140:
	s_or_b64 exec, exec, s[12:13]
	s_waitcnt lgkmcnt(0)
	s_barrier
	s_and_saveexec_b64 s[12:13], vcc
	s_cbranch_execz .LBB74_142
; %bb.141:
	v_mov_b32_e32 v30, 0
	s_mov_b32 s88, 0
	ds_read_b128 v[10:13], v30 offset:12128
	s_mov_b32 s89, 0x3ff00000
	s_mov_b32 s90, s88
	;; [unrolled: 1-line block ×3, first 2 shown]
	v_mov_b32_e32 v26, s88
	v_mov_b32_e32 v27, s89
	;; [unrolled: 1-line block ×4, first 2 shown]
	ds_write_b128 v30, v[26:29] offset:11616
	ds_write_b128 v30, v[26:29] offset:12144
	s_waitcnt lgkmcnt(2)
	ds_write_b128 v30, v[10:13] offset:11632
.LBB74_142:
	s_or_b64 exec, exec, s[12:13]
	v_mov_b32_e32 v10, 0
	v_mov_b32_e32 v12, 0
	;; [unrolled: 1-line block ×4, first 2 shown]
	s_waitcnt lgkmcnt(0)
	s_barrier
	buffer_wbinvl1_vol
	s_and_saveexec_b64 s[14:15], s[2:3]
	s_cbranch_execz .LBB74_146
; %bb.143:
	v_lshlrev_b32_e32 v26, 4, v14
	v_lshlrev_b32_e32 v10, 9, v15
	ds_read_b128 v[10:13], v10 offset:11616
	ds_read_b128 v[26:29], v26 offset:11584
	v_cmp_gt_u32_e64 s[12:13], 2, v17
	s_waitcnt lgkmcnt(0)
	v_mul_f64 v[30:31], v[12:13], v[28:29]
	v_mul_f64 v[28:29], v[10:11], v[28:29]
	v_fma_f64 v[10:11], v[10:11], v[26:27], -v[30:31]
	v_fma_f64 v[12:13], v[12:13], v[26:27], v[28:29]
	v_add_f64 v[10:11], v[10:11], 0
	v_add_f64 v[12:13], v[12:13], 0
	s_and_saveexec_b64 s[18:19], s[12:13]
	s_cbranch_execz .LBB74_145
; %bb.144:
	v_lshlrev_b32_e32 v30, 4, v0
	v_mov_b32_e32 v26, 0
	ds_read_b128 v[26:29], v26 offset:12144
	ds_read_b128 v[30:33], v30 offset:12096
	s_waitcnt lgkmcnt(0)
	v_mul_f64 v[34:35], v[28:29], v[32:33]
	v_mul_f64 v[32:33], v[26:27], v[32:33]
	v_fma_f64 v[26:27], v[26:27], v[30:31], -v[34:35]
	v_fma_f64 v[28:29], v[28:29], v[30:31], v[32:33]
	v_add_f64 v[10:11], v[10:11], v[26:27]
	v_add_f64 v[12:13], v[12:13], v[28:29]
.LBB74_145:
	s_or_b64 exec, exec, s[18:19]
.LBB74_146:
	s_or_b64 exec, exec, s[14:15]
	s_and_saveexec_b64 s[12:13], s[40:41]
; %bb.147:
	v_xor_b32_e32 v27, 0x80000000, v11
	v_xor_b32_e32 v29, 0x80000000, v13
	v_mov_b32_e32 v26, v10
	v_mov_b32_e32 v28, v12
	ds_write_b128 v16, v[26:29]
; %bb.148:
	s_or_b64 exec, exec, s[12:13]
	s_waitcnt lgkmcnt(0)
	s_barrier
	s_and_saveexec_b64 s[12:13], s[24:25]
	s_cbranch_execz .LBB74_150
; %bb.149:
	v_mov_b32_e32 v30, 0
	ds_read_b128 v[26:29], v16
	ds_read_b128 v[30:33], v30 offset:11072
	s_waitcnt lgkmcnt(0)
	v_mul_f64 v[34:35], v[26:27], v[30:31]
	v_mul_f64 v[26:27], v[26:27], v[32:33]
	v_fma_f64 v[32:33], v[28:29], v[32:33], -v[34:35]
	v_fma_f64 v[26:27], v[28:29], v[30:31], v[26:27]
	v_add_f64 v[10:11], v[10:11], v[32:33]
	v_add_f64 v[12:13], v[12:13], -v[26:27]
.LBB74_150:
	s_or_b64 exec, exec, s[12:13]
	s_barrier
	s_and_saveexec_b64 s[12:13], s[24:25]
; %bb.151:
	v_xor_b32_e32 v27, 0x80000000, v11
	v_xor_b32_e32 v29, 0x80000000, v13
	v_mov_b32_e32 v26, v10
	v_mov_b32_e32 v28, v12
	ds_write_b128 v16, v[26:29]
; %bb.152:
	s_or_b64 exec, exec, s[12:13]
	s_waitcnt lgkmcnt(0)
	s_barrier
	s_barrier
	s_and_saveexec_b64 s[12:13], s[2:3]
; %bb.153:
	v_lshlrev_b32_e32 v26, 4, v14
	v_lshl_or_b32 v26, v15, 9, v26
	ds_write_b128 v26, v[10:13] offset:11584
; %bb.154:
	s_or_b64 exec, exec, s[12:13]
	s_waitcnt lgkmcnt(0)
	s_barrier
	s_barrier
	s_and_saveexec_b64 s[12:13], s[42:43]
	s_cbranch_execz .LBB74_156
; %bb.155:
	v_lshlrev_b32_e32 v26, 9, v0
	ds_read_b128 v[10:13], v26 offset:11584
	s_movk_i32 s14, 0xfe10
	v_mad_i32_i24 v27, v0, s14, v26
	s_waitcnt lgkmcnt(0)
	ds_write_b128 v27, v[10:13] offset:10592
	ds_read_b128 v[10:13], v26 offset:11600
	s_waitcnt lgkmcnt(0)
	ds_write_b128 v27, v[10:13] offset:11104
.LBB74_156:
	s_or_b64 exec, exec, s[12:13]
	s_waitcnt lgkmcnt(0)
	s_barrier
	s_and_saveexec_b64 s[12:13], vcc
	s_cbranch_execz .LBB74_158
; %bb.157:
	v_mov_b32_e32 v30, 0
	s_mov_b32 s88, 0
	ds_read_b128 v[10:13], v30 offset:11072
	s_mov_b32 s89, 0x3ff00000
	s_mov_b32 s90, s88
	;; [unrolled: 1-line block ×3, first 2 shown]
	v_mov_b32_e32 v26, s88
	v_mov_b32_e32 v27, s89
	;; [unrolled: 1-line block ×4, first 2 shown]
	ds_write_b128 v30, v[26:29] offset:10560
	ds_write_b128 v30, v[26:29] offset:11088
	s_waitcnt lgkmcnt(2)
	ds_write_b128 v30, v[10:13] offset:10576
.LBB74_158:
	s_or_b64 exec, exec, s[12:13]
	v_mov_b32_e32 v12, 0
	v_mov_b32_e32 v10, 0
	v_mov_b32_e32 v13, 0
	v_mov_b32_e32 v11, 0
	s_waitcnt lgkmcnt(0)
	s_barrier
	buffer_wbinvl1_vol
	s_and_saveexec_b64 s[14:15], s[16:17]
	s_cbranch_execz .LBB74_164
; %bb.159:
	v_lshlrev_b32_e32 v27, 9, v19
	v_lshlrev_b32_e32 v26, 4, v18
	ds_read_b128 v[10:13], v27 offset:10560
	ds_read_b128 v[28:31], v26 offset:10496
	v_cmp_gt_u32_e64 s[12:13], 12, v17
	s_waitcnt lgkmcnt(0)
	v_mul_f64 v[32:33], v[12:13], v[30:31]
	v_mul_f64 v[30:31], v[10:11], v[30:31]
	v_fma_f64 v[10:11], v[10:11], v[28:29], -v[32:33]
	v_fma_f64 v[12:13], v[12:13], v[28:29], v[30:31]
	v_add_f64 v[10:11], v[10:11], 0
	v_add_f64 v[12:13], v[12:13], 0
	s_and_saveexec_b64 s[18:19], s[12:13]
	s_cbranch_execnz .LBB74_527
; %bb.160:
	s_or_b64 exec, exec, s[18:19]
	v_cmp_gt_u32_e64 s[12:13], 8, v17
	s_and_saveexec_b64 s[18:19], s[12:13]
	s_cbranch_execnz .LBB74_528
.LBB74_161:
	s_or_b64 exec, exec, s[18:19]
	v_cmp_gt_u32_e64 s[12:13], 4, v17
	s_and_saveexec_b64 s[18:19], s[12:13]
	s_cbranch_execz .LBB74_163
.LBB74_162:
	v_lshlrev_b32_e32 v30, 4, v0
	v_mov_b32_e32 v26, 0
	ds_read_b128 v[26:29], v26 offset:12144
	ds_read_b128 v[30:33], v30 offset:12032
	s_waitcnt lgkmcnt(0)
	v_mul_f64 v[34:35], v[28:29], v[32:33]
	v_mul_f64 v[32:33], v[26:27], v[32:33]
	v_fma_f64 v[26:27], v[26:27], v[30:31], -v[34:35]
	v_fma_f64 v[28:29], v[28:29], v[30:31], v[32:33]
	v_add_f64 v[10:11], v[10:11], v[26:27]
	v_add_f64 v[12:13], v[12:13], v[28:29]
.LBB74_163:
	s_or_b64 exec, exec, s[18:19]
.LBB74_164:
	s_or_b64 exec, exec, s[14:15]
	s_and_saveexec_b64 s[12:13], s[46:47]
; %bb.165:
	v_xor_b32_e32 v29, 0x80000000, v13
	v_xor_b32_e32 v27, 0x80000000, v11
	v_mov_b32_e32 v26, v10
	v_mov_b32_e32 v28, v12
	ds_write_b128 v20, v[26:29]
; %bb.166:
	s_or_b64 exec, exec, s[12:13]
	s_waitcnt lgkmcnt(0)
	s_barrier
	s_and_saveexec_b64 s[12:13], s[48:49]
	s_cbranch_execz .LBB74_168
; %bb.167:
	v_lshlrev_b32_e32 v30, 4, v18
	ds_read_b128 v[26:29], v20
	ds_read_b128 v[30:33], v30 offset:9984
	s_waitcnt lgkmcnt(0)
	v_mul_f64 v[34:35], v[28:29], v[32:33]
	v_mul_f64 v[32:33], v[26:27], v[32:33]
	v_fma_f64 v[26:27], v[26:27], v[30:31], -v[34:35]
	v_fma_f64 v[28:29], v[28:29], v[30:31], v[32:33]
	v_add_f64 v[10:11], v[10:11], -v[26:27]
	v_add_f64 v[12:13], v[12:13], -v[28:29]
.LBB74_168:
	s_or_b64 exec, exec, s[12:13]
	s_barrier
	s_and_saveexec_b64 s[12:13], s[50:51]
; %bb.169:
	v_xor_b32_e32 v29, 0x80000000, v13
	v_xor_b32_e32 v27, 0x80000000, v11
	v_mov_b32_e32 v26, v10
	v_mov_b32_e32 v28, v12
	ds_write_b128 v20, v[26:29]
; %bb.170:
	s_or_b64 exec, exec, s[12:13]
	s_waitcnt lgkmcnt(0)
	s_barrier
	s_and_saveexec_b64 s[12:13], s[52:53]
	s_cbranch_execz .LBB74_172
; %bb.171:
	v_lshlrev_b32_e32 v30, 4, v18
	ds_read_b128 v[26:29], v20
	ds_read_b128 v[30:33], v30 offset:9472
	s_waitcnt lgkmcnt(0)
	v_mul_f64 v[34:35], v[28:29], v[32:33]
	v_mul_f64 v[32:33], v[26:27], v[32:33]
	v_fma_f64 v[26:27], v[26:27], v[30:31], -v[34:35]
	v_fma_f64 v[28:29], v[28:29], v[30:31], v[32:33]
	v_add_f64 v[10:11], v[10:11], -v[26:27]
	v_add_f64 v[12:13], v[12:13], -v[28:29]
.LBB74_172:
	s_or_b64 exec, exec, s[12:13]
	s_barrier
	s_and_saveexec_b64 s[12:13], s[54:55]
; %bb.173:
	v_xor_b32_e32 v29, 0x80000000, v13
	v_xor_b32_e32 v27, 0x80000000, v11
	v_mov_b32_e32 v26, v10
	v_mov_b32_e32 v28, v12
	ds_write_b128 v20, v[26:29]
; %bb.174:
	s_or_b64 exec, exec, s[12:13]
	s_waitcnt lgkmcnt(0)
	s_barrier
	s_and_saveexec_b64 s[12:13], s[44:45]
	s_cbranch_execz .LBB74_176
; %bb.175:
	v_mov_b32_e32 v30, 0
	ds_read_b128 v[26:29], v20
	ds_read_b128 v[30:33], v30 offset:8960
	s_waitcnt lgkmcnt(0)
	v_mul_f64 v[34:35], v[28:29], v[32:33]
	v_mul_f64 v[32:33], v[26:27], v[32:33]
	v_fma_f64 v[26:27], v[26:27], v[30:31], -v[34:35]
	v_fma_f64 v[28:29], v[28:29], v[30:31], v[32:33]
	v_add_f64 v[10:11], v[10:11], -v[26:27]
	v_add_f64 v[12:13], v[12:13], -v[28:29]
.LBB74_176:
	s_or_b64 exec, exec, s[12:13]
	s_barrier
	s_and_saveexec_b64 s[12:13], s[44:45]
; %bb.177:
	v_xor_b32_e32 v29, 0x80000000, v13
	v_xor_b32_e32 v27, 0x80000000, v11
	v_mov_b32_e32 v26, v10
	v_mov_b32_e32 v28, v12
	ds_write_b128 v20, v[26:29]
; %bb.178:
	s_or_b64 exec, exec, s[12:13]
	s_waitcnt lgkmcnt(0)
	s_barrier
	s_barrier
	s_and_saveexec_b64 s[12:13], s[16:17]
; %bb.179:
	v_lshlrev_b32_e32 v26, 4, v18
	v_lshl_or_b32 v26, v19, 9, v26
	ds_write_b128 v26, v[10:13] offset:10496
; %bb.180:
	s_or_b64 exec, exec, s[12:13]
	s_waitcnt lgkmcnt(0)
	s_barrier
	s_barrier
	s_and_saveexec_b64 s[12:13], s[56:57]
	s_cbranch_execz .LBB74_182
; %bb.181:
	v_lshlrev_b32_e32 v26, 4, v0
	s_movk_i32 s14, 0x1f0
	v_mad_u32_u24 v27, v0, s14, v26
	ds_read_b128 v[10:13], v27 offset:10496
	s_waitcnt lgkmcnt(0)
	ds_write_b128 v26, v[10:13] offset:8512
	ds_read_b128 v[10:13], v27 offset:10512
	s_waitcnt lgkmcnt(0)
	ds_write_b128 v26, v[10:13] offset:9024
	;; [unrolled: 3-line block ×4, first 2 shown]
.LBB74_182:
	s_or_b64 exec, exec, s[12:13]
	s_waitcnt lgkmcnt(0)
	s_barrier
	s_and_saveexec_b64 s[12:13], vcc
	s_cbranch_execz .LBB74_184
; %bb.183:
	v_mov_b32_e32 v30, 0
	s_mov_b32 s88, 0
	ds_read_b128 v[10:13], v30 offset:10016
	s_mov_b32 s89, 0x3ff00000
	s_mov_b32 s90, s88
	;; [unrolled: 1-line block ×3, first 2 shown]
	v_mov_b32_e32 v26, s88
	v_mov_b32_e32 v27, s89
	;; [unrolled: 1-line block ×4, first 2 shown]
	ds_write_b128 v30, v[26:29] offset:9504
	ds_write_b128 v30, v[26:29] offset:10032
	s_waitcnt lgkmcnt(2)
	ds_write_b128 v30, v[10:13] offset:9520
.LBB74_184:
	s_or_b64 exec, exec, s[12:13]
	v_mov_b32_e32 v10, 0
	v_mov_b32_e32 v12, 0
	;; [unrolled: 1-line block ×4, first 2 shown]
	s_waitcnt lgkmcnt(0)
	s_barrier
	buffer_wbinvl1_vol
	s_and_saveexec_b64 s[14:15], s[2:3]
	s_cbranch_execz .LBB74_188
; %bb.185:
	v_lshlrev_b32_e32 v26, 4, v14
	v_lshlrev_b32_e32 v10, 9, v15
	ds_read_b128 v[10:13], v10 offset:9504
	ds_read_b128 v[26:29], v26 offset:9472
	v_cmp_gt_u32_e64 s[12:13], 2, v17
	s_waitcnt lgkmcnt(0)
	v_mul_f64 v[30:31], v[12:13], v[28:29]
	v_mul_f64 v[28:29], v[10:11], v[28:29]
	v_fma_f64 v[10:11], v[10:11], v[26:27], -v[30:31]
	v_fma_f64 v[12:13], v[12:13], v[26:27], v[28:29]
	v_add_f64 v[10:11], v[10:11], 0
	v_add_f64 v[12:13], v[12:13], 0
	s_and_saveexec_b64 s[18:19], s[12:13]
	s_cbranch_execz .LBB74_187
; %bb.186:
	v_lshlrev_b32_e32 v30, 4, v0
	v_mov_b32_e32 v26, 0
	ds_read_b128 v[26:29], v26 offset:10032
	ds_read_b128 v[30:33], v30 offset:9984
	s_waitcnt lgkmcnt(0)
	v_mul_f64 v[34:35], v[28:29], v[32:33]
	v_mul_f64 v[32:33], v[26:27], v[32:33]
	v_fma_f64 v[26:27], v[26:27], v[30:31], -v[34:35]
	v_fma_f64 v[28:29], v[28:29], v[30:31], v[32:33]
	v_add_f64 v[10:11], v[10:11], v[26:27]
	v_add_f64 v[12:13], v[12:13], v[28:29]
.LBB74_187:
	s_or_b64 exec, exec, s[18:19]
.LBB74_188:
	s_or_b64 exec, exec, s[14:15]
	s_and_saveexec_b64 s[12:13], s[40:41]
; %bb.189:
	v_xor_b32_e32 v27, 0x80000000, v11
	v_xor_b32_e32 v29, 0x80000000, v13
	v_mov_b32_e32 v26, v10
	v_mov_b32_e32 v28, v12
	ds_write_b128 v16, v[26:29]
; %bb.190:
	s_or_b64 exec, exec, s[12:13]
	s_waitcnt lgkmcnt(0)
	s_barrier
	s_and_saveexec_b64 s[12:13], s[24:25]
	s_cbranch_execz .LBB74_192
; %bb.191:
	v_mov_b32_e32 v30, 0
	ds_read_b128 v[26:29], v16
	ds_read_b128 v[30:33], v30 offset:8960
	s_waitcnt lgkmcnt(0)
	v_mul_f64 v[34:35], v[26:27], v[30:31]
	v_mul_f64 v[26:27], v[26:27], v[32:33]
	v_fma_f64 v[32:33], v[28:29], v[32:33], -v[34:35]
	v_fma_f64 v[26:27], v[28:29], v[30:31], v[26:27]
	v_add_f64 v[10:11], v[10:11], v[32:33]
	v_add_f64 v[12:13], v[12:13], -v[26:27]
.LBB74_192:
	s_or_b64 exec, exec, s[12:13]
	s_barrier
	s_and_saveexec_b64 s[12:13], s[24:25]
; %bb.193:
	v_xor_b32_e32 v27, 0x80000000, v11
	v_xor_b32_e32 v29, 0x80000000, v13
	v_mov_b32_e32 v26, v10
	v_mov_b32_e32 v28, v12
	ds_write_b128 v16, v[26:29]
; %bb.194:
	s_or_b64 exec, exec, s[12:13]
	s_waitcnt lgkmcnt(0)
	s_barrier
	s_barrier
	s_and_saveexec_b64 s[12:13], s[2:3]
; %bb.195:
	v_lshlrev_b32_e32 v26, 4, v14
	v_lshl_or_b32 v26, v15, 9, v26
	ds_write_b128 v26, v[10:13] offset:9472
; %bb.196:
	s_or_b64 exec, exec, s[12:13]
	s_waitcnt lgkmcnt(0)
	s_barrier
	s_barrier
	s_and_saveexec_b64 s[12:13], s[42:43]
	s_cbranch_execz .LBB74_198
; %bb.197:
	v_lshlrev_b32_e32 v26, 9, v0
	ds_read_b128 v[10:13], v26 offset:9472
	s_movk_i32 s14, 0xfe10
	v_mad_i32_i24 v27, v0, s14, v26
	s_waitcnt lgkmcnt(0)
	ds_write_b128 v27, v[10:13] offset:8480
	ds_read_b128 v[10:13], v26 offset:9488
	s_waitcnt lgkmcnt(0)
	ds_write_b128 v27, v[10:13] offset:8992
.LBB74_198:
	s_or_b64 exec, exec, s[12:13]
	s_waitcnt lgkmcnt(0)
	s_barrier
	s_and_saveexec_b64 s[12:13], vcc
	s_cbranch_execz .LBB74_200
; %bb.199:
	v_mov_b32_e32 v30, 0
	s_mov_b32 s88, 0
	ds_read_b128 v[10:13], v30 offset:8960
	s_mov_b32 s89, 0x3ff00000
	s_mov_b32 s90, s88
	;; [unrolled: 1-line block ×3, first 2 shown]
	v_mov_b32_e32 v26, s88
	v_mov_b32_e32 v27, s89
	;; [unrolled: 1-line block ×4, first 2 shown]
	ds_write_b128 v30, v[26:29] offset:8448
	ds_write_b128 v30, v[26:29] offset:8976
	s_waitcnt lgkmcnt(2)
	ds_write_b128 v30, v[10:13] offset:8464
.LBB74_200:
	s_or_b64 exec, exec, s[12:13]
	s_movk_i32 s12, 0xff
	v_lshrrev_b32_e32 v28, 4, v17
	v_cmp_lt_u32_e64 s[14:15], s12, v17
	s_movk_i32 s12, 0x100
	v_mov_b32_e32 v12, 0
	v_mov_b32_e32 v10, 0
	v_and_b32_e32 v26, 15, v0
	v_sub_u32_e32 v27, 15, v28
	v_mov_b32_e32 v13, 0
	v_mov_b32_e32 v11, 0
	v_cmp_gt_u32_e64 s[12:13], s12, v17
	s_waitcnt lgkmcnt(0)
	s_barrier
	buffer_wbinvl1_vol
	s_and_saveexec_b64 s[88:89], s[12:13]
	s_cbranch_execz .LBB74_228
; %bb.201:
	v_lshlrev_b32_e32 v30, 9, v27
	v_lshlrev_b32_e32 v29, 4, v26
	ds_read_b128 v[10:13], v30 offset:8448
	ds_read_b128 v[31:34], v29 offset:8192
	s_movk_i32 s18, 0xf0
	v_cmp_gt_u32_e64 s[18:19], s18, v17
	s_waitcnt lgkmcnt(0)
	v_mul_f64 v[35:36], v[12:13], v[33:34]
	v_mul_f64 v[33:34], v[10:11], v[33:34]
	v_fma_f64 v[10:11], v[10:11], v[31:32], -v[35:36]
	v_fma_f64 v[12:13], v[12:13], v[31:32], v[33:34]
	v_add_f64 v[10:11], v[10:11], 0
	v_add_f64 v[12:13], v[12:13], 0
	s_and_saveexec_b64 s[90:91], s[18:19]
	s_cbranch_execz .LBB74_203
; %bb.202:
	ds_read_b128 v[31:34], v30 offset:8464
	ds_read_b128 v[35:38], v29 offset:8704
	s_waitcnt lgkmcnt(0)
	v_mul_f64 v[39:40], v[33:34], v[37:38]
	v_mul_f64 v[37:38], v[31:32], v[37:38]
	v_fma_f64 v[31:32], v[31:32], v[35:36], -v[39:40]
	v_fma_f64 v[33:34], v[33:34], v[35:36], v[37:38]
	v_add_f64 v[10:11], v[10:11], v[31:32]
	v_add_f64 v[12:13], v[12:13], v[33:34]
.LBB74_203:
	s_or_b64 exec, exec, s[90:91]
	s_movk_i32 s18, 0xe0
	v_cmp_gt_u32_e64 s[18:19], s18, v17
	s_and_saveexec_b64 s[90:91], s[18:19]
	s_cbranch_execz .LBB74_205
; %bb.204:
	ds_read_b128 v[31:34], v30 offset:8480
	ds_read_b128 v[35:38], v29 offset:9216
	s_waitcnt lgkmcnt(0)
	v_mul_f64 v[39:40], v[33:34], v[37:38]
	v_mul_f64 v[37:38], v[31:32], v[37:38]
	v_fma_f64 v[31:32], v[31:32], v[35:36], -v[39:40]
	v_fma_f64 v[33:34], v[33:34], v[35:36], v[37:38]
	v_add_f64 v[10:11], v[10:11], v[31:32]
	v_add_f64 v[12:13], v[12:13], v[33:34]
.LBB74_205:
	s_or_b64 exec, exec, s[90:91]
	s_movk_i32 s18, 0xd0
	v_cmp_gt_u32_e64 s[18:19], s18, v17
	;; [unrolled: 16-line block ×10, first 2 shown]
	s_and_saveexec_b64 s[90:91], s[18:19]
	s_cbranch_execnz .LBB74_529
; %bb.222:
	s_or_b64 exec, exec, s[90:91]
	s_and_saveexec_b64 s[18:19], s[8:9]
	s_cbranch_execnz .LBB74_530
.LBB74_223:
	s_or_b64 exec, exec, s[18:19]
	v_cmp_gt_u32_e64 s[18:19], 48, v17
	s_and_saveexec_b64 s[90:91], s[18:19]
	s_cbranch_execnz .LBB74_531
.LBB74_224:
	s_or_b64 exec, exec, s[90:91]
	v_cmp_gt_u32_e64 s[18:19], 32, v17
	s_and_saveexec_b64 s[90:91], s[18:19]
	s_cbranch_execnz .LBB74_532
.LBB74_225:
	s_or_b64 exec, exec, s[90:91]
	v_cmp_gt_u32_e64 s[18:19], 16, v17
	s_and_saveexec_b64 s[90:91], s[18:19]
	s_cbranch_execz .LBB74_227
.LBB74_226:
	v_lshlrev_b32_e32 v33, 4, v0
	v_mov_b32_e32 v29, 0
	ds_read_b128 v[29:32], v29 offset:16368
	ds_read_b128 v[33:36], v33 offset:15872
	s_waitcnt lgkmcnt(0)
	v_mul_f64 v[37:38], v[31:32], v[35:36]
	v_mul_f64 v[35:36], v[29:30], v[35:36]
	v_fma_f64 v[29:30], v[29:30], v[33:34], -v[37:38]
	v_fma_f64 v[31:32], v[31:32], v[33:34], v[35:36]
	v_add_f64 v[10:11], v[10:11], v[29:30]
	v_add_f64 v[12:13], v[12:13], v[31:32]
.LBB74_227:
	s_or_b64 exec, exec, s[90:91]
.LBB74_228:
	s_or_b64 exec, exec, s[88:89]
	v_mov_b32_e32 v29, 0x4000
	v_cmp_eq_u32_e64 s[18:19], 15, v26
	s_xor_b64 s[88:89], s[14:15], -1
	v_lshl_add_u32 v28, v28, 4, v29
	s_and_b64 s[18:19], s[18:19], s[88:89]
	s_and_saveexec_b64 s[14:15], s[18:19]
; %bb.229:
	v_xor_b32_e32 v32, 0x80000000, v13
	v_xor_b32_e32 v30, 0x80000000, v11
	v_mov_b32_e32 v29, v10
	v_mov_b32_e32 v31, v12
	ds_write_b128 v28, v[29:32]
; %bb.230:
	s_or_b64 exec, exec, s[14:15]
	v_cmp_ne_u32_e64 s[14:15], 15, v26
	s_and_b64 s[18:19], s[14:15], s[88:89]
	s_waitcnt lgkmcnt(0)
	s_barrier
	s_and_saveexec_b64 s[14:15], s[18:19]
	s_cbranch_execz .LBB74_232
; %bb.231:
	v_lshlrev_b32_e32 v33, 4, v26
	ds_read_b128 v[29:32], v28
	ds_read_b128 v[33:36], v33 offset:7680
	s_waitcnt lgkmcnt(0)
	v_mul_f64 v[37:38], v[31:32], v[35:36]
	v_mul_f64 v[35:36], v[29:30], v[35:36]
	v_fma_f64 v[29:30], v[29:30], v[33:34], -v[37:38]
	v_fma_f64 v[31:32], v[31:32], v[33:34], v[35:36]
	v_add_f64 v[10:11], v[10:11], -v[29:30]
	v_add_f64 v[12:13], v[12:13], -v[31:32]
.LBB74_232:
	s_or_b64 exec, exec, s[14:15]
	v_cmp_eq_u32_e64 s[14:15], 14, v26
	s_and_b64 s[18:19], s[14:15], s[88:89]
	s_barrier
	s_and_saveexec_b64 s[14:15], s[18:19]
; %bb.233:
	v_xor_b32_e32 v32, 0x80000000, v13
	v_xor_b32_e32 v30, 0x80000000, v11
	v_mov_b32_e32 v29, v10
	v_mov_b32_e32 v31, v12
	ds_write_b128 v28, v[29:32]
; %bb.234:
	s_or_b64 exec, exec, s[14:15]
	v_cmp_gt_u32_e64 s[14:15], 14, v26
	s_and_b64 s[18:19], s[14:15], s[88:89]
	s_waitcnt lgkmcnt(0)
	s_barrier
	s_and_saveexec_b64 s[14:15], s[18:19]
	s_cbranch_execz .LBB74_236
; %bb.235:
	v_lshlrev_b32_e32 v33, 4, v26
	ds_read_b128 v[29:32], v28
	ds_read_b128 v[33:36], v33 offset:7168
	s_waitcnt lgkmcnt(0)
	v_mul_f64 v[37:38], v[31:32], v[35:36]
	v_mul_f64 v[35:36], v[29:30], v[35:36]
	v_fma_f64 v[29:30], v[29:30], v[33:34], -v[37:38]
	v_fma_f64 v[31:32], v[31:32], v[33:34], v[35:36]
	v_add_f64 v[10:11], v[10:11], -v[29:30]
	v_add_f64 v[12:13], v[12:13], -v[31:32]
.LBB74_236:
	s_or_b64 exec, exec, s[14:15]
	v_cmp_eq_u32_e64 s[14:15], 13, v26
	s_and_b64 s[18:19], s[14:15], s[88:89]
	s_barrier
	s_and_saveexec_b64 s[14:15], s[18:19]
; %bb.237:
	v_xor_b32_e32 v32, 0x80000000, v13
	v_xor_b32_e32 v30, 0x80000000, v11
	v_mov_b32_e32 v29, v10
	v_mov_b32_e32 v31, v12
	ds_write_b128 v28, v[29:32]
; %bb.238:
	s_or_b64 exec, exec, s[14:15]
	v_cmp_gt_u32_e64 s[14:15], 13, v26
	s_and_b64 s[18:19], s[14:15], s[88:89]
	s_waitcnt lgkmcnt(0)
	s_barrier
	s_and_saveexec_b64 s[14:15], s[18:19]
	s_cbranch_execz .LBB74_240
; %bb.239:
	v_lshlrev_b32_e32 v33, 4, v26
	ds_read_b128 v[29:32], v28
	ds_read_b128 v[33:36], v33 offset:6656
	s_waitcnt lgkmcnt(0)
	v_mul_f64 v[37:38], v[31:32], v[35:36]
	v_mul_f64 v[35:36], v[29:30], v[35:36]
	v_fma_f64 v[29:30], v[29:30], v[33:34], -v[37:38]
	v_fma_f64 v[31:32], v[31:32], v[33:34], v[35:36]
	v_add_f64 v[10:11], v[10:11], -v[29:30]
	v_add_f64 v[12:13], v[12:13], -v[31:32]
.LBB74_240:
	s_or_b64 exec, exec, s[14:15]
	v_cmp_eq_u32_e64 s[14:15], 12, v26
	s_and_b64 s[18:19], s[14:15], s[88:89]
	s_barrier
	s_and_saveexec_b64 s[14:15], s[18:19]
; %bb.241:
	v_xor_b32_e32 v32, 0x80000000, v13
	v_xor_b32_e32 v30, 0x80000000, v11
	v_mov_b32_e32 v29, v10
	v_mov_b32_e32 v31, v12
	ds_write_b128 v28, v[29:32]
; %bb.242:
	s_or_b64 exec, exec, s[14:15]
	v_cmp_gt_u32_e64 s[14:15], 12, v26
	s_and_b64 s[18:19], s[14:15], s[88:89]
	s_waitcnt lgkmcnt(0)
	s_barrier
	s_and_saveexec_b64 s[14:15], s[18:19]
	s_cbranch_execz .LBB74_244
; %bb.243:
	v_lshlrev_b32_e32 v33, 4, v26
	ds_read_b128 v[29:32], v28
	ds_read_b128 v[33:36], v33 offset:6144
	s_waitcnt lgkmcnt(0)
	v_mul_f64 v[37:38], v[31:32], v[35:36]
	v_mul_f64 v[35:36], v[29:30], v[35:36]
	v_fma_f64 v[29:30], v[29:30], v[33:34], -v[37:38]
	v_fma_f64 v[31:32], v[31:32], v[33:34], v[35:36]
	v_add_f64 v[10:11], v[10:11], -v[29:30]
	v_add_f64 v[12:13], v[12:13], -v[31:32]
.LBB74_244:
	s_or_b64 exec, exec, s[14:15]
	v_cmp_eq_u32_e64 s[14:15], 11, v26
	s_and_b64 s[18:19], s[14:15], s[88:89]
	s_barrier
	s_and_saveexec_b64 s[14:15], s[18:19]
; %bb.245:
	v_xor_b32_e32 v32, 0x80000000, v13
	v_xor_b32_e32 v30, 0x80000000, v11
	v_mov_b32_e32 v29, v10
	v_mov_b32_e32 v31, v12
	ds_write_b128 v28, v[29:32]
; %bb.246:
	s_or_b64 exec, exec, s[14:15]
	v_cmp_gt_u32_e64 s[14:15], 11, v26
	s_and_b64 s[18:19], s[14:15], s[88:89]
	s_waitcnt lgkmcnt(0)
	s_barrier
	s_and_saveexec_b64 s[14:15], s[18:19]
	s_cbranch_execz .LBB74_248
; %bb.247:
	v_lshlrev_b32_e32 v33, 4, v26
	ds_read_b128 v[29:32], v28
	ds_read_b128 v[33:36], v33 offset:5632
	s_waitcnt lgkmcnt(0)
	v_mul_f64 v[37:38], v[31:32], v[35:36]
	v_mul_f64 v[35:36], v[29:30], v[35:36]
	v_fma_f64 v[29:30], v[29:30], v[33:34], -v[37:38]
	v_fma_f64 v[31:32], v[31:32], v[33:34], v[35:36]
	v_add_f64 v[10:11], v[10:11], -v[29:30]
	v_add_f64 v[12:13], v[12:13], -v[31:32]
.LBB74_248:
	s_or_b64 exec, exec, s[14:15]
	v_cmp_eq_u32_e64 s[14:15], 10, v26
	s_and_b64 s[18:19], s[14:15], s[88:89]
	s_barrier
	s_and_saveexec_b64 s[14:15], s[18:19]
; %bb.249:
	v_xor_b32_e32 v32, 0x80000000, v13
	v_xor_b32_e32 v30, 0x80000000, v11
	v_mov_b32_e32 v29, v10
	v_mov_b32_e32 v31, v12
	ds_write_b128 v28, v[29:32]
; %bb.250:
	s_or_b64 exec, exec, s[14:15]
	v_cmp_gt_u32_e64 s[14:15], 10, v26
	s_and_b64 s[18:19], s[14:15], s[88:89]
	s_waitcnt lgkmcnt(0)
	s_barrier
	s_and_saveexec_b64 s[14:15], s[18:19]
	s_cbranch_execz .LBB74_252
; %bb.251:
	v_lshlrev_b32_e32 v33, 4, v26
	ds_read_b128 v[29:32], v28
	ds_read_b128 v[33:36], v33 offset:5120
	s_waitcnt lgkmcnt(0)
	v_mul_f64 v[37:38], v[31:32], v[35:36]
	v_mul_f64 v[35:36], v[29:30], v[35:36]
	v_fma_f64 v[29:30], v[29:30], v[33:34], -v[37:38]
	v_fma_f64 v[31:32], v[31:32], v[33:34], v[35:36]
	v_add_f64 v[10:11], v[10:11], -v[29:30]
	v_add_f64 v[12:13], v[12:13], -v[31:32]
.LBB74_252:
	s_or_b64 exec, exec, s[14:15]
	v_cmp_eq_u32_e64 s[14:15], 9, v26
	s_and_b64 s[18:19], s[14:15], s[88:89]
	s_barrier
	s_and_saveexec_b64 s[14:15], s[18:19]
; %bb.253:
	v_xor_b32_e32 v32, 0x80000000, v13
	v_xor_b32_e32 v30, 0x80000000, v11
	v_mov_b32_e32 v29, v10
	v_mov_b32_e32 v31, v12
	ds_write_b128 v28, v[29:32]
; %bb.254:
	s_or_b64 exec, exec, s[14:15]
	v_cmp_gt_u32_e64 s[14:15], 9, v26
	s_and_b64 s[18:19], s[14:15], s[88:89]
	s_waitcnt lgkmcnt(0)
	s_barrier
	s_and_saveexec_b64 s[14:15], s[18:19]
	s_cbranch_execz .LBB74_256
; %bb.255:
	v_lshlrev_b32_e32 v33, 4, v26
	ds_read_b128 v[29:32], v28
	ds_read_b128 v[33:36], v33 offset:4608
	s_waitcnt lgkmcnt(0)
	v_mul_f64 v[37:38], v[31:32], v[35:36]
	v_mul_f64 v[35:36], v[29:30], v[35:36]
	v_fma_f64 v[29:30], v[29:30], v[33:34], -v[37:38]
	v_fma_f64 v[31:32], v[31:32], v[33:34], v[35:36]
	v_add_f64 v[10:11], v[10:11], -v[29:30]
	v_add_f64 v[12:13], v[12:13], -v[31:32]
.LBB74_256:
	s_or_b64 exec, exec, s[14:15]
	v_cmp_eq_u32_e64 s[14:15], 8, v26
	s_and_b64 s[18:19], s[14:15], s[88:89]
	s_barrier
	s_and_saveexec_b64 s[14:15], s[18:19]
; %bb.257:
	v_xor_b32_e32 v32, 0x80000000, v13
	v_xor_b32_e32 v30, 0x80000000, v11
	v_mov_b32_e32 v29, v10
	v_mov_b32_e32 v31, v12
	ds_write_b128 v28, v[29:32]
; %bb.258:
	s_or_b64 exec, exec, s[14:15]
	v_cmp_gt_u32_e64 s[14:15], 8, v26
	s_and_b64 s[18:19], s[14:15], s[88:89]
	s_waitcnt lgkmcnt(0)
	s_barrier
	s_and_saveexec_b64 s[14:15], s[18:19]
	s_cbranch_execz .LBB74_260
; %bb.259:
	v_lshlrev_b32_e32 v33, 4, v26
	ds_read_b128 v[29:32], v28
	ds_read_b128 v[33:36], v33 offset:4096
	s_waitcnt lgkmcnt(0)
	v_mul_f64 v[37:38], v[31:32], v[35:36]
	v_mul_f64 v[35:36], v[29:30], v[35:36]
	v_fma_f64 v[29:30], v[29:30], v[33:34], -v[37:38]
	v_fma_f64 v[31:32], v[31:32], v[33:34], v[35:36]
	v_add_f64 v[10:11], v[10:11], -v[29:30]
	v_add_f64 v[12:13], v[12:13], -v[31:32]
.LBB74_260:
	s_or_b64 exec, exec, s[14:15]
	v_cmp_eq_u32_e64 s[14:15], 7, v26
	s_and_b64 s[18:19], s[14:15], s[88:89]
	s_barrier
	s_and_saveexec_b64 s[14:15], s[18:19]
; %bb.261:
	v_xor_b32_e32 v32, 0x80000000, v13
	v_xor_b32_e32 v30, 0x80000000, v11
	v_mov_b32_e32 v29, v10
	v_mov_b32_e32 v31, v12
	ds_write_b128 v28, v[29:32]
; %bb.262:
	s_or_b64 exec, exec, s[14:15]
	v_cmp_gt_u32_e64 s[14:15], 7, v26
	s_and_b64 s[18:19], s[14:15], s[88:89]
	s_waitcnt lgkmcnt(0)
	s_barrier
	s_and_saveexec_b64 s[14:15], s[18:19]
	s_cbranch_execz .LBB74_264
; %bb.263:
	v_lshlrev_b32_e32 v33, 4, v26
	ds_read_b128 v[29:32], v28
	ds_read_b128 v[33:36], v33 offset:3584
	s_waitcnt lgkmcnt(0)
	v_mul_f64 v[37:38], v[31:32], v[35:36]
	v_mul_f64 v[35:36], v[29:30], v[35:36]
	v_fma_f64 v[29:30], v[29:30], v[33:34], -v[37:38]
	v_fma_f64 v[31:32], v[31:32], v[33:34], v[35:36]
	v_add_f64 v[10:11], v[10:11], -v[29:30]
	v_add_f64 v[12:13], v[12:13], -v[31:32]
.LBB74_264:
	s_or_b64 exec, exec, s[14:15]
	v_cmp_eq_u32_e64 s[14:15], 6, v26
	s_and_b64 s[18:19], s[14:15], s[88:89]
	s_barrier
	s_and_saveexec_b64 s[14:15], s[18:19]
; %bb.265:
	v_xor_b32_e32 v32, 0x80000000, v13
	v_xor_b32_e32 v30, 0x80000000, v11
	v_mov_b32_e32 v29, v10
	v_mov_b32_e32 v31, v12
	ds_write_b128 v28, v[29:32]
; %bb.266:
	s_or_b64 exec, exec, s[14:15]
	v_cmp_gt_u32_e64 s[14:15], 6, v26
	s_and_b64 s[18:19], s[14:15], s[88:89]
	s_waitcnt lgkmcnt(0)
	s_barrier
	s_and_saveexec_b64 s[14:15], s[18:19]
	s_cbranch_execz .LBB74_268
; %bb.267:
	v_lshlrev_b32_e32 v33, 4, v26
	ds_read_b128 v[29:32], v28
	ds_read_b128 v[33:36], v33 offset:3072
	s_waitcnt lgkmcnt(0)
	v_mul_f64 v[37:38], v[31:32], v[35:36]
	v_mul_f64 v[35:36], v[29:30], v[35:36]
	v_fma_f64 v[29:30], v[29:30], v[33:34], -v[37:38]
	v_fma_f64 v[31:32], v[31:32], v[33:34], v[35:36]
	v_add_f64 v[10:11], v[10:11], -v[29:30]
	v_add_f64 v[12:13], v[12:13], -v[31:32]
.LBB74_268:
	s_or_b64 exec, exec, s[14:15]
	v_cmp_eq_u32_e64 s[14:15], 5, v26
	s_and_b64 s[18:19], s[14:15], s[88:89]
	s_barrier
	s_and_saveexec_b64 s[14:15], s[18:19]
; %bb.269:
	v_xor_b32_e32 v32, 0x80000000, v13
	v_xor_b32_e32 v30, 0x80000000, v11
	v_mov_b32_e32 v29, v10
	v_mov_b32_e32 v31, v12
	ds_write_b128 v28, v[29:32]
; %bb.270:
	s_or_b64 exec, exec, s[14:15]
	v_cmp_gt_u32_e64 s[14:15], 5, v26
	s_and_b64 s[18:19], s[14:15], s[88:89]
	s_waitcnt lgkmcnt(0)
	s_barrier
	s_and_saveexec_b64 s[14:15], s[18:19]
	s_cbranch_execz .LBB74_272
; %bb.271:
	v_lshlrev_b32_e32 v33, 4, v26
	ds_read_b128 v[29:32], v28
	ds_read_b128 v[33:36], v33 offset:2560
	s_waitcnt lgkmcnt(0)
	v_mul_f64 v[37:38], v[31:32], v[35:36]
	v_mul_f64 v[35:36], v[29:30], v[35:36]
	v_fma_f64 v[29:30], v[29:30], v[33:34], -v[37:38]
	v_fma_f64 v[31:32], v[31:32], v[33:34], v[35:36]
	v_add_f64 v[10:11], v[10:11], -v[29:30]
	v_add_f64 v[12:13], v[12:13], -v[31:32]
.LBB74_272:
	s_or_b64 exec, exec, s[14:15]
	v_cmp_eq_u32_e64 s[14:15], 4, v26
	s_and_b64 s[18:19], s[14:15], s[88:89]
	s_barrier
	s_and_saveexec_b64 s[14:15], s[18:19]
; %bb.273:
	v_xor_b32_e32 v32, 0x80000000, v13
	v_xor_b32_e32 v30, 0x80000000, v11
	v_mov_b32_e32 v29, v10
	v_mov_b32_e32 v31, v12
	ds_write_b128 v28, v[29:32]
; %bb.274:
	s_or_b64 exec, exec, s[14:15]
	v_cmp_gt_u32_e64 s[14:15], 4, v26
	s_and_b64 s[18:19], s[14:15], s[88:89]
	s_waitcnt lgkmcnt(0)
	s_barrier
	s_and_saveexec_b64 s[14:15], s[18:19]
	s_cbranch_execz .LBB74_276
; %bb.275:
	v_lshlrev_b32_e32 v33, 4, v26
	ds_read_b128 v[29:32], v28
	ds_read_b128 v[33:36], v33 offset:2048
	s_waitcnt lgkmcnt(0)
	v_mul_f64 v[37:38], v[31:32], v[35:36]
	v_mul_f64 v[35:36], v[29:30], v[35:36]
	v_fma_f64 v[29:30], v[29:30], v[33:34], -v[37:38]
	v_fma_f64 v[31:32], v[31:32], v[33:34], v[35:36]
	v_add_f64 v[10:11], v[10:11], -v[29:30]
	v_add_f64 v[12:13], v[12:13], -v[31:32]
.LBB74_276:
	s_or_b64 exec, exec, s[14:15]
	v_cmp_eq_u32_e64 s[14:15], 3, v26
	s_and_b64 s[18:19], s[14:15], s[88:89]
	s_barrier
	s_and_saveexec_b64 s[14:15], s[18:19]
; %bb.277:
	v_xor_b32_e32 v32, 0x80000000, v13
	v_xor_b32_e32 v30, 0x80000000, v11
	v_mov_b32_e32 v29, v10
	v_mov_b32_e32 v31, v12
	ds_write_b128 v28, v[29:32]
; %bb.278:
	s_or_b64 exec, exec, s[14:15]
	v_cmp_gt_u32_e64 s[14:15], 3, v26
	s_and_b64 s[18:19], s[14:15], s[88:89]
	s_waitcnt lgkmcnt(0)
	s_barrier
	s_and_saveexec_b64 s[14:15], s[18:19]
	s_cbranch_execz .LBB74_280
; %bb.279:
	v_lshlrev_b32_e32 v33, 4, v26
	ds_read_b128 v[29:32], v28
	ds_read_b128 v[33:36], v33 offset:1536
	s_waitcnt lgkmcnt(0)
	v_mul_f64 v[37:38], v[31:32], v[35:36]
	v_mul_f64 v[35:36], v[29:30], v[35:36]
	v_fma_f64 v[29:30], v[29:30], v[33:34], -v[37:38]
	v_fma_f64 v[31:32], v[31:32], v[33:34], v[35:36]
	v_add_f64 v[10:11], v[10:11], -v[29:30]
	v_add_f64 v[12:13], v[12:13], -v[31:32]
.LBB74_280:
	s_or_b64 exec, exec, s[14:15]
	v_cmp_eq_u32_e64 s[14:15], 2, v26
	s_and_b64 s[18:19], s[14:15], s[88:89]
	s_barrier
	s_and_saveexec_b64 s[14:15], s[18:19]
; %bb.281:
	v_xor_b32_e32 v32, 0x80000000, v13
	v_xor_b32_e32 v30, 0x80000000, v11
	v_mov_b32_e32 v29, v10
	v_mov_b32_e32 v31, v12
	ds_write_b128 v28, v[29:32]
; %bb.282:
	s_or_b64 exec, exec, s[14:15]
	v_cmp_gt_u32_e64 s[14:15], 2, v26
	s_and_b64 s[18:19], s[14:15], s[88:89]
	s_waitcnt lgkmcnt(0)
	s_barrier
	s_and_saveexec_b64 s[14:15], s[18:19]
	s_cbranch_execz .LBB74_284
; %bb.283:
	v_lshlrev_b32_e32 v33, 4, v26
	ds_read_b128 v[29:32], v28
	ds_read_b128 v[33:36], v33 offset:1024
	s_waitcnt lgkmcnt(0)
	v_mul_f64 v[37:38], v[31:32], v[35:36]
	v_mul_f64 v[35:36], v[29:30], v[35:36]
	v_fma_f64 v[29:30], v[29:30], v[33:34], -v[37:38]
	v_fma_f64 v[31:32], v[31:32], v[33:34], v[35:36]
	v_add_f64 v[10:11], v[10:11], -v[29:30]
	v_add_f64 v[12:13], v[12:13], -v[31:32]
.LBB74_284:
	s_or_b64 exec, exec, s[14:15]
	v_cmp_eq_u32_e64 s[14:15], 1, v26
	s_and_b64 s[18:19], s[14:15], s[88:89]
	s_barrier
	s_and_saveexec_b64 s[14:15], s[18:19]
; %bb.285:
	v_xor_b32_e32 v32, 0x80000000, v13
	v_xor_b32_e32 v30, 0x80000000, v11
	v_mov_b32_e32 v29, v10
	v_mov_b32_e32 v31, v12
	ds_write_b128 v28, v[29:32]
; %bb.286:
	s_or_b64 exec, exec, s[14:15]
	v_cmp_eq_u32_e64 s[14:15], 0, v26
	s_and_b64 s[14:15], s[14:15], s[88:89]
	s_waitcnt lgkmcnt(0)
	s_barrier
	s_and_saveexec_b64 s[18:19], s[14:15]
	s_cbranch_execz .LBB74_288
; %bb.287:
	v_mov_b32_e32 v33, 0
	ds_read_b128 v[29:32], v28
	ds_read_b128 v[33:36], v33 offset:512
	s_waitcnt lgkmcnt(0)
	v_mul_f64 v[37:38], v[31:32], v[35:36]
	v_mul_f64 v[35:36], v[29:30], v[35:36]
	v_fma_f64 v[29:30], v[29:30], v[33:34], -v[37:38]
	v_fma_f64 v[31:32], v[31:32], v[33:34], v[35:36]
	v_add_f64 v[10:11], v[10:11], -v[29:30]
	v_add_f64 v[12:13], v[12:13], -v[31:32]
.LBB74_288:
	s_or_b64 exec, exec, s[18:19]
	s_barrier
	s_and_saveexec_b64 s[18:19], s[14:15]
; %bb.289:
	v_xor_b32_e32 v32, 0x80000000, v13
	v_xor_b32_e32 v30, 0x80000000, v11
	v_mov_b32_e32 v29, v10
	v_mov_b32_e32 v31, v12
	ds_write_b128 v28, v[29:32]
; %bb.290:
	s_or_b64 exec, exec, s[18:19]
	s_waitcnt lgkmcnt(0)
	s_barrier
	s_barrier
	s_and_saveexec_b64 s[14:15], s[12:13]
; %bb.291:
	v_lshlrev_b32_e32 v26, 4, v26
	v_lshl_or_b32 v26, v27, 9, v26
	ds_write_b128 v26, v[10:13] offset:8192
; %bb.292:
	s_or_b64 exec, exec, s[14:15]
	v_cmp_gt_u32_e64 s[12:13], 16, v0
	s_and_b64 s[12:13], s[10:11], s[12:13]
	s_waitcnt lgkmcnt(0)
	s_barrier
	s_barrier
	s_and_saveexec_b64 s[10:11], s[12:13]
	s_cbranch_execz .LBB74_294
; %bb.293:
	v_lshlrev_b32_e32 v26, 9, v0
	ds_read_b128 v[10:13], v26 offset:8192
	s_movk_i32 s12, 0xfe10
	v_mad_i32_i24 v27, v0, s12, v26
	s_waitcnt lgkmcnt(0)
	ds_write_b128 v27, v[10:13] offset:256
	ds_read_b128 v[10:13], v26 offset:8208
	s_waitcnt lgkmcnt(0)
	ds_write_b128 v27, v[10:13] offset:768
	ds_read_b128 v[10:13], v26 offset:8224
	s_waitcnt lgkmcnt(0)
	ds_write_b128 v27, v[10:13] offset:1280
	ds_read_b128 v[10:13], v26 offset:8240
	s_waitcnt lgkmcnt(0)
	ds_write_b128 v27, v[10:13] offset:1792
	ds_read_b128 v[10:13], v26 offset:8256
	s_waitcnt lgkmcnt(0)
	ds_write_b128 v27, v[10:13] offset:2304
	ds_read_b128 v[10:13], v26 offset:8272
	s_waitcnt lgkmcnt(0)
	ds_write_b128 v27, v[10:13] offset:2816
	ds_read_b128 v[10:13], v26 offset:8288
	s_waitcnt lgkmcnt(0)
	ds_write_b128 v27, v[10:13] offset:3328
	ds_read_b128 v[10:13], v26 offset:8304
	s_waitcnt lgkmcnt(0)
	ds_write_b128 v27, v[10:13] offset:3840
	ds_read_b128 v[10:13], v26 offset:8320
	s_waitcnt lgkmcnt(0)
	ds_write_b128 v27, v[10:13] offset:4352
	ds_read_b128 v[10:13], v26 offset:8336
	s_waitcnt lgkmcnt(0)
	ds_write_b128 v27, v[10:13] offset:4864
	ds_read_b128 v[10:13], v26 offset:8352
	s_waitcnt lgkmcnt(0)
	ds_write_b128 v27, v[10:13] offset:5376
	ds_read_b128 v[10:13], v26 offset:8368
	s_waitcnt lgkmcnt(0)
	ds_write_b128 v27, v[10:13] offset:5888
	ds_read_b128 v[10:13], v26 offset:8384
	s_waitcnt lgkmcnt(0)
	ds_write_b128 v27, v[10:13] offset:6400
	ds_read_b128 v[10:13], v26 offset:8400
	s_waitcnt lgkmcnt(0)
	ds_write_b128 v27, v[10:13] offset:6912
	ds_read_b128 v[10:13], v26 offset:8416
	s_waitcnt lgkmcnt(0)
	ds_write_b128 v27, v[10:13] offset:7424
	ds_read_b128 v[10:13], v26 offset:8432
	s_waitcnt lgkmcnt(0)
	ds_write_b128 v27, v[10:13] offset:7936
.LBB74_294:
	s_or_b64 exec, exec, s[10:11]
	s_waitcnt lgkmcnt(0)
	s_barrier
	s_and_saveexec_b64 s[10:11], vcc
	s_cbranch_execz .LBB74_296
; %bb.295:
	s_mov_b32 s12, 0
	v_mov_b32_e32 v30, 0
	ds_read_b128 v[10:13], v30 offset:7904
	s_mov_b32 s15, s12
	s_mov_b32 s13, 0x3ff00000
	;; [unrolled: 1-line block ×3, first 2 shown]
	v_mov_b32_e32 v29, s15
	v_mov_b32_e32 v28, s14
	;; [unrolled: 1-line block ×4, first 2 shown]
	ds_write_b128 v30, v[26:29] offset:7392
	ds_write_b128 v30, v[26:29] offset:7920
	s_waitcnt lgkmcnt(2)
	ds_write_b128 v30, v[10:13] offset:7408
.LBB74_296:
	s_or_b64 exec, exec, s[10:11]
	v_mov_b32_e32 v10, 0
	v_mov_b32_e32 v12, 0
	v_mov_b32_e32 v11, 0
	v_mov_b32_e32 v13, 0
	s_waitcnt lgkmcnt(0)
	s_barrier
	buffer_wbinvl1_vol
	s_and_saveexec_b64 s[12:13], s[2:3]
	s_cbranch_execz .LBB74_300
; %bb.297:
	v_lshlrev_b32_e32 v26, 4, v14
	v_lshlrev_b32_e32 v10, 9, v15
	ds_read_b128 v[10:13], v10 offset:7392
	ds_read_b128 v[26:29], v26 offset:7360
	v_cmp_gt_u32_e64 s[10:11], 2, v17
	s_waitcnt lgkmcnt(0)
	v_mul_f64 v[30:31], v[12:13], v[28:29]
	v_mul_f64 v[28:29], v[10:11], v[28:29]
	v_fma_f64 v[10:11], v[10:11], v[26:27], -v[30:31]
	v_fma_f64 v[12:13], v[12:13], v[26:27], v[28:29]
	v_add_f64 v[10:11], v[10:11], 0
	v_add_f64 v[12:13], v[12:13], 0
	s_and_saveexec_b64 s[14:15], s[10:11]
	s_cbranch_execz .LBB74_299
; %bb.298:
	v_lshlrev_b32_e32 v30, 4, v0
	v_mov_b32_e32 v26, 0
	ds_read_b128 v[26:29], v26 offset:7920
	ds_read_b128 v[30:33], v30 offset:7872
	s_waitcnt lgkmcnt(0)
	v_mul_f64 v[34:35], v[28:29], v[32:33]
	v_mul_f64 v[32:33], v[26:27], v[32:33]
	v_fma_f64 v[26:27], v[26:27], v[30:31], -v[34:35]
	v_fma_f64 v[28:29], v[28:29], v[30:31], v[32:33]
	v_add_f64 v[10:11], v[10:11], v[26:27]
	v_add_f64 v[12:13], v[12:13], v[28:29]
.LBB74_299:
	s_or_b64 exec, exec, s[14:15]
.LBB74_300:
	s_or_b64 exec, exec, s[12:13]
	s_and_saveexec_b64 s[10:11], s[40:41]
; %bb.301:
	v_xor_b32_e32 v27, 0x80000000, v11
	v_xor_b32_e32 v29, 0x80000000, v13
	v_mov_b32_e32 v26, v10
	v_mov_b32_e32 v28, v12
	ds_write_b128 v16, v[26:29]
; %bb.302:
	s_or_b64 exec, exec, s[10:11]
	s_waitcnt lgkmcnt(0)
	s_barrier
	s_and_saveexec_b64 s[10:11], s[24:25]
	s_cbranch_execz .LBB74_304
; %bb.303:
	v_mov_b32_e32 v30, 0
	ds_read_b128 v[26:29], v16
	ds_read_b128 v[30:33], v30 offset:6848
	s_waitcnt lgkmcnt(0)
	v_mul_f64 v[34:35], v[26:27], v[30:31]
	v_mul_f64 v[26:27], v[26:27], v[32:33]
	v_fma_f64 v[32:33], v[28:29], v[32:33], -v[34:35]
	v_fma_f64 v[26:27], v[28:29], v[30:31], v[26:27]
	v_add_f64 v[10:11], v[10:11], v[32:33]
	v_add_f64 v[12:13], v[12:13], -v[26:27]
.LBB74_304:
	s_or_b64 exec, exec, s[10:11]
	s_barrier
	s_and_saveexec_b64 s[10:11], s[24:25]
; %bb.305:
	v_xor_b32_e32 v27, 0x80000000, v11
	v_xor_b32_e32 v29, 0x80000000, v13
	v_mov_b32_e32 v26, v10
	v_mov_b32_e32 v28, v12
	ds_write_b128 v16, v[26:29]
; %bb.306:
	s_or_b64 exec, exec, s[10:11]
	s_waitcnt lgkmcnt(0)
	s_barrier
	s_barrier
	s_and_saveexec_b64 s[10:11], s[2:3]
; %bb.307:
	v_lshlrev_b32_e32 v26, 4, v14
	v_lshl_or_b32 v26, v15, 9, v26
	ds_write_b128 v26, v[10:13] offset:7360
; %bb.308:
	s_or_b64 exec, exec, s[10:11]
	s_waitcnt lgkmcnt(0)
	s_barrier
	s_barrier
	s_and_saveexec_b64 s[10:11], s[42:43]
	s_cbranch_execz .LBB74_310
; %bb.309:
	v_lshlrev_b32_e32 v26, 9, v0
	ds_read_b128 v[10:13], v26 offset:7360
	s_movk_i32 s12, 0xfe10
	v_mad_i32_i24 v27, v0, s12, v26
	s_waitcnt lgkmcnt(0)
	ds_write_b128 v27, v[10:13] offset:6368
	ds_read_b128 v[10:13], v26 offset:7376
	s_waitcnt lgkmcnt(0)
	ds_write_b128 v27, v[10:13] offset:6880
.LBB74_310:
	s_or_b64 exec, exec, s[10:11]
	s_waitcnt lgkmcnt(0)
	s_barrier
	s_and_saveexec_b64 s[10:11], vcc
	s_cbranch_execz .LBB74_312
; %bb.311:
	s_mov_b32 s12, 0
	v_mov_b32_e32 v30, 0
	ds_read_b128 v[10:13], v30 offset:6848
	s_mov_b32 s15, s12
	s_mov_b32 s13, 0x3ff00000
	;; [unrolled: 1-line block ×3, first 2 shown]
	v_mov_b32_e32 v29, s15
	v_mov_b32_e32 v28, s14
	;; [unrolled: 1-line block ×4, first 2 shown]
	ds_write_b128 v30, v[26:29] offset:6336
	ds_write_b128 v30, v[26:29] offset:6864
	s_waitcnt lgkmcnt(2)
	ds_write_b128 v30, v[10:13] offset:6352
.LBB74_312:
	s_or_b64 exec, exec, s[10:11]
	v_mov_b32_e32 v12, 0
	v_mov_b32_e32 v10, 0
	;; [unrolled: 1-line block ×4, first 2 shown]
	s_waitcnt lgkmcnt(0)
	s_barrier
	buffer_wbinvl1_vol
	s_and_saveexec_b64 s[12:13], s[16:17]
	s_cbranch_execz .LBB74_318
; %bb.313:
	v_lshlrev_b32_e32 v27, 9, v19
	v_lshlrev_b32_e32 v26, 4, v18
	ds_read_b128 v[10:13], v27 offset:6336
	ds_read_b128 v[28:31], v26 offset:6272
	v_cmp_gt_u32_e64 s[10:11], 12, v17
	s_waitcnt lgkmcnt(0)
	v_mul_f64 v[32:33], v[12:13], v[30:31]
	v_mul_f64 v[30:31], v[10:11], v[30:31]
	v_fma_f64 v[10:11], v[10:11], v[28:29], -v[32:33]
	v_fma_f64 v[12:13], v[12:13], v[28:29], v[30:31]
	v_add_f64 v[10:11], v[10:11], 0
	v_add_f64 v[12:13], v[12:13], 0
	s_and_saveexec_b64 s[14:15], s[10:11]
	s_cbranch_execnz .LBB74_533
; %bb.314:
	s_or_b64 exec, exec, s[14:15]
	v_cmp_gt_u32_e64 s[10:11], 8, v17
	s_and_saveexec_b64 s[14:15], s[10:11]
	s_cbranch_execnz .LBB74_534
.LBB74_315:
	s_or_b64 exec, exec, s[14:15]
	v_cmp_gt_u32_e64 s[10:11], 4, v17
	s_and_saveexec_b64 s[14:15], s[10:11]
	s_cbranch_execz .LBB74_317
.LBB74_316:
	v_lshlrev_b32_e32 v30, 4, v0
	v_mov_b32_e32 v26, 0
	ds_read_b128 v[26:29], v26 offset:7920
	ds_read_b128 v[30:33], v30 offset:7808
	s_waitcnt lgkmcnt(0)
	v_mul_f64 v[34:35], v[28:29], v[32:33]
	v_mul_f64 v[32:33], v[26:27], v[32:33]
	v_fma_f64 v[26:27], v[26:27], v[30:31], -v[34:35]
	v_fma_f64 v[28:29], v[28:29], v[30:31], v[32:33]
	v_add_f64 v[10:11], v[10:11], v[26:27]
	v_add_f64 v[12:13], v[12:13], v[28:29]
.LBB74_317:
	s_or_b64 exec, exec, s[14:15]
.LBB74_318:
	s_or_b64 exec, exec, s[12:13]
	s_and_saveexec_b64 s[10:11], s[46:47]
; %bb.319:
	v_xor_b32_e32 v29, 0x80000000, v13
	v_xor_b32_e32 v27, 0x80000000, v11
	v_mov_b32_e32 v26, v10
	v_mov_b32_e32 v28, v12
	ds_write_b128 v20, v[26:29]
; %bb.320:
	s_or_b64 exec, exec, s[10:11]
	s_waitcnt lgkmcnt(0)
	s_barrier
	s_and_saveexec_b64 s[10:11], s[48:49]
	s_cbranch_execz .LBB74_322
; %bb.321:
	v_lshlrev_b32_e32 v30, 4, v18
	ds_read_b128 v[26:29], v20
	ds_read_b128 v[30:33], v30 offset:5760
	s_waitcnt lgkmcnt(0)
	v_mul_f64 v[34:35], v[28:29], v[32:33]
	v_mul_f64 v[32:33], v[26:27], v[32:33]
	v_fma_f64 v[26:27], v[26:27], v[30:31], -v[34:35]
	v_fma_f64 v[28:29], v[28:29], v[30:31], v[32:33]
	v_add_f64 v[10:11], v[10:11], -v[26:27]
	v_add_f64 v[12:13], v[12:13], -v[28:29]
.LBB74_322:
	s_or_b64 exec, exec, s[10:11]
	s_barrier
	s_and_saveexec_b64 s[10:11], s[50:51]
; %bb.323:
	v_xor_b32_e32 v29, 0x80000000, v13
	v_xor_b32_e32 v27, 0x80000000, v11
	v_mov_b32_e32 v26, v10
	v_mov_b32_e32 v28, v12
	ds_write_b128 v20, v[26:29]
; %bb.324:
	s_or_b64 exec, exec, s[10:11]
	s_waitcnt lgkmcnt(0)
	s_barrier
	s_and_saveexec_b64 s[10:11], s[52:53]
	s_cbranch_execz .LBB74_326
; %bb.325:
	v_lshlrev_b32_e32 v30, 4, v18
	ds_read_b128 v[26:29], v20
	ds_read_b128 v[30:33], v30 offset:5248
	s_waitcnt lgkmcnt(0)
	v_mul_f64 v[34:35], v[28:29], v[32:33]
	v_mul_f64 v[32:33], v[26:27], v[32:33]
	v_fma_f64 v[26:27], v[26:27], v[30:31], -v[34:35]
	v_fma_f64 v[28:29], v[28:29], v[30:31], v[32:33]
	v_add_f64 v[10:11], v[10:11], -v[26:27]
	v_add_f64 v[12:13], v[12:13], -v[28:29]
.LBB74_326:
	s_or_b64 exec, exec, s[10:11]
	s_barrier
	s_and_saveexec_b64 s[10:11], s[54:55]
; %bb.327:
	v_xor_b32_e32 v29, 0x80000000, v13
	v_xor_b32_e32 v27, 0x80000000, v11
	v_mov_b32_e32 v26, v10
	v_mov_b32_e32 v28, v12
	ds_write_b128 v20, v[26:29]
; %bb.328:
	s_or_b64 exec, exec, s[10:11]
	s_waitcnt lgkmcnt(0)
	s_barrier
	s_and_saveexec_b64 s[10:11], s[44:45]
	s_cbranch_execz .LBB74_330
; %bb.329:
	v_mov_b32_e32 v30, 0
	ds_read_b128 v[26:29], v20
	ds_read_b128 v[30:33], v30 offset:4736
	s_waitcnt lgkmcnt(0)
	v_mul_f64 v[34:35], v[28:29], v[32:33]
	v_mul_f64 v[32:33], v[26:27], v[32:33]
	v_fma_f64 v[26:27], v[26:27], v[30:31], -v[34:35]
	v_fma_f64 v[28:29], v[28:29], v[30:31], v[32:33]
	v_add_f64 v[10:11], v[10:11], -v[26:27]
	v_add_f64 v[12:13], v[12:13], -v[28:29]
.LBB74_330:
	s_or_b64 exec, exec, s[10:11]
	s_barrier
	s_and_saveexec_b64 s[10:11], s[44:45]
; %bb.331:
	v_xor_b32_e32 v29, 0x80000000, v13
	v_xor_b32_e32 v27, 0x80000000, v11
	v_mov_b32_e32 v26, v10
	v_mov_b32_e32 v28, v12
	ds_write_b128 v20, v[26:29]
; %bb.332:
	s_or_b64 exec, exec, s[10:11]
	s_waitcnt lgkmcnt(0)
	s_barrier
	s_barrier
	s_and_saveexec_b64 s[10:11], s[16:17]
; %bb.333:
	v_lshlrev_b32_e32 v26, 4, v18
	v_lshl_or_b32 v26, v19, 9, v26
	ds_write_b128 v26, v[10:13] offset:6272
; %bb.334:
	s_or_b64 exec, exec, s[10:11]
	s_waitcnt lgkmcnt(0)
	s_barrier
	s_barrier
	s_and_saveexec_b64 s[10:11], s[56:57]
	s_cbranch_execz .LBB74_336
; %bb.335:
	v_lshlrev_b32_e32 v26, 4, v0
	s_movk_i32 s12, 0x1f0
	v_mad_u32_u24 v27, v0, s12, v26
	ds_read_b128 v[10:13], v27 offset:6272
	s_waitcnt lgkmcnt(0)
	ds_write_b128 v26, v[10:13] offset:4288
	ds_read_b128 v[10:13], v27 offset:6288
	s_waitcnt lgkmcnt(0)
	ds_write_b128 v26, v[10:13] offset:4800
	;; [unrolled: 3-line block ×4, first 2 shown]
.LBB74_336:
	s_or_b64 exec, exec, s[10:11]
	s_waitcnt lgkmcnt(0)
	s_barrier
	s_and_saveexec_b64 s[10:11], vcc
	s_cbranch_execz .LBB74_338
; %bb.337:
	s_mov_b32 s12, 0
	v_mov_b32_e32 v30, 0
	ds_read_b128 v[10:13], v30 offset:5792
	s_mov_b32 s15, s12
	s_mov_b32 s13, 0x3ff00000
	;; [unrolled: 1-line block ×3, first 2 shown]
	v_mov_b32_e32 v29, s15
	v_mov_b32_e32 v28, s14
	v_mov_b32_e32 v27, s13
	v_mov_b32_e32 v26, s12
	ds_write_b128 v30, v[26:29] offset:5280
	ds_write_b128 v30, v[26:29] offset:5808
	s_waitcnt lgkmcnt(2)
	ds_write_b128 v30, v[10:13] offset:5296
.LBB74_338:
	s_or_b64 exec, exec, s[10:11]
	v_mov_b32_e32 v10, 0
	v_mov_b32_e32 v12, 0
	;; [unrolled: 1-line block ×4, first 2 shown]
	s_waitcnt lgkmcnt(0)
	s_barrier
	buffer_wbinvl1_vol
	s_and_saveexec_b64 s[12:13], s[2:3]
	s_cbranch_execz .LBB74_342
; %bb.339:
	v_lshlrev_b32_e32 v26, 4, v14
	v_lshlrev_b32_e32 v10, 9, v15
	ds_read_b128 v[10:13], v10 offset:5280
	ds_read_b128 v[26:29], v26 offset:5248
	v_cmp_gt_u32_e64 s[10:11], 2, v17
	s_waitcnt lgkmcnt(0)
	v_mul_f64 v[30:31], v[12:13], v[28:29]
	v_mul_f64 v[28:29], v[10:11], v[28:29]
	v_fma_f64 v[10:11], v[10:11], v[26:27], -v[30:31]
	v_fma_f64 v[12:13], v[12:13], v[26:27], v[28:29]
	v_add_f64 v[10:11], v[10:11], 0
	v_add_f64 v[12:13], v[12:13], 0
	s_and_saveexec_b64 s[14:15], s[10:11]
	s_cbranch_execz .LBB74_341
; %bb.340:
	v_lshlrev_b32_e32 v30, 4, v0
	v_mov_b32_e32 v26, 0
	ds_read_b128 v[26:29], v26 offset:5808
	ds_read_b128 v[30:33], v30 offset:5760
	s_waitcnt lgkmcnt(0)
	v_mul_f64 v[34:35], v[28:29], v[32:33]
	v_mul_f64 v[32:33], v[26:27], v[32:33]
	v_fma_f64 v[26:27], v[26:27], v[30:31], -v[34:35]
	v_fma_f64 v[28:29], v[28:29], v[30:31], v[32:33]
	v_add_f64 v[10:11], v[10:11], v[26:27]
	v_add_f64 v[12:13], v[12:13], v[28:29]
.LBB74_341:
	s_or_b64 exec, exec, s[14:15]
.LBB74_342:
	s_or_b64 exec, exec, s[12:13]
	s_and_saveexec_b64 s[10:11], s[40:41]
; %bb.343:
	v_xor_b32_e32 v27, 0x80000000, v11
	v_xor_b32_e32 v29, 0x80000000, v13
	v_mov_b32_e32 v26, v10
	v_mov_b32_e32 v28, v12
	ds_write_b128 v16, v[26:29]
; %bb.344:
	s_or_b64 exec, exec, s[10:11]
	s_waitcnt lgkmcnt(0)
	s_barrier
	s_and_saveexec_b64 s[10:11], s[24:25]
	s_cbranch_execz .LBB74_346
; %bb.345:
	v_mov_b32_e32 v30, 0
	ds_read_b128 v[26:29], v16
	ds_read_b128 v[30:33], v30 offset:4736
	s_waitcnt lgkmcnt(0)
	v_mul_f64 v[34:35], v[26:27], v[30:31]
	v_mul_f64 v[26:27], v[26:27], v[32:33]
	v_fma_f64 v[32:33], v[28:29], v[32:33], -v[34:35]
	v_fma_f64 v[26:27], v[28:29], v[30:31], v[26:27]
	v_add_f64 v[10:11], v[10:11], v[32:33]
	v_add_f64 v[12:13], v[12:13], -v[26:27]
.LBB74_346:
	s_or_b64 exec, exec, s[10:11]
	s_barrier
	s_and_saveexec_b64 s[10:11], s[24:25]
; %bb.347:
	v_xor_b32_e32 v27, 0x80000000, v11
	v_xor_b32_e32 v29, 0x80000000, v13
	v_mov_b32_e32 v26, v10
	v_mov_b32_e32 v28, v12
	ds_write_b128 v16, v[26:29]
; %bb.348:
	s_or_b64 exec, exec, s[10:11]
	s_waitcnt lgkmcnt(0)
	s_barrier
	s_barrier
	s_and_saveexec_b64 s[10:11], s[2:3]
; %bb.349:
	v_lshlrev_b32_e32 v26, 4, v14
	v_lshl_or_b32 v26, v15, 9, v26
	ds_write_b128 v26, v[10:13] offset:5248
; %bb.350:
	s_or_b64 exec, exec, s[10:11]
	s_waitcnt lgkmcnt(0)
	s_barrier
	s_barrier
	s_and_saveexec_b64 s[10:11], s[42:43]
	s_cbranch_execz .LBB74_352
; %bb.351:
	v_lshlrev_b32_e32 v26, 9, v0
	ds_read_b128 v[10:13], v26 offset:5248
	s_movk_i32 s12, 0xfe10
	v_mad_i32_i24 v27, v0, s12, v26
	s_waitcnt lgkmcnt(0)
	ds_write_b128 v27, v[10:13] offset:4256
	ds_read_b128 v[10:13], v26 offset:5264
	s_waitcnt lgkmcnt(0)
	ds_write_b128 v27, v[10:13] offset:4768
.LBB74_352:
	s_or_b64 exec, exec, s[10:11]
	s_waitcnt lgkmcnt(0)
	s_barrier
	s_and_saveexec_b64 s[10:11], vcc
	s_cbranch_execz .LBB74_354
; %bb.353:
	s_mov_b32 s12, 0
	v_mov_b32_e32 v30, 0
	ds_read_b128 v[10:13], v30 offset:4736
	s_mov_b32 s15, s12
	s_mov_b32 s13, 0x3ff00000
	;; [unrolled: 1-line block ×3, first 2 shown]
	v_mov_b32_e32 v29, s15
	v_mov_b32_e32 v28, s14
	;; [unrolled: 1-line block ×4, first 2 shown]
	ds_write_b128 v30, v[26:29] offset:4224
	ds_write_b128 v30, v[26:29] offset:4752
	s_waitcnt lgkmcnt(2)
	ds_write_b128 v30, v[10:13] offset:4240
.LBB74_354:
	s_or_b64 exec, exec, s[10:11]
	v_mov_b32_e32 v12, 0
	v_mov_b32_e32 v10, 0
	;; [unrolled: 1-line block ×4, first 2 shown]
	s_waitcnt lgkmcnt(0)
	s_barrier
	buffer_wbinvl1_vol
	s_and_saveexec_b64 s[12:13], s[8:9]
	s_cbranch_execz .LBB74_364
; %bb.355:
	v_lshlrev_b32_e32 v27, 9, v24
	v_lshlrev_b32_e32 v26, 4, v21
	ds_read_b128 v[10:13], v27 offset:4224
	ds_read_b128 v[28:31], v26 offset:4096
	v_cmp_gt_u32_e64 s[10:11], 56, v17
	s_waitcnt lgkmcnt(0)
	v_mul_f64 v[32:33], v[12:13], v[30:31]
	v_mul_f64 v[30:31], v[10:11], v[30:31]
	v_fma_f64 v[10:11], v[10:11], v[28:29], -v[32:33]
	v_fma_f64 v[12:13], v[12:13], v[28:29], v[30:31]
	v_add_f64 v[10:11], v[10:11], 0
	v_add_f64 v[12:13], v[12:13], 0
	s_and_saveexec_b64 s[14:15], s[10:11]
	s_cbranch_execnz .LBB74_535
; %bb.356:
	s_or_b64 exec, exec, s[14:15]
	v_cmp_gt_u32_e64 s[10:11], 48, v17
	s_and_saveexec_b64 s[14:15], s[10:11]
	s_cbranch_execnz .LBB74_536
.LBB74_357:
	s_or_b64 exec, exec, s[14:15]
	v_cmp_gt_u32_e64 s[10:11], 40, v17
	s_and_saveexec_b64 s[14:15], s[10:11]
	s_cbranch_execnz .LBB74_537
.LBB74_358:
	s_or_b64 exec, exec, s[14:15]
	v_cmp_gt_u32_e64 s[10:11], 32, v17
	s_and_saveexec_b64 s[14:15], s[10:11]
	s_cbranch_execnz .LBB74_538
.LBB74_359:
	s_or_b64 exec, exec, s[14:15]
	v_cmp_gt_u32_e64 s[10:11], 24, v17
	s_and_saveexec_b64 s[14:15], s[10:11]
	s_cbranch_execnz .LBB74_539
.LBB74_360:
	s_or_b64 exec, exec, s[14:15]
	s_and_saveexec_b64 s[10:11], s[16:17]
	s_cbranch_execnz .LBB74_540
.LBB74_361:
	s_or_b64 exec, exec, s[10:11]
	v_cmp_gt_u32_e64 s[10:11], 8, v17
	s_and_saveexec_b64 s[14:15], s[10:11]
	s_cbranch_execz .LBB74_363
.LBB74_362:
	v_lshlrev_b32_e32 v30, 4, v0
	v_mov_b32_e32 v26, 0
	ds_read_b128 v[26:29], v26 offset:7920
	ds_read_b128 v[30:33], v30 offset:7680
	s_waitcnt lgkmcnt(0)
	v_mul_f64 v[34:35], v[28:29], v[32:33]
	v_mul_f64 v[32:33], v[26:27], v[32:33]
	v_fma_f64 v[26:27], v[26:27], v[30:31], -v[34:35]
	v_fma_f64 v[28:29], v[28:29], v[30:31], v[32:33]
	v_add_f64 v[10:11], v[10:11], v[26:27]
	v_add_f64 v[12:13], v[12:13], v[28:29]
.LBB74_363:
	s_or_b64 exec, exec, s[14:15]
.LBB74_364:
	s_or_b64 exec, exec, s[12:13]
	s_and_saveexec_b64 s[10:11], s[60:61]
; %bb.365:
	v_xor_b32_e32 v27, 0x80000000, v11
	v_xor_b32_e32 v29, 0x80000000, v13
	v_mov_b32_e32 v26, v10
	v_mov_b32_e32 v28, v12
	ds_write_b128 v25, v[26:29]
; %bb.366:
	s_or_b64 exec, exec, s[10:11]
	s_waitcnt lgkmcnt(0)
	s_barrier
	s_and_saveexec_b64 s[10:11], s[62:63]
	s_cbranch_execz .LBB74_368
; %bb.367:
	v_lshlrev_b32_e32 v30, 4, v21
	ds_read_b128 v[26:29], v25
	ds_read_b128 v[30:33], v30 offset:3584
	s_waitcnt lgkmcnt(0)
	v_mul_f64 v[34:35], v[28:29], v[32:33]
	v_mul_f64 v[32:33], v[26:27], v[32:33]
	v_fma_f64 v[26:27], v[26:27], v[30:31], -v[34:35]
	v_fma_f64 v[28:29], v[28:29], v[30:31], v[32:33]
	v_add_f64 v[10:11], v[10:11], -v[26:27]
	v_add_f64 v[12:13], v[12:13], -v[28:29]
.LBB74_368:
	s_or_b64 exec, exec, s[10:11]
	s_barrier
	s_and_saveexec_b64 s[10:11], s[64:65]
; %bb.369:
	v_xor_b32_e32 v27, 0x80000000, v11
	v_xor_b32_e32 v29, 0x80000000, v13
	v_mov_b32_e32 v26, v10
	v_mov_b32_e32 v28, v12
	ds_write_b128 v25, v[26:29]
; %bb.370:
	s_or_b64 exec, exec, s[10:11]
	s_waitcnt lgkmcnt(0)
	s_barrier
	s_and_saveexec_b64 s[10:11], s[66:67]
	s_cbranch_execz .LBB74_372
; %bb.371:
	v_lshlrev_b32_e32 v30, 4, v21
	ds_read_b128 v[26:29], v25
	ds_read_b128 v[30:33], v30 offset:3072
	s_waitcnt lgkmcnt(0)
	v_mul_f64 v[34:35], v[28:29], v[32:33]
	v_mul_f64 v[32:33], v[26:27], v[32:33]
	v_fma_f64 v[26:27], v[26:27], v[30:31], -v[34:35]
	v_fma_f64 v[28:29], v[28:29], v[30:31], v[32:33]
	v_add_f64 v[10:11], v[10:11], -v[26:27]
	v_add_f64 v[12:13], v[12:13], -v[28:29]
.LBB74_372:
	s_or_b64 exec, exec, s[10:11]
	s_barrier
	;; [unrolled: 27-line block ×6, first 2 shown]
	s_and_saveexec_b64 s[10:11], s[84:85]
; %bb.389:
	v_xor_b32_e32 v27, 0x80000000, v11
	v_xor_b32_e32 v29, 0x80000000, v13
	v_mov_b32_e32 v26, v10
	v_mov_b32_e32 v28, v12
	ds_write_b128 v25, v[26:29]
; %bb.390:
	s_or_b64 exec, exec, s[10:11]
	s_waitcnt lgkmcnt(0)
	s_barrier
	s_and_saveexec_b64 s[10:11], s[58:59]
	s_cbranch_execz .LBB74_392
; %bb.391:
	v_mov_b32_e32 v30, 0
	ds_read_b128 v[26:29], v25
	ds_read_b128 v[30:33], v30 offset:512
	s_waitcnt lgkmcnt(0)
	v_mul_f64 v[34:35], v[28:29], v[32:33]
	v_mul_f64 v[32:33], v[26:27], v[32:33]
	v_fma_f64 v[26:27], v[26:27], v[30:31], -v[34:35]
	v_fma_f64 v[28:29], v[28:29], v[30:31], v[32:33]
	v_add_f64 v[10:11], v[10:11], -v[26:27]
	v_add_f64 v[12:13], v[12:13], -v[28:29]
.LBB74_392:
	s_or_b64 exec, exec, s[10:11]
	s_barrier
	s_and_saveexec_b64 s[10:11], s[58:59]
; %bb.393:
	v_xor_b32_e32 v27, 0x80000000, v11
	v_xor_b32_e32 v29, 0x80000000, v13
	v_mov_b32_e32 v26, v10
	v_mov_b32_e32 v28, v12
	ds_write_b128 v25, v[26:29]
; %bb.394:
	s_or_b64 exec, exec, s[10:11]
	s_waitcnt lgkmcnt(0)
	s_barrier
	s_barrier
	s_and_saveexec_b64 s[10:11], s[8:9]
; %bb.395:
	v_lshlrev_b32_e32 v21, 4, v21
	v_lshl_or_b32 v21, v24, 9, v21
	ds_write_b128 v21, v[10:13] offset:4096
; %bb.396:
	s_or_b64 exec, exec, s[10:11]
	s_waitcnt lgkmcnt(0)
	s_barrier
	s_barrier
	s_and_saveexec_b64 s[8:9], s[86:87]
	s_cbranch_execz .LBB74_398
; %bb.397:
	v_lshlrev_b32_e32 v21, 9, v0
	ds_read_b128 v[10:13], v21 offset:4096
	s_movk_i32 s10, 0xfe10
	v_mad_i32_i24 v24, v0, s10, v21
	s_waitcnt lgkmcnt(0)
	ds_write_b128 v24, v[10:13] offset:128
	ds_read_b128 v[10:13], v21 offset:4112
	s_waitcnt lgkmcnt(0)
	ds_write_b128 v24, v[10:13] offset:640
	ds_read_b128 v[10:13], v21 offset:4128
	;; [unrolled: 3-line block ×7, first 2 shown]
	s_waitcnt lgkmcnt(0)
	ds_write_b128 v24, v[10:13] offset:3712
.LBB74_398:
	s_or_b64 exec, exec, s[8:9]
	s_waitcnt lgkmcnt(0)
	s_barrier
	s_and_saveexec_b64 s[8:9], vcc
	s_cbranch_execz .LBB74_400
; %bb.399:
	s_mov_b32 s12, 0
	v_mov_b32_e32 v21, 0
	ds_read_b128 v[10:13], v21 offset:3680
	s_mov_b32 s15, s12
	s_mov_b32 s13, 0x3ff00000
	;; [unrolled: 1-line block ×3, first 2 shown]
	v_mov_b32_e32 v27, s15
	v_mov_b32_e32 v26, s14
	;; [unrolled: 1-line block ×4, first 2 shown]
	ds_write_b128 v21, v[24:27] offset:3168
	ds_write_b128 v21, v[24:27] offset:3696
	s_waitcnt lgkmcnt(2)
	ds_write_b128 v21, v[10:13] offset:3184
.LBB74_400:
	s_or_b64 exec, exec, s[8:9]
	v_mov_b32_e32 v10, 0
	v_mov_b32_e32 v12, 0
	;; [unrolled: 1-line block ×4, first 2 shown]
	s_waitcnt lgkmcnt(0)
	s_barrier
	buffer_wbinvl1_vol
	s_and_saveexec_b64 s[10:11], s[2:3]
	s_cbranch_execz .LBB74_404
; %bb.401:
	v_lshlrev_b32_e32 v10, 9, v15
	v_lshlrev_b32_e32 v21, 4, v14
	ds_read_b128 v[10:13], v10 offset:3168
	ds_read_b128 v[24:27], v21 offset:3136
	v_cmp_gt_u32_e64 s[8:9], 2, v17
	s_waitcnt lgkmcnt(0)
	v_mul_f64 v[28:29], v[12:13], v[26:27]
	v_mul_f64 v[26:27], v[10:11], v[26:27]
	v_fma_f64 v[10:11], v[10:11], v[24:25], -v[28:29]
	v_fma_f64 v[12:13], v[12:13], v[24:25], v[26:27]
	v_add_f64 v[10:11], v[10:11], 0
	v_add_f64 v[12:13], v[12:13], 0
	s_and_saveexec_b64 s[12:13], s[8:9]
	s_cbranch_execz .LBB74_403
; %bb.402:
	v_mov_b32_e32 v24, 0
	v_lshlrev_b32_e32 v21, 4, v0
	ds_read_b128 v[24:27], v24 offset:3696
	ds_read_b128 v[28:31], v21 offset:3648
	s_waitcnt lgkmcnt(0)
	v_mul_f64 v[32:33], v[26:27], v[30:31]
	v_mul_f64 v[30:31], v[24:25], v[30:31]
	v_fma_f64 v[24:25], v[24:25], v[28:29], -v[32:33]
	v_fma_f64 v[26:27], v[26:27], v[28:29], v[30:31]
	v_add_f64 v[10:11], v[10:11], v[24:25]
	v_add_f64 v[12:13], v[12:13], v[26:27]
.LBB74_403:
	s_or_b64 exec, exec, s[12:13]
.LBB74_404:
	s_or_b64 exec, exec, s[10:11]
	s_and_saveexec_b64 s[8:9], s[40:41]
; %bb.405:
	v_xor_b32_e32 v25, 0x80000000, v11
	v_xor_b32_e32 v27, 0x80000000, v13
	v_mov_b32_e32 v24, v10
	v_mov_b32_e32 v26, v12
	ds_write_b128 v16, v[24:27]
; %bb.406:
	s_or_b64 exec, exec, s[8:9]
	s_waitcnt lgkmcnt(0)
	s_barrier
	s_and_saveexec_b64 s[8:9], s[24:25]
	s_cbranch_execz .LBB74_408
; %bb.407:
	v_mov_b32_e32 v21, 0
	ds_read_b128 v[24:27], v16
	ds_read_b128 v[28:31], v21 offset:2624
	s_waitcnt lgkmcnt(0)
	v_mul_f64 v[32:33], v[24:25], v[28:29]
	v_mul_f64 v[24:25], v[24:25], v[30:31]
	v_fma_f64 v[30:31], v[26:27], v[30:31], -v[32:33]
	v_fma_f64 v[24:25], v[26:27], v[28:29], v[24:25]
	v_add_f64 v[10:11], v[10:11], v[30:31]
	v_add_f64 v[12:13], v[12:13], -v[24:25]
.LBB74_408:
	s_or_b64 exec, exec, s[8:9]
	s_barrier
	s_and_saveexec_b64 s[8:9], s[24:25]
; %bb.409:
	v_xor_b32_e32 v25, 0x80000000, v11
	v_xor_b32_e32 v27, 0x80000000, v13
	v_mov_b32_e32 v24, v10
	v_mov_b32_e32 v26, v12
	ds_write_b128 v16, v[24:27]
; %bb.410:
	s_or_b64 exec, exec, s[8:9]
	s_waitcnt lgkmcnt(0)
	s_barrier
	s_barrier
	s_and_saveexec_b64 s[8:9], s[2:3]
; %bb.411:
	v_lshlrev_b32_e32 v21, 4, v14
	v_lshl_or_b32 v21, v15, 9, v21
	ds_write_b128 v21, v[10:13] offset:3136
; %bb.412:
	s_or_b64 exec, exec, s[8:9]
	s_waitcnt lgkmcnt(0)
	s_barrier
	s_barrier
	s_and_saveexec_b64 s[8:9], s[42:43]
	s_cbranch_execz .LBB74_414
; %bb.413:
	v_lshlrev_b32_e32 v21, 9, v0
	ds_read_b128 v[10:13], v21 offset:3136
	s_movk_i32 s10, 0xfe10
	v_mad_i32_i24 v24, v0, s10, v21
	s_waitcnt lgkmcnt(0)
	ds_write_b128 v24, v[10:13] offset:2144
	ds_read_b128 v[10:13], v21 offset:3152
	s_waitcnt lgkmcnt(0)
	ds_write_b128 v24, v[10:13] offset:2656
.LBB74_414:
	s_or_b64 exec, exec, s[8:9]
	s_waitcnt lgkmcnt(0)
	s_barrier
	s_and_saveexec_b64 s[8:9], vcc
	s_cbranch_execz .LBB74_416
; %bb.415:
	s_mov_b32 s12, 0
	v_mov_b32_e32 v21, 0
	ds_read_b128 v[10:13], v21 offset:2624
	s_mov_b32 s15, s12
	s_mov_b32 s13, 0x3ff00000
	;; [unrolled: 1-line block ×3, first 2 shown]
	v_mov_b32_e32 v27, s15
	v_mov_b32_e32 v26, s14
	;; [unrolled: 1-line block ×4, first 2 shown]
	ds_write_b128 v21, v[24:27] offset:2112
	ds_write_b128 v21, v[24:27] offset:2640
	s_waitcnt lgkmcnt(2)
	ds_write_b128 v21, v[10:13] offset:2128
.LBB74_416:
	s_or_b64 exec, exec, s[8:9]
	v_mov_b32_e32 v12, 0
	v_mov_b32_e32 v10, 0
	;; [unrolled: 1-line block ×4, first 2 shown]
	s_waitcnt lgkmcnt(0)
	s_barrier
	buffer_wbinvl1_vol
	s_and_saveexec_b64 s[10:11], s[16:17]
	s_cbranch_execz .LBB74_422
; %bb.417:
	v_lshlrev_b32_e32 v24, 9, v19
	v_lshlrev_b32_e32 v21, 4, v18
	ds_read_b128 v[10:13], v24 offset:2112
	ds_read_b128 v[25:28], v21 offset:2048
	v_cmp_gt_u32_e64 s[8:9], 12, v17
	s_waitcnt lgkmcnt(0)
	v_mul_f64 v[29:30], v[12:13], v[27:28]
	v_mul_f64 v[27:28], v[10:11], v[27:28]
	v_fma_f64 v[10:11], v[10:11], v[25:26], -v[29:30]
	v_fma_f64 v[12:13], v[12:13], v[25:26], v[27:28]
	v_add_f64 v[10:11], v[10:11], 0
	v_add_f64 v[12:13], v[12:13], 0
	s_and_saveexec_b64 s[12:13], s[8:9]
	s_cbranch_execnz .LBB74_541
; %bb.418:
	s_or_b64 exec, exec, s[12:13]
	v_cmp_gt_u32_e64 s[8:9], 8, v17
	s_and_saveexec_b64 s[12:13], s[8:9]
	s_cbranch_execnz .LBB74_542
.LBB74_419:
	s_or_b64 exec, exec, s[12:13]
	v_cmp_gt_u32_e64 s[8:9], 4, v17
	s_and_saveexec_b64 s[12:13], s[8:9]
	s_cbranch_execz .LBB74_421
.LBB74_420:
	v_mov_b32_e32 v24, 0
	v_lshlrev_b32_e32 v21, 4, v0
	ds_read_b128 v[24:27], v24 offset:3696
	ds_read_b128 v[28:31], v21 offset:3584
	s_waitcnt lgkmcnt(0)
	v_mul_f64 v[32:33], v[26:27], v[30:31]
	v_mul_f64 v[30:31], v[24:25], v[30:31]
	v_fma_f64 v[24:25], v[24:25], v[28:29], -v[32:33]
	v_fma_f64 v[26:27], v[26:27], v[28:29], v[30:31]
	v_add_f64 v[10:11], v[10:11], v[24:25]
	v_add_f64 v[12:13], v[12:13], v[26:27]
.LBB74_421:
	s_or_b64 exec, exec, s[12:13]
.LBB74_422:
	s_or_b64 exec, exec, s[10:11]
	s_and_saveexec_b64 s[8:9], s[46:47]
; %bb.423:
	v_xor_b32_e32 v27, 0x80000000, v13
	v_xor_b32_e32 v25, 0x80000000, v11
	v_mov_b32_e32 v24, v10
	v_mov_b32_e32 v26, v12
	ds_write_b128 v20, v[24:27]
; %bb.424:
	s_or_b64 exec, exec, s[8:9]
	s_waitcnt lgkmcnt(0)
	s_barrier
	s_and_saveexec_b64 s[8:9], s[48:49]
	s_cbranch_execz .LBB74_426
; %bb.425:
	v_lshlrev_b32_e32 v21, 4, v18
	ds_read_b128 v[24:27], v20
	ds_read_b128 v[28:31], v21 offset:1536
	s_waitcnt lgkmcnt(0)
	v_mul_f64 v[32:33], v[26:27], v[30:31]
	v_mul_f64 v[30:31], v[24:25], v[30:31]
	v_fma_f64 v[24:25], v[24:25], v[28:29], -v[32:33]
	v_fma_f64 v[26:27], v[26:27], v[28:29], v[30:31]
	v_add_f64 v[10:11], v[10:11], -v[24:25]
	v_add_f64 v[12:13], v[12:13], -v[26:27]
.LBB74_426:
	s_or_b64 exec, exec, s[8:9]
	s_barrier
	s_and_saveexec_b64 s[8:9], s[50:51]
; %bb.427:
	v_xor_b32_e32 v27, 0x80000000, v13
	v_xor_b32_e32 v25, 0x80000000, v11
	v_mov_b32_e32 v24, v10
	v_mov_b32_e32 v26, v12
	ds_write_b128 v20, v[24:27]
; %bb.428:
	s_or_b64 exec, exec, s[8:9]
	s_waitcnt lgkmcnt(0)
	s_barrier
	s_and_saveexec_b64 s[8:9], s[52:53]
	s_cbranch_execz .LBB74_430
; %bb.429:
	v_lshlrev_b32_e32 v21, 4, v18
	ds_read_b128 v[24:27], v20
	ds_read_b128 v[28:31], v21 offset:1024
	s_waitcnt lgkmcnt(0)
	v_mul_f64 v[32:33], v[26:27], v[30:31]
	v_mul_f64 v[30:31], v[24:25], v[30:31]
	v_fma_f64 v[24:25], v[24:25], v[28:29], -v[32:33]
	v_fma_f64 v[26:27], v[26:27], v[28:29], v[30:31]
	v_add_f64 v[10:11], v[10:11], -v[24:25]
	v_add_f64 v[12:13], v[12:13], -v[26:27]
.LBB74_430:
	s_or_b64 exec, exec, s[8:9]
	s_barrier
	s_and_saveexec_b64 s[8:9], s[54:55]
; %bb.431:
	v_xor_b32_e32 v27, 0x80000000, v13
	v_xor_b32_e32 v25, 0x80000000, v11
	v_mov_b32_e32 v24, v10
	v_mov_b32_e32 v26, v12
	ds_write_b128 v20, v[24:27]
; %bb.432:
	s_or_b64 exec, exec, s[8:9]
	s_waitcnt lgkmcnt(0)
	s_barrier
	s_and_saveexec_b64 s[8:9], s[44:45]
	s_cbranch_execz .LBB74_434
; %bb.433:
	v_mov_b32_e32 v21, 0
	ds_read_b128 v[24:27], v20
	ds_read_b128 v[28:31], v21 offset:512
	s_waitcnt lgkmcnt(0)
	v_mul_f64 v[32:33], v[26:27], v[30:31]
	v_mul_f64 v[30:31], v[24:25], v[30:31]
	v_fma_f64 v[24:25], v[24:25], v[28:29], -v[32:33]
	v_fma_f64 v[26:27], v[26:27], v[28:29], v[30:31]
	v_add_f64 v[10:11], v[10:11], -v[24:25]
	v_add_f64 v[12:13], v[12:13], -v[26:27]
.LBB74_434:
	s_or_b64 exec, exec, s[8:9]
	s_barrier
	s_and_saveexec_b64 s[8:9], s[44:45]
; %bb.435:
	v_xor_b32_e32 v27, 0x80000000, v13
	v_xor_b32_e32 v25, 0x80000000, v11
	v_mov_b32_e32 v24, v10
	v_mov_b32_e32 v26, v12
	ds_write_b128 v20, v[24:27]
; %bb.436:
	s_or_b64 exec, exec, s[8:9]
	s_waitcnt lgkmcnt(0)
	s_barrier
	s_barrier
	s_and_saveexec_b64 s[8:9], s[16:17]
; %bb.437:
	v_lshlrev_b32_e32 v18, 4, v18
	v_lshl_or_b32 v18, v19, 9, v18
	ds_write_b128 v18, v[10:13] offset:2048
; %bb.438:
	s_or_b64 exec, exec, s[8:9]
	s_waitcnt lgkmcnt(0)
	s_barrier
	s_barrier
	s_and_saveexec_b64 s[8:9], s[56:57]
	s_cbranch_execz .LBB74_440
; %bb.439:
	v_lshlrev_b32_e32 v18, 4, v0
	s_movk_i32 s10, 0x1f0
	v_mad_u32_u24 v19, v0, s10, v18
	ds_read_b128 v[10:13], v19 offset:2048
	s_waitcnt lgkmcnt(0)
	ds_write_b128 v18, v[10:13] offset:64
	ds_read_b128 v[10:13], v19 offset:2064
	s_waitcnt lgkmcnt(0)
	ds_write_b128 v18, v[10:13] offset:576
	;; [unrolled: 3-line block ×4, first 2 shown]
.LBB74_440:
	s_or_b64 exec, exec, s[8:9]
	s_waitcnt lgkmcnt(0)
	s_barrier
	s_and_saveexec_b64 s[8:9], vcc
	s_cbranch_execz .LBB74_442
; %bb.441:
	s_mov_b32 s12, 0
	v_mov_b32_e32 v24, 0
	ds_read_b128 v[10:13], v24 offset:1568
	s_mov_b32 s15, s12
	s_mov_b32 s13, 0x3ff00000
	;; [unrolled: 1-line block ×3, first 2 shown]
	v_mov_b32_e32 v21, s15
	v_mov_b32_e32 v20, s14
	;; [unrolled: 1-line block ×4, first 2 shown]
	ds_write_b128 v24, v[18:21] offset:1056
	ds_write_b128 v24, v[18:21] offset:1584
	s_waitcnt lgkmcnt(2)
	ds_write_b128 v24, v[10:13] offset:1072
.LBB74_442:
	s_or_b64 exec, exec, s[8:9]
	v_mov_b32_e32 v10, 0
	v_mov_b32_e32 v12, 0
	;; [unrolled: 1-line block ×4, first 2 shown]
	s_waitcnt lgkmcnt(0)
	s_barrier
	buffer_wbinvl1_vol
	s_and_saveexec_b64 s[10:11], s[2:3]
	s_cbranch_execz .LBB74_446
; %bb.443:
	v_lshlrev_b32_e32 v18, 4, v14
	v_lshlrev_b32_e32 v10, 9, v15
	ds_read_b128 v[10:13], v10 offset:1056
	ds_read_b128 v[18:21], v18 offset:1024
	v_cmp_gt_u32_e64 s[8:9], 2, v17
	s_waitcnt lgkmcnt(0)
	v_mul_f64 v[24:25], v[12:13], v[20:21]
	v_mul_f64 v[20:21], v[10:11], v[20:21]
	v_fma_f64 v[10:11], v[10:11], v[18:19], -v[24:25]
	v_fma_f64 v[12:13], v[12:13], v[18:19], v[20:21]
	v_add_f64 v[10:11], v[10:11], 0
	v_add_f64 v[12:13], v[12:13], 0
	s_and_saveexec_b64 s[12:13], s[8:9]
	s_cbranch_execz .LBB74_445
; %bb.444:
	v_mov_b32_e32 v17, 0
	v_lshlrev_b32_e32 v21, 4, v0
	ds_read_b128 v[17:20], v17 offset:1584
	ds_read_b128 v[24:27], v21 offset:1536
	s_waitcnt lgkmcnt(0)
	v_mul_f64 v[28:29], v[19:20], v[26:27]
	v_mul_f64 v[26:27], v[17:18], v[26:27]
	v_fma_f64 v[17:18], v[17:18], v[24:25], -v[28:29]
	v_fma_f64 v[19:20], v[19:20], v[24:25], v[26:27]
	v_add_f64 v[10:11], v[10:11], v[17:18]
	v_add_f64 v[12:13], v[12:13], v[19:20]
.LBB74_445:
	s_or_b64 exec, exec, s[12:13]
.LBB74_446:
	s_or_b64 exec, exec, s[10:11]
	s_and_saveexec_b64 s[8:9], s[40:41]
; %bb.447:
	v_xor_b32_e32 v18, 0x80000000, v11
	v_xor_b32_e32 v20, 0x80000000, v13
	v_mov_b32_e32 v17, v10
	v_mov_b32_e32 v19, v12
	ds_write_b128 v16, v[17:20]
; %bb.448:
	s_or_b64 exec, exec, s[8:9]
	s_waitcnt lgkmcnt(0)
	s_barrier
	s_and_saveexec_b64 s[8:9], s[24:25]
	s_cbranch_execz .LBB74_450
; %bb.449:
	v_mov_b32_e32 v21, 0
	ds_read_b128 v[17:20], v16
	ds_read_b128 v[24:27], v21 offset:512
	s_waitcnt lgkmcnt(0)
	v_mul_f64 v[28:29], v[17:18], v[24:25]
	v_mul_f64 v[17:18], v[17:18], v[26:27]
	v_fma_f64 v[26:27], v[19:20], v[26:27], -v[28:29]
	v_fma_f64 v[17:18], v[19:20], v[24:25], v[17:18]
	v_add_f64 v[10:11], v[10:11], v[26:27]
	v_add_f64 v[12:13], v[12:13], -v[17:18]
.LBB74_450:
	s_or_b64 exec, exec, s[8:9]
	s_barrier
	s_and_saveexec_b64 s[8:9], s[24:25]
; %bb.451:
	v_xor_b32_e32 v18, 0x80000000, v11
	v_xor_b32_e32 v20, 0x80000000, v13
	v_mov_b32_e32 v17, v10
	v_mov_b32_e32 v19, v12
	ds_write_b128 v16, v[17:20]
; %bb.452:
	s_or_b64 exec, exec, s[8:9]
	s_waitcnt lgkmcnt(0)
	s_barrier
	s_barrier
	s_and_saveexec_b64 s[8:9], s[2:3]
; %bb.453:
	v_lshlrev_b32_e32 v14, 4, v14
	v_lshl_or_b32 v14, v15, 9, v14
	ds_write_b128 v14, v[10:13] offset:1024
; %bb.454:
	s_or_b64 exec, exec, s[8:9]
	s_waitcnt lgkmcnt(0)
	s_barrier
	s_barrier
	s_and_saveexec_b64 s[2:3], s[42:43]
	s_cbranch_execz .LBB74_456
; %bb.455:
	v_lshlrev_b32_e32 v14, 9, v0
	ds_read_b128 v[10:13], v14 offset:1024
	s_movk_i32 s8, 0xfe10
	v_mad_i32_i24 v15, v0, s8, v14
	s_waitcnt lgkmcnt(0)
	ds_write_b128 v15, v[10:13] offset:32
	ds_read_b128 v[10:13], v14 offset:1040
	s_waitcnt lgkmcnt(0)
	ds_write_b128 v15, v[10:13] offset:544
.LBB74_456:
	s_or_b64 exec, exec, s[2:3]
	s_waitcnt lgkmcnt(0)
	s_barrier
	s_and_saveexec_b64 s[2:3], vcc
	s_cbranch_execz .LBB74_458
; %bb.457:
	s_mov_b32 s8, 0
	v_mov_b32_e32 v18, 0
	ds_read_b128 v[10:13], v18 offset:512
	s_mov_b32 s11, s8
	s_mov_b32 s9, 0x3ff00000
	;; [unrolled: 1-line block ×3, first 2 shown]
	v_mov_b32_e32 v17, s11
	v_mov_b32_e32 v16, s10
	;; [unrolled: 1-line block ×4, first 2 shown]
	ds_write_b128 v18, v[14:17]
	ds_write_b128 v18, v[14:17] offset:528
	s_waitcnt lgkmcnt(2)
	ds_write_b128 v18, v[10:13] offset:16
.LBB74_458:
	s_or_b64 exec, exec, s[2:3]
.LBB74_459:
	s_load_dwordx4 s[12:15], s[4:5], 0x48
	v_cmp_le_i32_e32 vcc, s7, v0
	v_mov_b32_e32 v10, 0
	v_mov_b32_e32 v11, 0
	;; [unrolled: 1-line block ×3, first 2 shown]
	s_waitcnt lgkmcnt(0)
	s_mul_i32 s3, s13, s34
	s_mul_hi_u32 s4, s12, s34
	s_mul_i32 s2, s12, s34
	s_add_i32 s3, s4, s3
	s_lshl_b64 s[2:3], s[2:3], 4
	s_add_u32 s4, s26, s2
	s_addc_u32 s5, s27, s3
	s_lshl_b64 s[2:3], s[28:29], 4
	s_add_u32 s24, s4, s2
	s_addc_u32 s25, s5, s3
	s_and_b64 s[16:17], vcc, s[22:23]
	v_cmp_eq_u32_e64 s[2:3], 0, v1
	s_xor_b64 s[4:5], s[16:17], -1
	s_and_b64 s[8:9], s[2:3], s[4:5]
	v_lshl_add_u32 v14, s6, 5, v0
	v_mov_b32_e32 v12, v10
	s_barrier
	s_and_saveexec_b64 s[4:5], s[8:9]
	s_cbranch_execz .LBB74_461
; %bb.460:
	v_ashrrev_i32_e32 v12, 31, v14
	v_mul_lo_u32 v13, s31, v14
	v_mad_u64_u32 v[10:11], s[8:9], s30, v14, 0
	v_mul_lo_u32 v12, s30, v12
	v_add3_u32 v11, v11, v12, v13
	v_lshlrev_b64 v[10:11], 4, v[10:11]
	v_mov_b32_e32 v12, s25
	v_add_co_u32_e32 v10, vcc, s24, v10
	v_addc_co_u32_e32 v11, vcc, v12, v11, vcc
	global_load_dwordx4 v[15:18], v[10:11], off
	s_waitcnt vmcnt(0)
	v_mul_f64 v[10:11], s[36:37], v[15:16]
	v_mul_f64 v[12:13], s[36:37], v[17:18]
	v_fma_f64 v[10:11], s[38:39], v[17:18], -v[10:11]
	v_fma_f64 v[12:13], v[15:16], -s[38:39], -v[12:13]
.LBB74_461:
	s_or_b64 exec, exec, s[4:5]
	s_and_b32 s4, 0xffff, s94
	v_mad_u32_u24 v24, v1, s4, v0
	v_mov_b32_e32 v15, 0
	s_cmp_lt_i32 s6, 1
	v_cmp_eq_u32_e64 s[4:5], 0, v24
	s_cbranch_scc1 .LBB74_484
; %bb.462:
	v_mad_u64_u32 v[16:17], s[8:9], s20, v14, 0
	s_mov_b32 s26, 0
	v_cmp_gt_u32_e64 s[12:13], 32, v24
	v_mad_u64_u32 v[17:18], s[8:9], s21, v14, v[17:18]
	s_lshl_b64 s[8:9], s[34:35], 2
	s_add_u32 s18, s14, s8
	v_lshlrev_b64 v[16:17], 4, v[16:17]
	s_addc_u32 s19, s15, s9
	v_mov_b32_e32 v18, 0x6000
	v_cmp_gt_i32_e64 s[8:9], s33, v14
	v_mov_b32_e32 v14, s93
	v_add_co_u32_e32 v27, vcc, s92, v16
	v_lshl_add_u32 v25, v24, 4, v18
	v_lshl_or_b32 v26, v1, 4, v18
	s_add_i32 s27, s6, -1
	v_addc_co_u32_e32 v28, vcc, v14, v17, vcc
	v_mov_b32_e32 v29, -1
	s_branch .LBB74_465
.LBB74_463:                             ;   in Loop: Header=BB74_465 Depth=1
	ds_read_b128 v[30:33], v26 offset:256
	s_waitcnt vmcnt(0) lgkmcnt(0)
	v_mul_f64 v[16:17], v[20:21], v[32:33]
	v_mul_f64 v[32:33], v[18:19], v[32:33]
	v_fma_f64 v[16:17], v[18:19], v[30:31], -v[16:17]
	v_fma_f64 v[18:19], v[20:21], v[30:31], v[32:33]
	v_add_f64 v[10:11], v[10:11], v[16:17]
	v_add_f64 v[12:13], v[12:13], v[18:19]
.LBB74_464:                             ;   in Loop: Header=BB74_465 Depth=1
	s_or_b64 exec, exec, s[20:21]
	s_add_i32 s26, s26, 1
	s_cmp_eq_u32 s26, s6
	s_cbranch_scc1 .LBB74_484
.LBB74_465:                             ; =>This Loop Header: Depth=1
                                        ;     Child Loop BB74_467 Depth 2
	v_cmp_gt_i32_e32 vcc, s26, v29
	s_and_b64 s[20:21], s[4:5], vcc
	s_and_saveexec_b64 s[10:11], s[20:21]
	s_cbranch_execz .LBB74_468
; %bb.466:                              ;   in Loop: Header=BB74_465 Depth=1
	global_load_dword v29, v15, s[18:19]
	s_waitcnt vmcnt(0)
	v_cmp_le_i32_e32 vcc, s26, v29
	s_cbranch_vccnz .LBB74_468
.LBB74_467:                             ;   Parent Loop BB74_465 Depth=1
                                        ; =>  This Inner Loop Header: Depth=2
	buffer_wbinvl1_vol
	global_load_dword v29, v15, s[18:19]
	s_waitcnt vmcnt(0)
	v_cmp_gt_i32_e32 vcc, s26, v29
	s_cbranch_vccnz .LBB74_467
.LBB74_468:                             ;   in Loop: Header=BB74_465 Depth=1
	s_or_b64 exec, exec, s[10:11]
	s_lshl_b32 s28, s26, 5
	buffer_wbinvl1_vol
	s_barrier
	s_and_saveexec_b64 s[10:11], s[12:13]
	s_cbranch_execz .LBB74_473
; %bb.469:                              ;   in Loop: Header=BB74_465 Depth=1
	v_or_b32_e32 v14, s28, v24
	v_cmp_le_i32_e32 vcc, s33, v14
	s_and_saveexec_b64 s[20:21], vcc
	s_xor_b64 s[20:21], exec, s[20:21]
; %bb.470:                              ;   in Loop: Header=BB74_465 Depth=1
	v_mov_b32_e32 v14, v15
	v_mov_b32_e32 v16, v15
	;; [unrolled: 1-line block ×3, first 2 shown]
	ds_write_b128 v25, v[14:17]
                                        ; implicit-def: $vgpr14
; %bb.471:                              ;   in Loop: Header=BB74_465 Depth=1
	s_andn2_saveexec_b64 s[20:21], s[20:21]
	s_cbranch_execz .LBB74_473
; %bb.472:                              ;   in Loop: Header=BB74_465 Depth=1
	v_mad_u64_u32 v[16:17], s[20:21], s30, v14, 0
	v_mad_u64_u32 v[17:18], s[20:21], s31, v14, v[17:18]
	v_mov_b32_e32 v14, s25
	v_lshlrev_b64 v[16:17], 4, v[16:17]
	v_add_co_u32_e32 v16, vcc, s24, v16
	v_addc_co_u32_e32 v17, vcc, v14, v17, vcc
	global_load_dwordx4 v[16:19], v[16:17], off
	s_waitcnt vmcnt(0)
	ds_write2_b64 v25, v[16:17], v[18:19] offset1:1
.LBB74_473:                             ;   in Loop: Header=BB74_465 Depth=1
	s_or_b64 exec, exec, s[10:11]
	v_add_u32_e32 v14, s28, v1
	v_lshlrev_b64 v[16:17], 4, v[14:15]
	s_cmp_lg_u32 s26, s27
	v_add_co_u32_e32 v16, vcc, v27, v16
	s_cselect_b64 s[10:11], -1, 0
	v_addc_co_u32_e32 v17, vcc, v28, v17, vcc
	v_cmp_gt_i32_e32 vcc, s33, v14
	v_cndmask_b32_e64 v18, 0, 1, s[10:11]
	s_and_b64 s[28:29], vcc, s[8:9]
	v_cmp_ne_u32_e64 s[10:11], 1, v18
	s_waitcnt lgkmcnt(0)
	s_barrier
	s_and_saveexec_b64 s[20:21], s[28:29]
	s_cbranch_execz .LBB74_479
; %bb.474:                              ;   in Loop: Header=BB74_465 Depth=1
	v_mov_b32_e32 v19, v7
	s_and_b64 vcc, exec, s[10:11]
	v_mov_b32_e32 v18, v6
	s_cbranch_vccnz .LBB74_476
; %bb.475:                              ;   in Loop: Header=BB74_465 Depth=1
	global_load_dwordx2 v[18:19], v[16:17], off
.LBB74_476:                             ;   in Loop: Header=BB74_465 Depth=1
	v_mov_b32_e32 v21, v9
	s_and_b64 vcc, exec, s[10:11]
	v_mov_b32_e32 v20, v8
	s_cbranch_vccnz .LBB74_478
; %bb.477:                              ;   in Loop: Header=BB74_465 Depth=1
	global_load_dwordx2 v[20:21], v[16:17], off offset:8
.LBB74_478:                             ;   in Loop: Header=BB74_465 Depth=1
	ds_read_b128 v[30:33], v26
	s_waitcnt vmcnt(0) lgkmcnt(0)
	v_mul_f64 v[34:35], v[20:21], v[32:33]
	v_mul_f64 v[32:33], v[18:19], v[32:33]
	v_fma_f64 v[18:19], v[18:19], v[30:31], -v[34:35]
	v_fma_f64 v[20:21], v[20:21], v[30:31], v[32:33]
	v_add_f64 v[10:11], v[10:11], v[18:19]
	v_add_f64 v[12:13], v[12:13], v[20:21]
.LBB74_479:                             ;   in Loop: Header=BB74_465 Depth=1
	s_or_b64 exec, exec, s[20:21]
	v_add_u32_e32 v14, 16, v14
	v_cmp_gt_i32_e32 vcc, s33, v14
	s_and_b64 s[28:29], vcc, s[8:9]
	s_and_saveexec_b64 s[20:21], s[28:29]
	s_cbranch_execz .LBB74_464
; %bb.480:                              ;   in Loop: Header=BB74_465 Depth=1
	v_mov_b32_e32 v19, v3
	s_and_b64 vcc, exec, s[10:11]
	v_mov_b32_e32 v18, v2
	s_cbranch_vccnz .LBB74_482
; %bb.481:                              ;   in Loop: Header=BB74_465 Depth=1
	global_load_dwordx2 v[18:19], v[16:17], off offset:256
.LBB74_482:                             ;   in Loop: Header=BB74_465 Depth=1
	v_mov_b32_e32 v21, v5
	s_and_b64 vcc, exec, s[10:11]
	v_mov_b32_e32 v20, v4
	s_cbranch_vccnz .LBB74_463
; %bb.483:                              ;   in Loop: Header=BB74_465 Depth=1
	global_load_dwordx2 v[20:21], v[16:17], off offset:264
	s_branch .LBB74_463
.LBB74_484:
	s_xor_b64 s[4:5], s[22:23], -1
	v_lshlrev_b32_e32 v6, 4, v23
	ds_write_b128 v6, v[10:13] offset:16384
	s_waitcnt lgkmcnt(0)
	s_barrier
	s_and_saveexec_b64 s[8:9], s[2:3]
	s_cbranch_execz .LBB74_486
; %bb.485:
	v_lshlrev_b32_e32 v18, 4, v0
	ds_read_b128 v[2:5], v18 offset:16896
	ds_read_b128 v[14:17], v18 offset:17408
	s_waitcnt lgkmcnt(1)
	v_add_f64 v[2:3], v[10:11], v[2:3]
	v_add_f64 v[4:5], v[12:13], v[4:5]
	s_waitcnt lgkmcnt(0)
	v_add_f64 v[11:12], v[2:3], v[14:15]
	v_add_f64 v[13:14], v[4:5], v[16:17]
	ds_read_b128 v[2:5], v18 offset:17920
	ds_read_b128 v[7:10], v18 offset:18432
	s_waitcnt lgkmcnt(1)
	v_add_f64 v[2:3], v[11:12], v[2:3]
	v_add_f64 v[4:5], v[13:14], v[4:5]
	s_waitcnt lgkmcnt(0)
	v_add_f64 v[11:12], v[2:3], v[7:8]
	v_add_f64 v[13:14], v[4:5], v[9:10]
	;; [unrolled: 8-line block ×7, first 2 shown]
	ds_read_b128 v[2:5], v18 offset:24064
	s_waitcnt lgkmcnt(0)
	v_add_f64 v[2:3], v[7:8], v[2:3]
	v_add_f64 v[4:5], v[9:10], v[4:5]
	v_xor_b32_e32 v3, 0x80000000, v3
	v_xor_b32_e32 v5, 0x80000000, v5
	v_cndmask_b32_e64 v10, v2, 0, s[16:17]
	v_cndmask_b32_e64 v11, v3, 0, s[16:17]
	;; [unrolled: 1-line block ×4, first 2 shown]
.LBB74_486:
	s_or_b64 exec, exec, s[8:9]
	s_and_b64 vcc, exec, s[0:1]
	s_cbranch_vccnz .LBB74_495
; %bb.487:
	v_mov_b32_e32 v2, 0x6000
	v_lshl_or_b32 v7, v1, 4, v2
	s_and_saveexec_b64 s[0:1], s[2:3]
; %bb.488:
	v_lshl_add_u32 v2, v0, 4, v7
	ds_write_b128 v2, v[10:13]
; %bb.489:
	s_or_b64 exec, exec, s[0:1]
	v_mov_b32_e32 v2, 0
	v_mov_b32_e32 v4, 0
	;; [unrolled: 1-line block ×4, first 2 shown]
	v_cmp_le_u32_e32 vcc, v1, v0
	s_waitcnt lgkmcnt(0)
	s_barrier
	s_and_saveexec_b64 s[0:1], vcc
	s_cbranch_execz .LBB74_491
; %bb.490:
	ds_read_b128 v[2:5], v7
	ds_read_b128 v[14:17], v6
	s_waitcnt lgkmcnt(0)
	v_mul_f64 v[8:9], v[4:5], v[16:17]
	v_mul_f64 v[16:17], v[2:3], v[16:17]
	v_fma_f64 v[2:3], v[2:3], v[14:15], -v[8:9]
	v_fma_f64 v[4:5], v[4:5], v[14:15], v[16:17]
	v_add_f64 v[2:3], v[2:3], 0
	v_add_f64 v[4:5], v[4:5], 0
.LBB74_491:
	s_or_b64 exec, exec, s[0:1]
	v_add_u32_e32 v1, 16, v1
	v_add_u32_e32 v8, 0x4000, v6
	v_cmp_ge_u32_e32 vcc, v0, v1
	s_and_saveexec_b64 s[0:1], vcc
	s_cbranch_execz .LBB74_493
; %bb.492:
	ds_read_b128 v[14:17], v7 offset:256
	ds_read_b128 v[18:21], v6 offset:8192
	s_waitcnt lgkmcnt(0)
	v_mul_f64 v[6:7], v[16:17], v[20:21]
	v_mul_f64 v[20:21], v[14:15], v[20:21]
	v_fma_f64 v[6:7], v[14:15], v[18:19], -v[6:7]
	v_fma_f64 v[14:15], v[16:17], v[18:19], v[20:21]
	v_add_f64 v[2:3], v[2:3], v[6:7]
	v_add_f64 v[4:5], v[4:5], v[14:15]
.LBB74_493:
	s_or_b64 exec, exec, s[0:1]
	s_mov_b64 s[8:9], 0
	s_mov_b64 s[0:1], 0
	ds_write_b128 v8, v[2:5]
	s_waitcnt lgkmcnt(0)
	s_barrier
                                        ; implicit-def: $vgpr8_vgpr9
                                        ; implicit-def: $vgpr14_vgpr15
                                        ; implicit-def: $vgpr6_vgpr7
	s_and_saveexec_b64 s[10:11], s[2:3]
	s_cbranch_execz .LBB74_508
; %bb.494:
	v_lshlrev_b32_e32 v18, 4, v0
	ds_read_b128 v[6:9], v18 offset:16896
	ds_read_b128 v[14:17], v18 offset:17408
	s_mov_b64 s[0:1], exec
	s_waitcnt lgkmcnt(1)
	v_add_f64 v[1:2], v[2:3], v[6:7]
	v_add_f64 v[3:4], v[4:5], v[8:9]
	s_waitcnt lgkmcnt(0)
	v_add_f64 v[14:15], v[1:2], v[14:15]
	v_add_f64 v[16:17], v[3:4], v[16:17]
	ds_read_b128 v[1:4], v18 offset:17920
	ds_read_b128 v[5:8], v18 offset:18432
	s_waitcnt lgkmcnt(1)
	v_add_f64 v[1:2], v[14:15], v[1:2]
	v_add_f64 v[3:4], v[16:17], v[3:4]
	s_waitcnt lgkmcnt(0)
	v_add_f64 v[14:15], v[1:2], v[5:6]
	v_add_f64 v[16:17], v[3:4], v[7:8]
	ds_read_b128 v[1:4], v18 offset:18944
	ds_read_b128 v[5:8], v18 offset:19456
	;; [unrolled: 8-line block ×6, first 2 shown]
	s_waitcnt lgkmcnt(1)
	v_add_f64 v[1:2], v[14:15], v[1:2]
	v_add_f64 v[3:4], v[16:17], v[3:4]
	s_waitcnt lgkmcnt(0)
	v_add_f64 v[14:15], v[1:2], v[5:6]
	v_add_f64 v[8:9], v[3:4], v[7:8]
	ds_read_b128 v[1:4], v18 offset:24064
	v_lshl_add_u32 v5, s6, 5, v24
	v_mad_u64_u32 v[6:7], s[12:13], s30, v5, 0
	s_waitcnt lgkmcnt(0)
	v_add_f64 v[14:15], v[14:15], v[1:2]
	v_add_f64 v[8:9], v[8:9], v[3:4]
	v_mov_b32_e32 v1, v7
	v_mad_u64_u32 v[1:2], s[12:13], s31, v5, v[1:2]
	v_mov_b32_e32 v7, v1
	s_or_b64 exec, exec, s[10:11]
	s_and_b64 vcc, exec, s[8:9]
	s_cbranch_vccnz .LBB74_496
	s_branch .LBB74_509
.LBB74_495:
	s_mov_b64 s[0:1], 0
                                        ; implicit-def: $vgpr8_vgpr9
                                        ; implicit-def: $vgpr14_vgpr15
                                        ; implicit-def: $vgpr6_vgpr7
	s_cbranch_execz .LBB74_509
.LBB74_496:
	s_mov_b32 s10, 0
	v_mov_b32_e32 v1, 0
	v_mov_b32_e32 v2, v0
	s_branch .LBB74_498
.LBB74_497:                             ;   in Loop: Header=BB74_498 Depth=1
	s_or_b64 exec, exec, s[8:9]
	s_add_i32 s10, s10, 2
	v_add_u32_e32 v22, 0x400, v22
	s_cmp_lg_u32 s10, 32
	v_add_u32_e32 v2, -2, v2
	s_barrier
	s_cbranch_scc0 .LBB74_506
.LBB74_498:                             ; =>This Inner Loop Header: Depth=1
	v_cmp_eq_u32_e32 vcc, 0, v2
	s_and_b64 s[12:13], s[2:3], vcc
	s_and_saveexec_b64 s[8:9], s[12:13]
; %bb.499:                              ;   in Loop: Header=BB74_498 Depth=1
	ds_write_b128 v1, v[10:13] offset:25088
; %bb.500:                              ;   in Loop: Header=BB74_498 Depth=1
	s_or_b64 exec, exec, s[8:9]
	v_cmp_lt_u32_e32 vcc, s10, v0
	s_and_b64 s[12:13], s[2:3], vcc
	s_waitcnt lgkmcnt(0)
	s_barrier
	s_and_saveexec_b64 s[8:9], s[12:13]
	s_cbranch_execz .LBB74_502
; %bb.501:                              ;   in Loop: Header=BB74_498 Depth=1
	ds_read_b128 v[3:6], v1 offset:25088
	ds_read_b128 v[14:17], v22
	s_waitcnt lgkmcnt(0)
	v_mul_f64 v[7:8], v[5:6], v[16:17]
	v_mul_f64 v[16:17], v[3:4], v[16:17]
	v_fma_f64 v[3:4], v[3:4], v[14:15], -v[7:8]
	v_fma_f64 v[5:6], v[5:6], v[14:15], v[16:17]
	v_add_f64 v[10:11], v[10:11], v[3:4]
	v_add_f64 v[12:13], v[12:13], v[5:6]
.LBB74_502:                             ;   in Loop: Header=BB74_498 Depth=1
	s_or_b64 exec, exec, s[8:9]
	s_or_b32 s11, s10, 1
	v_cmp_eq_u32_e32 vcc, s11, v0
	s_and_b64 s[12:13], s[2:3], vcc
	s_barrier
	s_and_saveexec_b64 s[8:9], s[12:13]
; %bb.503:                              ;   in Loop: Header=BB74_498 Depth=1
	ds_write_b128 v1, v[10:13] offset:25088
; %bb.504:                              ;   in Loop: Header=BB74_498 Depth=1
	s_or_b64 exec, exec, s[8:9]
	v_cmp_lt_u32_e32 vcc, s11, v0
	s_and_b64 s[12:13], s[2:3], vcc
	s_waitcnt lgkmcnt(0)
	s_barrier
	s_and_saveexec_b64 s[8:9], s[12:13]
	s_cbranch_execz .LBB74_497
; %bb.505:                              ;   in Loop: Header=BB74_498 Depth=1
	ds_read_b128 v[3:6], v1 offset:25088
	ds_read_b128 v[14:17], v22 offset:512
	s_waitcnt lgkmcnt(0)
	v_mul_f64 v[7:8], v[5:6], v[16:17]
	v_mul_f64 v[16:17], v[3:4], v[16:17]
	v_fma_f64 v[3:4], v[3:4], v[14:15], -v[7:8]
	v_fma_f64 v[5:6], v[5:6], v[14:15], v[16:17]
	v_add_f64 v[10:11], v[10:11], v[3:4]
	v_add_f64 v[12:13], v[12:13], v[5:6]
	s_branch .LBB74_497
.LBB74_506:
	s_and_b64 vcc, exec, s[4:5]
	s_cbranch_vccz .LBB74_510
; %bb.507:
	s_and_b64 s[4:5], s[2:3], exec
	s_cbranch_execz .LBB74_511
	s_branch .LBB74_512
.LBB74_508:
	s_or_b64 exec, exec, s[10:11]
	s_and_b64 vcc, exec, s[8:9]
	s_cbranch_vccnz .LBB74_496
.LBB74_509:
	v_mov_b32_e32 v13, v9
	v_mov_b32_e32 v10, v14
	;; [unrolled: 1-line block ×4, first 2 shown]
	s_and_saveexec_b64 s[2:3], s[0:1]
	s_cbranch_execnz .LBB74_515
	s_branch .LBB74_516
.LBB74_510:
	s_mov_b64 s[4:5], 0
.LBB74_511:
	v_cmp_gt_i32_e32 vcc, s7, v0
	s_and_b64 s[2:3], s[2:3], vcc
	s_andn2_b64 s[4:5], s[4:5], exec
	s_and_b64 s[2:3], s[2:3], exec
	s_or_b64 s[4:5], s[4:5], s[2:3]
.LBB74_512:
                                        ; implicit-def: $vgpr6_vgpr7
	s_and_saveexec_b64 s[2:3], s[4:5]
	s_cbranch_execz .LBB74_514
; %bb.513:
	s_lshl_b32 s4, s6, 5
	s_ashr_i32 s5, s4, 31
	v_mov_b32_e32 v0, s5
	v_add_co_u32_e32 v1, vcc, s4, v24
	v_addc_co_u32_e32 v0, vcc, 0, v0, vcc
	v_mul_lo_u32 v0, v0, s30
	v_mul_lo_u32 v2, v1, s31
	v_mad_u64_u32 v[6:7], s[4:5], v1, s30, 0
	s_or_b64 s[0:1], s[0:1], exec
	v_add3_u32 v7, v7, v2, v0
.LBB74_514:
	s_or_b64 exec, exec, s[2:3]
	s_and_saveexec_b64 s[2:3], s[0:1]
	s_cbranch_execz .LBB74_516
.LBB74_515:
	v_lshlrev_b64 v[0:1], 4, v[6:7]
	v_mov_b32_e32 v2, s25
	v_add_co_u32_e32 v0, vcc, s24, v0
	v_addc_co_u32_e32 v1, vcc, v2, v1, vcc
	global_store_dwordx4 v[0:1], v[10:13], off
.LBB74_516:
	s_or_b64 exec, exec, s[2:3]
	v_cmp_eq_u32_e32 vcc, 0, v24
	s_waitcnt vmcnt(0)
	buffer_wbinvl1_vol
	s_barrier
	s_and_saveexec_b64 s[0:1], vcc
	s_cbranch_execz .LBB74_518
; %bb.517:
	s_lshl_b64 s[2:3], s[34:35], 2
	s_add_u32 s2, s14, s2
	s_addc_u32 s3, s15, s3
	v_mov_b32_e32 v0, 0
	global_load_dword v1, v0, s[2:3]
	s_waitcnt vmcnt(0)
	v_add_u32_e32 v1, 1, v1
	global_store_dword v0, v1, s[2:3]
.LBB74_518:
	s_or_b64 exec, exec, s[0:1]
	s_waitcnt vmcnt(0)
	buffer_wbinvl1_vol
	s_endpgm
.LBB74_519:
	ds_read_b128 v[25:28], v24 offset:14800
	ds_read_b128 v[29:32], v21 offset:15232
	s_waitcnt lgkmcnt(0)
	v_mul_f64 v[33:34], v[27:28], v[31:32]
	v_mul_f64 v[31:32], v[25:26], v[31:32]
	v_fma_f64 v[25:26], v[25:26], v[29:30], -v[33:34]
	v_fma_f64 v[27:28], v[27:28], v[29:30], v[31:32]
	v_add_f64 v[10:11], v[10:11], v[25:26]
	v_add_f64 v[12:13], v[12:13], v[27:28]
	s_or_b64 exec, exec, s[18:19]
	v_cmp_gt_u32_e64 s[12:13], 8, v17
	s_and_saveexec_b64 s[18:19], s[12:13]
	s_cbranch_execz .LBB74_57
.LBB74_520:
	ds_read_b128 v[24:27], v24 offset:14816
	ds_read_b128 v[28:31], v21 offset:15744
	s_waitcnt lgkmcnt(0)
	v_mul_f64 v[32:33], v[26:27], v[30:31]
	v_mul_f64 v[30:31], v[24:25], v[30:31]
	v_fma_f64 v[24:25], v[24:25], v[28:29], -v[32:33]
	v_fma_f64 v[26:27], v[26:27], v[28:29], v[30:31]
	v_add_f64 v[10:11], v[10:11], v[24:25]
	v_add_f64 v[12:13], v[12:13], v[26:27]
	s_or_b64 exec, exec, s[18:19]
	v_cmp_gt_u32_e64 s[12:13], 4, v17
	s_and_saveexec_b64 s[18:19], s[12:13]
	s_cbranch_execnz .LBB74_58
	s_branch .LBB74_59
.LBB74_521:
	ds_read_b128 v[28:31], v27 offset:12688
	ds_read_b128 v[32:35], v26 offset:13056
	s_waitcnt lgkmcnt(0)
	v_mul_f64 v[36:37], v[30:31], v[34:35]
	v_mul_f64 v[34:35], v[28:29], v[34:35]
	v_fma_f64 v[28:29], v[28:29], v[32:33], -v[36:37]
	v_fma_f64 v[30:31], v[30:31], v[32:33], v[34:35]
	v_add_f64 v[10:11], v[10:11], v[28:29]
	v_add_f64 v[12:13], v[12:13], v[30:31]
	s_or_b64 exec, exec, s[58:59]
	v_cmp_gt_u32_e64 s[14:15], 48, v17
	s_and_saveexec_b64 s[58:59], s[14:15]
	s_cbranch_execz .LBB74_99
.LBB74_522:
	ds_read_b128 v[28:31], v27 offset:12704
	ds_read_b128 v[32:35], v26 offset:13568
	s_waitcnt lgkmcnt(0)
	v_mul_f64 v[36:37], v[30:31], v[34:35]
	v_mul_f64 v[34:35], v[28:29], v[34:35]
	v_fma_f64 v[28:29], v[28:29], v[32:33], -v[36:37]
	v_fma_f64 v[30:31], v[30:31], v[32:33], v[34:35]
	v_add_f64 v[10:11], v[10:11], v[28:29]
	v_add_f64 v[12:13], v[12:13], v[30:31]
	s_or_b64 exec, exec, s[58:59]
	v_cmp_gt_u32_e64 s[14:15], 40, v17
	s_and_saveexec_b64 s[58:59], s[14:15]
	s_cbranch_execz .LBB74_100
.LBB74_523:
	ds_read_b128 v[28:31], v27 offset:12720
	ds_read_b128 v[32:35], v26 offset:14080
	s_waitcnt lgkmcnt(0)
	v_mul_f64 v[36:37], v[30:31], v[34:35]
	v_mul_f64 v[34:35], v[28:29], v[34:35]
	v_fma_f64 v[28:29], v[28:29], v[32:33], -v[36:37]
	v_fma_f64 v[30:31], v[30:31], v[32:33], v[34:35]
	v_add_f64 v[10:11], v[10:11], v[28:29]
	v_add_f64 v[12:13], v[12:13], v[30:31]
	s_or_b64 exec, exec, s[58:59]
	v_cmp_gt_u32_e64 s[14:15], 32, v17
	s_and_saveexec_b64 s[58:59], s[14:15]
	s_cbranch_execz .LBB74_101
.LBB74_524:
	ds_read_b128 v[28:31], v27 offset:12736
	ds_read_b128 v[32:35], v26 offset:14592
	s_waitcnt lgkmcnt(0)
	v_mul_f64 v[36:37], v[30:31], v[34:35]
	v_mul_f64 v[34:35], v[28:29], v[34:35]
	v_fma_f64 v[28:29], v[28:29], v[32:33], -v[36:37]
	v_fma_f64 v[30:31], v[30:31], v[32:33], v[34:35]
	v_add_f64 v[10:11], v[10:11], v[28:29]
	v_add_f64 v[12:13], v[12:13], v[30:31]
	s_or_b64 exec, exec, s[58:59]
	v_cmp_gt_u32_e64 s[14:15], 24, v17
	s_and_saveexec_b64 s[58:59], s[14:15]
	s_cbranch_execz .LBB74_102
.LBB74_525:
	ds_read_b128 v[28:31], v27 offset:12752
	ds_read_b128 v[32:35], v26 offset:15104
	s_waitcnt lgkmcnt(0)
	v_mul_f64 v[36:37], v[30:31], v[34:35]
	v_mul_f64 v[34:35], v[28:29], v[34:35]
	v_fma_f64 v[28:29], v[28:29], v[32:33], -v[36:37]
	v_fma_f64 v[30:31], v[30:31], v[32:33], v[34:35]
	v_add_f64 v[10:11], v[10:11], v[28:29]
	v_add_f64 v[12:13], v[12:13], v[30:31]
	s_or_b64 exec, exec, s[58:59]
	s_and_saveexec_b64 s[14:15], s[16:17]
	s_cbranch_execz .LBB74_103
.LBB74_526:
	ds_read_b128 v[27:30], v27 offset:12768
	ds_read_b128 v[31:34], v26 offset:15616
	s_waitcnt lgkmcnt(0)
	v_mul_f64 v[35:36], v[29:30], v[33:34]
	v_mul_f64 v[33:34], v[27:28], v[33:34]
	v_fma_f64 v[26:27], v[27:28], v[31:32], -v[35:36]
	v_fma_f64 v[28:29], v[29:30], v[31:32], v[33:34]
	v_add_f64 v[10:11], v[10:11], v[26:27]
	v_add_f64 v[12:13], v[12:13], v[28:29]
	s_or_b64 exec, exec, s[14:15]
	v_cmp_gt_u32_e64 s[14:15], 8, v17
	s_and_saveexec_b64 s[58:59], s[14:15]
	s_cbranch_execnz .LBB74_104
	s_branch .LBB74_105
.LBB74_527:
	ds_read_b128 v[28:31], v27 offset:10576
	ds_read_b128 v[32:35], v26 offset:11008
	s_waitcnt lgkmcnt(0)
	v_mul_f64 v[36:37], v[30:31], v[34:35]
	v_mul_f64 v[34:35], v[28:29], v[34:35]
	v_fma_f64 v[28:29], v[28:29], v[32:33], -v[36:37]
	v_fma_f64 v[30:31], v[30:31], v[32:33], v[34:35]
	v_add_f64 v[10:11], v[10:11], v[28:29]
	v_add_f64 v[12:13], v[12:13], v[30:31]
	s_or_b64 exec, exec, s[18:19]
	v_cmp_gt_u32_e64 s[12:13], 8, v17
	s_and_saveexec_b64 s[18:19], s[12:13]
	s_cbranch_execz .LBB74_161
.LBB74_528:
	ds_read_b128 v[27:30], v27 offset:10592
	ds_read_b128 v[31:34], v26 offset:11520
	s_waitcnt lgkmcnt(0)
	v_mul_f64 v[35:36], v[29:30], v[33:34]
	v_mul_f64 v[33:34], v[27:28], v[33:34]
	v_fma_f64 v[26:27], v[27:28], v[31:32], -v[35:36]
	v_fma_f64 v[28:29], v[29:30], v[31:32], v[33:34]
	v_add_f64 v[10:11], v[10:11], v[26:27]
	v_add_f64 v[12:13], v[12:13], v[28:29]
	s_or_b64 exec, exec, s[18:19]
	v_cmp_gt_u32_e64 s[12:13], 4, v17
	s_and_saveexec_b64 s[18:19], s[12:13]
	s_cbranch_execnz .LBB74_162
	s_branch .LBB74_163
.LBB74_529:
	ds_read_b128 v[31:34], v30 offset:8624
	ds_read_b128 v[35:38], v29 offset:13824
	s_waitcnt lgkmcnt(0)
	v_mul_f64 v[39:40], v[33:34], v[37:38]
	v_mul_f64 v[37:38], v[31:32], v[37:38]
	v_fma_f64 v[31:32], v[31:32], v[35:36], -v[39:40]
	v_fma_f64 v[33:34], v[33:34], v[35:36], v[37:38]
	v_add_f64 v[10:11], v[10:11], v[31:32]
	v_add_f64 v[12:13], v[12:13], v[33:34]
	s_or_b64 exec, exec, s[90:91]
	s_and_saveexec_b64 s[18:19], s[8:9]
	s_cbranch_execz .LBB74_223
.LBB74_530:
	ds_read_b128 v[31:34], v30 offset:8640
	ds_read_b128 v[35:38], v29 offset:14336
	s_waitcnt lgkmcnt(0)
	v_mul_f64 v[39:40], v[33:34], v[37:38]
	v_mul_f64 v[37:38], v[31:32], v[37:38]
	v_fma_f64 v[31:32], v[31:32], v[35:36], -v[39:40]
	v_fma_f64 v[33:34], v[33:34], v[35:36], v[37:38]
	v_add_f64 v[10:11], v[10:11], v[31:32]
	v_add_f64 v[12:13], v[12:13], v[33:34]
	s_or_b64 exec, exec, s[18:19]
	v_cmp_gt_u32_e64 s[18:19], 48, v17
	s_and_saveexec_b64 s[90:91], s[18:19]
	s_cbranch_execz .LBB74_224
.LBB74_531:
	ds_read_b128 v[31:34], v30 offset:8656
	ds_read_b128 v[35:38], v29 offset:14848
	s_waitcnt lgkmcnt(0)
	v_mul_f64 v[39:40], v[33:34], v[37:38]
	v_mul_f64 v[37:38], v[31:32], v[37:38]
	v_fma_f64 v[31:32], v[31:32], v[35:36], -v[39:40]
	v_fma_f64 v[33:34], v[33:34], v[35:36], v[37:38]
	v_add_f64 v[10:11], v[10:11], v[31:32]
	v_add_f64 v[12:13], v[12:13], v[33:34]
	s_or_b64 exec, exec, s[90:91]
	v_cmp_gt_u32_e64 s[18:19], 32, v17
	s_and_saveexec_b64 s[90:91], s[18:19]
	s_cbranch_execz .LBB74_225
.LBB74_532:
	ds_read_b128 v[30:33], v30 offset:8672
	ds_read_b128 v[34:37], v29 offset:15360
	s_waitcnt lgkmcnt(0)
	v_mul_f64 v[38:39], v[32:33], v[36:37]
	v_mul_f64 v[36:37], v[30:31], v[36:37]
	v_fma_f64 v[29:30], v[30:31], v[34:35], -v[38:39]
	v_fma_f64 v[31:32], v[32:33], v[34:35], v[36:37]
	v_add_f64 v[10:11], v[10:11], v[29:30]
	v_add_f64 v[12:13], v[12:13], v[31:32]
	s_or_b64 exec, exec, s[90:91]
	v_cmp_gt_u32_e64 s[18:19], 16, v17
	s_and_saveexec_b64 s[90:91], s[18:19]
	s_cbranch_execnz .LBB74_226
	s_branch .LBB74_227
.LBB74_533:
	ds_read_b128 v[28:31], v27 offset:6352
	ds_read_b128 v[32:35], v26 offset:6784
	s_waitcnt lgkmcnt(0)
	v_mul_f64 v[36:37], v[30:31], v[34:35]
	v_mul_f64 v[34:35], v[28:29], v[34:35]
	v_fma_f64 v[28:29], v[28:29], v[32:33], -v[36:37]
	v_fma_f64 v[30:31], v[30:31], v[32:33], v[34:35]
	v_add_f64 v[10:11], v[10:11], v[28:29]
	v_add_f64 v[12:13], v[12:13], v[30:31]
	s_or_b64 exec, exec, s[14:15]
	v_cmp_gt_u32_e64 s[10:11], 8, v17
	s_and_saveexec_b64 s[14:15], s[10:11]
	s_cbranch_execz .LBB74_315
.LBB74_534:
	ds_read_b128 v[27:30], v27 offset:6368
	ds_read_b128 v[31:34], v26 offset:7296
	s_waitcnt lgkmcnt(0)
	v_mul_f64 v[35:36], v[29:30], v[33:34]
	v_mul_f64 v[33:34], v[27:28], v[33:34]
	v_fma_f64 v[26:27], v[27:28], v[31:32], -v[35:36]
	v_fma_f64 v[28:29], v[29:30], v[31:32], v[33:34]
	v_add_f64 v[10:11], v[10:11], v[26:27]
	v_add_f64 v[12:13], v[12:13], v[28:29]
	s_or_b64 exec, exec, s[14:15]
	v_cmp_gt_u32_e64 s[10:11], 4, v17
	s_and_saveexec_b64 s[14:15], s[10:11]
	s_cbranch_execnz .LBB74_316
	s_branch .LBB74_317
.LBB74_535:
	ds_read_b128 v[28:31], v27 offset:4240
	ds_read_b128 v[32:35], v26 offset:4608
	s_waitcnt lgkmcnt(0)
	v_mul_f64 v[36:37], v[30:31], v[34:35]
	v_mul_f64 v[34:35], v[28:29], v[34:35]
	v_fma_f64 v[28:29], v[28:29], v[32:33], -v[36:37]
	v_fma_f64 v[30:31], v[30:31], v[32:33], v[34:35]
	v_add_f64 v[10:11], v[10:11], v[28:29]
	v_add_f64 v[12:13], v[12:13], v[30:31]
	s_or_b64 exec, exec, s[14:15]
	v_cmp_gt_u32_e64 s[10:11], 48, v17
	s_and_saveexec_b64 s[14:15], s[10:11]
	s_cbranch_execz .LBB74_357
.LBB74_536:
	ds_read_b128 v[28:31], v27 offset:4256
	ds_read_b128 v[32:35], v26 offset:5120
	s_waitcnt lgkmcnt(0)
	v_mul_f64 v[36:37], v[30:31], v[34:35]
	v_mul_f64 v[34:35], v[28:29], v[34:35]
	v_fma_f64 v[28:29], v[28:29], v[32:33], -v[36:37]
	v_fma_f64 v[30:31], v[30:31], v[32:33], v[34:35]
	v_add_f64 v[10:11], v[10:11], v[28:29]
	v_add_f64 v[12:13], v[12:13], v[30:31]
	s_or_b64 exec, exec, s[14:15]
	v_cmp_gt_u32_e64 s[10:11], 40, v17
	s_and_saveexec_b64 s[14:15], s[10:11]
	s_cbranch_execz .LBB74_358
.LBB74_537:
	ds_read_b128 v[28:31], v27 offset:4272
	ds_read_b128 v[32:35], v26 offset:5632
	s_waitcnt lgkmcnt(0)
	v_mul_f64 v[36:37], v[30:31], v[34:35]
	v_mul_f64 v[34:35], v[28:29], v[34:35]
	v_fma_f64 v[28:29], v[28:29], v[32:33], -v[36:37]
	v_fma_f64 v[30:31], v[30:31], v[32:33], v[34:35]
	v_add_f64 v[10:11], v[10:11], v[28:29]
	v_add_f64 v[12:13], v[12:13], v[30:31]
	s_or_b64 exec, exec, s[14:15]
	v_cmp_gt_u32_e64 s[10:11], 32, v17
	s_and_saveexec_b64 s[14:15], s[10:11]
	s_cbranch_execz .LBB74_359
.LBB74_538:
	ds_read_b128 v[28:31], v27 offset:4288
	ds_read_b128 v[32:35], v26 offset:6144
	s_waitcnt lgkmcnt(0)
	v_mul_f64 v[36:37], v[30:31], v[34:35]
	v_mul_f64 v[34:35], v[28:29], v[34:35]
	v_fma_f64 v[28:29], v[28:29], v[32:33], -v[36:37]
	v_fma_f64 v[30:31], v[30:31], v[32:33], v[34:35]
	v_add_f64 v[10:11], v[10:11], v[28:29]
	v_add_f64 v[12:13], v[12:13], v[30:31]
	s_or_b64 exec, exec, s[14:15]
	v_cmp_gt_u32_e64 s[10:11], 24, v17
	s_and_saveexec_b64 s[14:15], s[10:11]
	s_cbranch_execz .LBB74_360
.LBB74_539:
	ds_read_b128 v[28:31], v27 offset:4304
	ds_read_b128 v[32:35], v26 offset:6656
	s_waitcnt lgkmcnt(0)
	v_mul_f64 v[36:37], v[30:31], v[34:35]
	v_mul_f64 v[34:35], v[28:29], v[34:35]
	v_fma_f64 v[28:29], v[28:29], v[32:33], -v[36:37]
	v_fma_f64 v[30:31], v[30:31], v[32:33], v[34:35]
	v_add_f64 v[10:11], v[10:11], v[28:29]
	v_add_f64 v[12:13], v[12:13], v[30:31]
	s_or_b64 exec, exec, s[14:15]
	s_and_saveexec_b64 s[10:11], s[16:17]
	s_cbranch_execz .LBB74_361
.LBB74_540:
	ds_read_b128 v[27:30], v27 offset:4320
	ds_read_b128 v[31:34], v26 offset:7168
	s_waitcnt lgkmcnt(0)
	v_mul_f64 v[35:36], v[29:30], v[33:34]
	v_mul_f64 v[33:34], v[27:28], v[33:34]
	v_fma_f64 v[26:27], v[27:28], v[31:32], -v[35:36]
	v_fma_f64 v[28:29], v[29:30], v[31:32], v[33:34]
	v_add_f64 v[10:11], v[10:11], v[26:27]
	v_add_f64 v[12:13], v[12:13], v[28:29]
	s_or_b64 exec, exec, s[10:11]
	v_cmp_gt_u32_e64 s[10:11], 8, v17
	s_and_saveexec_b64 s[14:15], s[10:11]
	s_cbranch_execnz .LBB74_362
	s_branch .LBB74_363
.LBB74_541:
	ds_read_b128 v[25:28], v24 offset:2128
	ds_read_b128 v[29:32], v21 offset:2560
	s_waitcnt lgkmcnt(0)
	v_mul_f64 v[33:34], v[27:28], v[31:32]
	v_mul_f64 v[31:32], v[25:26], v[31:32]
	v_fma_f64 v[25:26], v[25:26], v[29:30], -v[33:34]
	v_fma_f64 v[27:28], v[27:28], v[29:30], v[31:32]
	v_add_f64 v[10:11], v[10:11], v[25:26]
	v_add_f64 v[12:13], v[12:13], v[27:28]
	s_or_b64 exec, exec, s[12:13]
	v_cmp_gt_u32_e64 s[8:9], 8, v17
	s_and_saveexec_b64 s[12:13], s[8:9]
	s_cbranch_execz .LBB74_419
.LBB74_542:
	ds_read_b128 v[24:27], v24 offset:2144
	ds_read_b128 v[28:31], v21 offset:3072
	s_waitcnt lgkmcnt(0)
	v_mul_f64 v[32:33], v[26:27], v[30:31]
	v_mul_f64 v[30:31], v[24:25], v[30:31]
	v_fma_f64 v[24:25], v[24:25], v[28:29], -v[32:33]
	v_fma_f64 v[26:27], v[26:27], v[28:29], v[30:31]
	v_add_f64 v[10:11], v[10:11], v[24:25]
	v_add_f64 v[12:13], v[12:13], v[26:27]
	s_or_b64 exec, exec, s[12:13]
	v_cmp_gt_u32_e64 s[8:9], 4, v17
	s_and_saveexec_b64 s[12:13], s[8:9]
	s_cbranch_execnz .LBB74_420
	s_branch .LBB74_421
	.section	.rodata,"a",@progbits
	.p2align	6, 0x0
	.amdhsa_kernel _ZL19rocblas_trsv_deviceILi32ELi16ELb0ELb1ELb0ELb1E19rocblas_complex_numIdEPKS1_S3_PS1_EviT7_lllT6_T8_lllPii
		.amdhsa_group_segment_fixed_size 25104
		.amdhsa_private_segment_fixed_size 0
		.amdhsa_kernarg_size 352
		.amdhsa_user_sgpr_count 6
		.amdhsa_user_sgpr_private_segment_buffer 1
		.amdhsa_user_sgpr_dispatch_ptr 0
		.amdhsa_user_sgpr_queue_ptr 0
		.amdhsa_user_sgpr_kernarg_segment_ptr 1
		.amdhsa_user_sgpr_dispatch_id 0
		.amdhsa_user_sgpr_flat_scratch_init 0
		.amdhsa_user_sgpr_private_segment_size 0
		.amdhsa_uses_dynamic_stack 0
		.amdhsa_system_sgpr_private_segment_wavefront_offset 0
		.amdhsa_system_sgpr_workgroup_id_x 1
		.amdhsa_system_sgpr_workgroup_id_y 0
		.amdhsa_system_sgpr_workgroup_id_z 1
		.amdhsa_system_sgpr_workgroup_info 0
		.amdhsa_system_vgpr_workitem_id 1
		.amdhsa_next_free_vgpr 49
		.amdhsa_next_free_sgpr 98
		.amdhsa_reserve_vcc 1
		.amdhsa_reserve_flat_scratch 0
		.amdhsa_float_round_mode_32 0
		.amdhsa_float_round_mode_16_64 0
		.amdhsa_float_denorm_mode_32 3
		.amdhsa_float_denorm_mode_16_64 3
		.amdhsa_dx10_clamp 1
		.amdhsa_ieee_mode 1
		.amdhsa_fp16_overflow 0
		.amdhsa_exception_fp_ieee_invalid_op 0
		.amdhsa_exception_fp_denorm_src 0
		.amdhsa_exception_fp_ieee_div_zero 0
		.amdhsa_exception_fp_ieee_overflow 0
		.amdhsa_exception_fp_ieee_underflow 0
		.amdhsa_exception_fp_ieee_inexact 0
		.amdhsa_exception_int_div_zero 0
	.end_amdhsa_kernel
	.section	.text._ZL19rocblas_trsv_deviceILi32ELi16ELb0ELb1ELb0ELb1E19rocblas_complex_numIdEPKS1_S3_PS1_EviT7_lllT6_T8_lllPii,"axG",@progbits,_ZL19rocblas_trsv_deviceILi32ELi16ELb0ELb1ELb0ELb1E19rocblas_complex_numIdEPKS1_S3_PS1_EviT7_lllT6_T8_lllPii,comdat
.Lfunc_end74:
	.size	_ZL19rocblas_trsv_deviceILi32ELi16ELb0ELb1ELb0ELb1E19rocblas_complex_numIdEPKS1_S3_PS1_EviT7_lllT6_T8_lllPii, .Lfunc_end74-_ZL19rocblas_trsv_deviceILi32ELi16ELb0ELb1ELb0ELb1E19rocblas_complex_numIdEPKS1_S3_PS1_EviT7_lllT6_T8_lllPii
                                        ; -- End function
	.set _ZL19rocblas_trsv_deviceILi32ELi16ELb0ELb1ELb0ELb1E19rocblas_complex_numIdEPKS1_S3_PS1_EviT7_lllT6_T8_lllPii.num_vgpr, 41
	.set _ZL19rocblas_trsv_deviceILi32ELi16ELb0ELb1ELb0ELb1E19rocblas_complex_numIdEPKS1_S3_PS1_EviT7_lllT6_T8_lllPii.num_agpr, 0
	.set _ZL19rocblas_trsv_deviceILi32ELi16ELb0ELb1ELb0ELb1E19rocblas_complex_numIdEPKS1_S3_PS1_EviT7_lllT6_T8_lllPii.numbered_sgpr, 95
	.set _ZL19rocblas_trsv_deviceILi32ELi16ELb0ELb1ELb0ELb1E19rocblas_complex_numIdEPKS1_S3_PS1_EviT7_lllT6_T8_lllPii.num_named_barrier, 0
	.set _ZL19rocblas_trsv_deviceILi32ELi16ELb0ELb1ELb0ELb1E19rocblas_complex_numIdEPKS1_S3_PS1_EviT7_lllT6_T8_lllPii.private_seg_size, 0
	.set _ZL19rocblas_trsv_deviceILi32ELi16ELb0ELb1ELb0ELb1E19rocblas_complex_numIdEPKS1_S3_PS1_EviT7_lllT6_T8_lllPii.uses_vcc, 1
	.set _ZL19rocblas_trsv_deviceILi32ELi16ELb0ELb1ELb0ELb1E19rocblas_complex_numIdEPKS1_S3_PS1_EviT7_lllT6_T8_lllPii.uses_flat_scratch, 0
	.set _ZL19rocblas_trsv_deviceILi32ELi16ELb0ELb1ELb0ELb1E19rocblas_complex_numIdEPKS1_S3_PS1_EviT7_lllT6_T8_lllPii.has_dyn_sized_stack, 0
	.set _ZL19rocblas_trsv_deviceILi32ELi16ELb0ELb1ELb0ELb1E19rocblas_complex_numIdEPKS1_S3_PS1_EviT7_lllT6_T8_lllPii.has_recursion, 0
	.set _ZL19rocblas_trsv_deviceILi32ELi16ELb0ELb1ELb0ELb1E19rocblas_complex_numIdEPKS1_S3_PS1_EviT7_lllT6_T8_lllPii.has_indirect_call, 0
	.section	.AMDGPU.csdata,"",@progbits
; Kernel info:
; codeLenInByte = 22972
; TotalNumSgprs: 99
; NumVgprs: 41
; ScratchSize: 0
; MemoryBound: 1
; FloatMode: 240
; IeeeMode: 1
; LDSByteSize: 25104 bytes/workgroup (compile time only)
; SGPRBlocks: 12
; VGPRBlocks: 12
; NumSGPRsForWavesPerEU: 102
; NumVGPRsForWavesPerEU: 49
; Occupancy: 4
; WaveLimiterHint : 0
; COMPUTE_PGM_RSRC2:SCRATCH_EN: 0
; COMPUTE_PGM_RSRC2:USER_SGPR: 6
; COMPUTE_PGM_RSRC2:TRAP_HANDLER: 0
; COMPUTE_PGM_RSRC2:TGID_X_EN: 1
; COMPUTE_PGM_RSRC2:TGID_Y_EN: 0
; COMPUTE_PGM_RSRC2:TGID_Z_EN: 1
; COMPUTE_PGM_RSRC2:TIDIG_COMP_CNT: 1
	.section	.text._ZL19rocblas_trsv_deviceILi32ELi16ELb0ELb1ELb1ELb1E19rocblas_complex_numIdEPKS1_S3_PS1_EviT7_lllT6_T8_lllPii,"axG",@progbits,_ZL19rocblas_trsv_deviceILi32ELi16ELb0ELb1ELb1ELb1E19rocblas_complex_numIdEPKS1_S3_PS1_EviT7_lllT6_T8_lllPii,comdat
	.globl	_ZL19rocblas_trsv_deviceILi32ELi16ELb0ELb1ELb1ELb1E19rocblas_complex_numIdEPKS1_S3_PS1_EviT7_lllT6_T8_lllPii ; -- Begin function _ZL19rocblas_trsv_deviceILi32ELi16ELb0ELb1ELb1ELb1E19rocblas_complex_numIdEPKS1_S3_PS1_EviT7_lllT6_T8_lllPii
	.p2align	8
	.type	_ZL19rocblas_trsv_deviceILi32ELi16ELb0ELb1ELb1ELb1E19rocblas_complex_numIdEPKS1_S3_PS1_EviT7_lllT6_T8_lllPii,@function
_ZL19rocblas_trsv_deviceILi32ELi16ELb0ELb1ELb1ELb1E19rocblas_complex_numIdEPKS1_S3_PS1_EviT7_lllT6_T8_lllPii: ; @_ZL19rocblas_trsv_deviceILi32ELi16ELb0ELb1ELb1ELb1E19rocblas_complex_numIdEPKS1_S3_PS1_EviT7_lllT6_T8_lllPii
; %bb.0:
	s_load_dwordx16 s[16:31], s[4:5], 0x8
	s_load_dword s33, s[4:5], 0x0
	s_mov_b32 s34, s7
	s_mov_b32 s35, 0
	s_waitcnt lgkmcnt(0)
	s_load_dwordx4 s[36:39], s[24:25], 0x0
	s_load_dword s94, s[4:5], 0x6c
	s_mul_i32 s0, s23, s7
	s_mul_hi_u32 s1, s22, s7
	s_add_i32 s1, s1, s0
	s_mul_i32 s0, s22, s7
	s_lshl_b64 s[0:1], s[0:1], 4
	s_add_u32 s2, s16, s0
	s_addc_u32 s3, s17, s1
	s_lshl_b64 s[0:1], s[18:19], 4
	s_add_u32 s92, s2, s0
	s_addc_u32 s93, s3, s1
	s_cmp_eq_u32 s6, 0
	s_cbranch_scc1 .LBB75_6
; %bb.1:
	s_lshl_b32 s2, s6, 5
	v_add_u32_e32 v6, s2, v0
	v_ashrrev_i32_e32 v2, 31, v6
	v_mul_lo_u32 v7, s20, v2
	v_mul_lo_u32 v8, s21, v6
	v_mad_u64_u32 v[4:5], s[0:1], s20, v6, 0
	v_add_u32_e32 v2, s2, v1
	v_subrev_u32_e32 v2, 32, v2
	v_add3_u32 v5, v5, v7, v8
	v_lshlrev_b64 v[4:5], 4, v[4:5]
	v_ashrrev_i32_e32 v3, 31, v2
	v_cmp_gt_i32_e32 vcc, s33, v6
	v_mov_b32_e32 v6, s93
	v_add_co_u32_e64 v7, s[0:1], s92, v4
	v_lshlrev_b64 v[3:4], 4, v[2:3]
	v_addc_co_u32_e64 v5, s[0:1], v6, v5, s[0:1]
	v_add_co_u32_e64 v10, s[0:1], v7, v3
	v_addc_co_u32_e64 v11, s[0:1], v5, v4, s[0:1]
	v_cmp_gt_i32_e64 s[0:1], s33, v2
	v_mov_b32_e32 v4, 0
	v_mov_b32_e32 v6, 0
	;; [unrolled: 1-line block ×6, first 2 shown]
	s_and_b64 s[2:3], s[0:1], vcc
	s_waitcnt lgkmcnt(0)
	s_barrier
	s_and_saveexec_b64 s[0:1], s[2:3]
	s_cbranch_execz .LBB75_3
; %bb.2:
	global_load_dwordx4 v[6:9], v[10:11], off
.LBB75_3:
	s_or_b64 exec, exec, s[0:1]
	v_add_u32_e32 v2, 16, v2
	v_cmp_gt_i32_e64 s[0:1], s33, v2
	v_mov_b32_e32 v2, 0
	v_mov_b32_e32 v3, 0
	s_and_b64 s[2:3], s[0:1], vcc
	s_waitcnt vmcnt(0)
	s_barrier
	s_and_saveexec_b64 s[0:1], s[2:3]
	s_cbranch_execz .LBB75_5
; %bb.4:
	global_load_dwordx4 v[2:5], v[10:11], off offset:256
.LBB75_5:
	s_or_b64 exec, exec, s[0:1]
	s_branch .LBB75_7
.LBB75_6:
                                        ; implicit-def: $vgpr4_vgpr5
                                        ; implicit-def: $vgpr8_vgpr9
.LBB75_7:
	s_ashr_i32 s0, s33, 31
	s_lshr_b32 s0, s0, 27
	s_add_i32 s0, s33, s0
	s_andn2_b32 s0, s0, 31
	s_sub_i32 s7, s33, s0
	s_add_i32 s0, s33, -1
	s_ashr_i32 s1, s0, 31
	s_lshr_b32 s1, s1, 27
	s_add_i32 s0, s0, s1
	s_ashr_i32 s0, s0, 5
	s_cmp_eq_u32 s0, s6
	s_cselect_b64 s[0:1], -1, 0
	s_cmp_lg_u32 s7, 0
	s_cselect_b64 s[2:3], -1, 0
	s_and_b64 s[22:23], s[2:3], s[0:1]
	s_cmp_lt_i32 s6, 5
	s_cselect_b64 s[2:3], -1, 0
	v_lshlrev_b32_e32 v10, 5, v0
	s_mov_b64 s[12:13], -1
	s_or_b64 s[0:1], s[2:3], s[22:23]
	s_and_b64 vcc, exec, s[22:23]
	v_add_u32_e32 v11, v1, v10
	v_cmp_le_u32_e64 s[8:9], v1, v0
	v_lshlrev_b32_e32 v22, 4, v0
	v_lshl_add_u32 v23, v1, 5, v0
	s_cbranch_vccnz .LBB75_21
; %bb.8:
	s_add_u32 s10, s20, 1
	s_addc_u32 s11, s21, 0
	s_lshl_b32 s12, s6, 5
	s_ashr_i32 s13, s12, 31
	s_mul_hi_u32 s14, s10, s12
	s_mul_i32 s13, s10, s13
	s_add_i32 s13, s14, s13
	s_mul_i32 s11, s11, s12
	s_add_i32 s11, s13, s11
	s_mul_i32 s10, s10, s12
	s_lshl_b64 s[10:11], s[10:11], 4
	s_add_u32 s10, s92, s10
	s_addc_u32 s11, s93, s11
	v_lshlrev_b32_e32 v12, 4, v0
	v_mov_b32_e32 v13, s11
	v_add_co_u32_e32 v12, vcc, s10, v12
	v_addc_co_u32_e32 v13, vcc, 0, v13, vcc
	v_cndmask_b32_e64 v14, v23, v11, s[2:3]
	s_and_saveexec_b64 s[2:3], s[8:9]
	s_xor_b64 s[2:3], exec, s[2:3]
	s_cbranch_execz .LBB75_12
; %bb.9:
	v_or_b32_e32 v15, v1, v0
	v_cmp_gt_u32_e32 vcc, 32, v15
	s_and_saveexec_b64 s[8:9], vcc
	s_cbranch_execz .LBB75_11
; %bb.10:
	v_lshlrev_b32_e32 v18, 4, v14
	v_mov_b32_e32 v14, 0
	v_mov_b32_e32 v15, v14
	;; [unrolled: 1-line block ×4, first 2 shown]
	ds_write_b128 v18, v[14:17]
.LBB75_11:
	s_or_b64 exec, exec, s[8:9]
                                        ; implicit-def: $vgpr14
.LBB75_12:
	s_andn2_saveexec_b64 s[2:3], s[2:3]
	s_cbranch_execz .LBB75_14
; %bb.13:
	v_mad_u64_u32 v[15:16], s[8:9], s20, v1, 0
	v_lshlrev_b32_e32 v14, 4, v14
	v_mad_u64_u32 v[16:17], s[8:9], s21, v1, v[16:17]
	v_lshlrev_b64 v[15:16], 4, v[15:16]
	v_add_co_u32_e32 v15, vcc, v12, v15
	v_addc_co_u32_e32 v16, vcc, v13, v16, vcc
	global_load_dwordx4 v[15:18], v[15:16], off
	s_waitcnt vmcnt(0)
	v_xor_b32_e32 v16, 0x80000000, v16
	ds_write_b128 v14, v[15:18]
.LBB75_14:
	s_or_b64 exec, exec, s[2:3]
	v_add_u32_e32 v15, 16, v1
	v_add_u32_e32 v14, v15, v10
	v_lshl_add_u32 v16, v15, 5, v0
	v_cndmask_b32_e64 v14, v16, v14, s[0:1]
	v_cmp_le_u32_e32 vcc, v15, v0
	s_and_saveexec_b64 s[2:3], vcc
	s_xor_b64 s[2:3], exec, s[2:3]
	s_cbranch_execz .LBB75_18
; %bb.15:
	v_or_b32_e32 v12, v15, v0
	v_cmp_gt_u32_e32 vcc, 32, v12
	s_and_saveexec_b64 s[8:9], vcc
	s_cbranch_execz .LBB75_17
; %bb.16:
	v_mov_b32_e32 v12, 0
	v_lshlrev_b32_e32 v16, 4, v14
	v_mov_b32_e32 v13, v12
	v_mov_b32_e32 v14, v12
	;; [unrolled: 1-line block ×3, first 2 shown]
	ds_write_b128 v16, v[12:15]
.LBB75_17:
	s_or_b64 exec, exec, s[8:9]
                                        ; implicit-def: $vgpr15
                                        ; implicit-def: $vgpr12
                                        ; implicit-def: $vgpr13
                                        ; implicit-def: $vgpr14
.LBB75_18:
	s_andn2_saveexec_b64 s[2:3], s[2:3]
	s_cbranch_execz .LBB75_20
; %bb.19:
	v_mad_u64_u32 v[16:17], s[8:9], s20, v15, 0
	v_mad_u64_u32 v[17:18], s[8:9], s21, v15, v[17:18]
	v_lshlrev_b64 v[15:16], 4, v[16:17]
	v_add_co_u32_e32 v12, vcc, v12, v15
	v_addc_co_u32_e32 v13, vcc, v13, v16, vcc
	global_load_dwordx4 v[15:18], v[12:13], off
	v_lshlrev_b32_e32 v12, 4, v14
	s_waitcnt vmcnt(0)
	v_xor_b32_e32 v16, 0x80000000, v16
	ds_write_b128 v12, v[15:18]
.LBB75_20:
	s_or_b64 exec, exec, s[2:3]
	s_mov_b64 s[12:13], 0
.LBB75_21:
	s_xor_b64 s[10:11], s[0:1], -1
	s_and_b64 vcc, exec, s[12:13]
	s_cbranch_vccz .LBB75_35
; %bb.22:
	s_add_u32 s2, s20, 1
	s_addc_u32 s3, s21, 0
	s_lshl_b32 s8, s6, 5
	s_ashr_i32 s9, s8, 31
	s_mul_hi_u32 s12, s2, s8
	s_mul_i32 s9, s2, s9
	s_add_i32 s9, s12, s9
	s_mul_i32 s3, s3, s8
	s_add_i32 s3, s9, s3
	s_mul_i32 s2, s2, s8
	s_lshl_b64 s[2:3], s[2:3], 4
	s_add_u32 s2, s92, s2
	s_addc_u32 s3, s93, s3
	v_lshlrev_b32_e32 v12, 4, v0
	v_mov_b32_e32 v13, s3
	v_add_co_u32_e64 v12, s[2:3], s2, v12
	v_addc_co_u32_e64 v13, s[2:3], 0, v13, s[2:3]
	v_max_i32_e32 v14, v1, v0
	v_cmp_le_u32_e64 s[2:3], v1, v0
	v_cmp_le_i32_e64 s[8:9], s7, v14
	v_cmp_gt_i32_e32 vcc, s7, v0
	s_or_b64 s[2:3], s[8:9], s[2:3]
	s_and_saveexec_b64 s[8:9], s[2:3]
	s_xor_b64 s[8:9], exec, s[8:9]
	s_cbranch_execz .LBB75_26
; %bb.23:
	v_or_b32_e32 v14, v1, v0
	v_cmp_gt_u32_e64 s[2:3], 32, v14
	s_and_saveexec_b64 s[12:13], s[2:3]
	s_cbranch_execz .LBB75_25
; %bb.24:
	v_mov_b32_e32 v14, 0
	v_lshlrev_b32_e32 v11, 4, v11
	v_mov_b32_e32 v15, v14
	v_mov_b32_e32 v16, v14
	;; [unrolled: 1-line block ×3, first 2 shown]
	ds_write_b128 v11, v[14:17]
.LBB75_25:
	s_or_b64 exec, exec, s[12:13]
                                        ; implicit-def: $vgpr11
.LBB75_26:
	s_andn2_saveexec_b64 s[8:9], s[8:9]
	s_cbranch_execz .LBB75_28
; %bb.27:
	v_mad_u64_u32 v[14:15], s[2:3], s20, v1, 0
	v_lshlrev_b32_e32 v11, 4, v11
	v_mad_u64_u32 v[15:16], s[2:3], s21, v1, v[15:16]
	v_lshlrev_b64 v[14:15], 4, v[14:15]
	v_add_co_u32_e64 v14, s[2:3], v12, v14
	v_addc_co_u32_e64 v15, s[2:3], v13, v15, s[2:3]
	global_load_dwordx4 v[14:17], v[14:15], off
	s_waitcnt vmcnt(0)
	v_xor_b32_e32 v15, 0x80000000, v15
	ds_write_b128 v11, v[14:17]
.LBB75_28:
	s_or_b64 exec, exec, s[8:9]
	v_add_u32_e32 v11, 16, v1
	v_add_u32_e32 v10, v11, v10
	v_lshl_add_u32 v14, v11, 5, v0
	v_cndmask_b32_e64 v10, v14, v10, s[0:1]
	v_cmp_gt_u32_e64 s[0:1], v11, v0
	v_cmp_gt_i32_e64 s[2:3], s7, v11
	s_and_b64 s[0:1], s[0:1], s[2:3]
	s_and_b64 s[0:1], s[0:1], vcc
	s_xor_b64 s[0:1], s[0:1], -1
	s_and_saveexec_b64 s[2:3], s[0:1]
	s_xor_b64 s[0:1], exec, s[2:3]
	s_cbranch_execz .LBB75_32
; %bb.29:
	v_or_b32_e32 v11, v11, v0
	v_cmp_gt_u32_e32 vcc, 32, v11
	s_and_saveexec_b64 s[2:3], vcc
	s_cbranch_execz .LBB75_31
; %bb.30:
	v_lshlrev_b32_e32 v14, 4, v10
	v_mov_b32_e32 v10, 0
	v_mov_b32_e32 v11, v10
	;; [unrolled: 1-line block ×4, first 2 shown]
	ds_write_b128 v14, v[10:13]
.LBB75_31:
	s_or_b64 exec, exec, s[2:3]
                                        ; implicit-def: $vgpr11
                                        ; implicit-def: $vgpr12
                                        ; implicit-def: $vgpr13
                                        ; implicit-def: $vgpr10
.LBB75_32:
	s_andn2_saveexec_b64 s[0:1], s[0:1]
	s_cbranch_execz .LBB75_34
; %bb.33:
	v_mad_u64_u32 v[14:15], s[2:3], s20, v11, 0
	v_lshlrev_b32_e32 v10, 4, v10
	v_mad_u64_u32 v[15:16], s[2:3], s21, v11, v[15:16]
	v_lshlrev_b64 v[14:15], 4, v[14:15]
	v_add_co_u32_e32 v11, vcc, v12, v14
	v_addc_co_u32_e32 v12, vcc, v13, v15, vcc
	global_load_dwordx4 v[11:14], v[11:12], off
	s_waitcnt vmcnt(0)
	v_xor_b32_e32 v12, 0x80000000, v12
	ds_write_b128 v10, v[11:14]
.LBB75_34:
	s_or_b64 exec, exec, s[0:1]
.LBB75_35:
	v_cndmask_b32_e64 v10, 0, 1, s[10:11]
	v_cmp_ne_u32_e64 s[0:1], 1, v10
	s_andn2_b64 vcc, exec, s[10:11]
	s_waitcnt vmcnt(0) lgkmcnt(0)
	s_barrier
	s_cbranch_vccnz .LBB75_459
; %bb.36:
	v_or_b32_e32 v10, v0, v1
	s_mov_b32 s8, 0
	v_cmp_eq_u32_e32 vcc, 0, v10
	s_and_saveexec_b64 s[2:3], vcc
	s_cbranch_execz .LBB75_38
; %bb.37:
	v_mov_b32_e32 v18, 0
	ds_read_b128 v[10:13], v18 offset:16352
	s_mov_b32 s11, s8
	s_mov_b32 s9, 0x3ff00000
	;; [unrolled: 1-line block ×3, first 2 shown]
	v_mov_b32_e32 v17, s11
	v_mov_b32_e32 v16, s10
	;; [unrolled: 1-line block ×4, first 2 shown]
	ds_write_b128 v18, v[14:17] offset:15840
	ds_write_b128 v18, v[14:17] offset:16368
	s_waitcnt lgkmcnt(2)
	ds_write_b128 v18, v[10:13] offset:15856
.LBB75_38:
	s_or_b64 exec, exec, s[2:3]
	v_lshlrev_b32_e32 v10, 5, v1
	v_add_u32_e32 v17, v10, v0
	v_add_u16_e32 v10, v10, v0
	v_lshrrev_b16_e32 v16, 1, v10
	v_mov_b32_e32 v10, 0
	v_mov_b32_e32 v12, 0
	v_and_b32_e32 v14, 1, v0
	v_sub_u32_e32 v15, 1, v16
	v_cmp_lt_u32_e64 s[8:9], 3, v17
	v_mov_b32_e32 v11, 0
	v_mov_b32_e32 v13, 0
	v_cmp_gt_u32_e64 s[2:3], 4, v17
	s_waitcnt lgkmcnt(0)
	s_barrier
	buffer_wbinvl1_vol
	s_and_saveexec_b64 s[12:13], s[2:3]
	s_cbranch_execz .LBB75_42
; %bb.39:
	v_lshlrev_b32_e32 v18, 4, v14
	v_lshlrev_b32_e32 v10, 9, v15
	ds_read_b128 v[10:13], v10 offset:15840
	ds_read_b128 v[18:21], v18 offset:15808
	v_cmp_gt_u32_e64 s[10:11], 2, v17
	s_waitcnt lgkmcnt(0)
	v_mul_f64 v[24:25], v[12:13], v[20:21]
	v_mul_f64 v[20:21], v[10:11], v[20:21]
	v_fma_f64 v[10:11], v[10:11], v[18:19], -v[24:25]
	v_fma_f64 v[12:13], v[12:13], v[18:19], v[20:21]
	v_add_f64 v[10:11], v[10:11], 0
	v_add_f64 v[12:13], v[12:13], 0
	s_and_saveexec_b64 s[14:15], s[10:11]
	s_cbranch_execz .LBB75_41
; %bb.40:
	v_lshlrev_b32_e32 v24, 4, v0
	v_mov_b32_e32 v18, 0
	ds_read_b128 v[18:21], v18 offset:16368
	ds_read_b128 v[24:27], v24 offset:16320
	s_waitcnt lgkmcnt(0)
	v_mul_f64 v[28:29], v[20:21], v[26:27]
	v_mul_f64 v[26:27], v[18:19], v[26:27]
	v_fma_f64 v[18:19], v[18:19], v[24:25], -v[28:29]
	v_fma_f64 v[20:21], v[20:21], v[24:25], v[26:27]
	v_add_f64 v[10:11], v[10:11], v[18:19]
	v_add_f64 v[12:13], v[12:13], v[20:21]
.LBB75_41:
	s_or_b64 exec, exec, s[14:15]
.LBB75_42:
	s_or_b64 exec, exec, s[12:13]
	v_mov_b32_e32 v18, 0x4000
	v_cmp_ne_u32_e64 s[10:11], 0, v14
	s_xor_b64 s[12:13], s[8:9], -1
	v_lshl_add_u32 v16, v16, 4, v18
	s_and_b64 s[40:41], s[10:11], s[12:13]
	s_and_saveexec_b64 s[8:9], s[40:41]
; %bb.43:
	v_xor_b32_e32 v19, 0x80000000, v11
	v_xor_b32_e32 v21, 0x80000000, v13
	v_mov_b32_e32 v18, v10
	v_mov_b32_e32 v20, v12
	ds_write_b128 v16, v[18:21]
; %bb.44:
	s_or_b64 exec, exec, s[8:9]
	v_cmp_eq_u32_e64 s[8:9], 0, v14
	s_and_b64 s[24:25], s[8:9], s[12:13]
	s_waitcnt lgkmcnt(0)
	s_barrier
	s_and_saveexec_b64 s[8:9], s[24:25]
	s_cbranch_execz .LBB75_46
; %bb.45:
	v_mov_b32_e32 v24, 0
	ds_read_b128 v[18:21], v16
	ds_read_b128 v[24:27], v24 offset:15296
	s_waitcnt lgkmcnt(0)
	v_mul_f64 v[28:29], v[18:19], v[24:25]
	v_mul_f64 v[18:19], v[18:19], v[26:27]
	v_fma_f64 v[26:27], v[20:21], v[26:27], -v[28:29]
	v_fma_f64 v[18:19], v[20:21], v[24:25], v[18:19]
	v_add_f64 v[10:11], v[10:11], v[26:27]
	v_add_f64 v[12:13], v[12:13], -v[18:19]
.LBB75_46:
	s_or_b64 exec, exec, s[8:9]
	s_barrier
	s_and_saveexec_b64 s[8:9], s[24:25]
; %bb.47:
	v_xor_b32_e32 v19, 0x80000000, v11
	v_xor_b32_e32 v21, 0x80000000, v13
	v_mov_b32_e32 v18, v10
	v_mov_b32_e32 v20, v12
	ds_write_b128 v16, v[18:21]
; %bb.48:
	s_or_b64 exec, exec, s[8:9]
	s_waitcnt lgkmcnt(0)
	s_barrier
	s_barrier
	s_and_saveexec_b64 s[8:9], s[2:3]
; %bb.49:
	v_lshlrev_b32_e32 v18, 4, v14
	v_lshl_or_b32 v18, v15, 9, v18
	ds_write_b128 v18, v[10:13] offset:15808
; %bb.50:
	s_or_b64 exec, exec, s[8:9]
	v_cmp_eq_u32_e64 s[10:11], 0, v1
	v_cmp_gt_u32_e64 s[8:9], 2, v0
	s_and_b64 s[42:43], s[10:11], s[8:9]
	s_waitcnt lgkmcnt(0)
	s_barrier
	s_barrier
	s_and_saveexec_b64 s[8:9], s[42:43]
	s_cbranch_execz .LBB75_52
; %bb.51:
	v_lshlrev_b32_e32 v18, 9, v0
	ds_read_b128 v[10:13], v18 offset:15808
	s_movk_i32 s12, 0xfe10
	v_mad_i32_i24 v19, v0, s12, v18
	s_waitcnt lgkmcnt(0)
	ds_write_b128 v19, v[10:13] offset:14816
	ds_read_b128 v[10:13], v18 offset:15824
	s_waitcnt lgkmcnt(0)
	ds_write_b128 v19, v[10:13] offset:15328
.LBB75_52:
	s_or_b64 exec, exec, s[8:9]
	s_waitcnt lgkmcnt(0)
	s_barrier
	s_and_saveexec_b64 s[8:9], vcc
	s_cbranch_execz .LBB75_54
; %bb.53:
	s_mov_b32 s12, 0
	v_mov_b32_e32 v24, 0
	ds_read_b128 v[10:13], v24 offset:15296
	s_mov_b32 s15, s12
	s_mov_b32 s13, 0x3ff00000
	;; [unrolled: 1-line block ×3, first 2 shown]
	v_mov_b32_e32 v21, s15
	v_mov_b32_e32 v20, s14
	v_mov_b32_e32 v19, s13
	v_mov_b32_e32 v18, s12
	ds_write_b128 v24, v[18:21] offset:14784
	ds_write_b128 v24, v[18:21] offset:15312
	s_waitcnt lgkmcnt(2)
	ds_write_b128 v24, v[10:13] offset:14800
.LBB75_54:
	s_or_b64 exec, exec, s[8:9]
	v_lshrrev_b32_e32 v20, 2, v17
	v_mov_b32_e32 v12, 0
	v_mov_b32_e32 v10, 0
	v_and_b32_e32 v18, 3, v0
	v_sub_u32_e32 v19, 3, v20
	v_cmp_lt_u32_e64 s[8:9], 15, v17
	v_mov_b32_e32 v13, 0
	v_mov_b32_e32 v11, 0
	v_cmp_gt_u32_e64 s[16:17], 16, v17
	s_waitcnt lgkmcnt(0)
	s_barrier
	buffer_wbinvl1_vol
	s_and_saveexec_b64 s[14:15], s[16:17]
	s_cbranch_execz .LBB75_60
; %bb.55:
	v_lshlrev_b32_e32 v24, 9, v19
	v_lshlrev_b32_e32 v21, 4, v18
	ds_read_b128 v[10:13], v24 offset:14784
	ds_read_b128 v[25:28], v21 offset:14720
	v_cmp_gt_u32_e64 s[12:13], 12, v17
	s_waitcnt lgkmcnt(0)
	v_mul_f64 v[29:30], v[12:13], v[27:28]
	v_mul_f64 v[27:28], v[10:11], v[27:28]
	v_fma_f64 v[10:11], v[10:11], v[25:26], -v[29:30]
	v_fma_f64 v[12:13], v[12:13], v[25:26], v[27:28]
	v_add_f64 v[10:11], v[10:11], 0
	v_add_f64 v[12:13], v[12:13], 0
	s_and_saveexec_b64 s[18:19], s[12:13]
	s_cbranch_execnz .LBB75_519
; %bb.56:
	s_or_b64 exec, exec, s[18:19]
	v_cmp_gt_u32_e64 s[12:13], 8, v17
	s_and_saveexec_b64 s[18:19], s[12:13]
	s_cbranch_execnz .LBB75_520
.LBB75_57:
	s_or_b64 exec, exec, s[18:19]
	v_cmp_gt_u32_e64 s[12:13], 4, v17
	s_and_saveexec_b64 s[18:19], s[12:13]
	s_cbranch_execz .LBB75_59
.LBB75_58:
	v_mov_b32_e32 v24, 0
	v_lshlrev_b32_e32 v21, 4, v0
	ds_read_b128 v[24:27], v24 offset:16368
	ds_read_b128 v[28:31], v21 offset:16256
	s_waitcnt lgkmcnt(0)
	v_mul_f64 v[32:33], v[26:27], v[30:31]
	v_mul_f64 v[30:31], v[24:25], v[30:31]
	v_fma_f64 v[24:25], v[24:25], v[28:29], -v[32:33]
	v_fma_f64 v[26:27], v[26:27], v[28:29], v[30:31]
	v_add_f64 v[10:11], v[10:11], v[24:25]
	v_add_f64 v[12:13], v[12:13], v[26:27]
.LBB75_59:
	s_or_b64 exec, exec, s[18:19]
.LBB75_60:
	s_or_b64 exec, exec, s[14:15]
	v_mov_b32_e32 v21, 0x4000
	v_cmp_eq_u32_e64 s[12:13], 3, v18
	s_xor_b64 s[14:15], s[8:9], -1
	v_lshl_add_u32 v20, v20, 4, v21
	s_and_b64 s[46:47], s[12:13], s[14:15]
	s_and_saveexec_b64 s[8:9], s[46:47]
; %bb.61:
	v_xor_b32_e32 v27, 0x80000000, v13
	v_xor_b32_e32 v25, 0x80000000, v11
	v_mov_b32_e32 v24, v10
	v_mov_b32_e32 v26, v12
	ds_write_b128 v20, v[24:27]
; %bb.62:
	s_or_b64 exec, exec, s[8:9]
	v_cmp_ne_u32_e64 s[8:9], 3, v18
	s_and_b64 s[48:49], s[8:9], s[14:15]
	s_waitcnt lgkmcnt(0)
	s_barrier
	s_and_saveexec_b64 s[8:9], s[48:49]
	s_cbranch_execz .LBB75_64
; %bb.63:
	v_lshlrev_b32_e32 v21, 4, v18
	ds_read_b128 v[24:27], v20
	ds_read_b128 v[28:31], v21 offset:14208
	s_waitcnt lgkmcnt(0)
	v_mul_f64 v[32:33], v[26:27], v[30:31]
	v_mul_f64 v[30:31], v[24:25], v[30:31]
	v_fma_f64 v[24:25], v[24:25], v[28:29], -v[32:33]
	v_fma_f64 v[26:27], v[26:27], v[28:29], v[30:31]
	v_add_f64 v[10:11], v[10:11], -v[24:25]
	v_add_f64 v[12:13], v[12:13], -v[26:27]
.LBB75_64:
	s_or_b64 exec, exec, s[8:9]
	v_cmp_eq_u32_e64 s[8:9], 2, v18
	s_and_b64 s[50:51], s[8:9], s[14:15]
	s_barrier
	s_and_saveexec_b64 s[8:9], s[50:51]
; %bb.65:
	v_xor_b32_e32 v27, 0x80000000, v13
	v_xor_b32_e32 v25, 0x80000000, v11
	v_mov_b32_e32 v24, v10
	v_mov_b32_e32 v26, v12
	ds_write_b128 v20, v[24:27]
; %bb.66:
	s_or_b64 exec, exec, s[8:9]
	v_cmp_gt_u32_e64 s[8:9], 2, v18
	s_and_b64 s[52:53], s[8:9], s[14:15]
	s_waitcnt lgkmcnt(0)
	s_barrier
	s_and_saveexec_b64 s[8:9], s[52:53]
	s_cbranch_execz .LBB75_68
; %bb.67:
	v_lshlrev_b32_e32 v21, 4, v18
	ds_read_b128 v[24:27], v20
	ds_read_b128 v[28:31], v21 offset:13696
	s_waitcnt lgkmcnt(0)
	v_mul_f64 v[32:33], v[26:27], v[30:31]
	v_mul_f64 v[30:31], v[24:25], v[30:31]
	v_fma_f64 v[24:25], v[24:25], v[28:29], -v[32:33]
	v_fma_f64 v[26:27], v[26:27], v[28:29], v[30:31]
	v_add_f64 v[10:11], v[10:11], -v[24:25]
	v_add_f64 v[12:13], v[12:13], -v[26:27]
.LBB75_68:
	s_or_b64 exec, exec, s[8:9]
	v_cmp_eq_u32_e64 s[8:9], 1, v18
	s_and_b64 s[54:55], s[8:9], s[14:15]
	s_barrier
	s_and_saveexec_b64 s[8:9], s[54:55]
; %bb.69:
	v_xor_b32_e32 v27, 0x80000000, v13
	v_xor_b32_e32 v25, 0x80000000, v11
	v_mov_b32_e32 v24, v10
	v_mov_b32_e32 v26, v12
	ds_write_b128 v20, v[24:27]
; %bb.70:
	s_or_b64 exec, exec, s[8:9]
	v_cmp_eq_u32_e64 s[8:9], 0, v18
	s_and_b64 s[44:45], s[8:9], s[14:15]
	s_waitcnt lgkmcnt(0)
	s_barrier
	s_and_saveexec_b64 s[8:9], s[44:45]
	s_cbranch_execz .LBB75_72
; %bb.71:
	v_mov_b32_e32 v21, 0
	ds_read_b128 v[24:27], v20
	ds_read_b128 v[28:31], v21 offset:13184
	s_waitcnt lgkmcnt(0)
	v_mul_f64 v[32:33], v[26:27], v[30:31]
	v_mul_f64 v[30:31], v[24:25], v[30:31]
	v_fma_f64 v[24:25], v[24:25], v[28:29], -v[32:33]
	v_fma_f64 v[26:27], v[26:27], v[28:29], v[30:31]
	v_add_f64 v[10:11], v[10:11], -v[24:25]
	v_add_f64 v[12:13], v[12:13], -v[26:27]
.LBB75_72:
	s_or_b64 exec, exec, s[8:9]
	s_barrier
	s_and_saveexec_b64 s[8:9], s[44:45]
; %bb.73:
	v_xor_b32_e32 v27, 0x80000000, v13
	v_xor_b32_e32 v25, 0x80000000, v11
	v_mov_b32_e32 v24, v10
	v_mov_b32_e32 v26, v12
	ds_write_b128 v20, v[24:27]
; %bb.74:
	s_or_b64 exec, exec, s[8:9]
	s_waitcnt lgkmcnt(0)
	s_barrier
	s_barrier
	s_and_saveexec_b64 s[8:9], s[16:17]
; %bb.75:
	v_lshlrev_b32_e32 v21, 4, v18
	v_lshl_or_b32 v21, v19, 9, v21
	ds_write_b128 v21, v[10:13] offset:14720
; %bb.76:
	s_or_b64 exec, exec, s[8:9]
	v_cmp_gt_u32_e64 s[8:9], 4, v0
	s_and_b64 s[56:57], s[10:11], s[8:9]
	s_waitcnt lgkmcnt(0)
	s_barrier
	s_barrier
	s_and_saveexec_b64 s[8:9], s[56:57]
	s_cbranch_execz .LBB75_78
; %bb.77:
	v_lshlrev_b32_e32 v21, 4, v0
	s_movk_i32 s12, 0x1f0
	v_mad_u32_u24 v24, v0, s12, v21
	ds_read_b128 v[10:13], v24 offset:14720
	s_waitcnt lgkmcnt(0)
	ds_write_b128 v21, v[10:13] offset:12736
	ds_read_b128 v[10:13], v24 offset:14736
	s_waitcnt lgkmcnt(0)
	ds_write_b128 v21, v[10:13] offset:13248
	;; [unrolled: 3-line block ×4, first 2 shown]
.LBB75_78:
	s_or_b64 exec, exec, s[8:9]
	s_waitcnt lgkmcnt(0)
	s_barrier
	s_and_saveexec_b64 s[8:9], vcc
	s_cbranch_execz .LBB75_80
; %bb.79:
	s_mov_b32 s12, 0
	v_mov_b32_e32 v21, 0
	ds_read_b128 v[10:13], v21 offset:14240
	s_mov_b32 s15, s12
	s_mov_b32 s13, 0x3ff00000
	;; [unrolled: 1-line block ×3, first 2 shown]
	v_mov_b32_e32 v27, s15
	v_mov_b32_e32 v26, s14
	;; [unrolled: 1-line block ×4, first 2 shown]
	ds_write_b128 v21, v[24:27] offset:13728
	ds_write_b128 v21, v[24:27] offset:14256
	s_waitcnt lgkmcnt(2)
	ds_write_b128 v21, v[10:13] offset:13744
.LBB75_80:
	s_or_b64 exec, exec, s[8:9]
	v_mov_b32_e32 v10, 0
	v_mov_b32_e32 v12, 0
	;; [unrolled: 1-line block ×4, first 2 shown]
	s_waitcnt lgkmcnt(0)
	s_barrier
	buffer_wbinvl1_vol
	s_and_saveexec_b64 s[12:13], s[2:3]
	s_cbranch_execz .LBB75_84
; %bb.81:
	v_lshlrev_b32_e32 v10, 9, v15
	v_lshlrev_b32_e32 v21, 4, v14
	ds_read_b128 v[10:13], v10 offset:13728
	ds_read_b128 v[24:27], v21 offset:13696
	v_cmp_gt_u32_e64 s[8:9], 2, v17
	s_waitcnt lgkmcnt(0)
	v_mul_f64 v[28:29], v[12:13], v[26:27]
	v_mul_f64 v[26:27], v[10:11], v[26:27]
	v_fma_f64 v[10:11], v[10:11], v[24:25], -v[28:29]
	v_fma_f64 v[12:13], v[12:13], v[24:25], v[26:27]
	v_add_f64 v[10:11], v[10:11], 0
	v_add_f64 v[12:13], v[12:13], 0
	s_and_saveexec_b64 s[14:15], s[8:9]
	s_cbranch_execz .LBB75_83
; %bb.82:
	v_mov_b32_e32 v24, 0
	v_lshlrev_b32_e32 v21, 4, v0
	ds_read_b128 v[24:27], v24 offset:14256
	ds_read_b128 v[28:31], v21 offset:14208
	s_waitcnt lgkmcnt(0)
	v_mul_f64 v[32:33], v[26:27], v[30:31]
	v_mul_f64 v[30:31], v[24:25], v[30:31]
	v_fma_f64 v[24:25], v[24:25], v[28:29], -v[32:33]
	v_fma_f64 v[26:27], v[26:27], v[28:29], v[30:31]
	v_add_f64 v[10:11], v[10:11], v[24:25]
	v_add_f64 v[12:13], v[12:13], v[26:27]
.LBB75_83:
	s_or_b64 exec, exec, s[14:15]
.LBB75_84:
	s_or_b64 exec, exec, s[12:13]
	s_and_saveexec_b64 s[8:9], s[40:41]
; %bb.85:
	v_xor_b32_e32 v25, 0x80000000, v11
	v_xor_b32_e32 v27, 0x80000000, v13
	v_mov_b32_e32 v24, v10
	v_mov_b32_e32 v26, v12
	ds_write_b128 v16, v[24:27]
; %bb.86:
	s_or_b64 exec, exec, s[8:9]
	s_waitcnt lgkmcnt(0)
	s_barrier
	s_and_saveexec_b64 s[8:9], s[24:25]
	s_cbranch_execz .LBB75_88
; %bb.87:
	v_mov_b32_e32 v21, 0
	ds_read_b128 v[24:27], v16
	ds_read_b128 v[28:31], v21 offset:13184
	s_waitcnt lgkmcnt(0)
	v_mul_f64 v[32:33], v[24:25], v[28:29]
	v_mul_f64 v[24:25], v[24:25], v[30:31]
	v_fma_f64 v[30:31], v[26:27], v[30:31], -v[32:33]
	v_fma_f64 v[24:25], v[26:27], v[28:29], v[24:25]
	v_add_f64 v[10:11], v[10:11], v[30:31]
	v_add_f64 v[12:13], v[12:13], -v[24:25]
.LBB75_88:
	s_or_b64 exec, exec, s[8:9]
	s_barrier
	s_and_saveexec_b64 s[8:9], s[24:25]
; %bb.89:
	v_xor_b32_e32 v25, 0x80000000, v11
	v_xor_b32_e32 v27, 0x80000000, v13
	v_mov_b32_e32 v24, v10
	v_mov_b32_e32 v26, v12
	ds_write_b128 v16, v[24:27]
; %bb.90:
	s_or_b64 exec, exec, s[8:9]
	s_waitcnt lgkmcnt(0)
	s_barrier
	s_barrier
	s_and_saveexec_b64 s[8:9], s[2:3]
; %bb.91:
	v_lshlrev_b32_e32 v21, 4, v14
	v_lshl_or_b32 v21, v15, 9, v21
	ds_write_b128 v21, v[10:13] offset:13696
; %bb.92:
	s_or_b64 exec, exec, s[8:9]
	s_waitcnt lgkmcnt(0)
	s_barrier
	s_barrier
	s_and_saveexec_b64 s[8:9], s[42:43]
	s_cbranch_execz .LBB75_94
; %bb.93:
	v_lshlrev_b32_e32 v21, 9, v0
	ds_read_b128 v[10:13], v21 offset:13696
	s_movk_i32 s12, 0xfe10
	v_mad_i32_i24 v24, v0, s12, v21
	s_waitcnt lgkmcnt(0)
	ds_write_b128 v24, v[10:13] offset:12704
	ds_read_b128 v[10:13], v21 offset:13712
	s_waitcnt lgkmcnt(0)
	ds_write_b128 v24, v[10:13] offset:13216
.LBB75_94:
	s_or_b64 exec, exec, s[8:9]
	s_waitcnt lgkmcnt(0)
	s_barrier
	s_and_saveexec_b64 s[8:9], vcc
	s_cbranch_execz .LBB75_96
; %bb.95:
	s_mov_b32 s12, 0
	v_mov_b32_e32 v21, 0
	ds_read_b128 v[10:13], v21 offset:13184
	s_mov_b32 s15, s12
	s_mov_b32 s13, 0x3ff00000
	;; [unrolled: 1-line block ×3, first 2 shown]
	v_mov_b32_e32 v27, s15
	v_mov_b32_e32 v26, s14
	;; [unrolled: 1-line block ×4, first 2 shown]
	ds_write_b128 v21, v[24:27] offset:12672
	ds_write_b128 v21, v[24:27] offset:13200
	s_waitcnt lgkmcnt(2)
	ds_write_b128 v21, v[10:13] offset:12688
.LBB75_96:
	s_or_b64 exec, exec, s[8:9]
	v_lshrrev_b32_e32 v25, 3, v17
	v_mov_b32_e32 v12, 0
	v_mov_b32_e32 v10, 0
	v_and_b32_e32 v21, 7, v0
	v_sub_u32_e32 v24, 7, v25
	v_cmp_lt_u32_e64 s[12:13], 63, v17
	v_mov_b32_e32 v13, 0
	v_mov_b32_e32 v11, 0
	v_cmp_gt_u32_e64 s[8:9], 64, v17
	s_waitcnt lgkmcnt(0)
	s_barrier
	buffer_wbinvl1_vol
	s_and_saveexec_b64 s[18:19], s[8:9]
	s_cbranch_execz .LBB75_106
; %bb.97:
	v_lshlrev_b32_e32 v27, 9, v24
	v_lshlrev_b32_e32 v26, 4, v21
	ds_read_b128 v[10:13], v27 offset:12672
	ds_read_b128 v[28:31], v26 offset:12544
	v_cmp_gt_u32_e64 s[14:15], 56, v17
	s_waitcnt lgkmcnt(0)
	v_mul_f64 v[32:33], v[12:13], v[30:31]
	v_mul_f64 v[30:31], v[10:11], v[30:31]
	v_fma_f64 v[10:11], v[10:11], v[28:29], -v[32:33]
	v_fma_f64 v[12:13], v[12:13], v[28:29], v[30:31]
	v_add_f64 v[10:11], v[10:11], 0
	v_add_f64 v[12:13], v[12:13], 0
	s_and_saveexec_b64 s[58:59], s[14:15]
	s_cbranch_execnz .LBB75_521
; %bb.98:
	s_or_b64 exec, exec, s[58:59]
	v_cmp_gt_u32_e64 s[14:15], 48, v17
	s_and_saveexec_b64 s[58:59], s[14:15]
	s_cbranch_execnz .LBB75_522
.LBB75_99:
	s_or_b64 exec, exec, s[58:59]
	v_cmp_gt_u32_e64 s[14:15], 40, v17
	s_and_saveexec_b64 s[58:59], s[14:15]
	s_cbranch_execnz .LBB75_523
.LBB75_100:
	s_or_b64 exec, exec, s[58:59]
	v_cmp_gt_u32_e64 s[14:15], 32, v17
	s_and_saveexec_b64 s[58:59], s[14:15]
	s_cbranch_execnz .LBB75_524
.LBB75_101:
	s_or_b64 exec, exec, s[58:59]
	v_cmp_gt_u32_e64 s[14:15], 24, v17
	s_and_saveexec_b64 s[58:59], s[14:15]
	s_cbranch_execnz .LBB75_525
.LBB75_102:
	s_or_b64 exec, exec, s[58:59]
	s_and_saveexec_b64 s[14:15], s[16:17]
	s_cbranch_execnz .LBB75_526
.LBB75_103:
	s_or_b64 exec, exec, s[14:15]
	v_cmp_gt_u32_e64 s[14:15], 8, v17
	s_and_saveexec_b64 s[58:59], s[14:15]
	s_cbranch_execz .LBB75_105
.LBB75_104:
	v_lshlrev_b32_e32 v30, 4, v0
	v_mov_b32_e32 v26, 0
	ds_read_b128 v[26:29], v26 offset:16368
	ds_read_b128 v[30:33], v30 offset:16128
	s_waitcnt lgkmcnt(0)
	v_mul_f64 v[34:35], v[28:29], v[32:33]
	v_mul_f64 v[32:33], v[26:27], v[32:33]
	v_fma_f64 v[26:27], v[26:27], v[30:31], -v[34:35]
	v_fma_f64 v[28:29], v[28:29], v[30:31], v[32:33]
	v_add_f64 v[10:11], v[10:11], v[26:27]
	v_add_f64 v[12:13], v[12:13], v[28:29]
.LBB75_105:
	s_or_b64 exec, exec, s[58:59]
.LBB75_106:
	s_or_b64 exec, exec, s[18:19]
	v_mov_b32_e32 v26, 0x4000
	v_cmp_eq_u32_e64 s[14:15], 7, v21
	s_xor_b64 s[18:19], s[12:13], -1
	v_lshl_add_u32 v25, v25, 4, v26
	s_and_b64 s[60:61], s[14:15], s[18:19]
	s_and_saveexec_b64 s[12:13], s[60:61]
; %bb.107:
	v_xor_b32_e32 v27, 0x80000000, v11
	v_xor_b32_e32 v29, 0x80000000, v13
	v_mov_b32_e32 v26, v10
	v_mov_b32_e32 v28, v12
	ds_write_b128 v25, v[26:29]
; %bb.108:
	s_or_b64 exec, exec, s[12:13]
	v_cmp_ne_u32_e64 s[12:13], 7, v21
	s_and_b64 s[62:63], s[12:13], s[18:19]
	s_waitcnt lgkmcnt(0)
	s_barrier
	s_and_saveexec_b64 s[12:13], s[62:63]
	s_cbranch_execz .LBB75_110
; %bb.109:
	v_lshlrev_b32_e32 v30, 4, v21
	ds_read_b128 v[26:29], v25
	ds_read_b128 v[30:33], v30 offset:12032
	s_waitcnt lgkmcnt(0)
	v_mul_f64 v[34:35], v[28:29], v[32:33]
	v_mul_f64 v[32:33], v[26:27], v[32:33]
	v_fma_f64 v[26:27], v[26:27], v[30:31], -v[34:35]
	v_fma_f64 v[28:29], v[28:29], v[30:31], v[32:33]
	v_add_f64 v[10:11], v[10:11], -v[26:27]
	v_add_f64 v[12:13], v[12:13], -v[28:29]
.LBB75_110:
	s_or_b64 exec, exec, s[12:13]
	v_cmp_eq_u32_e64 s[12:13], 6, v21
	s_and_b64 s[64:65], s[12:13], s[18:19]
	s_barrier
	s_and_saveexec_b64 s[12:13], s[64:65]
; %bb.111:
	v_xor_b32_e32 v27, 0x80000000, v11
	v_xor_b32_e32 v29, 0x80000000, v13
	v_mov_b32_e32 v26, v10
	v_mov_b32_e32 v28, v12
	ds_write_b128 v25, v[26:29]
; %bb.112:
	s_or_b64 exec, exec, s[12:13]
	v_cmp_gt_u32_e64 s[12:13], 6, v21
	s_and_b64 s[66:67], s[12:13], s[18:19]
	s_waitcnt lgkmcnt(0)
	s_barrier
	s_and_saveexec_b64 s[12:13], s[66:67]
	s_cbranch_execz .LBB75_114
; %bb.113:
	v_lshlrev_b32_e32 v30, 4, v21
	ds_read_b128 v[26:29], v25
	ds_read_b128 v[30:33], v30 offset:11520
	s_waitcnt lgkmcnt(0)
	v_mul_f64 v[34:35], v[28:29], v[32:33]
	v_mul_f64 v[32:33], v[26:27], v[32:33]
	v_fma_f64 v[26:27], v[26:27], v[30:31], -v[34:35]
	v_fma_f64 v[28:29], v[28:29], v[30:31], v[32:33]
	v_add_f64 v[10:11], v[10:11], -v[26:27]
	v_add_f64 v[12:13], v[12:13], -v[28:29]
.LBB75_114:
	s_or_b64 exec, exec, s[12:13]
	v_cmp_eq_u32_e64 s[12:13], 5, v21
	s_and_b64 s[68:69], s[12:13], s[18:19]
	s_barrier
	s_and_saveexec_b64 s[12:13], s[68:69]
; %bb.115:
	v_xor_b32_e32 v27, 0x80000000, v11
	v_xor_b32_e32 v29, 0x80000000, v13
	v_mov_b32_e32 v26, v10
	v_mov_b32_e32 v28, v12
	ds_write_b128 v25, v[26:29]
; %bb.116:
	s_or_b64 exec, exec, s[12:13]
	v_cmp_gt_u32_e64 s[12:13], 5, v21
	;; [unrolled: 31-line block ×5, first 2 shown]
	s_and_b64 s[82:83], s[12:13], s[18:19]
	s_waitcnt lgkmcnt(0)
	s_barrier
	s_and_saveexec_b64 s[12:13], s[82:83]
	s_cbranch_execz .LBB75_130
; %bb.129:
	v_lshlrev_b32_e32 v30, 4, v21
	ds_read_b128 v[26:29], v25
	ds_read_b128 v[30:33], v30 offset:9472
	s_waitcnt lgkmcnt(0)
	v_mul_f64 v[34:35], v[28:29], v[32:33]
	v_mul_f64 v[32:33], v[26:27], v[32:33]
	v_fma_f64 v[26:27], v[26:27], v[30:31], -v[34:35]
	v_fma_f64 v[28:29], v[28:29], v[30:31], v[32:33]
	v_add_f64 v[10:11], v[10:11], -v[26:27]
	v_add_f64 v[12:13], v[12:13], -v[28:29]
.LBB75_130:
	s_or_b64 exec, exec, s[12:13]
	v_cmp_eq_u32_e64 s[12:13], 1, v21
	s_and_b64 s[84:85], s[12:13], s[18:19]
	s_barrier
	s_and_saveexec_b64 s[12:13], s[84:85]
; %bb.131:
	v_xor_b32_e32 v27, 0x80000000, v11
	v_xor_b32_e32 v29, 0x80000000, v13
	v_mov_b32_e32 v26, v10
	v_mov_b32_e32 v28, v12
	ds_write_b128 v25, v[26:29]
; %bb.132:
	s_or_b64 exec, exec, s[12:13]
	v_cmp_eq_u32_e64 s[12:13], 0, v21
	s_and_b64 s[58:59], s[12:13], s[18:19]
	s_waitcnt lgkmcnt(0)
	s_barrier
	s_and_saveexec_b64 s[12:13], s[58:59]
	s_cbranch_execz .LBB75_134
; %bb.133:
	v_mov_b32_e32 v30, 0
	ds_read_b128 v[26:29], v25
	ds_read_b128 v[30:33], v30 offset:8960
	s_waitcnt lgkmcnt(0)
	v_mul_f64 v[34:35], v[28:29], v[32:33]
	v_mul_f64 v[32:33], v[26:27], v[32:33]
	v_fma_f64 v[26:27], v[26:27], v[30:31], -v[34:35]
	v_fma_f64 v[28:29], v[28:29], v[30:31], v[32:33]
	v_add_f64 v[10:11], v[10:11], -v[26:27]
	v_add_f64 v[12:13], v[12:13], -v[28:29]
.LBB75_134:
	s_or_b64 exec, exec, s[12:13]
	s_barrier
	s_and_saveexec_b64 s[12:13], s[58:59]
; %bb.135:
	v_xor_b32_e32 v27, 0x80000000, v11
	v_xor_b32_e32 v29, 0x80000000, v13
	v_mov_b32_e32 v26, v10
	v_mov_b32_e32 v28, v12
	ds_write_b128 v25, v[26:29]
; %bb.136:
	s_or_b64 exec, exec, s[12:13]
	s_waitcnt lgkmcnt(0)
	s_barrier
	s_barrier
	s_and_saveexec_b64 s[12:13], s[8:9]
; %bb.137:
	v_lshlrev_b32_e32 v26, 4, v21
	v_lshl_or_b32 v26, v24, 9, v26
	ds_write_b128 v26, v[10:13] offset:12544
; %bb.138:
	s_or_b64 exec, exec, s[12:13]
	v_cmp_gt_u32_e64 s[12:13], 8, v0
	s_and_b64 s[86:87], s[10:11], s[12:13]
	s_waitcnt lgkmcnt(0)
	s_barrier
	s_barrier
	s_and_saveexec_b64 s[12:13], s[86:87]
	s_cbranch_execz .LBB75_140
; %bb.139:
	v_lshlrev_b32_e32 v26, 9, v0
	ds_read_b128 v[10:13], v26 offset:12544
	s_movk_i32 s14, 0xfe10
	v_mad_i32_i24 v27, v0, s14, v26
	s_waitcnt lgkmcnt(0)
	ds_write_b128 v27, v[10:13] offset:8576
	ds_read_b128 v[10:13], v26 offset:12560
	s_waitcnt lgkmcnt(0)
	ds_write_b128 v27, v[10:13] offset:9088
	ds_read_b128 v[10:13], v26 offset:12576
	;; [unrolled: 3-line block ×7, first 2 shown]
	s_waitcnt lgkmcnt(0)
	ds_write_b128 v27, v[10:13] offset:12160
.LBB75_140:
	s_or_b64 exec, exec, s[12:13]
	s_waitcnt lgkmcnt(0)
	s_barrier
	s_and_saveexec_b64 s[12:13], vcc
	s_cbranch_execz .LBB75_142
; %bb.141:
	v_mov_b32_e32 v30, 0
	s_mov_b32 s88, 0
	ds_read_b128 v[10:13], v30 offset:12128
	s_mov_b32 s89, 0x3ff00000
	s_mov_b32 s90, s88
	;; [unrolled: 1-line block ×3, first 2 shown]
	v_mov_b32_e32 v26, s88
	v_mov_b32_e32 v27, s89
	;; [unrolled: 1-line block ×4, first 2 shown]
	ds_write_b128 v30, v[26:29] offset:11616
	ds_write_b128 v30, v[26:29] offset:12144
	s_waitcnt lgkmcnt(2)
	ds_write_b128 v30, v[10:13] offset:11632
.LBB75_142:
	s_or_b64 exec, exec, s[12:13]
	v_mov_b32_e32 v10, 0
	v_mov_b32_e32 v12, 0
	;; [unrolled: 1-line block ×4, first 2 shown]
	s_waitcnt lgkmcnt(0)
	s_barrier
	buffer_wbinvl1_vol
	s_and_saveexec_b64 s[14:15], s[2:3]
	s_cbranch_execz .LBB75_146
; %bb.143:
	v_lshlrev_b32_e32 v26, 4, v14
	v_lshlrev_b32_e32 v10, 9, v15
	ds_read_b128 v[10:13], v10 offset:11616
	ds_read_b128 v[26:29], v26 offset:11584
	v_cmp_gt_u32_e64 s[12:13], 2, v17
	s_waitcnt lgkmcnt(0)
	v_mul_f64 v[30:31], v[12:13], v[28:29]
	v_mul_f64 v[28:29], v[10:11], v[28:29]
	v_fma_f64 v[10:11], v[10:11], v[26:27], -v[30:31]
	v_fma_f64 v[12:13], v[12:13], v[26:27], v[28:29]
	v_add_f64 v[10:11], v[10:11], 0
	v_add_f64 v[12:13], v[12:13], 0
	s_and_saveexec_b64 s[18:19], s[12:13]
	s_cbranch_execz .LBB75_145
; %bb.144:
	v_lshlrev_b32_e32 v30, 4, v0
	v_mov_b32_e32 v26, 0
	ds_read_b128 v[26:29], v26 offset:12144
	ds_read_b128 v[30:33], v30 offset:12096
	s_waitcnt lgkmcnt(0)
	v_mul_f64 v[34:35], v[28:29], v[32:33]
	v_mul_f64 v[32:33], v[26:27], v[32:33]
	v_fma_f64 v[26:27], v[26:27], v[30:31], -v[34:35]
	v_fma_f64 v[28:29], v[28:29], v[30:31], v[32:33]
	v_add_f64 v[10:11], v[10:11], v[26:27]
	v_add_f64 v[12:13], v[12:13], v[28:29]
.LBB75_145:
	s_or_b64 exec, exec, s[18:19]
.LBB75_146:
	s_or_b64 exec, exec, s[14:15]
	s_and_saveexec_b64 s[12:13], s[40:41]
; %bb.147:
	v_xor_b32_e32 v27, 0x80000000, v11
	v_xor_b32_e32 v29, 0x80000000, v13
	v_mov_b32_e32 v26, v10
	v_mov_b32_e32 v28, v12
	ds_write_b128 v16, v[26:29]
; %bb.148:
	s_or_b64 exec, exec, s[12:13]
	s_waitcnt lgkmcnt(0)
	s_barrier
	s_and_saveexec_b64 s[12:13], s[24:25]
	s_cbranch_execz .LBB75_150
; %bb.149:
	v_mov_b32_e32 v30, 0
	ds_read_b128 v[26:29], v16
	ds_read_b128 v[30:33], v30 offset:11072
	s_waitcnt lgkmcnt(0)
	v_mul_f64 v[34:35], v[26:27], v[30:31]
	v_mul_f64 v[26:27], v[26:27], v[32:33]
	v_fma_f64 v[32:33], v[28:29], v[32:33], -v[34:35]
	v_fma_f64 v[26:27], v[28:29], v[30:31], v[26:27]
	v_add_f64 v[10:11], v[10:11], v[32:33]
	v_add_f64 v[12:13], v[12:13], -v[26:27]
.LBB75_150:
	s_or_b64 exec, exec, s[12:13]
	s_barrier
	s_and_saveexec_b64 s[12:13], s[24:25]
; %bb.151:
	v_xor_b32_e32 v27, 0x80000000, v11
	v_xor_b32_e32 v29, 0x80000000, v13
	v_mov_b32_e32 v26, v10
	v_mov_b32_e32 v28, v12
	ds_write_b128 v16, v[26:29]
; %bb.152:
	s_or_b64 exec, exec, s[12:13]
	s_waitcnt lgkmcnt(0)
	s_barrier
	s_barrier
	s_and_saveexec_b64 s[12:13], s[2:3]
; %bb.153:
	v_lshlrev_b32_e32 v26, 4, v14
	v_lshl_or_b32 v26, v15, 9, v26
	ds_write_b128 v26, v[10:13] offset:11584
; %bb.154:
	s_or_b64 exec, exec, s[12:13]
	s_waitcnt lgkmcnt(0)
	s_barrier
	s_barrier
	s_and_saveexec_b64 s[12:13], s[42:43]
	s_cbranch_execz .LBB75_156
; %bb.155:
	v_lshlrev_b32_e32 v26, 9, v0
	ds_read_b128 v[10:13], v26 offset:11584
	s_movk_i32 s14, 0xfe10
	v_mad_i32_i24 v27, v0, s14, v26
	s_waitcnt lgkmcnt(0)
	ds_write_b128 v27, v[10:13] offset:10592
	ds_read_b128 v[10:13], v26 offset:11600
	s_waitcnt lgkmcnt(0)
	ds_write_b128 v27, v[10:13] offset:11104
.LBB75_156:
	s_or_b64 exec, exec, s[12:13]
	s_waitcnt lgkmcnt(0)
	s_barrier
	s_and_saveexec_b64 s[12:13], vcc
	s_cbranch_execz .LBB75_158
; %bb.157:
	v_mov_b32_e32 v30, 0
	s_mov_b32 s88, 0
	ds_read_b128 v[10:13], v30 offset:11072
	s_mov_b32 s89, 0x3ff00000
	s_mov_b32 s90, s88
	;; [unrolled: 1-line block ×3, first 2 shown]
	v_mov_b32_e32 v26, s88
	v_mov_b32_e32 v27, s89
	v_mov_b32_e32 v28, s90
	v_mov_b32_e32 v29, s91
	ds_write_b128 v30, v[26:29] offset:10560
	ds_write_b128 v30, v[26:29] offset:11088
	s_waitcnt lgkmcnt(2)
	ds_write_b128 v30, v[10:13] offset:10576
.LBB75_158:
	s_or_b64 exec, exec, s[12:13]
	v_mov_b32_e32 v12, 0
	v_mov_b32_e32 v10, 0
	;; [unrolled: 1-line block ×4, first 2 shown]
	s_waitcnt lgkmcnt(0)
	s_barrier
	buffer_wbinvl1_vol
	s_and_saveexec_b64 s[14:15], s[16:17]
	s_cbranch_execz .LBB75_164
; %bb.159:
	v_lshlrev_b32_e32 v27, 9, v19
	v_lshlrev_b32_e32 v26, 4, v18
	ds_read_b128 v[10:13], v27 offset:10560
	ds_read_b128 v[28:31], v26 offset:10496
	v_cmp_gt_u32_e64 s[12:13], 12, v17
	s_waitcnt lgkmcnt(0)
	v_mul_f64 v[32:33], v[12:13], v[30:31]
	v_mul_f64 v[30:31], v[10:11], v[30:31]
	v_fma_f64 v[10:11], v[10:11], v[28:29], -v[32:33]
	v_fma_f64 v[12:13], v[12:13], v[28:29], v[30:31]
	v_add_f64 v[10:11], v[10:11], 0
	v_add_f64 v[12:13], v[12:13], 0
	s_and_saveexec_b64 s[18:19], s[12:13]
	s_cbranch_execnz .LBB75_527
; %bb.160:
	s_or_b64 exec, exec, s[18:19]
	v_cmp_gt_u32_e64 s[12:13], 8, v17
	s_and_saveexec_b64 s[18:19], s[12:13]
	s_cbranch_execnz .LBB75_528
.LBB75_161:
	s_or_b64 exec, exec, s[18:19]
	v_cmp_gt_u32_e64 s[12:13], 4, v17
	s_and_saveexec_b64 s[18:19], s[12:13]
	s_cbranch_execz .LBB75_163
.LBB75_162:
	v_lshlrev_b32_e32 v30, 4, v0
	v_mov_b32_e32 v26, 0
	ds_read_b128 v[26:29], v26 offset:12144
	ds_read_b128 v[30:33], v30 offset:12032
	s_waitcnt lgkmcnt(0)
	v_mul_f64 v[34:35], v[28:29], v[32:33]
	v_mul_f64 v[32:33], v[26:27], v[32:33]
	v_fma_f64 v[26:27], v[26:27], v[30:31], -v[34:35]
	v_fma_f64 v[28:29], v[28:29], v[30:31], v[32:33]
	v_add_f64 v[10:11], v[10:11], v[26:27]
	v_add_f64 v[12:13], v[12:13], v[28:29]
.LBB75_163:
	s_or_b64 exec, exec, s[18:19]
.LBB75_164:
	s_or_b64 exec, exec, s[14:15]
	s_and_saveexec_b64 s[12:13], s[46:47]
; %bb.165:
	v_xor_b32_e32 v29, 0x80000000, v13
	v_xor_b32_e32 v27, 0x80000000, v11
	v_mov_b32_e32 v26, v10
	v_mov_b32_e32 v28, v12
	ds_write_b128 v20, v[26:29]
; %bb.166:
	s_or_b64 exec, exec, s[12:13]
	s_waitcnt lgkmcnt(0)
	s_barrier
	s_and_saveexec_b64 s[12:13], s[48:49]
	s_cbranch_execz .LBB75_168
; %bb.167:
	v_lshlrev_b32_e32 v30, 4, v18
	ds_read_b128 v[26:29], v20
	ds_read_b128 v[30:33], v30 offset:9984
	s_waitcnt lgkmcnt(0)
	v_mul_f64 v[34:35], v[28:29], v[32:33]
	v_mul_f64 v[32:33], v[26:27], v[32:33]
	v_fma_f64 v[26:27], v[26:27], v[30:31], -v[34:35]
	v_fma_f64 v[28:29], v[28:29], v[30:31], v[32:33]
	v_add_f64 v[10:11], v[10:11], -v[26:27]
	v_add_f64 v[12:13], v[12:13], -v[28:29]
.LBB75_168:
	s_or_b64 exec, exec, s[12:13]
	s_barrier
	s_and_saveexec_b64 s[12:13], s[50:51]
; %bb.169:
	v_xor_b32_e32 v29, 0x80000000, v13
	v_xor_b32_e32 v27, 0x80000000, v11
	v_mov_b32_e32 v26, v10
	v_mov_b32_e32 v28, v12
	ds_write_b128 v20, v[26:29]
; %bb.170:
	s_or_b64 exec, exec, s[12:13]
	s_waitcnt lgkmcnt(0)
	s_barrier
	s_and_saveexec_b64 s[12:13], s[52:53]
	s_cbranch_execz .LBB75_172
; %bb.171:
	v_lshlrev_b32_e32 v30, 4, v18
	ds_read_b128 v[26:29], v20
	ds_read_b128 v[30:33], v30 offset:9472
	s_waitcnt lgkmcnt(0)
	v_mul_f64 v[34:35], v[28:29], v[32:33]
	v_mul_f64 v[32:33], v[26:27], v[32:33]
	v_fma_f64 v[26:27], v[26:27], v[30:31], -v[34:35]
	v_fma_f64 v[28:29], v[28:29], v[30:31], v[32:33]
	v_add_f64 v[10:11], v[10:11], -v[26:27]
	v_add_f64 v[12:13], v[12:13], -v[28:29]
.LBB75_172:
	s_or_b64 exec, exec, s[12:13]
	s_barrier
	s_and_saveexec_b64 s[12:13], s[54:55]
; %bb.173:
	v_xor_b32_e32 v29, 0x80000000, v13
	v_xor_b32_e32 v27, 0x80000000, v11
	v_mov_b32_e32 v26, v10
	v_mov_b32_e32 v28, v12
	ds_write_b128 v20, v[26:29]
; %bb.174:
	s_or_b64 exec, exec, s[12:13]
	s_waitcnt lgkmcnt(0)
	s_barrier
	s_and_saveexec_b64 s[12:13], s[44:45]
	s_cbranch_execz .LBB75_176
; %bb.175:
	v_mov_b32_e32 v30, 0
	ds_read_b128 v[26:29], v20
	ds_read_b128 v[30:33], v30 offset:8960
	s_waitcnt lgkmcnt(0)
	v_mul_f64 v[34:35], v[28:29], v[32:33]
	v_mul_f64 v[32:33], v[26:27], v[32:33]
	v_fma_f64 v[26:27], v[26:27], v[30:31], -v[34:35]
	v_fma_f64 v[28:29], v[28:29], v[30:31], v[32:33]
	v_add_f64 v[10:11], v[10:11], -v[26:27]
	v_add_f64 v[12:13], v[12:13], -v[28:29]
.LBB75_176:
	s_or_b64 exec, exec, s[12:13]
	s_barrier
	s_and_saveexec_b64 s[12:13], s[44:45]
; %bb.177:
	v_xor_b32_e32 v29, 0x80000000, v13
	v_xor_b32_e32 v27, 0x80000000, v11
	v_mov_b32_e32 v26, v10
	v_mov_b32_e32 v28, v12
	ds_write_b128 v20, v[26:29]
; %bb.178:
	s_or_b64 exec, exec, s[12:13]
	s_waitcnt lgkmcnt(0)
	s_barrier
	s_barrier
	s_and_saveexec_b64 s[12:13], s[16:17]
; %bb.179:
	v_lshlrev_b32_e32 v26, 4, v18
	v_lshl_or_b32 v26, v19, 9, v26
	ds_write_b128 v26, v[10:13] offset:10496
; %bb.180:
	s_or_b64 exec, exec, s[12:13]
	s_waitcnt lgkmcnt(0)
	s_barrier
	s_barrier
	s_and_saveexec_b64 s[12:13], s[56:57]
	s_cbranch_execz .LBB75_182
; %bb.181:
	v_lshlrev_b32_e32 v26, 4, v0
	s_movk_i32 s14, 0x1f0
	v_mad_u32_u24 v27, v0, s14, v26
	ds_read_b128 v[10:13], v27 offset:10496
	s_waitcnt lgkmcnt(0)
	ds_write_b128 v26, v[10:13] offset:8512
	ds_read_b128 v[10:13], v27 offset:10512
	s_waitcnt lgkmcnt(0)
	ds_write_b128 v26, v[10:13] offset:9024
	;; [unrolled: 3-line block ×4, first 2 shown]
.LBB75_182:
	s_or_b64 exec, exec, s[12:13]
	s_waitcnt lgkmcnt(0)
	s_barrier
	s_and_saveexec_b64 s[12:13], vcc
	s_cbranch_execz .LBB75_184
; %bb.183:
	v_mov_b32_e32 v30, 0
	s_mov_b32 s88, 0
	ds_read_b128 v[10:13], v30 offset:10016
	s_mov_b32 s89, 0x3ff00000
	s_mov_b32 s90, s88
	s_mov_b32 s91, s88
	v_mov_b32_e32 v26, s88
	v_mov_b32_e32 v27, s89
	;; [unrolled: 1-line block ×4, first 2 shown]
	ds_write_b128 v30, v[26:29] offset:9504
	ds_write_b128 v30, v[26:29] offset:10032
	s_waitcnt lgkmcnt(2)
	ds_write_b128 v30, v[10:13] offset:9520
.LBB75_184:
	s_or_b64 exec, exec, s[12:13]
	v_mov_b32_e32 v10, 0
	v_mov_b32_e32 v12, 0
	;; [unrolled: 1-line block ×4, first 2 shown]
	s_waitcnt lgkmcnt(0)
	s_barrier
	buffer_wbinvl1_vol
	s_and_saveexec_b64 s[14:15], s[2:3]
	s_cbranch_execz .LBB75_188
; %bb.185:
	v_lshlrev_b32_e32 v26, 4, v14
	v_lshlrev_b32_e32 v10, 9, v15
	ds_read_b128 v[10:13], v10 offset:9504
	ds_read_b128 v[26:29], v26 offset:9472
	v_cmp_gt_u32_e64 s[12:13], 2, v17
	s_waitcnt lgkmcnt(0)
	v_mul_f64 v[30:31], v[12:13], v[28:29]
	v_mul_f64 v[28:29], v[10:11], v[28:29]
	v_fma_f64 v[10:11], v[10:11], v[26:27], -v[30:31]
	v_fma_f64 v[12:13], v[12:13], v[26:27], v[28:29]
	v_add_f64 v[10:11], v[10:11], 0
	v_add_f64 v[12:13], v[12:13], 0
	s_and_saveexec_b64 s[18:19], s[12:13]
	s_cbranch_execz .LBB75_187
; %bb.186:
	v_lshlrev_b32_e32 v30, 4, v0
	v_mov_b32_e32 v26, 0
	ds_read_b128 v[26:29], v26 offset:10032
	ds_read_b128 v[30:33], v30 offset:9984
	s_waitcnt lgkmcnt(0)
	v_mul_f64 v[34:35], v[28:29], v[32:33]
	v_mul_f64 v[32:33], v[26:27], v[32:33]
	v_fma_f64 v[26:27], v[26:27], v[30:31], -v[34:35]
	v_fma_f64 v[28:29], v[28:29], v[30:31], v[32:33]
	v_add_f64 v[10:11], v[10:11], v[26:27]
	v_add_f64 v[12:13], v[12:13], v[28:29]
.LBB75_187:
	s_or_b64 exec, exec, s[18:19]
.LBB75_188:
	s_or_b64 exec, exec, s[14:15]
	s_and_saveexec_b64 s[12:13], s[40:41]
; %bb.189:
	v_xor_b32_e32 v27, 0x80000000, v11
	v_xor_b32_e32 v29, 0x80000000, v13
	v_mov_b32_e32 v26, v10
	v_mov_b32_e32 v28, v12
	ds_write_b128 v16, v[26:29]
; %bb.190:
	s_or_b64 exec, exec, s[12:13]
	s_waitcnt lgkmcnt(0)
	s_barrier
	s_and_saveexec_b64 s[12:13], s[24:25]
	s_cbranch_execz .LBB75_192
; %bb.191:
	v_mov_b32_e32 v30, 0
	ds_read_b128 v[26:29], v16
	ds_read_b128 v[30:33], v30 offset:8960
	s_waitcnt lgkmcnt(0)
	v_mul_f64 v[34:35], v[26:27], v[30:31]
	v_mul_f64 v[26:27], v[26:27], v[32:33]
	v_fma_f64 v[32:33], v[28:29], v[32:33], -v[34:35]
	v_fma_f64 v[26:27], v[28:29], v[30:31], v[26:27]
	v_add_f64 v[10:11], v[10:11], v[32:33]
	v_add_f64 v[12:13], v[12:13], -v[26:27]
.LBB75_192:
	s_or_b64 exec, exec, s[12:13]
	s_barrier
	s_and_saveexec_b64 s[12:13], s[24:25]
; %bb.193:
	v_xor_b32_e32 v27, 0x80000000, v11
	v_xor_b32_e32 v29, 0x80000000, v13
	v_mov_b32_e32 v26, v10
	v_mov_b32_e32 v28, v12
	ds_write_b128 v16, v[26:29]
; %bb.194:
	s_or_b64 exec, exec, s[12:13]
	s_waitcnt lgkmcnt(0)
	s_barrier
	s_barrier
	s_and_saveexec_b64 s[12:13], s[2:3]
; %bb.195:
	v_lshlrev_b32_e32 v26, 4, v14
	v_lshl_or_b32 v26, v15, 9, v26
	ds_write_b128 v26, v[10:13] offset:9472
; %bb.196:
	s_or_b64 exec, exec, s[12:13]
	s_waitcnt lgkmcnt(0)
	s_barrier
	s_barrier
	s_and_saveexec_b64 s[12:13], s[42:43]
	s_cbranch_execz .LBB75_198
; %bb.197:
	v_lshlrev_b32_e32 v26, 9, v0
	ds_read_b128 v[10:13], v26 offset:9472
	s_movk_i32 s14, 0xfe10
	v_mad_i32_i24 v27, v0, s14, v26
	s_waitcnt lgkmcnt(0)
	ds_write_b128 v27, v[10:13] offset:8480
	ds_read_b128 v[10:13], v26 offset:9488
	s_waitcnt lgkmcnt(0)
	ds_write_b128 v27, v[10:13] offset:8992
.LBB75_198:
	s_or_b64 exec, exec, s[12:13]
	s_waitcnt lgkmcnt(0)
	s_barrier
	s_and_saveexec_b64 s[12:13], vcc
	s_cbranch_execz .LBB75_200
; %bb.199:
	v_mov_b32_e32 v30, 0
	s_mov_b32 s88, 0
	ds_read_b128 v[10:13], v30 offset:8960
	s_mov_b32 s89, 0x3ff00000
	s_mov_b32 s90, s88
	;; [unrolled: 1-line block ×3, first 2 shown]
	v_mov_b32_e32 v26, s88
	v_mov_b32_e32 v27, s89
	;; [unrolled: 1-line block ×4, first 2 shown]
	ds_write_b128 v30, v[26:29] offset:8448
	ds_write_b128 v30, v[26:29] offset:8976
	s_waitcnt lgkmcnt(2)
	ds_write_b128 v30, v[10:13] offset:8464
.LBB75_200:
	s_or_b64 exec, exec, s[12:13]
	s_movk_i32 s12, 0xff
	v_lshrrev_b32_e32 v28, 4, v17
	v_cmp_lt_u32_e64 s[14:15], s12, v17
	s_movk_i32 s12, 0x100
	v_mov_b32_e32 v12, 0
	v_mov_b32_e32 v10, 0
	v_and_b32_e32 v26, 15, v0
	v_sub_u32_e32 v27, 15, v28
	v_mov_b32_e32 v13, 0
	v_mov_b32_e32 v11, 0
	v_cmp_gt_u32_e64 s[12:13], s12, v17
	s_waitcnt lgkmcnt(0)
	s_barrier
	buffer_wbinvl1_vol
	s_and_saveexec_b64 s[88:89], s[12:13]
	s_cbranch_execz .LBB75_228
; %bb.201:
	v_lshlrev_b32_e32 v30, 9, v27
	v_lshlrev_b32_e32 v29, 4, v26
	ds_read_b128 v[10:13], v30 offset:8448
	ds_read_b128 v[31:34], v29 offset:8192
	s_movk_i32 s18, 0xf0
	v_cmp_gt_u32_e64 s[18:19], s18, v17
	s_waitcnt lgkmcnt(0)
	v_mul_f64 v[35:36], v[12:13], v[33:34]
	v_mul_f64 v[33:34], v[10:11], v[33:34]
	v_fma_f64 v[10:11], v[10:11], v[31:32], -v[35:36]
	v_fma_f64 v[12:13], v[12:13], v[31:32], v[33:34]
	v_add_f64 v[10:11], v[10:11], 0
	v_add_f64 v[12:13], v[12:13], 0
	s_and_saveexec_b64 s[90:91], s[18:19]
	s_cbranch_execz .LBB75_203
; %bb.202:
	ds_read_b128 v[31:34], v30 offset:8464
	ds_read_b128 v[35:38], v29 offset:8704
	s_waitcnt lgkmcnt(0)
	v_mul_f64 v[39:40], v[33:34], v[37:38]
	v_mul_f64 v[37:38], v[31:32], v[37:38]
	v_fma_f64 v[31:32], v[31:32], v[35:36], -v[39:40]
	v_fma_f64 v[33:34], v[33:34], v[35:36], v[37:38]
	v_add_f64 v[10:11], v[10:11], v[31:32]
	v_add_f64 v[12:13], v[12:13], v[33:34]
.LBB75_203:
	s_or_b64 exec, exec, s[90:91]
	s_movk_i32 s18, 0xe0
	v_cmp_gt_u32_e64 s[18:19], s18, v17
	s_and_saveexec_b64 s[90:91], s[18:19]
	s_cbranch_execz .LBB75_205
; %bb.204:
	ds_read_b128 v[31:34], v30 offset:8480
	ds_read_b128 v[35:38], v29 offset:9216
	s_waitcnt lgkmcnt(0)
	v_mul_f64 v[39:40], v[33:34], v[37:38]
	v_mul_f64 v[37:38], v[31:32], v[37:38]
	v_fma_f64 v[31:32], v[31:32], v[35:36], -v[39:40]
	v_fma_f64 v[33:34], v[33:34], v[35:36], v[37:38]
	v_add_f64 v[10:11], v[10:11], v[31:32]
	v_add_f64 v[12:13], v[12:13], v[33:34]
.LBB75_205:
	s_or_b64 exec, exec, s[90:91]
	s_movk_i32 s18, 0xd0
	v_cmp_gt_u32_e64 s[18:19], s18, v17
	;; [unrolled: 16-line block ×10, first 2 shown]
	s_and_saveexec_b64 s[90:91], s[18:19]
	s_cbranch_execnz .LBB75_529
; %bb.222:
	s_or_b64 exec, exec, s[90:91]
	s_and_saveexec_b64 s[18:19], s[8:9]
	s_cbranch_execnz .LBB75_530
.LBB75_223:
	s_or_b64 exec, exec, s[18:19]
	v_cmp_gt_u32_e64 s[18:19], 48, v17
	s_and_saveexec_b64 s[90:91], s[18:19]
	s_cbranch_execnz .LBB75_531
.LBB75_224:
	s_or_b64 exec, exec, s[90:91]
	v_cmp_gt_u32_e64 s[18:19], 32, v17
	s_and_saveexec_b64 s[90:91], s[18:19]
	s_cbranch_execnz .LBB75_532
.LBB75_225:
	s_or_b64 exec, exec, s[90:91]
	v_cmp_gt_u32_e64 s[18:19], 16, v17
	s_and_saveexec_b64 s[90:91], s[18:19]
	s_cbranch_execz .LBB75_227
.LBB75_226:
	v_lshlrev_b32_e32 v33, 4, v0
	v_mov_b32_e32 v29, 0
	ds_read_b128 v[29:32], v29 offset:16368
	ds_read_b128 v[33:36], v33 offset:15872
	s_waitcnt lgkmcnt(0)
	v_mul_f64 v[37:38], v[31:32], v[35:36]
	v_mul_f64 v[35:36], v[29:30], v[35:36]
	v_fma_f64 v[29:30], v[29:30], v[33:34], -v[37:38]
	v_fma_f64 v[31:32], v[31:32], v[33:34], v[35:36]
	v_add_f64 v[10:11], v[10:11], v[29:30]
	v_add_f64 v[12:13], v[12:13], v[31:32]
.LBB75_227:
	s_or_b64 exec, exec, s[90:91]
.LBB75_228:
	s_or_b64 exec, exec, s[88:89]
	v_mov_b32_e32 v29, 0x4000
	v_cmp_eq_u32_e64 s[18:19], 15, v26
	s_xor_b64 s[88:89], s[14:15], -1
	v_lshl_add_u32 v28, v28, 4, v29
	s_and_b64 s[18:19], s[18:19], s[88:89]
	s_and_saveexec_b64 s[14:15], s[18:19]
; %bb.229:
	v_xor_b32_e32 v32, 0x80000000, v13
	v_xor_b32_e32 v30, 0x80000000, v11
	v_mov_b32_e32 v29, v10
	v_mov_b32_e32 v31, v12
	ds_write_b128 v28, v[29:32]
; %bb.230:
	s_or_b64 exec, exec, s[14:15]
	v_cmp_ne_u32_e64 s[14:15], 15, v26
	s_and_b64 s[18:19], s[14:15], s[88:89]
	s_waitcnt lgkmcnt(0)
	s_barrier
	s_and_saveexec_b64 s[14:15], s[18:19]
	s_cbranch_execz .LBB75_232
; %bb.231:
	v_lshlrev_b32_e32 v33, 4, v26
	ds_read_b128 v[29:32], v28
	ds_read_b128 v[33:36], v33 offset:7680
	s_waitcnt lgkmcnt(0)
	v_mul_f64 v[37:38], v[31:32], v[35:36]
	v_mul_f64 v[35:36], v[29:30], v[35:36]
	v_fma_f64 v[29:30], v[29:30], v[33:34], -v[37:38]
	v_fma_f64 v[31:32], v[31:32], v[33:34], v[35:36]
	v_add_f64 v[10:11], v[10:11], -v[29:30]
	v_add_f64 v[12:13], v[12:13], -v[31:32]
.LBB75_232:
	s_or_b64 exec, exec, s[14:15]
	v_cmp_eq_u32_e64 s[14:15], 14, v26
	s_and_b64 s[18:19], s[14:15], s[88:89]
	s_barrier
	s_and_saveexec_b64 s[14:15], s[18:19]
; %bb.233:
	v_xor_b32_e32 v32, 0x80000000, v13
	v_xor_b32_e32 v30, 0x80000000, v11
	v_mov_b32_e32 v29, v10
	v_mov_b32_e32 v31, v12
	ds_write_b128 v28, v[29:32]
; %bb.234:
	s_or_b64 exec, exec, s[14:15]
	v_cmp_gt_u32_e64 s[14:15], 14, v26
	s_and_b64 s[18:19], s[14:15], s[88:89]
	s_waitcnt lgkmcnt(0)
	s_barrier
	s_and_saveexec_b64 s[14:15], s[18:19]
	s_cbranch_execz .LBB75_236
; %bb.235:
	v_lshlrev_b32_e32 v33, 4, v26
	ds_read_b128 v[29:32], v28
	ds_read_b128 v[33:36], v33 offset:7168
	s_waitcnt lgkmcnt(0)
	v_mul_f64 v[37:38], v[31:32], v[35:36]
	v_mul_f64 v[35:36], v[29:30], v[35:36]
	v_fma_f64 v[29:30], v[29:30], v[33:34], -v[37:38]
	v_fma_f64 v[31:32], v[31:32], v[33:34], v[35:36]
	v_add_f64 v[10:11], v[10:11], -v[29:30]
	v_add_f64 v[12:13], v[12:13], -v[31:32]
.LBB75_236:
	s_or_b64 exec, exec, s[14:15]
	v_cmp_eq_u32_e64 s[14:15], 13, v26
	s_and_b64 s[18:19], s[14:15], s[88:89]
	s_barrier
	s_and_saveexec_b64 s[14:15], s[18:19]
; %bb.237:
	v_xor_b32_e32 v32, 0x80000000, v13
	v_xor_b32_e32 v30, 0x80000000, v11
	v_mov_b32_e32 v29, v10
	v_mov_b32_e32 v31, v12
	ds_write_b128 v28, v[29:32]
; %bb.238:
	s_or_b64 exec, exec, s[14:15]
	v_cmp_gt_u32_e64 s[14:15], 13, v26
	;; [unrolled: 31-line block ×13, first 2 shown]
	s_and_b64 s[18:19], s[14:15], s[88:89]
	s_waitcnt lgkmcnt(0)
	s_barrier
	s_and_saveexec_b64 s[14:15], s[18:19]
	s_cbranch_execz .LBB75_284
; %bb.283:
	v_lshlrev_b32_e32 v33, 4, v26
	ds_read_b128 v[29:32], v28
	ds_read_b128 v[33:36], v33 offset:1024
	s_waitcnt lgkmcnt(0)
	v_mul_f64 v[37:38], v[31:32], v[35:36]
	v_mul_f64 v[35:36], v[29:30], v[35:36]
	v_fma_f64 v[29:30], v[29:30], v[33:34], -v[37:38]
	v_fma_f64 v[31:32], v[31:32], v[33:34], v[35:36]
	v_add_f64 v[10:11], v[10:11], -v[29:30]
	v_add_f64 v[12:13], v[12:13], -v[31:32]
.LBB75_284:
	s_or_b64 exec, exec, s[14:15]
	v_cmp_eq_u32_e64 s[14:15], 1, v26
	s_and_b64 s[18:19], s[14:15], s[88:89]
	s_barrier
	s_and_saveexec_b64 s[14:15], s[18:19]
; %bb.285:
	v_xor_b32_e32 v32, 0x80000000, v13
	v_xor_b32_e32 v30, 0x80000000, v11
	v_mov_b32_e32 v29, v10
	v_mov_b32_e32 v31, v12
	ds_write_b128 v28, v[29:32]
; %bb.286:
	s_or_b64 exec, exec, s[14:15]
	v_cmp_eq_u32_e64 s[14:15], 0, v26
	s_and_b64 s[14:15], s[14:15], s[88:89]
	s_waitcnt lgkmcnt(0)
	s_barrier
	s_and_saveexec_b64 s[18:19], s[14:15]
	s_cbranch_execz .LBB75_288
; %bb.287:
	v_mov_b32_e32 v33, 0
	ds_read_b128 v[29:32], v28
	ds_read_b128 v[33:36], v33 offset:512
	s_waitcnt lgkmcnt(0)
	v_mul_f64 v[37:38], v[31:32], v[35:36]
	v_mul_f64 v[35:36], v[29:30], v[35:36]
	v_fma_f64 v[29:30], v[29:30], v[33:34], -v[37:38]
	v_fma_f64 v[31:32], v[31:32], v[33:34], v[35:36]
	v_add_f64 v[10:11], v[10:11], -v[29:30]
	v_add_f64 v[12:13], v[12:13], -v[31:32]
.LBB75_288:
	s_or_b64 exec, exec, s[18:19]
	s_barrier
	s_and_saveexec_b64 s[18:19], s[14:15]
; %bb.289:
	v_xor_b32_e32 v32, 0x80000000, v13
	v_xor_b32_e32 v30, 0x80000000, v11
	v_mov_b32_e32 v29, v10
	v_mov_b32_e32 v31, v12
	ds_write_b128 v28, v[29:32]
; %bb.290:
	s_or_b64 exec, exec, s[18:19]
	s_waitcnt lgkmcnt(0)
	s_barrier
	s_barrier
	s_and_saveexec_b64 s[14:15], s[12:13]
; %bb.291:
	v_lshlrev_b32_e32 v26, 4, v26
	v_lshl_or_b32 v26, v27, 9, v26
	ds_write_b128 v26, v[10:13] offset:8192
; %bb.292:
	s_or_b64 exec, exec, s[14:15]
	v_cmp_gt_u32_e64 s[12:13], 16, v0
	s_and_b64 s[12:13], s[10:11], s[12:13]
	s_waitcnt lgkmcnt(0)
	s_barrier
	s_barrier
	s_and_saveexec_b64 s[10:11], s[12:13]
	s_cbranch_execz .LBB75_294
; %bb.293:
	v_lshlrev_b32_e32 v26, 9, v0
	ds_read_b128 v[10:13], v26 offset:8192
	s_movk_i32 s12, 0xfe10
	v_mad_i32_i24 v27, v0, s12, v26
	s_waitcnt lgkmcnt(0)
	ds_write_b128 v27, v[10:13] offset:256
	ds_read_b128 v[10:13], v26 offset:8208
	s_waitcnt lgkmcnt(0)
	ds_write_b128 v27, v[10:13] offset:768
	ds_read_b128 v[10:13], v26 offset:8224
	;; [unrolled: 3-line block ×15, first 2 shown]
	s_waitcnt lgkmcnt(0)
	ds_write_b128 v27, v[10:13] offset:7936
.LBB75_294:
	s_or_b64 exec, exec, s[10:11]
	s_waitcnt lgkmcnt(0)
	s_barrier
	s_and_saveexec_b64 s[10:11], vcc
	s_cbranch_execz .LBB75_296
; %bb.295:
	s_mov_b32 s12, 0
	v_mov_b32_e32 v30, 0
	ds_read_b128 v[10:13], v30 offset:7904
	s_mov_b32 s15, s12
	s_mov_b32 s13, 0x3ff00000
	;; [unrolled: 1-line block ×3, first 2 shown]
	v_mov_b32_e32 v29, s15
	v_mov_b32_e32 v28, s14
	;; [unrolled: 1-line block ×4, first 2 shown]
	ds_write_b128 v30, v[26:29] offset:7392
	ds_write_b128 v30, v[26:29] offset:7920
	s_waitcnt lgkmcnt(2)
	ds_write_b128 v30, v[10:13] offset:7408
.LBB75_296:
	s_or_b64 exec, exec, s[10:11]
	v_mov_b32_e32 v10, 0
	v_mov_b32_e32 v12, 0
	;; [unrolled: 1-line block ×4, first 2 shown]
	s_waitcnt lgkmcnt(0)
	s_barrier
	buffer_wbinvl1_vol
	s_and_saveexec_b64 s[12:13], s[2:3]
	s_cbranch_execz .LBB75_300
; %bb.297:
	v_lshlrev_b32_e32 v26, 4, v14
	v_lshlrev_b32_e32 v10, 9, v15
	ds_read_b128 v[10:13], v10 offset:7392
	ds_read_b128 v[26:29], v26 offset:7360
	v_cmp_gt_u32_e64 s[10:11], 2, v17
	s_waitcnt lgkmcnt(0)
	v_mul_f64 v[30:31], v[12:13], v[28:29]
	v_mul_f64 v[28:29], v[10:11], v[28:29]
	v_fma_f64 v[10:11], v[10:11], v[26:27], -v[30:31]
	v_fma_f64 v[12:13], v[12:13], v[26:27], v[28:29]
	v_add_f64 v[10:11], v[10:11], 0
	v_add_f64 v[12:13], v[12:13], 0
	s_and_saveexec_b64 s[14:15], s[10:11]
	s_cbranch_execz .LBB75_299
; %bb.298:
	v_lshlrev_b32_e32 v30, 4, v0
	v_mov_b32_e32 v26, 0
	ds_read_b128 v[26:29], v26 offset:7920
	ds_read_b128 v[30:33], v30 offset:7872
	s_waitcnt lgkmcnt(0)
	v_mul_f64 v[34:35], v[28:29], v[32:33]
	v_mul_f64 v[32:33], v[26:27], v[32:33]
	v_fma_f64 v[26:27], v[26:27], v[30:31], -v[34:35]
	v_fma_f64 v[28:29], v[28:29], v[30:31], v[32:33]
	v_add_f64 v[10:11], v[10:11], v[26:27]
	v_add_f64 v[12:13], v[12:13], v[28:29]
.LBB75_299:
	s_or_b64 exec, exec, s[14:15]
.LBB75_300:
	s_or_b64 exec, exec, s[12:13]
	s_and_saveexec_b64 s[10:11], s[40:41]
; %bb.301:
	v_xor_b32_e32 v27, 0x80000000, v11
	v_xor_b32_e32 v29, 0x80000000, v13
	v_mov_b32_e32 v26, v10
	v_mov_b32_e32 v28, v12
	ds_write_b128 v16, v[26:29]
; %bb.302:
	s_or_b64 exec, exec, s[10:11]
	s_waitcnt lgkmcnt(0)
	s_barrier
	s_and_saveexec_b64 s[10:11], s[24:25]
	s_cbranch_execz .LBB75_304
; %bb.303:
	v_mov_b32_e32 v30, 0
	ds_read_b128 v[26:29], v16
	ds_read_b128 v[30:33], v30 offset:6848
	s_waitcnt lgkmcnt(0)
	v_mul_f64 v[34:35], v[26:27], v[30:31]
	v_mul_f64 v[26:27], v[26:27], v[32:33]
	v_fma_f64 v[32:33], v[28:29], v[32:33], -v[34:35]
	v_fma_f64 v[26:27], v[28:29], v[30:31], v[26:27]
	v_add_f64 v[10:11], v[10:11], v[32:33]
	v_add_f64 v[12:13], v[12:13], -v[26:27]
.LBB75_304:
	s_or_b64 exec, exec, s[10:11]
	s_barrier
	s_and_saveexec_b64 s[10:11], s[24:25]
; %bb.305:
	v_xor_b32_e32 v27, 0x80000000, v11
	v_xor_b32_e32 v29, 0x80000000, v13
	v_mov_b32_e32 v26, v10
	v_mov_b32_e32 v28, v12
	ds_write_b128 v16, v[26:29]
; %bb.306:
	s_or_b64 exec, exec, s[10:11]
	s_waitcnt lgkmcnt(0)
	s_barrier
	s_barrier
	s_and_saveexec_b64 s[10:11], s[2:3]
; %bb.307:
	v_lshlrev_b32_e32 v26, 4, v14
	v_lshl_or_b32 v26, v15, 9, v26
	ds_write_b128 v26, v[10:13] offset:7360
; %bb.308:
	s_or_b64 exec, exec, s[10:11]
	s_waitcnt lgkmcnt(0)
	s_barrier
	s_barrier
	s_and_saveexec_b64 s[10:11], s[42:43]
	s_cbranch_execz .LBB75_310
; %bb.309:
	v_lshlrev_b32_e32 v26, 9, v0
	ds_read_b128 v[10:13], v26 offset:7360
	s_movk_i32 s12, 0xfe10
	v_mad_i32_i24 v27, v0, s12, v26
	s_waitcnt lgkmcnt(0)
	ds_write_b128 v27, v[10:13] offset:6368
	ds_read_b128 v[10:13], v26 offset:7376
	s_waitcnt lgkmcnt(0)
	ds_write_b128 v27, v[10:13] offset:6880
.LBB75_310:
	s_or_b64 exec, exec, s[10:11]
	s_waitcnt lgkmcnt(0)
	s_barrier
	s_and_saveexec_b64 s[10:11], vcc
	s_cbranch_execz .LBB75_312
; %bb.311:
	s_mov_b32 s12, 0
	v_mov_b32_e32 v30, 0
	ds_read_b128 v[10:13], v30 offset:6848
	s_mov_b32 s15, s12
	s_mov_b32 s13, 0x3ff00000
	s_mov_b32 s14, s12
	v_mov_b32_e32 v29, s15
	v_mov_b32_e32 v28, s14
	;; [unrolled: 1-line block ×4, first 2 shown]
	ds_write_b128 v30, v[26:29] offset:6336
	ds_write_b128 v30, v[26:29] offset:6864
	s_waitcnt lgkmcnt(2)
	ds_write_b128 v30, v[10:13] offset:6352
.LBB75_312:
	s_or_b64 exec, exec, s[10:11]
	v_mov_b32_e32 v12, 0
	v_mov_b32_e32 v10, 0
	;; [unrolled: 1-line block ×4, first 2 shown]
	s_waitcnt lgkmcnt(0)
	s_barrier
	buffer_wbinvl1_vol
	s_and_saveexec_b64 s[12:13], s[16:17]
	s_cbranch_execz .LBB75_318
; %bb.313:
	v_lshlrev_b32_e32 v27, 9, v19
	v_lshlrev_b32_e32 v26, 4, v18
	ds_read_b128 v[10:13], v27 offset:6336
	ds_read_b128 v[28:31], v26 offset:6272
	v_cmp_gt_u32_e64 s[10:11], 12, v17
	s_waitcnt lgkmcnt(0)
	v_mul_f64 v[32:33], v[12:13], v[30:31]
	v_mul_f64 v[30:31], v[10:11], v[30:31]
	v_fma_f64 v[10:11], v[10:11], v[28:29], -v[32:33]
	v_fma_f64 v[12:13], v[12:13], v[28:29], v[30:31]
	v_add_f64 v[10:11], v[10:11], 0
	v_add_f64 v[12:13], v[12:13], 0
	s_and_saveexec_b64 s[14:15], s[10:11]
	s_cbranch_execnz .LBB75_533
; %bb.314:
	s_or_b64 exec, exec, s[14:15]
	v_cmp_gt_u32_e64 s[10:11], 8, v17
	s_and_saveexec_b64 s[14:15], s[10:11]
	s_cbranch_execnz .LBB75_534
.LBB75_315:
	s_or_b64 exec, exec, s[14:15]
	v_cmp_gt_u32_e64 s[10:11], 4, v17
	s_and_saveexec_b64 s[14:15], s[10:11]
	s_cbranch_execz .LBB75_317
.LBB75_316:
	v_lshlrev_b32_e32 v30, 4, v0
	v_mov_b32_e32 v26, 0
	ds_read_b128 v[26:29], v26 offset:7920
	ds_read_b128 v[30:33], v30 offset:7808
	s_waitcnt lgkmcnt(0)
	v_mul_f64 v[34:35], v[28:29], v[32:33]
	v_mul_f64 v[32:33], v[26:27], v[32:33]
	v_fma_f64 v[26:27], v[26:27], v[30:31], -v[34:35]
	v_fma_f64 v[28:29], v[28:29], v[30:31], v[32:33]
	v_add_f64 v[10:11], v[10:11], v[26:27]
	v_add_f64 v[12:13], v[12:13], v[28:29]
.LBB75_317:
	s_or_b64 exec, exec, s[14:15]
.LBB75_318:
	s_or_b64 exec, exec, s[12:13]
	s_and_saveexec_b64 s[10:11], s[46:47]
; %bb.319:
	v_xor_b32_e32 v29, 0x80000000, v13
	v_xor_b32_e32 v27, 0x80000000, v11
	v_mov_b32_e32 v26, v10
	v_mov_b32_e32 v28, v12
	ds_write_b128 v20, v[26:29]
; %bb.320:
	s_or_b64 exec, exec, s[10:11]
	s_waitcnt lgkmcnt(0)
	s_barrier
	s_and_saveexec_b64 s[10:11], s[48:49]
	s_cbranch_execz .LBB75_322
; %bb.321:
	v_lshlrev_b32_e32 v30, 4, v18
	ds_read_b128 v[26:29], v20
	ds_read_b128 v[30:33], v30 offset:5760
	s_waitcnt lgkmcnt(0)
	v_mul_f64 v[34:35], v[28:29], v[32:33]
	v_mul_f64 v[32:33], v[26:27], v[32:33]
	v_fma_f64 v[26:27], v[26:27], v[30:31], -v[34:35]
	v_fma_f64 v[28:29], v[28:29], v[30:31], v[32:33]
	v_add_f64 v[10:11], v[10:11], -v[26:27]
	v_add_f64 v[12:13], v[12:13], -v[28:29]
.LBB75_322:
	s_or_b64 exec, exec, s[10:11]
	s_barrier
	s_and_saveexec_b64 s[10:11], s[50:51]
; %bb.323:
	v_xor_b32_e32 v29, 0x80000000, v13
	v_xor_b32_e32 v27, 0x80000000, v11
	v_mov_b32_e32 v26, v10
	v_mov_b32_e32 v28, v12
	ds_write_b128 v20, v[26:29]
; %bb.324:
	s_or_b64 exec, exec, s[10:11]
	s_waitcnt lgkmcnt(0)
	s_barrier
	s_and_saveexec_b64 s[10:11], s[52:53]
	s_cbranch_execz .LBB75_326
; %bb.325:
	v_lshlrev_b32_e32 v30, 4, v18
	ds_read_b128 v[26:29], v20
	ds_read_b128 v[30:33], v30 offset:5248
	s_waitcnt lgkmcnt(0)
	v_mul_f64 v[34:35], v[28:29], v[32:33]
	v_mul_f64 v[32:33], v[26:27], v[32:33]
	v_fma_f64 v[26:27], v[26:27], v[30:31], -v[34:35]
	v_fma_f64 v[28:29], v[28:29], v[30:31], v[32:33]
	v_add_f64 v[10:11], v[10:11], -v[26:27]
	v_add_f64 v[12:13], v[12:13], -v[28:29]
.LBB75_326:
	s_or_b64 exec, exec, s[10:11]
	s_barrier
	s_and_saveexec_b64 s[10:11], s[54:55]
; %bb.327:
	v_xor_b32_e32 v29, 0x80000000, v13
	v_xor_b32_e32 v27, 0x80000000, v11
	v_mov_b32_e32 v26, v10
	v_mov_b32_e32 v28, v12
	ds_write_b128 v20, v[26:29]
; %bb.328:
	s_or_b64 exec, exec, s[10:11]
	s_waitcnt lgkmcnt(0)
	s_barrier
	s_and_saveexec_b64 s[10:11], s[44:45]
	s_cbranch_execz .LBB75_330
; %bb.329:
	v_mov_b32_e32 v30, 0
	ds_read_b128 v[26:29], v20
	ds_read_b128 v[30:33], v30 offset:4736
	s_waitcnt lgkmcnt(0)
	v_mul_f64 v[34:35], v[28:29], v[32:33]
	v_mul_f64 v[32:33], v[26:27], v[32:33]
	v_fma_f64 v[26:27], v[26:27], v[30:31], -v[34:35]
	v_fma_f64 v[28:29], v[28:29], v[30:31], v[32:33]
	v_add_f64 v[10:11], v[10:11], -v[26:27]
	v_add_f64 v[12:13], v[12:13], -v[28:29]
.LBB75_330:
	s_or_b64 exec, exec, s[10:11]
	s_barrier
	s_and_saveexec_b64 s[10:11], s[44:45]
; %bb.331:
	v_xor_b32_e32 v29, 0x80000000, v13
	v_xor_b32_e32 v27, 0x80000000, v11
	v_mov_b32_e32 v26, v10
	v_mov_b32_e32 v28, v12
	ds_write_b128 v20, v[26:29]
; %bb.332:
	s_or_b64 exec, exec, s[10:11]
	s_waitcnt lgkmcnt(0)
	s_barrier
	s_barrier
	s_and_saveexec_b64 s[10:11], s[16:17]
; %bb.333:
	v_lshlrev_b32_e32 v26, 4, v18
	v_lshl_or_b32 v26, v19, 9, v26
	ds_write_b128 v26, v[10:13] offset:6272
; %bb.334:
	s_or_b64 exec, exec, s[10:11]
	s_waitcnt lgkmcnt(0)
	s_barrier
	s_barrier
	s_and_saveexec_b64 s[10:11], s[56:57]
	s_cbranch_execz .LBB75_336
; %bb.335:
	v_lshlrev_b32_e32 v26, 4, v0
	s_movk_i32 s12, 0x1f0
	v_mad_u32_u24 v27, v0, s12, v26
	ds_read_b128 v[10:13], v27 offset:6272
	s_waitcnt lgkmcnt(0)
	ds_write_b128 v26, v[10:13] offset:4288
	ds_read_b128 v[10:13], v27 offset:6288
	s_waitcnt lgkmcnt(0)
	ds_write_b128 v26, v[10:13] offset:4800
	;; [unrolled: 3-line block ×4, first 2 shown]
.LBB75_336:
	s_or_b64 exec, exec, s[10:11]
	s_waitcnt lgkmcnt(0)
	s_barrier
	s_and_saveexec_b64 s[10:11], vcc
	s_cbranch_execz .LBB75_338
; %bb.337:
	s_mov_b32 s12, 0
	v_mov_b32_e32 v30, 0
	ds_read_b128 v[10:13], v30 offset:5792
	s_mov_b32 s15, s12
	s_mov_b32 s13, 0x3ff00000
	;; [unrolled: 1-line block ×3, first 2 shown]
	v_mov_b32_e32 v29, s15
	v_mov_b32_e32 v28, s14
	;; [unrolled: 1-line block ×4, first 2 shown]
	ds_write_b128 v30, v[26:29] offset:5280
	ds_write_b128 v30, v[26:29] offset:5808
	s_waitcnt lgkmcnt(2)
	ds_write_b128 v30, v[10:13] offset:5296
.LBB75_338:
	s_or_b64 exec, exec, s[10:11]
	v_mov_b32_e32 v10, 0
	v_mov_b32_e32 v12, 0
	;; [unrolled: 1-line block ×4, first 2 shown]
	s_waitcnt lgkmcnt(0)
	s_barrier
	buffer_wbinvl1_vol
	s_and_saveexec_b64 s[12:13], s[2:3]
	s_cbranch_execz .LBB75_342
; %bb.339:
	v_lshlrev_b32_e32 v26, 4, v14
	v_lshlrev_b32_e32 v10, 9, v15
	ds_read_b128 v[10:13], v10 offset:5280
	ds_read_b128 v[26:29], v26 offset:5248
	v_cmp_gt_u32_e64 s[10:11], 2, v17
	s_waitcnt lgkmcnt(0)
	v_mul_f64 v[30:31], v[12:13], v[28:29]
	v_mul_f64 v[28:29], v[10:11], v[28:29]
	v_fma_f64 v[10:11], v[10:11], v[26:27], -v[30:31]
	v_fma_f64 v[12:13], v[12:13], v[26:27], v[28:29]
	v_add_f64 v[10:11], v[10:11], 0
	v_add_f64 v[12:13], v[12:13], 0
	s_and_saveexec_b64 s[14:15], s[10:11]
	s_cbranch_execz .LBB75_341
; %bb.340:
	v_lshlrev_b32_e32 v30, 4, v0
	v_mov_b32_e32 v26, 0
	ds_read_b128 v[26:29], v26 offset:5808
	ds_read_b128 v[30:33], v30 offset:5760
	s_waitcnt lgkmcnt(0)
	v_mul_f64 v[34:35], v[28:29], v[32:33]
	v_mul_f64 v[32:33], v[26:27], v[32:33]
	v_fma_f64 v[26:27], v[26:27], v[30:31], -v[34:35]
	v_fma_f64 v[28:29], v[28:29], v[30:31], v[32:33]
	v_add_f64 v[10:11], v[10:11], v[26:27]
	v_add_f64 v[12:13], v[12:13], v[28:29]
.LBB75_341:
	s_or_b64 exec, exec, s[14:15]
.LBB75_342:
	s_or_b64 exec, exec, s[12:13]
	s_and_saveexec_b64 s[10:11], s[40:41]
; %bb.343:
	v_xor_b32_e32 v27, 0x80000000, v11
	v_xor_b32_e32 v29, 0x80000000, v13
	v_mov_b32_e32 v26, v10
	v_mov_b32_e32 v28, v12
	ds_write_b128 v16, v[26:29]
; %bb.344:
	s_or_b64 exec, exec, s[10:11]
	s_waitcnt lgkmcnt(0)
	s_barrier
	s_and_saveexec_b64 s[10:11], s[24:25]
	s_cbranch_execz .LBB75_346
; %bb.345:
	v_mov_b32_e32 v30, 0
	ds_read_b128 v[26:29], v16
	ds_read_b128 v[30:33], v30 offset:4736
	s_waitcnt lgkmcnt(0)
	v_mul_f64 v[34:35], v[26:27], v[30:31]
	v_mul_f64 v[26:27], v[26:27], v[32:33]
	v_fma_f64 v[32:33], v[28:29], v[32:33], -v[34:35]
	v_fma_f64 v[26:27], v[28:29], v[30:31], v[26:27]
	v_add_f64 v[10:11], v[10:11], v[32:33]
	v_add_f64 v[12:13], v[12:13], -v[26:27]
.LBB75_346:
	s_or_b64 exec, exec, s[10:11]
	s_barrier
	s_and_saveexec_b64 s[10:11], s[24:25]
; %bb.347:
	v_xor_b32_e32 v27, 0x80000000, v11
	v_xor_b32_e32 v29, 0x80000000, v13
	v_mov_b32_e32 v26, v10
	v_mov_b32_e32 v28, v12
	ds_write_b128 v16, v[26:29]
; %bb.348:
	s_or_b64 exec, exec, s[10:11]
	s_waitcnt lgkmcnt(0)
	s_barrier
	s_barrier
	s_and_saveexec_b64 s[10:11], s[2:3]
; %bb.349:
	v_lshlrev_b32_e32 v26, 4, v14
	v_lshl_or_b32 v26, v15, 9, v26
	ds_write_b128 v26, v[10:13] offset:5248
; %bb.350:
	s_or_b64 exec, exec, s[10:11]
	s_waitcnt lgkmcnt(0)
	s_barrier
	s_barrier
	s_and_saveexec_b64 s[10:11], s[42:43]
	s_cbranch_execz .LBB75_352
; %bb.351:
	v_lshlrev_b32_e32 v26, 9, v0
	ds_read_b128 v[10:13], v26 offset:5248
	s_movk_i32 s12, 0xfe10
	v_mad_i32_i24 v27, v0, s12, v26
	s_waitcnt lgkmcnt(0)
	ds_write_b128 v27, v[10:13] offset:4256
	ds_read_b128 v[10:13], v26 offset:5264
	s_waitcnt lgkmcnt(0)
	ds_write_b128 v27, v[10:13] offset:4768
.LBB75_352:
	s_or_b64 exec, exec, s[10:11]
	s_waitcnt lgkmcnt(0)
	s_barrier
	s_and_saveexec_b64 s[10:11], vcc
	s_cbranch_execz .LBB75_354
; %bb.353:
	s_mov_b32 s12, 0
	v_mov_b32_e32 v30, 0
	ds_read_b128 v[10:13], v30 offset:4736
	s_mov_b32 s15, s12
	s_mov_b32 s13, 0x3ff00000
	;; [unrolled: 1-line block ×3, first 2 shown]
	v_mov_b32_e32 v29, s15
	v_mov_b32_e32 v28, s14
	;; [unrolled: 1-line block ×4, first 2 shown]
	ds_write_b128 v30, v[26:29] offset:4224
	ds_write_b128 v30, v[26:29] offset:4752
	s_waitcnt lgkmcnt(2)
	ds_write_b128 v30, v[10:13] offset:4240
.LBB75_354:
	s_or_b64 exec, exec, s[10:11]
	v_mov_b32_e32 v12, 0
	v_mov_b32_e32 v10, 0
	;; [unrolled: 1-line block ×4, first 2 shown]
	s_waitcnt lgkmcnt(0)
	s_barrier
	buffer_wbinvl1_vol
	s_and_saveexec_b64 s[12:13], s[8:9]
	s_cbranch_execz .LBB75_364
; %bb.355:
	v_lshlrev_b32_e32 v27, 9, v24
	v_lshlrev_b32_e32 v26, 4, v21
	ds_read_b128 v[10:13], v27 offset:4224
	ds_read_b128 v[28:31], v26 offset:4096
	v_cmp_gt_u32_e64 s[10:11], 56, v17
	s_waitcnt lgkmcnt(0)
	v_mul_f64 v[32:33], v[12:13], v[30:31]
	v_mul_f64 v[30:31], v[10:11], v[30:31]
	v_fma_f64 v[10:11], v[10:11], v[28:29], -v[32:33]
	v_fma_f64 v[12:13], v[12:13], v[28:29], v[30:31]
	v_add_f64 v[10:11], v[10:11], 0
	v_add_f64 v[12:13], v[12:13], 0
	s_and_saveexec_b64 s[14:15], s[10:11]
	s_cbranch_execnz .LBB75_535
; %bb.356:
	s_or_b64 exec, exec, s[14:15]
	v_cmp_gt_u32_e64 s[10:11], 48, v17
	s_and_saveexec_b64 s[14:15], s[10:11]
	s_cbranch_execnz .LBB75_536
.LBB75_357:
	s_or_b64 exec, exec, s[14:15]
	v_cmp_gt_u32_e64 s[10:11], 40, v17
	s_and_saveexec_b64 s[14:15], s[10:11]
	s_cbranch_execnz .LBB75_537
.LBB75_358:
	s_or_b64 exec, exec, s[14:15]
	v_cmp_gt_u32_e64 s[10:11], 32, v17
	s_and_saveexec_b64 s[14:15], s[10:11]
	s_cbranch_execnz .LBB75_538
.LBB75_359:
	s_or_b64 exec, exec, s[14:15]
	v_cmp_gt_u32_e64 s[10:11], 24, v17
	s_and_saveexec_b64 s[14:15], s[10:11]
	s_cbranch_execnz .LBB75_539
.LBB75_360:
	s_or_b64 exec, exec, s[14:15]
	s_and_saveexec_b64 s[10:11], s[16:17]
	s_cbranch_execnz .LBB75_540
.LBB75_361:
	s_or_b64 exec, exec, s[10:11]
	v_cmp_gt_u32_e64 s[10:11], 8, v17
	s_and_saveexec_b64 s[14:15], s[10:11]
	s_cbranch_execz .LBB75_363
.LBB75_362:
	v_lshlrev_b32_e32 v30, 4, v0
	v_mov_b32_e32 v26, 0
	ds_read_b128 v[26:29], v26 offset:7920
	ds_read_b128 v[30:33], v30 offset:7680
	s_waitcnt lgkmcnt(0)
	v_mul_f64 v[34:35], v[28:29], v[32:33]
	v_mul_f64 v[32:33], v[26:27], v[32:33]
	v_fma_f64 v[26:27], v[26:27], v[30:31], -v[34:35]
	v_fma_f64 v[28:29], v[28:29], v[30:31], v[32:33]
	v_add_f64 v[10:11], v[10:11], v[26:27]
	v_add_f64 v[12:13], v[12:13], v[28:29]
.LBB75_363:
	s_or_b64 exec, exec, s[14:15]
.LBB75_364:
	s_or_b64 exec, exec, s[12:13]
	s_and_saveexec_b64 s[10:11], s[60:61]
; %bb.365:
	v_xor_b32_e32 v27, 0x80000000, v11
	v_xor_b32_e32 v29, 0x80000000, v13
	v_mov_b32_e32 v26, v10
	v_mov_b32_e32 v28, v12
	ds_write_b128 v25, v[26:29]
; %bb.366:
	s_or_b64 exec, exec, s[10:11]
	s_waitcnt lgkmcnt(0)
	s_barrier
	s_and_saveexec_b64 s[10:11], s[62:63]
	s_cbranch_execz .LBB75_368
; %bb.367:
	v_lshlrev_b32_e32 v30, 4, v21
	ds_read_b128 v[26:29], v25
	ds_read_b128 v[30:33], v30 offset:3584
	s_waitcnt lgkmcnt(0)
	v_mul_f64 v[34:35], v[28:29], v[32:33]
	v_mul_f64 v[32:33], v[26:27], v[32:33]
	v_fma_f64 v[26:27], v[26:27], v[30:31], -v[34:35]
	v_fma_f64 v[28:29], v[28:29], v[30:31], v[32:33]
	v_add_f64 v[10:11], v[10:11], -v[26:27]
	v_add_f64 v[12:13], v[12:13], -v[28:29]
.LBB75_368:
	s_or_b64 exec, exec, s[10:11]
	s_barrier
	s_and_saveexec_b64 s[10:11], s[64:65]
; %bb.369:
	v_xor_b32_e32 v27, 0x80000000, v11
	v_xor_b32_e32 v29, 0x80000000, v13
	v_mov_b32_e32 v26, v10
	v_mov_b32_e32 v28, v12
	ds_write_b128 v25, v[26:29]
; %bb.370:
	s_or_b64 exec, exec, s[10:11]
	s_waitcnt lgkmcnt(0)
	s_barrier
	s_and_saveexec_b64 s[10:11], s[66:67]
	s_cbranch_execz .LBB75_372
; %bb.371:
	v_lshlrev_b32_e32 v30, 4, v21
	ds_read_b128 v[26:29], v25
	ds_read_b128 v[30:33], v30 offset:3072
	s_waitcnt lgkmcnt(0)
	v_mul_f64 v[34:35], v[28:29], v[32:33]
	v_mul_f64 v[32:33], v[26:27], v[32:33]
	v_fma_f64 v[26:27], v[26:27], v[30:31], -v[34:35]
	v_fma_f64 v[28:29], v[28:29], v[30:31], v[32:33]
	v_add_f64 v[10:11], v[10:11], -v[26:27]
	v_add_f64 v[12:13], v[12:13], -v[28:29]
.LBB75_372:
	s_or_b64 exec, exec, s[10:11]
	s_barrier
	s_and_saveexec_b64 s[10:11], s[68:69]
; %bb.373:
	v_xor_b32_e32 v27, 0x80000000, v11
	v_xor_b32_e32 v29, 0x80000000, v13
	v_mov_b32_e32 v26, v10
	v_mov_b32_e32 v28, v12
	ds_write_b128 v25, v[26:29]
; %bb.374:
	s_or_b64 exec, exec, s[10:11]
	s_waitcnt lgkmcnt(0)
	s_barrier
	s_and_saveexec_b64 s[10:11], s[70:71]
	s_cbranch_execz .LBB75_376
; %bb.375:
	v_lshlrev_b32_e32 v30, 4, v21
	ds_read_b128 v[26:29], v25
	ds_read_b128 v[30:33], v30 offset:2560
	s_waitcnt lgkmcnt(0)
	v_mul_f64 v[34:35], v[28:29], v[32:33]
	v_mul_f64 v[32:33], v[26:27], v[32:33]
	v_fma_f64 v[26:27], v[26:27], v[30:31], -v[34:35]
	v_fma_f64 v[28:29], v[28:29], v[30:31], v[32:33]
	v_add_f64 v[10:11], v[10:11], -v[26:27]
	v_add_f64 v[12:13], v[12:13], -v[28:29]
.LBB75_376:
	s_or_b64 exec, exec, s[10:11]
	s_barrier
	s_and_saveexec_b64 s[10:11], s[72:73]
; %bb.377:
	v_xor_b32_e32 v27, 0x80000000, v11
	v_xor_b32_e32 v29, 0x80000000, v13
	v_mov_b32_e32 v26, v10
	v_mov_b32_e32 v28, v12
	ds_write_b128 v25, v[26:29]
; %bb.378:
	s_or_b64 exec, exec, s[10:11]
	s_waitcnt lgkmcnt(0)
	s_barrier
	s_and_saveexec_b64 s[10:11], s[74:75]
	s_cbranch_execz .LBB75_380
; %bb.379:
	v_lshlrev_b32_e32 v30, 4, v21
	ds_read_b128 v[26:29], v25
	ds_read_b128 v[30:33], v30 offset:2048
	s_waitcnt lgkmcnt(0)
	v_mul_f64 v[34:35], v[28:29], v[32:33]
	v_mul_f64 v[32:33], v[26:27], v[32:33]
	v_fma_f64 v[26:27], v[26:27], v[30:31], -v[34:35]
	v_fma_f64 v[28:29], v[28:29], v[30:31], v[32:33]
	v_add_f64 v[10:11], v[10:11], -v[26:27]
	v_add_f64 v[12:13], v[12:13], -v[28:29]
.LBB75_380:
	s_or_b64 exec, exec, s[10:11]
	s_barrier
	s_and_saveexec_b64 s[10:11], s[76:77]
; %bb.381:
	v_xor_b32_e32 v27, 0x80000000, v11
	v_xor_b32_e32 v29, 0x80000000, v13
	v_mov_b32_e32 v26, v10
	v_mov_b32_e32 v28, v12
	ds_write_b128 v25, v[26:29]
; %bb.382:
	s_or_b64 exec, exec, s[10:11]
	s_waitcnt lgkmcnt(0)
	s_barrier
	s_and_saveexec_b64 s[10:11], s[78:79]
	s_cbranch_execz .LBB75_384
; %bb.383:
	v_lshlrev_b32_e32 v30, 4, v21
	ds_read_b128 v[26:29], v25
	ds_read_b128 v[30:33], v30 offset:1536
	s_waitcnt lgkmcnt(0)
	v_mul_f64 v[34:35], v[28:29], v[32:33]
	v_mul_f64 v[32:33], v[26:27], v[32:33]
	v_fma_f64 v[26:27], v[26:27], v[30:31], -v[34:35]
	v_fma_f64 v[28:29], v[28:29], v[30:31], v[32:33]
	v_add_f64 v[10:11], v[10:11], -v[26:27]
	v_add_f64 v[12:13], v[12:13], -v[28:29]
.LBB75_384:
	s_or_b64 exec, exec, s[10:11]
	s_barrier
	s_and_saveexec_b64 s[10:11], s[80:81]
; %bb.385:
	v_xor_b32_e32 v27, 0x80000000, v11
	v_xor_b32_e32 v29, 0x80000000, v13
	v_mov_b32_e32 v26, v10
	v_mov_b32_e32 v28, v12
	ds_write_b128 v25, v[26:29]
; %bb.386:
	s_or_b64 exec, exec, s[10:11]
	s_waitcnt lgkmcnt(0)
	s_barrier
	s_and_saveexec_b64 s[10:11], s[82:83]
	s_cbranch_execz .LBB75_388
; %bb.387:
	v_lshlrev_b32_e32 v30, 4, v21
	ds_read_b128 v[26:29], v25
	ds_read_b128 v[30:33], v30 offset:1024
	s_waitcnt lgkmcnt(0)
	v_mul_f64 v[34:35], v[28:29], v[32:33]
	v_mul_f64 v[32:33], v[26:27], v[32:33]
	v_fma_f64 v[26:27], v[26:27], v[30:31], -v[34:35]
	v_fma_f64 v[28:29], v[28:29], v[30:31], v[32:33]
	v_add_f64 v[10:11], v[10:11], -v[26:27]
	v_add_f64 v[12:13], v[12:13], -v[28:29]
.LBB75_388:
	s_or_b64 exec, exec, s[10:11]
	s_barrier
	s_and_saveexec_b64 s[10:11], s[84:85]
; %bb.389:
	v_xor_b32_e32 v27, 0x80000000, v11
	v_xor_b32_e32 v29, 0x80000000, v13
	v_mov_b32_e32 v26, v10
	v_mov_b32_e32 v28, v12
	ds_write_b128 v25, v[26:29]
; %bb.390:
	s_or_b64 exec, exec, s[10:11]
	s_waitcnt lgkmcnt(0)
	s_barrier
	s_and_saveexec_b64 s[10:11], s[58:59]
	s_cbranch_execz .LBB75_392
; %bb.391:
	v_mov_b32_e32 v30, 0
	ds_read_b128 v[26:29], v25
	ds_read_b128 v[30:33], v30 offset:512
	s_waitcnt lgkmcnt(0)
	v_mul_f64 v[34:35], v[28:29], v[32:33]
	v_mul_f64 v[32:33], v[26:27], v[32:33]
	v_fma_f64 v[26:27], v[26:27], v[30:31], -v[34:35]
	v_fma_f64 v[28:29], v[28:29], v[30:31], v[32:33]
	v_add_f64 v[10:11], v[10:11], -v[26:27]
	v_add_f64 v[12:13], v[12:13], -v[28:29]
.LBB75_392:
	s_or_b64 exec, exec, s[10:11]
	s_barrier
	s_and_saveexec_b64 s[10:11], s[58:59]
; %bb.393:
	v_xor_b32_e32 v27, 0x80000000, v11
	v_xor_b32_e32 v29, 0x80000000, v13
	v_mov_b32_e32 v26, v10
	v_mov_b32_e32 v28, v12
	ds_write_b128 v25, v[26:29]
; %bb.394:
	s_or_b64 exec, exec, s[10:11]
	s_waitcnt lgkmcnt(0)
	s_barrier
	s_barrier
	s_and_saveexec_b64 s[10:11], s[8:9]
; %bb.395:
	v_lshlrev_b32_e32 v21, 4, v21
	v_lshl_or_b32 v21, v24, 9, v21
	ds_write_b128 v21, v[10:13] offset:4096
; %bb.396:
	s_or_b64 exec, exec, s[10:11]
	s_waitcnt lgkmcnt(0)
	s_barrier
	s_barrier
	s_and_saveexec_b64 s[8:9], s[86:87]
	s_cbranch_execz .LBB75_398
; %bb.397:
	v_lshlrev_b32_e32 v21, 9, v0
	ds_read_b128 v[10:13], v21 offset:4096
	s_movk_i32 s10, 0xfe10
	v_mad_i32_i24 v24, v0, s10, v21
	s_waitcnt lgkmcnt(0)
	ds_write_b128 v24, v[10:13] offset:128
	ds_read_b128 v[10:13], v21 offset:4112
	s_waitcnt lgkmcnt(0)
	ds_write_b128 v24, v[10:13] offset:640
	ds_read_b128 v[10:13], v21 offset:4128
	;; [unrolled: 3-line block ×7, first 2 shown]
	s_waitcnt lgkmcnt(0)
	ds_write_b128 v24, v[10:13] offset:3712
.LBB75_398:
	s_or_b64 exec, exec, s[8:9]
	s_waitcnt lgkmcnt(0)
	s_barrier
	s_and_saveexec_b64 s[8:9], vcc
	s_cbranch_execz .LBB75_400
; %bb.399:
	s_mov_b32 s12, 0
	v_mov_b32_e32 v21, 0
	ds_read_b128 v[10:13], v21 offset:3680
	s_mov_b32 s15, s12
	s_mov_b32 s13, 0x3ff00000
	s_mov_b32 s14, s12
	v_mov_b32_e32 v27, s15
	v_mov_b32_e32 v26, s14
	;; [unrolled: 1-line block ×4, first 2 shown]
	ds_write_b128 v21, v[24:27] offset:3168
	ds_write_b128 v21, v[24:27] offset:3696
	s_waitcnt lgkmcnt(2)
	ds_write_b128 v21, v[10:13] offset:3184
.LBB75_400:
	s_or_b64 exec, exec, s[8:9]
	v_mov_b32_e32 v10, 0
	v_mov_b32_e32 v12, 0
	;; [unrolled: 1-line block ×4, first 2 shown]
	s_waitcnt lgkmcnt(0)
	s_barrier
	buffer_wbinvl1_vol
	s_and_saveexec_b64 s[10:11], s[2:3]
	s_cbranch_execz .LBB75_404
; %bb.401:
	v_lshlrev_b32_e32 v10, 9, v15
	v_lshlrev_b32_e32 v21, 4, v14
	ds_read_b128 v[10:13], v10 offset:3168
	ds_read_b128 v[24:27], v21 offset:3136
	v_cmp_gt_u32_e64 s[8:9], 2, v17
	s_waitcnt lgkmcnt(0)
	v_mul_f64 v[28:29], v[12:13], v[26:27]
	v_mul_f64 v[26:27], v[10:11], v[26:27]
	v_fma_f64 v[10:11], v[10:11], v[24:25], -v[28:29]
	v_fma_f64 v[12:13], v[12:13], v[24:25], v[26:27]
	v_add_f64 v[10:11], v[10:11], 0
	v_add_f64 v[12:13], v[12:13], 0
	s_and_saveexec_b64 s[12:13], s[8:9]
	s_cbranch_execz .LBB75_403
; %bb.402:
	v_mov_b32_e32 v24, 0
	v_lshlrev_b32_e32 v21, 4, v0
	ds_read_b128 v[24:27], v24 offset:3696
	ds_read_b128 v[28:31], v21 offset:3648
	s_waitcnt lgkmcnt(0)
	v_mul_f64 v[32:33], v[26:27], v[30:31]
	v_mul_f64 v[30:31], v[24:25], v[30:31]
	v_fma_f64 v[24:25], v[24:25], v[28:29], -v[32:33]
	v_fma_f64 v[26:27], v[26:27], v[28:29], v[30:31]
	v_add_f64 v[10:11], v[10:11], v[24:25]
	v_add_f64 v[12:13], v[12:13], v[26:27]
.LBB75_403:
	s_or_b64 exec, exec, s[12:13]
.LBB75_404:
	s_or_b64 exec, exec, s[10:11]
	s_and_saveexec_b64 s[8:9], s[40:41]
; %bb.405:
	v_xor_b32_e32 v25, 0x80000000, v11
	v_xor_b32_e32 v27, 0x80000000, v13
	v_mov_b32_e32 v24, v10
	v_mov_b32_e32 v26, v12
	ds_write_b128 v16, v[24:27]
; %bb.406:
	s_or_b64 exec, exec, s[8:9]
	s_waitcnt lgkmcnt(0)
	s_barrier
	s_and_saveexec_b64 s[8:9], s[24:25]
	s_cbranch_execz .LBB75_408
; %bb.407:
	v_mov_b32_e32 v21, 0
	ds_read_b128 v[24:27], v16
	ds_read_b128 v[28:31], v21 offset:2624
	s_waitcnt lgkmcnt(0)
	v_mul_f64 v[32:33], v[24:25], v[28:29]
	v_mul_f64 v[24:25], v[24:25], v[30:31]
	v_fma_f64 v[30:31], v[26:27], v[30:31], -v[32:33]
	v_fma_f64 v[24:25], v[26:27], v[28:29], v[24:25]
	v_add_f64 v[10:11], v[10:11], v[30:31]
	v_add_f64 v[12:13], v[12:13], -v[24:25]
.LBB75_408:
	s_or_b64 exec, exec, s[8:9]
	s_barrier
	s_and_saveexec_b64 s[8:9], s[24:25]
; %bb.409:
	v_xor_b32_e32 v25, 0x80000000, v11
	v_xor_b32_e32 v27, 0x80000000, v13
	v_mov_b32_e32 v24, v10
	v_mov_b32_e32 v26, v12
	ds_write_b128 v16, v[24:27]
; %bb.410:
	s_or_b64 exec, exec, s[8:9]
	s_waitcnt lgkmcnt(0)
	s_barrier
	s_barrier
	s_and_saveexec_b64 s[8:9], s[2:3]
; %bb.411:
	v_lshlrev_b32_e32 v21, 4, v14
	v_lshl_or_b32 v21, v15, 9, v21
	ds_write_b128 v21, v[10:13] offset:3136
; %bb.412:
	s_or_b64 exec, exec, s[8:9]
	s_waitcnt lgkmcnt(0)
	s_barrier
	s_barrier
	s_and_saveexec_b64 s[8:9], s[42:43]
	s_cbranch_execz .LBB75_414
; %bb.413:
	v_lshlrev_b32_e32 v21, 9, v0
	ds_read_b128 v[10:13], v21 offset:3136
	s_movk_i32 s10, 0xfe10
	v_mad_i32_i24 v24, v0, s10, v21
	s_waitcnt lgkmcnt(0)
	ds_write_b128 v24, v[10:13] offset:2144
	ds_read_b128 v[10:13], v21 offset:3152
	s_waitcnt lgkmcnt(0)
	ds_write_b128 v24, v[10:13] offset:2656
.LBB75_414:
	s_or_b64 exec, exec, s[8:9]
	s_waitcnt lgkmcnt(0)
	s_barrier
	s_and_saveexec_b64 s[8:9], vcc
	s_cbranch_execz .LBB75_416
; %bb.415:
	s_mov_b32 s12, 0
	v_mov_b32_e32 v21, 0
	ds_read_b128 v[10:13], v21 offset:2624
	s_mov_b32 s15, s12
	s_mov_b32 s13, 0x3ff00000
	s_mov_b32 s14, s12
	v_mov_b32_e32 v27, s15
	v_mov_b32_e32 v26, s14
	v_mov_b32_e32 v25, s13
	v_mov_b32_e32 v24, s12
	ds_write_b128 v21, v[24:27] offset:2112
	ds_write_b128 v21, v[24:27] offset:2640
	s_waitcnt lgkmcnt(2)
	ds_write_b128 v21, v[10:13] offset:2128
.LBB75_416:
	s_or_b64 exec, exec, s[8:9]
	v_mov_b32_e32 v12, 0
	v_mov_b32_e32 v10, 0
	;; [unrolled: 1-line block ×4, first 2 shown]
	s_waitcnt lgkmcnt(0)
	s_barrier
	buffer_wbinvl1_vol
	s_and_saveexec_b64 s[10:11], s[16:17]
	s_cbranch_execz .LBB75_422
; %bb.417:
	v_lshlrev_b32_e32 v24, 9, v19
	v_lshlrev_b32_e32 v21, 4, v18
	ds_read_b128 v[10:13], v24 offset:2112
	ds_read_b128 v[25:28], v21 offset:2048
	v_cmp_gt_u32_e64 s[8:9], 12, v17
	s_waitcnt lgkmcnt(0)
	v_mul_f64 v[29:30], v[12:13], v[27:28]
	v_mul_f64 v[27:28], v[10:11], v[27:28]
	v_fma_f64 v[10:11], v[10:11], v[25:26], -v[29:30]
	v_fma_f64 v[12:13], v[12:13], v[25:26], v[27:28]
	v_add_f64 v[10:11], v[10:11], 0
	v_add_f64 v[12:13], v[12:13], 0
	s_and_saveexec_b64 s[12:13], s[8:9]
	s_cbranch_execnz .LBB75_541
; %bb.418:
	s_or_b64 exec, exec, s[12:13]
	v_cmp_gt_u32_e64 s[8:9], 8, v17
	s_and_saveexec_b64 s[12:13], s[8:9]
	s_cbranch_execnz .LBB75_542
.LBB75_419:
	s_or_b64 exec, exec, s[12:13]
	v_cmp_gt_u32_e64 s[8:9], 4, v17
	s_and_saveexec_b64 s[12:13], s[8:9]
	s_cbranch_execz .LBB75_421
.LBB75_420:
	v_mov_b32_e32 v24, 0
	v_lshlrev_b32_e32 v21, 4, v0
	ds_read_b128 v[24:27], v24 offset:3696
	ds_read_b128 v[28:31], v21 offset:3584
	s_waitcnt lgkmcnt(0)
	v_mul_f64 v[32:33], v[26:27], v[30:31]
	v_mul_f64 v[30:31], v[24:25], v[30:31]
	v_fma_f64 v[24:25], v[24:25], v[28:29], -v[32:33]
	v_fma_f64 v[26:27], v[26:27], v[28:29], v[30:31]
	v_add_f64 v[10:11], v[10:11], v[24:25]
	v_add_f64 v[12:13], v[12:13], v[26:27]
.LBB75_421:
	s_or_b64 exec, exec, s[12:13]
.LBB75_422:
	s_or_b64 exec, exec, s[10:11]
	s_and_saveexec_b64 s[8:9], s[46:47]
; %bb.423:
	v_xor_b32_e32 v27, 0x80000000, v13
	v_xor_b32_e32 v25, 0x80000000, v11
	v_mov_b32_e32 v24, v10
	v_mov_b32_e32 v26, v12
	ds_write_b128 v20, v[24:27]
; %bb.424:
	s_or_b64 exec, exec, s[8:9]
	s_waitcnt lgkmcnt(0)
	s_barrier
	s_and_saveexec_b64 s[8:9], s[48:49]
	s_cbranch_execz .LBB75_426
; %bb.425:
	v_lshlrev_b32_e32 v21, 4, v18
	ds_read_b128 v[24:27], v20
	ds_read_b128 v[28:31], v21 offset:1536
	s_waitcnt lgkmcnt(0)
	v_mul_f64 v[32:33], v[26:27], v[30:31]
	v_mul_f64 v[30:31], v[24:25], v[30:31]
	v_fma_f64 v[24:25], v[24:25], v[28:29], -v[32:33]
	v_fma_f64 v[26:27], v[26:27], v[28:29], v[30:31]
	v_add_f64 v[10:11], v[10:11], -v[24:25]
	v_add_f64 v[12:13], v[12:13], -v[26:27]
.LBB75_426:
	s_or_b64 exec, exec, s[8:9]
	s_barrier
	s_and_saveexec_b64 s[8:9], s[50:51]
; %bb.427:
	v_xor_b32_e32 v27, 0x80000000, v13
	v_xor_b32_e32 v25, 0x80000000, v11
	v_mov_b32_e32 v24, v10
	v_mov_b32_e32 v26, v12
	ds_write_b128 v20, v[24:27]
; %bb.428:
	s_or_b64 exec, exec, s[8:9]
	s_waitcnt lgkmcnt(0)
	s_barrier
	s_and_saveexec_b64 s[8:9], s[52:53]
	s_cbranch_execz .LBB75_430
; %bb.429:
	v_lshlrev_b32_e32 v21, 4, v18
	ds_read_b128 v[24:27], v20
	ds_read_b128 v[28:31], v21 offset:1024
	s_waitcnt lgkmcnt(0)
	v_mul_f64 v[32:33], v[26:27], v[30:31]
	v_mul_f64 v[30:31], v[24:25], v[30:31]
	v_fma_f64 v[24:25], v[24:25], v[28:29], -v[32:33]
	v_fma_f64 v[26:27], v[26:27], v[28:29], v[30:31]
	v_add_f64 v[10:11], v[10:11], -v[24:25]
	v_add_f64 v[12:13], v[12:13], -v[26:27]
.LBB75_430:
	s_or_b64 exec, exec, s[8:9]
	s_barrier
	s_and_saveexec_b64 s[8:9], s[54:55]
; %bb.431:
	v_xor_b32_e32 v27, 0x80000000, v13
	v_xor_b32_e32 v25, 0x80000000, v11
	v_mov_b32_e32 v24, v10
	v_mov_b32_e32 v26, v12
	ds_write_b128 v20, v[24:27]
; %bb.432:
	s_or_b64 exec, exec, s[8:9]
	s_waitcnt lgkmcnt(0)
	s_barrier
	s_and_saveexec_b64 s[8:9], s[44:45]
	s_cbranch_execz .LBB75_434
; %bb.433:
	v_mov_b32_e32 v21, 0
	ds_read_b128 v[24:27], v20
	ds_read_b128 v[28:31], v21 offset:512
	s_waitcnt lgkmcnt(0)
	v_mul_f64 v[32:33], v[26:27], v[30:31]
	v_mul_f64 v[30:31], v[24:25], v[30:31]
	v_fma_f64 v[24:25], v[24:25], v[28:29], -v[32:33]
	v_fma_f64 v[26:27], v[26:27], v[28:29], v[30:31]
	v_add_f64 v[10:11], v[10:11], -v[24:25]
	v_add_f64 v[12:13], v[12:13], -v[26:27]
.LBB75_434:
	s_or_b64 exec, exec, s[8:9]
	s_barrier
	s_and_saveexec_b64 s[8:9], s[44:45]
; %bb.435:
	v_xor_b32_e32 v27, 0x80000000, v13
	v_xor_b32_e32 v25, 0x80000000, v11
	v_mov_b32_e32 v24, v10
	v_mov_b32_e32 v26, v12
	ds_write_b128 v20, v[24:27]
; %bb.436:
	s_or_b64 exec, exec, s[8:9]
	s_waitcnt lgkmcnt(0)
	s_barrier
	s_barrier
	s_and_saveexec_b64 s[8:9], s[16:17]
; %bb.437:
	v_lshlrev_b32_e32 v18, 4, v18
	v_lshl_or_b32 v18, v19, 9, v18
	ds_write_b128 v18, v[10:13] offset:2048
; %bb.438:
	s_or_b64 exec, exec, s[8:9]
	s_waitcnt lgkmcnt(0)
	s_barrier
	s_barrier
	s_and_saveexec_b64 s[8:9], s[56:57]
	s_cbranch_execz .LBB75_440
; %bb.439:
	v_lshlrev_b32_e32 v18, 4, v0
	s_movk_i32 s10, 0x1f0
	v_mad_u32_u24 v19, v0, s10, v18
	ds_read_b128 v[10:13], v19 offset:2048
	s_waitcnt lgkmcnt(0)
	ds_write_b128 v18, v[10:13] offset:64
	ds_read_b128 v[10:13], v19 offset:2064
	s_waitcnt lgkmcnt(0)
	ds_write_b128 v18, v[10:13] offset:576
	;; [unrolled: 3-line block ×4, first 2 shown]
.LBB75_440:
	s_or_b64 exec, exec, s[8:9]
	s_waitcnt lgkmcnt(0)
	s_barrier
	s_and_saveexec_b64 s[8:9], vcc
	s_cbranch_execz .LBB75_442
; %bb.441:
	s_mov_b32 s12, 0
	v_mov_b32_e32 v24, 0
	ds_read_b128 v[10:13], v24 offset:1568
	s_mov_b32 s15, s12
	s_mov_b32 s13, 0x3ff00000
	;; [unrolled: 1-line block ×3, first 2 shown]
	v_mov_b32_e32 v21, s15
	v_mov_b32_e32 v20, s14
	;; [unrolled: 1-line block ×4, first 2 shown]
	ds_write_b128 v24, v[18:21] offset:1056
	ds_write_b128 v24, v[18:21] offset:1584
	s_waitcnt lgkmcnt(2)
	ds_write_b128 v24, v[10:13] offset:1072
.LBB75_442:
	s_or_b64 exec, exec, s[8:9]
	v_mov_b32_e32 v10, 0
	v_mov_b32_e32 v12, 0
	v_mov_b32_e32 v11, 0
	v_mov_b32_e32 v13, 0
	s_waitcnt lgkmcnt(0)
	s_barrier
	buffer_wbinvl1_vol
	s_and_saveexec_b64 s[10:11], s[2:3]
	s_cbranch_execz .LBB75_446
; %bb.443:
	v_lshlrev_b32_e32 v18, 4, v14
	v_lshlrev_b32_e32 v10, 9, v15
	ds_read_b128 v[10:13], v10 offset:1056
	ds_read_b128 v[18:21], v18 offset:1024
	v_cmp_gt_u32_e64 s[8:9], 2, v17
	s_waitcnt lgkmcnt(0)
	v_mul_f64 v[24:25], v[12:13], v[20:21]
	v_mul_f64 v[20:21], v[10:11], v[20:21]
	v_fma_f64 v[10:11], v[10:11], v[18:19], -v[24:25]
	v_fma_f64 v[12:13], v[12:13], v[18:19], v[20:21]
	v_add_f64 v[10:11], v[10:11], 0
	v_add_f64 v[12:13], v[12:13], 0
	s_and_saveexec_b64 s[12:13], s[8:9]
	s_cbranch_execz .LBB75_445
; %bb.444:
	v_mov_b32_e32 v17, 0
	v_lshlrev_b32_e32 v21, 4, v0
	ds_read_b128 v[17:20], v17 offset:1584
	ds_read_b128 v[24:27], v21 offset:1536
	s_waitcnt lgkmcnt(0)
	v_mul_f64 v[28:29], v[19:20], v[26:27]
	v_mul_f64 v[26:27], v[17:18], v[26:27]
	v_fma_f64 v[17:18], v[17:18], v[24:25], -v[28:29]
	v_fma_f64 v[19:20], v[19:20], v[24:25], v[26:27]
	v_add_f64 v[10:11], v[10:11], v[17:18]
	v_add_f64 v[12:13], v[12:13], v[19:20]
.LBB75_445:
	s_or_b64 exec, exec, s[12:13]
.LBB75_446:
	s_or_b64 exec, exec, s[10:11]
	s_and_saveexec_b64 s[8:9], s[40:41]
; %bb.447:
	v_xor_b32_e32 v18, 0x80000000, v11
	v_xor_b32_e32 v20, 0x80000000, v13
	v_mov_b32_e32 v17, v10
	v_mov_b32_e32 v19, v12
	ds_write_b128 v16, v[17:20]
; %bb.448:
	s_or_b64 exec, exec, s[8:9]
	s_waitcnt lgkmcnt(0)
	s_barrier
	s_and_saveexec_b64 s[8:9], s[24:25]
	s_cbranch_execz .LBB75_450
; %bb.449:
	v_mov_b32_e32 v21, 0
	ds_read_b128 v[17:20], v16
	ds_read_b128 v[24:27], v21 offset:512
	s_waitcnt lgkmcnt(0)
	v_mul_f64 v[28:29], v[17:18], v[24:25]
	v_mul_f64 v[17:18], v[17:18], v[26:27]
	v_fma_f64 v[26:27], v[19:20], v[26:27], -v[28:29]
	v_fma_f64 v[17:18], v[19:20], v[24:25], v[17:18]
	v_add_f64 v[10:11], v[10:11], v[26:27]
	v_add_f64 v[12:13], v[12:13], -v[17:18]
.LBB75_450:
	s_or_b64 exec, exec, s[8:9]
	s_barrier
	s_and_saveexec_b64 s[8:9], s[24:25]
; %bb.451:
	v_xor_b32_e32 v18, 0x80000000, v11
	v_xor_b32_e32 v20, 0x80000000, v13
	v_mov_b32_e32 v17, v10
	v_mov_b32_e32 v19, v12
	ds_write_b128 v16, v[17:20]
; %bb.452:
	s_or_b64 exec, exec, s[8:9]
	s_waitcnt lgkmcnt(0)
	s_barrier
	s_barrier
	s_and_saveexec_b64 s[8:9], s[2:3]
; %bb.453:
	v_lshlrev_b32_e32 v14, 4, v14
	v_lshl_or_b32 v14, v15, 9, v14
	ds_write_b128 v14, v[10:13] offset:1024
; %bb.454:
	s_or_b64 exec, exec, s[8:9]
	s_waitcnt lgkmcnt(0)
	s_barrier
	s_barrier
	s_and_saveexec_b64 s[2:3], s[42:43]
	s_cbranch_execz .LBB75_456
; %bb.455:
	v_lshlrev_b32_e32 v14, 9, v0
	ds_read_b128 v[10:13], v14 offset:1024
	s_movk_i32 s8, 0xfe10
	v_mad_i32_i24 v15, v0, s8, v14
	s_waitcnt lgkmcnt(0)
	ds_write_b128 v15, v[10:13] offset:32
	ds_read_b128 v[10:13], v14 offset:1040
	s_waitcnt lgkmcnt(0)
	ds_write_b128 v15, v[10:13] offset:544
.LBB75_456:
	s_or_b64 exec, exec, s[2:3]
	s_waitcnt lgkmcnt(0)
	s_barrier
	s_and_saveexec_b64 s[2:3], vcc
	s_cbranch_execz .LBB75_458
; %bb.457:
	s_mov_b32 s8, 0
	v_mov_b32_e32 v18, 0
	ds_read_b128 v[10:13], v18 offset:512
	s_mov_b32 s11, s8
	s_mov_b32 s9, 0x3ff00000
	s_mov_b32 s10, s8
	v_mov_b32_e32 v17, s11
	v_mov_b32_e32 v16, s10
	;; [unrolled: 1-line block ×4, first 2 shown]
	ds_write_b128 v18, v[14:17]
	ds_write_b128 v18, v[14:17] offset:528
	s_waitcnt lgkmcnt(2)
	ds_write_b128 v18, v[10:13] offset:16
.LBB75_458:
	s_or_b64 exec, exec, s[2:3]
.LBB75_459:
	s_load_dwordx4 s[12:15], s[4:5], 0x48
	v_cmp_le_i32_e32 vcc, s7, v0
	v_mov_b32_e32 v10, 0
	v_mov_b32_e32 v11, 0
	;; [unrolled: 1-line block ×3, first 2 shown]
	s_waitcnt lgkmcnt(0)
	s_mul_i32 s3, s13, s34
	s_mul_hi_u32 s4, s12, s34
	s_mul_i32 s2, s12, s34
	s_add_i32 s3, s4, s3
	s_lshl_b64 s[2:3], s[2:3], 4
	s_add_u32 s4, s26, s2
	s_addc_u32 s5, s27, s3
	s_lshl_b64 s[2:3], s[28:29], 4
	s_add_u32 s24, s4, s2
	s_addc_u32 s25, s5, s3
	s_and_b64 s[16:17], vcc, s[22:23]
	v_cmp_eq_u32_e64 s[2:3], 0, v1
	s_xor_b64 s[4:5], s[16:17], -1
	s_and_b64 s[8:9], s[2:3], s[4:5]
	v_lshl_add_u32 v14, s6, 5, v0
	v_mov_b32_e32 v12, v10
	s_barrier
	s_and_saveexec_b64 s[4:5], s[8:9]
	s_cbranch_execz .LBB75_461
; %bb.460:
	v_ashrrev_i32_e32 v12, 31, v14
	v_mul_lo_u32 v13, s31, v14
	v_mad_u64_u32 v[10:11], s[8:9], s30, v14, 0
	v_mul_lo_u32 v12, s30, v12
	v_add3_u32 v11, v11, v12, v13
	v_lshlrev_b64 v[10:11], 4, v[10:11]
	v_mov_b32_e32 v12, s25
	v_add_co_u32_e32 v10, vcc, s24, v10
	v_addc_co_u32_e32 v11, vcc, v12, v11, vcc
	global_load_dwordx4 v[15:18], v[10:11], off
	s_waitcnt vmcnt(0)
	v_mul_f64 v[10:11], s[36:37], v[15:16]
	v_mul_f64 v[12:13], s[36:37], v[17:18]
	v_fma_f64 v[10:11], s[38:39], v[17:18], -v[10:11]
	v_fma_f64 v[12:13], v[15:16], -s[38:39], -v[12:13]
.LBB75_461:
	s_or_b64 exec, exec, s[4:5]
	s_and_b32 s4, 0xffff, s94
	v_mad_u32_u24 v24, v1, s4, v0
	v_mov_b32_e32 v15, 0
	s_cmp_lt_i32 s6, 1
	v_cmp_eq_u32_e64 s[4:5], 0, v24
	s_cbranch_scc1 .LBB75_484
; %bb.462:
	v_mad_u64_u32 v[16:17], s[8:9], s20, v14, 0
	s_mov_b32 s26, 0
	v_cmp_gt_u32_e64 s[12:13], 32, v24
	v_mad_u64_u32 v[17:18], s[8:9], s21, v14, v[17:18]
	s_lshl_b64 s[8:9], s[34:35], 2
	s_add_u32 s18, s14, s8
	v_lshlrev_b64 v[16:17], 4, v[16:17]
	s_addc_u32 s19, s15, s9
	v_mov_b32_e32 v18, 0x6000
	v_cmp_gt_i32_e64 s[8:9], s33, v14
	v_mov_b32_e32 v14, s93
	v_add_co_u32_e32 v27, vcc, s92, v16
	v_lshl_add_u32 v25, v24, 4, v18
	v_lshl_or_b32 v26, v1, 4, v18
	s_add_i32 s27, s6, -1
	v_addc_co_u32_e32 v28, vcc, v14, v17, vcc
	v_mov_b32_e32 v29, -1
	s_branch .LBB75_465
.LBB75_463:                             ;   in Loop: Header=BB75_465 Depth=1
	ds_read_b128 v[30:33], v26 offset:256
	s_waitcnt vmcnt(0) lgkmcnt(0)
	v_mul_f64 v[16:17], v[20:21], v[32:33]
	v_mul_f64 v[20:21], v[20:21], v[30:31]
	v_fma_f64 v[16:17], v[18:19], v[30:31], v[16:17]
	v_fma_f64 v[18:19], v[18:19], v[32:33], -v[20:21]
	v_add_f64 v[10:11], v[10:11], v[16:17]
	v_add_f64 v[12:13], v[12:13], v[18:19]
.LBB75_464:                             ;   in Loop: Header=BB75_465 Depth=1
	s_or_b64 exec, exec, s[20:21]
	s_add_i32 s26, s26, 1
	s_cmp_eq_u32 s26, s6
	s_cbranch_scc1 .LBB75_484
.LBB75_465:                             ; =>This Loop Header: Depth=1
                                        ;     Child Loop BB75_467 Depth 2
	v_cmp_gt_i32_e32 vcc, s26, v29
	s_and_b64 s[20:21], s[4:5], vcc
	s_and_saveexec_b64 s[10:11], s[20:21]
	s_cbranch_execz .LBB75_468
; %bb.466:                              ;   in Loop: Header=BB75_465 Depth=1
	global_load_dword v29, v15, s[18:19]
	s_waitcnt vmcnt(0)
	v_cmp_le_i32_e32 vcc, s26, v29
	s_cbranch_vccnz .LBB75_468
.LBB75_467:                             ;   Parent Loop BB75_465 Depth=1
                                        ; =>  This Inner Loop Header: Depth=2
	buffer_wbinvl1_vol
	global_load_dword v29, v15, s[18:19]
	s_waitcnt vmcnt(0)
	v_cmp_gt_i32_e32 vcc, s26, v29
	s_cbranch_vccnz .LBB75_467
.LBB75_468:                             ;   in Loop: Header=BB75_465 Depth=1
	s_or_b64 exec, exec, s[10:11]
	s_lshl_b32 s28, s26, 5
	buffer_wbinvl1_vol
	s_barrier
	s_and_saveexec_b64 s[10:11], s[12:13]
	s_cbranch_execz .LBB75_473
; %bb.469:                              ;   in Loop: Header=BB75_465 Depth=1
	v_or_b32_e32 v14, s28, v24
	v_cmp_le_i32_e32 vcc, s33, v14
	s_and_saveexec_b64 s[20:21], vcc
	s_xor_b64 s[20:21], exec, s[20:21]
; %bb.470:                              ;   in Loop: Header=BB75_465 Depth=1
	v_mov_b32_e32 v14, v15
	v_mov_b32_e32 v16, v15
	;; [unrolled: 1-line block ×3, first 2 shown]
	ds_write_b128 v25, v[14:17]
                                        ; implicit-def: $vgpr14
; %bb.471:                              ;   in Loop: Header=BB75_465 Depth=1
	s_andn2_saveexec_b64 s[20:21], s[20:21]
	s_cbranch_execz .LBB75_473
; %bb.472:                              ;   in Loop: Header=BB75_465 Depth=1
	v_mad_u64_u32 v[16:17], s[20:21], s30, v14, 0
	v_mad_u64_u32 v[17:18], s[20:21], s31, v14, v[17:18]
	v_mov_b32_e32 v14, s25
	v_lshlrev_b64 v[16:17], 4, v[16:17]
	v_add_co_u32_e32 v16, vcc, s24, v16
	v_addc_co_u32_e32 v17, vcc, v14, v17, vcc
	global_load_dwordx4 v[16:19], v[16:17], off
	s_waitcnt vmcnt(0)
	ds_write2_b64 v25, v[16:17], v[18:19] offset1:1
.LBB75_473:                             ;   in Loop: Header=BB75_465 Depth=1
	s_or_b64 exec, exec, s[10:11]
	v_add_u32_e32 v14, s28, v1
	v_lshlrev_b64 v[16:17], 4, v[14:15]
	s_cmp_lg_u32 s26, s27
	v_add_co_u32_e32 v16, vcc, v27, v16
	s_cselect_b64 s[10:11], -1, 0
	v_addc_co_u32_e32 v17, vcc, v28, v17, vcc
	v_cmp_gt_i32_e32 vcc, s33, v14
	v_cndmask_b32_e64 v18, 0, 1, s[10:11]
	s_and_b64 s[28:29], vcc, s[8:9]
	v_cmp_ne_u32_e64 s[10:11], 1, v18
	s_waitcnt lgkmcnt(0)
	s_barrier
	s_and_saveexec_b64 s[20:21], s[28:29]
	s_cbranch_execz .LBB75_479
; %bb.474:                              ;   in Loop: Header=BB75_465 Depth=1
	v_mov_b32_e32 v19, v7
	s_and_b64 vcc, exec, s[10:11]
	v_mov_b32_e32 v18, v6
	s_cbranch_vccnz .LBB75_476
; %bb.475:                              ;   in Loop: Header=BB75_465 Depth=1
	global_load_dwordx2 v[18:19], v[16:17], off
.LBB75_476:                             ;   in Loop: Header=BB75_465 Depth=1
	v_mov_b32_e32 v21, v9
	s_and_b64 vcc, exec, s[10:11]
	v_mov_b32_e32 v20, v8
	s_cbranch_vccnz .LBB75_478
; %bb.477:                              ;   in Loop: Header=BB75_465 Depth=1
	global_load_dwordx2 v[20:21], v[16:17], off offset:8
.LBB75_478:                             ;   in Loop: Header=BB75_465 Depth=1
	ds_read_b128 v[30:33], v26
	s_waitcnt vmcnt(0) lgkmcnt(0)
	v_mul_f64 v[34:35], v[20:21], v[32:33]
	v_mul_f64 v[20:21], v[20:21], v[30:31]
	v_fma_f64 v[30:31], v[18:19], v[30:31], v[34:35]
	v_fma_f64 v[18:19], v[18:19], v[32:33], -v[20:21]
	v_add_f64 v[10:11], v[10:11], v[30:31]
	v_add_f64 v[12:13], v[12:13], v[18:19]
.LBB75_479:                             ;   in Loop: Header=BB75_465 Depth=1
	s_or_b64 exec, exec, s[20:21]
	v_add_u32_e32 v14, 16, v14
	v_cmp_gt_i32_e32 vcc, s33, v14
	s_and_b64 s[28:29], vcc, s[8:9]
	s_and_saveexec_b64 s[20:21], s[28:29]
	s_cbranch_execz .LBB75_464
; %bb.480:                              ;   in Loop: Header=BB75_465 Depth=1
	v_mov_b32_e32 v19, v3
	s_and_b64 vcc, exec, s[10:11]
	v_mov_b32_e32 v18, v2
	s_cbranch_vccnz .LBB75_482
; %bb.481:                              ;   in Loop: Header=BB75_465 Depth=1
	global_load_dwordx2 v[18:19], v[16:17], off offset:256
.LBB75_482:                             ;   in Loop: Header=BB75_465 Depth=1
	v_mov_b32_e32 v21, v5
	s_and_b64 vcc, exec, s[10:11]
	v_mov_b32_e32 v20, v4
	s_cbranch_vccnz .LBB75_463
; %bb.483:                              ;   in Loop: Header=BB75_465 Depth=1
	global_load_dwordx2 v[20:21], v[16:17], off offset:264
	s_branch .LBB75_463
.LBB75_484:
	s_xor_b64 s[4:5], s[22:23], -1
	v_lshlrev_b32_e32 v6, 4, v23
	ds_write_b128 v6, v[10:13] offset:16384
	s_waitcnt lgkmcnt(0)
	s_barrier
	s_and_saveexec_b64 s[8:9], s[2:3]
	s_cbranch_execz .LBB75_486
; %bb.485:
	v_lshlrev_b32_e32 v18, 4, v0
	ds_read_b128 v[2:5], v18 offset:16896
	ds_read_b128 v[14:17], v18 offset:17408
	s_waitcnt lgkmcnt(1)
	v_add_f64 v[2:3], v[10:11], v[2:3]
	v_add_f64 v[4:5], v[12:13], v[4:5]
	s_waitcnt lgkmcnt(0)
	v_add_f64 v[11:12], v[2:3], v[14:15]
	v_add_f64 v[13:14], v[4:5], v[16:17]
	ds_read_b128 v[2:5], v18 offset:17920
	ds_read_b128 v[7:10], v18 offset:18432
	s_waitcnt lgkmcnt(1)
	v_add_f64 v[2:3], v[11:12], v[2:3]
	v_add_f64 v[4:5], v[13:14], v[4:5]
	s_waitcnt lgkmcnt(0)
	v_add_f64 v[11:12], v[2:3], v[7:8]
	v_add_f64 v[13:14], v[4:5], v[9:10]
	;; [unrolled: 8-line block ×7, first 2 shown]
	ds_read_b128 v[2:5], v18 offset:24064
	s_waitcnt lgkmcnt(0)
	v_add_f64 v[2:3], v[7:8], v[2:3]
	v_add_f64 v[4:5], v[9:10], v[4:5]
	v_xor_b32_e32 v3, 0x80000000, v3
	v_xor_b32_e32 v5, 0x80000000, v5
	v_cndmask_b32_e64 v10, v2, 0, s[16:17]
	v_cndmask_b32_e64 v11, v3, 0, s[16:17]
	;; [unrolled: 1-line block ×4, first 2 shown]
.LBB75_486:
	s_or_b64 exec, exec, s[8:9]
	s_and_b64 vcc, exec, s[0:1]
	s_cbranch_vccnz .LBB75_495
; %bb.487:
	v_mov_b32_e32 v2, 0x6000
	v_lshl_or_b32 v7, v1, 4, v2
	s_and_saveexec_b64 s[0:1], s[2:3]
; %bb.488:
	v_lshl_add_u32 v2, v0, 4, v7
	ds_write_b128 v2, v[10:13]
; %bb.489:
	s_or_b64 exec, exec, s[0:1]
	v_mov_b32_e32 v2, 0
	v_mov_b32_e32 v4, 0
	;; [unrolled: 1-line block ×4, first 2 shown]
	v_cmp_le_u32_e32 vcc, v1, v0
	s_waitcnt lgkmcnt(0)
	s_barrier
	s_and_saveexec_b64 s[0:1], vcc
	s_cbranch_execz .LBB75_491
; %bb.490:
	ds_read_b128 v[2:5], v7
	ds_read_b128 v[14:17], v6
	s_waitcnt lgkmcnt(0)
	v_mul_f64 v[8:9], v[4:5], v[16:17]
	v_mul_f64 v[16:17], v[2:3], v[16:17]
	v_fma_f64 v[2:3], v[2:3], v[14:15], -v[8:9]
	v_fma_f64 v[4:5], v[4:5], v[14:15], v[16:17]
	v_add_f64 v[2:3], v[2:3], 0
	v_add_f64 v[4:5], v[4:5], 0
.LBB75_491:
	s_or_b64 exec, exec, s[0:1]
	v_add_u32_e32 v1, 16, v1
	v_add_u32_e32 v8, 0x4000, v6
	v_cmp_ge_u32_e32 vcc, v0, v1
	s_and_saveexec_b64 s[0:1], vcc
	s_cbranch_execz .LBB75_493
; %bb.492:
	ds_read_b128 v[14:17], v7 offset:256
	ds_read_b128 v[18:21], v6 offset:8192
	s_waitcnt lgkmcnt(0)
	v_mul_f64 v[6:7], v[16:17], v[20:21]
	v_mul_f64 v[20:21], v[14:15], v[20:21]
	v_fma_f64 v[6:7], v[14:15], v[18:19], -v[6:7]
	v_fma_f64 v[14:15], v[16:17], v[18:19], v[20:21]
	v_add_f64 v[2:3], v[2:3], v[6:7]
	v_add_f64 v[4:5], v[4:5], v[14:15]
.LBB75_493:
	s_or_b64 exec, exec, s[0:1]
	s_mov_b64 s[8:9], 0
	s_mov_b64 s[0:1], 0
	ds_write_b128 v8, v[2:5]
	s_waitcnt lgkmcnt(0)
	s_barrier
                                        ; implicit-def: $vgpr8_vgpr9
                                        ; implicit-def: $vgpr14_vgpr15
                                        ; implicit-def: $vgpr6_vgpr7
	s_and_saveexec_b64 s[10:11], s[2:3]
	s_cbranch_execz .LBB75_508
; %bb.494:
	v_lshlrev_b32_e32 v18, 4, v0
	ds_read_b128 v[6:9], v18 offset:16896
	ds_read_b128 v[14:17], v18 offset:17408
	s_mov_b64 s[0:1], exec
	s_waitcnt lgkmcnt(1)
	v_add_f64 v[1:2], v[2:3], v[6:7]
	v_add_f64 v[3:4], v[4:5], v[8:9]
	s_waitcnt lgkmcnt(0)
	v_add_f64 v[14:15], v[1:2], v[14:15]
	v_add_f64 v[16:17], v[3:4], v[16:17]
	ds_read_b128 v[1:4], v18 offset:17920
	ds_read_b128 v[5:8], v18 offset:18432
	s_waitcnt lgkmcnt(1)
	v_add_f64 v[1:2], v[14:15], v[1:2]
	v_add_f64 v[3:4], v[16:17], v[3:4]
	s_waitcnt lgkmcnt(0)
	v_add_f64 v[14:15], v[1:2], v[5:6]
	v_add_f64 v[16:17], v[3:4], v[7:8]
	ds_read_b128 v[1:4], v18 offset:18944
	ds_read_b128 v[5:8], v18 offset:19456
	;; [unrolled: 8-line block ×6, first 2 shown]
	s_waitcnt lgkmcnt(1)
	v_add_f64 v[1:2], v[14:15], v[1:2]
	v_add_f64 v[3:4], v[16:17], v[3:4]
	s_waitcnt lgkmcnt(0)
	v_add_f64 v[14:15], v[1:2], v[5:6]
	v_add_f64 v[8:9], v[3:4], v[7:8]
	ds_read_b128 v[1:4], v18 offset:24064
	v_lshl_add_u32 v5, s6, 5, v24
	v_mad_u64_u32 v[6:7], s[12:13], s30, v5, 0
	s_waitcnt lgkmcnt(0)
	v_add_f64 v[14:15], v[14:15], v[1:2]
	v_add_f64 v[8:9], v[8:9], v[3:4]
	v_mov_b32_e32 v1, v7
	v_mad_u64_u32 v[1:2], s[12:13], s31, v5, v[1:2]
	v_mov_b32_e32 v7, v1
	s_or_b64 exec, exec, s[10:11]
	s_and_b64 vcc, exec, s[8:9]
	s_cbranch_vccnz .LBB75_496
	s_branch .LBB75_509
.LBB75_495:
	s_mov_b64 s[0:1], 0
                                        ; implicit-def: $vgpr8_vgpr9
                                        ; implicit-def: $vgpr14_vgpr15
                                        ; implicit-def: $vgpr6_vgpr7
	s_cbranch_execz .LBB75_509
.LBB75_496:
	s_mov_b32 s10, 0
	v_mov_b32_e32 v1, 0
	v_mov_b32_e32 v2, v0
	s_branch .LBB75_498
.LBB75_497:                             ;   in Loop: Header=BB75_498 Depth=1
	s_or_b64 exec, exec, s[8:9]
	s_add_i32 s10, s10, 2
	v_add_u32_e32 v22, 0x400, v22
	s_cmp_lg_u32 s10, 32
	v_add_u32_e32 v2, -2, v2
	s_barrier
	s_cbranch_scc0 .LBB75_506
.LBB75_498:                             ; =>This Inner Loop Header: Depth=1
	v_cmp_eq_u32_e32 vcc, 0, v2
	s_and_b64 s[12:13], s[2:3], vcc
	s_and_saveexec_b64 s[8:9], s[12:13]
; %bb.499:                              ;   in Loop: Header=BB75_498 Depth=1
	ds_write_b128 v1, v[10:13] offset:25088
; %bb.500:                              ;   in Loop: Header=BB75_498 Depth=1
	s_or_b64 exec, exec, s[8:9]
	v_cmp_lt_u32_e32 vcc, s10, v0
	s_and_b64 s[12:13], s[2:3], vcc
	s_waitcnt lgkmcnt(0)
	s_barrier
	s_and_saveexec_b64 s[8:9], s[12:13]
	s_cbranch_execz .LBB75_502
; %bb.501:                              ;   in Loop: Header=BB75_498 Depth=1
	ds_read_b128 v[3:6], v1 offset:25088
	ds_read_b128 v[14:17], v22
	s_waitcnt lgkmcnt(0)
	v_mul_f64 v[7:8], v[5:6], v[16:17]
	v_mul_f64 v[16:17], v[3:4], v[16:17]
	v_fma_f64 v[3:4], v[3:4], v[14:15], -v[7:8]
	v_fma_f64 v[5:6], v[5:6], v[14:15], v[16:17]
	v_add_f64 v[10:11], v[10:11], v[3:4]
	v_add_f64 v[12:13], v[12:13], v[5:6]
.LBB75_502:                             ;   in Loop: Header=BB75_498 Depth=1
	s_or_b64 exec, exec, s[8:9]
	s_or_b32 s11, s10, 1
	v_cmp_eq_u32_e32 vcc, s11, v0
	s_and_b64 s[12:13], s[2:3], vcc
	s_barrier
	s_and_saveexec_b64 s[8:9], s[12:13]
; %bb.503:                              ;   in Loop: Header=BB75_498 Depth=1
	ds_write_b128 v1, v[10:13] offset:25088
; %bb.504:                              ;   in Loop: Header=BB75_498 Depth=1
	s_or_b64 exec, exec, s[8:9]
	v_cmp_lt_u32_e32 vcc, s11, v0
	s_and_b64 s[12:13], s[2:3], vcc
	s_waitcnt lgkmcnt(0)
	s_barrier
	s_and_saveexec_b64 s[8:9], s[12:13]
	s_cbranch_execz .LBB75_497
; %bb.505:                              ;   in Loop: Header=BB75_498 Depth=1
	ds_read_b128 v[3:6], v1 offset:25088
	ds_read_b128 v[14:17], v22 offset:512
	s_waitcnt lgkmcnt(0)
	v_mul_f64 v[7:8], v[5:6], v[16:17]
	v_mul_f64 v[16:17], v[3:4], v[16:17]
	v_fma_f64 v[3:4], v[3:4], v[14:15], -v[7:8]
	v_fma_f64 v[5:6], v[5:6], v[14:15], v[16:17]
	v_add_f64 v[10:11], v[10:11], v[3:4]
	v_add_f64 v[12:13], v[12:13], v[5:6]
	s_branch .LBB75_497
.LBB75_506:
	s_and_b64 vcc, exec, s[4:5]
	s_cbranch_vccz .LBB75_510
; %bb.507:
	s_and_b64 s[4:5], s[2:3], exec
	s_cbranch_execz .LBB75_511
	s_branch .LBB75_512
.LBB75_508:
	s_or_b64 exec, exec, s[10:11]
	s_and_b64 vcc, exec, s[8:9]
	s_cbranch_vccnz .LBB75_496
.LBB75_509:
	v_mov_b32_e32 v13, v9
	v_mov_b32_e32 v10, v14
	v_mov_b32_e32 v12, v8
	v_mov_b32_e32 v11, v15
	s_and_saveexec_b64 s[2:3], s[0:1]
	s_cbranch_execnz .LBB75_515
	s_branch .LBB75_516
.LBB75_510:
	s_mov_b64 s[4:5], 0
.LBB75_511:
	v_cmp_gt_i32_e32 vcc, s7, v0
	s_and_b64 s[2:3], s[2:3], vcc
	s_andn2_b64 s[4:5], s[4:5], exec
	s_and_b64 s[2:3], s[2:3], exec
	s_or_b64 s[4:5], s[4:5], s[2:3]
.LBB75_512:
                                        ; implicit-def: $vgpr6_vgpr7
	s_and_saveexec_b64 s[2:3], s[4:5]
	s_cbranch_execz .LBB75_514
; %bb.513:
	s_lshl_b32 s4, s6, 5
	s_ashr_i32 s5, s4, 31
	v_mov_b32_e32 v0, s5
	v_add_co_u32_e32 v1, vcc, s4, v24
	v_addc_co_u32_e32 v0, vcc, 0, v0, vcc
	v_mul_lo_u32 v0, v0, s30
	v_mul_lo_u32 v2, v1, s31
	v_mad_u64_u32 v[6:7], s[4:5], v1, s30, 0
	s_or_b64 s[0:1], s[0:1], exec
	v_add3_u32 v7, v7, v2, v0
.LBB75_514:
	s_or_b64 exec, exec, s[2:3]
	s_and_saveexec_b64 s[2:3], s[0:1]
	s_cbranch_execz .LBB75_516
.LBB75_515:
	v_lshlrev_b64 v[0:1], 4, v[6:7]
	v_mov_b32_e32 v2, s25
	v_add_co_u32_e32 v0, vcc, s24, v0
	v_addc_co_u32_e32 v1, vcc, v2, v1, vcc
	global_store_dwordx4 v[0:1], v[10:13], off
.LBB75_516:
	s_or_b64 exec, exec, s[2:3]
	v_cmp_eq_u32_e32 vcc, 0, v24
	s_waitcnt vmcnt(0)
	buffer_wbinvl1_vol
	s_barrier
	s_and_saveexec_b64 s[0:1], vcc
	s_cbranch_execz .LBB75_518
; %bb.517:
	s_lshl_b64 s[2:3], s[34:35], 2
	s_add_u32 s2, s14, s2
	s_addc_u32 s3, s15, s3
	v_mov_b32_e32 v0, 0
	global_load_dword v1, v0, s[2:3]
	s_waitcnt vmcnt(0)
	v_add_u32_e32 v1, 1, v1
	global_store_dword v0, v1, s[2:3]
.LBB75_518:
	s_or_b64 exec, exec, s[0:1]
	s_waitcnt vmcnt(0)
	buffer_wbinvl1_vol
	s_endpgm
.LBB75_519:
	ds_read_b128 v[25:28], v24 offset:14800
	ds_read_b128 v[29:32], v21 offset:15232
	s_waitcnt lgkmcnt(0)
	v_mul_f64 v[33:34], v[27:28], v[31:32]
	v_mul_f64 v[31:32], v[25:26], v[31:32]
	v_fma_f64 v[25:26], v[25:26], v[29:30], -v[33:34]
	v_fma_f64 v[27:28], v[27:28], v[29:30], v[31:32]
	v_add_f64 v[10:11], v[10:11], v[25:26]
	v_add_f64 v[12:13], v[12:13], v[27:28]
	s_or_b64 exec, exec, s[18:19]
	v_cmp_gt_u32_e64 s[12:13], 8, v17
	s_and_saveexec_b64 s[18:19], s[12:13]
	s_cbranch_execz .LBB75_57
.LBB75_520:
	ds_read_b128 v[24:27], v24 offset:14816
	ds_read_b128 v[28:31], v21 offset:15744
	s_waitcnt lgkmcnt(0)
	v_mul_f64 v[32:33], v[26:27], v[30:31]
	v_mul_f64 v[30:31], v[24:25], v[30:31]
	v_fma_f64 v[24:25], v[24:25], v[28:29], -v[32:33]
	v_fma_f64 v[26:27], v[26:27], v[28:29], v[30:31]
	v_add_f64 v[10:11], v[10:11], v[24:25]
	v_add_f64 v[12:13], v[12:13], v[26:27]
	s_or_b64 exec, exec, s[18:19]
	v_cmp_gt_u32_e64 s[12:13], 4, v17
	s_and_saveexec_b64 s[18:19], s[12:13]
	s_cbranch_execnz .LBB75_58
	s_branch .LBB75_59
.LBB75_521:
	ds_read_b128 v[28:31], v27 offset:12688
	ds_read_b128 v[32:35], v26 offset:13056
	s_waitcnt lgkmcnt(0)
	v_mul_f64 v[36:37], v[30:31], v[34:35]
	v_mul_f64 v[34:35], v[28:29], v[34:35]
	v_fma_f64 v[28:29], v[28:29], v[32:33], -v[36:37]
	v_fma_f64 v[30:31], v[30:31], v[32:33], v[34:35]
	v_add_f64 v[10:11], v[10:11], v[28:29]
	v_add_f64 v[12:13], v[12:13], v[30:31]
	s_or_b64 exec, exec, s[58:59]
	v_cmp_gt_u32_e64 s[14:15], 48, v17
	s_and_saveexec_b64 s[58:59], s[14:15]
	s_cbranch_execz .LBB75_99
.LBB75_522:
	ds_read_b128 v[28:31], v27 offset:12704
	ds_read_b128 v[32:35], v26 offset:13568
	s_waitcnt lgkmcnt(0)
	v_mul_f64 v[36:37], v[30:31], v[34:35]
	v_mul_f64 v[34:35], v[28:29], v[34:35]
	v_fma_f64 v[28:29], v[28:29], v[32:33], -v[36:37]
	v_fma_f64 v[30:31], v[30:31], v[32:33], v[34:35]
	v_add_f64 v[10:11], v[10:11], v[28:29]
	v_add_f64 v[12:13], v[12:13], v[30:31]
	s_or_b64 exec, exec, s[58:59]
	v_cmp_gt_u32_e64 s[14:15], 40, v17
	s_and_saveexec_b64 s[58:59], s[14:15]
	s_cbranch_execz .LBB75_100
.LBB75_523:
	ds_read_b128 v[28:31], v27 offset:12720
	ds_read_b128 v[32:35], v26 offset:14080
	s_waitcnt lgkmcnt(0)
	v_mul_f64 v[36:37], v[30:31], v[34:35]
	v_mul_f64 v[34:35], v[28:29], v[34:35]
	v_fma_f64 v[28:29], v[28:29], v[32:33], -v[36:37]
	v_fma_f64 v[30:31], v[30:31], v[32:33], v[34:35]
	v_add_f64 v[10:11], v[10:11], v[28:29]
	v_add_f64 v[12:13], v[12:13], v[30:31]
	s_or_b64 exec, exec, s[58:59]
	v_cmp_gt_u32_e64 s[14:15], 32, v17
	s_and_saveexec_b64 s[58:59], s[14:15]
	s_cbranch_execz .LBB75_101
.LBB75_524:
	ds_read_b128 v[28:31], v27 offset:12736
	ds_read_b128 v[32:35], v26 offset:14592
	s_waitcnt lgkmcnt(0)
	v_mul_f64 v[36:37], v[30:31], v[34:35]
	v_mul_f64 v[34:35], v[28:29], v[34:35]
	v_fma_f64 v[28:29], v[28:29], v[32:33], -v[36:37]
	v_fma_f64 v[30:31], v[30:31], v[32:33], v[34:35]
	v_add_f64 v[10:11], v[10:11], v[28:29]
	v_add_f64 v[12:13], v[12:13], v[30:31]
	s_or_b64 exec, exec, s[58:59]
	v_cmp_gt_u32_e64 s[14:15], 24, v17
	s_and_saveexec_b64 s[58:59], s[14:15]
	s_cbranch_execz .LBB75_102
.LBB75_525:
	ds_read_b128 v[28:31], v27 offset:12752
	ds_read_b128 v[32:35], v26 offset:15104
	s_waitcnt lgkmcnt(0)
	v_mul_f64 v[36:37], v[30:31], v[34:35]
	v_mul_f64 v[34:35], v[28:29], v[34:35]
	v_fma_f64 v[28:29], v[28:29], v[32:33], -v[36:37]
	v_fma_f64 v[30:31], v[30:31], v[32:33], v[34:35]
	v_add_f64 v[10:11], v[10:11], v[28:29]
	v_add_f64 v[12:13], v[12:13], v[30:31]
	s_or_b64 exec, exec, s[58:59]
	s_and_saveexec_b64 s[14:15], s[16:17]
	s_cbranch_execz .LBB75_103
.LBB75_526:
	ds_read_b128 v[27:30], v27 offset:12768
	ds_read_b128 v[31:34], v26 offset:15616
	s_waitcnt lgkmcnt(0)
	v_mul_f64 v[35:36], v[29:30], v[33:34]
	v_mul_f64 v[33:34], v[27:28], v[33:34]
	v_fma_f64 v[26:27], v[27:28], v[31:32], -v[35:36]
	v_fma_f64 v[28:29], v[29:30], v[31:32], v[33:34]
	v_add_f64 v[10:11], v[10:11], v[26:27]
	v_add_f64 v[12:13], v[12:13], v[28:29]
	s_or_b64 exec, exec, s[14:15]
	v_cmp_gt_u32_e64 s[14:15], 8, v17
	s_and_saveexec_b64 s[58:59], s[14:15]
	s_cbranch_execnz .LBB75_104
	s_branch .LBB75_105
.LBB75_527:
	ds_read_b128 v[28:31], v27 offset:10576
	ds_read_b128 v[32:35], v26 offset:11008
	s_waitcnt lgkmcnt(0)
	v_mul_f64 v[36:37], v[30:31], v[34:35]
	v_mul_f64 v[34:35], v[28:29], v[34:35]
	v_fma_f64 v[28:29], v[28:29], v[32:33], -v[36:37]
	v_fma_f64 v[30:31], v[30:31], v[32:33], v[34:35]
	v_add_f64 v[10:11], v[10:11], v[28:29]
	v_add_f64 v[12:13], v[12:13], v[30:31]
	s_or_b64 exec, exec, s[18:19]
	v_cmp_gt_u32_e64 s[12:13], 8, v17
	s_and_saveexec_b64 s[18:19], s[12:13]
	s_cbranch_execz .LBB75_161
.LBB75_528:
	ds_read_b128 v[27:30], v27 offset:10592
	ds_read_b128 v[31:34], v26 offset:11520
	s_waitcnt lgkmcnt(0)
	v_mul_f64 v[35:36], v[29:30], v[33:34]
	v_mul_f64 v[33:34], v[27:28], v[33:34]
	v_fma_f64 v[26:27], v[27:28], v[31:32], -v[35:36]
	v_fma_f64 v[28:29], v[29:30], v[31:32], v[33:34]
	v_add_f64 v[10:11], v[10:11], v[26:27]
	v_add_f64 v[12:13], v[12:13], v[28:29]
	s_or_b64 exec, exec, s[18:19]
	v_cmp_gt_u32_e64 s[12:13], 4, v17
	s_and_saveexec_b64 s[18:19], s[12:13]
	s_cbranch_execnz .LBB75_162
	s_branch .LBB75_163
.LBB75_529:
	ds_read_b128 v[31:34], v30 offset:8624
	ds_read_b128 v[35:38], v29 offset:13824
	s_waitcnt lgkmcnt(0)
	v_mul_f64 v[39:40], v[33:34], v[37:38]
	v_mul_f64 v[37:38], v[31:32], v[37:38]
	v_fma_f64 v[31:32], v[31:32], v[35:36], -v[39:40]
	v_fma_f64 v[33:34], v[33:34], v[35:36], v[37:38]
	v_add_f64 v[10:11], v[10:11], v[31:32]
	v_add_f64 v[12:13], v[12:13], v[33:34]
	s_or_b64 exec, exec, s[90:91]
	s_and_saveexec_b64 s[18:19], s[8:9]
	s_cbranch_execz .LBB75_223
.LBB75_530:
	ds_read_b128 v[31:34], v30 offset:8640
	ds_read_b128 v[35:38], v29 offset:14336
	s_waitcnt lgkmcnt(0)
	v_mul_f64 v[39:40], v[33:34], v[37:38]
	v_mul_f64 v[37:38], v[31:32], v[37:38]
	v_fma_f64 v[31:32], v[31:32], v[35:36], -v[39:40]
	v_fma_f64 v[33:34], v[33:34], v[35:36], v[37:38]
	v_add_f64 v[10:11], v[10:11], v[31:32]
	v_add_f64 v[12:13], v[12:13], v[33:34]
	s_or_b64 exec, exec, s[18:19]
	v_cmp_gt_u32_e64 s[18:19], 48, v17
	s_and_saveexec_b64 s[90:91], s[18:19]
	s_cbranch_execz .LBB75_224
.LBB75_531:
	ds_read_b128 v[31:34], v30 offset:8656
	ds_read_b128 v[35:38], v29 offset:14848
	s_waitcnt lgkmcnt(0)
	v_mul_f64 v[39:40], v[33:34], v[37:38]
	v_mul_f64 v[37:38], v[31:32], v[37:38]
	v_fma_f64 v[31:32], v[31:32], v[35:36], -v[39:40]
	v_fma_f64 v[33:34], v[33:34], v[35:36], v[37:38]
	v_add_f64 v[10:11], v[10:11], v[31:32]
	v_add_f64 v[12:13], v[12:13], v[33:34]
	s_or_b64 exec, exec, s[90:91]
	v_cmp_gt_u32_e64 s[18:19], 32, v17
	s_and_saveexec_b64 s[90:91], s[18:19]
	s_cbranch_execz .LBB75_225
.LBB75_532:
	ds_read_b128 v[30:33], v30 offset:8672
	ds_read_b128 v[34:37], v29 offset:15360
	s_waitcnt lgkmcnt(0)
	v_mul_f64 v[38:39], v[32:33], v[36:37]
	v_mul_f64 v[36:37], v[30:31], v[36:37]
	v_fma_f64 v[29:30], v[30:31], v[34:35], -v[38:39]
	v_fma_f64 v[31:32], v[32:33], v[34:35], v[36:37]
	v_add_f64 v[10:11], v[10:11], v[29:30]
	v_add_f64 v[12:13], v[12:13], v[31:32]
	s_or_b64 exec, exec, s[90:91]
	v_cmp_gt_u32_e64 s[18:19], 16, v17
	s_and_saveexec_b64 s[90:91], s[18:19]
	s_cbranch_execnz .LBB75_226
	s_branch .LBB75_227
.LBB75_533:
	ds_read_b128 v[28:31], v27 offset:6352
	ds_read_b128 v[32:35], v26 offset:6784
	s_waitcnt lgkmcnt(0)
	v_mul_f64 v[36:37], v[30:31], v[34:35]
	v_mul_f64 v[34:35], v[28:29], v[34:35]
	v_fma_f64 v[28:29], v[28:29], v[32:33], -v[36:37]
	v_fma_f64 v[30:31], v[30:31], v[32:33], v[34:35]
	v_add_f64 v[10:11], v[10:11], v[28:29]
	v_add_f64 v[12:13], v[12:13], v[30:31]
	s_or_b64 exec, exec, s[14:15]
	v_cmp_gt_u32_e64 s[10:11], 8, v17
	s_and_saveexec_b64 s[14:15], s[10:11]
	s_cbranch_execz .LBB75_315
.LBB75_534:
	ds_read_b128 v[27:30], v27 offset:6368
	ds_read_b128 v[31:34], v26 offset:7296
	s_waitcnt lgkmcnt(0)
	v_mul_f64 v[35:36], v[29:30], v[33:34]
	v_mul_f64 v[33:34], v[27:28], v[33:34]
	v_fma_f64 v[26:27], v[27:28], v[31:32], -v[35:36]
	v_fma_f64 v[28:29], v[29:30], v[31:32], v[33:34]
	v_add_f64 v[10:11], v[10:11], v[26:27]
	v_add_f64 v[12:13], v[12:13], v[28:29]
	s_or_b64 exec, exec, s[14:15]
	v_cmp_gt_u32_e64 s[10:11], 4, v17
	s_and_saveexec_b64 s[14:15], s[10:11]
	s_cbranch_execnz .LBB75_316
	s_branch .LBB75_317
.LBB75_535:
	ds_read_b128 v[28:31], v27 offset:4240
	ds_read_b128 v[32:35], v26 offset:4608
	s_waitcnt lgkmcnt(0)
	v_mul_f64 v[36:37], v[30:31], v[34:35]
	v_mul_f64 v[34:35], v[28:29], v[34:35]
	v_fma_f64 v[28:29], v[28:29], v[32:33], -v[36:37]
	v_fma_f64 v[30:31], v[30:31], v[32:33], v[34:35]
	v_add_f64 v[10:11], v[10:11], v[28:29]
	v_add_f64 v[12:13], v[12:13], v[30:31]
	s_or_b64 exec, exec, s[14:15]
	v_cmp_gt_u32_e64 s[10:11], 48, v17
	s_and_saveexec_b64 s[14:15], s[10:11]
	s_cbranch_execz .LBB75_357
.LBB75_536:
	ds_read_b128 v[28:31], v27 offset:4256
	ds_read_b128 v[32:35], v26 offset:5120
	s_waitcnt lgkmcnt(0)
	v_mul_f64 v[36:37], v[30:31], v[34:35]
	v_mul_f64 v[34:35], v[28:29], v[34:35]
	v_fma_f64 v[28:29], v[28:29], v[32:33], -v[36:37]
	v_fma_f64 v[30:31], v[30:31], v[32:33], v[34:35]
	v_add_f64 v[10:11], v[10:11], v[28:29]
	v_add_f64 v[12:13], v[12:13], v[30:31]
	s_or_b64 exec, exec, s[14:15]
	v_cmp_gt_u32_e64 s[10:11], 40, v17
	s_and_saveexec_b64 s[14:15], s[10:11]
	s_cbranch_execz .LBB75_358
.LBB75_537:
	ds_read_b128 v[28:31], v27 offset:4272
	ds_read_b128 v[32:35], v26 offset:5632
	s_waitcnt lgkmcnt(0)
	v_mul_f64 v[36:37], v[30:31], v[34:35]
	v_mul_f64 v[34:35], v[28:29], v[34:35]
	v_fma_f64 v[28:29], v[28:29], v[32:33], -v[36:37]
	v_fma_f64 v[30:31], v[30:31], v[32:33], v[34:35]
	v_add_f64 v[10:11], v[10:11], v[28:29]
	v_add_f64 v[12:13], v[12:13], v[30:31]
	s_or_b64 exec, exec, s[14:15]
	v_cmp_gt_u32_e64 s[10:11], 32, v17
	s_and_saveexec_b64 s[14:15], s[10:11]
	s_cbranch_execz .LBB75_359
.LBB75_538:
	ds_read_b128 v[28:31], v27 offset:4288
	ds_read_b128 v[32:35], v26 offset:6144
	s_waitcnt lgkmcnt(0)
	v_mul_f64 v[36:37], v[30:31], v[34:35]
	v_mul_f64 v[34:35], v[28:29], v[34:35]
	v_fma_f64 v[28:29], v[28:29], v[32:33], -v[36:37]
	v_fma_f64 v[30:31], v[30:31], v[32:33], v[34:35]
	v_add_f64 v[10:11], v[10:11], v[28:29]
	v_add_f64 v[12:13], v[12:13], v[30:31]
	s_or_b64 exec, exec, s[14:15]
	v_cmp_gt_u32_e64 s[10:11], 24, v17
	s_and_saveexec_b64 s[14:15], s[10:11]
	s_cbranch_execz .LBB75_360
.LBB75_539:
	ds_read_b128 v[28:31], v27 offset:4304
	ds_read_b128 v[32:35], v26 offset:6656
	s_waitcnt lgkmcnt(0)
	v_mul_f64 v[36:37], v[30:31], v[34:35]
	v_mul_f64 v[34:35], v[28:29], v[34:35]
	v_fma_f64 v[28:29], v[28:29], v[32:33], -v[36:37]
	v_fma_f64 v[30:31], v[30:31], v[32:33], v[34:35]
	v_add_f64 v[10:11], v[10:11], v[28:29]
	v_add_f64 v[12:13], v[12:13], v[30:31]
	s_or_b64 exec, exec, s[14:15]
	s_and_saveexec_b64 s[10:11], s[16:17]
	s_cbranch_execz .LBB75_361
.LBB75_540:
	ds_read_b128 v[27:30], v27 offset:4320
	ds_read_b128 v[31:34], v26 offset:7168
	s_waitcnt lgkmcnt(0)
	v_mul_f64 v[35:36], v[29:30], v[33:34]
	v_mul_f64 v[33:34], v[27:28], v[33:34]
	v_fma_f64 v[26:27], v[27:28], v[31:32], -v[35:36]
	v_fma_f64 v[28:29], v[29:30], v[31:32], v[33:34]
	v_add_f64 v[10:11], v[10:11], v[26:27]
	v_add_f64 v[12:13], v[12:13], v[28:29]
	s_or_b64 exec, exec, s[10:11]
	v_cmp_gt_u32_e64 s[10:11], 8, v17
	s_and_saveexec_b64 s[14:15], s[10:11]
	s_cbranch_execnz .LBB75_362
	s_branch .LBB75_363
.LBB75_541:
	ds_read_b128 v[25:28], v24 offset:2128
	ds_read_b128 v[29:32], v21 offset:2560
	s_waitcnt lgkmcnt(0)
	v_mul_f64 v[33:34], v[27:28], v[31:32]
	v_mul_f64 v[31:32], v[25:26], v[31:32]
	v_fma_f64 v[25:26], v[25:26], v[29:30], -v[33:34]
	v_fma_f64 v[27:28], v[27:28], v[29:30], v[31:32]
	v_add_f64 v[10:11], v[10:11], v[25:26]
	v_add_f64 v[12:13], v[12:13], v[27:28]
	s_or_b64 exec, exec, s[12:13]
	v_cmp_gt_u32_e64 s[8:9], 8, v17
	s_and_saveexec_b64 s[12:13], s[8:9]
	s_cbranch_execz .LBB75_419
.LBB75_542:
	ds_read_b128 v[24:27], v24 offset:2144
	ds_read_b128 v[28:31], v21 offset:3072
	s_waitcnt lgkmcnt(0)
	v_mul_f64 v[32:33], v[26:27], v[30:31]
	v_mul_f64 v[30:31], v[24:25], v[30:31]
	v_fma_f64 v[24:25], v[24:25], v[28:29], -v[32:33]
	v_fma_f64 v[26:27], v[26:27], v[28:29], v[30:31]
	v_add_f64 v[10:11], v[10:11], v[24:25]
	v_add_f64 v[12:13], v[12:13], v[26:27]
	s_or_b64 exec, exec, s[12:13]
	v_cmp_gt_u32_e64 s[8:9], 4, v17
	s_and_saveexec_b64 s[12:13], s[8:9]
	s_cbranch_execnz .LBB75_420
	s_branch .LBB75_421
	.section	.rodata,"a",@progbits
	.p2align	6, 0x0
	.amdhsa_kernel _ZL19rocblas_trsv_deviceILi32ELi16ELb0ELb1ELb1ELb1E19rocblas_complex_numIdEPKS1_S3_PS1_EviT7_lllT6_T8_lllPii
		.amdhsa_group_segment_fixed_size 25104
		.amdhsa_private_segment_fixed_size 0
		.amdhsa_kernarg_size 352
		.amdhsa_user_sgpr_count 6
		.amdhsa_user_sgpr_private_segment_buffer 1
		.amdhsa_user_sgpr_dispatch_ptr 0
		.amdhsa_user_sgpr_queue_ptr 0
		.amdhsa_user_sgpr_kernarg_segment_ptr 1
		.amdhsa_user_sgpr_dispatch_id 0
		.amdhsa_user_sgpr_flat_scratch_init 0
		.amdhsa_user_sgpr_private_segment_size 0
		.amdhsa_uses_dynamic_stack 0
		.amdhsa_system_sgpr_private_segment_wavefront_offset 0
		.amdhsa_system_sgpr_workgroup_id_x 1
		.amdhsa_system_sgpr_workgroup_id_y 0
		.amdhsa_system_sgpr_workgroup_id_z 1
		.amdhsa_system_sgpr_workgroup_info 0
		.amdhsa_system_vgpr_workitem_id 1
		.amdhsa_next_free_vgpr 49
		.amdhsa_next_free_sgpr 98
		.amdhsa_reserve_vcc 1
		.amdhsa_reserve_flat_scratch 0
		.amdhsa_float_round_mode_32 0
		.amdhsa_float_round_mode_16_64 0
		.amdhsa_float_denorm_mode_32 3
		.amdhsa_float_denorm_mode_16_64 3
		.amdhsa_dx10_clamp 1
		.amdhsa_ieee_mode 1
		.amdhsa_fp16_overflow 0
		.amdhsa_exception_fp_ieee_invalid_op 0
		.amdhsa_exception_fp_denorm_src 0
		.amdhsa_exception_fp_ieee_div_zero 0
		.amdhsa_exception_fp_ieee_overflow 0
		.amdhsa_exception_fp_ieee_underflow 0
		.amdhsa_exception_fp_ieee_inexact 0
		.amdhsa_exception_int_div_zero 0
	.end_amdhsa_kernel
	.section	.text._ZL19rocblas_trsv_deviceILi32ELi16ELb0ELb1ELb1ELb1E19rocblas_complex_numIdEPKS1_S3_PS1_EviT7_lllT6_T8_lllPii,"axG",@progbits,_ZL19rocblas_trsv_deviceILi32ELi16ELb0ELb1ELb1ELb1E19rocblas_complex_numIdEPKS1_S3_PS1_EviT7_lllT6_T8_lllPii,comdat
.Lfunc_end75:
	.size	_ZL19rocblas_trsv_deviceILi32ELi16ELb0ELb1ELb1ELb1E19rocblas_complex_numIdEPKS1_S3_PS1_EviT7_lllT6_T8_lllPii, .Lfunc_end75-_ZL19rocblas_trsv_deviceILi32ELi16ELb0ELb1ELb1ELb1E19rocblas_complex_numIdEPKS1_S3_PS1_EviT7_lllT6_T8_lllPii
                                        ; -- End function
	.set _ZL19rocblas_trsv_deviceILi32ELi16ELb0ELb1ELb1ELb1E19rocblas_complex_numIdEPKS1_S3_PS1_EviT7_lllT6_T8_lllPii.num_vgpr, 41
	.set _ZL19rocblas_trsv_deviceILi32ELi16ELb0ELb1ELb1ELb1E19rocblas_complex_numIdEPKS1_S3_PS1_EviT7_lllT6_T8_lllPii.num_agpr, 0
	.set _ZL19rocblas_trsv_deviceILi32ELi16ELb0ELb1ELb1ELb1E19rocblas_complex_numIdEPKS1_S3_PS1_EviT7_lllT6_T8_lllPii.numbered_sgpr, 95
	.set _ZL19rocblas_trsv_deviceILi32ELi16ELb0ELb1ELb1ELb1E19rocblas_complex_numIdEPKS1_S3_PS1_EviT7_lllT6_T8_lllPii.num_named_barrier, 0
	.set _ZL19rocblas_trsv_deviceILi32ELi16ELb0ELb1ELb1ELb1E19rocblas_complex_numIdEPKS1_S3_PS1_EviT7_lllT6_T8_lllPii.private_seg_size, 0
	.set _ZL19rocblas_trsv_deviceILi32ELi16ELb0ELb1ELb1ELb1E19rocblas_complex_numIdEPKS1_S3_PS1_EviT7_lllT6_T8_lllPii.uses_vcc, 1
	.set _ZL19rocblas_trsv_deviceILi32ELi16ELb0ELb1ELb1ELb1E19rocblas_complex_numIdEPKS1_S3_PS1_EviT7_lllT6_T8_lllPii.uses_flat_scratch, 0
	.set _ZL19rocblas_trsv_deviceILi32ELi16ELb0ELb1ELb1ELb1E19rocblas_complex_numIdEPKS1_S3_PS1_EviT7_lllT6_T8_lllPii.has_dyn_sized_stack, 0
	.set _ZL19rocblas_trsv_deviceILi32ELi16ELb0ELb1ELb1ELb1E19rocblas_complex_numIdEPKS1_S3_PS1_EviT7_lllT6_T8_lllPii.has_recursion, 0
	.set _ZL19rocblas_trsv_deviceILi32ELi16ELb0ELb1ELb1ELb1E19rocblas_complex_numIdEPKS1_S3_PS1_EviT7_lllT6_T8_lllPii.has_indirect_call, 0
	.section	.AMDGPU.csdata,"",@progbits
; Kernel info:
; codeLenInByte = 22940
; TotalNumSgprs: 99
; NumVgprs: 41
; ScratchSize: 0
; MemoryBound: 1
; FloatMode: 240
; IeeeMode: 1
; LDSByteSize: 25104 bytes/workgroup (compile time only)
; SGPRBlocks: 12
; VGPRBlocks: 12
; NumSGPRsForWavesPerEU: 102
; NumVGPRsForWavesPerEU: 49
; Occupancy: 4
; WaveLimiterHint : 0
; COMPUTE_PGM_RSRC2:SCRATCH_EN: 0
; COMPUTE_PGM_RSRC2:USER_SGPR: 6
; COMPUTE_PGM_RSRC2:TRAP_HANDLER: 0
; COMPUTE_PGM_RSRC2:TGID_X_EN: 1
; COMPUTE_PGM_RSRC2:TGID_Y_EN: 0
; COMPUTE_PGM_RSRC2:TGID_Z_EN: 1
; COMPUTE_PGM_RSRC2:TIDIG_COMP_CNT: 1
	.section	.text._ZL19rocblas_trsv_deviceILi32ELi16ELb0ELb0ELb0ELb0E19rocblas_complex_numIdEPKS1_S3_PS1_EviT7_lllT6_T8_lllPii,"axG",@progbits,_ZL19rocblas_trsv_deviceILi32ELi16ELb0ELb0ELb0ELb0E19rocblas_complex_numIdEPKS1_S3_PS1_EviT7_lllT6_T8_lllPii,comdat
	.globl	_ZL19rocblas_trsv_deviceILi32ELi16ELb0ELb0ELb0ELb0E19rocblas_complex_numIdEPKS1_S3_PS1_EviT7_lllT6_T8_lllPii ; -- Begin function _ZL19rocblas_trsv_deviceILi32ELi16ELb0ELb0ELb0ELb0E19rocblas_complex_numIdEPKS1_S3_PS1_EviT7_lllT6_T8_lllPii
	.p2align	8
	.type	_ZL19rocblas_trsv_deviceILi32ELi16ELb0ELb0ELb0ELb0E19rocblas_complex_numIdEPKS1_S3_PS1_EviT7_lllT6_T8_lllPii,@function
_ZL19rocblas_trsv_deviceILi32ELi16ELb0ELb0ELb0ELb0E19rocblas_complex_numIdEPKS1_S3_PS1_EviT7_lllT6_T8_lllPii: ; @_ZL19rocblas_trsv_deviceILi32ELi16ELb0ELb0ELb0ELb0E19rocblas_complex_numIdEPKS1_S3_PS1_EviT7_lllT6_T8_lllPii
; %bb.0:
	s_load_dwordx16 s[12:27], s[4:5], 0x8
	s_load_dword s36, s[4:5], 0x0
	s_mov_b32 s34, s7
	v_mov_b32_e32 v2, v1
	s_mov_b32 s35, 0
	s_waitcnt lgkmcnt(0)
	s_mul_i32 s0, s19, s7
	s_mul_hi_u32 s1, s18, s7
	s_add_i32 s1, s1, s0
	s_mul_i32 s0, s18, s7
	s_load_dword s7, s[4:5], 0x60
	s_lshl_b64 s[0:1], s[0:1], 4
	s_add_u32 s2, s12, s0
	s_addc_u32 s3, s13, s1
	s_lshl_b64 s[0:1], s[14:15], 4
	s_load_dwordx4 s[28:31], s[20:21], 0x0
	s_load_dword s91, s[4:5], 0x6c
	s_add_u32 s88, s2, s0
	s_addc_u32 s89, s3, s1
	s_waitcnt lgkmcnt(0)
	s_add_i32 s7, s7, -1
	s_sub_i32 s90, s7, s6
	s_cmp_lg_u32 s6, 0
	s_cbranch_scc0 .LBB76_515
; %bb.1:
	s_lshl_b32 s33, s90, 5
	v_add3_u32 v1, v2, s33, 32
	v_ashrrev_i32_e32 v3, 31, v1
	v_mul_lo_u32 v7, s16, v3
	v_mul_lo_u32 v8, s17, v1
	v_mad_u64_u32 v[3:4], s[0:1], s16, v1, 0
	v_add_u32_e32 v5, s33, v0
	v_ashrrev_i32_e32 v6, 31, v5
	v_add3_u32 v4, v4, v7, v8
	v_lshlrev_b64 v[3:4], 4, v[3:4]
	v_mov_b32_e32 v7, s89
	v_add_co_u32_e64 v8, s[0:1], s88, v3
	v_addc_co_u32_e64 v7, s[0:1], v7, v4, s[0:1]
	v_lshlrev_b64 v[3:4], 4, v[5:6]
	v_cmp_gt_i32_e32 vcc, s36, v5
	v_add_co_u32_e64 v11, s[0:1], v8, v3
	v_addc_co_u32_e64 v12, s[0:1], v7, v4, s[0:1]
	v_cmp_gt_i32_e64 s[0:1], s36, v1
	v_mov_b32_e32 v9, 0
	v_mov_b32_e32 v3, 0
	;; [unrolled: 1-line block ×6, first 2 shown]
	s_and_b64 s[2:3], vcc, s[0:1]
	s_barrier
	s_and_saveexec_b64 s[0:1], s[2:3]
	s_cbranch_execz .LBB76_3
; %bb.2:
	global_load_dwordx4 v[3:6], v[11:12], off
.LBB76_3:
	s_or_b64 exec, exec, s[0:1]
	v_add_u32_e32 v1, 16, v1
	v_cmp_gt_i32_e64 s[0:1], s36, v1
	v_mov_b32_e32 v7, 0
	v_mov_b32_e32 v8, 0
	s_and_b64 s[2:3], vcc, s[0:1]
	s_waitcnt vmcnt(0)
	s_barrier
	s_and_saveexec_b64 s[0:1], s[2:3]
	s_cbranch_execz .LBB76_5
; %bb.4:
	s_lshl_b64 s[2:3], s[16:17], 8
	v_mov_b32_e32 v1, s3
	v_add_co_u32_e32 v7, vcc, s2, v11
	v_addc_co_u32_e32 v8, vcc, v12, v1, vcc
	global_load_dwordx4 v[7:10], v[7:8], off
.LBB76_5:
	s_or_b64 exec, exec, s[0:1]
	s_branch .LBB76_7
.LBB76_6:
	s_lshl_b32 s33, s90, 5
                                        ; implicit-def: $vgpr3_vgpr4
                                        ; implicit-def: $vgpr7_vgpr8
.LBB76_7:
	s_ashr_i32 s37, s36, 31
	s_lshr_b32 s0, s37, 27
	s_add_i32 s0, s36, s0
	s_andn2_b32 s0, s0, 31
	s_sub_i32 s87, s36, s0
	s_add_i32 s0, s36, -1
	s_ashr_i32 s1, s0, 31
	s_lshr_b32 s1, s1, 27
	s_add_i32 s0, s0, s1
	s_ashr_i32 s0, s0, 5
	s_cmp_eq_u32 s0, s90
	s_cselect_b64 s[0:1], -1, 0
	s_cmp_lg_u32 s87, 0
	s_cselect_b64 s[2:3], -1, 0
	s_and_b64 s[18:19], s[2:3], s[0:1]
	s_ashr_i32 s86, s33, 31
	s_add_u32 s8, s16, 1
	v_mov_b32_e32 v1, 0
	v_mov_b32_e32 v11, s33
	v_mad_u64_u32 v[19:20], s[0:1], s8, v11, v[0:1]
	s_addc_u32 s9, s17, 0
	s_mul_i32 s0, s8, s86
	s_mul_i32 s9, s9, s33
	s_add_i32 s0, s0, s9
	s_mov_b64 s[2:3], -1
	v_add_u32_e32 v20, s0, v20
	s_and_b64 vcc, exec, s[18:19]
	v_cmp_le_u32_e64 s[0:1], v2, v0
	v_lshl_add_u32 v1, v2, 5, v0
	s_cbranch_vccnz .LBB76_37
; %bb.8:
	v_mad_u64_u32 v[11:12], s[2:3], s16, v2, v[19:20]
	v_mad_u64_u32 v[12:13], s[2:3], s17, v2, v[12:13]
	s_and_saveexec_b64 s[2:3], s[0:1]
	s_xor_b64 s[0:1], exec, s[2:3]
	s_cbranch_execz .LBB76_20
; %bb.9:
	v_cmp_ne_u32_e32 vcc, v0, v2
	s_and_saveexec_b64 s[2:3], vcc
	s_xor_b64 s[2:3], exec, s[2:3]
	s_cbranch_execz .LBB76_13
; %bb.10:
	v_or_b32_e32 v11, v2, v0
	v_cmp_gt_u32_e32 vcc, 32, v11
	s_and_saveexec_b64 s[8:9], vcc
	s_cbranch_execz .LBB76_12
; %bb.11:
	v_mov_b32_e32 v11, 0
	v_lshlrev_b32_e32 v15, 4, v1
	v_mov_b32_e32 v12, v11
	v_mov_b32_e32 v13, v11
	;; [unrolled: 1-line block ×3, first 2 shown]
	ds_write_b128 v15, v[11:14]
.LBB76_12:
	s_or_b64 exec, exec, s[8:9]
                                        ; implicit-def: $vgpr11_vgpr12
.LBB76_13:
	s_andn2_saveexec_b64 s[2:3], s[2:3]
	s_cbranch_execz .LBB76_19
; %bb.14:
	v_lshlrev_b64 v[11:12], 4, v[11:12]
	v_mov_b32_e32 v13, s89
	v_add_co_u32_e32 v11, vcc, s88, v11
	v_addc_co_u32_e32 v12, vcc, v13, v12, vcc
	global_load_dwordx4 v[11:14], v[11:12], off
                                        ; implicit-def: $vgpr15_vgpr16
	s_waitcnt vmcnt(0)
	v_cmp_ngt_f64_e64 s[8:9], |v[11:12]|, |v[13:14]|
	s_and_saveexec_b64 s[10:11], s[8:9]
	s_xor_b64 s[8:9], exec, s[10:11]
	s_cbranch_execz .LBB76_16
; %bb.15:
	v_div_scale_f64 v[15:16], s[10:11], v[13:14], v[13:14], v[11:12]
	v_rcp_f64_e32 v[17:18], v[15:16]
	v_fma_f64 v[21:22], -v[15:16], v[17:18], 1.0
	v_fma_f64 v[17:18], v[17:18], v[21:22], v[17:18]
	v_div_scale_f64 v[21:22], vcc, v[11:12], v[13:14], v[11:12]
	v_fma_f64 v[23:24], -v[15:16], v[17:18], 1.0
	v_fma_f64 v[17:18], v[17:18], v[23:24], v[17:18]
	v_mul_f64 v[23:24], v[21:22], v[17:18]
	v_fma_f64 v[15:16], -v[15:16], v[23:24], v[21:22]
	v_div_fmas_f64 v[15:16], v[15:16], v[17:18], v[23:24]
	v_div_fixup_f64 v[15:16], v[15:16], v[13:14], v[11:12]
	v_fma_f64 v[11:12], v[11:12], v[15:16], v[13:14]
	v_div_scale_f64 v[13:14], s[10:11], v[11:12], v[11:12], 1.0
	v_div_scale_f64 v[23:24], vcc, 1.0, v[11:12], 1.0
	v_rcp_f64_e32 v[17:18], v[13:14]
	v_fma_f64 v[21:22], -v[13:14], v[17:18], 1.0
	v_fma_f64 v[17:18], v[17:18], v[21:22], v[17:18]
	v_fma_f64 v[21:22], -v[13:14], v[17:18], 1.0
	v_fma_f64 v[17:18], v[17:18], v[21:22], v[17:18]
	v_mul_f64 v[21:22], v[23:24], v[17:18]
	v_fma_f64 v[13:14], -v[13:14], v[21:22], v[23:24]
	v_div_fmas_f64 v[13:14], v[13:14], v[17:18], v[21:22]
	v_div_fixup_f64 v[17:18], v[13:14], v[11:12], 1.0
                                        ; implicit-def: $vgpr11_vgpr12
	v_mul_f64 v[15:16], v[15:16], v[17:18]
	v_xor_b32_e32 v18, 0x80000000, v18
.LBB76_16:
	s_andn2_saveexec_b64 s[8:9], s[8:9]
	s_cbranch_execz .LBB76_18
; %bb.17:
	v_div_scale_f64 v[15:16], s[10:11], v[11:12], v[11:12], v[13:14]
	v_rcp_f64_e32 v[17:18], v[15:16]
	v_fma_f64 v[21:22], -v[15:16], v[17:18], 1.0
	v_fma_f64 v[17:18], v[17:18], v[21:22], v[17:18]
	v_div_scale_f64 v[21:22], vcc, v[13:14], v[11:12], v[13:14]
	v_fma_f64 v[23:24], -v[15:16], v[17:18], 1.0
	v_fma_f64 v[17:18], v[17:18], v[23:24], v[17:18]
	v_mul_f64 v[23:24], v[21:22], v[17:18]
	v_fma_f64 v[15:16], -v[15:16], v[23:24], v[21:22]
	v_div_fmas_f64 v[15:16], v[15:16], v[17:18], v[23:24]
	v_div_fixup_f64 v[17:18], v[15:16], v[11:12], v[13:14]
	v_fma_f64 v[11:12], v[13:14], v[17:18], v[11:12]
	v_div_scale_f64 v[13:14], s[10:11], v[11:12], v[11:12], 1.0
	v_div_scale_f64 v[23:24], vcc, 1.0, v[11:12], 1.0
	v_rcp_f64_e32 v[15:16], v[13:14]
	v_fma_f64 v[21:22], -v[13:14], v[15:16], 1.0
	v_fma_f64 v[15:16], v[15:16], v[21:22], v[15:16]
	v_fma_f64 v[21:22], -v[13:14], v[15:16], 1.0
	v_fma_f64 v[15:16], v[15:16], v[21:22], v[15:16]
	v_mul_f64 v[21:22], v[23:24], v[15:16]
	v_fma_f64 v[13:14], -v[13:14], v[21:22], v[23:24]
	v_div_fmas_f64 v[13:14], v[13:14], v[15:16], v[21:22]
	v_div_fixup_f64 v[15:16], v[13:14], v[11:12], 1.0
	v_mul_f64 v[17:18], v[17:18], -v[15:16]
.LBB76_18:
	s_or_b64 exec, exec, s[8:9]
	v_lshlrev_b32_e32 v11, 4, v1
	ds_write_b128 v11, v[15:18]
.LBB76_19:
	s_or_b64 exec, exec, s[2:3]
                                        ; implicit-def: $vgpr11_vgpr12
.LBB76_20:
	s_andn2_saveexec_b64 s[0:1], s[0:1]
	s_cbranch_execz .LBB76_22
; %bb.21:
	v_lshlrev_b64 v[11:12], 4, v[11:12]
	v_mov_b32_e32 v13, s89
	v_add_co_u32_e32 v11, vcc, s88, v11
	v_addc_co_u32_e32 v12, vcc, v13, v12, vcc
	global_load_dwordx4 v[11:14], v[11:12], off
	v_lshlrev_b32_e32 v15, 4, v1
	s_waitcnt vmcnt(0)
	v_xor_b32_e32 v12, 0x80000000, v12
	v_xor_b32_e32 v14, 0x80000000, v14
	ds_write_b128 v15, v[11:14]
.LBB76_22:
	s_or_b64 exec, exec, s[0:1]
	v_add_u32_e32 v13, 16, v2
	v_mad_u64_u32 v[11:12], s[0:1], s16, v13, v[19:20]
	v_lshl_add_u32 v21, v13, 5, v0
	v_cmp_le_u32_e32 vcc, v13, v0
	v_mad_u64_u32 v[14:15], s[0:1], s17, v13, v[12:13]
	v_mov_b32_e32 v12, v14
	s_and_saveexec_b64 s[0:1], vcc
	s_xor_b64 s[0:1], exec, s[0:1]
	s_cbranch_execz .LBB76_34
; %bb.23:
	v_cmp_ne_u32_e32 vcc, v0, v13
	s_and_saveexec_b64 s[2:3], vcc
	s_xor_b64 s[2:3], exec, s[2:3]
	s_cbranch_execz .LBB76_27
; %bb.24:
	v_or_b32_e32 v11, v13, v0
	v_cmp_gt_u32_e32 vcc, 32, v11
	s_and_saveexec_b64 s[8:9], vcc
	s_cbranch_execz .LBB76_26
; %bb.25:
	v_mov_b32_e32 v11, 0
	v_lshlrev_b32_e32 v15, 4, v21
	v_mov_b32_e32 v12, v11
	v_mov_b32_e32 v13, v11
	;; [unrolled: 1-line block ×3, first 2 shown]
	ds_write_b128 v15, v[11:14]
.LBB76_26:
	s_or_b64 exec, exec, s[8:9]
                                        ; implicit-def: $vgpr21
                                        ; implicit-def: $vgpr11_vgpr12
.LBB76_27:
	s_andn2_saveexec_b64 s[2:3], s[2:3]
	s_cbranch_execz .LBB76_33
; %bb.28:
	v_lshlrev_b64 v[11:12], 4, v[11:12]
	v_mov_b32_e32 v13, s89
	v_add_co_u32_e32 v11, vcc, s88, v11
	v_addc_co_u32_e32 v12, vcc, v13, v12, vcc
	global_load_dwordx4 v[11:14], v[11:12], off
                                        ; implicit-def: $vgpr15_vgpr16
	s_waitcnt vmcnt(0)
	v_cmp_ngt_f64_e64 s[8:9], |v[11:12]|, |v[13:14]|
	s_and_saveexec_b64 s[10:11], s[8:9]
	s_xor_b64 s[8:9], exec, s[10:11]
	s_cbranch_execz .LBB76_30
; %bb.29:
	v_div_scale_f64 v[15:16], s[10:11], v[13:14], v[13:14], v[11:12]
	v_rcp_f64_e32 v[17:18], v[15:16]
	v_fma_f64 v[22:23], -v[15:16], v[17:18], 1.0
	v_fma_f64 v[17:18], v[17:18], v[22:23], v[17:18]
	v_div_scale_f64 v[22:23], vcc, v[11:12], v[13:14], v[11:12]
	v_fma_f64 v[24:25], -v[15:16], v[17:18], 1.0
	v_fma_f64 v[17:18], v[17:18], v[24:25], v[17:18]
	v_mul_f64 v[24:25], v[22:23], v[17:18]
	v_fma_f64 v[15:16], -v[15:16], v[24:25], v[22:23]
	v_div_fmas_f64 v[15:16], v[15:16], v[17:18], v[24:25]
	v_div_fixup_f64 v[15:16], v[15:16], v[13:14], v[11:12]
	v_fma_f64 v[11:12], v[11:12], v[15:16], v[13:14]
	v_div_scale_f64 v[13:14], s[10:11], v[11:12], v[11:12], 1.0
	v_div_scale_f64 v[24:25], vcc, 1.0, v[11:12], 1.0
	v_rcp_f64_e32 v[17:18], v[13:14]
	v_fma_f64 v[22:23], -v[13:14], v[17:18], 1.0
	v_fma_f64 v[17:18], v[17:18], v[22:23], v[17:18]
	v_fma_f64 v[22:23], -v[13:14], v[17:18], 1.0
	v_fma_f64 v[17:18], v[17:18], v[22:23], v[17:18]
	v_mul_f64 v[22:23], v[24:25], v[17:18]
	v_fma_f64 v[13:14], -v[13:14], v[22:23], v[24:25]
	v_div_fmas_f64 v[13:14], v[13:14], v[17:18], v[22:23]
	v_div_fixup_f64 v[17:18], v[13:14], v[11:12], 1.0
                                        ; implicit-def: $vgpr11_vgpr12
	v_mul_f64 v[15:16], v[15:16], v[17:18]
	v_xor_b32_e32 v18, 0x80000000, v18
.LBB76_30:
	s_andn2_saveexec_b64 s[8:9], s[8:9]
	s_cbranch_execz .LBB76_32
; %bb.31:
	v_div_scale_f64 v[15:16], s[10:11], v[11:12], v[11:12], v[13:14]
	v_rcp_f64_e32 v[17:18], v[15:16]
	v_fma_f64 v[22:23], -v[15:16], v[17:18], 1.0
	v_fma_f64 v[17:18], v[17:18], v[22:23], v[17:18]
	v_div_scale_f64 v[22:23], vcc, v[13:14], v[11:12], v[13:14]
	v_fma_f64 v[24:25], -v[15:16], v[17:18], 1.0
	v_fma_f64 v[17:18], v[17:18], v[24:25], v[17:18]
	v_mul_f64 v[24:25], v[22:23], v[17:18]
	v_fma_f64 v[15:16], -v[15:16], v[24:25], v[22:23]
	v_div_fmas_f64 v[15:16], v[15:16], v[17:18], v[24:25]
	v_div_fixup_f64 v[17:18], v[15:16], v[11:12], v[13:14]
	v_fma_f64 v[11:12], v[13:14], v[17:18], v[11:12]
	v_div_scale_f64 v[13:14], s[10:11], v[11:12], v[11:12], 1.0
	v_div_scale_f64 v[24:25], vcc, 1.0, v[11:12], 1.0
	v_rcp_f64_e32 v[15:16], v[13:14]
	v_fma_f64 v[22:23], -v[13:14], v[15:16], 1.0
	v_fma_f64 v[15:16], v[15:16], v[22:23], v[15:16]
	v_fma_f64 v[22:23], -v[13:14], v[15:16], 1.0
	v_fma_f64 v[15:16], v[15:16], v[22:23], v[15:16]
	v_mul_f64 v[22:23], v[24:25], v[15:16]
	v_fma_f64 v[13:14], -v[13:14], v[22:23], v[24:25]
	v_div_fmas_f64 v[13:14], v[13:14], v[15:16], v[22:23]
	v_div_fixup_f64 v[15:16], v[13:14], v[11:12], 1.0
	v_mul_f64 v[17:18], v[17:18], -v[15:16]
.LBB76_32:
	s_or_b64 exec, exec, s[8:9]
	v_lshlrev_b32_e32 v11, 4, v21
	ds_write_b128 v11, v[15:18]
.LBB76_33:
	s_or_b64 exec, exec, s[2:3]
                                        ; implicit-def: $vgpr11_vgpr12
                                        ; implicit-def: $vgpr21
.LBB76_34:
	s_andn2_saveexec_b64 s[0:1], s[0:1]
	s_cbranch_execz .LBB76_36
; %bb.35:
	v_lshlrev_b64 v[11:12], 4, v[11:12]
	v_mov_b32_e32 v13, s89
	v_add_co_u32_e32 v11, vcc, s88, v11
	v_addc_co_u32_e32 v12, vcc, v13, v12, vcc
	global_load_dwordx4 v[11:14], v[11:12], off
	v_lshlrev_b32_e32 v15, 4, v21
	s_waitcnt vmcnt(0)
	v_xor_b32_e32 v12, 0x80000000, v12
	v_xor_b32_e32 v14, 0x80000000, v14
	ds_write_b128 v15, v[11:14]
.LBB76_36:
	s_or_b64 exec, exec, s[0:1]
	s_mov_b64 s[2:3], 0
.LBB76_37:
	s_and_b64 vcc, exec, s[2:3]
	s_cbranch_vccz .LBB76_67
; %bb.38:
	v_mad_u64_u32 v[11:12], s[0:1], s16, v2, v[19:20]
	v_cmp_le_u32_e32 vcc, v2, v0
	v_cmp_gt_i32_e64 s[0:1], s87, v0
	v_mad_u64_u32 v[12:13], s[2:3], s17, v2, v[12:13]
	v_max_i32_e32 v13, v2, v0
	v_cmp_le_i32_e64 s[2:3], s87, v13
	s_or_b64 s[2:3], s[2:3], vcc
	s_and_saveexec_b64 s[8:9], s[2:3]
	s_xor_b64 s[2:3], exec, s[8:9]
	s_cbranch_execz .LBB76_50
; %bb.39:
	v_cmp_ne_u32_e32 vcc, v0, v2
	s_xor_b64 s[8:9], s[0:1], -1
	s_or_b64 s[8:9], s[8:9], vcc
	s_and_saveexec_b64 s[10:11], s[8:9]
	s_xor_b64 s[8:9], exec, s[10:11]
	s_cbranch_execz .LBB76_43
; %bb.40:
	v_or_b32_e32 v11, v2, v0
	v_cmp_gt_u32_e32 vcc, 32, v11
	s_and_saveexec_b64 s[10:11], vcc
	s_cbranch_execz .LBB76_42
; %bb.41:
	v_mov_b32_e32 v11, 0
	v_lshlrev_b32_e32 v15, 4, v1
	v_mov_b32_e32 v12, v11
	v_mov_b32_e32 v13, v11
	;; [unrolled: 1-line block ×3, first 2 shown]
	ds_write_b128 v15, v[11:14]
.LBB76_42:
	s_or_b64 exec, exec, s[10:11]
                                        ; implicit-def: $vgpr11_vgpr12
.LBB76_43:
	s_andn2_saveexec_b64 s[8:9], s[8:9]
	s_cbranch_execz .LBB76_49
; %bb.44:
	v_lshlrev_b64 v[11:12], 4, v[11:12]
	v_mov_b32_e32 v13, s89
	v_add_co_u32_e32 v11, vcc, s88, v11
	v_addc_co_u32_e32 v12, vcc, v13, v12, vcc
	global_load_dwordx4 v[11:14], v[11:12], off
                                        ; implicit-def: $vgpr15_vgpr16
	s_waitcnt vmcnt(0)
	v_cmp_ngt_f64_e64 s[10:11], |v[11:12]|, |v[13:14]|
	s_and_saveexec_b64 s[12:13], s[10:11]
	s_xor_b64 s[10:11], exec, s[12:13]
	s_cbranch_execz .LBB76_46
; %bb.45:
	v_div_scale_f64 v[15:16], s[12:13], v[13:14], v[13:14], v[11:12]
	v_rcp_f64_e32 v[17:18], v[15:16]
	v_fma_f64 v[21:22], -v[15:16], v[17:18], 1.0
	v_fma_f64 v[17:18], v[17:18], v[21:22], v[17:18]
	v_div_scale_f64 v[21:22], vcc, v[11:12], v[13:14], v[11:12]
	v_fma_f64 v[23:24], -v[15:16], v[17:18], 1.0
	v_fma_f64 v[17:18], v[17:18], v[23:24], v[17:18]
	v_mul_f64 v[23:24], v[21:22], v[17:18]
	v_fma_f64 v[15:16], -v[15:16], v[23:24], v[21:22]
	v_div_fmas_f64 v[15:16], v[15:16], v[17:18], v[23:24]
	v_div_fixup_f64 v[15:16], v[15:16], v[13:14], v[11:12]
	v_fma_f64 v[11:12], v[11:12], v[15:16], v[13:14]
	v_div_scale_f64 v[13:14], s[12:13], v[11:12], v[11:12], 1.0
	v_div_scale_f64 v[23:24], vcc, 1.0, v[11:12], 1.0
	v_rcp_f64_e32 v[17:18], v[13:14]
	v_fma_f64 v[21:22], -v[13:14], v[17:18], 1.0
	v_fma_f64 v[17:18], v[17:18], v[21:22], v[17:18]
	v_fma_f64 v[21:22], -v[13:14], v[17:18], 1.0
	v_fma_f64 v[17:18], v[17:18], v[21:22], v[17:18]
	v_mul_f64 v[21:22], v[23:24], v[17:18]
	v_fma_f64 v[13:14], -v[13:14], v[21:22], v[23:24]
	v_div_fmas_f64 v[13:14], v[13:14], v[17:18], v[21:22]
	v_div_fixup_f64 v[17:18], v[13:14], v[11:12], 1.0
                                        ; implicit-def: $vgpr11_vgpr12
	v_mul_f64 v[15:16], v[15:16], v[17:18]
	v_xor_b32_e32 v18, 0x80000000, v18
.LBB76_46:
	s_andn2_saveexec_b64 s[10:11], s[10:11]
	s_cbranch_execz .LBB76_48
; %bb.47:
	v_div_scale_f64 v[15:16], s[12:13], v[11:12], v[11:12], v[13:14]
	v_rcp_f64_e32 v[17:18], v[15:16]
	v_fma_f64 v[21:22], -v[15:16], v[17:18], 1.0
	v_fma_f64 v[17:18], v[17:18], v[21:22], v[17:18]
	v_div_scale_f64 v[21:22], vcc, v[13:14], v[11:12], v[13:14]
	v_fma_f64 v[23:24], -v[15:16], v[17:18], 1.0
	v_fma_f64 v[17:18], v[17:18], v[23:24], v[17:18]
	v_mul_f64 v[23:24], v[21:22], v[17:18]
	v_fma_f64 v[15:16], -v[15:16], v[23:24], v[21:22]
	v_div_fmas_f64 v[15:16], v[15:16], v[17:18], v[23:24]
	v_div_fixup_f64 v[17:18], v[15:16], v[11:12], v[13:14]
	v_fma_f64 v[11:12], v[13:14], v[17:18], v[11:12]
	v_div_scale_f64 v[13:14], s[12:13], v[11:12], v[11:12], 1.0
	v_div_scale_f64 v[23:24], vcc, 1.0, v[11:12], 1.0
	v_rcp_f64_e32 v[15:16], v[13:14]
	v_fma_f64 v[21:22], -v[13:14], v[15:16], 1.0
	v_fma_f64 v[15:16], v[15:16], v[21:22], v[15:16]
	v_fma_f64 v[21:22], -v[13:14], v[15:16], 1.0
	v_fma_f64 v[15:16], v[15:16], v[21:22], v[15:16]
	v_mul_f64 v[21:22], v[23:24], v[15:16]
	v_fma_f64 v[13:14], -v[13:14], v[21:22], v[23:24]
	v_div_fmas_f64 v[13:14], v[13:14], v[15:16], v[21:22]
	v_div_fixup_f64 v[15:16], v[13:14], v[11:12], 1.0
	v_mul_f64 v[17:18], v[17:18], -v[15:16]
.LBB76_48:
	s_or_b64 exec, exec, s[10:11]
	v_lshlrev_b32_e32 v11, 4, v1
	ds_write_b128 v11, v[15:18]
.LBB76_49:
	s_or_b64 exec, exec, s[8:9]
                                        ; implicit-def: $vgpr11_vgpr12
.LBB76_50:
	s_andn2_saveexec_b64 s[2:3], s[2:3]
	s_cbranch_execz .LBB76_52
; %bb.51:
	v_lshlrev_b64 v[11:12], 4, v[11:12]
	v_mov_b32_e32 v13, s89
	v_add_co_u32_e32 v11, vcc, s88, v11
	v_addc_co_u32_e32 v12, vcc, v13, v12, vcc
	global_load_dwordx4 v[11:14], v[11:12], off
	v_lshlrev_b32_e32 v15, 4, v1
	s_waitcnt vmcnt(0)
	v_xor_b32_e32 v12, 0x80000000, v12
	v_xor_b32_e32 v14, 0x80000000, v14
	ds_write_b128 v15, v[11:14]
.LBB76_52:
	s_or_b64 exec, exec, s[2:3]
	v_add_u32_e32 v13, 16, v2
	v_mad_u64_u32 v[11:12], s[2:3], s16, v13, v[19:20]
	v_cmp_gt_u32_e32 vcc, v13, v0
	v_lshl_add_u32 v19, v13, 5, v0
	v_mad_u64_u32 v[14:15], s[2:3], s17, v13, v[12:13]
	v_cmp_gt_i32_e64 s[2:3], s87, v13
	s_and_b64 s[2:3], vcc, s[2:3]
	s_and_b64 s[2:3], s[0:1], s[2:3]
	v_mov_b32_e32 v12, v14
	s_xor_b64 s[2:3], s[2:3], -1
	s_and_saveexec_b64 s[8:9], s[2:3]
	s_xor_b64 s[2:3], exec, s[8:9]
	s_cbranch_execz .LBB76_64
; %bb.53:
	v_cmp_ne_u32_e32 vcc, v0, v13
	s_xor_b64 s[0:1], s[0:1], -1
	s_or_b64 s[0:1], s[0:1], vcc
	s_and_saveexec_b64 s[8:9], s[0:1]
	s_xor_b64 s[0:1], exec, s[8:9]
	s_cbranch_execz .LBB76_57
; %bb.54:
	v_or_b32_e32 v11, v13, v0
	v_cmp_gt_u32_e32 vcc, 32, v11
	s_and_saveexec_b64 s[8:9], vcc
	s_cbranch_execz .LBB76_56
; %bb.55:
	v_mov_b32_e32 v11, 0
	v_lshlrev_b32_e32 v15, 4, v19
	v_mov_b32_e32 v12, v11
	v_mov_b32_e32 v13, v11
	;; [unrolled: 1-line block ×3, first 2 shown]
	ds_write_b128 v15, v[11:14]
.LBB76_56:
	s_or_b64 exec, exec, s[8:9]
                                        ; implicit-def: $vgpr19
                                        ; implicit-def: $vgpr11_vgpr12
.LBB76_57:
	s_andn2_saveexec_b64 s[0:1], s[0:1]
	s_cbranch_execz .LBB76_63
; %bb.58:
	v_lshlrev_b64 v[11:12], 4, v[11:12]
	v_mov_b32_e32 v13, s89
	v_add_co_u32_e32 v11, vcc, s88, v11
	v_addc_co_u32_e32 v12, vcc, v13, v12, vcc
	global_load_dwordx4 v[11:14], v[11:12], off
                                        ; implicit-def: $vgpr15_vgpr16
	s_waitcnt vmcnt(0)
	v_cmp_ngt_f64_e64 s[8:9], |v[11:12]|, |v[13:14]|
	s_and_saveexec_b64 s[10:11], s[8:9]
	s_xor_b64 s[8:9], exec, s[10:11]
	s_cbranch_execz .LBB76_60
; %bb.59:
	v_div_scale_f64 v[15:16], s[10:11], v[13:14], v[13:14], v[11:12]
	v_rcp_f64_e32 v[17:18], v[15:16]
	v_fma_f64 v[20:21], -v[15:16], v[17:18], 1.0
	v_fma_f64 v[17:18], v[17:18], v[20:21], v[17:18]
	v_div_scale_f64 v[20:21], vcc, v[11:12], v[13:14], v[11:12]
	v_fma_f64 v[22:23], -v[15:16], v[17:18], 1.0
	v_fma_f64 v[17:18], v[17:18], v[22:23], v[17:18]
	v_mul_f64 v[22:23], v[20:21], v[17:18]
	v_fma_f64 v[15:16], -v[15:16], v[22:23], v[20:21]
	v_div_fmas_f64 v[15:16], v[15:16], v[17:18], v[22:23]
	v_div_fixup_f64 v[15:16], v[15:16], v[13:14], v[11:12]
	v_fma_f64 v[11:12], v[11:12], v[15:16], v[13:14]
	v_div_scale_f64 v[13:14], s[10:11], v[11:12], v[11:12], 1.0
	v_div_scale_f64 v[22:23], vcc, 1.0, v[11:12], 1.0
	v_rcp_f64_e32 v[17:18], v[13:14]
	v_fma_f64 v[20:21], -v[13:14], v[17:18], 1.0
	v_fma_f64 v[17:18], v[17:18], v[20:21], v[17:18]
	v_fma_f64 v[20:21], -v[13:14], v[17:18], 1.0
	v_fma_f64 v[17:18], v[17:18], v[20:21], v[17:18]
	v_mul_f64 v[20:21], v[22:23], v[17:18]
	v_fma_f64 v[13:14], -v[13:14], v[20:21], v[22:23]
	v_div_fmas_f64 v[13:14], v[13:14], v[17:18], v[20:21]
	v_div_fixup_f64 v[17:18], v[13:14], v[11:12], 1.0
                                        ; implicit-def: $vgpr11_vgpr12
	v_mul_f64 v[15:16], v[15:16], v[17:18]
	v_xor_b32_e32 v18, 0x80000000, v18
.LBB76_60:
	s_andn2_saveexec_b64 s[8:9], s[8:9]
	s_cbranch_execz .LBB76_62
; %bb.61:
	v_div_scale_f64 v[15:16], s[10:11], v[11:12], v[11:12], v[13:14]
	v_rcp_f64_e32 v[17:18], v[15:16]
	v_fma_f64 v[20:21], -v[15:16], v[17:18], 1.0
	v_fma_f64 v[17:18], v[17:18], v[20:21], v[17:18]
	v_div_scale_f64 v[20:21], vcc, v[13:14], v[11:12], v[13:14]
	v_fma_f64 v[22:23], -v[15:16], v[17:18], 1.0
	v_fma_f64 v[17:18], v[17:18], v[22:23], v[17:18]
	v_mul_f64 v[22:23], v[20:21], v[17:18]
	v_fma_f64 v[15:16], -v[15:16], v[22:23], v[20:21]
	v_div_fmas_f64 v[15:16], v[15:16], v[17:18], v[22:23]
	v_div_fixup_f64 v[17:18], v[15:16], v[11:12], v[13:14]
	v_fma_f64 v[11:12], v[13:14], v[17:18], v[11:12]
	v_div_scale_f64 v[13:14], s[10:11], v[11:12], v[11:12], 1.0
	v_div_scale_f64 v[22:23], vcc, 1.0, v[11:12], 1.0
	v_rcp_f64_e32 v[15:16], v[13:14]
	v_fma_f64 v[20:21], -v[13:14], v[15:16], 1.0
	v_fma_f64 v[15:16], v[15:16], v[20:21], v[15:16]
	v_fma_f64 v[20:21], -v[13:14], v[15:16], 1.0
	v_fma_f64 v[15:16], v[15:16], v[20:21], v[15:16]
	v_mul_f64 v[20:21], v[22:23], v[15:16]
	v_fma_f64 v[13:14], -v[13:14], v[20:21], v[22:23]
	v_div_fmas_f64 v[13:14], v[13:14], v[15:16], v[20:21]
	v_div_fixup_f64 v[15:16], v[13:14], v[11:12], 1.0
	v_mul_f64 v[17:18], v[17:18], -v[15:16]
.LBB76_62:
	s_or_b64 exec, exec, s[8:9]
	v_lshlrev_b32_e32 v11, 4, v19
	ds_write_b128 v11, v[15:18]
.LBB76_63:
	s_or_b64 exec, exec, s[0:1]
                                        ; implicit-def: $vgpr11_vgpr12
                                        ; implicit-def: $vgpr19
.LBB76_64:
	s_andn2_saveexec_b64 s[0:1], s[2:3]
	s_cbranch_execz .LBB76_66
; %bb.65:
	v_lshlrev_b64 v[11:12], 4, v[11:12]
	v_mov_b32_e32 v13, s89
	v_add_co_u32_e32 v11, vcc, s88, v11
	v_addc_co_u32_e32 v12, vcc, v13, v12, vcc
	global_load_dwordx4 v[11:14], v[11:12], off
	v_lshlrev_b32_e32 v15, 4, v19
	s_waitcnt vmcnt(0)
	v_xor_b32_e32 v12, 0x80000000, v12
	v_xor_b32_e32 v14, 0x80000000, v14
	ds_write_b128 v15, v[11:14]
.LBB76_66:
	s_or_b64 exec, exec, s[0:1]
.LBB76_67:
	s_cmp_lt_i32 s6, 5
	s_cselect_b64 s[0:1], -1, 0
	s_or_b64 s[20:21], s[0:1], s[18:19]
	s_and_b64 vcc, exec, s[20:21]
	s_waitcnt vmcnt(0) lgkmcnt(0)
	s_barrier
	s_cbranch_vccnz .LBB76_461
; %bb.68:
	v_or_b32_e32 v11, v0, v2
	v_cmp_eq_u32_e32 vcc, 0, v11
	s_and_saveexec_b64 s[0:1], vcc
	s_cbranch_execz .LBB76_70
; %bb.69:
	v_mov_b32_e32 v25, 0
	ds_read_b128 v[11:14], v25 offset:16368
	ds_read_b128 v[15:18], v25 offset:15840
	;; [unrolled: 1-line block ×3, first 2 shown]
	s_waitcnt lgkmcnt(1)
	v_mul_f64 v[23:24], v[11:12], v[17:18]
	v_mul_f64 v[17:18], v[13:14], v[17:18]
	v_fma_f64 v[13:14], v[13:14], v[15:16], v[23:24]
	v_fma_f64 v[11:12], v[11:12], v[15:16], -v[17:18]
	s_waitcnt lgkmcnt(0)
	v_mul_f64 v[15:16], v[13:14], v[21:22]
	v_mul_f64 v[17:18], v[11:12], v[21:22]
	v_fma_f64 v[11:12], v[19:20], v[11:12], -v[15:16]
	v_fma_f64 v[13:14], v[19:20], v[13:14], v[17:18]
	ds_write_b128 v25, v[11:14] offset:16352
.LBB76_70:
	s_or_b64 exec, exec, s[0:1]
	v_lshlrev_b32_e32 v11, 5, v2
	v_add_u32_e32 v18, v11, v0
	v_add_u16_e32 v11, v11, v0
	v_lshrrev_b16_e32 v17, 1, v11
	v_mov_b32_e32 v11, 0
	v_mov_b32_e32 v13, 0
	v_and_b32_e32 v15, 1, v0
	v_sub_u32_e32 v16, 1, v17
	v_cmp_lt_u32_e64 s[2:3], 3, v18
	v_mov_b32_e32 v12, 0
	v_mov_b32_e32 v14, 0
	v_cmp_gt_u32_e64 s[0:1], 4, v18
	s_waitcnt lgkmcnt(0)
	s_barrier
	buffer_wbinvl1_vol
	s_and_saveexec_b64 s[10:11], s[0:1]
	s_cbranch_execz .LBB76_74
; %bb.71:
	v_lshlrev_b32_e32 v19, 4, v15
	v_lshlrev_b32_e32 v11, 9, v16
	ds_read_b128 v[11:14], v11 offset:15840
	ds_read_b128 v[19:22], v19 offset:15808
	v_cmp_gt_u32_e64 s[8:9], 2, v18
	s_waitcnt lgkmcnt(0)
	v_mul_f64 v[23:24], v[13:14], v[21:22]
	v_mul_f64 v[21:22], v[11:12], v[21:22]
	v_fma_f64 v[11:12], v[11:12], v[19:20], -v[23:24]
	v_fma_f64 v[13:14], v[13:14], v[19:20], v[21:22]
	v_add_f64 v[11:12], v[11:12], 0
	v_add_f64 v[13:14], v[13:14], 0
	s_and_saveexec_b64 s[12:13], s[8:9]
	s_cbranch_execz .LBB76_73
; %bb.72:
	v_lshlrev_b32_e32 v23, 4, v0
	v_mov_b32_e32 v19, 0
	ds_read_b128 v[19:22], v19 offset:16368
	ds_read_b128 v[23:26], v23 offset:16320
	s_waitcnt lgkmcnt(0)
	v_mul_f64 v[27:28], v[21:22], v[25:26]
	v_mul_f64 v[25:26], v[19:20], v[25:26]
	v_fma_f64 v[19:20], v[19:20], v[23:24], -v[27:28]
	v_fma_f64 v[21:22], v[21:22], v[23:24], v[25:26]
	v_add_f64 v[11:12], v[11:12], v[19:20]
	v_add_f64 v[13:14], v[13:14], v[21:22]
.LBB76_73:
	s_or_b64 exec, exec, s[12:13]
.LBB76_74:
	s_or_b64 exec, exec, s[10:11]
	v_mov_b32_e32 v19, 0x4000
	v_cmp_ne_u32_e64 s[8:9], 0, v15
	s_xor_b64 s[10:11], s[2:3], -1
	v_lshl_add_u32 v17, v17, 4, v19
	s_and_b64 s[40:41], s[8:9], s[10:11]
	s_and_saveexec_b64 s[2:3], s[40:41]
	s_cbranch_execz .LBB76_76
; %bb.75:
	v_mov_b32_e32 v19, 0
	ds_read_b128 v[19:22], v19 offset:15312
	s_waitcnt lgkmcnt(0)
	v_mul_f64 v[23:24], v[13:14], v[21:22]
	v_mul_f64 v[21:22], v[11:12], v[21:22]
	v_fma_f64 v[11:12], v[11:12], v[19:20], -v[23:24]
	v_fma_f64 v[13:14], v[13:14], v[19:20], v[21:22]
	v_xor_b32_e32 v20, 0x80000000, v12
	v_xor_b32_e32 v22, 0x80000000, v14
	v_mov_b32_e32 v19, v11
	v_mov_b32_e32 v21, v13
	ds_write_b128 v17, v[19:22]
.LBB76_76:
	s_or_b64 exec, exec, s[2:3]
	v_cmp_eq_u32_e64 s[2:3], 0, v15
	s_and_b64 s[38:39], s[2:3], s[10:11]
	s_waitcnt lgkmcnt(0)
	s_barrier
	s_and_saveexec_b64 s[2:3], s[38:39]
	s_cbranch_execz .LBB76_78
; %bb.77:
	v_mov_b32_e32 v23, 0
	ds_read_b128 v[19:22], v17
	ds_read_b128 v[23:26], v23 offset:15296
	s_waitcnt lgkmcnt(0)
	v_mul_f64 v[27:28], v[21:22], v[25:26]
	v_mul_f64 v[25:26], v[19:20], v[25:26]
	v_fma_f64 v[19:20], v[19:20], v[23:24], -v[27:28]
	v_fma_f64 v[21:22], v[21:22], v[23:24], v[25:26]
	v_add_f64 v[11:12], v[11:12], -v[19:20]
	v_add_f64 v[13:14], v[13:14], -v[21:22]
.LBB76_78:
	s_or_b64 exec, exec, s[2:3]
	s_barrier
	s_and_saveexec_b64 s[2:3], s[38:39]
	s_cbranch_execz .LBB76_80
; %bb.79:
	v_mov_b32_e32 v19, 0
	ds_read_b128 v[19:22], v19 offset:14784
	s_waitcnt lgkmcnt(0)
	v_mul_f64 v[23:24], v[13:14], v[21:22]
	v_mul_f64 v[21:22], v[11:12], v[21:22]
	v_fma_f64 v[11:12], v[11:12], v[19:20], -v[23:24]
	v_fma_f64 v[13:14], v[13:14], v[19:20], v[21:22]
	v_xor_b32_e32 v20, 0x80000000, v12
	v_xor_b32_e32 v22, 0x80000000, v14
	v_mov_b32_e32 v19, v11
	v_mov_b32_e32 v21, v13
	ds_write_b128 v17, v[19:22]
.LBB76_80:
	s_or_b64 exec, exec, s[2:3]
	s_waitcnt lgkmcnt(0)
	s_barrier
	s_barrier
	s_and_saveexec_b64 s[2:3], s[0:1]
; %bb.81:
	v_lshlrev_b32_e32 v19, 4, v15
	v_lshl_or_b32 v19, v16, 9, v19
	ds_write_b128 v19, v[11:14] offset:15808
; %bb.82:
	s_or_b64 exec, exec, s[2:3]
	s_waitcnt lgkmcnt(0)
	s_barrier
	s_barrier
	s_and_saveexec_b64 s[2:3], vcc
	s_cbranch_execz .LBB76_84
; %bb.83:
	v_mov_b32_e32 v29, 0
	ds_read_b128 v[11:14], v29 offset:15312
	ds_read_b128 v[19:22], v29 offset:14784
	;; [unrolled: 1-line block ×3, first 2 shown]
	s_waitcnt lgkmcnt(1)
	v_mul_f64 v[27:28], v[11:12], v[21:22]
	v_mul_f64 v[21:22], v[13:14], v[21:22]
	v_fma_f64 v[13:14], v[13:14], v[19:20], v[27:28]
	v_fma_f64 v[11:12], v[11:12], v[19:20], -v[21:22]
	s_waitcnt lgkmcnt(0)
	v_mul_f64 v[19:20], v[13:14], v[25:26]
	v_mul_f64 v[21:22], v[11:12], v[25:26]
	v_fma_f64 v[11:12], v[23:24], v[11:12], -v[19:20]
	v_fma_f64 v[13:14], v[23:24], v[13:14], v[21:22]
	ds_write_b128 v29, v[11:14] offset:15296
.LBB76_84:
	s_or_b64 exec, exec, s[2:3]
	v_lshrrev_b32_e32 v21, 2, v18
	v_mov_b32_e32 v13, 0
	v_mov_b32_e32 v11, 0
	v_and_b32_e32 v19, 3, v0
	v_sub_u32_e32 v20, 3, v21
	v_cmp_lt_u32_e64 s[8:9], 15, v18
	v_mov_b32_e32 v14, 0
	v_mov_b32_e32 v12, 0
	v_cmp_gt_u32_e64 s[2:3], 16, v18
	s_waitcnt lgkmcnt(0)
	s_barrier
	buffer_wbinvl1_vol
	s_and_saveexec_b64 s[12:13], s[2:3]
	s_cbranch_execz .LBB76_90
; %bb.85:
	v_lshlrev_b32_e32 v23, 9, v20
	v_lshlrev_b32_e32 v22, 4, v19
	ds_read_b128 v[11:14], v23 offset:14784
	ds_read_b128 v[24:27], v22 offset:14720
	v_cmp_gt_u32_e64 s[10:11], 12, v18
	s_waitcnt lgkmcnt(0)
	v_mul_f64 v[28:29], v[13:14], v[26:27]
	v_mul_f64 v[26:27], v[11:12], v[26:27]
	v_fma_f64 v[11:12], v[11:12], v[24:25], -v[28:29]
	v_fma_f64 v[13:14], v[13:14], v[24:25], v[26:27]
	v_add_f64 v[11:12], v[11:12], 0
	v_add_f64 v[13:14], v[13:14], 0
	s_and_saveexec_b64 s[14:15], s[10:11]
	s_cbranch_execnz .LBB76_520
; %bb.86:
	s_or_b64 exec, exec, s[14:15]
	v_cmp_gt_u32_e64 s[10:11], 8, v18
	s_and_saveexec_b64 s[14:15], s[10:11]
	s_cbranch_execnz .LBB76_521
.LBB76_87:
	s_or_b64 exec, exec, s[14:15]
	v_cmp_gt_u32_e64 s[10:11], 4, v18
	s_and_saveexec_b64 s[14:15], s[10:11]
	s_cbranch_execz .LBB76_89
.LBB76_88:
	v_lshlrev_b32_e32 v26, 4, v0
	v_mov_b32_e32 v22, 0
	ds_read_b128 v[22:25], v22 offset:16368
	ds_read_b128 v[26:29], v26 offset:16256
	s_waitcnt lgkmcnt(0)
	v_mul_f64 v[30:31], v[24:25], v[28:29]
	v_mul_f64 v[28:29], v[22:23], v[28:29]
	v_fma_f64 v[22:23], v[22:23], v[26:27], -v[30:31]
	v_fma_f64 v[24:25], v[24:25], v[26:27], v[28:29]
	v_add_f64 v[11:12], v[11:12], v[22:23]
	v_add_f64 v[13:14], v[13:14], v[24:25]
.LBB76_89:
	s_or_b64 exec, exec, s[14:15]
.LBB76_90:
	s_or_b64 exec, exec, s[12:13]
	v_mov_b32_e32 v22, 0x4000
	v_cmp_eq_u32_e64 s[10:11], 3, v19
	s_xor_b64 s[12:13], s[8:9], -1
	v_lshl_add_u32 v21, v21, 4, v22
	s_and_b64 s[44:45], s[10:11], s[12:13]
	s_and_saveexec_b64 s[8:9], s[44:45]
	s_cbranch_execz .LBB76_92
; %bb.91:
	v_mov_b32_e32 v22, 0
	ds_read_b128 v[22:25], v22 offset:14256
	s_waitcnt lgkmcnt(0)
	v_mul_f64 v[26:27], v[13:14], v[24:25]
	v_mul_f64 v[24:25], v[11:12], v[24:25]
	v_fma_f64 v[11:12], v[11:12], v[22:23], -v[26:27]
	v_fma_f64 v[13:14], v[13:14], v[22:23], v[24:25]
	v_xor_b32_e32 v23, 0x80000000, v12
	v_xor_b32_e32 v25, 0x80000000, v14
	v_mov_b32_e32 v22, v11
	v_mov_b32_e32 v24, v13
	ds_write_b128 v21, v[22:25]
.LBB76_92:
	s_or_b64 exec, exec, s[8:9]
	v_cmp_ne_u32_e64 s[8:9], 3, v19
	s_and_b64 s[46:47], s[8:9], s[12:13]
	s_waitcnt lgkmcnt(0)
	s_barrier
	s_and_saveexec_b64 s[8:9], s[46:47]
	s_cbranch_execz .LBB76_94
; %bb.93:
	v_lshlrev_b32_e32 v26, 4, v19
	ds_read_b128 v[22:25], v21
	ds_read_b128 v[26:29], v26 offset:14208
	s_waitcnt lgkmcnt(0)
	v_mul_f64 v[30:31], v[24:25], v[28:29]
	v_mul_f64 v[28:29], v[22:23], v[28:29]
	v_fma_f64 v[22:23], v[22:23], v[26:27], -v[30:31]
	v_fma_f64 v[24:25], v[24:25], v[26:27], v[28:29]
	v_add_f64 v[11:12], v[11:12], -v[22:23]
	v_add_f64 v[13:14], v[13:14], -v[24:25]
.LBB76_94:
	s_or_b64 exec, exec, s[8:9]
	v_cmp_eq_u32_e64 s[8:9], 2, v19
	s_and_b64 s[48:49], s[8:9], s[12:13]
	s_barrier
	s_and_saveexec_b64 s[8:9], s[48:49]
	s_cbranch_execz .LBB76_96
; %bb.95:
	v_mov_b32_e32 v22, 0
	ds_read_b128 v[22:25], v22 offset:13728
	s_waitcnt lgkmcnt(0)
	v_mul_f64 v[26:27], v[13:14], v[24:25]
	v_mul_f64 v[24:25], v[11:12], v[24:25]
	v_fma_f64 v[11:12], v[11:12], v[22:23], -v[26:27]
	v_fma_f64 v[13:14], v[13:14], v[22:23], v[24:25]
	v_xor_b32_e32 v23, 0x80000000, v12
	v_xor_b32_e32 v25, 0x80000000, v14
	v_mov_b32_e32 v22, v11
	v_mov_b32_e32 v24, v13
	ds_write_b128 v21, v[22:25]
.LBB76_96:
	s_or_b64 exec, exec, s[8:9]
	v_cmp_gt_u32_e64 s[8:9], 2, v19
	s_and_b64 s[50:51], s[8:9], s[12:13]
	s_waitcnt lgkmcnt(0)
	s_barrier
	s_and_saveexec_b64 s[8:9], s[50:51]
	s_cbranch_execz .LBB76_98
; %bb.97:
	v_lshlrev_b32_e32 v26, 4, v19
	ds_read_b128 v[22:25], v21
	ds_read_b128 v[26:29], v26 offset:13696
	s_waitcnt lgkmcnt(0)
	v_mul_f64 v[30:31], v[24:25], v[28:29]
	v_mul_f64 v[28:29], v[22:23], v[28:29]
	v_fma_f64 v[22:23], v[22:23], v[26:27], -v[30:31]
	v_fma_f64 v[24:25], v[24:25], v[26:27], v[28:29]
	v_add_f64 v[11:12], v[11:12], -v[22:23]
	v_add_f64 v[13:14], v[13:14], -v[24:25]
.LBB76_98:
	s_or_b64 exec, exec, s[8:9]
	v_cmp_eq_u32_e64 s[8:9], 1, v19
	s_and_b64 s[52:53], s[8:9], s[12:13]
	s_barrier
	s_and_saveexec_b64 s[8:9], s[52:53]
	s_cbranch_execz .LBB76_100
; %bb.99:
	v_mov_b32_e32 v22, 0
	ds_read_b128 v[22:25], v22 offset:13200
	s_waitcnt lgkmcnt(0)
	v_mul_f64 v[26:27], v[13:14], v[24:25]
	v_mul_f64 v[24:25], v[11:12], v[24:25]
	v_fma_f64 v[11:12], v[11:12], v[22:23], -v[26:27]
	v_fma_f64 v[13:14], v[13:14], v[22:23], v[24:25]
	v_xor_b32_e32 v23, 0x80000000, v12
	v_xor_b32_e32 v25, 0x80000000, v14
	v_mov_b32_e32 v22, v11
	v_mov_b32_e32 v24, v13
	ds_write_b128 v21, v[22:25]
.LBB76_100:
	s_or_b64 exec, exec, s[8:9]
	v_cmp_eq_u32_e64 s[8:9], 0, v19
	s_and_b64 s[42:43], s[8:9], s[12:13]
	s_waitcnt lgkmcnt(0)
	s_barrier
	s_and_saveexec_b64 s[8:9], s[42:43]
	s_cbranch_execz .LBB76_102
; %bb.101:
	v_mov_b32_e32 v26, 0
	ds_read_b128 v[22:25], v21
	ds_read_b128 v[26:29], v26 offset:13184
	s_waitcnt lgkmcnt(0)
	v_mul_f64 v[30:31], v[24:25], v[28:29]
	v_mul_f64 v[28:29], v[22:23], v[28:29]
	v_fma_f64 v[22:23], v[22:23], v[26:27], -v[30:31]
	v_fma_f64 v[24:25], v[24:25], v[26:27], v[28:29]
	v_add_f64 v[11:12], v[11:12], -v[22:23]
	v_add_f64 v[13:14], v[13:14], -v[24:25]
.LBB76_102:
	s_or_b64 exec, exec, s[8:9]
	s_barrier
	s_and_saveexec_b64 s[8:9], s[42:43]
	s_cbranch_execz .LBB76_104
; %bb.103:
	v_mov_b32_e32 v22, 0
	ds_read_b128 v[22:25], v22 offset:12672
	s_waitcnt lgkmcnt(0)
	v_mul_f64 v[26:27], v[13:14], v[24:25]
	v_mul_f64 v[24:25], v[11:12], v[24:25]
	v_fma_f64 v[11:12], v[11:12], v[22:23], -v[26:27]
	v_fma_f64 v[13:14], v[13:14], v[22:23], v[24:25]
	v_xor_b32_e32 v23, 0x80000000, v12
	v_xor_b32_e32 v25, 0x80000000, v14
	v_mov_b32_e32 v22, v11
	v_mov_b32_e32 v24, v13
	ds_write_b128 v21, v[22:25]
.LBB76_104:
	s_or_b64 exec, exec, s[8:9]
	s_waitcnt lgkmcnt(0)
	s_barrier
	s_barrier
	s_and_saveexec_b64 s[8:9], s[2:3]
; %bb.105:
	v_lshlrev_b32_e32 v22, 4, v19
	v_lshl_or_b32 v22, v20, 9, v22
	ds_write_b128 v22, v[11:14] offset:14720
; %bb.106:
	s_or_b64 exec, exec, s[8:9]
	s_waitcnt lgkmcnt(0)
	s_barrier
	s_barrier
	s_and_saveexec_b64 s[8:9], vcc
	s_cbranch_execz .LBB76_108
; %bb.107:
	v_mov_b32_e32 v32, 0
	ds_read_b128 v[11:14], v32 offset:14256
	ds_read_b128 v[22:25], v32 offset:13728
	;; [unrolled: 1-line block ×3, first 2 shown]
	s_waitcnt lgkmcnt(1)
	v_mul_f64 v[30:31], v[11:12], v[24:25]
	v_mul_f64 v[24:25], v[13:14], v[24:25]
	v_fma_f64 v[13:14], v[13:14], v[22:23], v[30:31]
	v_fma_f64 v[11:12], v[11:12], v[22:23], -v[24:25]
	s_waitcnt lgkmcnt(0)
	v_mul_f64 v[22:23], v[13:14], v[28:29]
	v_mul_f64 v[24:25], v[11:12], v[28:29]
	v_fma_f64 v[11:12], v[26:27], v[11:12], -v[22:23]
	v_fma_f64 v[13:14], v[26:27], v[13:14], v[24:25]
	ds_write_b128 v32, v[11:14] offset:14240
.LBB76_108:
	s_or_b64 exec, exec, s[8:9]
	v_mov_b32_e32 v11, 0
	v_mov_b32_e32 v13, 0
	;; [unrolled: 1-line block ×4, first 2 shown]
	s_waitcnt lgkmcnt(0)
	s_barrier
	buffer_wbinvl1_vol
	s_and_saveexec_b64 s[10:11], s[0:1]
	s_cbranch_execz .LBB76_112
; %bb.109:
	v_lshlrev_b32_e32 v22, 4, v15
	v_lshlrev_b32_e32 v11, 9, v16
	ds_read_b128 v[11:14], v11 offset:13728
	ds_read_b128 v[22:25], v22 offset:13696
	v_cmp_gt_u32_e64 s[8:9], 2, v18
	s_waitcnt lgkmcnt(0)
	v_mul_f64 v[26:27], v[13:14], v[24:25]
	v_mul_f64 v[24:25], v[11:12], v[24:25]
	v_fma_f64 v[11:12], v[11:12], v[22:23], -v[26:27]
	v_fma_f64 v[13:14], v[13:14], v[22:23], v[24:25]
	v_add_f64 v[11:12], v[11:12], 0
	v_add_f64 v[13:14], v[13:14], 0
	s_and_saveexec_b64 s[12:13], s[8:9]
	s_cbranch_execz .LBB76_111
; %bb.110:
	v_lshlrev_b32_e32 v26, 4, v0
	v_mov_b32_e32 v22, 0
	ds_read_b128 v[22:25], v22 offset:14256
	ds_read_b128 v[26:29], v26 offset:14208
	s_waitcnt lgkmcnt(0)
	v_mul_f64 v[30:31], v[24:25], v[28:29]
	v_mul_f64 v[28:29], v[22:23], v[28:29]
	v_fma_f64 v[22:23], v[22:23], v[26:27], -v[30:31]
	v_fma_f64 v[24:25], v[24:25], v[26:27], v[28:29]
	v_add_f64 v[11:12], v[11:12], v[22:23]
	v_add_f64 v[13:14], v[13:14], v[24:25]
.LBB76_111:
	s_or_b64 exec, exec, s[12:13]
.LBB76_112:
	s_or_b64 exec, exec, s[10:11]
	s_and_saveexec_b64 s[8:9], s[40:41]
	s_cbranch_execz .LBB76_114
; %bb.113:
	v_mov_b32_e32 v22, 0
	ds_read_b128 v[22:25], v22 offset:13200
	s_waitcnt lgkmcnt(0)
	v_mul_f64 v[26:27], v[13:14], v[24:25]
	v_mul_f64 v[24:25], v[11:12], v[24:25]
	v_fma_f64 v[11:12], v[11:12], v[22:23], -v[26:27]
	v_fma_f64 v[13:14], v[13:14], v[22:23], v[24:25]
	v_xor_b32_e32 v23, 0x80000000, v12
	v_xor_b32_e32 v25, 0x80000000, v14
	v_mov_b32_e32 v22, v11
	v_mov_b32_e32 v24, v13
	ds_write_b128 v17, v[22:25]
.LBB76_114:
	s_or_b64 exec, exec, s[8:9]
	s_waitcnt lgkmcnt(0)
	s_barrier
	s_and_saveexec_b64 s[8:9], s[38:39]
	s_cbranch_execz .LBB76_116
; %bb.115:
	v_mov_b32_e32 v26, 0
	ds_read_b128 v[22:25], v17
	ds_read_b128 v[26:29], v26 offset:13184
	s_waitcnt lgkmcnt(0)
	v_mul_f64 v[30:31], v[24:25], v[28:29]
	v_mul_f64 v[28:29], v[22:23], v[28:29]
	v_fma_f64 v[22:23], v[22:23], v[26:27], -v[30:31]
	v_fma_f64 v[24:25], v[24:25], v[26:27], v[28:29]
	v_add_f64 v[11:12], v[11:12], -v[22:23]
	v_add_f64 v[13:14], v[13:14], -v[24:25]
.LBB76_116:
	s_or_b64 exec, exec, s[8:9]
	s_barrier
	s_and_saveexec_b64 s[8:9], s[38:39]
	s_cbranch_execz .LBB76_118
; %bb.117:
	v_mov_b32_e32 v22, 0
	ds_read_b128 v[22:25], v22 offset:12672
	s_waitcnt lgkmcnt(0)
	v_mul_f64 v[26:27], v[13:14], v[24:25]
	v_mul_f64 v[24:25], v[11:12], v[24:25]
	v_fma_f64 v[11:12], v[11:12], v[22:23], -v[26:27]
	v_fma_f64 v[13:14], v[13:14], v[22:23], v[24:25]
	v_xor_b32_e32 v23, 0x80000000, v12
	v_xor_b32_e32 v25, 0x80000000, v14
	v_mov_b32_e32 v22, v11
	v_mov_b32_e32 v24, v13
	ds_write_b128 v17, v[22:25]
.LBB76_118:
	s_or_b64 exec, exec, s[8:9]
	s_waitcnt lgkmcnt(0)
	s_barrier
	s_barrier
	s_and_saveexec_b64 s[8:9], s[0:1]
; %bb.119:
	v_lshlrev_b32_e32 v22, 4, v15
	v_lshl_or_b32 v22, v16, 9, v22
	ds_write_b128 v22, v[11:14] offset:13696
; %bb.120:
	s_or_b64 exec, exec, s[8:9]
	s_waitcnt lgkmcnt(0)
	s_barrier
	s_barrier
	s_and_saveexec_b64 s[8:9], vcc
	s_cbranch_execz .LBB76_122
; %bb.121:
	v_mov_b32_e32 v32, 0
	ds_read_b128 v[11:14], v32 offset:13200
	ds_read_b128 v[22:25], v32 offset:12672
	;; [unrolled: 1-line block ×3, first 2 shown]
	s_waitcnt lgkmcnt(1)
	v_mul_f64 v[30:31], v[11:12], v[24:25]
	v_mul_f64 v[24:25], v[13:14], v[24:25]
	v_fma_f64 v[13:14], v[13:14], v[22:23], v[30:31]
	v_fma_f64 v[11:12], v[11:12], v[22:23], -v[24:25]
	s_waitcnt lgkmcnt(0)
	v_mul_f64 v[22:23], v[13:14], v[28:29]
	v_mul_f64 v[24:25], v[11:12], v[28:29]
	v_fma_f64 v[11:12], v[26:27], v[11:12], -v[22:23]
	v_fma_f64 v[13:14], v[26:27], v[13:14], v[24:25]
	ds_write_b128 v32, v[11:14] offset:13184
.LBB76_122:
	s_or_b64 exec, exec, s[8:9]
	v_lshrrev_b32_e32 v24, 3, v18
	v_mov_b32_e32 v13, 0
	v_mov_b32_e32 v11, 0
	v_and_b32_e32 v22, 7, v0
	v_sub_u32_e32 v23, 7, v24
	v_cmp_lt_u32_e64 s[8:9], 63, v18
	v_mov_b32_e32 v14, 0
	v_mov_b32_e32 v12, 0
	v_cmp_gt_u32_e64 s[12:13], 64, v18
	s_waitcnt lgkmcnt(0)
	s_barrier
	buffer_wbinvl1_vol
	s_and_saveexec_b64 s[14:15], s[12:13]
	s_cbranch_execz .LBB76_132
; %bb.123:
	v_lshlrev_b32_e32 v26, 9, v23
	v_lshlrev_b32_e32 v25, 4, v22
	ds_read_b128 v[11:14], v26 offset:12672
	ds_read_b128 v[27:30], v25 offset:12544
	v_cmp_gt_u32_e64 s[10:11], 56, v18
	s_waitcnt lgkmcnt(0)
	v_mul_f64 v[31:32], v[13:14], v[29:30]
	v_mul_f64 v[29:30], v[11:12], v[29:30]
	v_fma_f64 v[11:12], v[11:12], v[27:28], -v[31:32]
	v_fma_f64 v[13:14], v[13:14], v[27:28], v[29:30]
	v_add_f64 v[11:12], v[11:12], 0
	v_add_f64 v[13:14], v[13:14], 0
	s_and_saveexec_b64 s[54:55], s[10:11]
	s_cbranch_execnz .LBB76_522
; %bb.124:
	s_or_b64 exec, exec, s[54:55]
	v_cmp_gt_u32_e64 s[10:11], 48, v18
	s_and_saveexec_b64 s[54:55], s[10:11]
	s_cbranch_execnz .LBB76_523
.LBB76_125:
	s_or_b64 exec, exec, s[54:55]
	v_cmp_gt_u32_e64 s[10:11], 40, v18
	s_and_saveexec_b64 s[54:55], s[10:11]
	s_cbranch_execnz .LBB76_524
.LBB76_126:
	s_or_b64 exec, exec, s[54:55]
	v_cmp_gt_u32_e64 s[10:11], 32, v18
	s_and_saveexec_b64 s[54:55], s[10:11]
	s_cbranch_execnz .LBB76_525
.LBB76_127:
	s_or_b64 exec, exec, s[54:55]
	v_cmp_gt_u32_e64 s[10:11], 24, v18
	s_and_saveexec_b64 s[54:55], s[10:11]
	s_cbranch_execnz .LBB76_526
.LBB76_128:
	s_or_b64 exec, exec, s[54:55]
	s_and_saveexec_b64 s[10:11], s[2:3]
	s_cbranch_execnz .LBB76_527
.LBB76_129:
	s_or_b64 exec, exec, s[10:11]
	v_cmp_gt_u32_e64 s[10:11], 8, v18
	s_and_saveexec_b64 s[54:55], s[10:11]
	s_cbranch_execz .LBB76_131
.LBB76_130:
	v_lshlrev_b32_e32 v29, 4, v0
	v_mov_b32_e32 v25, 0
	ds_read_b128 v[25:28], v25 offset:16368
	ds_read_b128 v[29:32], v29 offset:16128
	s_waitcnt lgkmcnt(0)
	v_mul_f64 v[33:34], v[27:28], v[31:32]
	v_mul_f64 v[31:32], v[25:26], v[31:32]
	v_fma_f64 v[25:26], v[25:26], v[29:30], -v[33:34]
	v_fma_f64 v[27:28], v[27:28], v[29:30], v[31:32]
	v_add_f64 v[11:12], v[11:12], v[25:26]
	v_add_f64 v[13:14], v[13:14], v[27:28]
.LBB76_131:
	s_or_b64 exec, exec, s[54:55]
.LBB76_132:
	s_or_b64 exec, exec, s[14:15]
	v_mov_b32_e32 v25, 0x4000
	v_cmp_eq_u32_e64 s[10:11], 7, v22
	s_xor_b64 s[14:15], s[8:9], -1
	v_lshl_add_u32 v24, v24, 4, v25
	s_and_b64 s[56:57], s[10:11], s[14:15]
	s_and_saveexec_b64 s[8:9], s[56:57]
	s_cbranch_execz .LBB76_134
; %bb.133:
	v_mov_b32_e32 v25, 0
	ds_read_b128 v[25:28], v25 offset:12144
	s_waitcnt lgkmcnt(0)
	v_mul_f64 v[29:30], v[13:14], v[27:28]
	v_mul_f64 v[27:28], v[11:12], v[27:28]
	v_fma_f64 v[11:12], v[11:12], v[25:26], -v[29:30]
	v_fma_f64 v[13:14], v[13:14], v[25:26], v[27:28]
	v_xor_b32_e32 v26, 0x80000000, v12
	v_xor_b32_e32 v28, 0x80000000, v14
	v_mov_b32_e32 v25, v11
	v_mov_b32_e32 v27, v13
	ds_write_b128 v24, v[25:28]
.LBB76_134:
	s_or_b64 exec, exec, s[8:9]
	v_cmp_ne_u32_e64 s[8:9], 7, v22
	s_and_b64 s[58:59], s[8:9], s[14:15]
	s_waitcnt lgkmcnt(0)
	s_barrier
	s_and_saveexec_b64 s[8:9], s[58:59]
	s_cbranch_execz .LBB76_136
; %bb.135:
	v_lshlrev_b32_e32 v29, 4, v22
	ds_read_b128 v[25:28], v24
	ds_read_b128 v[29:32], v29 offset:12032
	s_waitcnt lgkmcnt(0)
	v_mul_f64 v[33:34], v[27:28], v[31:32]
	v_mul_f64 v[31:32], v[25:26], v[31:32]
	v_fma_f64 v[25:26], v[25:26], v[29:30], -v[33:34]
	v_fma_f64 v[27:28], v[27:28], v[29:30], v[31:32]
	v_add_f64 v[11:12], v[11:12], -v[25:26]
	v_add_f64 v[13:14], v[13:14], -v[27:28]
.LBB76_136:
	s_or_b64 exec, exec, s[8:9]
	v_cmp_eq_u32_e64 s[8:9], 6, v22
	s_and_b64 s[60:61], s[8:9], s[14:15]
	s_barrier
	s_and_saveexec_b64 s[8:9], s[60:61]
	s_cbranch_execz .LBB76_138
; %bb.137:
	v_mov_b32_e32 v25, 0
	ds_read_b128 v[25:28], v25 offset:11616
	s_waitcnt lgkmcnt(0)
	v_mul_f64 v[29:30], v[13:14], v[27:28]
	v_mul_f64 v[27:28], v[11:12], v[27:28]
	v_fma_f64 v[11:12], v[11:12], v[25:26], -v[29:30]
	v_fma_f64 v[13:14], v[13:14], v[25:26], v[27:28]
	v_xor_b32_e32 v26, 0x80000000, v12
	v_xor_b32_e32 v28, 0x80000000, v14
	v_mov_b32_e32 v25, v11
	v_mov_b32_e32 v27, v13
	ds_write_b128 v24, v[25:28]
.LBB76_138:
	s_or_b64 exec, exec, s[8:9]
	v_cmp_gt_u32_e64 s[8:9], 6, v22
	s_and_b64 s[62:63], s[8:9], s[14:15]
	s_waitcnt lgkmcnt(0)
	s_barrier
	s_and_saveexec_b64 s[8:9], s[62:63]
	s_cbranch_execz .LBB76_140
; %bb.139:
	v_lshlrev_b32_e32 v29, 4, v22
	ds_read_b128 v[25:28], v24
	ds_read_b128 v[29:32], v29 offset:11520
	s_waitcnt lgkmcnt(0)
	v_mul_f64 v[33:34], v[27:28], v[31:32]
	v_mul_f64 v[31:32], v[25:26], v[31:32]
	v_fma_f64 v[25:26], v[25:26], v[29:30], -v[33:34]
	v_fma_f64 v[27:28], v[27:28], v[29:30], v[31:32]
	v_add_f64 v[11:12], v[11:12], -v[25:26]
	v_add_f64 v[13:14], v[13:14], -v[27:28]
.LBB76_140:
	s_or_b64 exec, exec, s[8:9]
	v_cmp_eq_u32_e64 s[8:9], 5, v22
	s_and_b64 s[64:65], s[8:9], s[14:15]
	s_barrier
	s_and_saveexec_b64 s[8:9], s[64:65]
	s_cbranch_execz .LBB76_142
; %bb.141:
	v_mov_b32_e32 v25, 0
	ds_read_b128 v[25:28], v25 offset:11088
	s_waitcnt lgkmcnt(0)
	v_mul_f64 v[29:30], v[13:14], v[27:28]
	v_mul_f64 v[27:28], v[11:12], v[27:28]
	v_fma_f64 v[11:12], v[11:12], v[25:26], -v[29:30]
	v_fma_f64 v[13:14], v[13:14], v[25:26], v[27:28]
	v_xor_b32_e32 v26, 0x80000000, v12
	v_xor_b32_e32 v28, 0x80000000, v14
	v_mov_b32_e32 v25, v11
	v_mov_b32_e32 v27, v13
	ds_write_b128 v24, v[25:28]
.LBB76_142:
	s_or_b64 exec, exec, s[8:9]
	v_cmp_gt_u32_e64 s[8:9], 5, v22
	;; [unrolled: 39-line block ×5, first 2 shown]
	s_and_b64 s[78:79], s[8:9], s[14:15]
	s_waitcnt lgkmcnt(0)
	s_barrier
	s_and_saveexec_b64 s[8:9], s[78:79]
	s_cbranch_execz .LBB76_156
; %bb.155:
	v_lshlrev_b32_e32 v29, 4, v22
	ds_read_b128 v[25:28], v24
	ds_read_b128 v[29:32], v29 offset:9472
	s_waitcnt lgkmcnt(0)
	v_mul_f64 v[33:34], v[27:28], v[31:32]
	v_mul_f64 v[31:32], v[25:26], v[31:32]
	v_fma_f64 v[25:26], v[25:26], v[29:30], -v[33:34]
	v_fma_f64 v[27:28], v[27:28], v[29:30], v[31:32]
	v_add_f64 v[11:12], v[11:12], -v[25:26]
	v_add_f64 v[13:14], v[13:14], -v[27:28]
.LBB76_156:
	s_or_b64 exec, exec, s[8:9]
	v_cmp_eq_u32_e64 s[8:9], 1, v22
	s_and_b64 s[80:81], s[8:9], s[14:15]
	s_barrier
	s_and_saveexec_b64 s[8:9], s[80:81]
	s_cbranch_execz .LBB76_158
; %bb.157:
	v_mov_b32_e32 v25, 0
	ds_read_b128 v[25:28], v25 offset:8976
	s_waitcnt lgkmcnt(0)
	v_mul_f64 v[29:30], v[13:14], v[27:28]
	v_mul_f64 v[27:28], v[11:12], v[27:28]
	v_fma_f64 v[11:12], v[11:12], v[25:26], -v[29:30]
	v_fma_f64 v[13:14], v[13:14], v[25:26], v[27:28]
	v_xor_b32_e32 v26, 0x80000000, v12
	v_xor_b32_e32 v28, 0x80000000, v14
	v_mov_b32_e32 v25, v11
	v_mov_b32_e32 v27, v13
	ds_write_b128 v24, v[25:28]
.LBB76_158:
	s_or_b64 exec, exec, s[8:9]
	v_cmp_eq_u32_e64 s[8:9], 0, v22
	s_and_b64 s[54:55], s[8:9], s[14:15]
	s_waitcnt lgkmcnt(0)
	s_barrier
	s_and_saveexec_b64 s[8:9], s[54:55]
	s_cbranch_execz .LBB76_160
; %bb.159:
	v_mov_b32_e32 v29, 0
	ds_read_b128 v[25:28], v24
	ds_read_b128 v[29:32], v29 offset:8960
	s_waitcnt lgkmcnt(0)
	v_mul_f64 v[33:34], v[27:28], v[31:32]
	v_mul_f64 v[31:32], v[25:26], v[31:32]
	v_fma_f64 v[25:26], v[25:26], v[29:30], -v[33:34]
	v_fma_f64 v[27:28], v[27:28], v[29:30], v[31:32]
	v_add_f64 v[11:12], v[11:12], -v[25:26]
	v_add_f64 v[13:14], v[13:14], -v[27:28]
.LBB76_160:
	s_or_b64 exec, exec, s[8:9]
	s_barrier
	s_and_saveexec_b64 s[8:9], s[54:55]
	s_cbranch_execz .LBB76_162
; %bb.161:
	v_mov_b32_e32 v25, 0
	ds_read_b128 v[25:28], v25 offset:8448
	s_waitcnt lgkmcnt(0)
	v_mul_f64 v[29:30], v[13:14], v[27:28]
	v_mul_f64 v[27:28], v[11:12], v[27:28]
	v_fma_f64 v[11:12], v[11:12], v[25:26], -v[29:30]
	v_fma_f64 v[13:14], v[13:14], v[25:26], v[27:28]
	v_xor_b32_e32 v26, 0x80000000, v12
	v_xor_b32_e32 v28, 0x80000000, v14
	v_mov_b32_e32 v25, v11
	v_mov_b32_e32 v27, v13
	ds_write_b128 v24, v[25:28]
.LBB76_162:
	s_or_b64 exec, exec, s[8:9]
	s_waitcnt lgkmcnt(0)
	s_barrier
	s_barrier
	s_and_saveexec_b64 s[8:9], s[12:13]
; %bb.163:
	v_lshlrev_b32_e32 v25, 4, v22
	v_lshl_or_b32 v25, v23, 9, v25
	ds_write_b128 v25, v[11:14] offset:12544
; %bb.164:
	s_or_b64 exec, exec, s[8:9]
	s_waitcnt lgkmcnt(0)
	s_barrier
	s_barrier
	s_and_saveexec_b64 s[8:9], vcc
	s_cbranch_execz .LBB76_166
; %bb.165:
	v_mov_b32_e32 v35, 0
	ds_read_b128 v[11:14], v35 offset:12144
	ds_read_b128 v[25:28], v35 offset:11616
	;; [unrolled: 1-line block ×3, first 2 shown]
	s_waitcnt lgkmcnt(1)
	v_mul_f64 v[33:34], v[11:12], v[27:28]
	v_mul_f64 v[27:28], v[13:14], v[27:28]
	v_fma_f64 v[13:14], v[13:14], v[25:26], v[33:34]
	v_fma_f64 v[11:12], v[11:12], v[25:26], -v[27:28]
	s_waitcnt lgkmcnt(0)
	v_mul_f64 v[25:26], v[13:14], v[31:32]
	v_mul_f64 v[27:28], v[11:12], v[31:32]
	v_fma_f64 v[11:12], v[29:30], v[11:12], -v[25:26]
	v_fma_f64 v[13:14], v[29:30], v[13:14], v[27:28]
	ds_write_b128 v35, v[11:14] offset:12128
.LBB76_166:
	s_or_b64 exec, exec, s[8:9]
	v_mov_b32_e32 v11, 0
	v_mov_b32_e32 v13, 0
	;; [unrolled: 1-line block ×4, first 2 shown]
	s_waitcnt lgkmcnt(0)
	s_barrier
	buffer_wbinvl1_vol
	s_and_saveexec_b64 s[10:11], s[0:1]
	s_cbranch_execz .LBB76_170
; %bb.167:
	v_lshlrev_b32_e32 v25, 4, v15
	v_lshlrev_b32_e32 v11, 9, v16
	ds_read_b128 v[11:14], v11 offset:11616
	ds_read_b128 v[25:28], v25 offset:11584
	v_cmp_gt_u32_e64 s[8:9], 2, v18
	s_waitcnt lgkmcnt(0)
	v_mul_f64 v[29:30], v[13:14], v[27:28]
	v_mul_f64 v[27:28], v[11:12], v[27:28]
	v_fma_f64 v[11:12], v[11:12], v[25:26], -v[29:30]
	v_fma_f64 v[13:14], v[13:14], v[25:26], v[27:28]
	v_add_f64 v[11:12], v[11:12], 0
	v_add_f64 v[13:14], v[13:14], 0
	s_and_saveexec_b64 s[14:15], s[8:9]
	s_cbranch_execz .LBB76_169
; %bb.168:
	v_lshlrev_b32_e32 v29, 4, v0
	v_mov_b32_e32 v25, 0
	ds_read_b128 v[25:28], v25 offset:12144
	ds_read_b128 v[29:32], v29 offset:12096
	s_waitcnt lgkmcnt(0)
	v_mul_f64 v[33:34], v[27:28], v[31:32]
	v_mul_f64 v[31:32], v[25:26], v[31:32]
	v_fma_f64 v[25:26], v[25:26], v[29:30], -v[33:34]
	v_fma_f64 v[27:28], v[27:28], v[29:30], v[31:32]
	v_add_f64 v[11:12], v[11:12], v[25:26]
	v_add_f64 v[13:14], v[13:14], v[27:28]
.LBB76_169:
	s_or_b64 exec, exec, s[14:15]
.LBB76_170:
	s_or_b64 exec, exec, s[10:11]
	s_and_saveexec_b64 s[8:9], s[40:41]
	s_cbranch_execz .LBB76_172
; %bb.171:
	v_mov_b32_e32 v25, 0
	ds_read_b128 v[25:28], v25 offset:11088
	s_waitcnt lgkmcnt(0)
	v_mul_f64 v[29:30], v[13:14], v[27:28]
	v_mul_f64 v[27:28], v[11:12], v[27:28]
	v_fma_f64 v[11:12], v[11:12], v[25:26], -v[29:30]
	v_fma_f64 v[13:14], v[13:14], v[25:26], v[27:28]
	v_xor_b32_e32 v26, 0x80000000, v12
	v_xor_b32_e32 v28, 0x80000000, v14
	v_mov_b32_e32 v25, v11
	v_mov_b32_e32 v27, v13
	ds_write_b128 v17, v[25:28]
.LBB76_172:
	s_or_b64 exec, exec, s[8:9]
	s_waitcnt lgkmcnt(0)
	s_barrier
	s_and_saveexec_b64 s[8:9], s[38:39]
	s_cbranch_execz .LBB76_174
; %bb.173:
	v_mov_b32_e32 v29, 0
	ds_read_b128 v[25:28], v17
	ds_read_b128 v[29:32], v29 offset:11072
	s_waitcnt lgkmcnt(0)
	v_mul_f64 v[33:34], v[27:28], v[31:32]
	v_mul_f64 v[31:32], v[25:26], v[31:32]
	v_fma_f64 v[25:26], v[25:26], v[29:30], -v[33:34]
	v_fma_f64 v[27:28], v[27:28], v[29:30], v[31:32]
	v_add_f64 v[11:12], v[11:12], -v[25:26]
	v_add_f64 v[13:14], v[13:14], -v[27:28]
.LBB76_174:
	s_or_b64 exec, exec, s[8:9]
	s_barrier
	s_and_saveexec_b64 s[8:9], s[38:39]
	s_cbranch_execz .LBB76_176
; %bb.175:
	v_mov_b32_e32 v25, 0
	ds_read_b128 v[25:28], v25 offset:10560
	s_waitcnt lgkmcnt(0)
	v_mul_f64 v[29:30], v[13:14], v[27:28]
	v_mul_f64 v[27:28], v[11:12], v[27:28]
	v_fma_f64 v[11:12], v[11:12], v[25:26], -v[29:30]
	v_fma_f64 v[13:14], v[13:14], v[25:26], v[27:28]
	v_xor_b32_e32 v26, 0x80000000, v12
	v_xor_b32_e32 v28, 0x80000000, v14
	v_mov_b32_e32 v25, v11
	v_mov_b32_e32 v27, v13
	ds_write_b128 v17, v[25:28]
.LBB76_176:
	s_or_b64 exec, exec, s[8:9]
	s_waitcnt lgkmcnt(0)
	s_barrier
	s_barrier
	s_and_saveexec_b64 s[8:9], s[0:1]
; %bb.177:
	v_lshlrev_b32_e32 v25, 4, v15
	v_lshl_or_b32 v25, v16, 9, v25
	ds_write_b128 v25, v[11:14] offset:11584
; %bb.178:
	s_or_b64 exec, exec, s[8:9]
	s_waitcnt lgkmcnt(0)
	s_barrier
	s_barrier
	s_and_saveexec_b64 s[8:9], vcc
	s_cbranch_execz .LBB76_180
; %bb.179:
	v_mov_b32_e32 v35, 0
	ds_read_b128 v[11:14], v35 offset:11088
	ds_read_b128 v[25:28], v35 offset:10560
	;; [unrolled: 1-line block ×3, first 2 shown]
	s_waitcnt lgkmcnt(1)
	v_mul_f64 v[33:34], v[11:12], v[27:28]
	v_mul_f64 v[27:28], v[13:14], v[27:28]
	v_fma_f64 v[13:14], v[13:14], v[25:26], v[33:34]
	v_fma_f64 v[11:12], v[11:12], v[25:26], -v[27:28]
	s_waitcnt lgkmcnt(0)
	v_mul_f64 v[25:26], v[13:14], v[31:32]
	v_mul_f64 v[27:28], v[11:12], v[31:32]
	v_fma_f64 v[11:12], v[29:30], v[11:12], -v[25:26]
	v_fma_f64 v[13:14], v[29:30], v[13:14], v[27:28]
	ds_write_b128 v35, v[11:14] offset:11072
.LBB76_180:
	s_or_b64 exec, exec, s[8:9]
	v_mov_b32_e32 v13, 0
	v_mov_b32_e32 v11, 0
	;; [unrolled: 1-line block ×4, first 2 shown]
	s_waitcnt lgkmcnt(0)
	s_barrier
	buffer_wbinvl1_vol
	s_and_saveexec_b64 s[10:11], s[2:3]
	s_cbranch_execz .LBB76_186
; %bb.181:
	v_lshlrev_b32_e32 v26, 9, v20
	v_lshlrev_b32_e32 v25, 4, v19
	ds_read_b128 v[11:14], v26 offset:10560
	ds_read_b128 v[27:30], v25 offset:10496
	v_cmp_gt_u32_e64 s[8:9], 12, v18
	s_waitcnt lgkmcnt(0)
	v_mul_f64 v[31:32], v[13:14], v[29:30]
	v_mul_f64 v[29:30], v[11:12], v[29:30]
	v_fma_f64 v[11:12], v[11:12], v[27:28], -v[31:32]
	v_fma_f64 v[13:14], v[13:14], v[27:28], v[29:30]
	v_add_f64 v[11:12], v[11:12], 0
	v_add_f64 v[13:14], v[13:14], 0
	s_and_saveexec_b64 s[14:15], s[8:9]
	s_cbranch_execnz .LBB76_528
; %bb.182:
	s_or_b64 exec, exec, s[14:15]
	v_cmp_gt_u32_e64 s[8:9], 8, v18
	s_and_saveexec_b64 s[14:15], s[8:9]
	s_cbranch_execnz .LBB76_529
.LBB76_183:
	s_or_b64 exec, exec, s[14:15]
	v_cmp_gt_u32_e64 s[8:9], 4, v18
	s_and_saveexec_b64 s[14:15], s[8:9]
	s_cbranch_execz .LBB76_185
.LBB76_184:
	v_lshlrev_b32_e32 v29, 4, v0
	v_mov_b32_e32 v25, 0
	ds_read_b128 v[25:28], v25 offset:12144
	ds_read_b128 v[29:32], v29 offset:12032
	s_waitcnt lgkmcnt(0)
	v_mul_f64 v[33:34], v[27:28], v[31:32]
	v_mul_f64 v[31:32], v[25:26], v[31:32]
	v_fma_f64 v[25:26], v[25:26], v[29:30], -v[33:34]
	v_fma_f64 v[27:28], v[27:28], v[29:30], v[31:32]
	v_add_f64 v[11:12], v[11:12], v[25:26]
	v_add_f64 v[13:14], v[13:14], v[27:28]
.LBB76_185:
	s_or_b64 exec, exec, s[14:15]
.LBB76_186:
	s_or_b64 exec, exec, s[10:11]
	s_and_saveexec_b64 s[8:9], s[44:45]
	s_cbranch_execz .LBB76_188
; %bb.187:
	v_mov_b32_e32 v25, 0
	ds_read_b128 v[25:28], v25 offset:10032
	s_waitcnt lgkmcnt(0)
	v_mul_f64 v[29:30], v[13:14], v[27:28]
	v_mul_f64 v[27:28], v[11:12], v[27:28]
	v_fma_f64 v[11:12], v[11:12], v[25:26], -v[29:30]
	v_fma_f64 v[13:14], v[13:14], v[25:26], v[27:28]
	v_xor_b32_e32 v26, 0x80000000, v12
	v_xor_b32_e32 v28, 0x80000000, v14
	v_mov_b32_e32 v25, v11
	v_mov_b32_e32 v27, v13
	ds_write_b128 v21, v[25:28]
.LBB76_188:
	s_or_b64 exec, exec, s[8:9]
	s_waitcnt lgkmcnt(0)
	s_barrier
	s_and_saveexec_b64 s[8:9], s[46:47]
	s_cbranch_execz .LBB76_190
; %bb.189:
	v_lshlrev_b32_e32 v29, 4, v19
	ds_read_b128 v[25:28], v21
	ds_read_b128 v[29:32], v29 offset:9984
	s_waitcnt lgkmcnt(0)
	v_mul_f64 v[33:34], v[27:28], v[31:32]
	v_mul_f64 v[31:32], v[25:26], v[31:32]
	v_fma_f64 v[25:26], v[25:26], v[29:30], -v[33:34]
	v_fma_f64 v[27:28], v[27:28], v[29:30], v[31:32]
	v_add_f64 v[11:12], v[11:12], -v[25:26]
	v_add_f64 v[13:14], v[13:14], -v[27:28]
.LBB76_190:
	s_or_b64 exec, exec, s[8:9]
	s_barrier
	s_and_saveexec_b64 s[8:9], s[48:49]
	s_cbranch_execz .LBB76_192
; %bb.191:
	v_mov_b32_e32 v25, 0
	ds_read_b128 v[25:28], v25 offset:9504
	s_waitcnt lgkmcnt(0)
	v_mul_f64 v[29:30], v[13:14], v[27:28]
	v_mul_f64 v[27:28], v[11:12], v[27:28]
	v_fma_f64 v[11:12], v[11:12], v[25:26], -v[29:30]
	v_fma_f64 v[13:14], v[13:14], v[25:26], v[27:28]
	v_xor_b32_e32 v26, 0x80000000, v12
	v_xor_b32_e32 v28, 0x80000000, v14
	v_mov_b32_e32 v25, v11
	v_mov_b32_e32 v27, v13
	ds_write_b128 v21, v[25:28]
.LBB76_192:
	s_or_b64 exec, exec, s[8:9]
	s_waitcnt lgkmcnt(0)
	s_barrier
	s_and_saveexec_b64 s[8:9], s[50:51]
	s_cbranch_execz .LBB76_194
; %bb.193:
	v_lshlrev_b32_e32 v29, 4, v19
	ds_read_b128 v[25:28], v21
	ds_read_b128 v[29:32], v29 offset:9472
	s_waitcnt lgkmcnt(0)
	v_mul_f64 v[33:34], v[27:28], v[31:32]
	v_mul_f64 v[31:32], v[25:26], v[31:32]
	v_fma_f64 v[25:26], v[25:26], v[29:30], -v[33:34]
	v_fma_f64 v[27:28], v[27:28], v[29:30], v[31:32]
	v_add_f64 v[11:12], v[11:12], -v[25:26]
	v_add_f64 v[13:14], v[13:14], -v[27:28]
.LBB76_194:
	s_or_b64 exec, exec, s[8:9]
	s_barrier
	s_and_saveexec_b64 s[8:9], s[52:53]
	s_cbranch_execz .LBB76_196
; %bb.195:
	v_mov_b32_e32 v25, 0
	ds_read_b128 v[25:28], v25 offset:8976
	s_waitcnt lgkmcnt(0)
	v_mul_f64 v[29:30], v[13:14], v[27:28]
	v_mul_f64 v[27:28], v[11:12], v[27:28]
	v_fma_f64 v[11:12], v[11:12], v[25:26], -v[29:30]
	v_fma_f64 v[13:14], v[13:14], v[25:26], v[27:28]
	v_xor_b32_e32 v26, 0x80000000, v12
	v_xor_b32_e32 v28, 0x80000000, v14
	v_mov_b32_e32 v25, v11
	v_mov_b32_e32 v27, v13
	ds_write_b128 v21, v[25:28]
.LBB76_196:
	s_or_b64 exec, exec, s[8:9]
	s_waitcnt lgkmcnt(0)
	s_barrier
	s_and_saveexec_b64 s[8:9], s[42:43]
	s_cbranch_execz .LBB76_198
; %bb.197:
	v_mov_b32_e32 v29, 0
	ds_read_b128 v[25:28], v21
	ds_read_b128 v[29:32], v29 offset:8960
	s_waitcnt lgkmcnt(0)
	v_mul_f64 v[33:34], v[27:28], v[31:32]
	v_mul_f64 v[31:32], v[25:26], v[31:32]
	v_fma_f64 v[25:26], v[25:26], v[29:30], -v[33:34]
	v_fma_f64 v[27:28], v[27:28], v[29:30], v[31:32]
	v_add_f64 v[11:12], v[11:12], -v[25:26]
	v_add_f64 v[13:14], v[13:14], -v[27:28]
.LBB76_198:
	s_or_b64 exec, exec, s[8:9]
	s_barrier
	s_and_saveexec_b64 s[8:9], s[42:43]
	s_cbranch_execz .LBB76_200
; %bb.199:
	v_mov_b32_e32 v25, 0
	ds_read_b128 v[25:28], v25 offset:8448
	s_waitcnt lgkmcnt(0)
	v_mul_f64 v[29:30], v[13:14], v[27:28]
	v_mul_f64 v[27:28], v[11:12], v[27:28]
	v_fma_f64 v[11:12], v[11:12], v[25:26], -v[29:30]
	v_fma_f64 v[13:14], v[13:14], v[25:26], v[27:28]
	v_xor_b32_e32 v26, 0x80000000, v12
	v_xor_b32_e32 v28, 0x80000000, v14
	v_mov_b32_e32 v25, v11
	v_mov_b32_e32 v27, v13
	ds_write_b128 v21, v[25:28]
.LBB76_200:
	s_or_b64 exec, exec, s[8:9]
	s_waitcnt lgkmcnt(0)
	s_barrier
	s_barrier
	s_and_saveexec_b64 s[8:9], s[2:3]
; %bb.201:
	v_lshlrev_b32_e32 v25, 4, v19
	v_lshl_or_b32 v25, v20, 9, v25
	ds_write_b128 v25, v[11:14] offset:10496
; %bb.202:
	s_or_b64 exec, exec, s[8:9]
	s_waitcnt lgkmcnt(0)
	s_barrier
	s_barrier
	s_and_saveexec_b64 s[8:9], vcc
	s_cbranch_execz .LBB76_204
; %bb.203:
	v_mov_b32_e32 v35, 0
	ds_read_b128 v[11:14], v35 offset:10032
	ds_read_b128 v[25:28], v35 offset:9504
	;; [unrolled: 1-line block ×3, first 2 shown]
	s_waitcnt lgkmcnt(1)
	v_mul_f64 v[33:34], v[11:12], v[27:28]
	v_mul_f64 v[27:28], v[13:14], v[27:28]
	v_fma_f64 v[13:14], v[13:14], v[25:26], v[33:34]
	v_fma_f64 v[11:12], v[11:12], v[25:26], -v[27:28]
	s_waitcnt lgkmcnt(0)
	v_mul_f64 v[25:26], v[13:14], v[31:32]
	v_mul_f64 v[27:28], v[11:12], v[31:32]
	v_fma_f64 v[11:12], v[29:30], v[11:12], -v[25:26]
	v_fma_f64 v[13:14], v[29:30], v[13:14], v[27:28]
	ds_write_b128 v35, v[11:14] offset:10016
.LBB76_204:
	s_or_b64 exec, exec, s[8:9]
	v_mov_b32_e32 v11, 0
	v_mov_b32_e32 v13, 0
	;; [unrolled: 1-line block ×4, first 2 shown]
	s_waitcnt lgkmcnt(0)
	s_barrier
	buffer_wbinvl1_vol
	s_and_saveexec_b64 s[10:11], s[0:1]
	s_cbranch_execz .LBB76_208
; %bb.205:
	v_lshlrev_b32_e32 v25, 4, v15
	v_lshlrev_b32_e32 v11, 9, v16
	ds_read_b128 v[11:14], v11 offset:9504
	ds_read_b128 v[25:28], v25 offset:9472
	v_cmp_gt_u32_e64 s[8:9], 2, v18
	s_waitcnt lgkmcnt(0)
	v_mul_f64 v[29:30], v[13:14], v[27:28]
	v_mul_f64 v[27:28], v[11:12], v[27:28]
	v_fma_f64 v[11:12], v[11:12], v[25:26], -v[29:30]
	v_fma_f64 v[13:14], v[13:14], v[25:26], v[27:28]
	v_add_f64 v[11:12], v[11:12], 0
	v_add_f64 v[13:14], v[13:14], 0
	s_and_saveexec_b64 s[14:15], s[8:9]
	s_cbranch_execz .LBB76_207
; %bb.206:
	v_lshlrev_b32_e32 v29, 4, v0
	v_mov_b32_e32 v25, 0
	ds_read_b128 v[25:28], v25 offset:10032
	ds_read_b128 v[29:32], v29 offset:9984
	s_waitcnt lgkmcnt(0)
	v_mul_f64 v[33:34], v[27:28], v[31:32]
	v_mul_f64 v[31:32], v[25:26], v[31:32]
	v_fma_f64 v[25:26], v[25:26], v[29:30], -v[33:34]
	v_fma_f64 v[27:28], v[27:28], v[29:30], v[31:32]
	v_add_f64 v[11:12], v[11:12], v[25:26]
	v_add_f64 v[13:14], v[13:14], v[27:28]
.LBB76_207:
	s_or_b64 exec, exec, s[14:15]
.LBB76_208:
	s_or_b64 exec, exec, s[10:11]
	s_and_saveexec_b64 s[8:9], s[40:41]
	s_cbranch_execz .LBB76_210
; %bb.209:
	v_mov_b32_e32 v25, 0
	ds_read_b128 v[25:28], v25 offset:8976
	s_waitcnt lgkmcnt(0)
	v_mul_f64 v[29:30], v[13:14], v[27:28]
	v_mul_f64 v[27:28], v[11:12], v[27:28]
	v_fma_f64 v[11:12], v[11:12], v[25:26], -v[29:30]
	v_fma_f64 v[13:14], v[13:14], v[25:26], v[27:28]
	v_xor_b32_e32 v26, 0x80000000, v12
	v_xor_b32_e32 v28, 0x80000000, v14
	v_mov_b32_e32 v25, v11
	v_mov_b32_e32 v27, v13
	ds_write_b128 v17, v[25:28]
.LBB76_210:
	s_or_b64 exec, exec, s[8:9]
	s_waitcnt lgkmcnt(0)
	s_barrier
	s_and_saveexec_b64 s[8:9], s[38:39]
	s_cbranch_execz .LBB76_212
; %bb.211:
	v_mov_b32_e32 v29, 0
	ds_read_b128 v[25:28], v17
	ds_read_b128 v[29:32], v29 offset:8960
	s_waitcnt lgkmcnt(0)
	v_mul_f64 v[33:34], v[27:28], v[31:32]
	v_mul_f64 v[31:32], v[25:26], v[31:32]
	v_fma_f64 v[25:26], v[25:26], v[29:30], -v[33:34]
	v_fma_f64 v[27:28], v[27:28], v[29:30], v[31:32]
	v_add_f64 v[11:12], v[11:12], -v[25:26]
	v_add_f64 v[13:14], v[13:14], -v[27:28]
.LBB76_212:
	s_or_b64 exec, exec, s[8:9]
	s_barrier
	s_and_saveexec_b64 s[8:9], s[38:39]
	s_cbranch_execz .LBB76_214
; %bb.213:
	v_mov_b32_e32 v25, 0
	ds_read_b128 v[25:28], v25 offset:8448
	s_waitcnt lgkmcnt(0)
	v_mul_f64 v[29:30], v[13:14], v[27:28]
	v_mul_f64 v[27:28], v[11:12], v[27:28]
	v_fma_f64 v[11:12], v[11:12], v[25:26], -v[29:30]
	v_fma_f64 v[13:14], v[13:14], v[25:26], v[27:28]
	v_xor_b32_e32 v26, 0x80000000, v12
	v_xor_b32_e32 v28, 0x80000000, v14
	v_mov_b32_e32 v25, v11
	v_mov_b32_e32 v27, v13
	ds_write_b128 v17, v[25:28]
.LBB76_214:
	s_or_b64 exec, exec, s[8:9]
	s_waitcnt lgkmcnt(0)
	s_barrier
	s_barrier
	s_and_saveexec_b64 s[8:9], s[0:1]
; %bb.215:
	v_lshlrev_b32_e32 v25, 4, v15
	v_lshl_or_b32 v25, v16, 9, v25
	ds_write_b128 v25, v[11:14] offset:9472
; %bb.216:
	s_or_b64 exec, exec, s[8:9]
	s_waitcnt lgkmcnt(0)
	s_barrier
	s_barrier
	s_and_saveexec_b64 s[8:9], vcc
	s_cbranch_execz .LBB76_218
; %bb.217:
	v_mov_b32_e32 v35, 0
	ds_read_b128 v[11:14], v35 offset:8976
	ds_read_b128 v[25:28], v35 offset:8448
	;; [unrolled: 1-line block ×3, first 2 shown]
	s_waitcnt lgkmcnt(1)
	v_mul_f64 v[33:34], v[11:12], v[27:28]
	v_mul_f64 v[27:28], v[13:14], v[27:28]
	v_fma_f64 v[13:14], v[13:14], v[25:26], v[33:34]
	v_fma_f64 v[11:12], v[11:12], v[25:26], -v[27:28]
	s_waitcnt lgkmcnt(0)
	v_mul_f64 v[25:26], v[13:14], v[31:32]
	v_mul_f64 v[27:28], v[11:12], v[31:32]
	v_fma_f64 v[11:12], v[29:30], v[11:12], -v[25:26]
	v_fma_f64 v[13:14], v[29:30], v[13:14], v[27:28]
	ds_write_b128 v35, v[11:14] offset:8960
.LBB76_218:
	s_or_b64 exec, exec, s[8:9]
	s_movk_i32 s8, 0xff
	v_lshrrev_b32_e32 v27, 4, v18
	v_cmp_lt_u32_e64 s[10:11], s8, v18
	s_movk_i32 s8, 0x100
	v_mov_b32_e32 v13, 0
	v_mov_b32_e32 v11, 0
	v_and_b32_e32 v25, 15, v0
	v_sub_u32_e32 v26, 15, v27
	v_mov_b32_e32 v14, 0
	v_mov_b32_e32 v12, 0
	v_cmp_gt_u32_e64 s[8:9], s8, v18
	s_waitcnt lgkmcnt(0)
	s_barrier
	buffer_wbinvl1_vol
	s_and_saveexec_b64 s[82:83], s[8:9]
	s_cbranch_execz .LBB76_246
; %bb.219:
	v_lshlrev_b32_e32 v29, 9, v26
	v_lshlrev_b32_e32 v28, 4, v25
	ds_read_b128 v[11:14], v29 offset:8448
	ds_read_b128 v[30:33], v28 offset:8192
	s_movk_i32 s14, 0xf0
	v_cmp_gt_u32_e64 s[14:15], s14, v18
	s_waitcnt lgkmcnt(0)
	v_mul_f64 v[34:35], v[13:14], v[32:33]
	v_mul_f64 v[32:33], v[11:12], v[32:33]
	v_fma_f64 v[11:12], v[11:12], v[30:31], -v[34:35]
	v_fma_f64 v[13:14], v[13:14], v[30:31], v[32:33]
	v_add_f64 v[11:12], v[11:12], 0
	v_add_f64 v[13:14], v[13:14], 0
	s_and_saveexec_b64 s[84:85], s[14:15]
	s_cbranch_execz .LBB76_221
; %bb.220:
	ds_read_b128 v[30:33], v29 offset:8464
	ds_read_b128 v[34:37], v28 offset:8704
	s_waitcnt lgkmcnt(0)
	v_mul_f64 v[38:39], v[32:33], v[36:37]
	v_mul_f64 v[36:37], v[30:31], v[36:37]
	v_fma_f64 v[30:31], v[30:31], v[34:35], -v[38:39]
	v_fma_f64 v[32:33], v[32:33], v[34:35], v[36:37]
	v_add_f64 v[11:12], v[11:12], v[30:31]
	v_add_f64 v[13:14], v[13:14], v[32:33]
.LBB76_221:
	s_or_b64 exec, exec, s[84:85]
	s_movk_i32 s14, 0xe0
	v_cmp_gt_u32_e64 s[14:15], s14, v18
	s_and_saveexec_b64 s[84:85], s[14:15]
	s_cbranch_execz .LBB76_223
; %bb.222:
	ds_read_b128 v[30:33], v29 offset:8480
	ds_read_b128 v[34:37], v28 offset:9216
	s_waitcnt lgkmcnt(0)
	v_mul_f64 v[38:39], v[32:33], v[36:37]
	v_mul_f64 v[36:37], v[30:31], v[36:37]
	v_fma_f64 v[30:31], v[30:31], v[34:35], -v[38:39]
	v_fma_f64 v[32:33], v[32:33], v[34:35], v[36:37]
	v_add_f64 v[11:12], v[11:12], v[30:31]
	v_add_f64 v[13:14], v[13:14], v[32:33]
.LBB76_223:
	s_or_b64 exec, exec, s[84:85]
	s_movk_i32 s14, 0xd0
	v_cmp_gt_u32_e64 s[14:15], s14, v18
	;; [unrolled: 16-line block ×10, first 2 shown]
	s_and_saveexec_b64 s[84:85], s[14:15]
	s_cbranch_execnz .LBB76_530
; %bb.240:
	s_or_b64 exec, exec, s[84:85]
	s_and_saveexec_b64 s[14:15], s[12:13]
	s_cbranch_execnz .LBB76_531
.LBB76_241:
	s_or_b64 exec, exec, s[14:15]
	v_cmp_gt_u32_e64 s[14:15], 48, v18
	s_and_saveexec_b64 s[84:85], s[14:15]
	s_cbranch_execnz .LBB76_532
.LBB76_242:
	s_or_b64 exec, exec, s[84:85]
	v_cmp_gt_u32_e64 s[14:15], 32, v18
	s_and_saveexec_b64 s[84:85], s[14:15]
	s_cbranch_execnz .LBB76_533
.LBB76_243:
	s_or_b64 exec, exec, s[84:85]
	v_cmp_gt_u32_e64 s[14:15], 16, v18
	s_and_saveexec_b64 s[84:85], s[14:15]
	s_cbranch_execz .LBB76_245
.LBB76_244:
	v_lshlrev_b32_e32 v32, 4, v0
	v_mov_b32_e32 v28, 0
	ds_read_b128 v[28:31], v28 offset:16368
	ds_read_b128 v[32:35], v32 offset:15872
	s_waitcnt lgkmcnt(0)
	v_mul_f64 v[36:37], v[30:31], v[34:35]
	v_mul_f64 v[34:35], v[28:29], v[34:35]
	v_fma_f64 v[28:29], v[28:29], v[32:33], -v[36:37]
	v_fma_f64 v[30:31], v[30:31], v[32:33], v[34:35]
	v_add_f64 v[11:12], v[11:12], v[28:29]
	v_add_f64 v[13:14], v[13:14], v[30:31]
.LBB76_245:
	s_or_b64 exec, exec, s[84:85]
.LBB76_246:
	s_or_b64 exec, exec, s[82:83]
	v_mov_b32_e32 v28, 0x4000
	v_cmp_eq_u32_e64 s[14:15], 15, v25
	s_xor_b64 s[82:83], s[10:11], -1
	v_lshl_add_u32 v27, v27, 4, v28
	s_and_b64 s[14:15], s[14:15], s[82:83]
	s_and_saveexec_b64 s[10:11], s[14:15]
	s_cbranch_execz .LBB76_248
; %bb.247:
	v_mov_b32_e32 v28, 0
	ds_read_b128 v[28:31], v28 offset:7920
	s_waitcnt lgkmcnt(0)
	v_mul_f64 v[32:33], v[13:14], v[30:31]
	v_mul_f64 v[30:31], v[11:12], v[30:31]
	v_fma_f64 v[11:12], v[11:12], v[28:29], -v[32:33]
	v_fma_f64 v[13:14], v[13:14], v[28:29], v[30:31]
	v_xor_b32_e32 v29, 0x80000000, v12
	v_xor_b32_e32 v31, 0x80000000, v14
	v_mov_b32_e32 v28, v11
	v_mov_b32_e32 v30, v13
	ds_write_b128 v27, v[28:31]
.LBB76_248:
	s_or_b64 exec, exec, s[10:11]
	v_cmp_ne_u32_e64 s[10:11], 15, v25
	s_and_b64 s[14:15], s[10:11], s[82:83]
	s_waitcnt lgkmcnt(0)
	s_barrier
	s_and_saveexec_b64 s[10:11], s[14:15]
	s_cbranch_execz .LBB76_250
; %bb.249:
	v_lshlrev_b32_e32 v32, 4, v25
	ds_read_b128 v[28:31], v27
	ds_read_b128 v[32:35], v32 offset:7680
	s_waitcnt lgkmcnt(0)
	v_mul_f64 v[36:37], v[30:31], v[34:35]
	v_mul_f64 v[34:35], v[28:29], v[34:35]
	v_fma_f64 v[28:29], v[28:29], v[32:33], -v[36:37]
	v_fma_f64 v[30:31], v[30:31], v[32:33], v[34:35]
	v_add_f64 v[11:12], v[11:12], -v[28:29]
	v_add_f64 v[13:14], v[13:14], -v[30:31]
.LBB76_250:
	s_or_b64 exec, exec, s[10:11]
	v_cmp_eq_u32_e64 s[10:11], 14, v25
	s_and_b64 s[14:15], s[10:11], s[82:83]
	s_barrier
	s_and_saveexec_b64 s[10:11], s[14:15]
	s_cbranch_execz .LBB76_252
; %bb.251:
	v_mov_b32_e32 v28, 0
	ds_read_b128 v[28:31], v28 offset:7392
	s_waitcnt lgkmcnt(0)
	v_mul_f64 v[32:33], v[13:14], v[30:31]
	v_mul_f64 v[30:31], v[11:12], v[30:31]
	v_fma_f64 v[11:12], v[11:12], v[28:29], -v[32:33]
	v_fma_f64 v[13:14], v[13:14], v[28:29], v[30:31]
	v_xor_b32_e32 v29, 0x80000000, v12
	v_xor_b32_e32 v31, 0x80000000, v14
	v_mov_b32_e32 v28, v11
	v_mov_b32_e32 v30, v13
	ds_write_b128 v27, v[28:31]
.LBB76_252:
	s_or_b64 exec, exec, s[10:11]
	v_cmp_gt_u32_e64 s[10:11], 14, v25
	s_and_b64 s[14:15], s[10:11], s[82:83]
	s_waitcnt lgkmcnt(0)
	s_barrier
	s_and_saveexec_b64 s[10:11], s[14:15]
	s_cbranch_execz .LBB76_254
; %bb.253:
	v_lshlrev_b32_e32 v32, 4, v25
	ds_read_b128 v[28:31], v27
	ds_read_b128 v[32:35], v32 offset:7168
	s_waitcnt lgkmcnt(0)
	v_mul_f64 v[36:37], v[30:31], v[34:35]
	v_mul_f64 v[34:35], v[28:29], v[34:35]
	v_fma_f64 v[28:29], v[28:29], v[32:33], -v[36:37]
	v_fma_f64 v[30:31], v[30:31], v[32:33], v[34:35]
	v_add_f64 v[11:12], v[11:12], -v[28:29]
	v_add_f64 v[13:14], v[13:14], -v[30:31]
.LBB76_254:
	s_or_b64 exec, exec, s[10:11]
	v_cmp_eq_u32_e64 s[10:11], 13, v25
	s_and_b64 s[14:15], s[10:11], s[82:83]
	s_barrier
	s_and_saveexec_b64 s[10:11], s[14:15]
	s_cbranch_execz .LBB76_256
; %bb.255:
	v_mov_b32_e32 v28, 0
	ds_read_b128 v[28:31], v28 offset:6864
	s_waitcnt lgkmcnt(0)
	v_mul_f64 v[32:33], v[13:14], v[30:31]
	v_mul_f64 v[30:31], v[11:12], v[30:31]
	v_fma_f64 v[11:12], v[11:12], v[28:29], -v[32:33]
	v_fma_f64 v[13:14], v[13:14], v[28:29], v[30:31]
	v_xor_b32_e32 v29, 0x80000000, v12
	v_xor_b32_e32 v31, 0x80000000, v14
	v_mov_b32_e32 v28, v11
	v_mov_b32_e32 v30, v13
	ds_write_b128 v27, v[28:31]
.LBB76_256:
	s_or_b64 exec, exec, s[10:11]
	v_cmp_gt_u32_e64 s[10:11], 13, v25
	;; [unrolled: 39-line block ×13, first 2 shown]
	s_and_b64 s[14:15], s[10:11], s[82:83]
	s_waitcnt lgkmcnt(0)
	s_barrier
	s_and_saveexec_b64 s[10:11], s[14:15]
	s_cbranch_execz .LBB76_302
; %bb.301:
	v_lshlrev_b32_e32 v32, 4, v25
	ds_read_b128 v[28:31], v27
	ds_read_b128 v[32:35], v32 offset:1024
	s_waitcnt lgkmcnt(0)
	v_mul_f64 v[36:37], v[30:31], v[34:35]
	v_mul_f64 v[34:35], v[28:29], v[34:35]
	v_fma_f64 v[28:29], v[28:29], v[32:33], -v[36:37]
	v_fma_f64 v[30:31], v[30:31], v[32:33], v[34:35]
	v_add_f64 v[11:12], v[11:12], -v[28:29]
	v_add_f64 v[13:14], v[13:14], -v[30:31]
.LBB76_302:
	s_or_b64 exec, exec, s[10:11]
	v_cmp_eq_u32_e64 s[10:11], 1, v25
	s_and_b64 s[14:15], s[10:11], s[82:83]
	s_barrier
	s_and_saveexec_b64 s[10:11], s[14:15]
	s_cbranch_execz .LBB76_304
; %bb.303:
	v_mov_b32_e32 v28, 0
	ds_read_b128 v[28:31], v28 offset:528
	s_waitcnt lgkmcnt(0)
	v_mul_f64 v[32:33], v[13:14], v[30:31]
	v_mul_f64 v[30:31], v[11:12], v[30:31]
	v_fma_f64 v[11:12], v[11:12], v[28:29], -v[32:33]
	v_fma_f64 v[13:14], v[13:14], v[28:29], v[30:31]
	v_xor_b32_e32 v29, 0x80000000, v12
	v_xor_b32_e32 v31, 0x80000000, v14
	v_mov_b32_e32 v28, v11
	v_mov_b32_e32 v30, v13
	ds_write_b128 v27, v[28:31]
.LBB76_304:
	s_or_b64 exec, exec, s[10:11]
	v_cmp_eq_u32_e64 s[10:11], 0, v25
	s_and_b64 s[10:11], s[10:11], s[82:83]
	s_waitcnt lgkmcnt(0)
	s_barrier
	s_and_saveexec_b64 s[14:15], s[10:11]
	s_cbranch_execz .LBB76_306
; %bb.305:
	v_mov_b32_e32 v32, 0
	ds_read_b128 v[28:31], v27
	ds_read_b128 v[32:35], v32 offset:512
	s_waitcnt lgkmcnt(0)
	v_mul_f64 v[36:37], v[30:31], v[34:35]
	v_mul_f64 v[34:35], v[28:29], v[34:35]
	v_fma_f64 v[28:29], v[28:29], v[32:33], -v[36:37]
	v_fma_f64 v[30:31], v[30:31], v[32:33], v[34:35]
	v_add_f64 v[11:12], v[11:12], -v[28:29]
	v_add_f64 v[13:14], v[13:14], -v[30:31]
.LBB76_306:
	s_or_b64 exec, exec, s[14:15]
	s_barrier
	s_and_saveexec_b64 s[14:15], s[10:11]
	s_cbranch_execz .LBB76_308
; %bb.307:
	v_mov_b32_e32 v28, 0
	ds_read_b128 v[28:31], v28
	s_waitcnt lgkmcnt(0)
	v_mul_f64 v[32:33], v[13:14], v[30:31]
	v_mul_f64 v[30:31], v[11:12], v[30:31]
	v_fma_f64 v[11:12], v[11:12], v[28:29], -v[32:33]
	v_fma_f64 v[13:14], v[13:14], v[28:29], v[30:31]
	v_xor_b32_e32 v29, 0x80000000, v12
	v_xor_b32_e32 v31, 0x80000000, v14
	v_mov_b32_e32 v28, v11
	v_mov_b32_e32 v30, v13
	ds_write_b128 v27, v[28:31]
.LBB76_308:
	s_or_b64 exec, exec, s[14:15]
	s_waitcnt lgkmcnt(0)
	s_barrier
	s_barrier
	s_and_saveexec_b64 s[10:11], s[8:9]
; %bb.309:
	v_lshlrev_b32_e32 v25, 4, v25
	v_lshl_or_b32 v25, v26, 9, v25
	ds_write_b128 v25, v[11:14] offset:8192
; %bb.310:
	s_or_b64 exec, exec, s[10:11]
	s_waitcnt lgkmcnt(0)
	s_barrier
	s_barrier
	s_and_saveexec_b64 s[8:9], vcc
	s_cbranch_execz .LBB76_312
; %bb.311:
	v_mov_b32_e32 v35, 0
	ds_read_b128 v[11:14], v35 offset:7920
	ds_read_b128 v[25:28], v35 offset:7392
	;; [unrolled: 1-line block ×3, first 2 shown]
	s_waitcnt lgkmcnt(1)
	v_mul_f64 v[33:34], v[11:12], v[27:28]
	v_mul_f64 v[27:28], v[13:14], v[27:28]
	v_fma_f64 v[13:14], v[13:14], v[25:26], v[33:34]
	v_fma_f64 v[11:12], v[11:12], v[25:26], -v[27:28]
	s_waitcnt lgkmcnt(0)
	v_mul_f64 v[25:26], v[13:14], v[31:32]
	v_mul_f64 v[27:28], v[11:12], v[31:32]
	v_fma_f64 v[11:12], v[29:30], v[11:12], -v[25:26]
	v_fma_f64 v[13:14], v[29:30], v[13:14], v[27:28]
	ds_write_b128 v35, v[11:14] offset:7904
.LBB76_312:
	s_or_b64 exec, exec, s[8:9]
	v_mov_b32_e32 v11, 0
	v_mov_b32_e32 v13, 0
	;; [unrolled: 1-line block ×4, first 2 shown]
	s_waitcnt lgkmcnt(0)
	s_barrier
	buffer_wbinvl1_vol
	s_and_saveexec_b64 s[10:11], s[0:1]
	s_cbranch_execz .LBB76_316
; %bb.313:
	v_lshlrev_b32_e32 v25, 4, v15
	v_lshlrev_b32_e32 v11, 9, v16
	ds_read_b128 v[11:14], v11 offset:7392
	ds_read_b128 v[25:28], v25 offset:7360
	v_cmp_gt_u32_e64 s[8:9], 2, v18
	s_waitcnt lgkmcnt(0)
	v_mul_f64 v[29:30], v[13:14], v[27:28]
	v_mul_f64 v[27:28], v[11:12], v[27:28]
	v_fma_f64 v[11:12], v[11:12], v[25:26], -v[29:30]
	v_fma_f64 v[13:14], v[13:14], v[25:26], v[27:28]
	v_add_f64 v[11:12], v[11:12], 0
	v_add_f64 v[13:14], v[13:14], 0
	s_and_saveexec_b64 s[14:15], s[8:9]
	s_cbranch_execz .LBB76_315
; %bb.314:
	v_lshlrev_b32_e32 v29, 4, v0
	v_mov_b32_e32 v25, 0
	ds_read_b128 v[25:28], v25 offset:7920
	ds_read_b128 v[29:32], v29 offset:7872
	s_waitcnt lgkmcnt(0)
	v_mul_f64 v[33:34], v[27:28], v[31:32]
	v_mul_f64 v[31:32], v[25:26], v[31:32]
	v_fma_f64 v[25:26], v[25:26], v[29:30], -v[33:34]
	v_fma_f64 v[27:28], v[27:28], v[29:30], v[31:32]
	v_add_f64 v[11:12], v[11:12], v[25:26]
	v_add_f64 v[13:14], v[13:14], v[27:28]
.LBB76_315:
	s_or_b64 exec, exec, s[14:15]
.LBB76_316:
	s_or_b64 exec, exec, s[10:11]
	s_and_saveexec_b64 s[8:9], s[40:41]
	s_cbranch_execz .LBB76_318
; %bb.317:
	v_mov_b32_e32 v25, 0
	ds_read_b128 v[25:28], v25 offset:6864
	s_waitcnt lgkmcnt(0)
	v_mul_f64 v[29:30], v[13:14], v[27:28]
	v_mul_f64 v[27:28], v[11:12], v[27:28]
	v_fma_f64 v[11:12], v[11:12], v[25:26], -v[29:30]
	v_fma_f64 v[13:14], v[13:14], v[25:26], v[27:28]
	v_xor_b32_e32 v26, 0x80000000, v12
	v_xor_b32_e32 v28, 0x80000000, v14
	v_mov_b32_e32 v25, v11
	v_mov_b32_e32 v27, v13
	ds_write_b128 v17, v[25:28]
.LBB76_318:
	s_or_b64 exec, exec, s[8:9]
	s_waitcnt lgkmcnt(0)
	s_barrier
	s_and_saveexec_b64 s[8:9], s[38:39]
	s_cbranch_execz .LBB76_320
; %bb.319:
	v_mov_b32_e32 v29, 0
	ds_read_b128 v[25:28], v17
	ds_read_b128 v[29:32], v29 offset:6848
	s_waitcnt lgkmcnt(0)
	v_mul_f64 v[33:34], v[27:28], v[31:32]
	v_mul_f64 v[31:32], v[25:26], v[31:32]
	v_fma_f64 v[25:26], v[25:26], v[29:30], -v[33:34]
	v_fma_f64 v[27:28], v[27:28], v[29:30], v[31:32]
	v_add_f64 v[11:12], v[11:12], -v[25:26]
	v_add_f64 v[13:14], v[13:14], -v[27:28]
.LBB76_320:
	s_or_b64 exec, exec, s[8:9]
	s_barrier
	s_and_saveexec_b64 s[8:9], s[38:39]
	s_cbranch_execz .LBB76_322
; %bb.321:
	v_mov_b32_e32 v25, 0
	ds_read_b128 v[25:28], v25 offset:6336
	s_waitcnt lgkmcnt(0)
	v_mul_f64 v[29:30], v[13:14], v[27:28]
	v_mul_f64 v[27:28], v[11:12], v[27:28]
	v_fma_f64 v[11:12], v[11:12], v[25:26], -v[29:30]
	v_fma_f64 v[13:14], v[13:14], v[25:26], v[27:28]
	v_xor_b32_e32 v26, 0x80000000, v12
	v_xor_b32_e32 v28, 0x80000000, v14
	v_mov_b32_e32 v25, v11
	v_mov_b32_e32 v27, v13
	ds_write_b128 v17, v[25:28]
.LBB76_322:
	s_or_b64 exec, exec, s[8:9]
	s_waitcnt lgkmcnt(0)
	s_barrier
	s_barrier
	s_and_saveexec_b64 s[8:9], s[0:1]
; %bb.323:
	v_lshlrev_b32_e32 v25, 4, v15
	v_lshl_or_b32 v25, v16, 9, v25
	ds_write_b128 v25, v[11:14] offset:7360
; %bb.324:
	s_or_b64 exec, exec, s[8:9]
	s_waitcnt lgkmcnt(0)
	s_barrier
	s_barrier
	s_and_saveexec_b64 s[8:9], vcc
	s_cbranch_execz .LBB76_326
; %bb.325:
	v_mov_b32_e32 v35, 0
	ds_read_b128 v[11:14], v35 offset:6864
	ds_read_b128 v[25:28], v35 offset:6336
	;; [unrolled: 1-line block ×3, first 2 shown]
	s_waitcnt lgkmcnt(1)
	v_mul_f64 v[33:34], v[11:12], v[27:28]
	v_mul_f64 v[27:28], v[13:14], v[27:28]
	v_fma_f64 v[13:14], v[13:14], v[25:26], v[33:34]
	v_fma_f64 v[11:12], v[11:12], v[25:26], -v[27:28]
	s_waitcnt lgkmcnt(0)
	v_mul_f64 v[25:26], v[13:14], v[31:32]
	v_mul_f64 v[27:28], v[11:12], v[31:32]
	v_fma_f64 v[11:12], v[29:30], v[11:12], -v[25:26]
	v_fma_f64 v[13:14], v[29:30], v[13:14], v[27:28]
	ds_write_b128 v35, v[11:14] offset:6848
.LBB76_326:
	s_or_b64 exec, exec, s[8:9]
	v_mov_b32_e32 v13, 0
	v_mov_b32_e32 v11, 0
	;; [unrolled: 1-line block ×4, first 2 shown]
	s_waitcnt lgkmcnt(0)
	s_barrier
	buffer_wbinvl1_vol
	s_and_saveexec_b64 s[10:11], s[2:3]
	s_cbranch_execz .LBB76_332
; %bb.327:
	v_lshlrev_b32_e32 v26, 9, v20
	v_lshlrev_b32_e32 v25, 4, v19
	ds_read_b128 v[11:14], v26 offset:6336
	ds_read_b128 v[27:30], v25 offset:6272
	v_cmp_gt_u32_e64 s[8:9], 12, v18
	s_waitcnt lgkmcnt(0)
	v_mul_f64 v[31:32], v[13:14], v[29:30]
	v_mul_f64 v[29:30], v[11:12], v[29:30]
	v_fma_f64 v[11:12], v[11:12], v[27:28], -v[31:32]
	v_fma_f64 v[13:14], v[13:14], v[27:28], v[29:30]
	v_add_f64 v[11:12], v[11:12], 0
	v_add_f64 v[13:14], v[13:14], 0
	s_and_saveexec_b64 s[14:15], s[8:9]
	s_cbranch_execnz .LBB76_534
; %bb.328:
	s_or_b64 exec, exec, s[14:15]
	v_cmp_gt_u32_e64 s[8:9], 8, v18
	s_and_saveexec_b64 s[14:15], s[8:9]
	s_cbranch_execnz .LBB76_535
.LBB76_329:
	s_or_b64 exec, exec, s[14:15]
	v_cmp_gt_u32_e64 s[8:9], 4, v18
	s_and_saveexec_b64 s[14:15], s[8:9]
	s_cbranch_execz .LBB76_331
.LBB76_330:
	v_lshlrev_b32_e32 v29, 4, v0
	v_mov_b32_e32 v25, 0
	ds_read_b128 v[25:28], v25 offset:7920
	ds_read_b128 v[29:32], v29 offset:7808
	s_waitcnt lgkmcnt(0)
	v_mul_f64 v[33:34], v[27:28], v[31:32]
	v_mul_f64 v[31:32], v[25:26], v[31:32]
	v_fma_f64 v[25:26], v[25:26], v[29:30], -v[33:34]
	v_fma_f64 v[27:28], v[27:28], v[29:30], v[31:32]
	v_add_f64 v[11:12], v[11:12], v[25:26]
	v_add_f64 v[13:14], v[13:14], v[27:28]
.LBB76_331:
	s_or_b64 exec, exec, s[14:15]
.LBB76_332:
	s_or_b64 exec, exec, s[10:11]
	s_and_saveexec_b64 s[8:9], s[44:45]
	s_cbranch_execz .LBB76_334
; %bb.333:
	v_mov_b32_e32 v25, 0
	ds_read_b128 v[25:28], v25 offset:5808
	s_waitcnt lgkmcnt(0)
	v_mul_f64 v[29:30], v[13:14], v[27:28]
	v_mul_f64 v[27:28], v[11:12], v[27:28]
	v_fma_f64 v[11:12], v[11:12], v[25:26], -v[29:30]
	v_fma_f64 v[13:14], v[13:14], v[25:26], v[27:28]
	v_xor_b32_e32 v26, 0x80000000, v12
	v_xor_b32_e32 v28, 0x80000000, v14
	v_mov_b32_e32 v25, v11
	v_mov_b32_e32 v27, v13
	ds_write_b128 v21, v[25:28]
.LBB76_334:
	s_or_b64 exec, exec, s[8:9]
	s_waitcnt lgkmcnt(0)
	s_barrier
	s_and_saveexec_b64 s[8:9], s[46:47]
	s_cbranch_execz .LBB76_336
; %bb.335:
	v_lshlrev_b32_e32 v29, 4, v19
	ds_read_b128 v[25:28], v21
	ds_read_b128 v[29:32], v29 offset:5760
	s_waitcnt lgkmcnt(0)
	v_mul_f64 v[33:34], v[27:28], v[31:32]
	v_mul_f64 v[31:32], v[25:26], v[31:32]
	v_fma_f64 v[25:26], v[25:26], v[29:30], -v[33:34]
	v_fma_f64 v[27:28], v[27:28], v[29:30], v[31:32]
	v_add_f64 v[11:12], v[11:12], -v[25:26]
	v_add_f64 v[13:14], v[13:14], -v[27:28]
.LBB76_336:
	s_or_b64 exec, exec, s[8:9]
	s_barrier
	s_and_saveexec_b64 s[8:9], s[48:49]
	s_cbranch_execz .LBB76_338
; %bb.337:
	v_mov_b32_e32 v25, 0
	ds_read_b128 v[25:28], v25 offset:5280
	s_waitcnt lgkmcnt(0)
	v_mul_f64 v[29:30], v[13:14], v[27:28]
	v_mul_f64 v[27:28], v[11:12], v[27:28]
	v_fma_f64 v[11:12], v[11:12], v[25:26], -v[29:30]
	v_fma_f64 v[13:14], v[13:14], v[25:26], v[27:28]
	v_xor_b32_e32 v26, 0x80000000, v12
	v_xor_b32_e32 v28, 0x80000000, v14
	v_mov_b32_e32 v25, v11
	v_mov_b32_e32 v27, v13
	ds_write_b128 v21, v[25:28]
.LBB76_338:
	s_or_b64 exec, exec, s[8:9]
	s_waitcnt lgkmcnt(0)
	s_barrier
	s_and_saveexec_b64 s[8:9], s[50:51]
	s_cbranch_execz .LBB76_340
; %bb.339:
	v_lshlrev_b32_e32 v29, 4, v19
	ds_read_b128 v[25:28], v21
	ds_read_b128 v[29:32], v29 offset:5248
	s_waitcnt lgkmcnt(0)
	v_mul_f64 v[33:34], v[27:28], v[31:32]
	v_mul_f64 v[31:32], v[25:26], v[31:32]
	v_fma_f64 v[25:26], v[25:26], v[29:30], -v[33:34]
	v_fma_f64 v[27:28], v[27:28], v[29:30], v[31:32]
	v_add_f64 v[11:12], v[11:12], -v[25:26]
	v_add_f64 v[13:14], v[13:14], -v[27:28]
.LBB76_340:
	s_or_b64 exec, exec, s[8:9]
	s_barrier
	s_and_saveexec_b64 s[8:9], s[52:53]
	s_cbranch_execz .LBB76_342
; %bb.341:
	v_mov_b32_e32 v25, 0
	ds_read_b128 v[25:28], v25 offset:4752
	s_waitcnt lgkmcnt(0)
	v_mul_f64 v[29:30], v[13:14], v[27:28]
	v_mul_f64 v[27:28], v[11:12], v[27:28]
	v_fma_f64 v[11:12], v[11:12], v[25:26], -v[29:30]
	v_fma_f64 v[13:14], v[13:14], v[25:26], v[27:28]
	v_xor_b32_e32 v26, 0x80000000, v12
	v_xor_b32_e32 v28, 0x80000000, v14
	v_mov_b32_e32 v25, v11
	v_mov_b32_e32 v27, v13
	ds_write_b128 v21, v[25:28]
.LBB76_342:
	s_or_b64 exec, exec, s[8:9]
	s_waitcnt lgkmcnt(0)
	s_barrier
	s_and_saveexec_b64 s[8:9], s[42:43]
	s_cbranch_execz .LBB76_344
; %bb.343:
	v_mov_b32_e32 v29, 0
	ds_read_b128 v[25:28], v21
	ds_read_b128 v[29:32], v29 offset:4736
	s_waitcnt lgkmcnt(0)
	v_mul_f64 v[33:34], v[27:28], v[31:32]
	v_mul_f64 v[31:32], v[25:26], v[31:32]
	v_fma_f64 v[25:26], v[25:26], v[29:30], -v[33:34]
	v_fma_f64 v[27:28], v[27:28], v[29:30], v[31:32]
	v_add_f64 v[11:12], v[11:12], -v[25:26]
	v_add_f64 v[13:14], v[13:14], -v[27:28]
.LBB76_344:
	s_or_b64 exec, exec, s[8:9]
	s_barrier
	s_and_saveexec_b64 s[8:9], s[42:43]
	s_cbranch_execz .LBB76_346
; %bb.345:
	v_mov_b32_e32 v25, 0
	ds_read_b128 v[25:28], v25 offset:4224
	s_waitcnt lgkmcnt(0)
	v_mul_f64 v[29:30], v[13:14], v[27:28]
	v_mul_f64 v[27:28], v[11:12], v[27:28]
	v_fma_f64 v[11:12], v[11:12], v[25:26], -v[29:30]
	v_fma_f64 v[13:14], v[13:14], v[25:26], v[27:28]
	v_xor_b32_e32 v26, 0x80000000, v12
	v_xor_b32_e32 v28, 0x80000000, v14
	v_mov_b32_e32 v25, v11
	v_mov_b32_e32 v27, v13
	ds_write_b128 v21, v[25:28]
.LBB76_346:
	s_or_b64 exec, exec, s[8:9]
	s_waitcnt lgkmcnt(0)
	s_barrier
	s_barrier
	s_and_saveexec_b64 s[8:9], s[2:3]
; %bb.347:
	v_lshlrev_b32_e32 v25, 4, v19
	v_lshl_or_b32 v25, v20, 9, v25
	ds_write_b128 v25, v[11:14] offset:6272
; %bb.348:
	s_or_b64 exec, exec, s[8:9]
	s_waitcnt lgkmcnt(0)
	s_barrier
	s_barrier
	s_and_saveexec_b64 s[8:9], vcc
	s_cbranch_execz .LBB76_350
; %bb.349:
	v_mov_b32_e32 v35, 0
	ds_read_b128 v[11:14], v35 offset:5808
	ds_read_b128 v[25:28], v35 offset:5280
	;; [unrolled: 1-line block ×3, first 2 shown]
	s_waitcnt lgkmcnt(1)
	v_mul_f64 v[33:34], v[11:12], v[27:28]
	v_mul_f64 v[27:28], v[13:14], v[27:28]
	v_fma_f64 v[13:14], v[13:14], v[25:26], v[33:34]
	v_fma_f64 v[11:12], v[11:12], v[25:26], -v[27:28]
	s_waitcnt lgkmcnt(0)
	v_mul_f64 v[25:26], v[13:14], v[31:32]
	v_mul_f64 v[27:28], v[11:12], v[31:32]
	v_fma_f64 v[11:12], v[29:30], v[11:12], -v[25:26]
	v_fma_f64 v[13:14], v[29:30], v[13:14], v[27:28]
	ds_write_b128 v35, v[11:14] offset:5792
.LBB76_350:
	s_or_b64 exec, exec, s[8:9]
	v_mov_b32_e32 v11, 0
	v_mov_b32_e32 v13, 0
	;; [unrolled: 1-line block ×4, first 2 shown]
	s_waitcnt lgkmcnt(0)
	s_barrier
	buffer_wbinvl1_vol
	s_and_saveexec_b64 s[10:11], s[0:1]
	s_cbranch_execz .LBB76_354
; %bb.351:
	v_lshlrev_b32_e32 v25, 4, v15
	v_lshlrev_b32_e32 v11, 9, v16
	ds_read_b128 v[11:14], v11 offset:5280
	ds_read_b128 v[25:28], v25 offset:5248
	v_cmp_gt_u32_e64 s[8:9], 2, v18
	s_waitcnt lgkmcnt(0)
	v_mul_f64 v[29:30], v[13:14], v[27:28]
	v_mul_f64 v[27:28], v[11:12], v[27:28]
	v_fma_f64 v[11:12], v[11:12], v[25:26], -v[29:30]
	v_fma_f64 v[13:14], v[13:14], v[25:26], v[27:28]
	v_add_f64 v[11:12], v[11:12], 0
	v_add_f64 v[13:14], v[13:14], 0
	s_and_saveexec_b64 s[14:15], s[8:9]
	s_cbranch_execz .LBB76_353
; %bb.352:
	v_lshlrev_b32_e32 v29, 4, v0
	v_mov_b32_e32 v25, 0
	ds_read_b128 v[25:28], v25 offset:5808
	ds_read_b128 v[29:32], v29 offset:5760
	s_waitcnt lgkmcnt(0)
	v_mul_f64 v[33:34], v[27:28], v[31:32]
	v_mul_f64 v[31:32], v[25:26], v[31:32]
	v_fma_f64 v[25:26], v[25:26], v[29:30], -v[33:34]
	v_fma_f64 v[27:28], v[27:28], v[29:30], v[31:32]
	v_add_f64 v[11:12], v[11:12], v[25:26]
	v_add_f64 v[13:14], v[13:14], v[27:28]
.LBB76_353:
	s_or_b64 exec, exec, s[14:15]
.LBB76_354:
	s_or_b64 exec, exec, s[10:11]
	s_and_saveexec_b64 s[8:9], s[40:41]
	s_cbranch_execz .LBB76_356
; %bb.355:
	v_mov_b32_e32 v25, 0
	ds_read_b128 v[25:28], v25 offset:4752
	s_waitcnt lgkmcnt(0)
	v_mul_f64 v[29:30], v[13:14], v[27:28]
	v_mul_f64 v[27:28], v[11:12], v[27:28]
	v_fma_f64 v[11:12], v[11:12], v[25:26], -v[29:30]
	v_fma_f64 v[13:14], v[13:14], v[25:26], v[27:28]
	v_xor_b32_e32 v26, 0x80000000, v12
	v_xor_b32_e32 v28, 0x80000000, v14
	v_mov_b32_e32 v25, v11
	v_mov_b32_e32 v27, v13
	ds_write_b128 v17, v[25:28]
.LBB76_356:
	s_or_b64 exec, exec, s[8:9]
	s_waitcnt lgkmcnt(0)
	s_barrier
	s_and_saveexec_b64 s[8:9], s[38:39]
	s_cbranch_execz .LBB76_358
; %bb.357:
	v_mov_b32_e32 v29, 0
	ds_read_b128 v[25:28], v17
	ds_read_b128 v[29:32], v29 offset:4736
	s_waitcnt lgkmcnt(0)
	v_mul_f64 v[33:34], v[27:28], v[31:32]
	v_mul_f64 v[31:32], v[25:26], v[31:32]
	v_fma_f64 v[25:26], v[25:26], v[29:30], -v[33:34]
	v_fma_f64 v[27:28], v[27:28], v[29:30], v[31:32]
	v_add_f64 v[11:12], v[11:12], -v[25:26]
	v_add_f64 v[13:14], v[13:14], -v[27:28]
.LBB76_358:
	s_or_b64 exec, exec, s[8:9]
	s_barrier
	s_and_saveexec_b64 s[8:9], s[38:39]
	s_cbranch_execz .LBB76_360
; %bb.359:
	v_mov_b32_e32 v25, 0
	ds_read_b128 v[25:28], v25 offset:4224
	s_waitcnt lgkmcnt(0)
	v_mul_f64 v[29:30], v[13:14], v[27:28]
	v_mul_f64 v[27:28], v[11:12], v[27:28]
	v_fma_f64 v[11:12], v[11:12], v[25:26], -v[29:30]
	v_fma_f64 v[13:14], v[13:14], v[25:26], v[27:28]
	v_xor_b32_e32 v26, 0x80000000, v12
	v_xor_b32_e32 v28, 0x80000000, v14
	v_mov_b32_e32 v25, v11
	v_mov_b32_e32 v27, v13
	ds_write_b128 v17, v[25:28]
.LBB76_360:
	s_or_b64 exec, exec, s[8:9]
	s_waitcnt lgkmcnt(0)
	s_barrier
	s_barrier
	s_and_saveexec_b64 s[8:9], s[0:1]
; %bb.361:
	v_lshlrev_b32_e32 v25, 4, v15
	v_lshl_or_b32 v25, v16, 9, v25
	ds_write_b128 v25, v[11:14] offset:5248
; %bb.362:
	s_or_b64 exec, exec, s[8:9]
	s_waitcnt lgkmcnt(0)
	s_barrier
	s_barrier
	s_and_saveexec_b64 s[8:9], vcc
	s_cbranch_execz .LBB76_364
; %bb.363:
	v_mov_b32_e32 v35, 0
	ds_read_b128 v[11:14], v35 offset:4752
	ds_read_b128 v[25:28], v35 offset:4224
	;; [unrolled: 1-line block ×3, first 2 shown]
	s_waitcnt lgkmcnt(1)
	v_mul_f64 v[33:34], v[11:12], v[27:28]
	v_mul_f64 v[27:28], v[13:14], v[27:28]
	v_fma_f64 v[13:14], v[13:14], v[25:26], v[33:34]
	v_fma_f64 v[11:12], v[11:12], v[25:26], -v[27:28]
	s_waitcnt lgkmcnt(0)
	v_mul_f64 v[25:26], v[13:14], v[31:32]
	v_mul_f64 v[27:28], v[11:12], v[31:32]
	v_fma_f64 v[11:12], v[29:30], v[11:12], -v[25:26]
	v_fma_f64 v[13:14], v[29:30], v[13:14], v[27:28]
	ds_write_b128 v35, v[11:14] offset:4736
.LBB76_364:
	s_or_b64 exec, exec, s[8:9]
	v_mov_b32_e32 v13, 0
	v_mov_b32_e32 v11, 0
	;; [unrolled: 1-line block ×4, first 2 shown]
	s_waitcnt lgkmcnt(0)
	s_barrier
	buffer_wbinvl1_vol
	s_and_saveexec_b64 s[10:11], s[12:13]
	s_cbranch_execz .LBB76_374
; %bb.365:
	v_lshlrev_b32_e32 v26, 9, v23
	v_lshlrev_b32_e32 v25, 4, v22
	ds_read_b128 v[11:14], v26 offset:4224
	ds_read_b128 v[27:30], v25 offset:4096
	v_cmp_gt_u32_e64 s[8:9], 56, v18
	s_waitcnt lgkmcnt(0)
	v_mul_f64 v[31:32], v[13:14], v[29:30]
	v_mul_f64 v[29:30], v[11:12], v[29:30]
	v_fma_f64 v[11:12], v[11:12], v[27:28], -v[31:32]
	v_fma_f64 v[13:14], v[13:14], v[27:28], v[29:30]
	v_add_f64 v[11:12], v[11:12], 0
	v_add_f64 v[13:14], v[13:14], 0
	s_and_saveexec_b64 s[14:15], s[8:9]
	s_cbranch_execnz .LBB76_536
; %bb.366:
	s_or_b64 exec, exec, s[14:15]
	v_cmp_gt_u32_e64 s[8:9], 48, v18
	s_and_saveexec_b64 s[14:15], s[8:9]
	s_cbranch_execnz .LBB76_537
.LBB76_367:
	s_or_b64 exec, exec, s[14:15]
	v_cmp_gt_u32_e64 s[8:9], 40, v18
	s_and_saveexec_b64 s[14:15], s[8:9]
	s_cbranch_execnz .LBB76_538
.LBB76_368:
	s_or_b64 exec, exec, s[14:15]
	v_cmp_gt_u32_e64 s[8:9], 32, v18
	s_and_saveexec_b64 s[14:15], s[8:9]
	s_cbranch_execnz .LBB76_539
.LBB76_369:
	s_or_b64 exec, exec, s[14:15]
	v_cmp_gt_u32_e64 s[8:9], 24, v18
	s_and_saveexec_b64 s[14:15], s[8:9]
	s_cbranch_execnz .LBB76_540
.LBB76_370:
	s_or_b64 exec, exec, s[14:15]
	s_and_saveexec_b64 s[8:9], s[2:3]
	s_cbranch_execnz .LBB76_541
.LBB76_371:
	s_or_b64 exec, exec, s[8:9]
	v_cmp_gt_u32_e64 s[8:9], 8, v18
	s_and_saveexec_b64 s[14:15], s[8:9]
	s_cbranch_execz .LBB76_373
.LBB76_372:
	v_lshlrev_b32_e32 v29, 4, v0
	v_mov_b32_e32 v25, 0
	ds_read_b128 v[25:28], v25 offset:7920
	ds_read_b128 v[29:32], v29 offset:7680
	s_waitcnt lgkmcnt(0)
	v_mul_f64 v[33:34], v[27:28], v[31:32]
	v_mul_f64 v[31:32], v[25:26], v[31:32]
	v_fma_f64 v[25:26], v[25:26], v[29:30], -v[33:34]
	v_fma_f64 v[27:28], v[27:28], v[29:30], v[31:32]
	v_add_f64 v[11:12], v[11:12], v[25:26]
	v_add_f64 v[13:14], v[13:14], v[27:28]
.LBB76_373:
	s_or_b64 exec, exec, s[14:15]
.LBB76_374:
	s_or_b64 exec, exec, s[10:11]
	s_and_saveexec_b64 s[8:9], s[56:57]
	s_cbranch_execz .LBB76_376
; %bb.375:
	v_mov_b32_e32 v25, 0
	ds_read_b128 v[25:28], v25 offset:3696
	s_waitcnt lgkmcnt(0)
	v_mul_f64 v[29:30], v[13:14], v[27:28]
	v_mul_f64 v[27:28], v[11:12], v[27:28]
	v_fma_f64 v[11:12], v[11:12], v[25:26], -v[29:30]
	v_fma_f64 v[13:14], v[13:14], v[25:26], v[27:28]
	v_xor_b32_e32 v26, 0x80000000, v12
	v_xor_b32_e32 v28, 0x80000000, v14
	v_mov_b32_e32 v25, v11
	v_mov_b32_e32 v27, v13
	ds_write_b128 v24, v[25:28]
.LBB76_376:
	s_or_b64 exec, exec, s[8:9]
	s_waitcnt lgkmcnt(0)
	s_barrier
	s_and_saveexec_b64 s[8:9], s[58:59]
	s_cbranch_execz .LBB76_378
; %bb.377:
	v_lshlrev_b32_e32 v29, 4, v22
	ds_read_b128 v[25:28], v24
	ds_read_b128 v[29:32], v29 offset:3584
	s_waitcnt lgkmcnt(0)
	v_mul_f64 v[33:34], v[27:28], v[31:32]
	v_mul_f64 v[31:32], v[25:26], v[31:32]
	v_fma_f64 v[25:26], v[25:26], v[29:30], -v[33:34]
	v_fma_f64 v[27:28], v[27:28], v[29:30], v[31:32]
	v_add_f64 v[11:12], v[11:12], -v[25:26]
	v_add_f64 v[13:14], v[13:14], -v[27:28]
.LBB76_378:
	s_or_b64 exec, exec, s[8:9]
	s_barrier
	s_and_saveexec_b64 s[8:9], s[60:61]
	s_cbranch_execz .LBB76_380
; %bb.379:
	v_mov_b32_e32 v25, 0
	ds_read_b128 v[25:28], v25 offset:3168
	s_waitcnt lgkmcnt(0)
	v_mul_f64 v[29:30], v[13:14], v[27:28]
	v_mul_f64 v[27:28], v[11:12], v[27:28]
	v_fma_f64 v[11:12], v[11:12], v[25:26], -v[29:30]
	v_fma_f64 v[13:14], v[13:14], v[25:26], v[27:28]
	v_xor_b32_e32 v26, 0x80000000, v12
	v_xor_b32_e32 v28, 0x80000000, v14
	v_mov_b32_e32 v25, v11
	v_mov_b32_e32 v27, v13
	ds_write_b128 v24, v[25:28]
.LBB76_380:
	s_or_b64 exec, exec, s[8:9]
	s_waitcnt lgkmcnt(0)
	s_barrier
	s_and_saveexec_b64 s[8:9], s[62:63]
	s_cbranch_execz .LBB76_382
; %bb.381:
	v_lshlrev_b32_e32 v29, 4, v22
	ds_read_b128 v[25:28], v24
	ds_read_b128 v[29:32], v29 offset:3072
	s_waitcnt lgkmcnt(0)
	v_mul_f64 v[33:34], v[27:28], v[31:32]
	v_mul_f64 v[31:32], v[25:26], v[31:32]
	v_fma_f64 v[25:26], v[25:26], v[29:30], -v[33:34]
	v_fma_f64 v[27:28], v[27:28], v[29:30], v[31:32]
	v_add_f64 v[11:12], v[11:12], -v[25:26]
	v_add_f64 v[13:14], v[13:14], -v[27:28]
.LBB76_382:
	s_or_b64 exec, exec, s[8:9]
	s_barrier
	;; [unrolled: 35-line block ×6, first 2 shown]
	s_and_saveexec_b64 s[8:9], s[80:81]
	s_cbranch_execz .LBB76_400
; %bb.399:
	v_mov_b32_e32 v25, 0
	ds_read_b128 v[25:28], v25 offset:528
	s_waitcnt lgkmcnt(0)
	v_mul_f64 v[29:30], v[13:14], v[27:28]
	v_mul_f64 v[27:28], v[11:12], v[27:28]
	v_fma_f64 v[11:12], v[11:12], v[25:26], -v[29:30]
	v_fma_f64 v[13:14], v[13:14], v[25:26], v[27:28]
	v_xor_b32_e32 v26, 0x80000000, v12
	v_xor_b32_e32 v28, 0x80000000, v14
	v_mov_b32_e32 v25, v11
	v_mov_b32_e32 v27, v13
	ds_write_b128 v24, v[25:28]
.LBB76_400:
	s_or_b64 exec, exec, s[8:9]
	s_waitcnt lgkmcnt(0)
	s_barrier
	s_and_saveexec_b64 s[8:9], s[54:55]
	s_cbranch_execz .LBB76_402
; %bb.401:
	v_mov_b32_e32 v29, 0
	ds_read_b128 v[25:28], v24
	ds_read_b128 v[29:32], v29 offset:512
	s_waitcnt lgkmcnt(0)
	v_mul_f64 v[33:34], v[27:28], v[31:32]
	v_mul_f64 v[31:32], v[25:26], v[31:32]
	v_fma_f64 v[25:26], v[25:26], v[29:30], -v[33:34]
	v_fma_f64 v[27:28], v[27:28], v[29:30], v[31:32]
	v_add_f64 v[11:12], v[11:12], -v[25:26]
	v_add_f64 v[13:14], v[13:14], -v[27:28]
.LBB76_402:
	s_or_b64 exec, exec, s[8:9]
	s_barrier
	s_and_saveexec_b64 s[8:9], s[54:55]
	s_cbranch_execz .LBB76_404
; %bb.403:
	v_mov_b32_e32 v25, 0
	ds_read_b128 v[25:28], v25
	s_waitcnt lgkmcnt(0)
	v_mul_f64 v[29:30], v[13:14], v[27:28]
	v_mul_f64 v[27:28], v[11:12], v[27:28]
	v_fma_f64 v[11:12], v[11:12], v[25:26], -v[29:30]
	v_fma_f64 v[13:14], v[13:14], v[25:26], v[27:28]
	v_xor_b32_e32 v26, 0x80000000, v12
	v_xor_b32_e32 v28, 0x80000000, v14
	v_mov_b32_e32 v25, v11
	v_mov_b32_e32 v27, v13
	ds_write_b128 v24, v[25:28]
.LBB76_404:
	s_or_b64 exec, exec, s[8:9]
	s_waitcnt lgkmcnt(0)
	s_barrier
	s_barrier
	s_and_saveexec_b64 s[8:9], s[12:13]
; %bb.405:
	v_lshlrev_b32_e32 v22, 4, v22
	v_lshl_or_b32 v22, v23, 9, v22
	ds_write_b128 v22, v[11:14] offset:4096
; %bb.406:
	s_or_b64 exec, exec, s[8:9]
	s_waitcnt lgkmcnt(0)
	s_barrier
	s_barrier
	s_and_saveexec_b64 s[8:9], vcc
	s_cbranch_execz .LBB76_408
; %bb.407:
	v_mov_b32_e32 v32, 0
	ds_read_b128 v[11:14], v32 offset:3696
	ds_read_b128 v[22:25], v32 offset:3168
	;; [unrolled: 1-line block ×3, first 2 shown]
	s_waitcnt lgkmcnt(1)
	v_mul_f64 v[30:31], v[11:12], v[24:25]
	v_mul_f64 v[24:25], v[13:14], v[24:25]
	v_fma_f64 v[13:14], v[13:14], v[22:23], v[30:31]
	v_fma_f64 v[11:12], v[11:12], v[22:23], -v[24:25]
	s_waitcnt lgkmcnt(0)
	v_mul_f64 v[22:23], v[13:14], v[28:29]
	v_mul_f64 v[24:25], v[11:12], v[28:29]
	v_fma_f64 v[11:12], v[26:27], v[11:12], -v[22:23]
	v_fma_f64 v[13:14], v[26:27], v[13:14], v[24:25]
	ds_write_b128 v32, v[11:14] offset:3680
.LBB76_408:
	s_or_b64 exec, exec, s[8:9]
	v_mov_b32_e32 v11, 0
	v_mov_b32_e32 v13, 0
	;; [unrolled: 1-line block ×4, first 2 shown]
	s_waitcnt lgkmcnt(0)
	s_barrier
	buffer_wbinvl1_vol
	s_and_saveexec_b64 s[10:11], s[0:1]
	s_cbranch_execz .LBB76_412
; %bb.409:
	v_lshlrev_b32_e32 v22, 4, v15
	v_lshlrev_b32_e32 v11, 9, v16
	ds_read_b128 v[11:14], v11 offset:3168
	ds_read_b128 v[22:25], v22 offset:3136
	v_cmp_gt_u32_e64 s[8:9], 2, v18
	s_waitcnt lgkmcnt(0)
	v_mul_f64 v[26:27], v[13:14], v[24:25]
	v_mul_f64 v[24:25], v[11:12], v[24:25]
	v_fma_f64 v[11:12], v[11:12], v[22:23], -v[26:27]
	v_fma_f64 v[13:14], v[13:14], v[22:23], v[24:25]
	v_add_f64 v[11:12], v[11:12], 0
	v_add_f64 v[13:14], v[13:14], 0
	s_and_saveexec_b64 s[12:13], s[8:9]
	s_cbranch_execz .LBB76_411
; %bb.410:
	v_lshlrev_b32_e32 v26, 4, v0
	v_mov_b32_e32 v22, 0
	ds_read_b128 v[22:25], v22 offset:3696
	ds_read_b128 v[26:29], v26 offset:3648
	s_waitcnt lgkmcnt(0)
	v_mul_f64 v[30:31], v[24:25], v[28:29]
	v_mul_f64 v[28:29], v[22:23], v[28:29]
	v_fma_f64 v[22:23], v[22:23], v[26:27], -v[30:31]
	v_fma_f64 v[24:25], v[24:25], v[26:27], v[28:29]
	v_add_f64 v[11:12], v[11:12], v[22:23]
	v_add_f64 v[13:14], v[13:14], v[24:25]
.LBB76_411:
	s_or_b64 exec, exec, s[12:13]
.LBB76_412:
	s_or_b64 exec, exec, s[10:11]
	s_and_saveexec_b64 s[8:9], s[40:41]
	s_cbranch_execz .LBB76_414
; %bb.413:
	v_mov_b32_e32 v22, 0
	ds_read_b128 v[22:25], v22 offset:2640
	s_waitcnt lgkmcnt(0)
	v_mul_f64 v[26:27], v[13:14], v[24:25]
	v_mul_f64 v[24:25], v[11:12], v[24:25]
	v_fma_f64 v[11:12], v[11:12], v[22:23], -v[26:27]
	v_fma_f64 v[13:14], v[13:14], v[22:23], v[24:25]
	v_xor_b32_e32 v23, 0x80000000, v12
	v_xor_b32_e32 v25, 0x80000000, v14
	v_mov_b32_e32 v22, v11
	v_mov_b32_e32 v24, v13
	ds_write_b128 v17, v[22:25]
.LBB76_414:
	s_or_b64 exec, exec, s[8:9]
	s_waitcnt lgkmcnt(0)
	s_barrier
	s_and_saveexec_b64 s[8:9], s[38:39]
	s_cbranch_execz .LBB76_416
; %bb.415:
	v_mov_b32_e32 v26, 0
	ds_read_b128 v[22:25], v17
	ds_read_b128 v[26:29], v26 offset:2624
	s_waitcnt lgkmcnt(0)
	v_mul_f64 v[30:31], v[24:25], v[28:29]
	v_mul_f64 v[28:29], v[22:23], v[28:29]
	v_fma_f64 v[22:23], v[22:23], v[26:27], -v[30:31]
	v_fma_f64 v[24:25], v[24:25], v[26:27], v[28:29]
	v_add_f64 v[11:12], v[11:12], -v[22:23]
	v_add_f64 v[13:14], v[13:14], -v[24:25]
.LBB76_416:
	s_or_b64 exec, exec, s[8:9]
	s_barrier
	s_and_saveexec_b64 s[8:9], s[38:39]
	s_cbranch_execz .LBB76_418
; %bb.417:
	v_mov_b32_e32 v22, 0
	ds_read_b128 v[22:25], v22 offset:2112
	s_waitcnt lgkmcnt(0)
	v_mul_f64 v[26:27], v[13:14], v[24:25]
	v_mul_f64 v[24:25], v[11:12], v[24:25]
	v_fma_f64 v[11:12], v[11:12], v[22:23], -v[26:27]
	v_fma_f64 v[13:14], v[13:14], v[22:23], v[24:25]
	v_xor_b32_e32 v23, 0x80000000, v12
	v_xor_b32_e32 v25, 0x80000000, v14
	v_mov_b32_e32 v22, v11
	v_mov_b32_e32 v24, v13
	ds_write_b128 v17, v[22:25]
.LBB76_418:
	s_or_b64 exec, exec, s[8:9]
	s_waitcnt lgkmcnt(0)
	s_barrier
	s_barrier
	s_and_saveexec_b64 s[8:9], s[0:1]
; %bb.419:
	v_lshlrev_b32_e32 v22, 4, v15
	v_lshl_or_b32 v22, v16, 9, v22
	ds_write_b128 v22, v[11:14] offset:3136
; %bb.420:
	s_or_b64 exec, exec, s[8:9]
	s_waitcnt lgkmcnt(0)
	s_barrier
	s_barrier
	s_and_saveexec_b64 s[8:9], vcc
	s_cbranch_execz .LBB76_422
; %bb.421:
	v_mov_b32_e32 v32, 0
	ds_read_b128 v[11:14], v32 offset:2640
	ds_read_b128 v[22:25], v32 offset:2112
	;; [unrolled: 1-line block ×3, first 2 shown]
	s_waitcnt lgkmcnt(1)
	v_mul_f64 v[30:31], v[11:12], v[24:25]
	v_mul_f64 v[24:25], v[13:14], v[24:25]
	v_fma_f64 v[13:14], v[13:14], v[22:23], v[30:31]
	v_fma_f64 v[11:12], v[11:12], v[22:23], -v[24:25]
	s_waitcnt lgkmcnt(0)
	v_mul_f64 v[22:23], v[13:14], v[28:29]
	v_mul_f64 v[24:25], v[11:12], v[28:29]
	v_fma_f64 v[11:12], v[26:27], v[11:12], -v[22:23]
	v_fma_f64 v[13:14], v[26:27], v[13:14], v[24:25]
	ds_write_b128 v32, v[11:14] offset:2624
.LBB76_422:
	s_or_b64 exec, exec, s[8:9]
	v_mov_b32_e32 v13, 0
	v_mov_b32_e32 v11, 0
	;; [unrolled: 1-line block ×4, first 2 shown]
	s_waitcnt lgkmcnt(0)
	s_barrier
	buffer_wbinvl1_vol
	s_and_saveexec_b64 s[10:11], s[2:3]
	s_cbranch_execz .LBB76_428
; %bb.423:
	v_lshlrev_b32_e32 v23, 9, v20
	v_lshlrev_b32_e32 v22, 4, v19
	ds_read_b128 v[11:14], v23 offset:2112
	ds_read_b128 v[24:27], v22 offset:2048
	v_cmp_gt_u32_e64 s[8:9], 12, v18
	s_waitcnt lgkmcnt(0)
	v_mul_f64 v[28:29], v[13:14], v[26:27]
	v_mul_f64 v[26:27], v[11:12], v[26:27]
	v_fma_f64 v[11:12], v[11:12], v[24:25], -v[28:29]
	v_fma_f64 v[13:14], v[13:14], v[24:25], v[26:27]
	v_add_f64 v[11:12], v[11:12], 0
	v_add_f64 v[13:14], v[13:14], 0
	s_and_saveexec_b64 s[12:13], s[8:9]
	s_cbranch_execnz .LBB76_542
; %bb.424:
	s_or_b64 exec, exec, s[12:13]
	v_cmp_gt_u32_e64 s[8:9], 8, v18
	s_and_saveexec_b64 s[12:13], s[8:9]
	s_cbranch_execnz .LBB76_543
.LBB76_425:
	s_or_b64 exec, exec, s[12:13]
	v_cmp_gt_u32_e64 s[8:9], 4, v18
	s_and_saveexec_b64 s[12:13], s[8:9]
	s_cbranch_execz .LBB76_427
.LBB76_426:
	v_lshlrev_b32_e32 v26, 4, v0
	v_mov_b32_e32 v22, 0
	ds_read_b128 v[22:25], v22 offset:3696
	ds_read_b128 v[26:29], v26 offset:3584
	s_waitcnt lgkmcnt(0)
	v_mul_f64 v[30:31], v[24:25], v[28:29]
	v_mul_f64 v[28:29], v[22:23], v[28:29]
	v_fma_f64 v[22:23], v[22:23], v[26:27], -v[30:31]
	v_fma_f64 v[24:25], v[24:25], v[26:27], v[28:29]
	v_add_f64 v[11:12], v[11:12], v[22:23]
	v_add_f64 v[13:14], v[13:14], v[24:25]
.LBB76_427:
	s_or_b64 exec, exec, s[12:13]
.LBB76_428:
	s_or_b64 exec, exec, s[10:11]
	s_and_saveexec_b64 s[8:9], s[44:45]
	s_cbranch_execz .LBB76_430
; %bb.429:
	v_mov_b32_e32 v22, 0
	ds_read_b128 v[22:25], v22 offset:1584
	s_waitcnt lgkmcnt(0)
	v_mul_f64 v[26:27], v[13:14], v[24:25]
	v_mul_f64 v[24:25], v[11:12], v[24:25]
	v_fma_f64 v[11:12], v[11:12], v[22:23], -v[26:27]
	v_fma_f64 v[13:14], v[13:14], v[22:23], v[24:25]
	v_xor_b32_e32 v23, 0x80000000, v12
	v_xor_b32_e32 v25, 0x80000000, v14
	v_mov_b32_e32 v22, v11
	v_mov_b32_e32 v24, v13
	ds_write_b128 v21, v[22:25]
.LBB76_430:
	s_or_b64 exec, exec, s[8:9]
	s_waitcnt lgkmcnt(0)
	s_barrier
	s_and_saveexec_b64 s[8:9], s[46:47]
	s_cbranch_execz .LBB76_432
; %bb.431:
	v_lshlrev_b32_e32 v26, 4, v19
	ds_read_b128 v[22:25], v21
	ds_read_b128 v[26:29], v26 offset:1536
	s_waitcnt lgkmcnt(0)
	v_mul_f64 v[30:31], v[24:25], v[28:29]
	v_mul_f64 v[28:29], v[22:23], v[28:29]
	v_fma_f64 v[22:23], v[22:23], v[26:27], -v[30:31]
	v_fma_f64 v[24:25], v[24:25], v[26:27], v[28:29]
	v_add_f64 v[11:12], v[11:12], -v[22:23]
	v_add_f64 v[13:14], v[13:14], -v[24:25]
.LBB76_432:
	s_or_b64 exec, exec, s[8:9]
	s_barrier
	s_and_saveexec_b64 s[8:9], s[48:49]
	s_cbranch_execz .LBB76_434
; %bb.433:
	v_mov_b32_e32 v22, 0
	ds_read_b128 v[22:25], v22 offset:1056
	s_waitcnt lgkmcnt(0)
	v_mul_f64 v[26:27], v[13:14], v[24:25]
	v_mul_f64 v[24:25], v[11:12], v[24:25]
	v_fma_f64 v[11:12], v[11:12], v[22:23], -v[26:27]
	v_fma_f64 v[13:14], v[13:14], v[22:23], v[24:25]
	v_xor_b32_e32 v23, 0x80000000, v12
	v_xor_b32_e32 v25, 0x80000000, v14
	v_mov_b32_e32 v22, v11
	v_mov_b32_e32 v24, v13
	ds_write_b128 v21, v[22:25]
.LBB76_434:
	s_or_b64 exec, exec, s[8:9]
	s_waitcnt lgkmcnt(0)
	s_barrier
	s_and_saveexec_b64 s[8:9], s[50:51]
	s_cbranch_execz .LBB76_436
; %bb.435:
	v_lshlrev_b32_e32 v26, 4, v19
	ds_read_b128 v[22:25], v21
	ds_read_b128 v[26:29], v26 offset:1024
	s_waitcnt lgkmcnt(0)
	v_mul_f64 v[30:31], v[24:25], v[28:29]
	v_mul_f64 v[28:29], v[22:23], v[28:29]
	v_fma_f64 v[22:23], v[22:23], v[26:27], -v[30:31]
	v_fma_f64 v[24:25], v[24:25], v[26:27], v[28:29]
	v_add_f64 v[11:12], v[11:12], -v[22:23]
	v_add_f64 v[13:14], v[13:14], -v[24:25]
.LBB76_436:
	s_or_b64 exec, exec, s[8:9]
	s_barrier
	s_and_saveexec_b64 s[8:9], s[52:53]
	s_cbranch_execz .LBB76_438
; %bb.437:
	v_mov_b32_e32 v22, 0
	ds_read_b128 v[22:25], v22 offset:528
	s_waitcnt lgkmcnt(0)
	v_mul_f64 v[26:27], v[13:14], v[24:25]
	v_mul_f64 v[24:25], v[11:12], v[24:25]
	v_fma_f64 v[11:12], v[11:12], v[22:23], -v[26:27]
	v_fma_f64 v[13:14], v[13:14], v[22:23], v[24:25]
	v_xor_b32_e32 v23, 0x80000000, v12
	v_xor_b32_e32 v25, 0x80000000, v14
	v_mov_b32_e32 v22, v11
	v_mov_b32_e32 v24, v13
	ds_write_b128 v21, v[22:25]
.LBB76_438:
	s_or_b64 exec, exec, s[8:9]
	s_waitcnt lgkmcnt(0)
	s_barrier
	s_and_saveexec_b64 s[8:9], s[42:43]
	s_cbranch_execz .LBB76_440
; %bb.439:
	v_mov_b32_e32 v26, 0
	ds_read_b128 v[22:25], v21
	ds_read_b128 v[26:29], v26 offset:512
	s_waitcnt lgkmcnt(0)
	v_mul_f64 v[30:31], v[24:25], v[28:29]
	v_mul_f64 v[28:29], v[22:23], v[28:29]
	v_fma_f64 v[22:23], v[22:23], v[26:27], -v[30:31]
	v_fma_f64 v[24:25], v[24:25], v[26:27], v[28:29]
	v_add_f64 v[11:12], v[11:12], -v[22:23]
	v_add_f64 v[13:14], v[13:14], -v[24:25]
.LBB76_440:
	s_or_b64 exec, exec, s[8:9]
	s_barrier
	s_and_saveexec_b64 s[8:9], s[42:43]
	s_cbranch_execz .LBB76_442
; %bb.441:
	v_mov_b32_e32 v22, 0
	ds_read_b128 v[22:25], v22
	s_waitcnt lgkmcnt(0)
	v_mul_f64 v[26:27], v[13:14], v[24:25]
	v_mul_f64 v[24:25], v[11:12], v[24:25]
	v_fma_f64 v[11:12], v[11:12], v[22:23], -v[26:27]
	v_fma_f64 v[13:14], v[13:14], v[22:23], v[24:25]
	v_xor_b32_e32 v23, 0x80000000, v12
	v_xor_b32_e32 v25, 0x80000000, v14
	v_mov_b32_e32 v22, v11
	v_mov_b32_e32 v24, v13
	ds_write_b128 v21, v[22:25]
.LBB76_442:
	s_or_b64 exec, exec, s[8:9]
	s_waitcnt lgkmcnt(0)
	s_barrier
	s_barrier
	s_and_saveexec_b64 s[8:9], s[2:3]
; %bb.443:
	v_lshlrev_b32_e32 v19, 4, v19
	v_lshl_or_b32 v19, v20, 9, v19
	ds_write_b128 v19, v[11:14] offset:2048
; %bb.444:
	s_or_b64 exec, exec, s[8:9]
	s_waitcnt lgkmcnt(0)
	s_barrier
	s_barrier
	s_and_saveexec_b64 s[2:3], vcc
	s_cbranch_execz .LBB76_446
; %bb.445:
	v_mov_b32_e32 v29, 0
	ds_read_b128 v[11:14], v29 offset:1584
	ds_read_b128 v[19:22], v29 offset:1056
	;; [unrolled: 1-line block ×3, first 2 shown]
	s_waitcnt lgkmcnt(1)
	v_mul_f64 v[27:28], v[11:12], v[21:22]
	v_mul_f64 v[21:22], v[13:14], v[21:22]
	v_fma_f64 v[13:14], v[13:14], v[19:20], v[27:28]
	v_fma_f64 v[11:12], v[11:12], v[19:20], -v[21:22]
	s_waitcnt lgkmcnt(0)
	v_mul_f64 v[19:20], v[13:14], v[25:26]
	v_mul_f64 v[21:22], v[11:12], v[25:26]
	v_fma_f64 v[11:12], v[23:24], v[11:12], -v[19:20]
	v_fma_f64 v[13:14], v[23:24], v[13:14], v[21:22]
	ds_write_b128 v29, v[11:14] offset:1568
.LBB76_446:
	s_or_b64 exec, exec, s[2:3]
	v_mov_b32_e32 v11, 0
	v_mov_b32_e32 v13, 0
	;; [unrolled: 1-line block ×4, first 2 shown]
	s_waitcnt lgkmcnt(0)
	s_barrier
	buffer_wbinvl1_vol
	s_and_saveexec_b64 s[8:9], s[0:1]
	s_cbranch_execz .LBB76_450
; %bb.447:
	v_lshlrev_b32_e32 v19, 4, v15
	v_lshlrev_b32_e32 v11, 9, v16
	ds_read_b128 v[11:14], v11 offset:1056
	ds_read_b128 v[19:22], v19 offset:1024
	v_cmp_gt_u32_e64 s[2:3], 2, v18
	s_waitcnt lgkmcnt(0)
	v_mul_f64 v[23:24], v[13:14], v[21:22]
	v_mul_f64 v[21:22], v[11:12], v[21:22]
	v_fma_f64 v[11:12], v[11:12], v[19:20], -v[23:24]
	v_fma_f64 v[13:14], v[13:14], v[19:20], v[21:22]
	v_add_f64 v[11:12], v[11:12], 0
	v_add_f64 v[13:14], v[13:14], 0
	s_and_saveexec_b64 s[10:11], s[2:3]
	s_cbranch_execz .LBB76_449
; %bb.448:
	v_lshlrev_b32_e32 v22, 4, v0
	v_mov_b32_e32 v18, 0
	ds_read_b128 v[18:21], v18 offset:1584
	ds_read_b128 v[22:25], v22 offset:1536
	s_waitcnt lgkmcnt(0)
	v_mul_f64 v[26:27], v[20:21], v[24:25]
	v_mul_f64 v[24:25], v[18:19], v[24:25]
	v_fma_f64 v[18:19], v[18:19], v[22:23], -v[26:27]
	v_fma_f64 v[20:21], v[20:21], v[22:23], v[24:25]
	v_add_f64 v[11:12], v[11:12], v[18:19]
	v_add_f64 v[13:14], v[13:14], v[20:21]
.LBB76_449:
	s_or_b64 exec, exec, s[10:11]
.LBB76_450:
	s_or_b64 exec, exec, s[8:9]
	s_and_saveexec_b64 s[2:3], s[40:41]
	s_cbranch_execz .LBB76_452
; %bb.451:
	v_mov_b32_e32 v18, 0
	ds_read_b128 v[18:21], v18 offset:528
	s_waitcnt lgkmcnt(0)
	v_mul_f64 v[22:23], v[13:14], v[20:21]
	v_mul_f64 v[20:21], v[11:12], v[20:21]
	v_fma_f64 v[11:12], v[11:12], v[18:19], -v[22:23]
	v_fma_f64 v[13:14], v[13:14], v[18:19], v[20:21]
	v_xor_b32_e32 v19, 0x80000000, v12
	v_xor_b32_e32 v21, 0x80000000, v14
	v_mov_b32_e32 v18, v11
	v_mov_b32_e32 v20, v13
	ds_write_b128 v17, v[18:21]
.LBB76_452:
	s_or_b64 exec, exec, s[2:3]
	s_waitcnt lgkmcnt(0)
	s_barrier
	s_and_saveexec_b64 s[2:3], s[38:39]
	s_cbranch_execz .LBB76_454
; %bb.453:
	v_mov_b32_e32 v22, 0
	ds_read_b128 v[18:21], v17
	ds_read_b128 v[22:25], v22 offset:512
	s_waitcnt lgkmcnt(0)
	v_mul_f64 v[26:27], v[20:21], v[24:25]
	v_mul_f64 v[24:25], v[18:19], v[24:25]
	v_fma_f64 v[18:19], v[18:19], v[22:23], -v[26:27]
	v_fma_f64 v[20:21], v[20:21], v[22:23], v[24:25]
	v_add_f64 v[11:12], v[11:12], -v[18:19]
	v_add_f64 v[13:14], v[13:14], -v[20:21]
.LBB76_454:
	s_or_b64 exec, exec, s[2:3]
	s_barrier
	s_and_saveexec_b64 s[2:3], s[38:39]
	s_cbranch_execz .LBB76_456
; %bb.455:
	v_mov_b32_e32 v18, 0
	ds_read_b128 v[18:21], v18
	s_waitcnt lgkmcnt(0)
	v_mul_f64 v[22:23], v[13:14], v[20:21]
	v_mul_f64 v[20:21], v[11:12], v[20:21]
	v_fma_f64 v[11:12], v[11:12], v[18:19], -v[22:23]
	v_fma_f64 v[13:14], v[13:14], v[18:19], v[20:21]
	v_xor_b32_e32 v19, 0x80000000, v12
	v_xor_b32_e32 v21, 0x80000000, v14
	v_mov_b32_e32 v18, v11
	v_mov_b32_e32 v20, v13
	ds_write_b128 v17, v[18:21]
.LBB76_456:
	s_or_b64 exec, exec, s[2:3]
	s_waitcnt lgkmcnt(0)
	s_barrier
	s_barrier
	s_and_saveexec_b64 s[2:3], s[0:1]
; %bb.457:
	v_lshlrev_b32_e32 v15, 4, v15
	v_lshl_or_b32 v15, v16, 9, v15
	ds_write_b128 v15, v[11:14] offset:1024
; %bb.458:
	s_or_b64 exec, exec, s[2:3]
	s_waitcnt lgkmcnt(0)
	s_barrier
	s_barrier
	s_and_saveexec_b64 s[0:1], vcc
	s_cbranch_execz .LBB76_460
; %bb.459:
	v_mov_b32_e32 v25, 0
	ds_read_b128 v[11:14], v25 offset:528
	ds_read_b128 v[15:18], v25
	ds_read_b128 v[19:22], v25 offset:512
	s_waitcnt lgkmcnt(1)
	v_mul_f64 v[23:24], v[11:12], v[17:18]
	v_mul_f64 v[17:18], v[13:14], v[17:18]
	v_fma_f64 v[13:14], v[13:14], v[15:16], v[23:24]
	v_fma_f64 v[11:12], v[11:12], v[15:16], -v[17:18]
	s_waitcnt lgkmcnt(0)
	v_mul_f64 v[15:16], v[13:14], v[21:22]
	v_mul_f64 v[17:18], v[11:12], v[21:22]
	v_fma_f64 v[11:12], v[19:20], v[11:12], -v[15:16]
	v_fma_f64 v[13:14], v[19:20], v[13:14], v[17:18]
	ds_write_b128 v25, v[11:14] offset:512
.LBB76_460:
	s_or_b64 exec, exec, s[0:1]
.LBB76_461:
	s_load_dwordx4 s[12:15], s[4:5], 0x48
	v_cmp_le_i32_e32 vcc, s87, v0
	v_mov_b32_e32 v13, 0
	v_mov_b32_e32 v11, 0
	;; [unrolled: 1-line block ×3, first 2 shown]
	s_waitcnt lgkmcnt(0)
	s_mul_i32 s1, s13, s34
	s_mul_hi_u32 s2, s12, s34
	s_mul_i32 s0, s12, s34
	s_add_i32 s1, s2, s1
	s_lshl_b64 s[0:1], s[0:1], 4
	s_add_u32 s2, s22, s0
	s_addc_u32 s3, s23, s1
	s_lshl_b64 s[0:1], s[24:25], 4
	s_add_u32 s38, s2, s0
	s_addc_u32 s39, s3, s1
	s_and_b64 s[12:13], vcc, s[18:19]
	v_cmp_eq_u32_e64 s[0:1], 0, v2
	s_xor_b64 s[2:3], s[12:13], -1
	s_and_b64 s[4:5], s[0:1], s[2:3]
	v_mov_b32_e32 v12, 0
	v_add_u32_e32 v16, s33, v0
	s_barrier
	s_and_saveexec_b64 s[2:3], s[4:5]
	s_cbranch_execz .LBB76_463
; %bb.462:
	v_ashrrev_i32_e32 v13, 31, v16
	v_mul_lo_u32 v14, s27, v16
	v_mad_u64_u32 v[11:12], s[4:5], s26, v16, 0
	v_mul_lo_u32 v13, s26, v13
	v_add3_u32 v12, v12, v13, v14
	v_lshlrev_b64 v[11:12], 4, v[11:12]
	v_mov_b32_e32 v13, s39
	v_add_co_u32_e32 v11, vcc, s38, v11
	v_addc_co_u32_e32 v12, vcc, v13, v12, vcc
	global_load_dwordx4 v[11:14], v[11:12], off
	s_waitcnt vmcnt(0)
	v_mul_f64 v[17:18], s[28:29], v[11:12]
	v_mul_f64 v[19:20], s[28:29], v[13:14]
	v_fma_f64 v[13:14], s[30:31], v[13:14], -v[17:18]
	v_fma_f64 v[11:12], v[11:12], -s[30:31], -v[19:20]
.LBB76_463:
	s_or_b64 exec, exec, s[2:3]
	s_and_b32 s2, 0xffff, s91
	v_mad_u32_u24 v22, v2, s2, v0
	v_mov_b32_e32 v15, 0
	s_cmp_lt_i32 s6, 1
	v_cmp_eq_u32_e64 s[2:3], 0, v22
	s_cbranch_scc1 .LBB76_486
; %bb.464:
	v_ashrrev_i32_e32 v17, 31, v16
	v_cmp_gt_i32_e64 s[10:11], s36, v16
	v_lshlrev_b64 v[16:17], 4, v[16:17]
	s_lshl_b64 s[4:5], s[34:35], 2
	v_mov_b32_e32 v18, 0x6000
	s_add_u32 s22, s14, s4
	v_lshl_add_u32 v23, v22, 4, v18
	v_lshl_or_b32 v24, v2, 4, v18
	v_mov_b32_e32 v18, s89
	v_add_co_u32_e32 v25, vcc, s88, v16
	s_mov_b32 s30, 0
	s_addc_u32 s23, s15, s5
	v_cmp_gt_u32_e64 s[4:5], 32, v22
	s_add_i32 s90, s90, 1
	v_addc_co_u32_e32 v26, vcc, v18, v17, vcc
	s_lshl_b64 s[24:25], s[16:17], 8
	v_mov_b32_e32 v27, -1
	s_branch .LBB76_467
.LBB76_465:                             ;   in Loop: Header=BB76_467 Depth=1
	ds_read_b128 v[28:31], v24 offset:256
	s_waitcnt vmcnt(0) lgkmcnt(0)
	v_mul_f64 v[18:19], v[20:21], v[30:31]
	v_mul_f64 v[30:31], v[16:17], v[30:31]
	v_fma_f64 v[16:17], v[16:17], v[28:29], -v[18:19]
	v_fma_f64 v[18:19], v[20:21], v[28:29], v[30:31]
	v_add_f64 v[13:14], v[13:14], v[16:17]
	v_add_f64 v[11:12], v[11:12], v[18:19]
.LBB76_466:                             ;   in Loop: Header=BB76_467 Depth=1
	s_or_b64 exec, exec, s[28:29]
	s_add_i32 s30, s30, 1
	s_cmp_eq_u32 s30, s6
	s_cbranch_scc1 .LBB76_486
.LBB76_467:                             ; =>This Loop Header: Depth=1
                                        ;     Child Loop BB76_469 Depth 2
	v_cmp_gt_i32_e32 vcc, s30, v27
	s_and_b64 s[28:29], s[2:3], vcc
	s_and_saveexec_b64 s[8:9], s[28:29]
	s_cbranch_execz .LBB76_470
; %bb.468:                              ;   in Loop: Header=BB76_467 Depth=1
	global_load_dword v27, v15, s[22:23]
	s_waitcnt vmcnt(0)
	v_cmp_le_i32_e32 vcc, s30, v27
	s_cbranch_vccnz .LBB76_470
.LBB76_469:                             ;   Parent Loop BB76_467 Depth=1
                                        ; =>  This Inner Loop Header: Depth=2
	buffer_wbinvl1_vol
	global_load_dword v27, v15, s[22:23]
	s_waitcnt vmcnt(0)
	v_cmp_gt_i32_e32 vcc, s30, v27
	s_cbranch_vccnz .LBB76_469
.LBB76_470:                             ;   in Loop: Header=BB76_467 Depth=1
	s_or_b64 exec, exec, s[8:9]
	s_sub_i32 s31, s7, s30
	s_lshl_b32 s40, s31, 5
	buffer_wbinvl1_vol
	s_barrier
	s_and_saveexec_b64 s[8:9], s[4:5]
	s_cbranch_execz .LBB76_475
; %bb.471:                              ;   in Loop: Header=BB76_467 Depth=1
	s_ashr_i32 s28, s40, 31
	v_mov_b32_e32 v17, s28
	v_or_b32_e32 v16, s40, v22
	v_cmp_le_i64_e32 vcc, s[36:37], v[16:17]
	s_and_saveexec_b64 s[28:29], vcc
	s_xor_b64 s[28:29], exec, s[28:29]
; %bb.472:                              ;   in Loop: Header=BB76_467 Depth=1
	v_mov_b32_e32 v16, v15
	v_mov_b32_e32 v17, v15
	;; [unrolled: 1-line block ×3, first 2 shown]
	ds_write_b128 v23, v[15:18]
                                        ; implicit-def: $vgpr16_vgpr17
; %bb.473:                              ;   in Loop: Header=BB76_467 Depth=1
	s_andn2_saveexec_b64 s[28:29], s[28:29]
	s_cbranch_execz .LBB76_475
; %bb.474:                              ;   in Loop: Header=BB76_467 Depth=1
	v_mul_lo_u32 v18, v17, s26
	v_mul_lo_u32 v19, v16, s27
	v_mad_u64_u32 v[16:17], s[28:29], v16, s26, 0
	v_add3_u32 v17, v17, v19, v18
	v_lshlrev_b64 v[16:17], 4, v[16:17]
	v_mov_b32_e32 v18, s39
	v_add_co_u32_e32 v16, vcc, s38, v16
	v_addc_co_u32_e32 v17, vcc, v18, v17, vcc
	global_load_dwordx4 v[16:19], v[16:17], off
	s_waitcnt vmcnt(0)
	ds_write2_b64 v23, v[16:17], v[18:19] offset1:1
.LBB76_475:                             ;   in Loop: Header=BB76_467 Depth=1
	s_or_b64 exec, exec, s[8:9]
	v_add_u32_e32 v28, s40, v2
	v_ashrrev_i32_e32 v18, 31, v28
	v_mul_lo_u32 v19, s17, v28
	v_mad_u64_u32 v[16:17], s[8:9], s16, v28, 0
	v_mul_lo_u32 v18, s16, v18
	s_cmp_lg_u32 s31, s90
	s_cselect_b64 s[8:9], -1, 0
	s_waitcnt lgkmcnt(0)
	v_add3_u32 v17, v17, v18, v19
	v_lshlrev_b64 v[16:17], 4, v[16:17]
	v_cndmask_b32_e64 v18, 0, 1, s[8:9]
	v_add_co_u32_e32 v16, vcc, v25, v16
	v_addc_co_u32_e32 v17, vcc, v26, v17, vcc
	v_cmp_gt_i32_e32 vcc, s36, v28
	s_and_b64 s[40:41], s[10:11], vcc
	v_cmp_ne_u32_e64 s[8:9], 1, v18
	s_barrier
	s_and_saveexec_b64 s[28:29], s[40:41]
	s_cbranch_execz .LBB76_481
; %bb.476:                              ;   in Loop: Header=BB76_467 Depth=1
	v_mov_b32_e32 v19, v4
	s_and_b64 vcc, exec, s[8:9]
	v_mov_b32_e32 v18, v3
	s_cbranch_vccnz .LBB76_478
; %bb.477:                              ;   in Loop: Header=BB76_467 Depth=1
	global_load_dwordx2 v[18:19], v[16:17], off
.LBB76_478:                             ;   in Loop: Header=BB76_467 Depth=1
	v_mov_b32_e32 v21, v6
	s_and_b64 vcc, exec, s[8:9]
	v_mov_b32_e32 v20, v5
	s_cbranch_vccnz .LBB76_480
; %bb.479:                              ;   in Loop: Header=BB76_467 Depth=1
	global_load_dwordx2 v[20:21], v[16:17], off offset:8
.LBB76_480:                             ;   in Loop: Header=BB76_467 Depth=1
	ds_read_b128 v[29:32], v24
	s_waitcnt vmcnt(0) lgkmcnt(0)
	v_mul_f64 v[33:34], v[20:21], v[31:32]
	v_mul_f64 v[31:32], v[18:19], v[31:32]
	v_fma_f64 v[18:19], v[18:19], v[29:30], -v[33:34]
	v_fma_f64 v[20:21], v[20:21], v[29:30], v[31:32]
	v_add_f64 v[13:14], v[13:14], v[18:19]
	v_add_f64 v[11:12], v[11:12], v[20:21]
.LBB76_481:                             ;   in Loop: Header=BB76_467 Depth=1
	s_or_b64 exec, exec, s[28:29]
	v_add_u32_e32 v18, 16, v28
	v_cmp_gt_i32_e32 vcc, s36, v18
	s_and_b64 s[40:41], s[10:11], vcc
	s_and_saveexec_b64 s[28:29], s[40:41]
	s_cbranch_execz .LBB76_466
; %bb.482:                              ;   in Loop: Header=BB76_467 Depth=1
	v_mov_b32_e32 v19, s25
	v_add_co_u32_e32 v18, vcc, s24, v16
	v_addc_co_u32_e32 v19, vcc, v17, v19, vcc
	v_mov_b32_e32 v17, v8
	s_and_b64 vcc, exec, s[8:9]
	v_mov_b32_e32 v16, v7
	s_cbranch_vccnz .LBB76_484
; %bb.483:                              ;   in Loop: Header=BB76_467 Depth=1
	global_load_dwordx2 v[16:17], v[18:19], off
.LBB76_484:                             ;   in Loop: Header=BB76_467 Depth=1
	v_mov_b32_e32 v21, v10
	s_and_b64 vcc, exec, s[8:9]
	v_mov_b32_e32 v20, v9
	s_cbranch_vccnz .LBB76_465
; %bb.485:                              ;   in Loop: Header=BB76_467 Depth=1
	global_load_dwordx2 v[20:21], v[18:19], off offset:8
	s_branch .LBB76_465
.LBB76_486:
	s_xor_b64 s[2:3], s[18:19], -1
	s_xor_b64 s[4:5], s[20:21], -1
	v_lshlrev_b32_e32 v1, 4, v1
	v_mov_b32_e32 v15, v11
	v_mov_b32_e32 v16, v12
	ds_write_b128 v1, v[13:16] offset:16384
	s_waitcnt lgkmcnt(0)
	s_barrier
	s_and_saveexec_b64 s[6:7], s[0:1]
	s_cbranch_execz .LBB76_488
; %bb.487:
	v_lshlrev_b32_e32 v15, 4, v0
	ds_read_b128 v[3:6], v15 offset:16896
	ds_read_b128 v[7:10], v15 offset:17408
	s_waitcnt lgkmcnt(1)
	v_add_f64 v[3:4], v[13:14], v[3:4]
	v_add_f64 v[5:6], v[11:12], v[5:6]
	s_waitcnt lgkmcnt(0)
	v_add_f64 v[11:12], v[3:4], v[7:8]
	v_add_f64 v[13:14], v[5:6], v[9:10]
	ds_read_b128 v[3:6], v15 offset:17920
	ds_read_b128 v[7:10], v15 offset:18432
	s_waitcnt lgkmcnt(1)
	v_add_f64 v[3:4], v[11:12], v[3:4]
	v_add_f64 v[5:6], v[13:14], v[5:6]
	s_waitcnt lgkmcnt(0)
	v_add_f64 v[11:12], v[3:4], v[7:8]
	v_add_f64 v[13:14], v[5:6], v[9:10]
	;; [unrolled: 8-line block ×7, first 2 shown]
	ds_read_b128 v[3:6], v15 offset:24064
	s_waitcnt lgkmcnt(0)
	v_add_f64 v[3:4], v[7:8], v[3:4]
	v_add_f64 v[5:6], v[9:10], v[5:6]
	v_xor_b32_e32 v4, 0x80000000, v4
	v_xor_b32_e32 v6, 0x80000000, v6
	v_cndmask_b32_e64 v13, v3, 0, s[12:13]
	v_cndmask_b32_e64 v14, v4, 0, s[12:13]
	;; [unrolled: 1-line block ×4, first 2 shown]
.LBB76_488:
	s_or_b64 exec, exec, s[6:7]
	s_andn2_b64 vcc, exec, s[4:5]
	s_cbranch_vccnz .LBB76_497
; %bb.489:
	v_mov_b32_e32 v3, 0x6000
	v_lshl_or_b32 v7, v2, 4, v3
	s_and_saveexec_b64 s[4:5], s[0:1]
; %bb.490:
	v_lshl_add_u32 v3, v0, 4, v7
	v_mov_b32_e32 v15, v11
	v_mov_b32_e32 v16, v12
	ds_write_b128 v3, v[13:16]
; %bb.491:
	s_or_b64 exec, exec, s[4:5]
	v_mov_b32_e32 v3, 0
	v_mov_b32_e32 v5, 0
	;; [unrolled: 1-line block ×4, first 2 shown]
	v_cmp_le_u32_e32 vcc, v0, v2
	s_waitcnt lgkmcnt(0)
	s_barrier
	s_and_saveexec_b64 s[4:5], vcc
	s_cbranch_execz .LBB76_493
; %bb.492:
	ds_read_b128 v[3:6], v7
	ds_read_b128 v[15:18], v1
	s_waitcnt lgkmcnt(0)
	v_mul_f64 v[8:9], v[5:6], v[17:18]
	v_mul_f64 v[17:18], v[3:4], v[17:18]
	v_fma_f64 v[3:4], v[3:4], v[15:16], -v[8:9]
	v_fma_f64 v[5:6], v[5:6], v[15:16], v[17:18]
	v_add_f64 v[3:4], v[3:4], 0
	v_add_f64 v[5:6], v[5:6], 0
.LBB76_493:
	s_or_b64 exec, exec, s[4:5]
	v_add_u32_e32 v2, 16, v2
	v_add_u32_e32 v8, 0x4000, v1
	v_cmp_le_u32_e32 vcc, v0, v2
	s_and_saveexec_b64 s[4:5], vcc
	s_cbranch_execz .LBB76_495
; %bb.494:
	ds_read_b128 v[15:18], v7 offset:256
	ds_read_b128 v[23:26], v1 offset:8192
	s_waitcnt lgkmcnt(0)
	v_mul_f64 v[1:2], v[17:18], v[25:26]
	v_mul_f64 v[9:10], v[15:16], v[25:26]
	v_fma_f64 v[1:2], v[15:16], v[23:24], -v[1:2]
	v_fma_f64 v[9:10], v[17:18], v[23:24], v[9:10]
	v_add_f64 v[3:4], v[3:4], v[1:2]
	v_add_f64 v[5:6], v[5:6], v[9:10]
.LBB76_495:
	s_or_b64 exec, exec, s[4:5]
	s_mov_b64 s[6:7], 0
	s_mov_b64 s[4:5], 0
	ds_write_b128 v8, v[3:6]
	s_waitcnt lgkmcnt(0)
	s_barrier
                                        ; implicit-def: $vgpr1_vgpr2
                                        ; implicit-def: $vgpr7_vgpr8
	s_and_saveexec_b64 s[8:9], s[0:1]
	s_cbranch_execz .LBB76_516
; %bb.496:
	v_lshlrev_b32_e32 v19, 4, v0
	ds_read_b128 v[7:10], v19 offset:16896
	ds_read_b128 v[15:18], v19 offset:17408
	s_mov_b64 s[4:5], exec
	s_waitcnt lgkmcnt(1)
	v_add_f64 v[1:2], v[3:4], v[7:8]
	v_add_f64 v[3:4], v[5:6], v[9:10]
	s_waitcnt lgkmcnt(0)
	v_add_f64 v[9:10], v[1:2], v[15:16]
	v_add_f64 v[15:16], v[3:4], v[17:18]
	ds_read_b128 v[1:4], v19 offset:17920
	ds_read_b128 v[5:8], v19 offset:18432
	s_waitcnt lgkmcnt(1)
	v_add_f64 v[1:2], v[9:10], v[1:2]
	v_add_f64 v[3:4], v[15:16], v[3:4]
	s_waitcnt lgkmcnt(0)
	v_add_f64 v[9:10], v[1:2], v[5:6]
	v_add_f64 v[15:16], v[3:4], v[7:8]
	ds_read_b128 v[1:4], v19 offset:18944
	ds_read_b128 v[5:8], v19 offset:19456
	;; [unrolled: 8-line block ×6, first 2 shown]
	s_waitcnt lgkmcnt(1)
	v_add_f64 v[1:2], v[9:10], v[1:2]
	v_add_f64 v[3:4], v[15:16], v[3:4]
	s_waitcnt lgkmcnt(0)
	v_add_f64 v[5:6], v[1:2], v[5:6]
	v_add_f64 v[9:10], v[3:4], v[7:8]
	ds_read_b128 v[1:4], v19 offset:24064
	s_waitcnt lgkmcnt(0)
	v_add_f64 v[7:8], v[5:6], v[1:2]
	v_add_f64 v[1:2], v[9:10], v[3:4]
	s_or_b64 exec, exec, s[8:9]
	s_and_b64 vcc, exec, s[6:7]
	s_cbranch_vccnz .LBB76_498
	s_branch .LBB76_517
.LBB76_497:
	s_mov_b64 s[4:5], 0
                                        ; implicit-def: $vgpr1_vgpr2
                                        ; implicit-def: $vgpr7_vgpr8
	s_cbranch_execz .LBB76_517
.LBB76_498:
	s_movk_i32 s6, 0x210
	v_lshlrev_b32_e32 v2, 9, v0
	v_mov_b32_e32 v3, 0x3c00
	v_mul_u32_u24_e32 v1, 0x210, v0
	v_sub_u32_e32 v2, 0, v2
	v_mad_u32_u24 v3, v0, s6, v3
	s_mov_b32 s8, 31
	s_movk_i32 s9, 0xc200
	v_mov_b32_e32 v4, 0
	s_branch .LBB76_500
.LBB76_499:                             ;   in Loop: Header=BB76_500 Depth=1
	s_or_b64 exec, exec, s[6:7]
	s_add_i32 s8, s8, -2
	s_cmp_lg_u32 s10, 0
	v_add_u32_e32 v2, 0xfffffc00, v2
	s_barrier
	s_cbranch_scc0 .LBB76_508
.LBB76_500:                             ; =>This Inner Loop Header: Depth=1
	v_cmp_eq_u32_e32 vcc, s9, v2
	s_and_b64 s[10:11], s[0:1], vcc
	s_and_saveexec_b64 s[6:7], s[10:11]
	s_cbranch_execz .LBB76_502
; %bb.501:                              ;   in Loop: Header=BB76_500 Depth=1
	ds_read_b128 v[5:8], v1
	s_waitcnt lgkmcnt(0)
	v_mul_f64 v[9:10], v[11:12], v[7:8]
	v_mul_f64 v[7:8], v[13:14], v[7:8]
	v_fma_f64 v[9:10], v[13:14], v[5:6], -v[9:10]
	v_fma_f64 v[11:12], v[11:12], v[5:6], v[7:8]
	v_mov_b32_e32 v14, v10
	v_mov_b32_e32 v13, v9
	ds_write_b128 v4, v[9:12] offset:25088
.LBB76_502:                             ;   in Loop: Header=BB76_500 Depth=1
	s_or_b64 exec, exec, s[6:7]
	v_cmp_gt_u32_e32 vcc, s8, v0
	s_and_b64 s[10:11], s[0:1], vcc
	v_add_u32_e32 v5, v3, v2
	s_waitcnt lgkmcnt(0)
	s_barrier
	s_and_saveexec_b64 s[6:7], s[10:11]
	s_cbranch_execz .LBB76_504
; %bb.503:                              ;   in Loop: Header=BB76_500 Depth=1
	ds_read_b128 v[6:9], v4 offset:25088
	ds_read_b128 v[15:18], v5 offset:512
	s_waitcnt lgkmcnt(0)
	v_mul_f64 v[19:20], v[8:9], v[17:18]
	v_mul_f64 v[17:18], v[6:7], v[17:18]
	v_fma_f64 v[6:7], v[6:7], v[15:16], -v[19:20]
	v_fma_f64 v[8:9], v[8:9], v[15:16], v[17:18]
	v_add_f64 v[13:14], v[13:14], v[6:7]
	v_add_f64 v[11:12], v[11:12], v[8:9]
.LBB76_504:                             ;   in Loop: Header=BB76_500 Depth=1
	s_or_b64 exec, exec, s[6:7]
	s_add_i32 s10, s8, -1
	v_cmp_eq_u32_e32 vcc, s10, v0
	s_and_b64 s[12:13], s[0:1], vcc
	s_barrier
	s_and_saveexec_b64 s[6:7], s[12:13]
	s_cbranch_execz .LBB76_506
; %bb.505:                              ;   in Loop: Header=BB76_500 Depth=1
	ds_read_b128 v[6:9], v1
	s_waitcnt lgkmcnt(0)
	v_mul_f64 v[15:16], v[11:12], v[8:9]
	v_mul_f64 v[17:18], v[13:14], v[8:9]
	v_fma_f64 v[9:10], v[13:14], v[6:7], -v[15:16]
	v_fma_f64 v[11:12], v[11:12], v[6:7], v[17:18]
	v_mov_b32_e32 v14, v10
	v_mov_b32_e32 v13, v9
	ds_write_b128 v4, v[9:12] offset:25088
.LBB76_506:                             ;   in Loop: Header=BB76_500 Depth=1
	s_or_b64 exec, exec, s[6:7]
	v_cmp_gt_u32_e32 vcc, s10, v0
	s_and_b64 s[12:13], s[0:1], vcc
	s_waitcnt lgkmcnt(0)
	s_barrier
	s_and_saveexec_b64 s[6:7], s[12:13]
	s_cbranch_execz .LBB76_499
; %bb.507:                              ;   in Loop: Header=BB76_500 Depth=1
	ds_read_b128 v[6:9], v4 offset:25088
	ds_read_b128 v[15:18], v5
	s_waitcnt lgkmcnt(0)
	v_mul_f64 v[19:20], v[8:9], v[17:18]
	v_mul_f64 v[17:18], v[6:7], v[17:18]
	v_fma_f64 v[5:6], v[6:7], v[15:16], -v[19:20]
	v_fma_f64 v[7:8], v[8:9], v[15:16], v[17:18]
	v_add_f64 v[13:14], v[13:14], v[5:6]
	v_add_f64 v[11:12], v[11:12], v[7:8]
	s_branch .LBB76_499
.LBB76_508:
	s_mov_b64 s[6:7], -1
	s_and_b64 vcc, exec, s[2:3]
	s_cbranch_vccnz .LBB76_518
; %bb.509:
	s_andn2_b64 vcc, exec, s[6:7]
	s_cbranch_vccz .LBB76_519
.LBB76_510:
	s_and_saveexec_b64 s[0:1], s[4:5]
	s_cbranch_execz .LBB76_512
.LBB76_511:
	v_mov_b32_e32 v0, s86
	v_add_co_u32_e32 v1, vcc, s33, v22
	v_addc_co_u32_e32 v0, vcc, 0, v0, vcc
	v_mul_lo_u32 v2, v0, s26
	v_mul_lo_u32 v3, v1, s27
	v_mad_u64_u32 v[0:1], s[2:3], v1, s26, 0
	v_mov_b32_e32 v15, v11
	v_mov_b32_e32 v16, v12
	v_add3_u32 v1, v1, v3, v2
	v_lshlrev_b64 v[0:1], 4, v[0:1]
	v_mov_b32_e32 v2, s39
	v_add_co_u32_e32 v0, vcc, s38, v0
	v_addc_co_u32_e32 v1, vcc, v2, v1, vcc
	global_store_dwordx4 v[0:1], v[13:16], off
.LBB76_512:
	s_or_b64 exec, exec, s[0:1]
	v_cmp_eq_u32_e32 vcc, 0, v22
	s_waitcnt vmcnt(0)
	buffer_wbinvl1_vol
	s_barrier
	s_and_saveexec_b64 s[0:1], vcc
	s_cbranch_execz .LBB76_514
; %bb.513:
	s_lshl_b64 s[2:3], s[34:35], 2
	s_add_u32 s2, s14, s2
	s_addc_u32 s3, s15, s3
	v_mov_b32_e32 v0, 0
	global_load_dword v1, v0, s[2:3]
	s_waitcnt vmcnt(0)
	v_add_u32_e32 v1, 1, v1
	global_store_dword v0, v1, s[2:3]
.LBB76_514:
	s_or_b64 exec, exec, s[0:1]
	s_waitcnt vmcnt(0)
	buffer_wbinvl1_vol
	s_endpgm
.LBB76_515:
                                        ; implicit-def: $vgpr9_vgpr10
                                        ; implicit-def: $vgpr5_vgpr6
                                        ; implicit-def: $sgpr33
	s_cbranch_execnz .LBB76_6
	s_branch .LBB76_7
.LBB76_516:
	s_or_b64 exec, exec, s[8:9]
	s_and_b64 vcc, exec, s[6:7]
	s_cbranch_vccnz .LBB76_498
.LBB76_517:
	v_mov_b32_e32 v12, v2
	v_mov_b32_e32 v14, v8
	;; [unrolled: 1-line block ×4, first 2 shown]
	s_and_saveexec_b64 s[0:1], s[4:5]
	s_cbranch_execnz .LBB76_511
	s_branch .LBB76_512
.LBB76_518:
	s_andn2_b64 s[2:3], s[4:5], exec
	s_and_b64 s[4:5], s[0:1], exec
	s_or_b64 s[4:5], s[2:3], s[4:5]
	s_cbranch_execnz .LBB76_510
.LBB76_519:
	v_cmp_gt_i32_e32 vcc, s87, v0
	s_and_b64 s[0:1], s[0:1], vcc
	s_andn2_b64 s[2:3], s[4:5], exec
	s_and_b64 s[0:1], s[0:1], exec
	s_or_b64 s[4:5], s[2:3], s[0:1]
	s_and_saveexec_b64 s[0:1], s[4:5]
	s_cbranch_execnz .LBB76_511
	s_branch .LBB76_512
.LBB76_520:
	ds_read_b128 v[24:27], v23 offset:14800
	ds_read_b128 v[28:31], v22 offset:15232
	s_waitcnt lgkmcnt(0)
	v_mul_f64 v[32:33], v[26:27], v[30:31]
	v_mul_f64 v[30:31], v[24:25], v[30:31]
	v_fma_f64 v[24:25], v[24:25], v[28:29], -v[32:33]
	v_fma_f64 v[26:27], v[26:27], v[28:29], v[30:31]
	v_add_f64 v[11:12], v[11:12], v[24:25]
	v_add_f64 v[13:14], v[13:14], v[26:27]
	s_or_b64 exec, exec, s[14:15]
	v_cmp_gt_u32_e64 s[10:11], 8, v18
	s_and_saveexec_b64 s[14:15], s[10:11]
	s_cbranch_execz .LBB76_87
.LBB76_521:
	ds_read_b128 v[23:26], v23 offset:14816
	ds_read_b128 v[27:30], v22 offset:15744
	s_waitcnt lgkmcnt(0)
	v_mul_f64 v[31:32], v[25:26], v[29:30]
	v_mul_f64 v[29:30], v[23:24], v[29:30]
	v_fma_f64 v[22:23], v[23:24], v[27:28], -v[31:32]
	v_fma_f64 v[24:25], v[25:26], v[27:28], v[29:30]
	v_add_f64 v[11:12], v[11:12], v[22:23]
	v_add_f64 v[13:14], v[13:14], v[24:25]
	s_or_b64 exec, exec, s[14:15]
	v_cmp_gt_u32_e64 s[10:11], 4, v18
	s_and_saveexec_b64 s[14:15], s[10:11]
	s_cbranch_execnz .LBB76_88
	s_branch .LBB76_89
.LBB76_522:
	ds_read_b128 v[27:30], v26 offset:12688
	ds_read_b128 v[31:34], v25 offset:13056
	s_waitcnt lgkmcnt(0)
	v_mul_f64 v[35:36], v[29:30], v[33:34]
	v_mul_f64 v[33:34], v[27:28], v[33:34]
	v_fma_f64 v[27:28], v[27:28], v[31:32], -v[35:36]
	v_fma_f64 v[29:30], v[29:30], v[31:32], v[33:34]
	v_add_f64 v[11:12], v[11:12], v[27:28]
	v_add_f64 v[13:14], v[13:14], v[29:30]
	s_or_b64 exec, exec, s[54:55]
	v_cmp_gt_u32_e64 s[10:11], 48, v18
	s_and_saveexec_b64 s[54:55], s[10:11]
	s_cbranch_execz .LBB76_125
.LBB76_523:
	ds_read_b128 v[27:30], v26 offset:12704
	ds_read_b128 v[31:34], v25 offset:13568
	s_waitcnt lgkmcnt(0)
	v_mul_f64 v[35:36], v[29:30], v[33:34]
	v_mul_f64 v[33:34], v[27:28], v[33:34]
	v_fma_f64 v[27:28], v[27:28], v[31:32], -v[35:36]
	v_fma_f64 v[29:30], v[29:30], v[31:32], v[33:34]
	v_add_f64 v[11:12], v[11:12], v[27:28]
	v_add_f64 v[13:14], v[13:14], v[29:30]
	s_or_b64 exec, exec, s[54:55]
	v_cmp_gt_u32_e64 s[10:11], 40, v18
	s_and_saveexec_b64 s[54:55], s[10:11]
	s_cbranch_execz .LBB76_126
.LBB76_524:
	ds_read_b128 v[27:30], v26 offset:12720
	ds_read_b128 v[31:34], v25 offset:14080
	s_waitcnt lgkmcnt(0)
	v_mul_f64 v[35:36], v[29:30], v[33:34]
	v_mul_f64 v[33:34], v[27:28], v[33:34]
	v_fma_f64 v[27:28], v[27:28], v[31:32], -v[35:36]
	v_fma_f64 v[29:30], v[29:30], v[31:32], v[33:34]
	v_add_f64 v[11:12], v[11:12], v[27:28]
	v_add_f64 v[13:14], v[13:14], v[29:30]
	s_or_b64 exec, exec, s[54:55]
	v_cmp_gt_u32_e64 s[10:11], 32, v18
	s_and_saveexec_b64 s[54:55], s[10:11]
	s_cbranch_execz .LBB76_127
.LBB76_525:
	ds_read_b128 v[27:30], v26 offset:12736
	ds_read_b128 v[31:34], v25 offset:14592
	s_waitcnt lgkmcnt(0)
	v_mul_f64 v[35:36], v[29:30], v[33:34]
	v_mul_f64 v[33:34], v[27:28], v[33:34]
	v_fma_f64 v[27:28], v[27:28], v[31:32], -v[35:36]
	v_fma_f64 v[29:30], v[29:30], v[31:32], v[33:34]
	v_add_f64 v[11:12], v[11:12], v[27:28]
	v_add_f64 v[13:14], v[13:14], v[29:30]
	s_or_b64 exec, exec, s[54:55]
	v_cmp_gt_u32_e64 s[10:11], 24, v18
	s_and_saveexec_b64 s[54:55], s[10:11]
	s_cbranch_execz .LBB76_128
.LBB76_526:
	ds_read_b128 v[27:30], v26 offset:12752
	ds_read_b128 v[31:34], v25 offset:15104
	s_waitcnt lgkmcnt(0)
	v_mul_f64 v[35:36], v[29:30], v[33:34]
	v_mul_f64 v[33:34], v[27:28], v[33:34]
	v_fma_f64 v[27:28], v[27:28], v[31:32], -v[35:36]
	v_fma_f64 v[29:30], v[29:30], v[31:32], v[33:34]
	v_add_f64 v[11:12], v[11:12], v[27:28]
	v_add_f64 v[13:14], v[13:14], v[29:30]
	s_or_b64 exec, exec, s[54:55]
	s_and_saveexec_b64 s[10:11], s[2:3]
	s_cbranch_execz .LBB76_129
.LBB76_527:
	ds_read_b128 v[26:29], v26 offset:12768
	ds_read_b128 v[30:33], v25 offset:15616
	s_waitcnt lgkmcnt(0)
	v_mul_f64 v[34:35], v[28:29], v[32:33]
	v_mul_f64 v[32:33], v[26:27], v[32:33]
	v_fma_f64 v[25:26], v[26:27], v[30:31], -v[34:35]
	v_fma_f64 v[27:28], v[28:29], v[30:31], v[32:33]
	v_add_f64 v[11:12], v[11:12], v[25:26]
	v_add_f64 v[13:14], v[13:14], v[27:28]
	s_or_b64 exec, exec, s[10:11]
	v_cmp_gt_u32_e64 s[10:11], 8, v18
	s_and_saveexec_b64 s[54:55], s[10:11]
	s_cbranch_execnz .LBB76_130
	s_branch .LBB76_131
.LBB76_528:
	ds_read_b128 v[27:30], v26 offset:10576
	ds_read_b128 v[31:34], v25 offset:11008
	s_waitcnt lgkmcnt(0)
	v_mul_f64 v[35:36], v[29:30], v[33:34]
	v_mul_f64 v[33:34], v[27:28], v[33:34]
	v_fma_f64 v[27:28], v[27:28], v[31:32], -v[35:36]
	v_fma_f64 v[29:30], v[29:30], v[31:32], v[33:34]
	v_add_f64 v[11:12], v[11:12], v[27:28]
	v_add_f64 v[13:14], v[13:14], v[29:30]
	s_or_b64 exec, exec, s[14:15]
	v_cmp_gt_u32_e64 s[8:9], 8, v18
	s_and_saveexec_b64 s[14:15], s[8:9]
	s_cbranch_execz .LBB76_183
.LBB76_529:
	ds_read_b128 v[26:29], v26 offset:10592
	ds_read_b128 v[30:33], v25 offset:11520
	s_waitcnt lgkmcnt(0)
	v_mul_f64 v[34:35], v[28:29], v[32:33]
	v_mul_f64 v[32:33], v[26:27], v[32:33]
	v_fma_f64 v[25:26], v[26:27], v[30:31], -v[34:35]
	v_fma_f64 v[27:28], v[28:29], v[30:31], v[32:33]
	v_add_f64 v[11:12], v[11:12], v[25:26]
	v_add_f64 v[13:14], v[13:14], v[27:28]
	s_or_b64 exec, exec, s[14:15]
	v_cmp_gt_u32_e64 s[8:9], 4, v18
	s_and_saveexec_b64 s[14:15], s[8:9]
	s_cbranch_execnz .LBB76_184
	s_branch .LBB76_185
.LBB76_530:
	ds_read_b128 v[30:33], v29 offset:8624
	ds_read_b128 v[34:37], v28 offset:13824
	s_waitcnt lgkmcnt(0)
	v_mul_f64 v[38:39], v[32:33], v[36:37]
	v_mul_f64 v[36:37], v[30:31], v[36:37]
	v_fma_f64 v[30:31], v[30:31], v[34:35], -v[38:39]
	v_fma_f64 v[32:33], v[32:33], v[34:35], v[36:37]
	v_add_f64 v[11:12], v[11:12], v[30:31]
	v_add_f64 v[13:14], v[13:14], v[32:33]
	s_or_b64 exec, exec, s[84:85]
	s_and_saveexec_b64 s[14:15], s[12:13]
	s_cbranch_execz .LBB76_241
.LBB76_531:
	ds_read_b128 v[30:33], v29 offset:8640
	ds_read_b128 v[34:37], v28 offset:14336
	s_waitcnt lgkmcnt(0)
	v_mul_f64 v[38:39], v[32:33], v[36:37]
	v_mul_f64 v[36:37], v[30:31], v[36:37]
	v_fma_f64 v[30:31], v[30:31], v[34:35], -v[38:39]
	v_fma_f64 v[32:33], v[32:33], v[34:35], v[36:37]
	v_add_f64 v[11:12], v[11:12], v[30:31]
	v_add_f64 v[13:14], v[13:14], v[32:33]
	s_or_b64 exec, exec, s[14:15]
	v_cmp_gt_u32_e64 s[14:15], 48, v18
	s_and_saveexec_b64 s[84:85], s[14:15]
	s_cbranch_execz .LBB76_242
.LBB76_532:
	ds_read_b128 v[30:33], v29 offset:8656
	ds_read_b128 v[34:37], v28 offset:14848
	s_waitcnt lgkmcnt(0)
	v_mul_f64 v[38:39], v[32:33], v[36:37]
	v_mul_f64 v[36:37], v[30:31], v[36:37]
	v_fma_f64 v[30:31], v[30:31], v[34:35], -v[38:39]
	v_fma_f64 v[32:33], v[32:33], v[34:35], v[36:37]
	v_add_f64 v[11:12], v[11:12], v[30:31]
	v_add_f64 v[13:14], v[13:14], v[32:33]
	s_or_b64 exec, exec, s[84:85]
	v_cmp_gt_u32_e64 s[14:15], 32, v18
	s_and_saveexec_b64 s[84:85], s[14:15]
	s_cbranch_execz .LBB76_243
.LBB76_533:
	ds_read_b128 v[29:32], v29 offset:8672
	ds_read_b128 v[33:36], v28 offset:15360
	s_waitcnt lgkmcnt(0)
	v_mul_f64 v[37:38], v[31:32], v[35:36]
	v_mul_f64 v[35:36], v[29:30], v[35:36]
	v_fma_f64 v[28:29], v[29:30], v[33:34], -v[37:38]
	v_fma_f64 v[30:31], v[31:32], v[33:34], v[35:36]
	v_add_f64 v[11:12], v[11:12], v[28:29]
	v_add_f64 v[13:14], v[13:14], v[30:31]
	s_or_b64 exec, exec, s[84:85]
	v_cmp_gt_u32_e64 s[14:15], 16, v18
	s_and_saveexec_b64 s[84:85], s[14:15]
	s_cbranch_execnz .LBB76_244
	s_branch .LBB76_245
.LBB76_534:
	ds_read_b128 v[27:30], v26 offset:6352
	ds_read_b128 v[31:34], v25 offset:6784
	s_waitcnt lgkmcnt(0)
	v_mul_f64 v[35:36], v[29:30], v[33:34]
	v_mul_f64 v[33:34], v[27:28], v[33:34]
	v_fma_f64 v[27:28], v[27:28], v[31:32], -v[35:36]
	v_fma_f64 v[29:30], v[29:30], v[31:32], v[33:34]
	v_add_f64 v[11:12], v[11:12], v[27:28]
	v_add_f64 v[13:14], v[13:14], v[29:30]
	s_or_b64 exec, exec, s[14:15]
	v_cmp_gt_u32_e64 s[8:9], 8, v18
	s_and_saveexec_b64 s[14:15], s[8:9]
	s_cbranch_execz .LBB76_329
.LBB76_535:
	ds_read_b128 v[26:29], v26 offset:6368
	ds_read_b128 v[30:33], v25 offset:7296
	s_waitcnt lgkmcnt(0)
	v_mul_f64 v[34:35], v[28:29], v[32:33]
	v_mul_f64 v[32:33], v[26:27], v[32:33]
	v_fma_f64 v[25:26], v[26:27], v[30:31], -v[34:35]
	v_fma_f64 v[27:28], v[28:29], v[30:31], v[32:33]
	v_add_f64 v[11:12], v[11:12], v[25:26]
	v_add_f64 v[13:14], v[13:14], v[27:28]
	s_or_b64 exec, exec, s[14:15]
	v_cmp_gt_u32_e64 s[8:9], 4, v18
	s_and_saveexec_b64 s[14:15], s[8:9]
	s_cbranch_execnz .LBB76_330
	s_branch .LBB76_331
.LBB76_536:
	ds_read_b128 v[27:30], v26 offset:4240
	ds_read_b128 v[31:34], v25 offset:4608
	s_waitcnt lgkmcnt(0)
	v_mul_f64 v[35:36], v[29:30], v[33:34]
	v_mul_f64 v[33:34], v[27:28], v[33:34]
	v_fma_f64 v[27:28], v[27:28], v[31:32], -v[35:36]
	v_fma_f64 v[29:30], v[29:30], v[31:32], v[33:34]
	v_add_f64 v[11:12], v[11:12], v[27:28]
	v_add_f64 v[13:14], v[13:14], v[29:30]
	s_or_b64 exec, exec, s[14:15]
	v_cmp_gt_u32_e64 s[8:9], 48, v18
	s_and_saveexec_b64 s[14:15], s[8:9]
	s_cbranch_execz .LBB76_367
.LBB76_537:
	ds_read_b128 v[27:30], v26 offset:4256
	ds_read_b128 v[31:34], v25 offset:5120
	s_waitcnt lgkmcnt(0)
	v_mul_f64 v[35:36], v[29:30], v[33:34]
	v_mul_f64 v[33:34], v[27:28], v[33:34]
	v_fma_f64 v[27:28], v[27:28], v[31:32], -v[35:36]
	v_fma_f64 v[29:30], v[29:30], v[31:32], v[33:34]
	v_add_f64 v[11:12], v[11:12], v[27:28]
	v_add_f64 v[13:14], v[13:14], v[29:30]
	s_or_b64 exec, exec, s[14:15]
	v_cmp_gt_u32_e64 s[8:9], 40, v18
	s_and_saveexec_b64 s[14:15], s[8:9]
	s_cbranch_execz .LBB76_368
.LBB76_538:
	ds_read_b128 v[27:30], v26 offset:4272
	ds_read_b128 v[31:34], v25 offset:5632
	s_waitcnt lgkmcnt(0)
	v_mul_f64 v[35:36], v[29:30], v[33:34]
	v_mul_f64 v[33:34], v[27:28], v[33:34]
	v_fma_f64 v[27:28], v[27:28], v[31:32], -v[35:36]
	v_fma_f64 v[29:30], v[29:30], v[31:32], v[33:34]
	v_add_f64 v[11:12], v[11:12], v[27:28]
	v_add_f64 v[13:14], v[13:14], v[29:30]
	s_or_b64 exec, exec, s[14:15]
	v_cmp_gt_u32_e64 s[8:9], 32, v18
	s_and_saveexec_b64 s[14:15], s[8:9]
	s_cbranch_execz .LBB76_369
.LBB76_539:
	ds_read_b128 v[27:30], v26 offset:4288
	ds_read_b128 v[31:34], v25 offset:6144
	s_waitcnt lgkmcnt(0)
	v_mul_f64 v[35:36], v[29:30], v[33:34]
	v_mul_f64 v[33:34], v[27:28], v[33:34]
	v_fma_f64 v[27:28], v[27:28], v[31:32], -v[35:36]
	v_fma_f64 v[29:30], v[29:30], v[31:32], v[33:34]
	v_add_f64 v[11:12], v[11:12], v[27:28]
	v_add_f64 v[13:14], v[13:14], v[29:30]
	s_or_b64 exec, exec, s[14:15]
	v_cmp_gt_u32_e64 s[8:9], 24, v18
	s_and_saveexec_b64 s[14:15], s[8:9]
	s_cbranch_execz .LBB76_370
.LBB76_540:
	ds_read_b128 v[27:30], v26 offset:4304
	ds_read_b128 v[31:34], v25 offset:6656
	s_waitcnt lgkmcnt(0)
	v_mul_f64 v[35:36], v[29:30], v[33:34]
	v_mul_f64 v[33:34], v[27:28], v[33:34]
	v_fma_f64 v[27:28], v[27:28], v[31:32], -v[35:36]
	v_fma_f64 v[29:30], v[29:30], v[31:32], v[33:34]
	v_add_f64 v[11:12], v[11:12], v[27:28]
	v_add_f64 v[13:14], v[13:14], v[29:30]
	s_or_b64 exec, exec, s[14:15]
	s_and_saveexec_b64 s[8:9], s[2:3]
	s_cbranch_execz .LBB76_371
.LBB76_541:
	ds_read_b128 v[26:29], v26 offset:4320
	ds_read_b128 v[30:33], v25 offset:7168
	s_waitcnt lgkmcnt(0)
	v_mul_f64 v[34:35], v[28:29], v[32:33]
	v_mul_f64 v[32:33], v[26:27], v[32:33]
	v_fma_f64 v[25:26], v[26:27], v[30:31], -v[34:35]
	v_fma_f64 v[27:28], v[28:29], v[30:31], v[32:33]
	v_add_f64 v[11:12], v[11:12], v[25:26]
	v_add_f64 v[13:14], v[13:14], v[27:28]
	s_or_b64 exec, exec, s[8:9]
	v_cmp_gt_u32_e64 s[8:9], 8, v18
	s_and_saveexec_b64 s[14:15], s[8:9]
	s_cbranch_execnz .LBB76_372
	s_branch .LBB76_373
.LBB76_542:
	ds_read_b128 v[24:27], v23 offset:2128
	ds_read_b128 v[28:31], v22 offset:2560
	s_waitcnt lgkmcnt(0)
	v_mul_f64 v[32:33], v[26:27], v[30:31]
	v_mul_f64 v[30:31], v[24:25], v[30:31]
	v_fma_f64 v[24:25], v[24:25], v[28:29], -v[32:33]
	v_fma_f64 v[26:27], v[26:27], v[28:29], v[30:31]
	v_add_f64 v[11:12], v[11:12], v[24:25]
	v_add_f64 v[13:14], v[13:14], v[26:27]
	s_or_b64 exec, exec, s[12:13]
	v_cmp_gt_u32_e64 s[8:9], 8, v18
	s_and_saveexec_b64 s[12:13], s[8:9]
	s_cbranch_execz .LBB76_425
.LBB76_543:
	ds_read_b128 v[23:26], v23 offset:2144
	ds_read_b128 v[27:30], v22 offset:3072
	s_waitcnt lgkmcnt(0)
	v_mul_f64 v[31:32], v[25:26], v[29:30]
	v_mul_f64 v[29:30], v[23:24], v[29:30]
	v_fma_f64 v[22:23], v[23:24], v[27:28], -v[31:32]
	v_fma_f64 v[24:25], v[25:26], v[27:28], v[29:30]
	v_add_f64 v[11:12], v[11:12], v[22:23]
	v_add_f64 v[13:14], v[13:14], v[24:25]
	s_or_b64 exec, exec, s[12:13]
	v_cmp_gt_u32_e64 s[8:9], 4, v18
	s_and_saveexec_b64 s[12:13], s[8:9]
	s_cbranch_execnz .LBB76_426
	s_branch .LBB76_427
	.section	.rodata,"a",@progbits
	.p2align	6, 0x0
	.amdhsa_kernel _ZL19rocblas_trsv_deviceILi32ELi16ELb0ELb0ELb0ELb0E19rocblas_complex_numIdEPKS1_S3_PS1_EviT7_lllT6_T8_lllPii
		.amdhsa_group_segment_fixed_size 25104
		.amdhsa_private_segment_fixed_size 0
		.amdhsa_kernarg_size 352
		.amdhsa_user_sgpr_count 6
		.amdhsa_user_sgpr_private_segment_buffer 1
		.amdhsa_user_sgpr_dispatch_ptr 0
		.amdhsa_user_sgpr_queue_ptr 0
		.amdhsa_user_sgpr_kernarg_segment_ptr 1
		.amdhsa_user_sgpr_dispatch_id 0
		.amdhsa_user_sgpr_flat_scratch_init 0
		.amdhsa_user_sgpr_private_segment_size 0
		.amdhsa_uses_dynamic_stack 0
		.amdhsa_system_sgpr_private_segment_wavefront_offset 0
		.amdhsa_system_sgpr_workgroup_id_x 1
		.amdhsa_system_sgpr_workgroup_id_y 0
		.amdhsa_system_sgpr_workgroup_id_z 1
		.amdhsa_system_sgpr_workgroup_info 0
		.amdhsa_system_vgpr_workitem_id 1
		.amdhsa_next_free_vgpr 49
		.amdhsa_next_free_sgpr 98
		.amdhsa_reserve_vcc 1
		.amdhsa_reserve_flat_scratch 0
		.amdhsa_float_round_mode_32 0
		.amdhsa_float_round_mode_16_64 0
		.amdhsa_float_denorm_mode_32 3
		.amdhsa_float_denorm_mode_16_64 3
		.amdhsa_dx10_clamp 1
		.amdhsa_ieee_mode 1
		.amdhsa_fp16_overflow 0
		.amdhsa_exception_fp_ieee_invalid_op 0
		.amdhsa_exception_fp_denorm_src 0
		.amdhsa_exception_fp_ieee_div_zero 0
		.amdhsa_exception_fp_ieee_overflow 0
		.amdhsa_exception_fp_ieee_underflow 0
		.amdhsa_exception_fp_ieee_inexact 0
		.amdhsa_exception_int_div_zero 0
	.end_amdhsa_kernel
	.section	.text._ZL19rocblas_trsv_deviceILi32ELi16ELb0ELb0ELb0ELb0E19rocblas_complex_numIdEPKS1_S3_PS1_EviT7_lllT6_T8_lllPii,"axG",@progbits,_ZL19rocblas_trsv_deviceILi32ELi16ELb0ELb0ELb0ELb0E19rocblas_complex_numIdEPKS1_S3_PS1_EviT7_lllT6_T8_lllPii,comdat
.Lfunc_end76:
	.size	_ZL19rocblas_trsv_deviceILi32ELi16ELb0ELb0ELb0ELb0E19rocblas_complex_numIdEPKS1_S3_PS1_EviT7_lllT6_T8_lllPii, .Lfunc_end76-_ZL19rocblas_trsv_deviceILi32ELi16ELb0ELb0ELb0ELb0E19rocblas_complex_numIdEPKS1_S3_PS1_EviT7_lllT6_T8_lllPii
                                        ; -- End function
	.set _ZL19rocblas_trsv_deviceILi32ELi16ELb0ELb0ELb0ELb0E19rocblas_complex_numIdEPKS1_S3_PS1_EviT7_lllT6_T8_lllPii.num_vgpr, 40
	.set _ZL19rocblas_trsv_deviceILi32ELi16ELb0ELb0ELb0ELb0E19rocblas_complex_numIdEPKS1_S3_PS1_EviT7_lllT6_T8_lllPii.num_agpr, 0
	.set _ZL19rocblas_trsv_deviceILi32ELi16ELb0ELb0ELb0ELb0E19rocblas_complex_numIdEPKS1_S3_PS1_EviT7_lllT6_T8_lllPii.numbered_sgpr, 92
	.set _ZL19rocblas_trsv_deviceILi32ELi16ELb0ELb0ELb0ELb0E19rocblas_complex_numIdEPKS1_S3_PS1_EviT7_lllT6_T8_lllPii.num_named_barrier, 0
	.set _ZL19rocblas_trsv_deviceILi32ELi16ELb0ELb0ELb0ELb0E19rocblas_complex_numIdEPKS1_S3_PS1_EviT7_lllT6_T8_lllPii.private_seg_size, 0
	.set _ZL19rocblas_trsv_deviceILi32ELi16ELb0ELb0ELb0ELb0E19rocblas_complex_numIdEPKS1_S3_PS1_EviT7_lllT6_T8_lllPii.uses_vcc, 1
	.set _ZL19rocblas_trsv_deviceILi32ELi16ELb0ELb0ELb0ELb0E19rocblas_complex_numIdEPKS1_S3_PS1_EviT7_lllT6_T8_lllPii.uses_flat_scratch, 0
	.set _ZL19rocblas_trsv_deviceILi32ELi16ELb0ELb0ELb0ELb0E19rocblas_complex_numIdEPKS1_S3_PS1_EviT7_lllT6_T8_lllPii.has_dyn_sized_stack, 0
	.set _ZL19rocblas_trsv_deviceILi32ELi16ELb0ELb0ELb0ELb0E19rocblas_complex_numIdEPKS1_S3_PS1_EviT7_lllT6_T8_lllPii.has_recursion, 0
	.set _ZL19rocblas_trsv_deviceILi32ELi16ELb0ELb0ELb0ELb0E19rocblas_complex_numIdEPKS1_S3_PS1_EviT7_lllT6_T8_lllPii.has_indirect_call, 0
	.section	.AMDGPU.csdata,"",@progbits
; Kernel info:
; codeLenInByte = 26972
; TotalNumSgprs: 96
; NumVgprs: 40
; ScratchSize: 0
; MemoryBound: 1
; FloatMode: 240
; IeeeMode: 1
; LDSByteSize: 25104 bytes/workgroup (compile time only)
; SGPRBlocks: 12
; VGPRBlocks: 12
; NumSGPRsForWavesPerEU: 102
; NumVGPRsForWavesPerEU: 49
; Occupancy: 4
; WaveLimiterHint : 0
; COMPUTE_PGM_RSRC2:SCRATCH_EN: 0
; COMPUTE_PGM_RSRC2:USER_SGPR: 6
; COMPUTE_PGM_RSRC2:TRAP_HANDLER: 0
; COMPUTE_PGM_RSRC2:TGID_X_EN: 1
; COMPUTE_PGM_RSRC2:TGID_Y_EN: 0
; COMPUTE_PGM_RSRC2:TGID_Z_EN: 1
; COMPUTE_PGM_RSRC2:TIDIG_COMP_CNT: 1
	.section	.text._ZL19rocblas_trsv_deviceILi32ELi16ELb0ELb1ELb0ELb0E19rocblas_complex_numIdEPKS1_S3_PS1_EviT7_lllT6_T8_lllPii,"axG",@progbits,_ZL19rocblas_trsv_deviceILi32ELi16ELb0ELb1ELb0ELb0E19rocblas_complex_numIdEPKS1_S3_PS1_EviT7_lllT6_T8_lllPii,comdat
	.globl	_ZL19rocblas_trsv_deviceILi32ELi16ELb0ELb1ELb0ELb0E19rocblas_complex_numIdEPKS1_S3_PS1_EviT7_lllT6_T8_lllPii ; -- Begin function _ZL19rocblas_trsv_deviceILi32ELi16ELb0ELb1ELb0ELb0E19rocblas_complex_numIdEPKS1_S3_PS1_EviT7_lllT6_T8_lllPii
	.p2align	8
	.type	_ZL19rocblas_trsv_deviceILi32ELi16ELb0ELb1ELb0ELb0E19rocblas_complex_numIdEPKS1_S3_PS1_EviT7_lllT6_T8_lllPii,@function
_ZL19rocblas_trsv_deviceILi32ELi16ELb0ELb1ELb0ELb0E19rocblas_complex_numIdEPKS1_S3_PS1_EviT7_lllT6_T8_lllPii: ; @_ZL19rocblas_trsv_deviceILi32ELi16ELb0ELb1ELb0ELb0E19rocblas_complex_numIdEPKS1_S3_PS1_EviT7_lllT6_T8_lllPii
; %bb.0:
	s_mov_b32 s34, s7
	s_load_dwordx16 s[16:31], s[4:5], 0x8
	s_load_dword s7, s[4:5], 0x0
	v_mov_b32_e32 v2, v1
	s_mov_b32 s35, 0
	s_waitcnt lgkmcnt(0)
	s_load_dwordx4 s[36:39], s[24:25], 0x0
	s_load_dword s46, s[4:5], 0x6c
	s_mul_i32 s0, s23, s34
	s_mul_hi_u32 s1, s22, s34
	s_add_i32 s1, s1, s0
	s_mul_i32 s0, s22, s34
	s_lshl_b64 s[0:1], s[0:1], 4
	s_add_u32 s2, s16, s0
	s_addc_u32 s3, s17, s1
	s_lshl_b64 s[0:1], s[18:19], 4
	s_add_u32 s94, s2, s0
	s_addc_u32 s95, s3, s1
	s_cmp_eq_u32 s6, 0
	s_cbranch_scc1 .LBB77_6
; %bb.1:
	s_lshl_b32 s33, s6, 5
	v_add_u32_e32 v1, s33, v0
	v_ashrrev_i32_e32 v3, 31, v1
	v_mul_lo_u32 v7, s20, v3
	v_mul_lo_u32 v8, s21, v1
	v_mad_u64_u32 v[5:6], s[0:1], s20, v1, 0
	v_add_u32_e32 v3, s33, v2
	v_subrev_u32_e32 v3, 32, v3
	v_add3_u32 v6, v6, v7, v8
	v_lshlrev_b64 v[5:6], 4, v[5:6]
	v_ashrrev_i32_e32 v4, 31, v3
	v_cmp_gt_i32_e32 vcc, s7, v1
	v_mov_b32_e32 v1, s95
	v_add_co_u32_e64 v7, s[0:1], s94, v5
	v_lshlrev_b64 v[4:5], 4, v[3:4]
	v_addc_co_u32_e64 v1, s[0:1], v1, v6, s[0:1]
	v_add_co_u32_e64 v11, s[0:1], v7, v4
	v_addc_co_u32_e64 v12, s[0:1], v1, v5, s[0:1]
	v_cmp_gt_i32_e64 s[0:1], s7, v3
	v_mov_b32_e32 v5, 0
	v_mov_b32_e32 v7, 0
	;; [unrolled: 1-line block ×6, first 2 shown]
	s_and_b64 s[2:3], s[0:1], vcc
	s_waitcnt lgkmcnt(0)
	s_barrier
	s_and_saveexec_b64 s[0:1], s[2:3]
	s_cbranch_execz .LBB77_3
; %bb.2:
	global_load_dwordx4 v[7:10], v[11:12], off
.LBB77_3:
	s_or_b64 exec, exec, s[0:1]
	v_add_u32_e32 v1, 16, v3
	v_cmp_gt_i32_e64 s[0:1], s7, v1
	v_mov_b32_e32 v3, 0
	v_mov_b32_e32 v4, 0
	s_and_b64 s[2:3], s[0:1], vcc
	s_waitcnt vmcnt(0)
	s_barrier
	s_and_saveexec_b64 s[0:1], s[2:3]
	s_cbranch_execz .LBB77_5
; %bb.4:
	global_load_dwordx4 v[3:6], v[11:12], off offset:256
.LBB77_5:
	s_or_b64 exec, exec, s[0:1]
	s_branch .LBB77_7
.LBB77_6:
                                        ; implicit-def: $vgpr5_vgpr6
                                        ; implicit-def: $vgpr9_vgpr10
	s_mov_b32 s33, s35
.LBB77_7:
	s_ashr_i32 s0, s7, 31
	s_lshr_b32 s0, s0, 27
	s_add_i32 s0, s7, s0
	s_andn2_b32 s0, s0, 31
	s_sub_i32 s93, s7, s0
	s_add_i32 s0, s7, -1
	s_ashr_i32 s1, s0, 31
	s_lshr_b32 s1, s1, 27
	s_add_i32 s0, s0, s1
	s_ashr_i32 s0, s0, 5
	s_cmp_eq_u32 s0, s6
	s_cselect_b64 s[0:1], -1, 0
	s_cmp_lg_u32 s93, 0
	s_cselect_b64 s[2:3], -1, 0
	s_and_b64 s[22:23], s[2:3], s[0:1]
	s_cmp_lt_i32 s6, 5
	s_cselect_b64 s[2:3], -1, 0
	s_or_b64 s[0:1], s[2:3], s[22:23]
	s_ashr_i32 s92, s33, 31
	s_add_u32 s10, s20, 1
	v_mov_b32_e32 v1, 0
	v_mov_b32_e32 v11, s33
	v_mad_u64_u32 v[19:20], s[8:9], s10, v11, v[0:1]
	s_addc_u32 s11, s21, 0
	s_mul_i32 s8, s10, s92
	s_mul_i32 s11, s11, s33
	v_lshlrev_b32_e32 v21, 5, v0
	s_add_i32 s8, s8, s11
	s_mov_b64 s[12:13], -1
	v_add_u32_e32 v20, s8, v20
	s_and_b64 vcc, exec, s[22:23]
	v_add_u32_e32 v22, v2, v21
	v_cmp_le_u32_e64 s[8:9], v2, v0
	v_lshl_add_u32 v1, v2, 5, v0
	s_cbranch_vccnz .LBB77_37
; %bb.8:
	v_mad_u64_u32 v[11:12], s[10:11], s20, v2, v[19:20]
	v_cndmask_b32_e64 v23, v1, v22, s[2:3]
	v_mad_u64_u32 v[12:13], s[10:11], s21, v2, v[12:13]
	s_and_saveexec_b64 s[2:3], s[8:9]
	s_xor_b64 s[2:3], exec, s[2:3]
	s_cbranch_execz .LBB77_20
; %bb.9:
	v_cmp_ne_u32_e32 vcc, v0, v2
	s_and_saveexec_b64 s[8:9], vcc
	s_xor_b64 s[8:9], exec, s[8:9]
	s_cbranch_execz .LBB77_13
; %bb.10:
	v_or_b32_e32 v11, v2, v0
	v_cmp_gt_u32_e32 vcc, 32, v11
	s_and_saveexec_b64 s[10:11], vcc
	s_cbranch_execz .LBB77_12
; %bb.11:
	v_mov_b32_e32 v11, 0
	v_lshlrev_b32_e32 v15, 4, v23
	v_mov_b32_e32 v12, v11
	v_mov_b32_e32 v13, v11
	;; [unrolled: 1-line block ×3, first 2 shown]
	ds_write_b128 v15, v[11:14]
.LBB77_12:
	s_or_b64 exec, exec, s[10:11]
                                        ; implicit-def: $vgpr23
                                        ; implicit-def: $vgpr11_vgpr12
.LBB77_13:
	s_andn2_saveexec_b64 s[8:9], s[8:9]
	s_cbranch_execz .LBB77_19
; %bb.14:
	v_lshlrev_b64 v[11:12], 4, v[11:12]
	v_mov_b32_e32 v13, s95
	v_add_co_u32_e32 v11, vcc, s94, v11
	v_addc_co_u32_e32 v12, vcc, v13, v12, vcc
	global_load_dwordx4 v[11:14], v[11:12], off
                                        ; implicit-def: $vgpr15_vgpr16
	s_waitcnt vmcnt(0)
	v_cmp_ngt_f64_e64 s[10:11], |v[11:12]|, |v[13:14]|
	s_and_saveexec_b64 s[12:13], s[10:11]
	s_xor_b64 s[10:11], exec, s[12:13]
	s_cbranch_execz .LBB77_16
; %bb.15:
	v_div_scale_f64 v[15:16], s[12:13], v[13:14], v[13:14], v[11:12]
	v_rcp_f64_e32 v[17:18], v[15:16]
	v_fma_f64 v[24:25], -v[15:16], v[17:18], 1.0
	v_fma_f64 v[17:18], v[17:18], v[24:25], v[17:18]
	v_div_scale_f64 v[24:25], vcc, v[11:12], v[13:14], v[11:12]
	v_fma_f64 v[26:27], -v[15:16], v[17:18], 1.0
	v_fma_f64 v[17:18], v[17:18], v[26:27], v[17:18]
	v_mul_f64 v[26:27], v[24:25], v[17:18]
	v_fma_f64 v[15:16], -v[15:16], v[26:27], v[24:25]
	v_div_fmas_f64 v[15:16], v[15:16], v[17:18], v[26:27]
	v_div_fixup_f64 v[15:16], v[15:16], v[13:14], v[11:12]
	v_fma_f64 v[11:12], v[11:12], v[15:16], v[13:14]
	v_div_scale_f64 v[13:14], s[12:13], v[11:12], v[11:12], 1.0
	v_div_scale_f64 v[26:27], vcc, 1.0, v[11:12], 1.0
	v_rcp_f64_e32 v[17:18], v[13:14]
	v_fma_f64 v[24:25], -v[13:14], v[17:18], 1.0
	v_fma_f64 v[17:18], v[17:18], v[24:25], v[17:18]
	v_fma_f64 v[24:25], -v[13:14], v[17:18], 1.0
	v_fma_f64 v[17:18], v[17:18], v[24:25], v[17:18]
	v_mul_f64 v[24:25], v[26:27], v[17:18]
	v_fma_f64 v[13:14], -v[13:14], v[24:25], v[26:27]
	v_div_fmas_f64 v[13:14], v[13:14], v[17:18], v[24:25]
	v_div_fixup_f64 v[17:18], v[13:14], v[11:12], 1.0
                                        ; implicit-def: $vgpr11_vgpr12
	v_mul_f64 v[15:16], v[15:16], v[17:18]
	v_xor_b32_e32 v18, 0x80000000, v18
.LBB77_16:
	s_andn2_saveexec_b64 s[10:11], s[10:11]
	s_cbranch_execz .LBB77_18
; %bb.17:
	v_div_scale_f64 v[15:16], s[12:13], v[11:12], v[11:12], v[13:14]
	v_rcp_f64_e32 v[17:18], v[15:16]
	v_fma_f64 v[24:25], -v[15:16], v[17:18], 1.0
	v_fma_f64 v[17:18], v[17:18], v[24:25], v[17:18]
	v_div_scale_f64 v[24:25], vcc, v[13:14], v[11:12], v[13:14]
	v_fma_f64 v[26:27], -v[15:16], v[17:18], 1.0
	v_fma_f64 v[17:18], v[17:18], v[26:27], v[17:18]
	v_mul_f64 v[26:27], v[24:25], v[17:18]
	v_fma_f64 v[15:16], -v[15:16], v[26:27], v[24:25]
	v_div_fmas_f64 v[15:16], v[15:16], v[17:18], v[26:27]
	v_div_fixup_f64 v[17:18], v[15:16], v[11:12], v[13:14]
	v_fma_f64 v[11:12], v[13:14], v[17:18], v[11:12]
	v_div_scale_f64 v[13:14], s[12:13], v[11:12], v[11:12], 1.0
	v_div_scale_f64 v[26:27], vcc, 1.0, v[11:12], 1.0
	v_rcp_f64_e32 v[15:16], v[13:14]
	v_fma_f64 v[24:25], -v[13:14], v[15:16], 1.0
	v_fma_f64 v[15:16], v[15:16], v[24:25], v[15:16]
	v_fma_f64 v[24:25], -v[13:14], v[15:16], 1.0
	v_fma_f64 v[15:16], v[15:16], v[24:25], v[15:16]
	v_mul_f64 v[24:25], v[26:27], v[15:16]
	v_fma_f64 v[13:14], -v[13:14], v[24:25], v[26:27]
	v_div_fmas_f64 v[13:14], v[13:14], v[15:16], v[24:25]
	v_div_fixup_f64 v[15:16], v[13:14], v[11:12], 1.0
	v_mul_f64 v[17:18], v[17:18], -v[15:16]
.LBB77_18:
	s_or_b64 exec, exec, s[10:11]
	v_lshlrev_b32_e32 v11, 4, v23
	ds_write_b128 v11, v[15:18]
.LBB77_19:
	s_or_b64 exec, exec, s[8:9]
                                        ; implicit-def: $vgpr11_vgpr12
                                        ; implicit-def: $vgpr23
.LBB77_20:
	s_andn2_saveexec_b64 s[2:3], s[2:3]
	s_cbranch_execz .LBB77_22
; %bb.21:
	v_lshlrev_b64 v[11:12], 4, v[11:12]
	v_mov_b32_e32 v13, s95
	v_add_co_u32_e32 v11, vcc, s94, v11
	v_addc_co_u32_e32 v12, vcc, v13, v12, vcc
	global_load_dwordx4 v[11:14], v[11:12], off
	v_lshlrev_b32_e32 v15, 4, v23
	s_waitcnt vmcnt(0)
	v_xor_b32_e32 v12, 0x80000000, v12
	v_xor_b32_e32 v14, 0x80000000, v14
	ds_write_b128 v15, v[11:14]
.LBB77_22:
	s_or_b64 exec, exec, s[2:3]
	v_add_u32_e32 v13, 16, v2
	v_mad_u64_u32 v[11:12], s[2:3], s20, v13, v[19:20]
	v_cmp_le_u32_e32 vcc, v13, v0
	v_mad_u64_u32 v[14:15], s[2:3], s21, v13, v[12:13]
	v_add_u32_e32 v12, v13, v21
	v_lshl_add_u32 v15, v13, 5, v0
	v_cndmask_b32_e64 v23, v15, v12, s[0:1]
	v_mov_b32_e32 v12, v14
	s_and_saveexec_b64 s[2:3], vcc
	s_xor_b64 s[2:3], exec, s[2:3]
	s_cbranch_execz .LBB77_34
; %bb.23:
	v_cmp_ne_u32_e32 vcc, v0, v13
	s_and_saveexec_b64 s[8:9], vcc
	s_xor_b64 s[8:9], exec, s[8:9]
	s_cbranch_execz .LBB77_27
; %bb.24:
	v_or_b32_e32 v11, v13, v0
	v_cmp_gt_u32_e32 vcc, 32, v11
	s_and_saveexec_b64 s[10:11], vcc
	s_cbranch_execz .LBB77_26
; %bb.25:
	v_mov_b32_e32 v11, 0
	v_lshlrev_b32_e32 v15, 4, v23
	v_mov_b32_e32 v12, v11
	v_mov_b32_e32 v13, v11
	;; [unrolled: 1-line block ×3, first 2 shown]
	ds_write_b128 v15, v[11:14]
.LBB77_26:
	s_or_b64 exec, exec, s[10:11]
                                        ; implicit-def: $vgpr23
                                        ; implicit-def: $vgpr11_vgpr12
.LBB77_27:
	s_andn2_saveexec_b64 s[8:9], s[8:9]
	s_cbranch_execz .LBB77_33
; %bb.28:
	v_lshlrev_b64 v[11:12], 4, v[11:12]
	v_mov_b32_e32 v13, s95
	v_add_co_u32_e32 v11, vcc, s94, v11
	v_addc_co_u32_e32 v12, vcc, v13, v12, vcc
	global_load_dwordx4 v[11:14], v[11:12], off
                                        ; implicit-def: $vgpr15_vgpr16
	s_waitcnt vmcnt(0)
	v_cmp_ngt_f64_e64 s[10:11], |v[11:12]|, |v[13:14]|
	s_and_saveexec_b64 s[12:13], s[10:11]
	s_xor_b64 s[10:11], exec, s[12:13]
	s_cbranch_execz .LBB77_30
; %bb.29:
	v_div_scale_f64 v[15:16], s[12:13], v[13:14], v[13:14], v[11:12]
	v_rcp_f64_e32 v[17:18], v[15:16]
	v_fma_f64 v[24:25], -v[15:16], v[17:18], 1.0
	v_fma_f64 v[17:18], v[17:18], v[24:25], v[17:18]
	v_div_scale_f64 v[24:25], vcc, v[11:12], v[13:14], v[11:12]
	v_fma_f64 v[26:27], -v[15:16], v[17:18], 1.0
	v_fma_f64 v[17:18], v[17:18], v[26:27], v[17:18]
	v_mul_f64 v[26:27], v[24:25], v[17:18]
	v_fma_f64 v[15:16], -v[15:16], v[26:27], v[24:25]
	v_div_fmas_f64 v[15:16], v[15:16], v[17:18], v[26:27]
	v_div_fixup_f64 v[15:16], v[15:16], v[13:14], v[11:12]
	v_fma_f64 v[11:12], v[11:12], v[15:16], v[13:14]
	v_div_scale_f64 v[13:14], s[12:13], v[11:12], v[11:12], 1.0
	v_div_scale_f64 v[26:27], vcc, 1.0, v[11:12], 1.0
	v_rcp_f64_e32 v[17:18], v[13:14]
	v_fma_f64 v[24:25], -v[13:14], v[17:18], 1.0
	v_fma_f64 v[17:18], v[17:18], v[24:25], v[17:18]
	v_fma_f64 v[24:25], -v[13:14], v[17:18], 1.0
	v_fma_f64 v[17:18], v[17:18], v[24:25], v[17:18]
	v_mul_f64 v[24:25], v[26:27], v[17:18]
	v_fma_f64 v[13:14], -v[13:14], v[24:25], v[26:27]
	v_div_fmas_f64 v[13:14], v[13:14], v[17:18], v[24:25]
	v_div_fixup_f64 v[17:18], v[13:14], v[11:12], 1.0
                                        ; implicit-def: $vgpr11_vgpr12
	v_mul_f64 v[15:16], v[15:16], v[17:18]
	v_xor_b32_e32 v18, 0x80000000, v18
.LBB77_30:
	s_andn2_saveexec_b64 s[10:11], s[10:11]
	s_cbranch_execz .LBB77_32
; %bb.31:
	v_div_scale_f64 v[15:16], s[12:13], v[11:12], v[11:12], v[13:14]
	v_rcp_f64_e32 v[17:18], v[15:16]
	v_fma_f64 v[24:25], -v[15:16], v[17:18], 1.0
	v_fma_f64 v[17:18], v[17:18], v[24:25], v[17:18]
	v_div_scale_f64 v[24:25], vcc, v[13:14], v[11:12], v[13:14]
	v_fma_f64 v[26:27], -v[15:16], v[17:18], 1.0
	v_fma_f64 v[17:18], v[17:18], v[26:27], v[17:18]
	v_mul_f64 v[26:27], v[24:25], v[17:18]
	v_fma_f64 v[15:16], -v[15:16], v[26:27], v[24:25]
	v_div_fmas_f64 v[15:16], v[15:16], v[17:18], v[26:27]
	v_div_fixup_f64 v[17:18], v[15:16], v[11:12], v[13:14]
	v_fma_f64 v[11:12], v[13:14], v[17:18], v[11:12]
	v_div_scale_f64 v[13:14], s[12:13], v[11:12], v[11:12], 1.0
	v_div_scale_f64 v[26:27], vcc, 1.0, v[11:12], 1.0
	v_rcp_f64_e32 v[15:16], v[13:14]
	v_fma_f64 v[24:25], -v[13:14], v[15:16], 1.0
	v_fma_f64 v[15:16], v[15:16], v[24:25], v[15:16]
	v_fma_f64 v[24:25], -v[13:14], v[15:16], 1.0
	v_fma_f64 v[15:16], v[15:16], v[24:25], v[15:16]
	v_mul_f64 v[24:25], v[26:27], v[15:16]
	v_fma_f64 v[13:14], -v[13:14], v[24:25], v[26:27]
	v_div_fmas_f64 v[13:14], v[13:14], v[15:16], v[24:25]
	v_div_fixup_f64 v[15:16], v[13:14], v[11:12], 1.0
	v_mul_f64 v[17:18], v[17:18], -v[15:16]
.LBB77_32:
	s_or_b64 exec, exec, s[10:11]
	v_lshlrev_b32_e32 v11, 4, v23
	ds_write_b128 v11, v[15:18]
.LBB77_33:
	s_or_b64 exec, exec, s[8:9]
                                        ; implicit-def: $vgpr11_vgpr12
                                        ; implicit-def: $vgpr23
.LBB77_34:
	s_andn2_saveexec_b64 s[2:3], s[2:3]
	s_cbranch_execz .LBB77_36
; %bb.35:
	v_lshlrev_b64 v[11:12], 4, v[11:12]
	v_mov_b32_e32 v13, s95
	v_add_co_u32_e32 v11, vcc, s94, v11
	v_addc_co_u32_e32 v12, vcc, v13, v12, vcc
	global_load_dwordx4 v[11:14], v[11:12], off
	v_lshlrev_b32_e32 v15, 4, v23
	s_waitcnt vmcnt(0)
	v_xor_b32_e32 v12, 0x80000000, v12
	v_xor_b32_e32 v14, 0x80000000, v14
	ds_write_b128 v15, v[11:14]
.LBB77_36:
	s_or_b64 exec, exec, s[2:3]
	s_mov_b64 s[12:13], 0
.LBB77_37:
	s_xor_b64 s[10:11], s[0:1], -1
	s_and_b64 vcc, exec, s[12:13]
	s_cbranch_vccz .LBB77_67
; %bb.38:
	v_mad_u64_u32 v[11:12], s[2:3], s20, v2, v[19:20]
	v_cmp_le_u32_e32 vcc, v2, v0
	v_cmp_gt_i32_e64 s[2:3], s93, v0
	v_mad_u64_u32 v[12:13], s[8:9], s21, v2, v[12:13]
	v_max_i32_e32 v13, v2, v0
	v_cmp_le_i32_e64 s[8:9], s93, v13
	s_or_b64 s[8:9], s[8:9], vcc
	s_and_saveexec_b64 s[12:13], s[8:9]
	s_xor_b64 s[8:9], exec, s[12:13]
	s_cbranch_execz .LBB77_50
; %bb.39:
	v_cmp_ne_u32_e32 vcc, v0, v2
	s_xor_b64 s[12:13], s[2:3], -1
	s_or_b64 s[12:13], s[12:13], vcc
	s_and_saveexec_b64 s[14:15], s[12:13]
	s_xor_b64 s[12:13], exec, s[14:15]
	s_cbranch_execz .LBB77_43
; %bb.40:
	v_or_b32_e32 v11, v2, v0
	v_cmp_gt_u32_e32 vcc, 32, v11
	s_and_saveexec_b64 s[14:15], vcc
	s_cbranch_execz .LBB77_42
; %bb.41:
	v_mov_b32_e32 v11, 0
	v_lshlrev_b32_e32 v15, 4, v22
	v_mov_b32_e32 v12, v11
	v_mov_b32_e32 v13, v11
	;; [unrolled: 1-line block ×3, first 2 shown]
	ds_write_b128 v15, v[11:14]
.LBB77_42:
	s_or_b64 exec, exec, s[14:15]
                                        ; implicit-def: $vgpr22
                                        ; implicit-def: $vgpr11_vgpr12
.LBB77_43:
	s_andn2_saveexec_b64 s[12:13], s[12:13]
	s_cbranch_execz .LBB77_49
; %bb.44:
	v_lshlrev_b64 v[11:12], 4, v[11:12]
	v_mov_b32_e32 v13, s95
	v_add_co_u32_e32 v11, vcc, s94, v11
	v_addc_co_u32_e32 v12, vcc, v13, v12, vcc
	global_load_dwordx4 v[11:14], v[11:12], off
                                        ; implicit-def: $vgpr15_vgpr16
	s_waitcnt vmcnt(0)
	v_cmp_ngt_f64_e64 s[14:15], |v[11:12]|, |v[13:14]|
	s_and_saveexec_b64 s[16:17], s[14:15]
	s_xor_b64 s[14:15], exec, s[16:17]
	s_cbranch_execz .LBB77_46
; %bb.45:
	v_div_scale_f64 v[15:16], s[16:17], v[13:14], v[13:14], v[11:12]
	v_rcp_f64_e32 v[17:18], v[15:16]
	v_fma_f64 v[23:24], -v[15:16], v[17:18], 1.0
	v_fma_f64 v[17:18], v[17:18], v[23:24], v[17:18]
	v_div_scale_f64 v[23:24], vcc, v[11:12], v[13:14], v[11:12]
	v_fma_f64 v[25:26], -v[15:16], v[17:18], 1.0
	v_fma_f64 v[17:18], v[17:18], v[25:26], v[17:18]
	v_mul_f64 v[25:26], v[23:24], v[17:18]
	v_fma_f64 v[15:16], -v[15:16], v[25:26], v[23:24]
	v_div_fmas_f64 v[15:16], v[15:16], v[17:18], v[25:26]
	v_div_fixup_f64 v[15:16], v[15:16], v[13:14], v[11:12]
	v_fma_f64 v[11:12], v[11:12], v[15:16], v[13:14]
	v_div_scale_f64 v[13:14], s[16:17], v[11:12], v[11:12], 1.0
	v_div_scale_f64 v[25:26], vcc, 1.0, v[11:12], 1.0
	v_rcp_f64_e32 v[17:18], v[13:14]
	v_fma_f64 v[23:24], -v[13:14], v[17:18], 1.0
	v_fma_f64 v[17:18], v[17:18], v[23:24], v[17:18]
	v_fma_f64 v[23:24], -v[13:14], v[17:18], 1.0
	v_fma_f64 v[17:18], v[17:18], v[23:24], v[17:18]
	v_mul_f64 v[23:24], v[25:26], v[17:18]
	v_fma_f64 v[13:14], -v[13:14], v[23:24], v[25:26]
	v_div_fmas_f64 v[13:14], v[13:14], v[17:18], v[23:24]
	v_div_fixup_f64 v[17:18], v[13:14], v[11:12], 1.0
                                        ; implicit-def: $vgpr11_vgpr12
	v_mul_f64 v[15:16], v[15:16], v[17:18]
	v_xor_b32_e32 v18, 0x80000000, v18
.LBB77_46:
	s_andn2_saveexec_b64 s[14:15], s[14:15]
	s_cbranch_execz .LBB77_48
; %bb.47:
	v_div_scale_f64 v[15:16], s[16:17], v[11:12], v[11:12], v[13:14]
	v_rcp_f64_e32 v[17:18], v[15:16]
	v_fma_f64 v[23:24], -v[15:16], v[17:18], 1.0
	v_fma_f64 v[17:18], v[17:18], v[23:24], v[17:18]
	v_div_scale_f64 v[23:24], vcc, v[13:14], v[11:12], v[13:14]
	v_fma_f64 v[25:26], -v[15:16], v[17:18], 1.0
	v_fma_f64 v[17:18], v[17:18], v[25:26], v[17:18]
	v_mul_f64 v[25:26], v[23:24], v[17:18]
	v_fma_f64 v[15:16], -v[15:16], v[25:26], v[23:24]
	v_div_fmas_f64 v[15:16], v[15:16], v[17:18], v[25:26]
	v_div_fixup_f64 v[17:18], v[15:16], v[11:12], v[13:14]
	v_fma_f64 v[11:12], v[13:14], v[17:18], v[11:12]
	v_div_scale_f64 v[13:14], s[16:17], v[11:12], v[11:12], 1.0
	v_div_scale_f64 v[25:26], vcc, 1.0, v[11:12], 1.0
	v_rcp_f64_e32 v[15:16], v[13:14]
	v_fma_f64 v[23:24], -v[13:14], v[15:16], 1.0
	v_fma_f64 v[15:16], v[15:16], v[23:24], v[15:16]
	v_fma_f64 v[23:24], -v[13:14], v[15:16], 1.0
	v_fma_f64 v[15:16], v[15:16], v[23:24], v[15:16]
	v_mul_f64 v[23:24], v[25:26], v[15:16]
	v_fma_f64 v[13:14], -v[13:14], v[23:24], v[25:26]
	v_div_fmas_f64 v[13:14], v[13:14], v[15:16], v[23:24]
	v_div_fixup_f64 v[15:16], v[13:14], v[11:12], 1.0
	v_mul_f64 v[17:18], v[17:18], -v[15:16]
.LBB77_48:
	s_or_b64 exec, exec, s[14:15]
	v_lshlrev_b32_e32 v11, 4, v22
	ds_write_b128 v11, v[15:18]
.LBB77_49:
	s_or_b64 exec, exec, s[12:13]
                                        ; implicit-def: $vgpr11_vgpr12
                                        ; implicit-def: $vgpr22
.LBB77_50:
	s_andn2_saveexec_b64 s[8:9], s[8:9]
	s_cbranch_execz .LBB77_52
; %bb.51:
	v_lshlrev_b64 v[11:12], 4, v[11:12]
	v_mov_b32_e32 v13, s95
	v_add_co_u32_e32 v11, vcc, s94, v11
	v_addc_co_u32_e32 v12, vcc, v13, v12, vcc
	global_load_dwordx4 v[11:14], v[11:12], off
	v_lshlrev_b32_e32 v15, 4, v22
	s_waitcnt vmcnt(0)
	v_xor_b32_e32 v12, 0x80000000, v12
	v_xor_b32_e32 v14, 0x80000000, v14
	ds_write_b128 v15, v[11:14]
.LBB77_52:
	s_or_b64 exec, exec, s[8:9]
	v_add_u32_e32 v13, 16, v2
	v_mad_u64_u32 v[11:12], s[8:9], s20, v13, v[19:20]
	v_add_u32_e32 v16, v13, v21
	v_cmp_gt_u32_e32 vcc, v13, v0
	v_mad_u64_u32 v[14:15], s[8:9], s21, v13, v[12:13]
	v_lshl_add_u32 v12, v13, 5, v0
	v_cndmask_b32_e64 v19, v12, v16, s[0:1]
	v_cmp_gt_i32_e64 s[0:1], s93, v13
	s_and_b64 s[0:1], vcc, s[0:1]
	s_and_b64 s[0:1], s[2:3], s[0:1]
	v_mov_b32_e32 v12, v14
	s_xor_b64 s[0:1], s[0:1], -1
	s_and_saveexec_b64 s[8:9], s[0:1]
	s_xor_b64 s[0:1], exec, s[8:9]
	s_cbranch_execz .LBB77_64
; %bb.53:
	v_cmp_ne_u32_e32 vcc, v0, v13
	s_xor_b64 s[2:3], s[2:3], -1
	s_or_b64 s[2:3], s[2:3], vcc
	s_and_saveexec_b64 s[8:9], s[2:3]
	s_xor_b64 s[2:3], exec, s[8:9]
	s_cbranch_execz .LBB77_57
; %bb.54:
	v_or_b32_e32 v11, v13, v0
	v_cmp_gt_u32_e32 vcc, 32, v11
	s_and_saveexec_b64 s[8:9], vcc
	s_cbranch_execz .LBB77_56
; %bb.55:
	v_mov_b32_e32 v11, 0
	v_lshlrev_b32_e32 v15, 4, v19
	v_mov_b32_e32 v12, v11
	v_mov_b32_e32 v13, v11
	;; [unrolled: 1-line block ×3, first 2 shown]
	ds_write_b128 v15, v[11:14]
.LBB77_56:
	s_or_b64 exec, exec, s[8:9]
                                        ; implicit-def: $vgpr19
                                        ; implicit-def: $vgpr11_vgpr12
.LBB77_57:
	s_andn2_saveexec_b64 s[2:3], s[2:3]
	s_cbranch_execz .LBB77_63
; %bb.58:
	v_lshlrev_b64 v[11:12], 4, v[11:12]
	v_mov_b32_e32 v13, s95
	v_add_co_u32_e32 v11, vcc, s94, v11
	v_addc_co_u32_e32 v12, vcc, v13, v12, vcc
	global_load_dwordx4 v[11:14], v[11:12], off
                                        ; implicit-def: $vgpr15_vgpr16
	s_waitcnt vmcnt(0)
	v_cmp_ngt_f64_e64 s[8:9], |v[11:12]|, |v[13:14]|
	s_and_saveexec_b64 s[12:13], s[8:9]
	s_xor_b64 s[8:9], exec, s[12:13]
	s_cbranch_execz .LBB77_60
; %bb.59:
	v_div_scale_f64 v[15:16], s[12:13], v[13:14], v[13:14], v[11:12]
	v_rcp_f64_e32 v[17:18], v[15:16]
	v_fma_f64 v[20:21], -v[15:16], v[17:18], 1.0
	v_fma_f64 v[17:18], v[17:18], v[20:21], v[17:18]
	v_div_scale_f64 v[20:21], vcc, v[11:12], v[13:14], v[11:12]
	v_fma_f64 v[22:23], -v[15:16], v[17:18], 1.0
	v_fma_f64 v[17:18], v[17:18], v[22:23], v[17:18]
	v_mul_f64 v[22:23], v[20:21], v[17:18]
	v_fma_f64 v[15:16], -v[15:16], v[22:23], v[20:21]
	v_div_fmas_f64 v[15:16], v[15:16], v[17:18], v[22:23]
	v_div_fixup_f64 v[15:16], v[15:16], v[13:14], v[11:12]
	v_fma_f64 v[11:12], v[11:12], v[15:16], v[13:14]
	v_div_scale_f64 v[13:14], s[12:13], v[11:12], v[11:12], 1.0
	v_div_scale_f64 v[22:23], vcc, 1.0, v[11:12], 1.0
	v_rcp_f64_e32 v[17:18], v[13:14]
	v_fma_f64 v[20:21], -v[13:14], v[17:18], 1.0
	v_fma_f64 v[17:18], v[17:18], v[20:21], v[17:18]
	v_fma_f64 v[20:21], -v[13:14], v[17:18], 1.0
	v_fma_f64 v[17:18], v[17:18], v[20:21], v[17:18]
	v_mul_f64 v[20:21], v[22:23], v[17:18]
	v_fma_f64 v[13:14], -v[13:14], v[20:21], v[22:23]
	v_div_fmas_f64 v[13:14], v[13:14], v[17:18], v[20:21]
	v_div_fixup_f64 v[17:18], v[13:14], v[11:12], 1.0
                                        ; implicit-def: $vgpr11_vgpr12
	v_mul_f64 v[15:16], v[15:16], v[17:18]
	v_xor_b32_e32 v18, 0x80000000, v18
.LBB77_60:
	s_andn2_saveexec_b64 s[8:9], s[8:9]
	s_cbranch_execz .LBB77_62
; %bb.61:
	v_div_scale_f64 v[15:16], s[12:13], v[11:12], v[11:12], v[13:14]
	v_rcp_f64_e32 v[17:18], v[15:16]
	v_fma_f64 v[20:21], -v[15:16], v[17:18], 1.0
	v_fma_f64 v[17:18], v[17:18], v[20:21], v[17:18]
	v_div_scale_f64 v[20:21], vcc, v[13:14], v[11:12], v[13:14]
	v_fma_f64 v[22:23], -v[15:16], v[17:18], 1.0
	v_fma_f64 v[17:18], v[17:18], v[22:23], v[17:18]
	v_mul_f64 v[22:23], v[20:21], v[17:18]
	v_fma_f64 v[15:16], -v[15:16], v[22:23], v[20:21]
	v_div_fmas_f64 v[15:16], v[15:16], v[17:18], v[22:23]
	v_div_fixup_f64 v[17:18], v[15:16], v[11:12], v[13:14]
	v_fma_f64 v[11:12], v[13:14], v[17:18], v[11:12]
	v_div_scale_f64 v[13:14], s[12:13], v[11:12], v[11:12], 1.0
	v_div_scale_f64 v[22:23], vcc, 1.0, v[11:12], 1.0
	v_rcp_f64_e32 v[15:16], v[13:14]
	v_fma_f64 v[20:21], -v[13:14], v[15:16], 1.0
	v_fma_f64 v[15:16], v[15:16], v[20:21], v[15:16]
	v_fma_f64 v[20:21], -v[13:14], v[15:16], 1.0
	v_fma_f64 v[15:16], v[15:16], v[20:21], v[15:16]
	v_mul_f64 v[20:21], v[22:23], v[15:16]
	v_fma_f64 v[13:14], -v[13:14], v[20:21], v[22:23]
	v_div_fmas_f64 v[13:14], v[13:14], v[15:16], v[20:21]
	v_div_fixup_f64 v[15:16], v[13:14], v[11:12], 1.0
	v_mul_f64 v[17:18], v[17:18], -v[15:16]
.LBB77_62:
	s_or_b64 exec, exec, s[8:9]
	v_lshlrev_b32_e32 v11, 4, v19
	ds_write_b128 v11, v[15:18]
.LBB77_63:
	s_or_b64 exec, exec, s[2:3]
                                        ; implicit-def: $vgpr11_vgpr12
                                        ; implicit-def: $vgpr19
.LBB77_64:
	s_andn2_saveexec_b64 s[0:1], s[0:1]
	s_cbranch_execz .LBB77_66
; %bb.65:
	v_lshlrev_b64 v[11:12], 4, v[11:12]
	v_mov_b32_e32 v13, s95
	v_add_co_u32_e32 v11, vcc, s94, v11
	v_addc_co_u32_e32 v12, vcc, v13, v12, vcc
	global_load_dwordx4 v[11:14], v[11:12], off
	v_lshlrev_b32_e32 v15, 4, v19
	s_waitcnt vmcnt(0)
	v_xor_b32_e32 v12, 0x80000000, v12
	v_xor_b32_e32 v14, 0x80000000, v14
	ds_write_b128 v15, v[11:14]
.LBB77_66:
	s_or_b64 exec, exec, s[0:1]
.LBB77_67:
	v_cndmask_b32_e64 v11, 0, 1, s[10:11]
	v_cmp_ne_u32_e64 s[0:1], 1, v11
	s_andn2_b64 vcc, exec, s[10:11]
	s_waitcnt vmcnt(0) lgkmcnt(0)
	s_barrier
	s_cbranch_vccnz .LBB77_491
; %bb.68:
	v_or_b32_e32 v11, v0, v2
	v_cmp_eq_u32_e32 vcc, 0, v11
	s_and_saveexec_b64 s[2:3], vcc
	s_cbranch_execz .LBB77_70
; %bb.69:
	v_mov_b32_e32 v25, 0
	ds_read_b128 v[11:14], v25 offset:16368
	ds_read_b128 v[15:18], v25 offset:15840
	;; [unrolled: 1-line block ×3, first 2 shown]
	s_waitcnt lgkmcnt(1)
	v_mul_f64 v[23:24], v[11:12], v[17:18]
	v_mul_f64 v[17:18], v[13:14], v[17:18]
	v_fma_f64 v[13:14], v[13:14], v[15:16], v[23:24]
	v_fma_f64 v[11:12], v[11:12], v[15:16], -v[17:18]
	s_waitcnt lgkmcnt(0)
	v_mul_f64 v[15:16], v[13:14], v[21:22]
	v_mul_f64 v[17:18], v[11:12], v[21:22]
	v_fma_f64 v[11:12], v[19:20], v[11:12], -v[15:16]
	v_fma_f64 v[13:14], v[19:20], v[13:14], v[17:18]
	ds_write_b128 v25, v[11:14] offset:16352
	ds_write_b128 v25, v[11:14] offset:15856
.LBB77_70:
	s_or_b64 exec, exec, s[2:3]
	v_lshlrev_b32_e32 v11, 5, v2
	v_add_u32_e32 v18, v11, v0
	v_add_u16_e32 v11, v11, v0
	v_lshrrev_b16_e32 v17, 1, v11
	v_mov_b32_e32 v11, 0
	v_mov_b32_e32 v13, 0
	v_and_b32_e32 v15, 1, v0
	v_sub_u32_e32 v16, 1, v17
	v_cmp_lt_u32_e64 s[8:9], 3, v18
	v_mov_b32_e32 v12, 0
	v_mov_b32_e32 v14, 0
	v_cmp_gt_u32_e64 s[2:3], 4, v18
	s_waitcnt lgkmcnt(0)
	s_barrier
	buffer_wbinvl1_vol
	s_and_saveexec_b64 s[12:13], s[2:3]
	s_cbranch_execz .LBB77_74
; %bb.71:
	v_lshlrev_b32_e32 v19, 4, v15
	v_lshlrev_b32_e32 v11, 9, v16
	ds_read_b128 v[11:14], v11 offset:15840
	ds_read_b128 v[19:22], v19 offset:15808
	v_cmp_gt_u32_e64 s[10:11], 2, v18
	s_waitcnt lgkmcnt(0)
	v_mul_f64 v[23:24], v[13:14], v[21:22]
	v_mul_f64 v[21:22], v[11:12], v[21:22]
	v_fma_f64 v[11:12], v[11:12], v[19:20], -v[23:24]
	v_fma_f64 v[13:14], v[13:14], v[19:20], v[21:22]
	v_add_f64 v[11:12], v[11:12], 0
	v_add_f64 v[13:14], v[13:14], 0
	s_and_saveexec_b64 s[14:15], s[10:11]
	s_cbranch_execz .LBB77_73
; %bb.72:
	v_lshlrev_b32_e32 v23, 4, v0
	v_mov_b32_e32 v19, 0
	ds_read_b128 v[19:22], v19 offset:16368
	ds_read_b128 v[23:26], v23 offset:16320
	s_waitcnt lgkmcnt(0)
	v_mul_f64 v[27:28], v[21:22], v[25:26]
	v_mul_f64 v[25:26], v[19:20], v[25:26]
	v_fma_f64 v[19:20], v[19:20], v[23:24], -v[27:28]
	v_fma_f64 v[21:22], v[21:22], v[23:24], v[25:26]
	v_add_f64 v[11:12], v[11:12], v[19:20]
	v_add_f64 v[13:14], v[13:14], v[21:22]
.LBB77_73:
	s_or_b64 exec, exec, s[14:15]
.LBB77_74:
	s_or_b64 exec, exec, s[12:13]
	v_mov_b32_e32 v19, 0x4000
	v_cmp_ne_u32_e64 s[10:11], 0, v15
	s_xor_b64 s[12:13], s[8:9], -1
	v_lshl_add_u32 v17, v17, 4, v19
	s_and_b64 s[40:41], s[10:11], s[12:13]
	s_and_saveexec_b64 s[8:9], s[40:41]
	s_cbranch_execz .LBB77_76
; %bb.75:
	v_mov_b32_e32 v19, 0
	ds_read_b128 v[19:22], v19 offset:15312
	s_waitcnt lgkmcnt(0)
	v_mul_f64 v[23:24], v[13:14], v[21:22]
	v_mul_f64 v[21:22], v[11:12], v[21:22]
	v_fma_f64 v[11:12], v[11:12], v[19:20], -v[23:24]
	v_fma_f64 v[13:14], v[13:14], v[19:20], v[21:22]
	v_xor_b32_e32 v20, 0x80000000, v12
	v_xor_b32_e32 v22, 0x80000000, v14
	v_mov_b32_e32 v19, v11
	v_mov_b32_e32 v21, v13
	ds_write_b128 v17, v[19:22]
.LBB77_76:
	s_or_b64 exec, exec, s[8:9]
	v_cmp_eq_u32_e64 s[8:9], 0, v15
	s_and_b64 s[24:25], s[8:9], s[12:13]
	s_waitcnt lgkmcnt(0)
	s_barrier
	s_and_saveexec_b64 s[8:9], s[24:25]
	s_cbranch_execz .LBB77_78
; %bb.77:
	v_mov_b32_e32 v23, 0
	ds_read_b128 v[19:22], v17
	ds_read_b128 v[23:26], v23 offset:15296
	s_waitcnt lgkmcnt(0)
	v_mul_f64 v[27:28], v[21:22], v[25:26]
	v_mul_f64 v[25:26], v[19:20], v[25:26]
	v_fma_f64 v[19:20], v[19:20], v[23:24], -v[27:28]
	v_fma_f64 v[21:22], v[21:22], v[23:24], v[25:26]
	v_add_f64 v[11:12], v[11:12], -v[19:20]
	v_add_f64 v[13:14], v[13:14], -v[21:22]
.LBB77_78:
	s_or_b64 exec, exec, s[8:9]
	s_barrier
	s_and_saveexec_b64 s[8:9], s[24:25]
	s_cbranch_execz .LBB77_80
; %bb.79:
	v_mov_b32_e32 v19, 0
	ds_read_b128 v[19:22], v19 offset:14784
	s_waitcnt lgkmcnt(0)
	v_mul_f64 v[23:24], v[13:14], v[21:22]
	v_mul_f64 v[21:22], v[11:12], v[21:22]
	v_fma_f64 v[11:12], v[11:12], v[19:20], -v[23:24]
	v_fma_f64 v[13:14], v[13:14], v[19:20], v[21:22]
	v_xor_b32_e32 v20, 0x80000000, v12
	v_xor_b32_e32 v22, 0x80000000, v14
	v_mov_b32_e32 v19, v11
	v_mov_b32_e32 v21, v13
	ds_write_b128 v17, v[19:22]
.LBB77_80:
	s_or_b64 exec, exec, s[8:9]
	s_waitcnt lgkmcnt(0)
	s_barrier
	s_barrier
	s_and_saveexec_b64 s[8:9], s[2:3]
; %bb.81:
	v_lshlrev_b32_e32 v19, 4, v15
	v_lshl_or_b32 v19, v16, 9, v19
	ds_write_b128 v19, v[11:14] offset:15808
; %bb.82:
	s_or_b64 exec, exec, s[8:9]
	v_cmp_eq_u32_e64 s[10:11], 0, v2
	v_cmp_gt_u32_e64 s[8:9], 2, v0
	s_and_b64 s[42:43], s[10:11], s[8:9]
	s_waitcnt lgkmcnt(0)
	s_barrier
	s_barrier
	s_and_saveexec_b64 s[8:9], s[42:43]
	s_cbranch_execz .LBB77_84
; %bb.83:
	v_lshlrev_b32_e32 v19, 9, v0
	ds_read_b128 v[11:14], v19 offset:15808
	s_movk_i32 s12, 0xfe10
	v_mad_i32_i24 v20, v0, s12, v19
	s_waitcnt lgkmcnt(0)
	ds_write_b128 v20, v[11:14] offset:14816
	ds_read_b128 v[11:14], v19 offset:15824
	s_waitcnt lgkmcnt(0)
	ds_write_b128 v20, v[11:14] offset:15328
.LBB77_84:
	s_or_b64 exec, exec, s[8:9]
	s_waitcnt lgkmcnt(0)
	s_barrier
	s_and_saveexec_b64 s[8:9], vcc
	s_cbranch_execz .LBB77_86
; %bb.85:
	v_mov_b32_e32 v29, 0
	ds_read_b128 v[11:14], v29 offset:15312
	ds_read_b128 v[19:22], v29 offset:14784
	;; [unrolled: 1-line block ×3, first 2 shown]
	s_waitcnt lgkmcnt(1)
	v_mul_f64 v[27:28], v[11:12], v[21:22]
	v_mul_f64 v[21:22], v[13:14], v[21:22]
	v_fma_f64 v[13:14], v[13:14], v[19:20], v[27:28]
	v_fma_f64 v[11:12], v[11:12], v[19:20], -v[21:22]
	s_waitcnt lgkmcnt(0)
	v_mul_f64 v[19:20], v[13:14], v[25:26]
	v_mul_f64 v[21:22], v[11:12], v[25:26]
	v_fma_f64 v[11:12], v[23:24], v[11:12], -v[19:20]
	v_fma_f64 v[13:14], v[23:24], v[13:14], v[21:22]
	ds_write_b128 v29, v[11:14] offset:15296
	ds_write_b128 v29, v[11:14] offset:14800
.LBB77_86:
	s_or_b64 exec, exec, s[8:9]
	v_lshrrev_b32_e32 v21, 2, v18
	v_mov_b32_e32 v13, 0
	v_mov_b32_e32 v11, 0
	v_and_b32_e32 v19, 3, v0
	v_sub_u32_e32 v20, 3, v21
	v_cmp_lt_u32_e64 s[8:9], 15, v18
	v_mov_b32_e32 v14, 0
	v_mov_b32_e32 v12, 0
	v_cmp_gt_u32_e64 s[16:17], 16, v18
	s_waitcnt lgkmcnt(0)
	s_barrier
	buffer_wbinvl1_vol
	s_and_saveexec_b64 s[14:15], s[16:17]
	s_cbranch_execz .LBB77_92
; %bb.87:
	v_lshlrev_b32_e32 v23, 9, v20
	v_lshlrev_b32_e32 v22, 4, v19
	ds_read_b128 v[11:14], v23 offset:14784
	ds_read_b128 v[24:27], v22 offset:14720
	v_cmp_gt_u32_e64 s[12:13], 12, v18
	s_waitcnt lgkmcnt(0)
	v_mul_f64 v[28:29], v[13:14], v[26:27]
	v_mul_f64 v[26:27], v[11:12], v[26:27]
	v_fma_f64 v[11:12], v[11:12], v[24:25], -v[28:29]
	v_fma_f64 v[13:14], v[13:14], v[24:25], v[26:27]
	v_add_f64 v[11:12], v[11:12], 0
	v_add_f64 v[13:14], v[13:14], 0
	s_and_saveexec_b64 s[18:19], s[12:13]
	s_cbranch_execnz .LBB77_551
; %bb.88:
	s_or_b64 exec, exec, s[18:19]
	v_cmp_gt_u32_e64 s[12:13], 8, v18
	s_and_saveexec_b64 s[18:19], s[12:13]
	s_cbranch_execnz .LBB77_552
.LBB77_89:
	s_or_b64 exec, exec, s[18:19]
	v_cmp_gt_u32_e64 s[12:13], 4, v18
	s_and_saveexec_b64 s[18:19], s[12:13]
	s_cbranch_execz .LBB77_91
.LBB77_90:
	v_lshlrev_b32_e32 v26, 4, v0
	v_mov_b32_e32 v22, 0
	ds_read_b128 v[22:25], v22 offset:16368
	ds_read_b128 v[26:29], v26 offset:16256
	s_waitcnt lgkmcnt(0)
	v_mul_f64 v[30:31], v[24:25], v[28:29]
	v_mul_f64 v[28:29], v[22:23], v[28:29]
	v_fma_f64 v[22:23], v[22:23], v[26:27], -v[30:31]
	v_fma_f64 v[24:25], v[24:25], v[26:27], v[28:29]
	v_add_f64 v[11:12], v[11:12], v[22:23]
	v_add_f64 v[13:14], v[13:14], v[24:25]
.LBB77_91:
	s_or_b64 exec, exec, s[18:19]
.LBB77_92:
	s_or_b64 exec, exec, s[14:15]
	v_mov_b32_e32 v22, 0x4000
	v_cmp_eq_u32_e64 s[12:13], 3, v19
	s_xor_b64 s[14:15], s[8:9], -1
	v_lshl_add_u32 v21, v21, 4, v22
	s_and_b64 s[46:47], s[12:13], s[14:15]
	s_and_saveexec_b64 s[8:9], s[46:47]
	s_cbranch_execz .LBB77_94
; %bb.93:
	v_mov_b32_e32 v22, 0
	ds_read_b128 v[22:25], v22 offset:14256
	s_waitcnt lgkmcnt(0)
	v_mul_f64 v[26:27], v[13:14], v[24:25]
	v_mul_f64 v[24:25], v[11:12], v[24:25]
	v_fma_f64 v[11:12], v[11:12], v[22:23], -v[26:27]
	v_fma_f64 v[13:14], v[13:14], v[22:23], v[24:25]
	v_xor_b32_e32 v23, 0x80000000, v12
	v_xor_b32_e32 v25, 0x80000000, v14
	v_mov_b32_e32 v22, v11
	v_mov_b32_e32 v24, v13
	ds_write_b128 v21, v[22:25]
.LBB77_94:
	s_or_b64 exec, exec, s[8:9]
	v_cmp_ne_u32_e64 s[8:9], 3, v19
	s_and_b64 s[48:49], s[8:9], s[14:15]
	s_waitcnt lgkmcnt(0)
	s_barrier
	s_and_saveexec_b64 s[8:9], s[48:49]
	s_cbranch_execz .LBB77_96
; %bb.95:
	v_lshlrev_b32_e32 v26, 4, v19
	ds_read_b128 v[22:25], v21
	ds_read_b128 v[26:29], v26 offset:14208
	s_waitcnt lgkmcnt(0)
	v_mul_f64 v[30:31], v[24:25], v[28:29]
	v_mul_f64 v[28:29], v[22:23], v[28:29]
	v_fma_f64 v[22:23], v[22:23], v[26:27], -v[30:31]
	v_fma_f64 v[24:25], v[24:25], v[26:27], v[28:29]
	v_add_f64 v[11:12], v[11:12], -v[22:23]
	v_add_f64 v[13:14], v[13:14], -v[24:25]
.LBB77_96:
	s_or_b64 exec, exec, s[8:9]
	v_cmp_eq_u32_e64 s[8:9], 2, v19
	s_and_b64 s[50:51], s[8:9], s[14:15]
	s_barrier
	s_and_saveexec_b64 s[8:9], s[50:51]
	s_cbranch_execz .LBB77_98
; %bb.97:
	v_mov_b32_e32 v22, 0
	ds_read_b128 v[22:25], v22 offset:13728
	s_waitcnt lgkmcnt(0)
	v_mul_f64 v[26:27], v[13:14], v[24:25]
	v_mul_f64 v[24:25], v[11:12], v[24:25]
	v_fma_f64 v[11:12], v[11:12], v[22:23], -v[26:27]
	v_fma_f64 v[13:14], v[13:14], v[22:23], v[24:25]
	v_xor_b32_e32 v23, 0x80000000, v12
	v_xor_b32_e32 v25, 0x80000000, v14
	v_mov_b32_e32 v22, v11
	v_mov_b32_e32 v24, v13
	ds_write_b128 v21, v[22:25]
.LBB77_98:
	s_or_b64 exec, exec, s[8:9]
	v_cmp_gt_u32_e64 s[8:9], 2, v19
	s_and_b64 s[52:53], s[8:9], s[14:15]
	s_waitcnt lgkmcnt(0)
	s_barrier
	s_and_saveexec_b64 s[8:9], s[52:53]
	s_cbranch_execz .LBB77_100
; %bb.99:
	v_lshlrev_b32_e32 v26, 4, v19
	ds_read_b128 v[22:25], v21
	ds_read_b128 v[26:29], v26 offset:13696
	s_waitcnt lgkmcnt(0)
	v_mul_f64 v[30:31], v[24:25], v[28:29]
	v_mul_f64 v[28:29], v[22:23], v[28:29]
	v_fma_f64 v[22:23], v[22:23], v[26:27], -v[30:31]
	v_fma_f64 v[24:25], v[24:25], v[26:27], v[28:29]
	v_add_f64 v[11:12], v[11:12], -v[22:23]
	v_add_f64 v[13:14], v[13:14], -v[24:25]
.LBB77_100:
	s_or_b64 exec, exec, s[8:9]
	v_cmp_eq_u32_e64 s[8:9], 1, v19
	s_and_b64 s[54:55], s[8:9], s[14:15]
	s_barrier
	s_and_saveexec_b64 s[8:9], s[54:55]
	s_cbranch_execz .LBB77_102
; %bb.101:
	v_mov_b32_e32 v22, 0
	ds_read_b128 v[22:25], v22 offset:13200
	s_waitcnt lgkmcnt(0)
	v_mul_f64 v[26:27], v[13:14], v[24:25]
	v_mul_f64 v[24:25], v[11:12], v[24:25]
	v_fma_f64 v[11:12], v[11:12], v[22:23], -v[26:27]
	v_fma_f64 v[13:14], v[13:14], v[22:23], v[24:25]
	v_xor_b32_e32 v23, 0x80000000, v12
	v_xor_b32_e32 v25, 0x80000000, v14
	v_mov_b32_e32 v22, v11
	v_mov_b32_e32 v24, v13
	ds_write_b128 v21, v[22:25]
.LBB77_102:
	s_or_b64 exec, exec, s[8:9]
	v_cmp_eq_u32_e64 s[8:9], 0, v19
	s_and_b64 s[44:45], s[8:9], s[14:15]
	s_waitcnt lgkmcnt(0)
	s_barrier
	s_and_saveexec_b64 s[8:9], s[44:45]
	s_cbranch_execz .LBB77_104
; %bb.103:
	v_mov_b32_e32 v26, 0
	ds_read_b128 v[22:25], v21
	ds_read_b128 v[26:29], v26 offset:13184
	s_waitcnt lgkmcnt(0)
	v_mul_f64 v[30:31], v[24:25], v[28:29]
	v_mul_f64 v[28:29], v[22:23], v[28:29]
	v_fma_f64 v[22:23], v[22:23], v[26:27], -v[30:31]
	v_fma_f64 v[24:25], v[24:25], v[26:27], v[28:29]
	v_add_f64 v[11:12], v[11:12], -v[22:23]
	v_add_f64 v[13:14], v[13:14], -v[24:25]
.LBB77_104:
	s_or_b64 exec, exec, s[8:9]
	s_barrier
	s_and_saveexec_b64 s[8:9], s[44:45]
	s_cbranch_execz .LBB77_106
; %bb.105:
	v_mov_b32_e32 v22, 0
	ds_read_b128 v[22:25], v22 offset:12672
	s_waitcnt lgkmcnt(0)
	v_mul_f64 v[26:27], v[13:14], v[24:25]
	v_mul_f64 v[24:25], v[11:12], v[24:25]
	v_fma_f64 v[11:12], v[11:12], v[22:23], -v[26:27]
	v_fma_f64 v[13:14], v[13:14], v[22:23], v[24:25]
	v_xor_b32_e32 v23, 0x80000000, v12
	v_xor_b32_e32 v25, 0x80000000, v14
	v_mov_b32_e32 v22, v11
	v_mov_b32_e32 v24, v13
	ds_write_b128 v21, v[22:25]
.LBB77_106:
	s_or_b64 exec, exec, s[8:9]
	s_waitcnt lgkmcnt(0)
	s_barrier
	s_barrier
	s_and_saveexec_b64 s[8:9], s[16:17]
; %bb.107:
	v_lshlrev_b32_e32 v22, 4, v19
	v_lshl_or_b32 v22, v20, 9, v22
	ds_write_b128 v22, v[11:14] offset:14720
; %bb.108:
	s_or_b64 exec, exec, s[8:9]
	v_cmp_gt_u32_e64 s[8:9], 4, v0
	s_and_b64 s[56:57], s[10:11], s[8:9]
	s_waitcnt lgkmcnt(0)
	s_barrier
	s_barrier
	s_and_saveexec_b64 s[8:9], s[56:57]
	s_cbranch_execz .LBB77_110
; %bb.109:
	v_lshlrev_b32_e32 v22, 4, v0
	s_movk_i32 s12, 0x1f0
	v_mad_u32_u24 v23, v0, s12, v22
	ds_read_b128 v[11:14], v23 offset:14720
	s_waitcnt lgkmcnt(0)
	ds_write_b128 v22, v[11:14] offset:12736
	ds_read_b128 v[11:14], v23 offset:14736
	s_waitcnt lgkmcnt(0)
	ds_write_b128 v22, v[11:14] offset:13248
	;; [unrolled: 3-line block ×4, first 2 shown]
.LBB77_110:
	s_or_b64 exec, exec, s[8:9]
	s_waitcnt lgkmcnt(0)
	s_barrier
	s_and_saveexec_b64 s[8:9], vcc
	s_cbranch_execz .LBB77_112
; %bb.111:
	v_mov_b32_e32 v32, 0
	ds_read_b128 v[11:14], v32 offset:14256
	ds_read_b128 v[22:25], v32 offset:13728
	;; [unrolled: 1-line block ×3, first 2 shown]
	s_waitcnt lgkmcnt(1)
	v_mul_f64 v[30:31], v[11:12], v[24:25]
	v_mul_f64 v[24:25], v[13:14], v[24:25]
	v_fma_f64 v[13:14], v[13:14], v[22:23], v[30:31]
	v_fma_f64 v[11:12], v[11:12], v[22:23], -v[24:25]
	s_waitcnt lgkmcnt(0)
	v_mul_f64 v[22:23], v[13:14], v[28:29]
	v_mul_f64 v[24:25], v[11:12], v[28:29]
	v_fma_f64 v[11:12], v[26:27], v[11:12], -v[22:23]
	v_fma_f64 v[13:14], v[26:27], v[13:14], v[24:25]
	ds_write_b128 v32, v[11:14] offset:14240
	ds_write_b128 v32, v[11:14] offset:13744
.LBB77_112:
	s_or_b64 exec, exec, s[8:9]
	v_mov_b32_e32 v11, 0
	v_mov_b32_e32 v13, 0
	v_mov_b32_e32 v12, 0
	v_mov_b32_e32 v14, 0
	s_waitcnt lgkmcnt(0)
	s_barrier
	buffer_wbinvl1_vol
	s_and_saveexec_b64 s[12:13], s[2:3]
	s_cbranch_execz .LBB77_116
; %bb.113:
	v_lshlrev_b32_e32 v22, 4, v15
	v_lshlrev_b32_e32 v11, 9, v16
	ds_read_b128 v[11:14], v11 offset:13728
	ds_read_b128 v[22:25], v22 offset:13696
	v_cmp_gt_u32_e64 s[8:9], 2, v18
	s_waitcnt lgkmcnt(0)
	v_mul_f64 v[26:27], v[13:14], v[24:25]
	v_mul_f64 v[24:25], v[11:12], v[24:25]
	v_fma_f64 v[11:12], v[11:12], v[22:23], -v[26:27]
	v_fma_f64 v[13:14], v[13:14], v[22:23], v[24:25]
	v_add_f64 v[11:12], v[11:12], 0
	v_add_f64 v[13:14], v[13:14], 0
	s_and_saveexec_b64 s[14:15], s[8:9]
	s_cbranch_execz .LBB77_115
; %bb.114:
	v_lshlrev_b32_e32 v26, 4, v0
	v_mov_b32_e32 v22, 0
	ds_read_b128 v[22:25], v22 offset:14256
	ds_read_b128 v[26:29], v26 offset:14208
	s_waitcnt lgkmcnt(0)
	v_mul_f64 v[30:31], v[24:25], v[28:29]
	v_mul_f64 v[28:29], v[22:23], v[28:29]
	v_fma_f64 v[22:23], v[22:23], v[26:27], -v[30:31]
	v_fma_f64 v[24:25], v[24:25], v[26:27], v[28:29]
	v_add_f64 v[11:12], v[11:12], v[22:23]
	v_add_f64 v[13:14], v[13:14], v[24:25]
.LBB77_115:
	s_or_b64 exec, exec, s[14:15]
.LBB77_116:
	s_or_b64 exec, exec, s[12:13]
	s_and_saveexec_b64 s[8:9], s[40:41]
	s_cbranch_execz .LBB77_118
; %bb.117:
	v_mov_b32_e32 v22, 0
	ds_read_b128 v[22:25], v22 offset:13200
	s_waitcnt lgkmcnt(0)
	v_mul_f64 v[26:27], v[13:14], v[24:25]
	v_mul_f64 v[24:25], v[11:12], v[24:25]
	v_fma_f64 v[11:12], v[11:12], v[22:23], -v[26:27]
	v_fma_f64 v[13:14], v[13:14], v[22:23], v[24:25]
	v_xor_b32_e32 v23, 0x80000000, v12
	v_xor_b32_e32 v25, 0x80000000, v14
	v_mov_b32_e32 v22, v11
	v_mov_b32_e32 v24, v13
	ds_write_b128 v17, v[22:25]
.LBB77_118:
	s_or_b64 exec, exec, s[8:9]
	s_waitcnt lgkmcnt(0)
	s_barrier
	s_and_saveexec_b64 s[8:9], s[24:25]
	s_cbranch_execz .LBB77_120
; %bb.119:
	v_mov_b32_e32 v26, 0
	ds_read_b128 v[22:25], v17
	ds_read_b128 v[26:29], v26 offset:13184
	s_waitcnt lgkmcnt(0)
	v_mul_f64 v[30:31], v[24:25], v[28:29]
	v_mul_f64 v[28:29], v[22:23], v[28:29]
	v_fma_f64 v[22:23], v[22:23], v[26:27], -v[30:31]
	v_fma_f64 v[24:25], v[24:25], v[26:27], v[28:29]
	v_add_f64 v[11:12], v[11:12], -v[22:23]
	v_add_f64 v[13:14], v[13:14], -v[24:25]
.LBB77_120:
	s_or_b64 exec, exec, s[8:9]
	s_barrier
	s_and_saveexec_b64 s[8:9], s[24:25]
	s_cbranch_execz .LBB77_122
; %bb.121:
	v_mov_b32_e32 v22, 0
	ds_read_b128 v[22:25], v22 offset:12672
	s_waitcnt lgkmcnt(0)
	v_mul_f64 v[26:27], v[13:14], v[24:25]
	v_mul_f64 v[24:25], v[11:12], v[24:25]
	v_fma_f64 v[11:12], v[11:12], v[22:23], -v[26:27]
	v_fma_f64 v[13:14], v[13:14], v[22:23], v[24:25]
	v_xor_b32_e32 v23, 0x80000000, v12
	v_xor_b32_e32 v25, 0x80000000, v14
	v_mov_b32_e32 v22, v11
	v_mov_b32_e32 v24, v13
	ds_write_b128 v17, v[22:25]
.LBB77_122:
	s_or_b64 exec, exec, s[8:9]
	s_waitcnt lgkmcnt(0)
	s_barrier
	s_barrier
	s_and_saveexec_b64 s[8:9], s[2:3]
; %bb.123:
	v_lshlrev_b32_e32 v22, 4, v15
	v_lshl_or_b32 v22, v16, 9, v22
	ds_write_b128 v22, v[11:14] offset:13696
; %bb.124:
	s_or_b64 exec, exec, s[8:9]
	s_waitcnt lgkmcnt(0)
	s_barrier
	s_barrier
	s_and_saveexec_b64 s[8:9], s[42:43]
	s_cbranch_execz .LBB77_126
; %bb.125:
	v_lshlrev_b32_e32 v22, 9, v0
	ds_read_b128 v[11:14], v22 offset:13696
	s_movk_i32 s12, 0xfe10
	v_mad_i32_i24 v23, v0, s12, v22
	s_waitcnt lgkmcnt(0)
	ds_write_b128 v23, v[11:14] offset:12704
	ds_read_b128 v[11:14], v22 offset:13712
	s_waitcnt lgkmcnt(0)
	ds_write_b128 v23, v[11:14] offset:13216
.LBB77_126:
	s_or_b64 exec, exec, s[8:9]
	s_waitcnt lgkmcnt(0)
	s_barrier
	s_and_saveexec_b64 s[8:9], vcc
	s_cbranch_execz .LBB77_128
; %bb.127:
	v_mov_b32_e32 v32, 0
	ds_read_b128 v[11:14], v32 offset:13200
	ds_read_b128 v[22:25], v32 offset:12672
	;; [unrolled: 1-line block ×3, first 2 shown]
	s_waitcnt lgkmcnt(1)
	v_mul_f64 v[30:31], v[11:12], v[24:25]
	v_mul_f64 v[24:25], v[13:14], v[24:25]
	v_fma_f64 v[13:14], v[13:14], v[22:23], v[30:31]
	v_fma_f64 v[11:12], v[11:12], v[22:23], -v[24:25]
	s_waitcnt lgkmcnt(0)
	v_mul_f64 v[22:23], v[13:14], v[28:29]
	v_mul_f64 v[24:25], v[11:12], v[28:29]
	v_fma_f64 v[11:12], v[26:27], v[11:12], -v[22:23]
	v_fma_f64 v[13:14], v[26:27], v[13:14], v[24:25]
	ds_write_b128 v32, v[11:14] offset:13184
	ds_write_b128 v32, v[11:14] offset:12688
.LBB77_128:
	s_or_b64 exec, exec, s[8:9]
	v_lshrrev_b32_e32 v24, 3, v18
	v_mov_b32_e32 v13, 0
	v_mov_b32_e32 v11, 0
	v_and_b32_e32 v22, 7, v0
	v_sub_u32_e32 v23, 7, v24
	v_cmp_lt_u32_e64 s[12:13], 63, v18
	v_mov_b32_e32 v14, 0
	v_mov_b32_e32 v12, 0
	v_cmp_gt_u32_e64 s[8:9], 64, v18
	s_waitcnt lgkmcnt(0)
	s_barrier
	buffer_wbinvl1_vol
	s_and_saveexec_b64 s[18:19], s[8:9]
	s_cbranch_execz .LBB77_138
; %bb.129:
	v_lshlrev_b32_e32 v26, 9, v23
	v_lshlrev_b32_e32 v25, 4, v22
	ds_read_b128 v[11:14], v26 offset:12672
	ds_read_b128 v[27:30], v25 offset:12544
	v_cmp_gt_u32_e64 s[14:15], 56, v18
	s_waitcnt lgkmcnt(0)
	v_mul_f64 v[31:32], v[13:14], v[29:30]
	v_mul_f64 v[29:30], v[11:12], v[29:30]
	v_fma_f64 v[11:12], v[11:12], v[27:28], -v[31:32]
	v_fma_f64 v[13:14], v[13:14], v[27:28], v[29:30]
	v_add_f64 v[11:12], v[11:12], 0
	v_add_f64 v[13:14], v[13:14], 0
	s_and_saveexec_b64 s[58:59], s[14:15]
	s_cbranch_execnz .LBB77_553
; %bb.130:
	s_or_b64 exec, exec, s[58:59]
	v_cmp_gt_u32_e64 s[14:15], 48, v18
	s_and_saveexec_b64 s[58:59], s[14:15]
	s_cbranch_execnz .LBB77_554
.LBB77_131:
	s_or_b64 exec, exec, s[58:59]
	v_cmp_gt_u32_e64 s[14:15], 40, v18
	s_and_saveexec_b64 s[58:59], s[14:15]
	s_cbranch_execnz .LBB77_555
.LBB77_132:
	s_or_b64 exec, exec, s[58:59]
	v_cmp_gt_u32_e64 s[14:15], 32, v18
	s_and_saveexec_b64 s[58:59], s[14:15]
	s_cbranch_execnz .LBB77_556
.LBB77_133:
	s_or_b64 exec, exec, s[58:59]
	v_cmp_gt_u32_e64 s[14:15], 24, v18
	s_and_saveexec_b64 s[58:59], s[14:15]
	s_cbranch_execnz .LBB77_557
.LBB77_134:
	s_or_b64 exec, exec, s[58:59]
	s_and_saveexec_b64 s[14:15], s[16:17]
	s_cbranch_execnz .LBB77_558
.LBB77_135:
	s_or_b64 exec, exec, s[14:15]
	v_cmp_gt_u32_e64 s[14:15], 8, v18
	s_and_saveexec_b64 s[58:59], s[14:15]
	s_cbranch_execz .LBB77_137
.LBB77_136:
	v_lshlrev_b32_e32 v29, 4, v0
	v_mov_b32_e32 v25, 0
	ds_read_b128 v[25:28], v25 offset:16368
	ds_read_b128 v[29:32], v29 offset:16128
	s_waitcnt lgkmcnt(0)
	v_mul_f64 v[33:34], v[27:28], v[31:32]
	v_mul_f64 v[31:32], v[25:26], v[31:32]
	v_fma_f64 v[25:26], v[25:26], v[29:30], -v[33:34]
	v_fma_f64 v[27:28], v[27:28], v[29:30], v[31:32]
	v_add_f64 v[11:12], v[11:12], v[25:26]
	v_add_f64 v[13:14], v[13:14], v[27:28]
.LBB77_137:
	s_or_b64 exec, exec, s[58:59]
.LBB77_138:
	s_or_b64 exec, exec, s[18:19]
	v_mov_b32_e32 v25, 0x4000
	v_cmp_eq_u32_e64 s[14:15], 7, v22
	s_xor_b64 s[18:19], s[12:13], -1
	v_lshl_add_u32 v24, v24, 4, v25
	s_and_b64 s[60:61], s[14:15], s[18:19]
	s_and_saveexec_b64 s[12:13], s[60:61]
	s_cbranch_execz .LBB77_140
; %bb.139:
	v_mov_b32_e32 v25, 0
	ds_read_b128 v[25:28], v25 offset:12144
	s_waitcnt lgkmcnt(0)
	v_mul_f64 v[29:30], v[13:14], v[27:28]
	v_mul_f64 v[27:28], v[11:12], v[27:28]
	v_fma_f64 v[11:12], v[11:12], v[25:26], -v[29:30]
	v_fma_f64 v[13:14], v[13:14], v[25:26], v[27:28]
	v_xor_b32_e32 v26, 0x80000000, v12
	v_xor_b32_e32 v28, 0x80000000, v14
	v_mov_b32_e32 v25, v11
	v_mov_b32_e32 v27, v13
	ds_write_b128 v24, v[25:28]
.LBB77_140:
	s_or_b64 exec, exec, s[12:13]
	v_cmp_ne_u32_e64 s[12:13], 7, v22
	s_and_b64 s[62:63], s[12:13], s[18:19]
	s_waitcnt lgkmcnt(0)
	s_barrier
	s_and_saveexec_b64 s[12:13], s[62:63]
	s_cbranch_execz .LBB77_142
; %bb.141:
	v_lshlrev_b32_e32 v29, 4, v22
	ds_read_b128 v[25:28], v24
	ds_read_b128 v[29:32], v29 offset:12032
	s_waitcnt lgkmcnt(0)
	v_mul_f64 v[33:34], v[27:28], v[31:32]
	v_mul_f64 v[31:32], v[25:26], v[31:32]
	v_fma_f64 v[25:26], v[25:26], v[29:30], -v[33:34]
	v_fma_f64 v[27:28], v[27:28], v[29:30], v[31:32]
	v_add_f64 v[11:12], v[11:12], -v[25:26]
	v_add_f64 v[13:14], v[13:14], -v[27:28]
.LBB77_142:
	s_or_b64 exec, exec, s[12:13]
	v_cmp_eq_u32_e64 s[12:13], 6, v22
	s_and_b64 s[64:65], s[12:13], s[18:19]
	s_barrier
	s_and_saveexec_b64 s[12:13], s[64:65]
	s_cbranch_execz .LBB77_144
; %bb.143:
	v_mov_b32_e32 v25, 0
	ds_read_b128 v[25:28], v25 offset:11616
	s_waitcnt lgkmcnt(0)
	v_mul_f64 v[29:30], v[13:14], v[27:28]
	v_mul_f64 v[27:28], v[11:12], v[27:28]
	v_fma_f64 v[11:12], v[11:12], v[25:26], -v[29:30]
	v_fma_f64 v[13:14], v[13:14], v[25:26], v[27:28]
	v_xor_b32_e32 v26, 0x80000000, v12
	v_xor_b32_e32 v28, 0x80000000, v14
	v_mov_b32_e32 v25, v11
	v_mov_b32_e32 v27, v13
	ds_write_b128 v24, v[25:28]
.LBB77_144:
	s_or_b64 exec, exec, s[12:13]
	v_cmp_gt_u32_e64 s[12:13], 6, v22
	s_and_b64 s[66:67], s[12:13], s[18:19]
	s_waitcnt lgkmcnt(0)
	s_barrier
	s_and_saveexec_b64 s[12:13], s[66:67]
	s_cbranch_execz .LBB77_146
; %bb.145:
	v_lshlrev_b32_e32 v29, 4, v22
	ds_read_b128 v[25:28], v24
	ds_read_b128 v[29:32], v29 offset:11520
	s_waitcnt lgkmcnt(0)
	v_mul_f64 v[33:34], v[27:28], v[31:32]
	v_mul_f64 v[31:32], v[25:26], v[31:32]
	v_fma_f64 v[25:26], v[25:26], v[29:30], -v[33:34]
	v_fma_f64 v[27:28], v[27:28], v[29:30], v[31:32]
	v_add_f64 v[11:12], v[11:12], -v[25:26]
	v_add_f64 v[13:14], v[13:14], -v[27:28]
.LBB77_146:
	s_or_b64 exec, exec, s[12:13]
	v_cmp_eq_u32_e64 s[12:13], 5, v22
	s_and_b64 s[68:69], s[12:13], s[18:19]
	s_barrier
	s_and_saveexec_b64 s[12:13], s[68:69]
	s_cbranch_execz .LBB77_148
; %bb.147:
	v_mov_b32_e32 v25, 0
	ds_read_b128 v[25:28], v25 offset:11088
	s_waitcnt lgkmcnt(0)
	v_mul_f64 v[29:30], v[13:14], v[27:28]
	v_mul_f64 v[27:28], v[11:12], v[27:28]
	v_fma_f64 v[11:12], v[11:12], v[25:26], -v[29:30]
	v_fma_f64 v[13:14], v[13:14], v[25:26], v[27:28]
	v_xor_b32_e32 v26, 0x80000000, v12
	v_xor_b32_e32 v28, 0x80000000, v14
	v_mov_b32_e32 v25, v11
	v_mov_b32_e32 v27, v13
	ds_write_b128 v24, v[25:28]
.LBB77_148:
	s_or_b64 exec, exec, s[12:13]
	v_cmp_gt_u32_e64 s[12:13], 5, v22
	;; [unrolled: 39-line block ×5, first 2 shown]
	s_and_b64 s[82:83], s[12:13], s[18:19]
	s_waitcnt lgkmcnt(0)
	s_barrier
	s_and_saveexec_b64 s[12:13], s[82:83]
	s_cbranch_execz .LBB77_162
; %bb.161:
	v_lshlrev_b32_e32 v29, 4, v22
	ds_read_b128 v[25:28], v24
	ds_read_b128 v[29:32], v29 offset:9472
	s_waitcnt lgkmcnt(0)
	v_mul_f64 v[33:34], v[27:28], v[31:32]
	v_mul_f64 v[31:32], v[25:26], v[31:32]
	v_fma_f64 v[25:26], v[25:26], v[29:30], -v[33:34]
	v_fma_f64 v[27:28], v[27:28], v[29:30], v[31:32]
	v_add_f64 v[11:12], v[11:12], -v[25:26]
	v_add_f64 v[13:14], v[13:14], -v[27:28]
.LBB77_162:
	s_or_b64 exec, exec, s[12:13]
	v_cmp_eq_u32_e64 s[12:13], 1, v22
	s_and_b64 s[84:85], s[12:13], s[18:19]
	s_barrier
	s_and_saveexec_b64 s[12:13], s[84:85]
	s_cbranch_execz .LBB77_164
; %bb.163:
	v_mov_b32_e32 v25, 0
	ds_read_b128 v[25:28], v25 offset:8976
	s_waitcnt lgkmcnt(0)
	v_mul_f64 v[29:30], v[13:14], v[27:28]
	v_mul_f64 v[27:28], v[11:12], v[27:28]
	v_fma_f64 v[11:12], v[11:12], v[25:26], -v[29:30]
	v_fma_f64 v[13:14], v[13:14], v[25:26], v[27:28]
	v_xor_b32_e32 v26, 0x80000000, v12
	v_xor_b32_e32 v28, 0x80000000, v14
	v_mov_b32_e32 v25, v11
	v_mov_b32_e32 v27, v13
	ds_write_b128 v24, v[25:28]
.LBB77_164:
	s_or_b64 exec, exec, s[12:13]
	v_cmp_eq_u32_e64 s[12:13], 0, v22
	s_and_b64 s[58:59], s[12:13], s[18:19]
	s_waitcnt lgkmcnt(0)
	s_barrier
	s_and_saveexec_b64 s[12:13], s[58:59]
	s_cbranch_execz .LBB77_166
; %bb.165:
	v_mov_b32_e32 v29, 0
	ds_read_b128 v[25:28], v24
	ds_read_b128 v[29:32], v29 offset:8960
	s_waitcnt lgkmcnt(0)
	v_mul_f64 v[33:34], v[27:28], v[31:32]
	v_mul_f64 v[31:32], v[25:26], v[31:32]
	v_fma_f64 v[25:26], v[25:26], v[29:30], -v[33:34]
	v_fma_f64 v[27:28], v[27:28], v[29:30], v[31:32]
	v_add_f64 v[11:12], v[11:12], -v[25:26]
	v_add_f64 v[13:14], v[13:14], -v[27:28]
.LBB77_166:
	s_or_b64 exec, exec, s[12:13]
	s_barrier
	s_and_saveexec_b64 s[12:13], s[58:59]
	s_cbranch_execz .LBB77_168
; %bb.167:
	v_mov_b32_e32 v25, 0
	ds_read_b128 v[25:28], v25 offset:8448
	s_waitcnt lgkmcnt(0)
	v_mul_f64 v[29:30], v[13:14], v[27:28]
	v_mul_f64 v[27:28], v[11:12], v[27:28]
	v_fma_f64 v[11:12], v[11:12], v[25:26], -v[29:30]
	v_fma_f64 v[13:14], v[13:14], v[25:26], v[27:28]
	v_xor_b32_e32 v26, 0x80000000, v12
	v_xor_b32_e32 v28, 0x80000000, v14
	v_mov_b32_e32 v25, v11
	v_mov_b32_e32 v27, v13
	ds_write_b128 v24, v[25:28]
.LBB77_168:
	s_or_b64 exec, exec, s[12:13]
	s_waitcnt lgkmcnt(0)
	s_barrier
	s_barrier
	s_and_saveexec_b64 s[12:13], s[8:9]
; %bb.169:
	v_lshlrev_b32_e32 v25, 4, v22
	v_lshl_or_b32 v25, v23, 9, v25
	ds_write_b128 v25, v[11:14] offset:12544
; %bb.170:
	s_or_b64 exec, exec, s[12:13]
	v_cmp_gt_u32_e64 s[12:13], 8, v0
	s_and_b64 s[86:87], s[10:11], s[12:13]
	s_waitcnt lgkmcnt(0)
	s_barrier
	s_barrier
	s_and_saveexec_b64 s[12:13], s[86:87]
	s_cbranch_execz .LBB77_172
; %bb.171:
	v_lshlrev_b32_e32 v25, 9, v0
	ds_read_b128 v[11:14], v25 offset:12544
	s_movk_i32 s14, 0xfe10
	v_mad_i32_i24 v26, v0, s14, v25
	s_waitcnt lgkmcnt(0)
	ds_write_b128 v26, v[11:14] offset:8576
	ds_read_b128 v[11:14], v25 offset:12560
	s_waitcnt lgkmcnt(0)
	ds_write_b128 v26, v[11:14] offset:9088
	ds_read_b128 v[11:14], v25 offset:12576
	;; [unrolled: 3-line block ×7, first 2 shown]
	s_waitcnt lgkmcnt(0)
	ds_write_b128 v26, v[11:14] offset:12160
.LBB77_172:
	s_or_b64 exec, exec, s[12:13]
	s_waitcnt lgkmcnt(0)
	s_barrier
	s_and_saveexec_b64 s[12:13], vcc
	s_cbranch_execz .LBB77_174
; %bb.173:
	v_mov_b32_e32 v35, 0
	ds_read_b128 v[11:14], v35 offset:12144
	ds_read_b128 v[25:28], v35 offset:11616
	;; [unrolled: 1-line block ×3, first 2 shown]
	s_waitcnt lgkmcnt(1)
	v_mul_f64 v[33:34], v[11:12], v[27:28]
	v_mul_f64 v[27:28], v[13:14], v[27:28]
	v_fma_f64 v[13:14], v[13:14], v[25:26], v[33:34]
	v_fma_f64 v[11:12], v[11:12], v[25:26], -v[27:28]
	s_waitcnt lgkmcnt(0)
	v_mul_f64 v[25:26], v[13:14], v[31:32]
	v_mul_f64 v[27:28], v[11:12], v[31:32]
	v_fma_f64 v[11:12], v[29:30], v[11:12], -v[25:26]
	v_fma_f64 v[13:14], v[29:30], v[13:14], v[27:28]
	ds_write_b128 v35, v[11:14] offset:12128
	ds_write_b128 v35, v[11:14] offset:11632
.LBB77_174:
	s_or_b64 exec, exec, s[12:13]
	v_mov_b32_e32 v11, 0
	v_mov_b32_e32 v13, 0
	;; [unrolled: 1-line block ×4, first 2 shown]
	s_waitcnt lgkmcnt(0)
	s_barrier
	buffer_wbinvl1_vol
	s_and_saveexec_b64 s[14:15], s[2:3]
	s_cbranch_execz .LBB77_178
; %bb.175:
	v_lshlrev_b32_e32 v25, 4, v15
	v_lshlrev_b32_e32 v11, 9, v16
	ds_read_b128 v[11:14], v11 offset:11616
	ds_read_b128 v[25:28], v25 offset:11584
	v_cmp_gt_u32_e64 s[12:13], 2, v18
	s_waitcnt lgkmcnt(0)
	v_mul_f64 v[29:30], v[13:14], v[27:28]
	v_mul_f64 v[27:28], v[11:12], v[27:28]
	v_fma_f64 v[11:12], v[11:12], v[25:26], -v[29:30]
	v_fma_f64 v[13:14], v[13:14], v[25:26], v[27:28]
	v_add_f64 v[11:12], v[11:12], 0
	v_add_f64 v[13:14], v[13:14], 0
	s_and_saveexec_b64 s[18:19], s[12:13]
	s_cbranch_execz .LBB77_177
; %bb.176:
	v_lshlrev_b32_e32 v29, 4, v0
	v_mov_b32_e32 v25, 0
	ds_read_b128 v[25:28], v25 offset:12144
	ds_read_b128 v[29:32], v29 offset:12096
	s_waitcnt lgkmcnt(0)
	v_mul_f64 v[33:34], v[27:28], v[31:32]
	v_mul_f64 v[31:32], v[25:26], v[31:32]
	v_fma_f64 v[25:26], v[25:26], v[29:30], -v[33:34]
	v_fma_f64 v[27:28], v[27:28], v[29:30], v[31:32]
	v_add_f64 v[11:12], v[11:12], v[25:26]
	v_add_f64 v[13:14], v[13:14], v[27:28]
.LBB77_177:
	s_or_b64 exec, exec, s[18:19]
.LBB77_178:
	s_or_b64 exec, exec, s[14:15]
	s_and_saveexec_b64 s[12:13], s[40:41]
	s_cbranch_execz .LBB77_180
; %bb.179:
	v_mov_b32_e32 v25, 0
	ds_read_b128 v[25:28], v25 offset:11088
	s_waitcnt lgkmcnt(0)
	v_mul_f64 v[29:30], v[13:14], v[27:28]
	v_mul_f64 v[27:28], v[11:12], v[27:28]
	v_fma_f64 v[11:12], v[11:12], v[25:26], -v[29:30]
	v_fma_f64 v[13:14], v[13:14], v[25:26], v[27:28]
	v_xor_b32_e32 v26, 0x80000000, v12
	v_xor_b32_e32 v28, 0x80000000, v14
	v_mov_b32_e32 v25, v11
	v_mov_b32_e32 v27, v13
	ds_write_b128 v17, v[25:28]
.LBB77_180:
	s_or_b64 exec, exec, s[12:13]
	s_waitcnt lgkmcnt(0)
	s_barrier
	s_and_saveexec_b64 s[12:13], s[24:25]
	s_cbranch_execz .LBB77_182
; %bb.181:
	v_mov_b32_e32 v29, 0
	ds_read_b128 v[25:28], v17
	ds_read_b128 v[29:32], v29 offset:11072
	s_waitcnt lgkmcnt(0)
	v_mul_f64 v[33:34], v[27:28], v[31:32]
	v_mul_f64 v[31:32], v[25:26], v[31:32]
	v_fma_f64 v[25:26], v[25:26], v[29:30], -v[33:34]
	v_fma_f64 v[27:28], v[27:28], v[29:30], v[31:32]
	v_add_f64 v[11:12], v[11:12], -v[25:26]
	v_add_f64 v[13:14], v[13:14], -v[27:28]
.LBB77_182:
	s_or_b64 exec, exec, s[12:13]
	s_barrier
	s_and_saveexec_b64 s[12:13], s[24:25]
	s_cbranch_execz .LBB77_184
; %bb.183:
	v_mov_b32_e32 v25, 0
	ds_read_b128 v[25:28], v25 offset:10560
	s_waitcnt lgkmcnt(0)
	v_mul_f64 v[29:30], v[13:14], v[27:28]
	v_mul_f64 v[27:28], v[11:12], v[27:28]
	v_fma_f64 v[11:12], v[11:12], v[25:26], -v[29:30]
	v_fma_f64 v[13:14], v[13:14], v[25:26], v[27:28]
	v_xor_b32_e32 v26, 0x80000000, v12
	v_xor_b32_e32 v28, 0x80000000, v14
	v_mov_b32_e32 v25, v11
	v_mov_b32_e32 v27, v13
	ds_write_b128 v17, v[25:28]
.LBB77_184:
	s_or_b64 exec, exec, s[12:13]
	s_waitcnt lgkmcnt(0)
	s_barrier
	s_barrier
	s_and_saveexec_b64 s[12:13], s[2:3]
; %bb.185:
	v_lshlrev_b32_e32 v25, 4, v15
	v_lshl_or_b32 v25, v16, 9, v25
	ds_write_b128 v25, v[11:14] offset:11584
; %bb.186:
	s_or_b64 exec, exec, s[12:13]
	s_waitcnt lgkmcnt(0)
	s_barrier
	s_barrier
	s_and_saveexec_b64 s[12:13], s[42:43]
	s_cbranch_execz .LBB77_188
; %bb.187:
	v_lshlrev_b32_e32 v25, 9, v0
	ds_read_b128 v[11:14], v25 offset:11584
	s_movk_i32 s14, 0xfe10
	v_mad_i32_i24 v26, v0, s14, v25
	s_waitcnt lgkmcnt(0)
	ds_write_b128 v26, v[11:14] offset:10592
	ds_read_b128 v[11:14], v25 offset:11600
	s_waitcnt lgkmcnt(0)
	ds_write_b128 v26, v[11:14] offset:11104
.LBB77_188:
	s_or_b64 exec, exec, s[12:13]
	s_waitcnt lgkmcnt(0)
	s_barrier
	s_and_saveexec_b64 s[12:13], vcc
	s_cbranch_execz .LBB77_190
; %bb.189:
	v_mov_b32_e32 v35, 0
	ds_read_b128 v[11:14], v35 offset:11088
	ds_read_b128 v[25:28], v35 offset:10560
	;; [unrolled: 1-line block ×3, first 2 shown]
	s_waitcnt lgkmcnt(1)
	v_mul_f64 v[33:34], v[11:12], v[27:28]
	v_mul_f64 v[27:28], v[13:14], v[27:28]
	v_fma_f64 v[13:14], v[13:14], v[25:26], v[33:34]
	v_fma_f64 v[11:12], v[11:12], v[25:26], -v[27:28]
	s_waitcnt lgkmcnt(0)
	v_mul_f64 v[25:26], v[13:14], v[31:32]
	v_mul_f64 v[27:28], v[11:12], v[31:32]
	v_fma_f64 v[11:12], v[29:30], v[11:12], -v[25:26]
	v_fma_f64 v[13:14], v[29:30], v[13:14], v[27:28]
	ds_write_b128 v35, v[11:14] offset:11072
	ds_write_b128 v35, v[11:14] offset:10576
.LBB77_190:
	s_or_b64 exec, exec, s[12:13]
	v_mov_b32_e32 v13, 0
	v_mov_b32_e32 v11, 0
	;; [unrolled: 1-line block ×4, first 2 shown]
	s_waitcnt lgkmcnt(0)
	s_barrier
	buffer_wbinvl1_vol
	s_and_saveexec_b64 s[14:15], s[16:17]
	s_cbranch_execz .LBB77_196
; %bb.191:
	v_lshlrev_b32_e32 v26, 9, v20
	v_lshlrev_b32_e32 v25, 4, v19
	ds_read_b128 v[11:14], v26 offset:10560
	ds_read_b128 v[27:30], v25 offset:10496
	v_cmp_gt_u32_e64 s[12:13], 12, v18
	s_waitcnt lgkmcnt(0)
	v_mul_f64 v[31:32], v[13:14], v[29:30]
	v_mul_f64 v[29:30], v[11:12], v[29:30]
	v_fma_f64 v[11:12], v[11:12], v[27:28], -v[31:32]
	v_fma_f64 v[13:14], v[13:14], v[27:28], v[29:30]
	v_add_f64 v[11:12], v[11:12], 0
	v_add_f64 v[13:14], v[13:14], 0
	s_and_saveexec_b64 s[18:19], s[12:13]
	s_cbranch_execnz .LBB77_559
; %bb.192:
	s_or_b64 exec, exec, s[18:19]
	v_cmp_gt_u32_e64 s[12:13], 8, v18
	s_and_saveexec_b64 s[18:19], s[12:13]
	s_cbranch_execnz .LBB77_560
.LBB77_193:
	s_or_b64 exec, exec, s[18:19]
	v_cmp_gt_u32_e64 s[12:13], 4, v18
	s_and_saveexec_b64 s[18:19], s[12:13]
	s_cbranch_execz .LBB77_195
.LBB77_194:
	v_lshlrev_b32_e32 v29, 4, v0
	v_mov_b32_e32 v25, 0
	ds_read_b128 v[25:28], v25 offset:12144
	ds_read_b128 v[29:32], v29 offset:12032
	s_waitcnt lgkmcnt(0)
	v_mul_f64 v[33:34], v[27:28], v[31:32]
	v_mul_f64 v[31:32], v[25:26], v[31:32]
	v_fma_f64 v[25:26], v[25:26], v[29:30], -v[33:34]
	v_fma_f64 v[27:28], v[27:28], v[29:30], v[31:32]
	v_add_f64 v[11:12], v[11:12], v[25:26]
	v_add_f64 v[13:14], v[13:14], v[27:28]
.LBB77_195:
	s_or_b64 exec, exec, s[18:19]
.LBB77_196:
	s_or_b64 exec, exec, s[14:15]
	s_and_saveexec_b64 s[12:13], s[46:47]
	s_cbranch_execz .LBB77_198
; %bb.197:
	v_mov_b32_e32 v25, 0
	ds_read_b128 v[25:28], v25 offset:10032
	s_waitcnt lgkmcnt(0)
	v_mul_f64 v[29:30], v[13:14], v[27:28]
	v_mul_f64 v[27:28], v[11:12], v[27:28]
	v_fma_f64 v[11:12], v[11:12], v[25:26], -v[29:30]
	v_fma_f64 v[13:14], v[13:14], v[25:26], v[27:28]
	v_xor_b32_e32 v26, 0x80000000, v12
	v_xor_b32_e32 v28, 0x80000000, v14
	v_mov_b32_e32 v25, v11
	v_mov_b32_e32 v27, v13
	ds_write_b128 v21, v[25:28]
.LBB77_198:
	s_or_b64 exec, exec, s[12:13]
	s_waitcnt lgkmcnt(0)
	s_barrier
	s_and_saveexec_b64 s[12:13], s[48:49]
	s_cbranch_execz .LBB77_200
; %bb.199:
	v_lshlrev_b32_e32 v29, 4, v19
	ds_read_b128 v[25:28], v21
	ds_read_b128 v[29:32], v29 offset:9984
	s_waitcnt lgkmcnt(0)
	v_mul_f64 v[33:34], v[27:28], v[31:32]
	v_mul_f64 v[31:32], v[25:26], v[31:32]
	v_fma_f64 v[25:26], v[25:26], v[29:30], -v[33:34]
	v_fma_f64 v[27:28], v[27:28], v[29:30], v[31:32]
	v_add_f64 v[11:12], v[11:12], -v[25:26]
	v_add_f64 v[13:14], v[13:14], -v[27:28]
.LBB77_200:
	s_or_b64 exec, exec, s[12:13]
	s_barrier
	s_and_saveexec_b64 s[12:13], s[50:51]
	s_cbranch_execz .LBB77_202
; %bb.201:
	v_mov_b32_e32 v25, 0
	ds_read_b128 v[25:28], v25 offset:9504
	s_waitcnt lgkmcnt(0)
	v_mul_f64 v[29:30], v[13:14], v[27:28]
	v_mul_f64 v[27:28], v[11:12], v[27:28]
	v_fma_f64 v[11:12], v[11:12], v[25:26], -v[29:30]
	v_fma_f64 v[13:14], v[13:14], v[25:26], v[27:28]
	v_xor_b32_e32 v26, 0x80000000, v12
	v_xor_b32_e32 v28, 0x80000000, v14
	v_mov_b32_e32 v25, v11
	v_mov_b32_e32 v27, v13
	ds_write_b128 v21, v[25:28]
.LBB77_202:
	s_or_b64 exec, exec, s[12:13]
	s_waitcnt lgkmcnt(0)
	s_barrier
	s_and_saveexec_b64 s[12:13], s[52:53]
	s_cbranch_execz .LBB77_204
; %bb.203:
	v_lshlrev_b32_e32 v29, 4, v19
	ds_read_b128 v[25:28], v21
	ds_read_b128 v[29:32], v29 offset:9472
	s_waitcnt lgkmcnt(0)
	v_mul_f64 v[33:34], v[27:28], v[31:32]
	v_mul_f64 v[31:32], v[25:26], v[31:32]
	v_fma_f64 v[25:26], v[25:26], v[29:30], -v[33:34]
	v_fma_f64 v[27:28], v[27:28], v[29:30], v[31:32]
	v_add_f64 v[11:12], v[11:12], -v[25:26]
	v_add_f64 v[13:14], v[13:14], -v[27:28]
.LBB77_204:
	s_or_b64 exec, exec, s[12:13]
	s_barrier
	s_and_saveexec_b64 s[12:13], s[54:55]
	s_cbranch_execz .LBB77_206
; %bb.205:
	v_mov_b32_e32 v25, 0
	ds_read_b128 v[25:28], v25 offset:8976
	s_waitcnt lgkmcnt(0)
	v_mul_f64 v[29:30], v[13:14], v[27:28]
	v_mul_f64 v[27:28], v[11:12], v[27:28]
	v_fma_f64 v[11:12], v[11:12], v[25:26], -v[29:30]
	v_fma_f64 v[13:14], v[13:14], v[25:26], v[27:28]
	v_xor_b32_e32 v26, 0x80000000, v12
	v_xor_b32_e32 v28, 0x80000000, v14
	v_mov_b32_e32 v25, v11
	v_mov_b32_e32 v27, v13
	ds_write_b128 v21, v[25:28]
.LBB77_206:
	s_or_b64 exec, exec, s[12:13]
	s_waitcnt lgkmcnt(0)
	s_barrier
	s_and_saveexec_b64 s[12:13], s[44:45]
	s_cbranch_execz .LBB77_208
; %bb.207:
	v_mov_b32_e32 v29, 0
	ds_read_b128 v[25:28], v21
	ds_read_b128 v[29:32], v29 offset:8960
	s_waitcnt lgkmcnt(0)
	v_mul_f64 v[33:34], v[27:28], v[31:32]
	v_mul_f64 v[31:32], v[25:26], v[31:32]
	v_fma_f64 v[25:26], v[25:26], v[29:30], -v[33:34]
	v_fma_f64 v[27:28], v[27:28], v[29:30], v[31:32]
	v_add_f64 v[11:12], v[11:12], -v[25:26]
	v_add_f64 v[13:14], v[13:14], -v[27:28]
.LBB77_208:
	s_or_b64 exec, exec, s[12:13]
	s_barrier
	s_and_saveexec_b64 s[12:13], s[44:45]
	s_cbranch_execz .LBB77_210
; %bb.209:
	v_mov_b32_e32 v25, 0
	ds_read_b128 v[25:28], v25 offset:8448
	s_waitcnt lgkmcnt(0)
	v_mul_f64 v[29:30], v[13:14], v[27:28]
	v_mul_f64 v[27:28], v[11:12], v[27:28]
	v_fma_f64 v[11:12], v[11:12], v[25:26], -v[29:30]
	v_fma_f64 v[13:14], v[13:14], v[25:26], v[27:28]
	v_xor_b32_e32 v26, 0x80000000, v12
	v_xor_b32_e32 v28, 0x80000000, v14
	v_mov_b32_e32 v25, v11
	v_mov_b32_e32 v27, v13
	ds_write_b128 v21, v[25:28]
.LBB77_210:
	s_or_b64 exec, exec, s[12:13]
	s_waitcnt lgkmcnt(0)
	s_barrier
	s_barrier
	s_and_saveexec_b64 s[12:13], s[16:17]
; %bb.211:
	v_lshlrev_b32_e32 v25, 4, v19
	v_lshl_or_b32 v25, v20, 9, v25
	ds_write_b128 v25, v[11:14] offset:10496
; %bb.212:
	s_or_b64 exec, exec, s[12:13]
	s_waitcnt lgkmcnt(0)
	s_barrier
	s_barrier
	s_and_saveexec_b64 s[12:13], s[56:57]
	s_cbranch_execz .LBB77_214
; %bb.213:
	v_lshlrev_b32_e32 v25, 4, v0
	s_movk_i32 s14, 0x1f0
	v_mad_u32_u24 v26, v0, s14, v25
	ds_read_b128 v[11:14], v26 offset:10496
	s_waitcnt lgkmcnt(0)
	ds_write_b128 v25, v[11:14] offset:8512
	ds_read_b128 v[11:14], v26 offset:10512
	s_waitcnt lgkmcnt(0)
	ds_write_b128 v25, v[11:14] offset:9024
	;; [unrolled: 3-line block ×4, first 2 shown]
.LBB77_214:
	s_or_b64 exec, exec, s[12:13]
	s_waitcnt lgkmcnt(0)
	s_barrier
	s_and_saveexec_b64 s[12:13], vcc
	s_cbranch_execz .LBB77_216
; %bb.215:
	v_mov_b32_e32 v35, 0
	ds_read_b128 v[11:14], v35 offset:10032
	ds_read_b128 v[25:28], v35 offset:9504
	;; [unrolled: 1-line block ×3, first 2 shown]
	s_waitcnt lgkmcnt(1)
	v_mul_f64 v[33:34], v[11:12], v[27:28]
	v_mul_f64 v[27:28], v[13:14], v[27:28]
	v_fma_f64 v[13:14], v[13:14], v[25:26], v[33:34]
	v_fma_f64 v[11:12], v[11:12], v[25:26], -v[27:28]
	s_waitcnt lgkmcnt(0)
	v_mul_f64 v[25:26], v[13:14], v[31:32]
	v_mul_f64 v[27:28], v[11:12], v[31:32]
	v_fma_f64 v[11:12], v[29:30], v[11:12], -v[25:26]
	v_fma_f64 v[13:14], v[29:30], v[13:14], v[27:28]
	ds_write_b128 v35, v[11:14] offset:10016
	ds_write_b128 v35, v[11:14] offset:9520
.LBB77_216:
	s_or_b64 exec, exec, s[12:13]
	v_mov_b32_e32 v11, 0
	v_mov_b32_e32 v13, 0
	;; [unrolled: 1-line block ×4, first 2 shown]
	s_waitcnt lgkmcnt(0)
	s_barrier
	buffer_wbinvl1_vol
	s_and_saveexec_b64 s[14:15], s[2:3]
	s_cbranch_execz .LBB77_220
; %bb.217:
	v_lshlrev_b32_e32 v25, 4, v15
	v_lshlrev_b32_e32 v11, 9, v16
	ds_read_b128 v[11:14], v11 offset:9504
	ds_read_b128 v[25:28], v25 offset:9472
	v_cmp_gt_u32_e64 s[12:13], 2, v18
	s_waitcnt lgkmcnt(0)
	v_mul_f64 v[29:30], v[13:14], v[27:28]
	v_mul_f64 v[27:28], v[11:12], v[27:28]
	v_fma_f64 v[11:12], v[11:12], v[25:26], -v[29:30]
	v_fma_f64 v[13:14], v[13:14], v[25:26], v[27:28]
	v_add_f64 v[11:12], v[11:12], 0
	v_add_f64 v[13:14], v[13:14], 0
	s_and_saveexec_b64 s[18:19], s[12:13]
	s_cbranch_execz .LBB77_219
; %bb.218:
	v_lshlrev_b32_e32 v29, 4, v0
	v_mov_b32_e32 v25, 0
	ds_read_b128 v[25:28], v25 offset:10032
	ds_read_b128 v[29:32], v29 offset:9984
	s_waitcnt lgkmcnt(0)
	v_mul_f64 v[33:34], v[27:28], v[31:32]
	v_mul_f64 v[31:32], v[25:26], v[31:32]
	v_fma_f64 v[25:26], v[25:26], v[29:30], -v[33:34]
	v_fma_f64 v[27:28], v[27:28], v[29:30], v[31:32]
	v_add_f64 v[11:12], v[11:12], v[25:26]
	v_add_f64 v[13:14], v[13:14], v[27:28]
.LBB77_219:
	s_or_b64 exec, exec, s[18:19]
.LBB77_220:
	s_or_b64 exec, exec, s[14:15]
	s_and_saveexec_b64 s[12:13], s[40:41]
	s_cbranch_execz .LBB77_222
; %bb.221:
	v_mov_b32_e32 v25, 0
	ds_read_b128 v[25:28], v25 offset:8976
	s_waitcnt lgkmcnt(0)
	v_mul_f64 v[29:30], v[13:14], v[27:28]
	v_mul_f64 v[27:28], v[11:12], v[27:28]
	v_fma_f64 v[11:12], v[11:12], v[25:26], -v[29:30]
	v_fma_f64 v[13:14], v[13:14], v[25:26], v[27:28]
	v_xor_b32_e32 v26, 0x80000000, v12
	v_xor_b32_e32 v28, 0x80000000, v14
	v_mov_b32_e32 v25, v11
	v_mov_b32_e32 v27, v13
	ds_write_b128 v17, v[25:28]
.LBB77_222:
	s_or_b64 exec, exec, s[12:13]
	s_waitcnt lgkmcnt(0)
	s_barrier
	s_and_saveexec_b64 s[12:13], s[24:25]
	s_cbranch_execz .LBB77_224
; %bb.223:
	v_mov_b32_e32 v29, 0
	ds_read_b128 v[25:28], v17
	ds_read_b128 v[29:32], v29 offset:8960
	s_waitcnt lgkmcnt(0)
	v_mul_f64 v[33:34], v[27:28], v[31:32]
	v_mul_f64 v[31:32], v[25:26], v[31:32]
	v_fma_f64 v[25:26], v[25:26], v[29:30], -v[33:34]
	v_fma_f64 v[27:28], v[27:28], v[29:30], v[31:32]
	v_add_f64 v[11:12], v[11:12], -v[25:26]
	v_add_f64 v[13:14], v[13:14], -v[27:28]
.LBB77_224:
	s_or_b64 exec, exec, s[12:13]
	s_barrier
	s_and_saveexec_b64 s[12:13], s[24:25]
	s_cbranch_execz .LBB77_226
; %bb.225:
	v_mov_b32_e32 v25, 0
	ds_read_b128 v[25:28], v25 offset:8448
	s_waitcnt lgkmcnt(0)
	v_mul_f64 v[29:30], v[13:14], v[27:28]
	v_mul_f64 v[27:28], v[11:12], v[27:28]
	v_fma_f64 v[11:12], v[11:12], v[25:26], -v[29:30]
	v_fma_f64 v[13:14], v[13:14], v[25:26], v[27:28]
	v_xor_b32_e32 v26, 0x80000000, v12
	v_xor_b32_e32 v28, 0x80000000, v14
	v_mov_b32_e32 v25, v11
	v_mov_b32_e32 v27, v13
	ds_write_b128 v17, v[25:28]
.LBB77_226:
	s_or_b64 exec, exec, s[12:13]
	s_waitcnt lgkmcnt(0)
	s_barrier
	s_barrier
	s_and_saveexec_b64 s[12:13], s[2:3]
; %bb.227:
	v_lshlrev_b32_e32 v25, 4, v15
	v_lshl_or_b32 v25, v16, 9, v25
	ds_write_b128 v25, v[11:14] offset:9472
; %bb.228:
	s_or_b64 exec, exec, s[12:13]
	s_waitcnt lgkmcnt(0)
	s_barrier
	s_barrier
	s_and_saveexec_b64 s[12:13], s[42:43]
	s_cbranch_execz .LBB77_230
; %bb.229:
	v_lshlrev_b32_e32 v25, 9, v0
	ds_read_b128 v[11:14], v25 offset:9472
	s_movk_i32 s14, 0xfe10
	v_mad_i32_i24 v26, v0, s14, v25
	s_waitcnt lgkmcnt(0)
	ds_write_b128 v26, v[11:14] offset:8480
	ds_read_b128 v[11:14], v25 offset:9488
	s_waitcnt lgkmcnt(0)
	ds_write_b128 v26, v[11:14] offset:8992
.LBB77_230:
	s_or_b64 exec, exec, s[12:13]
	s_waitcnt lgkmcnt(0)
	s_barrier
	s_and_saveexec_b64 s[12:13], vcc
	s_cbranch_execz .LBB77_232
; %bb.231:
	v_mov_b32_e32 v35, 0
	ds_read_b128 v[11:14], v35 offset:8976
	ds_read_b128 v[25:28], v35 offset:8448
	;; [unrolled: 1-line block ×3, first 2 shown]
	s_waitcnt lgkmcnt(1)
	v_mul_f64 v[33:34], v[11:12], v[27:28]
	v_mul_f64 v[27:28], v[13:14], v[27:28]
	v_fma_f64 v[13:14], v[13:14], v[25:26], v[33:34]
	v_fma_f64 v[11:12], v[11:12], v[25:26], -v[27:28]
	s_waitcnt lgkmcnt(0)
	v_mul_f64 v[25:26], v[13:14], v[31:32]
	v_mul_f64 v[27:28], v[11:12], v[31:32]
	v_fma_f64 v[11:12], v[29:30], v[11:12], -v[25:26]
	v_fma_f64 v[13:14], v[29:30], v[13:14], v[27:28]
	ds_write_b128 v35, v[11:14] offset:8960
	ds_write_b128 v35, v[11:14] offset:8464
.LBB77_232:
	s_or_b64 exec, exec, s[12:13]
	s_movk_i32 s12, 0xff
	v_lshrrev_b32_e32 v27, 4, v18
	v_cmp_lt_u32_e64 s[14:15], s12, v18
	s_movk_i32 s12, 0x100
	v_mov_b32_e32 v13, 0
	v_mov_b32_e32 v11, 0
	v_and_b32_e32 v25, 15, v0
	v_sub_u32_e32 v26, 15, v27
	v_mov_b32_e32 v14, 0
	v_mov_b32_e32 v12, 0
	v_cmp_gt_u32_e64 s[12:13], s12, v18
	s_waitcnt lgkmcnt(0)
	s_barrier
	buffer_wbinvl1_vol
	s_and_saveexec_b64 s[88:89], s[12:13]
	s_cbranch_execz .LBB77_260
; %bb.233:
	v_lshlrev_b32_e32 v29, 9, v26
	v_lshlrev_b32_e32 v28, 4, v25
	ds_read_b128 v[11:14], v29 offset:8448
	ds_read_b128 v[30:33], v28 offset:8192
	s_movk_i32 s18, 0xf0
	v_cmp_gt_u32_e64 s[18:19], s18, v18
	s_waitcnt lgkmcnt(0)
	v_mul_f64 v[34:35], v[13:14], v[32:33]
	v_mul_f64 v[32:33], v[11:12], v[32:33]
	v_fma_f64 v[11:12], v[11:12], v[30:31], -v[34:35]
	v_fma_f64 v[13:14], v[13:14], v[30:31], v[32:33]
	v_add_f64 v[11:12], v[11:12], 0
	v_add_f64 v[13:14], v[13:14], 0
	s_and_saveexec_b64 s[90:91], s[18:19]
	s_cbranch_execz .LBB77_235
; %bb.234:
	ds_read_b128 v[30:33], v29 offset:8464
	ds_read_b128 v[34:37], v28 offset:8704
	s_waitcnt lgkmcnt(0)
	v_mul_f64 v[38:39], v[32:33], v[36:37]
	v_mul_f64 v[36:37], v[30:31], v[36:37]
	v_fma_f64 v[30:31], v[30:31], v[34:35], -v[38:39]
	v_fma_f64 v[32:33], v[32:33], v[34:35], v[36:37]
	v_add_f64 v[11:12], v[11:12], v[30:31]
	v_add_f64 v[13:14], v[13:14], v[32:33]
.LBB77_235:
	s_or_b64 exec, exec, s[90:91]
	s_movk_i32 s18, 0xe0
	v_cmp_gt_u32_e64 s[18:19], s18, v18
	s_and_saveexec_b64 s[90:91], s[18:19]
	s_cbranch_execz .LBB77_237
; %bb.236:
	ds_read_b128 v[30:33], v29 offset:8480
	ds_read_b128 v[34:37], v28 offset:9216
	s_waitcnt lgkmcnt(0)
	v_mul_f64 v[38:39], v[32:33], v[36:37]
	v_mul_f64 v[36:37], v[30:31], v[36:37]
	v_fma_f64 v[30:31], v[30:31], v[34:35], -v[38:39]
	v_fma_f64 v[32:33], v[32:33], v[34:35], v[36:37]
	v_add_f64 v[11:12], v[11:12], v[30:31]
	v_add_f64 v[13:14], v[13:14], v[32:33]
.LBB77_237:
	s_or_b64 exec, exec, s[90:91]
	s_movk_i32 s18, 0xd0
	v_cmp_gt_u32_e64 s[18:19], s18, v18
	;; [unrolled: 16-line block ×10, first 2 shown]
	s_and_saveexec_b64 s[90:91], s[18:19]
	s_cbranch_execnz .LBB77_561
; %bb.254:
	s_or_b64 exec, exec, s[90:91]
	s_and_saveexec_b64 s[18:19], s[8:9]
	s_cbranch_execnz .LBB77_562
.LBB77_255:
	s_or_b64 exec, exec, s[18:19]
	v_cmp_gt_u32_e64 s[18:19], 48, v18
	s_and_saveexec_b64 s[90:91], s[18:19]
	s_cbranch_execnz .LBB77_563
.LBB77_256:
	s_or_b64 exec, exec, s[90:91]
	v_cmp_gt_u32_e64 s[18:19], 32, v18
	s_and_saveexec_b64 s[90:91], s[18:19]
	s_cbranch_execnz .LBB77_564
.LBB77_257:
	s_or_b64 exec, exec, s[90:91]
	v_cmp_gt_u32_e64 s[18:19], 16, v18
	s_and_saveexec_b64 s[90:91], s[18:19]
	s_cbranch_execz .LBB77_259
.LBB77_258:
	v_lshlrev_b32_e32 v32, 4, v0
	v_mov_b32_e32 v28, 0
	ds_read_b128 v[28:31], v28 offset:16368
	ds_read_b128 v[32:35], v32 offset:15872
	s_waitcnt lgkmcnt(0)
	v_mul_f64 v[36:37], v[30:31], v[34:35]
	v_mul_f64 v[34:35], v[28:29], v[34:35]
	v_fma_f64 v[28:29], v[28:29], v[32:33], -v[36:37]
	v_fma_f64 v[30:31], v[30:31], v[32:33], v[34:35]
	v_add_f64 v[11:12], v[11:12], v[28:29]
	v_add_f64 v[13:14], v[13:14], v[30:31]
.LBB77_259:
	s_or_b64 exec, exec, s[90:91]
.LBB77_260:
	s_or_b64 exec, exec, s[88:89]
	v_mov_b32_e32 v28, 0x4000
	v_cmp_eq_u32_e64 s[18:19], 15, v25
	s_xor_b64 s[88:89], s[14:15], -1
	v_lshl_add_u32 v27, v27, 4, v28
	s_and_b64 s[18:19], s[18:19], s[88:89]
	s_and_saveexec_b64 s[14:15], s[18:19]
	s_cbranch_execz .LBB77_262
; %bb.261:
	v_mov_b32_e32 v28, 0
	ds_read_b128 v[28:31], v28 offset:7920
	s_waitcnt lgkmcnt(0)
	v_mul_f64 v[32:33], v[13:14], v[30:31]
	v_mul_f64 v[30:31], v[11:12], v[30:31]
	v_fma_f64 v[11:12], v[11:12], v[28:29], -v[32:33]
	v_fma_f64 v[13:14], v[13:14], v[28:29], v[30:31]
	v_xor_b32_e32 v29, 0x80000000, v12
	v_xor_b32_e32 v31, 0x80000000, v14
	v_mov_b32_e32 v28, v11
	v_mov_b32_e32 v30, v13
	ds_write_b128 v27, v[28:31]
.LBB77_262:
	s_or_b64 exec, exec, s[14:15]
	v_cmp_ne_u32_e64 s[14:15], 15, v25
	s_and_b64 s[18:19], s[14:15], s[88:89]
	s_waitcnt lgkmcnt(0)
	s_barrier
	s_and_saveexec_b64 s[14:15], s[18:19]
	s_cbranch_execz .LBB77_264
; %bb.263:
	v_lshlrev_b32_e32 v32, 4, v25
	ds_read_b128 v[28:31], v27
	ds_read_b128 v[32:35], v32 offset:7680
	s_waitcnt lgkmcnt(0)
	v_mul_f64 v[36:37], v[30:31], v[34:35]
	v_mul_f64 v[34:35], v[28:29], v[34:35]
	v_fma_f64 v[28:29], v[28:29], v[32:33], -v[36:37]
	v_fma_f64 v[30:31], v[30:31], v[32:33], v[34:35]
	v_add_f64 v[11:12], v[11:12], -v[28:29]
	v_add_f64 v[13:14], v[13:14], -v[30:31]
.LBB77_264:
	s_or_b64 exec, exec, s[14:15]
	v_cmp_eq_u32_e64 s[14:15], 14, v25
	s_and_b64 s[18:19], s[14:15], s[88:89]
	s_barrier
	s_and_saveexec_b64 s[14:15], s[18:19]
	s_cbranch_execz .LBB77_266
; %bb.265:
	v_mov_b32_e32 v28, 0
	ds_read_b128 v[28:31], v28 offset:7392
	s_waitcnt lgkmcnt(0)
	v_mul_f64 v[32:33], v[13:14], v[30:31]
	v_mul_f64 v[30:31], v[11:12], v[30:31]
	v_fma_f64 v[11:12], v[11:12], v[28:29], -v[32:33]
	v_fma_f64 v[13:14], v[13:14], v[28:29], v[30:31]
	v_xor_b32_e32 v29, 0x80000000, v12
	v_xor_b32_e32 v31, 0x80000000, v14
	v_mov_b32_e32 v28, v11
	v_mov_b32_e32 v30, v13
	ds_write_b128 v27, v[28:31]
.LBB77_266:
	s_or_b64 exec, exec, s[14:15]
	v_cmp_gt_u32_e64 s[14:15], 14, v25
	s_and_b64 s[18:19], s[14:15], s[88:89]
	s_waitcnt lgkmcnt(0)
	s_barrier
	s_and_saveexec_b64 s[14:15], s[18:19]
	s_cbranch_execz .LBB77_268
; %bb.267:
	v_lshlrev_b32_e32 v32, 4, v25
	ds_read_b128 v[28:31], v27
	ds_read_b128 v[32:35], v32 offset:7168
	s_waitcnt lgkmcnt(0)
	v_mul_f64 v[36:37], v[30:31], v[34:35]
	v_mul_f64 v[34:35], v[28:29], v[34:35]
	v_fma_f64 v[28:29], v[28:29], v[32:33], -v[36:37]
	v_fma_f64 v[30:31], v[30:31], v[32:33], v[34:35]
	v_add_f64 v[11:12], v[11:12], -v[28:29]
	v_add_f64 v[13:14], v[13:14], -v[30:31]
.LBB77_268:
	s_or_b64 exec, exec, s[14:15]
	v_cmp_eq_u32_e64 s[14:15], 13, v25
	s_and_b64 s[18:19], s[14:15], s[88:89]
	s_barrier
	s_and_saveexec_b64 s[14:15], s[18:19]
	s_cbranch_execz .LBB77_270
; %bb.269:
	v_mov_b32_e32 v28, 0
	ds_read_b128 v[28:31], v28 offset:6864
	s_waitcnt lgkmcnt(0)
	v_mul_f64 v[32:33], v[13:14], v[30:31]
	v_mul_f64 v[30:31], v[11:12], v[30:31]
	v_fma_f64 v[11:12], v[11:12], v[28:29], -v[32:33]
	v_fma_f64 v[13:14], v[13:14], v[28:29], v[30:31]
	v_xor_b32_e32 v29, 0x80000000, v12
	v_xor_b32_e32 v31, 0x80000000, v14
	v_mov_b32_e32 v28, v11
	v_mov_b32_e32 v30, v13
	ds_write_b128 v27, v[28:31]
.LBB77_270:
	s_or_b64 exec, exec, s[14:15]
	v_cmp_gt_u32_e64 s[14:15], 13, v25
	;; [unrolled: 39-line block ×13, first 2 shown]
	s_and_b64 s[18:19], s[14:15], s[88:89]
	s_waitcnt lgkmcnt(0)
	s_barrier
	s_and_saveexec_b64 s[14:15], s[18:19]
	s_cbranch_execz .LBB77_316
; %bb.315:
	v_lshlrev_b32_e32 v32, 4, v25
	ds_read_b128 v[28:31], v27
	ds_read_b128 v[32:35], v32 offset:1024
	s_waitcnt lgkmcnt(0)
	v_mul_f64 v[36:37], v[30:31], v[34:35]
	v_mul_f64 v[34:35], v[28:29], v[34:35]
	v_fma_f64 v[28:29], v[28:29], v[32:33], -v[36:37]
	v_fma_f64 v[30:31], v[30:31], v[32:33], v[34:35]
	v_add_f64 v[11:12], v[11:12], -v[28:29]
	v_add_f64 v[13:14], v[13:14], -v[30:31]
.LBB77_316:
	s_or_b64 exec, exec, s[14:15]
	v_cmp_eq_u32_e64 s[14:15], 1, v25
	s_and_b64 s[18:19], s[14:15], s[88:89]
	s_barrier
	s_and_saveexec_b64 s[14:15], s[18:19]
	s_cbranch_execz .LBB77_318
; %bb.317:
	v_mov_b32_e32 v28, 0
	ds_read_b128 v[28:31], v28 offset:528
	s_waitcnt lgkmcnt(0)
	v_mul_f64 v[32:33], v[13:14], v[30:31]
	v_mul_f64 v[30:31], v[11:12], v[30:31]
	v_fma_f64 v[11:12], v[11:12], v[28:29], -v[32:33]
	v_fma_f64 v[13:14], v[13:14], v[28:29], v[30:31]
	v_xor_b32_e32 v29, 0x80000000, v12
	v_xor_b32_e32 v31, 0x80000000, v14
	v_mov_b32_e32 v28, v11
	v_mov_b32_e32 v30, v13
	ds_write_b128 v27, v[28:31]
.LBB77_318:
	s_or_b64 exec, exec, s[14:15]
	v_cmp_eq_u32_e64 s[14:15], 0, v25
	s_and_b64 s[14:15], s[14:15], s[88:89]
	s_waitcnt lgkmcnt(0)
	s_barrier
	s_and_saveexec_b64 s[18:19], s[14:15]
	s_cbranch_execz .LBB77_320
; %bb.319:
	v_mov_b32_e32 v32, 0
	ds_read_b128 v[28:31], v27
	ds_read_b128 v[32:35], v32 offset:512
	s_waitcnt lgkmcnt(0)
	v_mul_f64 v[36:37], v[30:31], v[34:35]
	v_mul_f64 v[34:35], v[28:29], v[34:35]
	v_fma_f64 v[28:29], v[28:29], v[32:33], -v[36:37]
	v_fma_f64 v[30:31], v[30:31], v[32:33], v[34:35]
	v_add_f64 v[11:12], v[11:12], -v[28:29]
	v_add_f64 v[13:14], v[13:14], -v[30:31]
.LBB77_320:
	s_or_b64 exec, exec, s[18:19]
	s_barrier
	s_and_saveexec_b64 s[18:19], s[14:15]
	s_cbranch_execz .LBB77_322
; %bb.321:
	v_mov_b32_e32 v28, 0
	ds_read_b128 v[28:31], v28
	s_waitcnt lgkmcnt(0)
	v_mul_f64 v[32:33], v[13:14], v[30:31]
	v_mul_f64 v[30:31], v[11:12], v[30:31]
	v_fma_f64 v[11:12], v[11:12], v[28:29], -v[32:33]
	v_fma_f64 v[13:14], v[13:14], v[28:29], v[30:31]
	v_xor_b32_e32 v29, 0x80000000, v12
	v_xor_b32_e32 v31, 0x80000000, v14
	v_mov_b32_e32 v28, v11
	v_mov_b32_e32 v30, v13
	ds_write_b128 v27, v[28:31]
.LBB77_322:
	s_or_b64 exec, exec, s[18:19]
	s_waitcnt lgkmcnt(0)
	s_barrier
	s_barrier
	s_and_saveexec_b64 s[14:15], s[12:13]
; %bb.323:
	v_lshlrev_b32_e32 v25, 4, v25
	v_lshl_or_b32 v25, v26, 9, v25
	ds_write_b128 v25, v[11:14] offset:8192
; %bb.324:
	s_or_b64 exec, exec, s[14:15]
	v_cmp_gt_u32_e64 s[12:13], 16, v0
	s_and_b64 s[12:13], s[10:11], s[12:13]
	s_waitcnt lgkmcnt(0)
	s_barrier
	s_barrier
	s_and_saveexec_b64 s[10:11], s[12:13]
	s_cbranch_execz .LBB77_326
; %bb.325:
	v_lshlrev_b32_e32 v25, 9, v0
	ds_read_b128 v[11:14], v25 offset:8192
	s_movk_i32 s12, 0xfe10
	v_mad_i32_i24 v26, v0, s12, v25
	s_waitcnt lgkmcnt(0)
	ds_write_b128 v26, v[11:14] offset:256
	ds_read_b128 v[11:14], v25 offset:8208
	s_waitcnt lgkmcnt(0)
	ds_write_b128 v26, v[11:14] offset:768
	ds_read_b128 v[11:14], v25 offset:8224
	;; [unrolled: 3-line block ×15, first 2 shown]
	s_waitcnt lgkmcnt(0)
	ds_write_b128 v26, v[11:14] offset:7936
.LBB77_326:
	s_or_b64 exec, exec, s[10:11]
	s_waitcnt lgkmcnt(0)
	s_barrier
	s_and_saveexec_b64 s[10:11], vcc
	s_cbranch_execz .LBB77_328
; %bb.327:
	v_mov_b32_e32 v35, 0
	ds_read_b128 v[11:14], v35 offset:7920
	ds_read_b128 v[25:28], v35 offset:7392
	ds_read_b128 v[29:32], v35 offset:7904
	s_waitcnt lgkmcnt(1)
	v_mul_f64 v[33:34], v[11:12], v[27:28]
	v_mul_f64 v[27:28], v[13:14], v[27:28]
	v_fma_f64 v[13:14], v[13:14], v[25:26], v[33:34]
	v_fma_f64 v[11:12], v[11:12], v[25:26], -v[27:28]
	s_waitcnt lgkmcnt(0)
	v_mul_f64 v[25:26], v[13:14], v[31:32]
	v_mul_f64 v[27:28], v[11:12], v[31:32]
	v_fma_f64 v[11:12], v[29:30], v[11:12], -v[25:26]
	v_fma_f64 v[13:14], v[29:30], v[13:14], v[27:28]
	ds_write_b128 v35, v[11:14] offset:7904
	ds_write_b128 v35, v[11:14] offset:7408
.LBB77_328:
	s_or_b64 exec, exec, s[10:11]
	v_mov_b32_e32 v11, 0
	v_mov_b32_e32 v13, 0
	;; [unrolled: 1-line block ×4, first 2 shown]
	s_waitcnt lgkmcnt(0)
	s_barrier
	buffer_wbinvl1_vol
	s_and_saveexec_b64 s[12:13], s[2:3]
	s_cbranch_execz .LBB77_332
; %bb.329:
	v_lshlrev_b32_e32 v25, 4, v15
	v_lshlrev_b32_e32 v11, 9, v16
	ds_read_b128 v[11:14], v11 offset:7392
	ds_read_b128 v[25:28], v25 offset:7360
	v_cmp_gt_u32_e64 s[10:11], 2, v18
	s_waitcnt lgkmcnt(0)
	v_mul_f64 v[29:30], v[13:14], v[27:28]
	v_mul_f64 v[27:28], v[11:12], v[27:28]
	v_fma_f64 v[11:12], v[11:12], v[25:26], -v[29:30]
	v_fma_f64 v[13:14], v[13:14], v[25:26], v[27:28]
	v_add_f64 v[11:12], v[11:12], 0
	v_add_f64 v[13:14], v[13:14], 0
	s_and_saveexec_b64 s[14:15], s[10:11]
	s_cbranch_execz .LBB77_331
; %bb.330:
	v_lshlrev_b32_e32 v29, 4, v0
	v_mov_b32_e32 v25, 0
	ds_read_b128 v[25:28], v25 offset:7920
	ds_read_b128 v[29:32], v29 offset:7872
	s_waitcnt lgkmcnt(0)
	v_mul_f64 v[33:34], v[27:28], v[31:32]
	v_mul_f64 v[31:32], v[25:26], v[31:32]
	v_fma_f64 v[25:26], v[25:26], v[29:30], -v[33:34]
	v_fma_f64 v[27:28], v[27:28], v[29:30], v[31:32]
	v_add_f64 v[11:12], v[11:12], v[25:26]
	v_add_f64 v[13:14], v[13:14], v[27:28]
.LBB77_331:
	s_or_b64 exec, exec, s[14:15]
.LBB77_332:
	s_or_b64 exec, exec, s[12:13]
	s_and_saveexec_b64 s[10:11], s[40:41]
	s_cbranch_execz .LBB77_334
; %bb.333:
	v_mov_b32_e32 v25, 0
	ds_read_b128 v[25:28], v25 offset:6864
	s_waitcnt lgkmcnt(0)
	v_mul_f64 v[29:30], v[13:14], v[27:28]
	v_mul_f64 v[27:28], v[11:12], v[27:28]
	v_fma_f64 v[11:12], v[11:12], v[25:26], -v[29:30]
	v_fma_f64 v[13:14], v[13:14], v[25:26], v[27:28]
	v_xor_b32_e32 v26, 0x80000000, v12
	v_xor_b32_e32 v28, 0x80000000, v14
	v_mov_b32_e32 v25, v11
	v_mov_b32_e32 v27, v13
	ds_write_b128 v17, v[25:28]
.LBB77_334:
	s_or_b64 exec, exec, s[10:11]
	s_waitcnt lgkmcnt(0)
	s_barrier
	s_and_saveexec_b64 s[10:11], s[24:25]
	s_cbranch_execz .LBB77_336
; %bb.335:
	v_mov_b32_e32 v29, 0
	ds_read_b128 v[25:28], v17
	ds_read_b128 v[29:32], v29 offset:6848
	s_waitcnt lgkmcnt(0)
	v_mul_f64 v[33:34], v[27:28], v[31:32]
	v_mul_f64 v[31:32], v[25:26], v[31:32]
	v_fma_f64 v[25:26], v[25:26], v[29:30], -v[33:34]
	v_fma_f64 v[27:28], v[27:28], v[29:30], v[31:32]
	v_add_f64 v[11:12], v[11:12], -v[25:26]
	v_add_f64 v[13:14], v[13:14], -v[27:28]
.LBB77_336:
	s_or_b64 exec, exec, s[10:11]
	s_barrier
	s_and_saveexec_b64 s[10:11], s[24:25]
	s_cbranch_execz .LBB77_338
; %bb.337:
	v_mov_b32_e32 v25, 0
	ds_read_b128 v[25:28], v25 offset:6336
	s_waitcnt lgkmcnt(0)
	v_mul_f64 v[29:30], v[13:14], v[27:28]
	v_mul_f64 v[27:28], v[11:12], v[27:28]
	v_fma_f64 v[11:12], v[11:12], v[25:26], -v[29:30]
	v_fma_f64 v[13:14], v[13:14], v[25:26], v[27:28]
	v_xor_b32_e32 v26, 0x80000000, v12
	v_xor_b32_e32 v28, 0x80000000, v14
	v_mov_b32_e32 v25, v11
	v_mov_b32_e32 v27, v13
	ds_write_b128 v17, v[25:28]
.LBB77_338:
	s_or_b64 exec, exec, s[10:11]
	s_waitcnt lgkmcnt(0)
	s_barrier
	s_barrier
	s_and_saveexec_b64 s[10:11], s[2:3]
; %bb.339:
	v_lshlrev_b32_e32 v25, 4, v15
	v_lshl_or_b32 v25, v16, 9, v25
	ds_write_b128 v25, v[11:14] offset:7360
; %bb.340:
	s_or_b64 exec, exec, s[10:11]
	s_waitcnt lgkmcnt(0)
	s_barrier
	s_barrier
	s_and_saveexec_b64 s[10:11], s[42:43]
	s_cbranch_execz .LBB77_342
; %bb.341:
	v_lshlrev_b32_e32 v25, 9, v0
	ds_read_b128 v[11:14], v25 offset:7360
	s_movk_i32 s12, 0xfe10
	v_mad_i32_i24 v26, v0, s12, v25
	s_waitcnt lgkmcnt(0)
	ds_write_b128 v26, v[11:14] offset:6368
	ds_read_b128 v[11:14], v25 offset:7376
	s_waitcnt lgkmcnt(0)
	ds_write_b128 v26, v[11:14] offset:6880
.LBB77_342:
	s_or_b64 exec, exec, s[10:11]
	s_waitcnt lgkmcnt(0)
	s_barrier
	s_and_saveexec_b64 s[10:11], vcc
	s_cbranch_execz .LBB77_344
; %bb.343:
	v_mov_b32_e32 v35, 0
	ds_read_b128 v[11:14], v35 offset:6864
	ds_read_b128 v[25:28], v35 offset:6336
	;; [unrolled: 1-line block ×3, first 2 shown]
	s_waitcnt lgkmcnt(1)
	v_mul_f64 v[33:34], v[11:12], v[27:28]
	v_mul_f64 v[27:28], v[13:14], v[27:28]
	v_fma_f64 v[13:14], v[13:14], v[25:26], v[33:34]
	v_fma_f64 v[11:12], v[11:12], v[25:26], -v[27:28]
	s_waitcnt lgkmcnt(0)
	v_mul_f64 v[25:26], v[13:14], v[31:32]
	v_mul_f64 v[27:28], v[11:12], v[31:32]
	v_fma_f64 v[11:12], v[29:30], v[11:12], -v[25:26]
	v_fma_f64 v[13:14], v[29:30], v[13:14], v[27:28]
	ds_write_b128 v35, v[11:14] offset:6848
	ds_write_b128 v35, v[11:14] offset:6352
.LBB77_344:
	s_or_b64 exec, exec, s[10:11]
	v_mov_b32_e32 v13, 0
	v_mov_b32_e32 v11, 0
	;; [unrolled: 1-line block ×4, first 2 shown]
	s_waitcnt lgkmcnt(0)
	s_barrier
	buffer_wbinvl1_vol
	s_and_saveexec_b64 s[12:13], s[16:17]
	s_cbranch_execz .LBB77_350
; %bb.345:
	v_lshlrev_b32_e32 v26, 9, v20
	v_lshlrev_b32_e32 v25, 4, v19
	ds_read_b128 v[11:14], v26 offset:6336
	ds_read_b128 v[27:30], v25 offset:6272
	v_cmp_gt_u32_e64 s[10:11], 12, v18
	s_waitcnt lgkmcnt(0)
	v_mul_f64 v[31:32], v[13:14], v[29:30]
	v_mul_f64 v[29:30], v[11:12], v[29:30]
	v_fma_f64 v[11:12], v[11:12], v[27:28], -v[31:32]
	v_fma_f64 v[13:14], v[13:14], v[27:28], v[29:30]
	v_add_f64 v[11:12], v[11:12], 0
	v_add_f64 v[13:14], v[13:14], 0
	s_and_saveexec_b64 s[14:15], s[10:11]
	s_cbranch_execnz .LBB77_565
; %bb.346:
	s_or_b64 exec, exec, s[14:15]
	v_cmp_gt_u32_e64 s[10:11], 8, v18
	s_and_saveexec_b64 s[14:15], s[10:11]
	s_cbranch_execnz .LBB77_566
.LBB77_347:
	s_or_b64 exec, exec, s[14:15]
	v_cmp_gt_u32_e64 s[10:11], 4, v18
	s_and_saveexec_b64 s[14:15], s[10:11]
	s_cbranch_execz .LBB77_349
.LBB77_348:
	v_lshlrev_b32_e32 v29, 4, v0
	v_mov_b32_e32 v25, 0
	ds_read_b128 v[25:28], v25 offset:7920
	ds_read_b128 v[29:32], v29 offset:7808
	s_waitcnt lgkmcnt(0)
	v_mul_f64 v[33:34], v[27:28], v[31:32]
	v_mul_f64 v[31:32], v[25:26], v[31:32]
	v_fma_f64 v[25:26], v[25:26], v[29:30], -v[33:34]
	v_fma_f64 v[27:28], v[27:28], v[29:30], v[31:32]
	v_add_f64 v[11:12], v[11:12], v[25:26]
	v_add_f64 v[13:14], v[13:14], v[27:28]
.LBB77_349:
	s_or_b64 exec, exec, s[14:15]
.LBB77_350:
	s_or_b64 exec, exec, s[12:13]
	s_and_saveexec_b64 s[10:11], s[46:47]
	s_cbranch_execz .LBB77_352
; %bb.351:
	v_mov_b32_e32 v25, 0
	ds_read_b128 v[25:28], v25 offset:5808
	s_waitcnt lgkmcnt(0)
	v_mul_f64 v[29:30], v[13:14], v[27:28]
	v_mul_f64 v[27:28], v[11:12], v[27:28]
	v_fma_f64 v[11:12], v[11:12], v[25:26], -v[29:30]
	v_fma_f64 v[13:14], v[13:14], v[25:26], v[27:28]
	v_xor_b32_e32 v26, 0x80000000, v12
	v_xor_b32_e32 v28, 0x80000000, v14
	v_mov_b32_e32 v25, v11
	v_mov_b32_e32 v27, v13
	ds_write_b128 v21, v[25:28]
.LBB77_352:
	s_or_b64 exec, exec, s[10:11]
	s_waitcnt lgkmcnt(0)
	s_barrier
	s_and_saveexec_b64 s[10:11], s[48:49]
	s_cbranch_execz .LBB77_354
; %bb.353:
	v_lshlrev_b32_e32 v29, 4, v19
	ds_read_b128 v[25:28], v21
	ds_read_b128 v[29:32], v29 offset:5760
	s_waitcnt lgkmcnt(0)
	v_mul_f64 v[33:34], v[27:28], v[31:32]
	v_mul_f64 v[31:32], v[25:26], v[31:32]
	v_fma_f64 v[25:26], v[25:26], v[29:30], -v[33:34]
	v_fma_f64 v[27:28], v[27:28], v[29:30], v[31:32]
	v_add_f64 v[11:12], v[11:12], -v[25:26]
	v_add_f64 v[13:14], v[13:14], -v[27:28]
.LBB77_354:
	s_or_b64 exec, exec, s[10:11]
	s_barrier
	s_and_saveexec_b64 s[10:11], s[50:51]
	s_cbranch_execz .LBB77_356
; %bb.355:
	v_mov_b32_e32 v25, 0
	ds_read_b128 v[25:28], v25 offset:5280
	s_waitcnt lgkmcnt(0)
	v_mul_f64 v[29:30], v[13:14], v[27:28]
	v_mul_f64 v[27:28], v[11:12], v[27:28]
	v_fma_f64 v[11:12], v[11:12], v[25:26], -v[29:30]
	v_fma_f64 v[13:14], v[13:14], v[25:26], v[27:28]
	v_xor_b32_e32 v26, 0x80000000, v12
	v_xor_b32_e32 v28, 0x80000000, v14
	v_mov_b32_e32 v25, v11
	v_mov_b32_e32 v27, v13
	ds_write_b128 v21, v[25:28]
.LBB77_356:
	s_or_b64 exec, exec, s[10:11]
	s_waitcnt lgkmcnt(0)
	s_barrier
	s_and_saveexec_b64 s[10:11], s[52:53]
	s_cbranch_execz .LBB77_358
; %bb.357:
	v_lshlrev_b32_e32 v29, 4, v19
	ds_read_b128 v[25:28], v21
	ds_read_b128 v[29:32], v29 offset:5248
	s_waitcnt lgkmcnt(0)
	v_mul_f64 v[33:34], v[27:28], v[31:32]
	v_mul_f64 v[31:32], v[25:26], v[31:32]
	v_fma_f64 v[25:26], v[25:26], v[29:30], -v[33:34]
	v_fma_f64 v[27:28], v[27:28], v[29:30], v[31:32]
	v_add_f64 v[11:12], v[11:12], -v[25:26]
	v_add_f64 v[13:14], v[13:14], -v[27:28]
.LBB77_358:
	s_or_b64 exec, exec, s[10:11]
	s_barrier
	s_and_saveexec_b64 s[10:11], s[54:55]
	s_cbranch_execz .LBB77_360
; %bb.359:
	v_mov_b32_e32 v25, 0
	ds_read_b128 v[25:28], v25 offset:4752
	s_waitcnt lgkmcnt(0)
	v_mul_f64 v[29:30], v[13:14], v[27:28]
	v_mul_f64 v[27:28], v[11:12], v[27:28]
	v_fma_f64 v[11:12], v[11:12], v[25:26], -v[29:30]
	v_fma_f64 v[13:14], v[13:14], v[25:26], v[27:28]
	v_xor_b32_e32 v26, 0x80000000, v12
	v_xor_b32_e32 v28, 0x80000000, v14
	v_mov_b32_e32 v25, v11
	v_mov_b32_e32 v27, v13
	ds_write_b128 v21, v[25:28]
.LBB77_360:
	s_or_b64 exec, exec, s[10:11]
	s_waitcnt lgkmcnt(0)
	s_barrier
	s_and_saveexec_b64 s[10:11], s[44:45]
	s_cbranch_execz .LBB77_362
; %bb.361:
	v_mov_b32_e32 v29, 0
	ds_read_b128 v[25:28], v21
	ds_read_b128 v[29:32], v29 offset:4736
	s_waitcnt lgkmcnt(0)
	v_mul_f64 v[33:34], v[27:28], v[31:32]
	v_mul_f64 v[31:32], v[25:26], v[31:32]
	v_fma_f64 v[25:26], v[25:26], v[29:30], -v[33:34]
	v_fma_f64 v[27:28], v[27:28], v[29:30], v[31:32]
	v_add_f64 v[11:12], v[11:12], -v[25:26]
	v_add_f64 v[13:14], v[13:14], -v[27:28]
.LBB77_362:
	s_or_b64 exec, exec, s[10:11]
	s_barrier
	s_and_saveexec_b64 s[10:11], s[44:45]
	s_cbranch_execz .LBB77_364
; %bb.363:
	v_mov_b32_e32 v25, 0
	ds_read_b128 v[25:28], v25 offset:4224
	s_waitcnt lgkmcnt(0)
	v_mul_f64 v[29:30], v[13:14], v[27:28]
	v_mul_f64 v[27:28], v[11:12], v[27:28]
	v_fma_f64 v[11:12], v[11:12], v[25:26], -v[29:30]
	v_fma_f64 v[13:14], v[13:14], v[25:26], v[27:28]
	v_xor_b32_e32 v26, 0x80000000, v12
	v_xor_b32_e32 v28, 0x80000000, v14
	v_mov_b32_e32 v25, v11
	v_mov_b32_e32 v27, v13
	ds_write_b128 v21, v[25:28]
.LBB77_364:
	s_or_b64 exec, exec, s[10:11]
	s_waitcnt lgkmcnt(0)
	s_barrier
	s_barrier
	s_and_saveexec_b64 s[10:11], s[16:17]
; %bb.365:
	v_lshlrev_b32_e32 v25, 4, v19
	v_lshl_or_b32 v25, v20, 9, v25
	ds_write_b128 v25, v[11:14] offset:6272
; %bb.366:
	s_or_b64 exec, exec, s[10:11]
	s_waitcnt lgkmcnt(0)
	s_barrier
	s_barrier
	s_and_saveexec_b64 s[10:11], s[56:57]
	s_cbranch_execz .LBB77_368
; %bb.367:
	v_lshlrev_b32_e32 v25, 4, v0
	s_movk_i32 s12, 0x1f0
	v_mad_u32_u24 v26, v0, s12, v25
	ds_read_b128 v[11:14], v26 offset:6272
	s_waitcnt lgkmcnt(0)
	ds_write_b128 v25, v[11:14] offset:4288
	ds_read_b128 v[11:14], v26 offset:6288
	s_waitcnt lgkmcnt(0)
	ds_write_b128 v25, v[11:14] offset:4800
	;; [unrolled: 3-line block ×4, first 2 shown]
.LBB77_368:
	s_or_b64 exec, exec, s[10:11]
	s_waitcnt lgkmcnt(0)
	s_barrier
	s_and_saveexec_b64 s[10:11], vcc
	s_cbranch_execz .LBB77_370
; %bb.369:
	v_mov_b32_e32 v35, 0
	ds_read_b128 v[11:14], v35 offset:5808
	ds_read_b128 v[25:28], v35 offset:5280
	;; [unrolled: 1-line block ×3, first 2 shown]
	s_waitcnt lgkmcnt(1)
	v_mul_f64 v[33:34], v[11:12], v[27:28]
	v_mul_f64 v[27:28], v[13:14], v[27:28]
	v_fma_f64 v[13:14], v[13:14], v[25:26], v[33:34]
	v_fma_f64 v[11:12], v[11:12], v[25:26], -v[27:28]
	s_waitcnt lgkmcnt(0)
	v_mul_f64 v[25:26], v[13:14], v[31:32]
	v_mul_f64 v[27:28], v[11:12], v[31:32]
	v_fma_f64 v[11:12], v[29:30], v[11:12], -v[25:26]
	v_fma_f64 v[13:14], v[29:30], v[13:14], v[27:28]
	ds_write_b128 v35, v[11:14] offset:5792
	ds_write_b128 v35, v[11:14] offset:5296
.LBB77_370:
	s_or_b64 exec, exec, s[10:11]
	v_mov_b32_e32 v11, 0
	v_mov_b32_e32 v13, 0
	;; [unrolled: 1-line block ×4, first 2 shown]
	s_waitcnt lgkmcnt(0)
	s_barrier
	buffer_wbinvl1_vol
	s_and_saveexec_b64 s[12:13], s[2:3]
	s_cbranch_execz .LBB77_374
; %bb.371:
	v_lshlrev_b32_e32 v25, 4, v15
	v_lshlrev_b32_e32 v11, 9, v16
	ds_read_b128 v[11:14], v11 offset:5280
	ds_read_b128 v[25:28], v25 offset:5248
	v_cmp_gt_u32_e64 s[10:11], 2, v18
	s_waitcnt lgkmcnt(0)
	v_mul_f64 v[29:30], v[13:14], v[27:28]
	v_mul_f64 v[27:28], v[11:12], v[27:28]
	v_fma_f64 v[11:12], v[11:12], v[25:26], -v[29:30]
	v_fma_f64 v[13:14], v[13:14], v[25:26], v[27:28]
	v_add_f64 v[11:12], v[11:12], 0
	v_add_f64 v[13:14], v[13:14], 0
	s_and_saveexec_b64 s[14:15], s[10:11]
	s_cbranch_execz .LBB77_373
; %bb.372:
	v_lshlrev_b32_e32 v29, 4, v0
	v_mov_b32_e32 v25, 0
	ds_read_b128 v[25:28], v25 offset:5808
	ds_read_b128 v[29:32], v29 offset:5760
	s_waitcnt lgkmcnt(0)
	v_mul_f64 v[33:34], v[27:28], v[31:32]
	v_mul_f64 v[31:32], v[25:26], v[31:32]
	v_fma_f64 v[25:26], v[25:26], v[29:30], -v[33:34]
	v_fma_f64 v[27:28], v[27:28], v[29:30], v[31:32]
	v_add_f64 v[11:12], v[11:12], v[25:26]
	v_add_f64 v[13:14], v[13:14], v[27:28]
.LBB77_373:
	s_or_b64 exec, exec, s[14:15]
.LBB77_374:
	s_or_b64 exec, exec, s[12:13]
	s_and_saveexec_b64 s[10:11], s[40:41]
	s_cbranch_execz .LBB77_376
; %bb.375:
	v_mov_b32_e32 v25, 0
	ds_read_b128 v[25:28], v25 offset:4752
	s_waitcnt lgkmcnt(0)
	v_mul_f64 v[29:30], v[13:14], v[27:28]
	v_mul_f64 v[27:28], v[11:12], v[27:28]
	v_fma_f64 v[11:12], v[11:12], v[25:26], -v[29:30]
	v_fma_f64 v[13:14], v[13:14], v[25:26], v[27:28]
	v_xor_b32_e32 v26, 0x80000000, v12
	v_xor_b32_e32 v28, 0x80000000, v14
	v_mov_b32_e32 v25, v11
	v_mov_b32_e32 v27, v13
	ds_write_b128 v17, v[25:28]
.LBB77_376:
	s_or_b64 exec, exec, s[10:11]
	s_waitcnt lgkmcnt(0)
	s_barrier
	s_and_saveexec_b64 s[10:11], s[24:25]
	s_cbranch_execz .LBB77_378
; %bb.377:
	v_mov_b32_e32 v29, 0
	ds_read_b128 v[25:28], v17
	ds_read_b128 v[29:32], v29 offset:4736
	s_waitcnt lgkmcnt(0)
	v_mul_f64 v[33:34], v[27:28], v[31:32]
	v_mul_f64 v[31:32], v[25:26], v[31:32]
	v_fma_f64 v[25:26], v[25:26], v[29:30], -v[33:34]
	v_fma_f64 v[27:28], v[27:28], v[29:30], v[31:32]
	v_add_f64 v[11:12], v[11:12], -v[25:26]
	v_add_f64 v[13:14], v[13:14], -v[27:28]
.LBB77_378:
	s_or_b64 exec, exec, s[10:11]
	s_barrier
	s_and_saveexec_b64 s[10:11], s[24:25]
	s_cbranch_execz .LBB77_380
; %bb.379:
	v_mov_b32_e32 v25, 0
	ds_read_b128 v[25:28], v25 offset:4224
	s_waitcnt lgkmcnt(0)
	v_mul_f64 v[29:30], v[13:14], v[27:28]
	v_mul_f64 v[27:28], v[11:12], v[27:28]
	v_fma_f64 v[11:12], v[11:12], v[25:26], -v[29:30]
	v_fma_f64 v[13:14], v[13:14], v[25:26], v[27:28]
	v_xor_b32_e32 v26, 0x80000000, v12
	v_xor_b32_e32 v28, 0x80000000, v14
	v_mov_b32_e32 v25, v11
	v_mov_b32_e32 v27, v13
	ds_write_b128 v17, v[25:28]
.LBB77_380:
	s_or_b64 exec, exec, s[10:11]
	s_waitcnt lgkmcnt(0)
	s_barrier
	s_barrier
	s_and_saveexec_b64 s[10:11], s[2:3]
; %bb.381:
	v_lshlrev_b32_e32 v25, 4, v15
	v_lshl_or_b32 v25, v16, 9, v25
	ds_write_b128 v25, v[11:14] offset:5248
; %bb.382:
	s_or_b64 exec, exec, s[10:11]
	s_waitcnt lgkmcnt(0)
	s_barrier
	s_barrier
	s_and_saveexec_b64 s[10:11], s[42:43]
	s_cbranch_execz .LBB77_384
; %bb.383:
	v_lshlrev_b32_e32 v25, 9, v0
	ds_read_b128 v[11:14], v25 offset:5248
	s_movk_i32 s12, 0xfe10
	v_mad_i32_i24 v26, v0, s12, v25
	s_waitcnt lgkmcnt(0)
	ds_write_b128 v26, v[11:14] offset:4256
	ds_read_b128 v[11:14], v25 offset:5264
	s_waitcnt lgkmcnt(0)
	ds_write_b128 v26, v[11:14] offset:4768
.LBB77_384:
	s_or_b64 exec, exec, s[10:11]
	s_waitcnt lgkmcnt(0)
	s_barrier
	s_and_saveexec_b64 s[10:11], vcc
	s_cbranch_execz .LBB77_386
; %bb.385:
	v_mov_b32_e32 v35, 0
	ds_read_b128 v[11:14], v35 offset:4752
	ds_read_b128 v[25:28], v35 offset:4224
	;; [unrolled: 1-line block ×3, first 2 shown]
	s_waitcnt lgkmcnt(1)
	v_mul_f64 v[33:34], v[11:12], v[27:28]
	v_mul_f64 v[27:28], v[13:14], v[27:28]
	v_fma_f64 v[13:14], v[13:14], v[25:26], v[33:34]
	v_fma_f64 v[11:12], v[11:12], v[25:26], -v[27:28]
	s_waitcnt lgkmcnt(0)
	v_mul_f64 v[25:26], v[13:14], v[31:32]
	v_mul_f64 v[27:28], v[11:12], v[31:32]
	v_fma_f64 v[11:12], v[29:30], v[11:12], -v[25:26]
	v_fma_f64 v[13:14], v[29:30], v[13:14], v[27:28]
	ds_write_b128 v35, v[11:14] offset:4736
	ds_write_b128 v35, v[11:14] offset:4240
.LBB77_386:
	s_or_b64 exec, exec, s[10:11]
	v_mov_b32_e32 v13, 0
	v_mov_b32_e32 v11, 0
	;; [unrolled: 1-line block ×4, first 2 shown]
	s_waitcnt lgkmcnt(0)
	s_barrier
	buffer_wbinvl1_vol
	s_and_saveexec_b64 s[12:13], s[8:9]
	s_cbranch_execz .LBB77_396
; %bb.387:
	v_lshlrev_b32_e32 v26, 9, v23
	v_lshlrev_b32_e32 v25, 4, v22
	ds_read_b128 v[11:14], v26 offset:4224
	ds_read_b128 v[27:30], v25 offset:4096
	v_cmp_gt_u32_e64 s[10:11], 56, v18
	s_waitcnt lgkmcnt(0)
	v_mul_f64 v[31:32], v[13:14], v[29:30]
	v_mul_f64 v[29:30], v[11:12], v[29:30]
	v_fma_f64 v[11:12], v[11:12], v[27:28], -v[31:32]
	v_fma_f64 v[13:14], v[13:14], v[27:28], v[29:30]
	v_add_f64 v[11:12], v[11:12], 0
	v_add_f64 v[13:14], v[13:14], 0
	s_and_saveexec_b64 s[14:15], s[10:11]
	s_cbranch_execnz .LBB77_567
; %bb.388:
	s_or_b64 exec, exec, s[14:15]
	v_cmp_gt_u32_e64 s[10:11], 48, v18
	s_and_saveexec_b64 s[14:15], s[10:11]
	s_cbranch_execnz .LBB77_568
.LBB77_389:
	s_or_b64 exec, exec, s[14:15]
	v_cmp_gt_u32_e64 s[10:11], 40, v18
	s_and_saveexec_b64 s[14:15], s[10:11]
	s_cbranch_execnz .LBB77_569
.LBB77_390:
	s_or_b64 exec, exec, s[14:15]
	v_cmp_gt_u32_e64 s[10:11], 32, v18
	s_and_saveexec_b64 s[14:15], s[10:11]
	s_cbranch_execnz .LBB77_570
.LBB77_391:
	s_or_b64 exec, exec, s[14:15]
	v_cmp_gt_u32_e64 s[10:11], 24, v18
	s_and_saveexec_b64 s[14:15], s[10:11]
	s_cbranch_execnz .LBB77_571
.LBB77_392:
	s_or_b64 exec, exec, s[14:15]
	s_and_saveexec_b64 s[10:11], s[16:17]
	s_cbranch_execnz .LBB77_572
.LBB77_393:
	s_or_b64 exec, exec, s[10:11]
	v_cmp_gt_u32_e64 s[10:11], 8, v18
	s_and_saveexec_b64 s[14:15], s[10:11]
	s_cbranch_execz .LBB77_395
.LBB77_394:
	v_lshlrev_b32_e32 v29, 4, v0
	v_mov_b32_e32 v25, 0
	ds_read_b128 v[25:28], v25 offset:7920
	ds_read_b128 v[29:32], v29 offset:7680
	s_waitcnt lgkmcnt(0)
	v_mul_f64 v[33:34], v[27:28], v[31:32]
	v_mul_f64 v[31:32], v[25:26], v[31:32]
	v_fma_f64 v[25:26], v[25:26], v[29:30], -v[33:34]
	v_fma_f64 v[27:28], v[27:28], v[29:30], v[31:32]
	v_add_f64 v[11:12], v[11:12], v[25:26]
	v_add_f64 v[13:14], v[13:14], v[27:28]
.LBB77_395:
	s_or_b64 exec, exec, s[14:15]
.LBB77_396:
	s_or_b64 exec, exec, s[12:13]
	s_and_saveexec_b64 s[10:11], s[60:61]
	s_cbranch_execz .LBB77_398
; %bb.397:
	v_mov_b32_e32 v25, 0
	ds_read_b128 v[25:28], v25 offset:3696
	s_waitcnt lgkmcnt(0)
	v_mul_f64 v[29:30], v[13:14], v[27:28]
	v_mul_f64 v[27:28], v[11:12], v[27:28]
	v_fma_f64 v[11:12], v[11:12], v[25:26], -v[29:30]
	v_fma_f64 v[13:14], v[13:14], v[25:26], v[27:28]
	v_xor_b32_e32 v26, 0x80000000, v12
	v_xor_b32_e32 v28, 0x80000000, v14
	v_mov_b32_e32 v25, v11
	v_mov_b32_e32 v27, v13
	ds_write_b128 v24, v[25:28]
.LBB77_398:
	s_or_b64 exec, exec, s[10:11]
	s_waitcnt lgkmcnt(0)
	s_barrier
	s_and_saveexec_b64 s[10:11], s[62:63]
	s_cbranch_execz .LBB77_400
; %bb.399:
	v_lshlrev_b32_e32 v29, 4, v22
	ds_read_b128 v[25:28], v24
	ds_read_b128 v[29:32], v29 offset:3584
	s_waitcnt lgkmcnt(0)
	v_mul_f64 v[33:34], v[27:28], v[31:32]
	v_mul_f64 v[31:32], v[25:26], v[31:32]
	v_fma_f64 v[25:26], v[25:26], v[29:30], -v[33:34]
	v_fma_f64 v[27:28], v[27:28], v[29:30], v[31:32]
	v_add_f64 v[11:12], v[11:12], -v[25:26]
	v_add_f64 v[13:14], v[13:14], -v[27:28]
.LBB77_400:
	s_or_b64 exec, exec, s[10:11]
	s_barrier
	s_and_saveexec_b64 s[10:11], s[64:65]
	s_cbranch_execz .LBB77_402
; %bb.401:
	v_mov_b32_e32 v25, 0
	ds_read_b128 v[25:28], v25 offset:3168
	s_waitcnt lgkmcnt(0)
	v_mul_f64 v[29:30], v[13:14], v[27:28]
	v_mul_f64 v[27:28], v[11:12], v[27:28]
	v_fma_f64 v[11:12], v[11:12], v[25:26], -v[29:30]
	v_fma_f64 v[13:14], v[13:14], v[25:26], v[27:28]
	v_xor_b32_e32 v26, 0x80000000, v12
	v_xor_b32_e32 v28, 0x80000000, v14
	v_mov_b32_e32 v25, v11
	v_mov_b32_e32 v27, v13
	ds_write_b128 v24, v[25:28]
.LBB77_402:
	s_or_b64 exec, exec, s[10:11]
	s_waitcnt lgkmcnt(0)
	s_barrier
	s_and_saveexec_b64 s[10:11], s[66:67]
	s_cbranch_execz .LBB77_404
; %bb.403:
	v_lshlrev_b32_e32 v29, 4, v22
	ds_read_b128 v[25:28], v24
	ds_read_b128 v[29:32], v29 offset:3072
	s_waitcnt lgkmcnt(0)
	v_mul_f64 v[33:34], v[27:28], v[31:32]
	v_mul_f64 v[31:32], v[25:26], v[31:32]
	v_fma_f64 v[25:26], v[25:26], v[29:30], -v[33:34]
	v_fma_f64 v[27:28], v[27:28], v[29:30], v[31:32]
	v_add_f64 v[11:12], v[11:12], -v[25:26]
	v_add_f64 v[13:14], v[13:14], -v[27:28]
.LBB77_404:
	s_or_b64 exec, exec, s[10:11]
	s_barrier
	;; [unrolled: 35-line block ×6, first 2 shown]
	s_and_saveexec_b64 s[10:11], s[84:85]
	s_cbranch_execz .LBB77_422
; %bb.421:
	v_mov_b32_e32 v25, 0
	ds_read_b128 v[25:28], v25 offset:528
	s_waitcnt lgkmcnt(0)
	v_mul_f64 v[29:30], v[13:14], v[27:28]
	v_mul_f64 v[27:28], v[11:12], v[27:28]
	v_fma_f64 v[11:12], v[11:12], v[25:26], -v[29:30]
	v_fma_f64 v[13:14], v[13:14], v[25:26], v[27:28]
	v_xor_b32_e32 v26, 0x80000000, v12
	v_xor_b32_e32 v28, 0x80000000, v14
	v_mov_b32_e32 v25, v11
	v_mov_b32_e32 v27, v13
	ds_write_b128 v24, v[25:28]
.LBB77_422:
	s_or_b64 exec, exec, s[10:11]
	s_waitcnt lgkmcnt(0)
	s_barrier
	s_and_saveexec_b64 s[10:11], s[58:59]
	s_cbranch_execz .LBB77_424
; %bb.423:
	v_mov_b32_e32 v29, 0
	ds_read_b128 v[25:28], v24
	ds_read_b128 v[29:32], v29 offset:512
	s_waitcnt lgkmcnt(0)
	v_mul_f64 v[33:34], v[27:28], v[31:32]
	v_mul_f64 v[31:32], v[25:26], v[31:32]
	v_fma_f64 v[25:26], v[25:26], v[29:30], -v[33:34]
	v_fma_f64 v[27:28], v[27:28], v[29:30], v[31:32]
	v_add_f64 v[11:12], v[11:12], -v[25:26]
	v_add_f64 v[13:14], v[13:14], -v[27:28]
.LBB77_424:
	s_or_b64 exec, exec, s[10:11]
	s_barrier
	s_and_saveexec_b64 s[10:11], s[58:59]
	s_cbranch_execz .LBB77_426
; %bb.425:
	v_mov_b32_e32 v25, 0
	ds_read_b128 v[25:28], v25
	s_waitcnt lgkmcnt(0)
	v_mul_f64 v[29:30], v[13:14], v[27:28]
	v_mul_f64 v[27:28], v[11:12], v[27:28]
	v_fma_f64 v[11:12], v[11:12], v[25:26], -v[29:30]
	v_fma_f64 v[13:14], v[13:14], v[25:26], v[27:28]
	v_xor_b32_e32 v26, 0x80000000, v12
	v_xor_b32_e32 v28, 0x80000000, v14
	v_mov_b32_e32 v25, v11
	v_mov_b32_e32 v27, v13
	ds_write_b128 v24, v[25:28]
.LBB77_426:
	s_or_b64 exec, exec, s[10:11]
	s_waitcnt lgkmcnt(0)
	s_barrier
	s_barrier
	s_and_saveexec_b64 s[10:11], s[8:9]
; %bb.427:
	v_lshlrev_b32_e32 v22, 4, v22
	v_lshl_or_b32 v22, v23, 9, v22
	ds_write_b128 v22, v[11:14] offset:4096
; %bb.428:
	s_or_b64 exec, exec, s[10:11]
	s_waitcnt lgkmcnt(0)
	s_barrier
	s_barrier
	s_and_saveexec_b64 s[8:9], s[86:87]
	s_cbranch_execz .LBB77_430
; %bb.429:
	v_lshlrev_b32_e32 v22, 9, v0
	ds_read_b128 v[11:14], v22 offset:4096
	s_movk_i32 s10, 0xfe10
	v_mad_i32_i24 v23, v0, s10, v22
	s_waitcnt lgkmcnt(0)
	ds_write_b128 v23, v[11:14] offset:128
	ds_read_b128 v[11:14], v22 offset:4112
	s_waitcnt lgkmcnt(0)
	ds_write_b128 v23, v[11:14] offset:640
	ds_read_b128 v[11:14], v22 offset:4128
	;; [unrolled: 3-line block ×7, first 2 shown]
	s_waitcnt lgkmcnt(0)
	ds_write_b128 v23, v[11:14] offset:3712
.LBB77_430:
	s_or_b64 exec, exec, s[8:9]
	s_waitcnt lgkmcnt(0)
	s_barrier
	s_and_saveexec_b64 s[8:9], vcc
	s_cbranch_execz .LBB77_432
; %bb.431:
	v_mov_b32_e32 v32, 0
	ds_read_b128 v[11:14], v32 offset:3696
	ds_read_b128 v[22:25], v32 offset:3168
	;; [unrolled: 1-line block ×3, first 2 shown]
	s_waitcnt lgkmcnt(1)
	v_mul_f64 v[30:31], v[11:12], v[24:25]
	v_mul_f64 v[24:25], v[13:14], v[24:25]
	v_fma_f64 v[13:14], v[13:14], v[22:23], v[30:31]
	v_fma_f64 v[11:12], v[11:12], v[22:23], -v[24:25]
	s_waitcnt lgkmcnt(0)
	v_mul_f64 v[22:23], v[13:14], v[28:29]
	v_mul_f64 v[24:25], v[11:12], v[28:29]
	v_fma_f64 v[11:12], v[26:27], v[11:12], -v[22:23]
	v_fma_f64 v[13:14], v[26:27], v[13:14], v[24:25]
	ds_write_b128 v32, v[11:14] offset:3680
	ds_write_b128 v32, v[11:14] offset:3184
.LBB77_432:
	s_or_b64 exec, exec, s[8:9]
	v_mov_b32_e32 v11, 0
	v_mov_b32_e32 v13, 0
	;; [unrolled: 1-line block ×4, first 2 shown]
	s_waitcnt lgkmcnt(0)
	s_barrier
	buffer_wbinvl1_vol
	s_and_saveexec_b64 s[10:11], s[2:3]
	s_cbranch_execz .LBB77_436
; %bb.433:
	v_lshlrev_b32_e32 v22, 4, v15
	v_lshlrev_b32_e32 v11, 9, v16
	ds_read_b128 v[11:14], v11 offset:3168
	ds_read_b128 v[22:25], v22 offset:3136
	v_cmp_gt_u32_e64 s[8:9], 2, v18
	s_waitcnt lgkmcnt(0)
	v_mul_f64 v[26:27], v[13:14], v[24:25]
	v_mul_f64 v[24:25], v[11:12], v[24:25]
	v_fma_f64 v[11:12], v[11:12], v[22:23], -v[26:27]
	v_fma_f64 v[13:14], v[13:14], v[22:23], v[24:25]
	v_add_f64 v[11:12], v[11:12], 0
	v_add_f64 v[13:14], v[13:14], 0
	s_and_saveexec_b64 s[12:13], s[8:9]
	s_cbranch_execz .LBB77_435
; %bb.434:
	v_lshlrev_b32_e32 v26, 4, v0
	v_mov_b32_e32 v22, 0
	ds_read_b128 v[22:25], v22 offset:3696
	ds_read_b128 v[26:29], v26 offset:3648
	s_waitcnt lgkmcnt(0)
	v_mul_f64 v[30:31], v[24:25], v[28:29]
	v_mul_f64 v[28:29], v[22:23], v[28:29]
	v_fma_f64 v[22:23], v[22:23], v[26:27], -v[30:31]
	v_fma_f64 v[24:25], v[24:25], v[26:27], v[28:29]
	v_add_f64 v[11:12], v[11:12], v[22:23]
	v_add_f64 v[13:14], v[13:14], v[24:25]
.LBB77_435:
	s_or_b64 exec, exec, s[12:13]
.LBB77_436:
	s_or_b64 exec, exec, s[10:11]
	s_and_saveexec_b64 s[8:9], s[40:41]
	s_cbranch_execz .LBB77_438
; %bb.437:
	v_mov_b32_e32 v22, 0
	ds_read_b128 v[22:25], v22 offset:2640
	s_waitcnt lgkmcnt(0)
	v_mul_f64 v[26:27], v[13:14], v[24:25]
	v_mul_f64 v[24:25], v[11:12], v[24:25]
	v_fma_f64 v[11:12], v[11:12], v[22:23], -v[26:27]
	v_fma_f64 v[13:14], v[13:14], v[22:23], v[24:25]
	v_xor_b32_e32 v23, 0x80000000, v12
	v_xor_b32_e32 v25, 0x80000000, v14
	v_mov_b32_e32 v22, v11
	v_mov_b32_e32 v24, v13
	ds_write_b128 v17, v[22:25]
.LBB77_438:
	s_or_b64 exec, exec, s[8:9]
	s_waitcnt lgkmcnt(0)
	s_barrier
	s_and_saveexec_b64 s[8:9], s[24:25]
	s_cbranch_execz .LBB77_440
; %bb.439:
	v_mov_b32_e32 v26, 0
	ds_read_b128 v[22:25], v17
	ds_read_b128 v[26:29], v26 offset:2624
	s_waitcnt lgkmcnt(0)
	v_mul_f64 v[30:31], v[24:25], v[28:29]
	v_mul_f64 v[28:29], v[22:23], v[28:29]
	v_fma_f64 v[22:23], v[22:23], v[26:27], -v[30:31]
	v_fma_f64 v[24:25], v[24:25], v[26:27], v[28:29]
	v_add_f64 v[11:12], v[11:12], -v[22:23]
	v_add_f64 v[13:14], v[13:14], -v[24:25]
.LBB77_440:
	s_or_b64 exec, exec, s[8:9]
	s_barrier
	s_and_saveexec_b64 s[8:9], s[24:25]
	s_cbranch_execz .LBB77_442
; %bb.441:
	v_mov_b32_e32 v22, 0
	ds_read_b128 v[22:25], v22 offset:2112
	s_waitcnt lgkmcnt(0)
	v_mul_f64 v[26:27], v[13:14], v[24:25]
	v_mul_f64 v[24:25], v[11:12], v[24:25]
	v_fma_f64 v[11:12], v[11:12], v[22:23], -v[26:27]
	v_fma_f64 v[13:14], v[13:14], v[22:23], v[24:25]
	v_xor_b32_e32 v23, 0x80000000, v12
	v_xor_b32_e32 v25, 0x80000000, v14
	v_mov_b32_e32 v22, v11
	v_mov_b32_e32 v24, v13
	ds_write_b128 v17, v[22:25]
.LBB77_442:
	s_or_b64 exec, exec, s[8:9]
	s_waitcnt lgkmcnt(0)
	s_barrier
	s_barrier
	s_and_saveexec_b64 s[8:9], s[2:3]
; %bb.443:
	v_lshlrev_b32_e32 v22, 4, v15
	v_lshl_or_b32 v22, v16, 9, v22
	ds_write_b128 v22, v[11:14] offset:3136
; %bb.444:
	s_or_b64 exec, exec, s[8:9]
	s_waitcnt lgkmcnt(0)
	s_barrier
	s_barrier
	s_and_saveexec_b64 s[8:9], s[42:43]
	s_cbranch_execz .LBB77_446
; %bb.445:
	v_lshlrev_b32_e32 v22, 9, v0
	ds_read_b128 v[11:14], v22 offset:3136
	s_movk_i32 s10, 0xfe10
	v_mad_i32_i24 v23, v0, s10, v22
	s_waitcnt lgkmcnt(0)
	ds_write_b128 v23, v[11:14] offset:2144
	ds_read_b128 v[11:14], v22 offset:3152
	s_waitcnt lgkmcnt(0)
	ds_write_b128 v23, v[11:14] offset:2656
.LBB77_446:
	s_or_b64 exec, exec, s[8:9]
	s_waitcnt lgkmcnt(0)
	s_barrier
	s_and_saveexec_b64 s[8:9], vcc
	s_cbranch_execz .LBB77_448
; %bb.447:
	v_mov_b32_e32 v32, 0
	ds_read_b128 v[11:14], v32 offset:2640
	ds_read_b128 v[22:25], v32 offset:2112
	;; [unrolled: 1-line block ×3, first 2 shown]
	s_waitcnt lgkmcnt(1)
	v_mul_f64 v[30:31], v[11:12], v[24:25]
	v_mul_f64 v[24:25], v[13:14], v[24:25]
	v_fma_f64 v[13:14], v[13:14], v[22:23], v[30:31]
	v_fma_f64 v[11:12], v[11:12], v[22:23], -v[24:25]
	s_waitcnt lgkmcnt(0)
	v_mul_f64 v[22:23], v[13:14], v[28:29]
	v_mul_f64 v[24:25], v[11:12], v[28:29]
	v_fma_f64 v[11:12], v[26:27], v[11:12], -v[22:23]
	v_fma_f64 v[13:14], v[26:27], v[13:14], v[24:25]
	ds_write_b128 v32, v[11:14] offset:2624
	ds_write_b128 v32, v[11:14] offset:2128
.LBB77_448:
	s_or_b64 exec, exec, s[8:9]
	v_mov_b32_e32 v13, 0
	v_mov_b32_e32 v11, 0
	v_mov_b32_e32 v14, 0
	v_mov_b32_e32 v12, 0
	s_waitcnt lgkmcnt(0)
	s_barrier
	buffer_wbinvl1_vol
	s_and_saveexec_b64 s[10:11], s[16:17]
	s_cbranch_execz .LBB77_454
; %bb.449:
	v_lshlrev_b32_e32 v23, 9, v20
	v_lshlrev_b32_e32 v22, 4, v19
	ds_read_b128 v[11:14], v23 offset:2112
	ds_read_b128 v[24:27], v22 offset:2048
	v_cmp_gt_u32_e64 s[8:9], 12, v18
	s_waitcnt lgkmcnt(0)
	v_mul_f64 v[28:29], v[13:14], v[26:27]
	v_mul_f64 v[26:27], v[11:12], v[26:27]
	v_fma_f64 v[11:12], v[11:12], v[24:25], -v[28:29]
	v_fma_f64 v[13:14], v[13:14], v[24:25], v[26:27]
	v_add_f64 v[11:12], v[11:12], 0
	v_add_f64 v[13:14], v[13:14], 0
	s_and_saveexec_b64 s[12:13], s[8:9]
	s_cbranch_execnz .LBB77_573
; %bb.450:
	s_or_b64 exec, exec, s[12:13]
	v_cmp_gt_u32_e64 s[8:9], 8, v18
	s_and_saveexec_b64 s[12:13], s[8:9]
	s_cbranch_execnz .LBB77_574
.LBB77_451:
	s_or_b64 exec, exec, s[12:13]
	v_cmp_gt_u32_e64 s[8:9], 4, v18
	s_and_saveexec_b64 s[12:13], s[8:9]
	s_cbranch_execz .LBB77_453
.LBB77_452:
	v_lshlrev_b32_e32 v26, 4, v0
	v_mov_b32_e32 v22, 0
	ds_read_b128 v[22:25], v22 offset:3696
	ds_read_b128 v[26:29], v26 offset:3584
	s_waitcnt lgkmcnt(0)
	v_mul_f64 v[30:31], v[24:25], v[28:29]
	v_mul_f64 v[28:29], v[22:23], v[28:29]
	v_fma_f64 v[22:23], v[22:23], v[26:27], -v[30:31]
	v_fma_f64 v[24:25], v[24:25], v[26:27], v[28:29]
	v_add_f64 v[11:12], v[11:12], v[22:23]
	v_add_f64 v[13:14], v[13:14], v[24:25]
.LBB77_453:
	s_or_b64 exec, exec, s[12:13]
.LBB77_454:
	s_or_b64 exec, exec, s[10:11]
	s_and_saveexec_b64 s[8:9], s[46:47]
	s_cbranch_execz .LBB77_456
; %bb.455:
	v_mov_b32_e32 v22, 0
	ds_read_b128 v[22:25], v22 offset:1584
	s_waitcnt lgkmcnt(0)
	v_mul_f64 v[26:27], v[13:14], v[24:25]
	v_mul_f64 v[24:25], v[11:12], v[24:25]
	v_fma_f64 v[11:12], v[11:12], v[22:23], -v[26:27]
	v_fma_f64 v[13:14], v[13:14], v[22:23], v[24:25]
	v_xor_b32_e32 v23, 0x80000000, v12
	v_xor_b32_e32 v25, 0x80000000, v14
	v_mov_b32_e32 v22, v11
	v_mov_b32_e32 v24, v13
	ds_write_b128 v21, v[22:25]
.LBB77_456:
	s_or_b64 exec, exec, s[8:9]
	s_waitcnt lgkmcnt(0)
	s_barrier
	s_and_saveexec_b64 s[8:9], s[48:49]
	s_load_dword s46, s[4:5], 0x6c
	s_cbranch_execz .LBB77_458
; %bb.457:
	v_lshlrev_b32_e32 v26, 4, v19
	ds_read_b128 v[22:25], v21
	ds_read_b128 v[26:29], v26 offset:1536
	s_waitcnt lgkmcnt(0)
	v_mul_f64 v[30:31], v[24:25], v[28:29]
	v_mul_f64 v[28:29], v[22:23], v[28:29]
	v_fma_f64 v[22:23], v[22:23], v[26:27], -v[30:31]
	v_fma_f64 v[24:25], v[24:25], v[26:27], v[28:29]
	v_add_f64 v[11:12], v[11:12], -v[22:23]
	v_add_f64 v[13:14], v[13:14], -v[24:25]
.LBB77_458:
	s_or_b64 exec, exec, s[8:9]
	s_waitcnt lgkmcnt(0)
	s_barrier
	s_and_saveexec_b64 s[8:9], s[50:51]
	s_cbranch_execz .LBB77_460
; %bb.459:
	v_mov_b32_e32 v22, 0
	ds_read_b128 v[22:25], v22 offset:1056
	s_waitcnt lgkmcnt(0)
	v_mul_f64 v[26:27], v[13:14], v[24:25]
	v_mul_f64 v[24:25], v[11:12], v[24:25]
	v_fma_f64 v[11:12], v[11:12], v[22:23], -v[26:27]
	v_fma_f64 v[13:14], v[13:14], v[22:23], v[24:25]
	v_xor_b32_e32 v23, 0x80000000, v12
	v_xor_b32_e32 v25, 0x80000000, v14
	v_mov_b32_e32 v22, v11
	v_mov_b32_e32 v24, v13
	ds_write_b128 v21, v[22:25]
.LBB77_460:
	s_or_b64 exec, exec, s[8:9]
	s_waitcnt lgkmcnt(0)
	s_barrier
	s_and_saveexec_b64 s[8:9], s[52:53]
	s_cbranch_execz .LBB77_462
; %bb.461:
	v_lshlrev_b32_e32 v26, 4, v19
	ds_read_b128 v[22:25], v21
	ds_read_b128 v[26:29], v26 offset:1024
	s_waitcnt lgkmcnt(0)
	v_mul_f64 v[30:31], v[24:25], v[28:29]
	v_mul_f64 v[28:29], v[22:23], v[28:29]
	v_fma_f64 v[22:23], v[22:23], v[26:27], -v[30:31]
	v_fma_f64 v[24:25], v[24:25], v[26:27], v[28:29]
	v_add_f64 v[11:12], v[11:12], -v[22:23]
	v_add_f64 v[13:14], v[13:14], -v[24:25]
.LBB77_462:
	s_or_b64 exec, exec, s[8:9]
	s_barrier
	s_and_saveexec_b64 s[8:9], s[54:55]
	s_cbranch_execz .LBB77_464
; %bb.463:
	v_mov_b32_e32 v22, 0
	ds_read_b128 v[22:25], v22 offset:528
	s_waitcnt lgkmcnt(0)
	v_mul_f64 v[26:27], v[13:14], v[24:25]
	v_mul_f64 v[24:25], v[11:12], v[24:25]
	v_fma_f64 v[11:12], v[11:12], v[22:23], -v[26:27]
	v_fma_f64 v[13:14], v[13:14], v[22:23], v[24:25]
	v_xor_b32_e32 v23, 0x80000000, v12
	v_xor_b32_e32 v25, 0x80000000, v14
	v_mov_b32_e32 v22, v11
	v_mov_b32_e32 v24, v13
	ds_write_b128 v21, v[22:25]
.LBB77_464:
	s_or_b64 exec, exec, s[8:9]
	s_waitcnt lgkmcnt(0)
	s_barrier
	s_and_saveexec_b64 s[8:9], s[44:45]
	s_cbranch_execz .LBB77_466
; %bb.465:
	v_mov_b32_e32 v26, 0
	ds_read_b128 v[22:25], v21
	ds_read_b128 v[26:29], v26 offset:512
	s_waitcnt lgkmcnt(0)
	v_mul_f64 v[30:31], v[24:25], v[28:29]
	v_mul_f64 v[28:29], v[22:23], v[28:29]
	v_fma_f64 v[22:23], v[22:23], v[26:27], -v[30:31]
	v_fma_f64 v[24:25], v[24:25], v[26:27], v[28:29]
	v_add_f64 v[11:12], v[11:12], -v[22:23]
	v_add_f64 v[13:14], v[13:14], -v[24:25]
.LBB77_466:
	s_or_b64 exec, exec, s[8:9]
	s_barrier
	s_and_saveexec_b64 s[8:9], s[44:45]
	s_cbranch_execz .LBB77_468
; %bb.467:
	v_mov_b32_e32 v22, 0
	ds_read_b128 v[22:25], v22
	s_waitcnt lgkmcnt(0)
	v_mul_f64 v[26:27], v[13:14], v[24:25]
	v_mul_f64 v[24:25], v[11:12], v[24:25]
	v_fma_f64 v[11:12], v[11:12], v[22:23], -v[26:27]
	v_fma_f64 v[13:14], v[13:14], v[22:23], v[24:25]
	v_xor_b32_e32 v23, 0x80000000, v12
	v_xor_b32_e32 v25, 0x80000000, v14
	v_mov_b32_e32 v22, v11
	v_mov_b32_e32 v24, v13
	ds_write_b128 v21, v[22:25]
.LBB77_468:
	s_or_b64 exec, exec, s[8:9]
	s_waitcnt lgkmcnt(0)
	s_barrier
	s_barrier
	s_and_saveexec_b64 s[8:9], s[16:17]
; %bb.469:
	v_lshlrev_b32_e32 v19, 4, v19
	v_lshl_or_b32 v19, v20, 9, v19
	ds_write_b128 v19, v[11:14] offset:2048
; %bb.470:
	s_or_b64 exec, exec, s[8:9]
	s_waitcnt lgkmcnt(0)
	s_barrier
	s_barrier
	s_and_saveexec_b64 s[8:9], s[56:57]
	s_cbranch_execz .LBB77_472
; %bb.471:
	v_lshlrev_b32_e32 v19, 4, v0
	s_movk_i32 s10, 0x1f0
	v_mad_u32_u24 v20, v0, s10, v19
	ds_read_b128 v[11:14], v20 offset:2048
	s_waitcnt lgkmcnt(0)
	ds_write_b128 v19, v[11:14] offset:64
	ds_read_b128 v[11:14], v20 offset:2064
	s_waitcnt lgkmcnt(0)
	ds_write_b128 v19, v[11:14] offset:576
	;; [unrolled: 3-line block ×4, first 2 shown]
.LBB77_472:
	s_or_b64 exec, exec, s[8:9]
	s_waitcnt lgkmcnt(0)
	s_barrier
	s_and_saveexec_b64 s[8:9], vcc
	s_cbranch_execz .LBB77_474
; %bb.473:
	v_mov_b32_e32 v29, 0
	ds_read_b128 v[11:14], v29 offset:1584
	ds_read_b128 v[19:22], v29 offset:1056
	;; [unrolled: 1-line block ×3, first 2 shown]
	s_waitcnt lgkmcnt(1)
	v_mul_f64 v[27:28], v[11:12], v[21:22]
	v_mul_f64 v[21:22], v[13:14], v[21:22]
	v_fma_f64 v[13:14], v[13:14], v[19:20], v[27:28]
	v_fma_f64 v[11:12], v[11:12], v[19:20], -v[21:22]
	s_waitcnt lgkmcnt(0)
	v_mul_f64 v[19:20], v[13:14], v[25:26]
	v_mul_f64 v[21:22], v[11:12], v[25:26]
	v_fma_f64 v[11:12], v[23:24], v[11:12], -v[19:20]
	v_fma_f64 v[13:14], v[23:24], v[13:14], v[21:22]
	ds_write_b128 v29, v[11:14] offset:1568
	ds_write_b128 v29, v[11:14] offset:1072
.LBB77_474:
	s_or_b64 exec, exec, s[8:9]
	v_mov_b32_e32 v11, 0
	v_mov_b32_e32 v13, 0
	;; [unrolled: 1-line block ×4, first 2 shown]
	s_waitcnt lgkmcnt(0)
	s_barrier
	buffer_wbinvl1_vol
	s_and_saveexec_b64 s[10:11], s[2:3]
	s_cbranch_execz .LBB77_478
; %bb.475:
	v_lshlrev_b32_e32 v19, 4, v15
	v_lshlrev_b32_e32 v11, 9, v16
	ds_read_b128 v[11:14], v11 offset:1056
	ds_read_b128 v[19:22], v19 offset:1024
	v_cmp_gt_u32_e64 s[8:9], 2, v18
	s_waitcnt lgkmcnt(0)
	v_mul_f64 v[23:24], v[13:14], v[21:22]
	v_mul_f64 v[21:22], v[11:12], v[21:22]
	v_fma_f64 v[11:12], v[11:12], v[19:20], -v[23:24]
	v_fma_f64 v[13:14], v[13:14], v[19:20], v[21:22]
	v_add_f64 v[11:12], v[11:12], 0
	v_add_f64 v[13:14], v[13:14], 0
	s_and_saveexec_b64 s[12:13], s[8:9]
	s_cbranch_execz .LBB77_477
; %bb.476:
	v_lshlrev_b32_e32 v22, 4, v0
	v_mov_b32_e32 v18, 0
	ds_read_b128 v[18:21], v18 offset:1584
	ds_read_b128 v[22:25], v22 offset:1536
	s_waitcnt lgkmcnt(0)
	v_mul_f64 v[26:27], v[20:21], v[24:25]
	v_mul_f64 v[24:25], v[18:19], v[24:25]
	v_fma_f64 v[18:19], v[18:19], v[22:23], -v[26:27]
	v_fma_f64 v[20:21], v[20:21], v[22:23], v[24:25]
	v_add_f64 v[11:12], v[11:12], v[18:19]
	v_add_f64 v[13:14], v[13:14], v[20:21]
.LBB77_477:
	s_or_b64 exec, exec, s[12:13]
.LBB77_478:
	s_or_b64 exec, exec, s[10:11]
	s_and_saveexec_b64 s[8:9], s[40:41]
	s_cbranch_execz .LBB77_480
; %bb.479:
	v_mov_b32_e32 v18, 0
	ds_read_b128 v[18:21], v18 offset:528
	s_waitcnt lgkmcnt(0)
	v_mul_f64 v[22:23], v[13:14], v[20:21]
	v_mul_f64 v[20:21], v[11:12], v[20:21]
	v_fma_f64 v[11:12], v[11:12], v[18:19], -v[22:23]
	v_fma_f64 v[13:14], v[13:14], v[18:19], v[20:21]
	v_xor_b32_e32 v19, 0x80000000, v12
	v_xor_b32_e32 v21, 0x80000000, v14
	v_mov_b32_e32 v18, v11
	v_mov_b32_e32 v20, v13
	ds_write_b128 v17, v[18:21]
.LBB77_480:
	s_or_b64 exec, exec, s[8:9]
	s_waitcnt lgkmcnt(0)
	s_barrier
	s_and_saveexec_b64 s[8:9], s[24:25]
	s_cbranch_execz .LBB77_482
; %bb.481:
	v_mov_b32_e32 v22, 0
	ds_read_b128 v[18:21], v17
	ds_read_b128 v[22:25], v22 offset:512
	s_waitcnt lgkmcnt(0)
	v_mul_f64 v[26:27], v[20:21], v[24:25]
	v_mul_f64 v[24:25], v[18:19], v[24:25]
	v_fma_f64 v[18:19], v[18:19], v[22:23], -v[26:27]
	v_fma_f64 v[20:21], v[20:21], v[22:23], v[24:25]
	v_add_f64 v[11:12], v[11:12], -v[18:19]
	v_add_f64 v[13:14], v[13:14], -v[20:21]
.LBB77_482:
	s_or_b64 exec, exec, s[8:9]
	s_barrier
	s_and_saveexec_b64 s[8:9], s[24:25]
	s_cbranch_execz .LBB77_484
; %bb.483:
	v_mov_b32_e32 v18, 0
	ds_read_b128 v[18:21], v18
	s_waitcnt lgkmcnt(0)
	v_mul_f64 v[22:23], v[13:14], v[20:21]
	v_mul_f64 v[20:21], v[11:12], v[20:21]
	v_fma_f64 v[11:12], v[11:12], v[18:19], -v[22:23]
	v_fma_f64 v[13:14], v[13:14], v[18:19], v[20:21]
	v_xor_b32_e32 v19, 0x80000000, v12
	v_xor_b32_e32 v21, 0x80000000, v14
	v_mov_b32_e32 v18, v11
	v_mov_b32_e32 v20, v13
	ds_write_b128 v17, v[18:21]
.LBB77_484:
	s_or_b64 exec, exec, s[8:9]
	s_waitcnt lgkmcnt(0)
	s_barrier
	s_barrier
	s_and_saveexec_b64 s[8:9], s[2:3]
; %bb.485:
	v_lshlrev_b32_e32 v15, 4, v15
	v_lshl_or_b32 v15, v16, 9, v15
	ds_write_b128 v15, v[11:14] offset:1024
; %bb.486:
	s_or_b64 exec, exec, s[8:9]
	s_waitcnt lgkmcnt(0)
	s_barrier
	s_barrier
	s_and_saveexec_b64 s[2:3], s[42:43]
	s_cbranch_execz .LBB77_488
; %bb.487:
	v_lshlrev_b32_e32 v15, 9, v0
	ds_read_b128 v[11:14], v15 offset:1024
	s_movk_i32 s8, 0xfe10
	v_mad_i32_i24 v16, v0, s8, v15
	s_waitcnt lgkmcnt(0)
	ds_write_b128 v16, v[11:14] offset:32
	ds_read_b128 v[11:14], v15 offset:1040
	s_waitcnt lgkmcnt(0)
	ds_write_b128 v16, v[11:14] offset:544
.LBB77_488:
	s_or_b64 exec, exec, s[2:3]
	s_waitcnt lgkmcnt(0)
	s_barrier
	s_and_saveexec_b64 s[2:3], vcc
	s_cbranch_execz .LBB77_490
; %bb.489:
	v_mov_b32_e32 v25, 0
	ds_read_b128 v[11:14], v25 offset:528
	ds_read_b128 v[15:18], v25
	ds_read_b128 v[19:22], v25 offset:512
	s_waitcnt lgkmcnt(1)
	v_mul_f64 v[23:24], v[11:12], v[17:18]
	v_mul_f64 v[17:18], v[13:14], v[17:18]
	v_fma_f64 v[13:14], v[13:14], v[15:16], v[23:24]
	v_fma_f64 v[11:12], v[11:12], v[15:16], -v[17:18]
	s_waitcnt lgkmcnt(0)
	v_mul_f64 v[15:16], v[13:14], v[21:22]
	v_mul_f64 v[17:18], v[11:12], v[21:22]
	v_fma_f64 v[11:12], v[19:20], v[11:12], -v[15:16]
	v_fma_f64 v[13:14], v[19:20], v[13:14], v[17:18]
	ds_write_b128 v25, v[11:14] offset:512
	ds_write_b128 v25, v[11:14] offset:16
.LBB77_490:
	s_or_b64 exec, exec, s[2:3]
.LBB77_491:
	s_load_dwordx4 s[12:15], s[4:5], 0x48
	v_cmp_le_i32_e32 vcc, s93, v0
	v_mov_b32_e32 v13, 0
	v_mov_b32_e32 v11, 0
	;; [unrolled: 1-line block ×3, first 2 shown]
	s_waitcnt lgkmcnt(0)
	s_mul_i32 s3, s13, s34
	s_mul_hi_u32 s4, s12, s34
	s_mul_i32 s2, s12, s34
	s_add_i32 s3, s4, s3
	s_lshl_b64 s[2:3], s[2:3], 4
	s_add_u32 s4, s26, s2
	s_addc_u32 s5, s27, s3
	s_lshl_b64 s[2:3], s[28:29], 4
	s_add_u32 s24, s4, s2
	s_addc_u32 s25, s5, s3
	s_and_b64 s[16:17], vcc, s[22:23]
	v_cmp_eq_u32_e64 s[2:3], 0, v2
	s_xor_b64 s[4:5], s[16:17], -1
	s_and_b64 s[8:9], s[2:3], s[4:5]
	v_mov_b32_e32 v12, 0
	v_add_u32_e32 v15, s33, v0
	s_barrier
	s_and_saveexec_b64 s[4:5], s[8:9]
	s_cbranch_execz .LBB77_493
; %bb.492:
	v_ashrrev_i32_e32 v13, 31, v15
	v_mul_lo_u32 v14, s31, v15
	v_mad_u64_u32 v[11:12], s[8:9], s30, v15, 0
	v_mul_lo_u32 v13, s30, v13
	v_add3_u32 v12, v12, v13, v14
	v_lshlrev_b64 v[11:12], 4, v[11:12]
	v_mov_b32_e32 v13, s25
	v_add_co_u32_e32 v11, vcc, s24, v11
	v_addc_co_u32_e32 v12, vcc, v13, v12, vcc
	global_load_dwordx4 v[11:14], v[11:12], off
	s_waitcnt vmcnt(0)
	v_mul_f64 v[16:17], s[36:37], v[11:12]
	v_mul_f64 v[18:19], s[36:37], v[13:14]
	v_fma_f64 v[13:14], s[38:39], v[13:14], -v[16:17]
	v_fma_f64 v[11:12], v[11:12], -s[38:39], -v[18:19]
.LBB77_493:
	s_or_b64 exec, exec, s[4:5]
	s_and_b32 s4, 0xffff, s46
	v_mad_u32_u24 v23, v2, s4, v0
	v_mov_b32_e32 v16, 0
	s_cmp_lt_i32 s6, 1
	v_cmp_eq_u32_e64 s[4:5], 0, v23
	s_cbranch_scc1 .LBB77_516
; %bb.494:
	v_mad_u64_u32 v[17:18], s[8:9], s20, v15, 0
	s_mov_b32 s26, 0
	v_cmp_gt_u32_e64 s[12:13], 32, v23
	v_mad_u64_u32 v[18:19], s[8:9], s21, v15, v[18:19]
	s_lshl_b64 s[8:9], s[34:35], 2
	s_add_u32 s18, s14, s8
	v_lshlrev_b64 v[17:18], 4, v[17:18]
	s_addc_u32 s19, s15, s9
	v_mov_b32_e32 v19, 0x6000
	v_cmp_gt_i32_e64 s[8:9], s7, v15
	v_mov_b32_e32 v15, s95
	v_add_co_u32_e32 v26, vcc, s94, v17
	v_lshl_add_u32 v24, v23, 4, v19
	v_lshl_or_b32 v25, v2, 4, v19
	s_add_i32 s27, s6, -1
	v_addc_co_u32_e32 v27, vcc, v15, v18, vcc
	v_mov_b32_e32 v28, -1
	s_branch .LBB77_497
.LBB77_495:                             ;   in Loop: Header=BB77_497 Depth=1
	ds_read_b128 v[29:32], v25 offset:256
	s_waitcnt vmcnt(0) lgkmcnt(0)
	v_mul_f64 v[17:18], v[21:22], v[31:32]
	v_mul_f64 v[31:32], v[19:20], v[31:32]
	v_fma_f64 v[17:18], v[19:20], v[29:30], -v[17:18]
	v_fma_f64 v[19:20], v[21:22], v[29:30], v[31:32]
	v_add_f64 v[13:14], v[13:14], v[17:18]
	v_add_f64 v[11:12], v[11:12], v[19:20]
.LBB77_496:                             ;   in Loop: Header=BB77_497 Depth=1
	s_or_b64 exec, exec, s[20:21]
	s_add_i32 s26, s26, 1
	s_cmp_eq_u32 s26, s6
	s_cbranch_scc1 .LBB77_516
.LBB77_497:                             ; =>This Loop Header: Depth=1
                                        ;     Child Loop BB77_499 Depth 2
	v_cmp_gt_i32_e32 vcc, s26, v28
	s_and_b64 s[20:21], s[4:5], vcc
	s_and_saveexec_b64 s[10:11], s[20:21]
	s_cbranch_execz .LBB77_500
; %bb.498:                              ;   in Loop: Header=BB77_497 Depth=1
	global_load_dword v28, v16, s[18:19]
	s_waitcnt vmcnt(0)
	v_cmp_le_i32_e32 vcc, s26, v28
	s_cbranch_vccnz .LBB77_500
.LBB77_499:                             ;   Parent Loop BB77_497 Depth=1
                                        ; =>  This Inner Loop Header: Depth=2
	buffer_wbinvl1_vol
	global_load_dword v28, v16, s[18:19]
	s_waitcnt vmcnt(0)
	v_cmp_gt_i32_e32 vcc, s26, v28
	s_cbranch_vccnz .LBB77_499
.LBB77_500:                             ;   in Loop: Header=BB77_497 Depth=1
	s_or_b64 exec, exec, s[10:11]
	s_lshl_b32 s28, s26, 5
	buffer_wbinvl1_vol
	s_barrier
	s_and_saveexec_b64 s[10:11], s[12:13]
	s_cbranch_execz .LBB77_505
; %bb.501:                              ;   in Loop: Header=BB77_497 Depth=1
	v_or_b32_e32 v15, s28, v23
	v_cmp_le_i32_e32 vcc, s7, v15
	s_and_saveexec_b64 s[20:21], vcc
	s_xor_b64 s[20:21], exec, s[20:21]
; %bb.502:                              ;   in Loop: Header=BB77_497 Depth=1
	v_mov_b32_e32 v15, v16
	v_mov_b32_e32 v17, v16
	;; [unrolled: 1-line block ×3, first 2 shown]
	ds_write_b128 v24, v[15:18]
                                        ; implicit-def: $vgpr15
; %bb.503:                              ;   in Loop: Header=BB77_497 Depth=1
	s_andn2_saveexec_b64 s[20:21], s[20:21]
	s_cbranch_execz .LBB77_505
; %bb.504:                              ;   in Loop: Header=BB77_497 Depth=1
	v_mad_u64_u32 v[17:18], s[20:21], s30, v15, 0
	v_mad_u64_u32 v[18:19], s[20:21], s31, v15, v[18:19]
	v_mov_b32_e32 v15, s25
	v_lshlrev_b64 v[17:18], 4, v[17:18]
	v_add_co_u32_e32 v17, vcc, s24, v17
	v_addc_co_u32_e32 v18, vcc, v15, v18, vcc
	global_load_dwordx4 v[17:20], v[17:18], off
	s_waitcnt vmcnt(0)
	ds_write2_b64 v24, v[17:18], v[19:20] offset1:1
.LBB77_505:                             ;   in Loop: Header=BB77_497 Depth=1
	s_or_b64 exec, exec, s[10:11]
	v_add_u32_e32 v15, s28, v2
	v_lshlrev_b64 v[17:18], 4, v[15:16]
	s_cmp_lg_u32 s26, s27
	v_add_co_u32_e32 v17, vcc, v26, v17
	s_cselect_b64 s[10:11], -1, 0
	v_addc_co_u32_e32 v18, vcc, v27, v18, vcc
	v_cmp_gt_i32_e32 vcc, s7, v15
	v_cndmask_b32_e64 v19, 0, 1, s[10:11]
	s_and_b64 s[28:29], vcc, s[8:9]
	v_cmp_ne_u32_e64 s[10:11], 1, v19
	s_waitcnt lgkmcnt(0)
	s_barrier
	s_and_saveexec_b64 s[20:21], s[28:29]
	s_cbranch_execz .LBB77_511
; %bb.506:                              ;   in Loop: Header=BB77_497 Depth=1
	v_mov_b32_e32 v20, v8
	s_and_b64 vcc, exec, s[10:11]
	v_mov_b32_e32 v19, v7
	s_cbranch_vccnz .LBB77_508
; %bb.507:                              ;   in Loop: Header=BB77_497 Depth=1
	global_load_dwordx2 v[19:20], v[17:18], off
.LBB77_508:                             ;   in Loop: Header=BB77_497 Depth=1
	v_mov_b32_e32 v22, v10
	s_and_b64 vcc, exec, s[10:11]
	v_mov_b32_e32 v21, v9
	s_cbranch_vccnz .LBB77_510
; %bb.509:                              ;   in Loop: Header=BB77_497 Depth=1
	global_load_dwordx2 v[21:22], v[17:18], off offset:8
.LBB77_510:                             ;   in Loop: Header=BB77_497 Depth=1
	ds_read_b128 v[29:32], v25
	s_waitcnt vmcnt(0) lgkmcnt(0)
	v_mul_f64 v[33:34], v[21:22], v[31:32]
	v_mul_f64 v[31:32], v[19:20], v[31:32]
	v_fma_f64 v[19:20], v[19:20], v[29:30], -v[33:34]
	v_fma_f64 v[21:22], v[21:22], v[29:30], v[31:32]
	v_add_f64 v[13:14], v[13:14], v[19:20]
	v_add_f64 v[11:12], v[11:12], v[21:22]
.LBB77_511:                             ;   in Loop: Header=BB77_497 Depth=1
	s_or_b64 exec, exec, s[20:21]
	v_add_u32_e32 v15, 16, v15
	v_cmp_gt_i32_e32 vcc, s7, v15
	s_and_b64 s[28:29], vcc, s[8:9]
	s_and_saveexec_b64 s[20:21], s[28:29]
	s_cbranch_execz .LBB77_496
; %bb.512:                              ;   in Loop: Header=BB77_497 Depth=1
	v_mov_b32_e32 v20, v4
	s_and_b64 vcc, exec, s[10:11]
	v_mov_b32_e32 v19, v3
	s_cbranch_vccnz .LBB77_514
; %bb.513:                              ;   in Loop: Header=BB77_497 Depth=1
	global_load_dwordx2 v[19:20], v[17:18], off offset:256
.LBB77_514:                             ;   in Loop: Header=BB77_497 Depth=1
	v_mov_b32_e32 v22, v6
	s_and_b64 vcc, exec, s[10:11]
	v_mov_b32_e32 v21, v5
	s_cbranch_vccnz .LBB77_495
; %bb.515:                              ;   in Loop: Header=BB77_497 Depth=1
	global_load_dwordx2 v[21:22], v[17:18], off offset:264
	s_branch .LBB77_495
.LBB77_516:
	s_xor_b64 s[4:5], s[22:23], -1
	v_lshlrev_b32_e32 v1, 4, v1
	v_mov_b32_e32 v15, v11
	v_mov_b32_e32 v16, v12
	ds_write_b128 v1, v[13:16] offset:16384
	s_waitcnt lgkmcnt(0)
	s_barrier
	s_and_saveexec_b64 s[6:7], s[2:3]
	s_cbranch_execz .LBB77_518
; %bb.517:
	v_lshlrev_b32_e32 v15, 4, v0
	ds_read_b128 v[3:6], v15 offset:16896
	ds_read_b128 v[7:10], v15 offset:17408
	s_waitcnt lgkmcnt(1)
	v_add_f64 v[3:4], v[13:14], v[3:4]
	v_add_f64 v[5:6], v[11:12], v[5:6]
	s_waitcnt lgkmcnt(0)
	v_add_f64 v[11:12], v[3:4], v[7:8]
	v_add_f64 v[13:14], v[5:6], v[9:10]
	ds_read_b128 v[3:6], v15 offset:17920
	ds_read_b128 v[7:10], v15 offset:18432
	s_waitcnt lgkmcnt(1)
	v_add_f64 v[3:4], v[11:12], v[3:4]
	v_add_f64 v[5:6], v[13:14], v[5:6]
	s_waitcnt lgkmcnt(0)
	v_add_f64 v[11:12], v[3:4], v[7:8]
	v_add_f64 v[13:14], v[5:6], v[9:10]
	;; [unrolled: 8-line block ×7, first 2 shown]
	ds_read_b128 v[3:6], v15 offset:24064
	s_waitcnt lgkmcnt(0)
	v_add_f64 v[3:4], v[7:8], v[3:4]
	v_add_f64 v[5:6], v[9:10], v[5:6]
	v_xor_b32_e32 v4, 0x80000000, v4
	v_xor_b32_e32 v6, 0x80000000, v6
	v_cndmask_b32_e64 v13, v3, 0, s[16:17]
	v_cndmask_b32_e64 v14, v4, 0, s[16:17]
	v_cndmask_b32_e64 v12, v6, 0, s[16:17]
	v_cndmask_b32_e64 v11, v5, 0, s[16:17]
.LBB77_518:
	s_or_b64 exec, exec, s[6:7]
	s_and_b64 vcc, exec, s[0:1]
	s_cbranch_vccnz .LBB77_527
; %bb.519:
	v_mov_b32_e32 v3, 0x6000
	v_lshl_or_b32 v7, v2, 4, v3
	s_and_saveexec_b64 s[0:1], s[2:3]
; %bb.520:
	v_lshl_add_u32 v3, v0, 4, v7
	v_mov_b32_e32 v15, v11
	v_mov_b32_e32 v16, v12
	ds_write_b128 v3, v[13:16]
; %bb.521:
	s_or_b64 exec, exec, s[0:1]
	v_mov_b32_e32 v3, 0
	v_mov_b32_e32 v5, 0
	;; [unrolled: 1-line block ×4, first 2 shown]
	v_cmp_le_u32_e32 vcc, v2, v0
	s_waitcnt lgkmcnt(0)
	s_barrier
	s_and_saveexec_b64 s[0:1], vcc
	s_cbranch_execz .LBB77_523
; %bb.522:
	ds_read_b128 v[3:6], v7
	ds_read_b128 v[15:18], v1
	s_waitcnt lgkmcnt(0)
	v_mul_f64 v[8:9], v[5:6], v[17:18]
	v_mul_f64 v[17:18], v[3:4], v[17:18]
	v_fma_f64 v[3:4], v[3:4], v[15:16], -v[8:9]
	v_fma_f64 v[5:6], v[5:6], v[15:16], v[17:18]
	v_add_f64 v[3:4], v[3:4], 0
	v_add_f64 v[5:6], v[5:6], 0
.LBB77_523:
	s_or_b64 exec, exec, s[0:1]
	v_add_u32_e32 v2, 16, v2
	v_add_u32_e32 v8, 0x4000, v1
	v_cmp_ge_u32_e32 vcc, v0, v2
	s_and_saveexec_b64 s[0:1], vcc
	s_cbranch_execz .LBB77_525
; %bb.524:
	ds_read_b128 v[15:18], v7 offset:256
	ds_read_b128 v[19:22], v1 offset:8192
	s_waitcnt lgkmcnt(0)
	v_mul_f64 v[1:2], v[17:18], v[21:22]
	v_mul_f64 v[9:10], v[15:16], v[21:22]
	v_fma_f64 v[1:2], v[15:16], v[19:20], -v[1:2]
	v_fma_f64 v[9:10], v[17:18], v[19:20], v[9:10]
	v_add_f64 v[3:4], v[3:4], v[1:2]
	v_add_f64 v[5:6], v[5:6], v[9:10]
.LBB77_525:
	s_or_b64 exec, exec, s[0:1]
	s_mov_b64 s[6:7], 0
	s_mov_b64 s[0:1], 0
	ds_write_b128 v8, v[3:6]
	s_waitcnt lgkmcnt(0)
	s_barrier
                                        ; implicit-def: $vgpr7_vgpr8
                                        ; implicit-def: $vgpr9_vgpr10
                                        ; implicit-def: $vgpr1_vgpr2
	s_and_saveexec_b64 s[8:9], s[2:3]
	s_cbranch_execz .LBB77_540
; %bb.526:
	v_lshlrev_b32_e32 v19, 4, v0
	ds_read_b128 v[7:10], v19 offset:16896
	ds_read_b128 v[15:18], v19 offset:17408
	s_mov_b64 s[0:1], exec
	s_waitcnt lgkmcnt(1)
	v_add_f64 v[1:2], v[3:4], v[7:8]
	v_add_f64 v[3:4], v[5:6], v[9:10]
	s_waitcnt lgkmcnt(0)
	v_add_f64 v[9:10], v[1:2], v[15:16]
	v_add_f64 v[15:16], v[3:4], v[17:18]
	ds_read_b128 v[1:4], v19 offset:17920
	ds_read_b128 v[5:8], v19 offset:18432
	s_waitcnt lgkmcnt(1)
	v_add_f64 v[1:2], v[9:10], v[1:2]
	v_add_f64 v[3:4], v[15:16], v[3:4]
	s_waitcnt lgkmcnt(0)
	v_add_f64 v[9:10], v[1:2], v[5:6]
	v_add_f64 v[15:16], v[3:4], v[7:8]
	ds_read_b128 v[1:4], v19 offset:18944
	ds_read_b128 v[5:8], v19 offset:19456
	;; [unrolled: 8-line block ×6, first 2 shown]
	s_waitcnt lgkmcnt(1)
	v_add_f64 v[1:2], v[9:10], v[1:2]
	v_add_f64 v[3:4], v[15:16], v[3:4]
	v_add_u32_e32 v15, s33, v23
	s_waitcnt lgkmcnt(0)
	v_add_f64 v[9:10], v[1:2], v[5:6]
	v_add_f64 v[7:8], v[3:4], v[7:8]
	ds_read_b128 v[3:6], v19 offset:24064
	v_mad_u64_u32 v[1:2], s[10:11], s30, v15, 0
	s_waitcnt lgkmcnt(0)
	v_add_f64 v[9:10], v[9:10], v[3:4]
	v_add_f64 v[7:8], v[7:8], v[5:6]
	v_mad_u64_u32 v[2:3], s[10:11], s31, v15, v[2:3]
	s_or_b64 exec, exec, s[8:9]
	s_and_b64 vcc, exec, s[6:7]
	s_cbranch_vccnz .LBB77_528
	s_branch .LBB77_541
.LBB77_527:
	s_mov_b64 s[0:1], 0
                                        ; implicit-def: $vgpr7_vgpr8
                                        ; implicit-def: $vgpr9_vgpr10
                                        ; implicit-def: $vgpr1_vgpr2
	s_cbranch_execz .LBB77_541
.LBB77_528:
	v_mul_u32_u24_e32 v1, 0x210, v0
	v_lshlrev_b32_e32 v2, 9, v0
	v_sub_u32_e32 v2, v1, v2
	s_mov_b32 s8, 0
	v_mov_b32_e32 v3, 0
	v_mov_b32_e32 v4, v0
	s_branch .LBB77_530
.LBB77_529:                             ;   in Loop: Header=BB77_530 Depth=1
	s_or_b64 exec, exec, s[6:7]
	s_add_i32 s8, s8, 2
	v_add_u32_e32 v2, 0x400, v2
	s_cmp_lg_u32 s8, 32
	v_add_u32_e32 v4, -2, v4
	s_barrier
	s_cbranch_scc0 .LBB77_538
.LBB77_530:                             ; =>This Inner Loop Header: Depth=1
	v_cmp_eq_u32_e32 vcc, 0, v4
	s_and_b64 s[10:11], s[2:3], vcc
	s_and_saveexec_b64 s[6:7], s[10:11]
	s_cbranch_execz .LBB77_532
; %bb.531:                              ;   in Loop: Header=BB77_530 Depth=1
	ds_read_b128 v[5:8], v1
	s_waitcnt lgkmcnt(0)
	v_mul_f64 v[9:10], v[11:12], v[7:8]
	v_mul_f64 v[7:8], v[13:14], v[7:8]
	v_fma_f64 v[9:10], v[13:14], v[5:6], -v[9:10]
	v_fma_f64 v[11:12], v[11:12], v[5:6], v[7:8]
	v_mov_b32_e32 v14, v10
	v_mov_b32_e32 v13, v9
	ds_write_b128 v3, v[9:12] offset:25088
.LBB77_532:                             ;   in Loop: Header=BB77_530 Depth=1
	s_or_b64 exec, exec, s[6:7]
	v_cmp_lt_u32_e32 vcc, s8, v0
	s_and_b64 s[10:11], s[2:3], vcc
	s_waitcnt lgkmcnt(0)
	s_barrier
	s_and_saveexec_b64 s[6:7], s[10:11]
	s_cbranch_execz .LBB77_534
; %bb.533:                              ;   in Loop: Header=BB77_530 Depth=1
	ds_read_b128 v[5:8], v3 offset:25088
	ds_read_b128 v[15:18], v2
	s_waitcnt lgkmcnt(0)
	v_mul_f64 v[9:10], v[7:8], v[17:18]
	v_mul_f64 v[17:18], v[5:6], v[17:18]
	v_fma_f64 v[5:6], v[5:6], v[15:16], -v[9:10]
	v_fma_f64 v[7:8], v[7:8], v[15:16], v[17:18]
	v_add_f64 v[13:14], v[13:14], v[5:6]
	v_add_f64 v[11:12], v[11:12], v[7:8]
.LBB77_534:                             ;   in Loop: Header=BB77_530 Depth=1
	s_or_b64 exec, exec, s[6:7]
	s_or_b32 s9, s8, 1
	v_cmp_eq_u32_e32 vcc, s9, v0
	s_and_b64 s[10:11], s[2:3], vcc
	s_barrier
	s_and_saveexec_b64 s[6:7], s[10:11]
	s_cbranch_execz .LBB77_536
; %bb.535:                              ;   in Loop: Header=BB77_530 Depth=1
	ds_read_b128 v[5:8], v1
	s_waitcnt lgkmcnt(0)
	v_mul_f64 v[9:10], v[11:12], v[7:8]
	v_mul_f64 v[7:8], v[13:14], v[7:8]
	v_fma_f64 v[9:10], v[13:14], v[5:6], -v[9:10]
	v_fma_f64 v[11:12], v[11:12], v[5:6], v[7:8]
	v_mov_b32_e32 v14, v10
	v_mov_b32_e32 v13, v9
	ds_write_b128 v3, v[9:12] offset:25088
.LBB77_536:                             ;   in Loop: Header=BB77_530 Depth=1
	s_or_b64 exec, exec, s[6:7]
	v_cmp_lt_u32_e32 vcc, s9, v0
	s_and_b64 s[10:11], s[2:3], vcc
	s_waitcnt lgkmcnt(0)
	s_barrier
	s_and_saveexec_b64 s[6:7], s[10:11]
	s_cbranch_execz .LBB77_529
; %bb.537:                              ;   in Loop: Header=BB77_530 Depth=1
	ds_read_b128 v[5:8], v3 offset:25088
	ds_read_b128 v[15:18], v2 offset:512
	s_waitcnt lgkmcnt(0)
	v_mul_f64 v[9:10], v[7:8], v[17:18]
	v_mul_f64 v[17:18], v[5:6], v[17:18]
	v_fma_f64 v[5:6], v[5:6], v[15:16], -v[9:10]
	v_fma_f64 v[7:8], v[7:8], v[15:16], v[17:18]
	v_add_f64 v[13:14], v[13:14], v[5:6]
	v_add_f64 v[11:12], v[11:12], v[7:8]
	s_branch .LBB77_529
.LBB77_538:
	s_and_b64 vcc, exec, s[4:5]
	s_cbranch_vccz .LBB77_542
; %bb.539:
	s_and_b64 s[4:5], s[2:3], exec
	s_cbranch_execz .LBB77_543
	s_branch .LBB77_544
.LBB77_540:
	s_or_b64 exec, exec, s[8:9]
	s_and_b64 vcc, exec, s[6:7]
	s_cbranch_vccnz .LBB77_528
.LBB77_541:
	v_mov_b32_e32 v12, v8
	v_mov_b32_e32 v14, v10
	;; [unrolled: 1-line block ×4, first 2 shown]
	s_and_saveexec_b64 s[2:3], s[0:1]
	s_cbranch_execnz .LBB77_547
	s_branch .LBB77_548
.LBB77_542:
	s_mov_b64 s[4:5], 0
.LBB77_543:
	v_cmp_gt_i32_e32 vcc, s93, v0
	s_and_b64 s[2:3], s[2:3], vcc
	s_andn2_b64 s[4:5], s[4:5], exec
	s_and_b64 s[2:3], s[2:3], exec
	s_or_b64 s[4:5], s[4:5], s[2:3]
.LBB77_544:
                                        ; implicit-def: $vgpr1_vgpr2
	s_and_saveexec_b64 s[2:3], s[4:5]
	s_cbranch_execz .LBB77_546
; %bb.545:
	v_mov_b32_e32 v0, s92
	v_add_co_u32_e32 v1, vcc, s33, v23
	v_addc_co_u32_e32 v0, vcc, 0, v0, vcc
	v_mul_lo_u32 v0, v0, s30
	v_mul_lo_u32 v3, v1, s31
	v_mad_u64_u32 v[1:2], s[4:5], v1, s30, 0
	s_or_b64 s[0:1], s[0:1], exec
	v_add3_u32 v2, v2, v3, v0
.LBB77_546:
	s_or_b64 exec, exec, s[2:3]
	s_and_saveexec_b64 s[2:3], s[0:1]
	s_cbranch_execz .LBB77_548
.LBB77_547:
	v_lshlrev_b64 v[0:1], 4, v[1:2]
	v_mov_b32_e32 v2, s25
	v_add_co_u32_e32 v0, vcc, s24, v0
	v_addc_co_u32_e32 v1, vcc, v2, v1, vcc
	v_mov_b32_e32 v15, v11
	v_mov_b32_e32 v16, v12
	global_store_dwordx4 v[0:1], v[13:16], off
.LBB77_548:
	s_or_b64 exec, exec, s[2:3]
	v_cmp_eq_u32_e32 vcc, 0, v23
	s_waitcnt vmcnt(0)
	buffer_wbinvl1_vol
	s_barrier
	s_and_saveexec_b64 s[0:1], vcc
	s_cbranch_execz .LBB77_550
; %bb.549:
	s_lshl_b64 s[2:3], s[34:35], 2
	s_add_u32 s2, s14, s2
	s_addc_u32 s3, s15, s3
	v_mov_b32_e32 v0, 0
	global_load_dword v1, v0, s[2:3]
	s_waitcnt vmcnt(0)
	v_add_u32_e32 v1, 1, v1
	global_store_dword v0, v1, s[2:3]
.LBB77_550:
	s_or_b64 exec, exec, s[0:1]
	s_waitcnt vmcnt(0)
	buffer_wbinvl1_vol
	s_endpgm
.LBB77_551:
	ds_read_b128 v[24:27], v23 offset:14800
	ds_read_b128 v[28:31], v22 offset:15232
	s_waitcnt lgkmcnt(0)
	v_mul_f64 v[32:33], v[26:27], v[30:31]
	v_mul_f64 v[30:31], v[24:25], v[30:31]
	v_fma_f64 v[24:25], v[24:25], v[28:29], -v[32:33]
	v_fma_f64 v[26:27], v[26:27], v[28:29], v[30:31]
	v_add_f64 v[11:12], v[11:12], v[24:25]
	v_add_f64 v[13:14], v[13:14], v[26:27]
	s_or_b64 exec, exec, s[18:19]
	v_cmp_gt_u32_e64 s[12:13], 8, v18
	s_and_saveexec_b64 s[18:19], s[12:13]
	s_cbranch_execz .LBB77_89
.LBB77_552:
	ds_read_b128 v[23:26], v23 offset:14816
	ds_read_b128 v[27:30], v22 offset:15744
	s_waitcnt lgkmcnt(0)
	v_mul_f64 v[31:32], v[25:26], v[29:30]
	v_mul_f64 v[29:30], v[23:24], v[29:30]
	v_fma_f64 v[22:23], v[23:24], v[27:28], -v[31:32]
	v_fma_f64 v[24:25], v[25:26], v[27:28], v[29:30]
	v_add_f64 v[11:12], v[11:12], v[22:23]
	v_add_f64 v[13:14], v[13:14], v[24:25]
	s_or_b64 exec, exec, s[18:19]
	v_cmp_gt_u32_e64 s[12:13], 4, v18
	s_and_saveexec_b64 s[18:19], s[12:13]
	s_cbranch_execnz .LBB77_90
	s_branch .LBB77_91
.LBB77_553:
	ds_read_b128 v[27:30], v26 offset:12688
	ds_read_b128 v[31:34], v25 offset:13056
	s_waitcnt lgkmcnt(0)
	v_mul_f64 v[35:36], v[29:30], v[33:34]
	v_mul_f64 v[33:34], v[27:28], v[33:34]
	v_fma_f64 v[27:28], v[27:28], v[31:32], -v[35:36]
	v_fma_f64 v[29:30], v[29:30], v[31:32], v[33:34]
	v_add_f64 v[11:12], v[11:12], v[27:28]
	v_add_f64 v[13:14], v[13:14], v[29:30]
	s_or_b64 exec, exec, s[58:59]
	v_cmp_gt_u32_e64 s[14:15], 48, v18
	s_and_saveexec_b64 s[58:59], s[14:15]
	s_cbranch_execz .LBB77_131
.LBB77_554:
	ds_read_b128 v[27:30], v26 offset:12704
	ds_read_b128 v[31:34], v25 offset:13568
	s_waitcnt lgkmcnt(0)
	v_mul_f64 v[35:36], v[29:30], v[33:34]
	v_mul_f64 v[33:34], v[27:28], v[33:34]
	v_fma_f64 v[27:28], v[27:28], v[31:32], -v[35:36]
	v_fma_f64 v[29:30], v[29:30], v[31:32], v[33:34]
	v_add_f64 v[11:12], v[11:12], v[27:28]
	v_add_f64 v[13:14], v[13:14], v[29:30]
	s_or_b64 exec, exec, s[58:59]
	v_cmp_gt_u32_e64 s[14:15], 40, v18
	s_and_saveexec_b64 s[58:59], s[14:15]
	s_cbranch_execz .LBB77_132
.LBB77_555:
	ds_read_b128 v[27:30], v26 offset:12720
	ds_read_b128 v[31:34], v25 offset:14080
	s_waitcnt lgkmcnt(0)
	v_mul_f64 v[35:36], v[29:30], v[33:34]
	v_mul_f64 v[33:34], v[27:28], v[33:34]
	v_fma_f64 v[27:28], v[27:28], v[31:32], -v[35:36]
	v_fma_f64 v[29:30], v[29:30], v[31:32], v[33:34]
	v_add_f64 v[11:12], v[11:12], v[27:28]
	v_add_f64 v[13:14], v[13:14], v[29:30]
	s_or_b64 exec, exec, s[58:59]
	v_cmp_gt_u32_e64 s[14:15], 32, v18
	s_and_saveexec_b64 s[58:59], s[14:15]
	s_cbranch_execz .LBB77_133
.LBB77_556:
	ds_read_b128 v[27:30], v26 offset:12736
	ds_read_b128 v[31:34], v25 offset:14592
	s_waitcnt lgkmcnt(0)
	v_mul_f64 v[35:36], v[29:30], v[33:34]
	v_mul_f64 v[33:34], v[27:28], v[33:34]
	v_fma_f64 v[27:28], v[27:28], v[31:32], -v[35:36]
	v_fma_f64 v[29:30], v[29:30], v[31:32], v[33:34]
	v_add_f64 v[11:12], v[11:12], v[27:28]
	v_add_f64 v[13:14], v[13:14], v[29:30]
	s_or_b64 exec, exec, s[58:59]
	v_cmp_gt_u32_e64 s[14:15], 24, v18
	s_and_saveexec_b64 s[58:59], s[14:15]
	s_cbranch_execz .LBB77_134
.LBB77_557:
	ds_read_b128 v[27:30], v26 offset:12752
	ds_read_b128 v[31:34], v25 offset:15104
	s_waitcnt lgkmcnt(0)
	v_mul_f64 v[35:36], v[29:30], v[33:34]
	v_mul_f64 v[33:34], v[27:28], v[33:34]
	v_fma_f64 v[27:28], v[27:28], v[31:32], -v[35:36]
	v_fma_f64 v[29:30], v[29:30], v[31:32], v[33:34]
	v_add_f64 v[11:12], v[11:12], v[27:28]
	v_add_f64 v[13:14], v[13:14], v[29:30]
	s_or_b64 exec, exec, s[58:59]
	s_and_saveexec_b64 s[14:15], s[16:17]
	s_cbranch_execz .LBB77_135
.LBB77_558:
	ds_read_b128 v[26:29], v26 offset:12768
	ds_read_b128 v[30:33], v25 offset:15616
	s_waitcnt lgkmcnt(0)
	v_mul_f64 v[34:35], v[28:29], v[32:33]
	v_mul_f64 v[32:33], v[26:27], v[32:33]
	v_fma_f64 v[25:26], v[26:27], v[30:31], -v[34:35]
	v_fma_f64 v[27:28], v[28:29], v[30:31], v[32:33]
	v_add_f64 v[11:12], v[11:12], v[25:26]
	v_add_f64 v[13:14], v[13:14], v[27:28]
	s_or_b64 exec, exec, s[14:15]
	v_cmp_gt_u32_e64 s[14:15], 8, v18
	s_and_saveexec_b64 s[58:59], s[14:15]
	s_cbranch_execnz .LBB77_136
	s_branch .LBB77_137
.LBB77_559:
	ds_read_b128 v[27:30], v26 offset:10576
	ds_read_b128 v[31:34], v25 offset:11008
	s_waitcnt lgkmcnt(0)
	v_mul_f64 v[35:36], v[29:30], v[33:34]
	v_mul_f64 v[33:34], v[27:28], v[33:34]
	v_fma_f64 v[27:28], v[27:28], v[31:32], -v[35:36]
	v_fma_f64 v[29:30], v[29:30], v[31:32], v[33:34]
	v_add_f64 v[11:12], v[11:12], v[27:28]
	v_add_f64 v[13:14], v[13:14], v[29:30]
	s_or_b64 exec, exec, s[18:19]
	v_cmp_gt_u32_e64 s[12:13], 8, v18
	s_and_saveexec_b64 s[18:19], s[12:13]
	s_cbranch_execz .LBB77_193
.LBB77_560:
	ds_read_b128 v[26:29], v26 offset:10592
	ds_read_b128 v[30:33], v25 offset:11520
	s_waitcnt lgkmcnt(0)
	v_mul_f64 v[34:35], v[28:29], v[32:33]
	v_mul_f64 v[32:33], v[26:27], v[32:33]
	v_fma_f64 v[25:26], v[26:27], v[30:31], -v[34:35]
	v_fma_f64 v[27:28], v[28:29], v[30:31], v[32:33]
	v_add_f64 v[11:12], v[11:12], v[25:26]
	v_add_f64 v[13:14], v[13:14], v[27:28]
	s_or_b64 exec, exec, s[18:19]
	v_cmp_gt_u32_e64 s[12:13], 4, v18
	s_and_saveexec_b64 s[18:19], s[12:13]
	s_cbranch_execnz .LBB77_194
	s_branch .LBB77_195
.LBB77_561:
	ds_read_b128 v[30:33], v29 offset:8624
	ds_read_b128 v[34:37], v28 offset:13824
	s_waitcnt lgkmcnt(0)
	v_mul_f64 v[38:39], v[32:33], v[36:37]
	v_mul_f64 v[36:37], v[30:31], v[36:37]
	v_fma_f64 v[30:31], v[30:31], v[34:35], -v[38:39]
	v_fma_f64 v[32:33], v[32:33], v[34:35], v[36:37]
	v_add_f64 v[11:12], v[11:12], v[30:31]
	v_add_f64 v[13:14], v[13:14], v[32:33]
	s_or_b64 exec, exec, s[90:91]
	s_and_saveexec_b64 s[18:19], s[8:9]
	s_cbranch_execz .LBB77_255
.LBB77_562:
	ds_read_b128 v[30:33], v29 offset:8640
	ds_read_b128 v[34:37], v28 offset:14336
	s_waitcnt lgkmcnt(0)
	v_mul_f64 v[38:39], v[32:33], v[36:37]
	v_mul_f64 v[36:37], v[30:31], v[36:37]
	v_fma_f64 v[30:31], v[30:31], v[34:35], -v[38:39]
	v_fma_f64 v[32:33], v[32:33], v[34:35], v[36:37]
	v_add_f64 v[11:12], v[11:12], v[30:31]
	v_add_f64 v[13:14], v[13:14], v[32:33]
	s_or_b64 exec, exec, s[18:19]
	v_cmp_gt_u32_e64 s[18:19], 48, v18
	s_and_saveexec_b64 s[90:91], s[18:19]
	s_cbranch_execz .LBB77_256
.LBB77_563:
	ds_read_b128 v[30:33], v29 offset:8656
	ds_read_b128 v[34:37], v28 offset:14848
	s_waitcnt lgkmcnt(0)
	v_mul_f64 v[38:39], v[32:33], v[36:37]
	v_mul_f64 v[36:37], v[30:31], v[36:37]
	v_fma_f64 v[30:31], v[30:31], v[34:35], -v[38:39]
	v_fma_f64 v[32:33], v[32:33], v[34:35], v[36:37]
	v_add_f64 v[11:12], v[11:12], v[30:31]
	v_add_f64 v[13:14], v[13:14], v[32:33]
	s_or_b64 exec, exec, s[90:91]
	v_cmp_gt_u32_e64 s[18:19], 32, v18
	s_and_saveexec_b64 s[90:91], s[18:19]
	s_cbranch_execz .LBB77_257
.LBB77_564:
	ds_read_b128 v[29:32], v29 offset:8672
	ds_read_b128 v[33:36], v28 offset:15360
	s_waitcnt lgkmcnt(0)
	v_mul_f64 v[37:38], v[31:32], v[35:36]
	v_mul_f64 v[35:36], v[29:30], v[35:36]
	v_fma_f64 v[28:29], v[29:30], v[33:34], -v[37:38]
	v_fma_f64 v[30:31], v[31:32], v[33:34], v[35:36]
	v_add_f64 v[11:12], v[11:12], v[28:29]
	v_add_f64 v[13:14], v[13:14], v[30:31]
	s_or_b64 exec, exec, s[90:91]
	v_cmp_gt_u32_e64 s[18:19], 16, v18
	s_and_saveexec_b64 s[90:91], s[18:19]
	s_cbranch_execnz .LBB77_258
	s_branch .LBB77_259
.LBB77_565:
	ds_read_b128 v[27:30], v26 offset:6352
	ds_read_b128 v[31:34], v25 offset:6784
	s_waitcnt lgkmcnt(0)
	v_mul_f64 v[35:36], v[29:30], v[33:34]
	v_mul_f64 v[33:34], v[27:28], v[33:34]
	v_fma_f64 v[27:28], v[27:28], v[31:32], -v[35:36]
	v_fma_f64 v[29:30], v[29:30], v[31:32], v[33:34]
	v_add_f64 v[11:12], v[11:12], v[27:28]
	v_add_f64 v[13:14], v[13:14], v[29:30]
	s_or_b64 exec, exec, s[14:15]
	v_cmp_gt_u32_e64 s[10:11], 8, v18
	s_and_saveexec_b64 s[14:15], s[10:11]
	s_cbranch_execz .LBB77_347
.LBB77_566:
	ds_read_b128 v[26:29], v26 offset:6368
	ds_read_b128 v[30:33], v25 offset:7296
	s_waitcnt lgkmcnt(0)
	v_mul_f64 v[34:35], v[28:29], v[32:33]
	v_mul_f64 v[32:33], v[26:27], v[32:33]
	v_fma_f64 v[25:26], v[26:27], v[30:31], -v[34:35]
	v_fma_f64 v[27:28], v[28:29], v[30:31], v[32:33]
	v_add_f64 v[11:12], v[11:12], v[25:26]
	v_add_f64 v[13:14], v[13:14], v[27:28]
	s_or_b64 exec, exec, s[14:15]
	v_cmp_gt_u32_e64 s[10:11], 4, v18
	s_and_saveexec_b64 s[14:15], s[10:11]
	s_cbranch_execnz .LBB77_348
	s_branch .LBB77_349
.LBB77_567:
	ds_read_b128 v[27:30], v26 offset:4240
	ds_read_b128 v[31:34], v25 offset:4608
	s_waitcnt lgkmcnt(0)
	v_mul_f64 v[35:36], v[29:30], v[33:34]
	v_mul_f64 v[33:34], v[27:28], v[33:34]
	v_fma_f64 v[27:28], v[27:28], v[31:32], -v[35:36]
	v_fma_f64 v[29:30], v[29:30], v[31:32], v[33:34]
	v_add_f64 v[11:12], v[11:12], v[27:28]
	v_add_f64 v[13:14], v[13:14], v[29:30]
	s_or_b64 exec, exec, s[14:15]
	v_cmp_gt_u32_e64 s[10:11], 48, v18
	s_and_saveexec_b64 s[14:15], s[10:11]
	s_cbranch_execz .LBB77_389
.LBB77_568:
	ds_read_b128 v[27:30], v26 offset:4256
	ds_read_b128 v[31:34], v25 offset:5120
	s_waitcnt lgkmcnt(0)
	v_mul_f64 v[35:36], v[29:30], v[33:34]
	v_mul_f64 v[33:34], v[27:28], v[33:34]
	v_fma_f64 v[27:28], v[27:28], v[31:32], -v[35:36]
	v_fma_f64 v[29:30], v[29:30], v[31:32], v[33:34]
	v_add_f64 v[11:12], v[11:12], v[27:28]
	v_add_f64 v[13:14], v[13:14], v[29:30]
	s_or_b64 exec, exec, s[14:15]
	v_cmp_gt_u32_e64 s[10:11], 40, v18
	s_and_saveexec_b64 s[14:15], s[10:11]
	s_cbranch_execz .LBB77_390
.LBB77_569:
	ds_read_b128 v[27:30], v26 offset:4272
	ds_read_b128 v[31:34], v25 offset:5632
	s_waitcnt lgkmcnt(0)
	v_mul_f64 v[35:36], v[29:30], v[33:34]
	v_mul_f64 v[33:34], v[27:28], v[33:34]
	v_fma_f64 v[27:28], v[27:28], v[31:32], -v[35:36]
	v_fma_f64 v[29:30], v[29:30], v[31:32], v[33:34]
	v_add_f64 v[11:12], v[11:12], v[27:28]
	v_add_f64 v[13:14], v[13:14], v[29:30]
	s_or_b64 exec, exec, s[14:15]
	v_cmp_gt_u32_e64 s[10:11], 32, v18
	s_and_saveexec_b64 s[14:15], s[10:11]
	s_cbranch_execz .LBB77_391
.LBB77_570:
	ds_read_b128 v[27:30], v26 offset:4288
	ds_read_b128 v[31:34], v25 offset:6144
	s_waitcnt lgkmcnt(0)
	v_mul_f64 v[35:36], v[29:30], v[33:34]
	v_mul_f64 v[33:34], v[27:28], v[33:34]
	v_fma_f64 v[27:28], v[27:28], v[31:32], -v[35:36]
	v_fma_f64 v[29:30], v[29:30], v[31:32], v[33:34]
	v_add_f64 v[11:12], v[11:12], v[27:28]
	v_add_f64 v[13:14], v[13:14], v[29:30]
	s_or_b64 exec, exec, s[14:15]
	v_cmp_gt_u32_e64 s[10:11], 24, v18
	s_and_saveexec_b64 s[14:15], s[10:11]
	s_cbranch_execz .LBB77_392
.LBB77_571:
	ds_read_b128 v[27:30], v26 offset:4304
	ds_read_b128 v[31:34], v25 offset:6656
	s_waitcnt lgkmcnt(0)
	v_mul_f64 v[35:36], v[29:30], v[33:34]
	v_mul_f64 v[33:34], v[27:28], v[33:34]
	v_fma_f64 v[27:28], v[27:28], v[31:32], -v[35:36]
	v_fma_f64 v[29:30], v[29:30], v[31:32], v[33:34]
	v_add_f64 v[11:12], v[11:12], v[27:28]
	v_add_f64 v[13:14], v[13:14], v[29:30]
	s_or_b64 exec, exec, s[14:15]
	s_and_saveexec_b64 s[10:11], s[16:17]
	s_cbranch_execz .LBB77_393
.LBB77_572:
	ds_read_b128 v[26:29], v26 offset:4320
	ds_read_b128 v[30:33], v25 offset:7168
	s_waitcnt lgkmcnt(0)
	v_mul_f64 v[34:35], v[28:29], v[32:33]
	v_mul_f64 v[32:33], v[26:27], v[32:33]
	v_fma_f64 v[25:26], v[26:27], v[30:31], -v[34:35]
	v_fma_f64 v[27:28], v[28:29], v[30:31], v[32:33]
	v_add_f64 v[11:12], v[11:12], v[25:26]
	v_add_f64 v[13:14], v[13:14], v[27:28]
	s_or_b64 exec, exec, s[10:11]
	v_cmp_gt_u32_e64 s[10:11], 8, v18
	s_and_saveexec_b64 s[14:15], s[10:11]
	s_cbranch_execnz .LBB77_394
	s_branch .LBB77_395
.LBB77_573:
	ds_read_b128 v[24:27], v23 offset:2128
	ds_read_b128 v[28:31], v22 offset:2560
	s_waitcnt lgkmcnt(0)
	v_mul_f64 v[32:33], v[26:27], v[30:31]
	v_mul_f64 v[30:31], v[24:25], v[30:31]
	v_fma_f64 v[24:25], v[24:25], v[28:29], -v[32:33]
	v_fma_f64 v[26:27], v[26:27], v[28:29], v[30:31]
	v_add_f64 v[11:12], v[11:12], v[24:25]
	v_add_f64 v[13:14], v[13:14], v[26:27]
	s_or_b64 exec, exec, s[12:13]
	v_cmp_gt_u32_e64 s[8:9], 8, v18
	s_and_saveexec_b64 s[12:13], s[8:9]
	s_cbranch_execz .LBB77_451
.LBB77_574:
	ds_read_b128 v[23:26], v23 offset:2144
	ds_read_b128 v[27:30], v22 offset:3072
	s_waitcnt lgkmcnt(0)
	v_mul_f64 v[31:32], v[25:26], v[29:30]
	v_mul_f64 v[29:30], v[23:24], v[29:30]
	v_fma_f64 v[22:23], v[23:24], v[27:28], -v[31:32]
	v_fma_f64 v[24:25], v[25:26], v[27:28], v[29:30]
	v_add_f64 v[11:12], v[11:12], v[22:23]
	v_add_f64 v[13:14], v[13:14], v[24:25]
	s_or_b64 exec, exec, s[12:13]
	v_cmp_gt_u32_e64 s[8:9], 4, v18
	s_and_saveexec_b64 s[12:13], s[8:9]
	s_cbranch_execnz .LBB77_452
	s_branch .LBB77_453
	.section	.rodata,"a",@progbits
	.p2align	6, 0x0
	.amdhsa_kernel _ZL19rocblas_trsv_deviceILi32ELi16ELb0ELb1ELb0ELb0E19rocblas_complex_numIdEPKS1_S3_PS1_EviT7_lllT6_T8_lllPii
		.amdhsa_group_segment_fixed_size 25104
		.amdhsa_private_segment_fixed_size 0
		.amdhsa_kernarg_size 352
		.amdhsa_user_sgpr_count 6
		.amdhsa_user_sgpr_private_segment_buffer 1
		.amdhsa_user_sgpr_dispatch_ptr 0
		.amdhsa_user_sgpr_queue_ptr 0
		.amdhsa_user_sgpr_kernarg_segment_ptr 1
		.amdhsa_user_sgpr_dispatch_id 0
		.amdhsa_user_sgpr_flat_scratch_init 0
		.amdhsa_user_sgpr_private_segment_size 0
		.amdhsa_uses_dynamic_stack 0
		.amdhsa_system_sgpr_private_segment_wavefront_offset 0
		.amdhsa_system_sgpr_workgroup_id_x 1
		.amdhsa_system_sgpr_workgroup_id_y 0
		.amdhsa_system_sgpr_workgroup_id_z 1
		.amdhsa_system_sgpr_workgroup_info 0
		.amdhsa_system_vgpr_workitem_id 1
		.amdhsa_next_free_vgpr 49
		.amdhsa_next_free_sgpr 98
		.amdhsa_reserve_vcc 1
		.amdhsa_reserve_flat_scratch 0
		.amdhsa_float_round_mode_32 0
		.amdhsa_float_round_mode_16_64 0
		.amdhsa_float_denorm_mode_32 3
		.amdhsa_float_denorm_mode_16_64 3
		.amdhsa_dx10_clamp 1
		.amdhsa_ieee_mode 1
		.amdhsa_fp16_overflow 0
		.amdhsa_exception_fp_ieee_invalid_op 0
		.amdhsa_exception_fp_denorm_src 0
		.amdhsa_exception_fp_ieee_div_zero 0
		.amdhsa_exception_fp_ieee_overflow 0
		.amdhsa_exception_fp_ieee_underflow 0
		.amdhsa_exception_fp_ieee_inexact 0
		.amdhsa_exception_int_div_zero 0
	.end_amdhsa_kernel
	.section	.text._ZL19rocblas_trsv_deviceILi32ELi16ELb0ELb1ELb0ELb0E19rocblas_complex_numIdEPKS1_S3_PS1_EviT7_lllT6_T8_lllPii,"axG",@progbits,_ZL19rocblas_trsv_deviceILi32ELi16ELb0ELb1ELb0ELb0E19rocblas_complex_numIdEPKS1_S3_PS1_EviT7_lllT6_T8_lllPii,comdat
.Lfunc_end77:
	.size	_ZL19rocblas_trsv_deviceILi32ELi16ELb0ELb1ELb0ELb0E19rocblas_complex_numIdEPKS1_S3_PS1_EviT7_lllT6_T8_lllPii, .Lfunc_end77-_ZL19rocblas_trsv_deviceILi32ELi16ELb0ELb1ELb0ELb0E19rocblas_complex_numIdEPKS1_S3_PS1_EviT7_lllT6_T8_lllPii
                                        ; -- End function
	.set _ZL19rocblas_trsv_deviceILi32ELi16ELb0ELb1ELb0ELb0E19rocblas_complex_numIdEPKS1_S3_PS1_EviT7_lllT6_T8_lllPii.num_vgpr, 40
	.set _ZL19rocblas_trsv_deviceILi32ELi16ELb0ELb1ELb0ELb0E19rocblas_complex_numIdEPKS1_S3_PS1_EviT7_lllT6_T8_lllPii.num_agpr, 0
	.set _ZL19rocblas_trsv_deviceILi32ELi16ELb0ELb1ELb0ELb0E19rocblas_complex_numIdEPKS1_S3_PS1_EviT7_lllT6_T8_lllPii.numbered_sgpr, 96
	.set _ZL19rocblas_trsv_deviceILi32ELi16ELb0ELb1ELb0ELb0E19rocblas_complex_numIdEPKS1_S3_PS1_EviT7_lllT6_T8_lllPii.num_named_barrier, 0
	.set _ZL19rocblas_trsv_deviceILi32ELi16ELb0ELb1ELb0ELb0E19rocblas_complex_numIdEPKS1_S3_PS1_EviT7_lllT6_T8_lllPii.private_seg_size, 0
	.set _ZL19rocblas_trsv_deviceILi32ELi16ELb0ELb1ELb0ELb0E19rocblas_complex_numIdEPKS1_S3_PS1_EviT7_lllT6_T8_lllPii.uses_vcc, 1
	.set _ZL19rocblas_trsv_deviceILi32ELi16ELb0ELb1ELb0ELb0E19rocblas_complex_numIdEPKS1_S3_PS1_EviT7_lllT6_T8_lllPii.uses_flat_scratch, 0
	.set _ZL19rocblas_trsv_deviceILi32ELi16ELb0ELb1ELb0ELb0E19rocblas_complex_numIdEPKS1_S3_PS1_EviT7_lllT6_T8_lllPii.has_dyn_sized_stack, 0
	.set _ZL19rocblas_trsv_deviceILi32ELi16ELb0ELb1ELb0ELb0E19rocblas_complex_numIdEPKS1_S3_PS1_EviT7_lllT6_T8_lllPii.has_recursion, 0
	.set _ZL19rocblas_trsv_deviceILi32ELi16ELb0ELb1ELb0ELb0E19rocblas_complex_numIdEPKS1_S3_PS1_EviT7_lllT6_T8_lllPii.has_indirect_call, 0
	.section	.AMDGPU.csdata,"",@progbits
; Kernel info:
; codeLenInByte = 28928
; TotalNumSgprs: 100
; NumVgprs: 40
; ScratchSize: 0
; MemoryBound: 1
; FloatMode: 240
; IeeeMode: 1
; LDSByteSize: 25104 bytes/workgroup (compile time only)
; SGPRBlocks: 12
; VGPRBlocks: 12
; NumSGPRsForWavesPerEU: 102
; NumVGPRsForWavesPerEU: 49
; Occupancy: 4
; WaveLimiterHint : 0
; COMPUTE_PGM_RSRC2:SCRATCH_EN: 0
; COMPUTE_PGM_RSRC2:USER_SGPR: 6
; COMPUTE_PGM_RSRC2:TRAP_HANDLER: 0
; COMPUTE_PGM_RSRC2:TGID_X_EN: 1
; COMPUTE_PGM_RSRC2:TGID_Y_EN: 0
; COMPUTE_PGM_RSRC2:TGID_Z_EN: 1
; COMPUTE_PGM_RSRC2:TIDIG_COMP_CNT: 1
	.section	.text._ZL19rocblas_trsv_deviceILi32ELi16ELb0ELb1ELb1ELb0E19rocblas_complex_numIdEPKS1_S3_PS1_EviT7_lllT6_T8_lllPii,"axG",@progbits,_ZL19rocblas_trsv_deviceILi32ELi16ELb0ELb1ELb1ELb0E19rocblas_complex_numIdEPKS1_S3_PS1_EviT7_lllT6_T8_lllPii,comdat
	.globl	_ZL19rocblas_trsv_deviceILi32ELi16ELb0ELb1ELb1ELb0E19rocblas_complex_numIdEPKS1_S3_PS1_EviT7_lllT6_T8_lllPii ; -- Begin function _ZL19rocblas_trsv_deviceILi32ELi16ELb0ELb1ELb1ELb0E19rocblas_complex_numIdEPKS1_S3_PS1_EviT7_lllT6_T8_lllPii
	.p2align	8
	.type	_ZL19rocblas_trsv_deviceILi32ELi16ELb0ELb1ELb1ELb0E19rocblas_complex_numIdEPKS1_S3_PS1_EviT7_lllT6_T8_lllPii,@function
_ZL19rocblas_trsv_deviceILi32ELi16ELb0ELb1ELb1ELb0E19rocblas_complex_numIdEPKS1_S3_PS1_EviT7_lllT6_T8_lllPii: ; @_ZL19rocblas_trsv_deviceILi32ELi16ELb0ELb1ELb1ELb0E19rocblas_complex_numIdEPKS1_S3_PS1_EviT7_lllT6_T8_lllPii
; %bb.0:
	s_mov_b32 s34, s7
	s_load_dwordx16 s[16:31], s[4:5], 0x8
	s_load_dword s7, s[4:5], 0x0
	v_mov_b32_e32 v2, v1
	s_mov_b32 s35, 0
	s_waitcnt lgkmcnt(0)
	s_load_dwordx4 s[36:39], s[24:25], 0x0
	s_load_dword s46, s[4:5], 0x6c
	s_mul_i32 s0, s23, s34
	s_mul_hi_u32 s1, s22, s34
	s_add_i32 s1, s1, s0
	s_mul_i32 s0, s22, s34
	s_lshl_b64 s[0:1], s[0:1], 4
	s_add_u32 s2, s16, s0
	s_addc_u32 s3, s17, s1
	s_lshl_b64 s[0:1], s[18:19], 4
	s_add_u32 s94, s2, s0
	s_addc_u32 s95, s3, s1
	s_cmp_eq_u32 s6, 0
	s_cbranch_scc1 .LBB78_6
; %bb.1:
	s_lshl_b32 s33, s6, 5
	v_add_u32_e32 v1, s33, v0
	v_ashrrev_i32_e32 v3, 31, v1
	v_mul_lo_u32 v7, s20, v3
	v_mul_lo_u32 v8, s21, v1
	v_mad_u64_u32 v[5:6], s[0:1], s20, v1, 0
	v_add_u32_e32 v3, s33, v2
	v_subrev_u32_e32 v3, 32, v3
	v_add3_u32 v6, v6, v7, v8
	v_lshlrev_b64 v[5:6], 4, v[5:6]
	v_ashrrev_i32_e32 v4, 31, v3
	v_cmp_gt_i32_e32 vcc, s7, v1
	v_mov_b32_e32 v1, s95
	v_add_co_u32_e64 v7, s[0:1], s94, v5
	v_lshlrev_b64 v[4:5], 4, v[3:4]
	v_addc_co_u32_e64 v1, s[0:1], v1, v6, s[0:1]
	v_add_co_u32_e64 v11, s[0:1], v7, v4
	v_addc_co_u32_e64 v12, s[0:1], v1, v5, s[0:1]
	v_cmp_gt_i32_e64 s[0:1], s7, v3
	v_mov_b32_e32 v5, 0
	v_mov_b32_e32 v7, 0
	v_mov_b32_e32 v9, 0
	v_mov_b32_e32 v6, 0
	v_mov_b32_e32 v8, 0
	v_mov_b32_e32 v10, 0
	s_and_b64 s[2:3], s[0:1], vcc
	s_waitcnt lgkmcnt(0)
	s_barrier
	s_and_saveexec_b64 s[0:1], s[2:3]
	s_cbranch_execz .LBB78_3
; %bb.2:
	global_load_dwordx4 v[7:10], v[11:12], off
.LBB78_3:
	s_or_b64 exec, exec, s[0:1]
	v_add_u32_e32 v1, 16, v3
	v_cmp_gt_i32_e64 s[0:1], s7, v1
	v_mov_b32_e32 v3, 0
	v_mov_b32_e32 v4, 0
	s_and_b64 s[2:3], s[0:1], vcc
	s_waitcnt vmcnt(0)
	s_barrier
	s_and_saveexec_b64 s[0:1], s[2:3]
	s_cbranch_execz .LBB78_5
; %bb.4:
	global_load_dwordx4 v[3:6], v[11:12], off offset:256
.LBB78_5:
	s_or_b64 exec, exec, s[0:1]
	s_branch .LBB78_7
.LBB78_6:
                                        ; implicit-def: $vgpr5_vgpr6
                                        ; implicit-def: $vgpr9_vgpr10
	s_mov_b32 s33, s35
.LBB78_7:
	s_ashr_i32 s0, s7, 31
	s_lshr_b32 s0, s0, 27
	s_add_i32 s0, s7, s0
	s_andn2_b32 s0, s0, 31
	s_sub_i32 s93, s7, s0
	s_add_i32 s0, s7, -1
	s_ashr_i32 s1, s0, 31
	s_lshr_b32 s1, s1, 27
	s_add_i32 s0, s0, s1
	s_ashr_i32 s0, s0, 5
	s_cmp_eq_u32 s0, s6
	s_cselect_b64 s[0:1], -1, 0
	s_cmp_lg_u32 s93, 0
	s_cselect_b64 s[2:3], -1, 0
	s_and_b64 s[22:23], s[2:3], s[0:1]
	s_cmp_lt_i32 s6, 5
	s_cselect_b64 s[2:3], -1, 0
	s_or_b64 s[0:1], s[2:3], s[22:23]
	s_ashr_i32 s92, s33, 31
	s_add_u32 s10, s20, 1
	v_mov_b32_e32 v1, 0
	v_mov_b32_e32 v11, s33
	v_mad_u64_u32 v[19:20], s[8:9], s10, v11, v[0:1]
	s_addc_u32 s11, s21, 0
	s_mul_i32 s8, s10, s92
	s_mul_i32 s11, s11, s33
	v_lshlrev_b32_e32 v21, 5, v0
	s_add_i32 s8, s8, s11
	s_mov_b64 s[12:13], -1
	v_add_u32_e32 v20, s8, v20
	s_and_b64 vcc, exec, s[22:23]
	v_add_u32_e32 v22, v2, v21
	v_cmp_le_u32_e64 s[8:9], v2, v0
	v_lshl_add_u32 v1, v2, 5, v0
	s_cbranch_vccnz .LBB78_37
; %bb.8:
	v_mad_u64_u32 v[11:12], s[10:11], s20, v2, v[19:20]
	v_cndmask_b32_e64 v23, v1, v22, s[2:3]
	v_mad_u64_u32 v[12:13], s[10:11], s21, v2, v[12:13]
	s_and_saveexec_b64 s[2:3], s[8:9]
	s_xor_b64 s[2:3], exec, s[2:3]
	s_cbranch_execz .LBB78_20
; %bb.9:
	v_cmp_ne_u32_e32 vcc, v0, v2
	s_and_saveexec_b64 s[8:9], vcc
	s_xor_b64 s[8:9], exec, s[8:9]
	s_cbranch_execz .LBB78_13
; %bb.10:
	v_or_b32_e32 v11, v2, v0
	v_cmp_gt_u32_e32 vcc, 32, v11
	s_and_saveexec_b64 s[10:11], vcc
	s_cbranch_execz .LBB78_12
; %bb.11:
	v_mov_b32_e32 v11, 0
	v_lshlrev_b32_e32 v15, 4, v23
	v_mov_b32_e32 v12, v11
	v_mov_b32_e32 v13, v11
	;; [unrolled: 1-line block ×3, first 2 shown]
	ds_write_b128 v15, v[11:14]
.LBB78_12:
	s_or_b64 exec, exec, s[10:11]
                                        ; implicit-def: $vgpr23
                                        ; implicit-def: $vgpr11_vgpr12
.LBB78_13:
	s_andn2_saveexec_b64 s[8:9], s[8:9]
	s_cbranch_execz .LBB78_19
; %bb.14:
	v_lshlrev_b64 v[11:12], 4, v[11:12]
	v_mov_b32_e32 v13, s95
	v_add_co_u32_e32 v11, vcc, s94, v11
	v_addc_co_u32_e32 v12, vcc, v13, v12, vcc
	global_load_dwordx4 v[11:14], v[11:12], off
                                        ; implicit-def: $vgpr15_vgpr16
	s_waitcnt vmcnt(0)
	v_cmp_ngt_f64_e64 s[10:11], |v[11:12]|, |v[13:14]|
	s_and_saveexec_b64 s[12:13], s[10:11]
	s_xor_b64 s[10:11], exec, s[12:13]
	s_cbranch_execz .LBB78_16
; %bb.15:
	v_div_scale_f64 v[15:16], s[12:13], -v[13:14], -v[13:14], v[11:12]
	v_rcp_f64_e32 v[17:18], v[15:16]
	v_fma_f64 v[24:25], -v[15:16], v[17:18], 1.0
	v_fma_f64 v[17:18], v[17:18], v[24:25], v[17:18]
	v_div_scale_f64 v[24:25], vcc, v[11:12], -v[13:14], v[11:12]
	v_fma_f64 v[26:27], -v[15:16], v[17:18], 1.0
	v_fma_f64 v[17:18], v[17:18], v[26:27], v[17:18]
	v_mul_f64 v[26:27], v[24:25], v[17:18]
	v_fma_f64 v[15:16], -v[15:16], v[26:27], v[24:25]
	v_div_fmas_f64 v[15:16], v[15:16], v[17:18], v[26:27]
	v_div_fixup_f64 v[15:16], v[15:16], -v[13:14], v[11:12]
	v_fma_f64 v[11:12], v[11:12], v[15:16], -v[13:14]
	v_div_scale_f64 v[13:14], s[12:13], v[11:12], v[11:12], 1.0
	v_div_scale_f64 v[26:27], vcc, 1.0, v[11:12], 1.0
	v_rcp_f64_e32 v[17:18], v[13:14]
	v_fma_f64 v[24:25], -v[13:14], v[17:18], 1.0
	v_fma_f64 v[17:18], v[17:18], v[24:25], v[17:18]
	v_fma_f64 v[24:25], -v[13:14], v[17:18], 1.0
	v_fma_f64 v[17:18], v[17:18], v[24:25], v[17:18]
	v_mul_f64 v[24:25], v[26:27], v[17:18]
	v_fma_f64 v[13:14], -v[13:14], v[24:25], v[26:27]
	v_div_fmas_f64 v[13:14], v[13:14], v[17:18], v[24:25]
	v_div_fixup_f64 v[17:18], v[13:14], v[11:12], 1.0
                                        ; implicit-def: $vgpr11_vgpr12
	v_mul_f64 v[15:16], v[15:16], v[17:18]
	v_xor_b32_e32 v18, 0x80000000, v18
.LBB78_16:
	s_andn2_saveexec_b64 s[10:11], s[10:11]
	s_cbranch_execz .LBB78_18
; %bb.17:
	v_div_scale_f64 v[15:16], s[12:13], v[11:12], v[11:12], -v[13:14]
	v_rcp_f64_e32 v[17:18], v[15:16]
	v_fma_f64 v[24:25], -v[15:16], v[17:18], 1.0
	v_fma_f64 v[17:18], v[17:18], v[24:25], v[17:18]
	v_div_scale_f64 v[24:25], vcc, -v[13:14], v[11:12], -v[13:14]
	v_fma_f64 v[26:27], -v[15:16], v[17:18], 1.0
	v_fma_f64 v[17:18], v[17:18], v[26:27], v[17:18]
	v_mul_f64 v[26:27], v[24:25], v[17:18]
	v_fma_f64 v[15:16], -v[15:16], v[26:27], v[24:25]
	v_div_fmas_f64 v[15:16], v[15:16], v[17:18], v[26:27]
	v_div_fixup_f64 v[17:18], v[15:16], v[11:12], -v[13:14]
	v_fma_f64 v[11:12], -v[13:14], v[17:18], v[11:12]
	v_div_scale_f64 v[13:14], s[12:13], v[11:12], v[11:12], 1.0
	v_div_scale_f64 v[26:27], vcc, 1.0, v[11:12], 1.0
	v_rcp_f64_e32 v[15:16], v[13:14]
	v_fma_f64 v[24:25], -v[13:14], v[15:16], 1.0
	v_fma_f64 v[15:16], v[15:16], v[24:25], v[15:16]
	v_fma_f64 v[24:25], -v[13:14], v[15:16], 1.0
	v_fma_f64 v[15:16], v[15:16], v[24:25], v[15:16]
	v_mul_f64 v[24:25], v[26:27], v[15:16]
	v_fma_f64 v[13:14], -v[13:14], v[24:25], v[26:27]
	v_div_fmas_f64 v[13:14], v[13:14], v[15:16], v[24:25]
	v_div_fixup_f64 v[15:16], v[13:14], v[11:12], 1.0
	v_mul_f64 v[17:18], v[17:18], -v[15:16]
.LBB78_18:
	s_or_b64 exec, exec, s[10:11]
	v_lshlrev_b32_e32 v11, 4, v23
	ds_write_b128 v11, v[15:18]
.LBB78_19:
	s_or_b64 exec, exec, s[8:9]
                                        ; implicit-def: $vgpr11_vgpr12
                                        ; implicit-def: $vgpr23
.LBB78_20:
	s_andn2_saveexec_b64 s[2:3], s[2:3]
	s_cbranch_execz .LBB78_22
; %bb.21:
	v_lshlrev_b64 v[11:12], 4, v[11:12]
	v_mov_b32_e32 v13, s95
	v_add_co_u32_e32 v11, vcc, s94, v11
	v_addc_co_u32_e32 v12, vcc, v13, v12, vcc
	global_load_dwordx4 v[11:14], v[11:12], off
	v_lshlrev_b32_e32 v15, 4, v23
	s_waitcnt vmcnt(0)
	v_xor_b32_e32 v12, 0x80000000, v12
	ds_write_b128 v15, v[11:14]
.LBB78_22:
	s_or_b64 exec, exec, s[2:3]
	v_add_u32_e32 v13, 16, v2
	v_mad_u64_u32 v[11:12], s[2:3], s20, v13, v[19:20]
	v_cmp_le_u32_e32 vcc, v13, v0
	v_mad_u64_u32 v[14:15], s[2:3], s21, v13, v[12:13]
	v_add_u32_e32 v12, v13, v21
	v_lshl_add_u32 v15, v13, 5, v0
	v_cndmask_b32_e64 v23, v15, v12, s[0:1]
	v_mov_b32_e32 v12, v14
	s_and_saveexec_b64 s[2:3], vcc
	s_xor_b64 s[2:3], exec, s[2:3]
	s_cbranch_execz .LBB78_34
; %bb.23:
	v_cmp_ne_u32_e32 vcc, v0, v13
	s_and_saveexec_b64 s[8:9], vcc
	s_xor_b64 s[8:9], exec, s[8:9]
	s_cbranch_execz .LBB78_27
; %bb.24:
	v_or_b32_e32 v11, v13, v0
	v_cmp_gt_u32_e32 vcc, 32, v11
	s_and_saveexec_b64 s[10:11], vcc
	s_cbranch_execz .LBB78_26
; %bb.25:
	v_mov_b32_e32 v11, 0
	v_lshlrev_b32_e32 v15, 4, v23
	v_mov_b32_e32 v12, v11
	v_mov_b32_e32 v13, v11
	;; [unrolled: 1-line block ×3, first 2 shown]
	ds_write_b128 v15, v[11:14]
.LBB78_26:
	s_or_b64 exec, exec, s[10:11]
                                        ; implicit-def: $vgpr23
                                        ; implicit-def: $vgpr11_vgpr12
.LBB78_27:
	s_andn2_saveexec_b64 s[8:9], s[8:9]
	s_cbranch_execz .LBB78_33
; %bb.28:
	v_lshlrev_b64 v[11:12], 4, v[11:12]
	v_mov_b32_e32 v13, s95
	v_add_co_u32_e32 v11, vcc, s94, v11
	v_addc_co_u32_e32 v12, vcc, v13, v12, vcc
	global_load_dwordx4 v[11:14], v[11:12], off
                                        ; implicit-def: $vgpr15_vgpr16
	s_waitcnt vmcnt(0)
	v_cmp_ngt_f64_e64 s[10:11], |v[11:12]|, |v[13:14]|
	s_and_saveexec_b64 s[12:13], s[10:11]
	s_xor_b64 s[10:11], exec, s[12:13]
	s_cbranch_execz .LBB78_30
; %bb.29:
	v_div_scale_f64 v[15:16], s[12:13], -v[13:14], -v[13:14], v[11:12]
	v_rcp_f64_e32 v[17:18], v[15:16]
	v_fma_f64 v[24:25], -v[15:16], v[17:18], 1.0
	v_fma_f64 v[17:18], v[17:18], v[24:25], v[17:18]
	v_div_scale_f64 v[24:25], vcc, v[11:12], -v[13:14], v[11:12]
	v_fma_f64 v[26:27], -v[15:16], v[17:18], 1.0
	v_fma_f64 v[17:18], v[17:18], v[26:27], v[17:18]
	v_mul_f64 v[26:27], v[24:25], v[17:18]
	v_fma_f64 v[15:16], -v[15:16], v[26:27], v[24:25]
	v_div_fmas_f64 v[15:16], v[15:16], v[17:18], v[26:27]
	v_div_fixup_f64 v[15:16], v[15:16], -v[13:14], v[11:12]
	v_fma_f64 v[11:12], v[11:12], v[15:16], -v[13:14]
	v_div_scale_f64 v[13:14], s[12:13], v[11:12], v[11:12], 1.0
	v_div_scale_f64 v[26:27], vcc, 1.0, v[11:12], 1.0
	v_rcp_f64_e32 v[17:18], v[13:14]
	v_fma_f64 v[24:25], -v[13:14], v[17:18], 1.0
	v_fma_f64 v[17:18], v[17:18], v[24:25], v[17:18]
	v_fma_f64 v[24:25], -v[13:14], v[17:18], 1.0
	v_fma_f64 v[17:18], v[17:18], v[24:25], v[17:18]
	v_mul_f64 v[24:25], v[26:27], v[17:18]
	v_fma_f64 v[13:14], -v[13:14], v[24:25], v[26:27]
	v_div_fmas_f64 v[13:14], v[13:14], v[17:18], v[24:25]
	v_div_fixup_f64 v[17:18], v[13:14], v[11:12], 1.0
                                        ; implicit-def: $vgpr11_vgpr12
	v_mul_f64 v[15:16], v[15:16], v[17:18]
	v_xor_b32_e32 v18, 0x80000000, v18
.LBB78_30:
	s_andn2_saveexec_b64 s[10:11], s[10:11]
	s_cbranch_execz .LBB78_32
; %bb.31:
	v_div_scale_f64 v[15:16], s[12:13], v[11:12], v[11:12], -v[13:14]
	v_rcp_f64_e32 v[17:18], v[15:16]
	v_fma_f64 v[24:25], -v[15:16], v[17:18], 1.0
	v_fma_f64 v[17:18], v[17:18], v[24:25], v[17:18]
	v_div_scale_f64 v[24:25], vcc, -v[13:14], v[11:12], -v[13:14]
	v_fma_f64 v[26:27], -v[15:16], v[17:18], 1.0
	v_fma_f64 v[17:18], v[17:18], v[26:27], v[17:18]
	v_mul_f64 v[26:27], v[24:25], v[17:18]
	v_fma_f64 v[15:16], -v[15:16], v[26:27], v[24:25]
	v_div_fmas_f64 v[15:16], v[15:16], v[17:18], v[26:27]
	v_div_fixup_f64 v[17:18], v[15:16], v[11:12], -v[13:14]
	v_fma_f64 v[11:12], -v[13:14], v[17:18], v[11:12]
	v_div_scale_f64 v[13:14], s[12:13], v[11:12], v[11:12], 1.0
	v_div_scale_f64 v[26:27], vcc, 1.0, v[11:12], 1.0
	v_rcp_f64_e32 v[15:16], v[13:14]
	v_fma_f64 v[24:25], -v[13:14], v[15:16], 1.0
	v_fma_f64 v[15:16], v[15:16], v[24:25], v[15:16]
	v_fma_f64 v[24:25], -v[13:14], v[15:16], 1.0
	v_fma_f64 v[15:16], v[15:16], v[24:25], v[15:16]
	v_mul_f64 v[24:25], v[26:27], v[15:16]
	v_fma_f64 v[13:14], -v[13:14], v[24:25], v[26:27]
	v_div_fmas_f64 v[13:14], v[13:14], v[15:16], v[24:25]
	v_div_fixup_f64 v[15:16], v[13:14], v[11:12], 1.0
	v_mul_f64 v[17:18], v[17:18], -v[15:16]
.LBB78_32:
	s_or_b64 exec, exec, s[10:11]
	v_lshlrev_b32_e32 v11, 4, v23
	ds_write_b128 v11, v[15:18]
.LBB78_33:
	s_or_b64 exec, exec, s[8:9]
                                        ; implicit-def: $vgpr11_vgpr12
                                        ; implicit-def: $vgpr23
.LBB78_34:
	s_andn2_saveexec_b64 s[2:3], s[2:3]
	s_cbranch_execz .LBB78_36
; %bb.35:
	v_lshlrev_b64 v[11:12], 4, v[11:12]
	v_mov_b32_e32 v13, s95
	v_add_co_u32_e32 v11, vcc, s94, v11
	v_addc_co_u32_e32 v12, vcc, v13, v12, vcc
	global_load_dwordx4 v[11:14], v[11:12], off
	v_lshlrev_b32_e32 v15, 4, v23
	s_waitcnt vmcnt(0)
	v_xor_b32_e32 v12, 0x80000000, v12
	ds_write_b128 v15, v[11:14]
.LBB78_36:
	s_or_b64 exec, exec, s[2:3]
	s_mov_b64 s[12:13], 0
.LBB78_37:
	s_xor_b64 s[10:11], s[0:1], -1
	s_and_b64 vcc, exec, s[12:13]
	s_cbranch_vccz .LBB78_67
; %bb.38:
	v_mad_u64_u32 v[11:12], s[2:3], s20, v2, v[19:20]
	v_cmp_le_u32_e32 vcc, v2, v0
	v_cmp_gt_i32_e64 s[2:3], s93, v0
	v_mad_u64_u32 v[12:13], s[8:9], s21, v2, v[12:13]
	v_max_i32_e32 v13, v2, v0
	v_cmp_le_i32_e64 s[8:9], s93, v13
	s_or_b64 s[8:9], s[8:9], vcc
	s_and_saveexec_b64 s[12:13], s[8:9]
	s_xor_b64 s[8:9], exec, s[12:13]
	s_cbranch_execz .LBB78_50
; %bb.39:
	v_cmp_ne_u32_e32 vcc, v0, v2
	s_xor_b64 s[12:13], s[2:3], -1
	s_or_b64 s[12:13], s[12:13], vcc
	s_and_saveexec_b64 s[14:15], s[12:13]
	s_xor_b64 s[12:13], exec, s[14:15]
	s_cbranch_execz .LBB78_43
; %bb.40:
	v_or_b32_e32 v11, v2, v0
	v_cmp_gt_u32_e32 vcc, 32, v11
	s_and_saveexec_b64 s[14:15], vcc
	s_cbranch_execz .LBB78_42
; %bb.41:
	v_mov_b32_e32 v11, 0
	v_lshlrev_b32_e32 v15, 4, v22
	v_mov_b32_e32 v12, v11
	v_mov_b32_e32 v13, v11
	;; [unrolled: 1-line block ×3, first 2 shown]
	ds_write_b128 v15, v[11:14]
.LBB78_42:
	s_or_b64 exec, exec, s[14:15]
                                        ; implicit-def: $vgpr22
                                        ; implicit-def: $vgpr11_vgpr12
.LBB78_43:
	s_andn2_saveexec_b64 s[12:13], s[12:13]
	s_cbranch_execz .LBB78_49
; %bb.44:
	v_lshlrev_b64 v[11:12], 4, v[11:12]
	v_mov_b32_e32 v13, s95
	v_add_co_u32_e32 v11, vcc, s94, v11
	v_addc_co_u32_e32 v12, vcc, v13, v12, vcc
	global_load_dwordx4 v[11:14], v[11:12], off
                                        ; implicit-def: $vgpr15_vgpr16
	s_waitcnt vmcnt(0)
	v_cmp_ngt_f64_e64 s[14:15], |v[11:12]|, |v[13:14]|
	s_and_saveexec_b64 s[16:17], s[14:15]
	s_xor_b64 s[14:15], exec, s[16:17]
	s_cbranch_execz .LBB78_46
; %bb.45:
	v_div_scale_f64 v[15:16], s[16:17], -v[13:14], -v[13:14], v[11:12]
	v_rcp_f64_e32 v[17:18], v[15:16]
	v_fma_f64 v[23:24], -v[15:16], v[17:18], 1.0
	v_fma_f64 v[17:18], v[17:18], v[23:24], v[17:18]
	v_div_scale_f64 v[23:24], vcc, v[11:12], -v[13:14], v[11:12]
	v_fma_f64 v[25:26], -v[15:16], v[17:18], 1.0
	v_fma_f64 v[17:18], v[17:18], v[25:26], v[17:18]
	v_mul_f64 v[25:26], v[23:24], v[17:18]
	v_fma_f64 v[15:16], -v[15:16], v[25:26], v[23:24]
	v_div_fmas_f64 v[15:16], v[15:16], v[17:18], v[25:26]
	v_div_fixup_f64 v[15:16], v[15:16], -v[13:14], v[11:12]
	v_fma_f64 v[11:12], v[11:12], v[15:16], -v[13:14]
	v_div_scale_f64 v[13:14], s[16:17], v[11:12], v[11:12], 1.0
	v_div_scale_f64 v[25:26], vcc, 1.0, v[11:12], 1.0
	v_rcp_f64_e32 v[17:18], v[13:14]
	v_fma_f64 v[23:24], -v[13:14], v[17:18], 1.0
	v_fma_f64 v[17:18], v[17:18], v[23:24], v[17:18]
	v_fma_f64 v[23:24], -v[13:14], v[17:18], 1.0
	v_fma_f64 v[17:18], v[17:18], v[23:24], v[17:18]
	v_mul_f64 v[23:24], v[25:26], v[17:18]
	v_fma_f64 v[13:14], -v[13:14], v[23:24], v[25:26]
	v_div_fmas_f64 v[13:14], v[13:14], v[17:18], v[23:24]
	v_div_fixup_f64 v[17:18], v[13:14], v[11:12], 1.0
                                        ; implicit-def: $vgpr11_vgpr12
	v_mul_f64 v[15:16], v[15:16], v[17:18]
	v_xor_b32_e32 v18, 0x80000000, v18
.LBB78_46:
	s_andn2_saveexec_b64 s[14:15], s[14:15]
	s_cbranch_execz .LBB78_48
; %bb.47:
	v_div_scale_f64 v[15:16], s[16:17], v[11:12], v[11:12], -v[13:14]
	v_rcp_f64_e32 v[17:18], v[15:16]
	v_fma_f64 v[23:24], -v[15:16], v[17:18], 1.0
	v_fma_f64 v[17:18], v[17:18], v[23:24], v[17:18]
	v_div_scale_f64 v[23:24], vcc, -v[13:14], v[11:12], -v[13:14]
	v_fma_f64 v[25:26], -v[15:16], v[17:18], 1.0
	v_fma_f64 v[17:18], v[17:18], v[25:26], v[17:18]
	v_mul_f64 v[25:26], v[23:24], v[17:18]
	v_fma_f64 v[15:16], -v[15:16], v[25:26], v[23:24]
	v_div_fmas_f64 v[15:16], v[15:16], v[17:18], v[25:26]
	v_div_fixup_f64 v[17:18], v[15:16], v[11:12], -v[13:14]
	v_fma_f64 v[11:12], -v[13:14], v[17:18], v[11:12]
	v_div_scale_f64 v[13:14], s[16:17], v[11:12], v[11:12], 1.0
	v_div_scale_f64 v[25:26], vcc, 1.0, v[11:12], 1.0
	v_rcp_f64_e32 v[15:16], v[13:14]
	v_fma_f64 v[23:24], -v[13:14], v[15:16], 1.0
	v_fma_f64 v[15:16], v[15:16], v[23:24], v[15:16]
	v_fma_f64 v[23:24], -v[13:14], v[15:16], 1.0
	v_fma_f64 v[15:16], v[15:16], v[23:24], v[15:16]
	v_mul_f64 v[23:24], v[25:26], v[15:16]
	v_fma_f64 v[13:14], -v[13:14], v[23:24], v[25:26]
	v_div_fmas_f64 v[13:14], v[13:14], v[15:16], v[23:24]
	v_div_fixup_f64 v[15:16], v[13:14], v[11:12], 1.0
	v_mul_f64 v[17:18], v[17:18], -v[15:16]
.LBB78_48:
	s_or_b64 exec, exec, s[14:15]
	v_lshlrev_b32_e32 v11, 4, v22
	ds_write_b128 v11, v[15:18]
.LBB78_49:
	s_or_b64 exec, exec, s[12:13]
                                        ; implicit-def: $vgpr11_vgpr12
                                        ; implicit-def: $vgpr22
.LBB78_50:
	s_andn2_saveexec_b64 s[8:9], s[8:9]
	s_cbranch_execz .LBB78_52
; %bb.51:
	v_lshlrev_b64 v[11:12], 4, v[11:12]
	v_mov_b32_e32 v13, s95
	v_add_co_u32_e32 v11, vcc, s94, v11
	v_addc_co_u32_e32 v12, vcc, v13, v12, vcc
	global_load_dwordx4 v[11:14], v[11:12], off
	v_lshlrev_b32_e32 v15, 4, v22
	s_waitcnt vmcnt(0)
	v_xor_b32_e32 v12, 0x80000000, v12
	ds_write_b128 v15, v[11:14]
.LBB78_52:
	s_or_b64 exec, exec, s[8:9]
	v_add_u32_e32 v13, 16, v2
	v_mad_u64_u32 v[11:12], s[8:9], s20, v13, v[19:20]
	v_add_u32_e32 v16, v13, v21
	v_cmp_gt_u32_e32 vcc, v13, v0
	v_mad_u64_u32 v[14:15], s[8:9], s21, v13, v[12:13]
	v_lshl_add_u32 v12, v13, 5, v0
	v_cndmask_b32_e64 v19, v12, v16, s[0:1]
	v_cmp_gt_i32_e64 s[0:1], s93, v13
	s_and_b64 s[0:1], vcc, s[0:1]
	s_and_b64 s[0:1], s[2:3], s[0:1]
	v_mov_b32_e32 v12, v14
	s_xor_b64 s[0:1], s[0:1], -1
	s_and_saveexec_b64 s[8:9], s[0:1]
	s_xor_b64 s[0:1], exec, s[8:9]
	s_cbranch_execz .LBB78_64
; %bb.53:
	v_cmp_ne_u32_e32 vcc, v0, v13
	s_xor_b64 s[2:3], s[2:3], -1
	s_or_b64 s[2:3], s[2:3], vcc
	s_and_saveexec_b64 s[8:9], s[2:3]
	s_xor_b64 s[2:3], exec, s[8:9]
	s_cbranch_execz .LBB78_57
; %bb.54:
	v_or_b32_e32 v11, v13, v0
	v_cmp_gt_u32_e32 vcc, 32, v11
	s_and_saveexec_b64 s[8:9], vcc
	s_cbranch_execz .LBB78_56
; %bb.55:
	v_mov_b32_e32 v11, 0
	v_lshlrev_b32_e32 v15, 4, v19
	v_mov_b32_e32 v12, v11
	v_mov_b32_e32 v13, v11
	;; [unrolled: 1-line block ×3, first 2 shown]
	ds_write_b128 v15, v[11:14]
.LBB78_56:
	s_or_b64 exec, exec, s[8:9]
                                        ; implicit-def: $vgpr19
                                        ; implicit-def: $vgpr11_vgpr12
.LBB78_57:
	s_andn2_saveexec_b64 s[2:3], s[2:3]
	s_cbranch_execz .LBB78_63
; %bb.58:
	v_lshlrev_b64 v[11:12], 4, v[11:12]
	v_mov_b32_e32 v13, s95
	v_add_co_u32_e32 v11, vcc, s94, v11
	v_addc_co_u32_e32 v12, vcc, v13, v12, vcc
	global_load_dwordx4 v[11:14], v[11:12], off
                                        ; implicit-def: $vgpr15_vgpr16
	s_waitcnt vmcnt(0)
	v_cmp_ngt_f64_e64 s[8:9], |v[11:12]|, |v[13:14]|
	s_and_saveexec_b64 s[12:13], s[8:9]
	s_xor_b64 s[8:9], exec, s[12:13]
	s_cbranch_execz .LBB78_60
; %bb.59:
	v_div_scale_f64 v[15:16], s[12:13], -v[13:14], -v[13:14], v[11:12]
	v_rcp_f64_e32 v[17:18], v[15:16]
	v_fma_f64 v[20:21], -v[15:16], v[17:18], 1.0
	v_fma_f64 v[17:18], v[17:18], v[20:21], v[17:18]
	v_div_scale_f64 v[20:21], vcc, v[11:12], -v[13:14], v[11:12]
	v_fma_f64 v[22:23], -v[15:16], v[17:18], 1.0
	v_fma_f64 v[17:18], v[17:18], v[22:23], v[17:18]
	v_mul_f64 v[22:23], v[20:21], v[17:18]
	v_fma_f64 v[15:16], -v[15:16], v[22:23], v[20:21]
	v_div_fmas_f64 v[15:16], v[15:16], v[17:18], v[22:23]
	v_div_fixup_f64 v[15:16], v[15:16], -v[13:14], v[11:12]
	v_fma_f64 v[11:12], v[11:12], v[15:16], -v[13:14]
	v_div_scale_f64 v[13:14], s[12:13], v[11:12], v[11:12], 1.0
	v_div_scale_f64 v[22:23], vcc, 1.0, v[11:12], 1.0
	v_rcp_f64_e32 v[17:18], v[13:14]
	v_fma_f64 v[20:21], -v[13:14], v[17:18], 1.0
	v_fma_f64 v[17:18], v[17:18], v[20:21], v[17:18]
	v_fma_f64 v[20:21], -v[13:14], v[17:18], 1.0
	v_fma_f64 v[17:18], v[17:18], v[20:21], v[17:18]
	v_mul_f64 v[20:21], v[22:23], v[17:18]
	v_fma_f64 v[13:14], -v[13:14], v[20:21], v[22:23]
	v_div_fmas_f64 v[13:14], v[13:14], v[17:18], v[20:21]
	v_div_fixup_f64 v[17:18], v[13:14], v[11:12], 1.0
                                        ; implicit-def: $vgpr11_vgpr12
	v_mul_f64 v[15:16], v[15:16], v[17:18]
	v_xor_b32_e32 v18, 0x80000000, v18
.LBB78_60:
	s_andn2_saveexec_b64 s[8:9], s[8:9]
	s_cbranch_execz .LBB78_62
; %bb.61:
	v_div_scale_f64 v[15:16], s[12:13], v[11:12], v[11:12], -v[13:14]
	v_rcp_f64_e32 v[17:18], v[15:16]
	v_fma_f64 v[20:21], -v[15:16], v[17:18], 1.0
	v_fma_f64 v[17:18], v[17:18], v[20:21], v[17:18]
	v_div_scale_f64 v[20:21], vcc, -v[13:14], v[11:12], -v[13:14]
	v_fma_f64 v[22:23], -v[15:16], v[17:18], 1.0
	v_fma_f64 v[17:18], v[17:18], v[22:23], v[17:18]
	v_mul_f64 v[22:23], v[20:21], v[17:18]
	v_fma_f64 v[15:16], -v[15:16], v[22:23], v[20:21]
	v_div_fmas_f64 v[15:16], v[15:16], v[17:18], v[22:23]
	v_div_fixup_f64 v[17:18], v[15:16], v[11:12], -v[13:14]
	v_fma_f64 v[11:12], -v[13:14], v[17:18], v[11:12]
	v_div_scale_f64 v[13:14], s[12:13], v[11:12], v[11:12], 1.0
	v_div_scale_f64 v[22:23], vcc, 1.0, v[11:12], 1.0
	v_rcp_f64_e32 v[15:16], v[13:14]
	v_fma_f64 v[20:21], -v[13:14], v[15:16], 1.0
	v_fma_f64 v[15:16], v[15:16], v[20:21], v[15:16]
	v_fma_f64 v[20:21], -v[13:14], v[15:16], 1.0
	v_fma_f64 v[15:16], v[15:16], v[20:21], v[15:16]
	v_mul_f64 v[20:21], v[22:23], v[15:16]
	v_fma_f64 v[13:14], -v[13:14], v[20:21], v[22:23]
	v_div_fmas_f64 v[13:14], v[13:14], v[15:16], v[20:21]
	v_div_fixup_f64 v[15:16], v[13:14], v[11:12], 1.0
	v_mul_f64 v[17:18], v[17:18], -v[15:16]
.LBB78_62:
	s_or_b64 exec, exec, s[8:9]
	v_lshlrev_b32_e32 v11, 4, v19
	ds_write_b128 v11, v[15:18]
.LBB78_63:
	s_or_b64 exec, exec, s[2:3]
                                        ; implicit-def: $vgpr11_vgpr12
                                        ; implicit-def: $vgpr19
.LBB78_64:
	s_andn2_saveexec_b64 s[0:1], s[0:1]
	s_cbranch_execz .LBB78_66
; %bb.65:
	v_lshlrev_b64 v[11:12], 4, v[11:12]
	v_mov_b32_e32 v13, s95
	v_add_co_u32_e32 v11, vcc, s94, v11
	v_addc_co_u32_e32 v12, vcc, v13, v12, vcc
	global_load_dwordx4 v[11:14], v[11:12], off
	v_lshlrev_b32_e32 v15, 4, v19
	s_waitcnt vmcnt(0)
	v_xor_b32_e32 v12, 0x80000000, v12
	ds_write_b128 v15, v[11:14]
.LBB78_66:
	s_or_b64 exec, exec, s[0:1]
.LBB78_67:
	v_cndmask_b32_e64 v11, 0, 1, s[10:11]
	v_cmp_ne_u32_e64 s[0:1], 1, v11
	s_andn2_b64 vcc, exec, s[10:11]
	s_waitcnt vmcnt(0) lgkmcnt(0)
	s_barrier
	s_cbranch_vccnz .LBB78_491
; %bb.68:
	v_or_b32_e32 v11, v0, v2
	v_cmp_eq_u32_e32 vcc, 0, v11
	s_and_saveexec_b64 s[2:3], vcc
	s_cbranch_execz .LBB78_70
; %bb.69:
	v_mov_b32_e32 v25, 0
	ds_read_b128 v[11:14], v25 offset:16368
	ds_read_b128 v[15:18], v25 offset:15840
	;; [unrolled: 1-line block ×3, first 2 shown]
	s_waitcnt lgkmcnt(1)
	v_mul_f64 v[23:24], v[11:12], v[17:18]
	v_mul_f64 v[17:18], v[13:14], v[17:18]
	v_fma_f64 v[13:14], v[13:14], v[15:16], v[23:24]
	v_fma_f64 v[11:12], v[11:12], v[15:16], -v[17:18]
	s_waitcnt lgkmcnt(0)
	v_mul_f64 v[15:16], v[13:14], v[21:22]
	v_mul_f64 v[17:18], v[11:12], v[21:22]
	v_fma_f64 v[11:12], v[19:20], v[11:12], -v[15:16]
	v_fma_f64 v[13:14], v[19:20], v[13:14], v[17:18]
	ds_write_b128 v25, v[11:14] offset:16352
	ds_write_b128 v25, v[11:14] offset:15856
.LBB78_70:
	s_or_b64 exec, exec, s[2:3]
	v_lshlrev_b32_e32 v11, 5, v2
	v_add_u32_e32 v18, v11, v0
	v_add_u16_e32 v11, v11, v0
	v_lshrrev_b16_e32 v17, 1, v11
	v_mov_b32_e32 v11, 0
	v_mov_b32_e32 v13, 0
	v_and_b32_e32 v15, 1, v0
	v_sub_u32_e32 v16, 1, v17
	v_cmp_lt_u32_e64 s[8:9], 3, v18
	v_mov_b32_e32 v12, 0
	v_mov_b32_e32 v14, 0
	v_cmp_gt_u32_e64 s[2:3], 4, v18
	s_waitcnt lgkmcnt(0)
	s_barrier
	buffer_wbinvl1_vol
	s_and_saveexec_b64 s[12:13], s[2:3]
	s_cbranch_execz .LBB78_74
; %bb.71:
	v_lshlrev_b32_e32 v19, 4, v15
	v_lshlrev_b32_e32 v11, 9, v16
	ds_read_b128 v[11:14], v11 offset:15840
	ds_read_b128 v[19:22], v19 offset:15808
	v_cmp_gt_u32_e64 s[10:11], 2, v18
	s_waitcnt lgkmcnt(0)
	v_mul_f64 v[23:24], v[13:14], v[21:22]
	v_mul_f64 v[21:22], v[11:12], v[21:22]
	v_fma_f64 v[11:12], v[11:12], v[19:20], -v[23:24]
	v_fma_f64 v[13:14], v[13:14], v[19:20], v[21:22]
	v_add_f64 v[11:12], v[11:12], 0
	v_add_f64 v[13:14], v[13:14], 0
	s_and_saveexec_b64 s[14:15], s[10:11]
	s_cbranch_execz .LBB78_73
; %bb.72:
	v_lshlrev_b32_e32 v23, 4, v0
	v_mov_b32_e32 v19, 0
	ds_read_b128 v[19:22], v19 offset:16368
	ds_read_b128 v[23:26], v23 offset:16320
	s_waitcnt lgkmcnt(0)
	v_mul_f64 v[27:28], v[21:22], v[25:26]
	v_mul_f64 v[25:26], v[19:20], v[25:26]
	v_fma_f64 v[19:20], v[19:20], v[23:24], -v[27:28]
	v_fma_f64 v[21:22], v[21:22], v[23:24], v[25:26]
	v_add_f64 v[11:12], v[11:12], v[19:20]
	v_add_f64 v[13:14], v[13:14], v[21:22]
.LBB78_73:
	s_or_b64 exec, exec, s[14:15]
.LBB78_74:
	s_or_b64 exec, exec, s[12:13]
	v_mov_b32_e32 v19, 0x4000
	v_cmp_ne_u32_e64 s[10:11], 0, v15
	s_xor_b64 s[12:13], s[8:9], -1
	v_lshl_add_u32 v17, v17, 4, v19
	s_and_b64 s[40:41], s[10:11], s[12:13]
	s_and_saveexec_b64 s[8:9], s[40:41]
	s_cbranch_execz .LBB78_76
; %bb.75:
	v_mov_b32_e32 v19, 0
	ds_read_b128 v[19:22], v19 offset:15312
	s_waitcnt lgkmcnt(0)
	v_mul_f64 v[23:24], v[13:14], v[21:22]
	v_mul_f64 v[21:22], v[11:12], v[21:22]
	v_fma_f64 v[11:12], v[11:12], v[19:20], -v[23:24]
	v_fma_f64 v[13:14], v[13:14], v[19:20], v[21:22]
	v_xor_b32_e32 v20, 0x80000000, v12
	v_xor_b32_e32 v22, 0x80000000, v14
	v_mov_b32_e32 v19, v11
	v_mov_b32_e32 v21, v13
	ds_write_b128 v17, v[19:22]
.LBB78_76:
	s_or_b64 exec, exec, s[8:9]
	v_cmp_eq_u32_e64 s[8:9], 0, v15
	s_and_b64 s[24:25], s[8:9], s[12:13]
	s_waitcnt lgkmcnt(0)
	s_barrier
	s_and_saveexec_b64 s[8:9], s[24:25]
	s_cbranch_execz .LBB78_78
; %bb.77:
	v_mov_b32_e32 v23, 0
	ds_read_b128 v[19:22], v17
	ds_read_b128 v[23:26], v23 offset:15296
	s_waitcnt lgkmcnt(0)
	v_mul_f64 v[27:28], v[21:22], v[25:26]
	v_mul_f64 v[25:26], v[19:20], v[25:26]
	v_fma_f64 v[19:20], v[19:20], v[23:24], -v[27:28]
	v_fma_f64 v[21:22], v[21:22], v[23:24], v[25:26]
	v_add_f64 v[11:12], v[11:12], -v[19:20]
	v_add_f64 v[13:14], v[13:14], -v[21:22]
.LBB78_78:
	s_or_b64 exec, exec, s[8:9]
	s_barrier
	s_and_saveexec_b64 s[8:9], s[24:25]
	s_cbranch_execz .LBB78_80
; %bb.79:
	v_mov_b32_e32 v19, 0
	ds_read_b128 v[19:22], v19 offset:14784
	s_waitcnt lgkmcnt(0)
	v_mul_f64 v[23:24], v[13:14], v[21:22]
	v_mul_f64 v[21:22], v[11:12], v[21:22]
	v_fma_f64 v[11:12], v[11:12], v[19:20], -v[23:24]
	v_fma_f64 v[13:14], v[13:14], v[19:20], v[21:22]
	v_xor_b32_e32 v20, 0x80000000, v12
	v_xor_b32_e32 v22, 0x80000000, v14
	v_mov_b32_e32 v19, v11
	v_mov_b32_e32 v21, v13
	ds_write_b128 v17, v[19:22]
.LBB78_80:
	s_or_b64 exec, exec, s[8:9]
	s_waitcnt lgkmcnt(0)
	s_barrier
	s_barrier
	s_and_saveexec_b64 s[8:9], s[2:3]
; %bb.81:
	v_lshlrev_b32_e32 v19, 4, v15
	v_lshl_or_b32 v19, v16, 9, v19
	ds_write_b128 v19, v[11:14] offset:15808
; %bb.82:
	s_or_b64 exec, exec, s[8:9]
	v_cmp_eq_u32_e64 s[10:11], 0, v2
	v_cmp_gt_u32_e64 s[8:9], 2, v0
	s_and_b64 s[42:43], s[10:11], s[8:9]
	s_waitcnt lgkmcnt(0)
	s_barrier
	s_barrier
	s_and_saveexec_b64 s[8:9], s[42:43]
	s_cbranch_execz .LBB78_84
; %bb.83:
	v_lshlrev_b32_e32 v19, 9, v0
	ds_read_b128 v[11:14], v19 offset:15808
	s_movk_i32 s12, 0xfe10
	v_mad_i32_i24 v20, v0, s12, v19
	s_waitcnt lgkmcnt(0)
	ds_write_b128 v20, v[11:14] offset:14816
	ds_read_b128 v[11:14], v19 offset:15824
	s_waitcnt lgkmcnt(0)
	ds_write_b128 v20, v[11:14] offset:15328
.LBB78_84:
	s_or_b64 exec, exec, s[8:9]
	s_waitcnt lgkmcnt(0)
	s_barrier
	s_and_saveexec_b64 s[8:9], vcc
	s_cbranch_execz .LBB78_86
; %bb.85:
	v_mov_b32_e32 v29, 0
	ds_read_b128 v[11:14], v29 offset:15312
	ds_read_b128 v[19:22], v29 offset:14784
	;; [unrolled: 1-line block ×3, first 2 shown]
	s_waitcnt lgkmcnt(1)
	v_mul_f64 v[27:28], v[11:12], v[21:22]
	v_mul_f64 v[21:22], v[13:14], v[21:22]
	v_fma_f64 v[13:14], v[13:14], v[19:20], v[27:28]
	v_fma_f64 v[11:12], v[11:12], v[19:20], -v[21:22]
	s_waitcnt lgkmcnt(0)
	v_mul_f64 v[19:20], v[13:14], v[25:26]
	v_mul_f64 v[21:22], v[11:12], v[25:26]
	v_fma_f64 v[11:12], v[23:24], v[11:12], -v[19:20]
	v_fma_f64 v[13:14], v[23:24], v[13:14], v[21:22]
	ds_write_b128 v29, v[11:14] offset:15296
	ds_write_b128 v29, v[11:14] offset:14800
.LBB78_86:
	s_or_b64 exec, exec, s[8:9]
	v_lshrrev_b32_e32 v21, 2, v18
	v_mov_b32_e32 v13, 0
	v_mov_b32_e32 v11, 0
	v_and_b32_e32 v19, 3, v0
	v_sub_u32_e32 v20, 3, v21
	v_cmp_lt_u32_e64 s[8:9], 15, v18
	v_mov_b32_e32 v14, 0
	v_mov_b32_e32 v12, 0
	v_cmp_gt_u32_e64 s[16:17], 16, v18
	s_waitcnt lgkmcnt(0)
	s_barrier
	buffer_wbinvl1_vol
	s_and_saveexec_b64 s[14:15], s[16:17]
	s_cbranch_execz .LBB78_92
; %bb.87:
	v_lshlrev_b32_e32 v23, 9, v20
	v_lshlrev_b32_e32 v22, 4, v19
	ds_read_b128 v[11:14], v23 offset:14784
	ds_read_b128 v[24:27], v22 offset:14720
	v_cmp_gt_u32_e64 s[12:13], 12, v18
	s_waitcnt lgkmcnt(0)
	v_mul_f64 v[28:29], v[13:14], v[26:27]
	v_mul_f64 v[26:27], v[11:12], v[26:27]
	v_fma_f64 v[11:12], v[11:12], v[24:25], -v[28:29]
	v_fma_f64 v[13:14], v[13:14], v[24:25], v[26:27]
	v_add_f64 v[11:12], v[11:12], 0
	v_add_f64 v[13:14], v[13:14], 0
	s_and_saveexec_b64 s[18:19], s[12:13]
	s_cbranch_execnz .LBB78_551
; %bb.88:
	s_or_b64 exec, exec, s[18:19]
	v_cmp_gt_u32_e64 s[12:13], 8, v18
	s_and_saveexec_b64 s[18:19], s[12:13]
	s_cbranch_execnz .LBB78_552
.LBB78_89:
	s_or_b64 exec, exec, s[18:19]
	v_cmp_gt_u32_e64 s[12:13], 4, v18
	s_and_saveexec_b64 s[18:19], s[12:13]
	s_cbranch_execz .LBB78_91
.LBB78_90:
	v_lshlrev_b32_e32 v26, 4, v0
	v_mov_b32_e32 v22, 0
	ds_read_b128 v[22:25], v22 offset:16368
	ds_read_b128 v[26:29], v26 offset:16256
	s_waitcnt lgkmcnt(0)
	v_mul_f64 v[30:31], v[24:25], v[28:29]
	v_mul_f64 v[28:29], v[22:23], v[28:29]
	v_fma_f64 v[22:23], v[22:23], v[26:27], -v[30:31]
	v_fma_f64 v[24:25], v[24:25], v[26:27], v[28:29]
	v_add_f64 v[11:12], v[11:12], v[22:23]
	v_add_f64 v[13:14], v[13:14], v[24:25]
.LBB78_91:
	s_or_b64 exec, exec, s[18:19]
.LBB78_92:
	s_or_b64 exec, exec, s[14:15]
	v_mov_b32_e32 v22, 0x4000
	v_cmp_eq_u32_e64 s[12:13], 3, v19
	s_xor_b64 s[14:15], s[8:9], -1
	v_lshl_add_u32 v21, v21, 4, v22
	s_and_b64 s[46:47], s[12:13], s[14:15]
	s_and_saveexec_b64 s[8:9], s[46:47]
	s_cbranch_execz .LBB78_94
; %bb.93:
	v_mov_b32_e32 v22, 0
	ds_read_b128 v[22:25], v22 offset:14256
	s_waitcnt lgkmcnt(0)
	v_mul_f64 v[26:27], v[13:14], v[24:25]
	v_mul_f64 v[24:25], v[11:12], v[24:25]
	v_fma_f64 v[11:12], v[11:12], v[22:23], -v[26:27]
	v_fma_f64 v[13:14], v[13:14], v[22:23], v[24:25]
	v_xor_b32_e32 v23, 0x80000000, v12
	v_xor_b32_e32 v25, 0x80000000, v14
	v_mov_b32_e32 v22, v11
	v_mov_b32_e32 v24, v13
	ds_write_b128 v21, v[22:25]
.LBB78_94:
	s_or_b64 exec, exec, s[8:9]
	v_cmp_ne_u32_e64 s[8:9], 3, v19
	s_and_b64 s[48:49], s[8:9], s[14:15]
	s_waitcnt lgkmcnt(0)
	s_barrier
	s_and_saveexec_b64 s[8:9], s[48:49]
	s_cbranch_execz .LBB78_96
; %bb.95:
	v_lshlrev_b32_e32 v26, 4, v19
	ds_read_b128 v[22:25], v21
	ds_read_b128 v[26:29], v26 offset:14208
	s_waitcnt lgkmcnt(0)
	v_mul_f64 v[30:31], v[24:25], v[28:29]
	v_mul_f64 v[28:29], v[22:23], v[28:29]
	v_fma_f64 v[22:23], v[22:23], v[26:27], -v[30:31]
	v_fma_f64 v[24:25], v[24:25], v[26:27], v[28:29]
	v_add_f64 v[11:12], v[11:12], -v[22:23]
	v_add_f64 v[13:14], v[13:14], -v[24:25]
.LBB78_96:
	s_or_b64 exec, exec, s[8:9]
	v_cmp_eq_u32_e64 s[8:9], 2, v19
	s_and_b64 s[50:51], s[8:9], s[14:15]
	s_barrier
	s_and_saveexec_b64 s[8:9], s[50:51]
	s_cbranch_execz .LBB78_98
; %bb.97:
	v_mov_b32_e32 v22, 0
	ds_read_b128 v[22:25], v22 offset:13728
	s_waitcnt lgkmcnt(0)
	v_mul_f64 v[26:27], v[13:14], v[24:25]
	v_mul_f64 v[24:25], v[11:12], v[24:25]
	v_fma_f64 v[11:12], v[11:12], v[22:23], -v[26:27]
	v_fma_f64 v[13:14], v[13:14], v[22:23], v[24:25]
	v_xor_b32_e32 v23, 0x80000000, v12
	v_xor_b32_e32 v25, 0x80000000, v14
	v_mov_b32_e32 v22, v11
	v_mov_b32_e32 v24, v13
	ds_write_b128 v21, v[22:25]
.LBB78_98:
	s_or_b64 exec, exec, s[8:9]
	v_cmp_gt_u32_e64 s[8:9], 2, v19
	s_and_b64 s[52:53], s[8:9], s[14:15]
	s_waitcnt lgkmcnt(0)
	s_barrier
	s_and_saveexec_b64 s[8:9], s[52:53]
	s_cbranch_execz .LBB78_100
; %bb.99:
	v_lshlrev_b32_e32 v26, 4, v19
	ds_read_b128 v[22:25], v21
	ds_read_b128 v[26:29], v26 offset:13696
	s_waitcnt lgkmcnt(0)
	v_mul_f64 v[30:31], v[24:25], v[28:29]
	v_mul_f64 v[28:29], v[22:23], v[28:29]
	v_fma_f64 v[22:23], v[22:23], v[26:27], -v[30:31]
	v_fma_f64 v[24:25], v[24:25], v[26:27], v[28:29]
	v_add_f64 v[11:12], v[11:12], -v[22:23]
	v_add_f64 v[13:14], v[13:14], -v[24:25]
.LBB78_100:
	s_or_b64 exec, exec, s[8:9]
	v_cmp_eq_u32_e64 s[8:9], 1, v19
	s_and_b64 s[54:55], s[8:9], s[14:15]
	s_barrier
	s_and_saveexec_b64 s[8:9], s[54:55]
	s_cbranch_execz .LBB78_102
; %bb.101:
	v_mov_b32_e32 v22, 0
	ds_read_b128 v[22:25], v22 offset:13200
	s_waitcnt lgkmcnt(0)
	v_mul_f64 v[26:27], v[13:14], v[24:25]
	v_mul_f64 v[24:25], v[11:12], v[24:25]
	v_fma_f64 v[11:12], v[11:12], v[22:23], -v[26:27]
	v_fma_f64 v[13:14], v[13:14], v[22:23], v[24:25]
	v_xor_b32_e32 v23, 0x80000000, v12
	v_xor_b32_e32 v25, 0x80000000, v14
	v_mov_b32_e32 v22, v11
	v_mov_b32_e32 v24, v13
	ds_write_b128 v21, v[22:25]
.LBB78_102:
	s_or_b64 exec, exec, s[8:9]
	v_cmp_eq_u32_e64 s[8:9], 0, v19
	s_and_b64 s[44:45], s[8:9], s[14:15]
	s_waitcnt lgkmcnt(0)
	s_barrier
	s_and_saveexec_b64 s[8:9], s[44:45]
	s_cbranch_execz .LBB78_104
; %bb.103:
	v_mov_b32_e32 v26, 0
	ds_read_b128 v[22:25], v21
	ds_read_b128 v[26:29], v26 offset:13184
	s_waitcnt lgkmcnt(0)
	v_mul_f64 v[30:31], v[24:25], v[28:29]
	v_mul_f64 v[28:29], v[22:23], v[28:29]
	v_fma_f64 v[22:23], v[22:23], v[26:27], -v[30:31]
	v_fma_f64 v[24:25], v[24:25], v[26:27], v[28:29]
	v_add_f64 v[11:12], v[11:12], -v[22:23]
	v_add_f64 v[13:14], v[13:14], -v[24:25]
.LBB78_104:
	s_or_b64 exec, exec, s[8:9]
	s_barrier
	s_and_saveexec_b64 s[8:9], s[44:45]
	s_cbranch_execz .LBB78_106
; %bb.105:
	v_mov_b32_e32 v22, 0
	ds_read_b128 v[22:25], v22 offset:12672
	s_waitcnt lgkmcnt(0)
	v_mul_f64 v[26:27], v[13:14], v[24:25]
	v_mul_f64 v[24:25], v[11:12], v[24:25]
	v_fma_f64 v[11:12], v[11:12], v[22:23], -v[26:27]
	v_fma_f64 v[13:14], v[13:14], v[22:23], v[24:25]
	v_xor_b32_e32 v23, 0x80000000, v12
	v_xor_b32_e32 v25, 0x80000000, v14
	v_mov_b32_e32 v22, v11
	v_mov_b32_e32 v24, v13
	ds_write_b128 v21, v[22:25]
.LBB78_106:
	s_or_b64 exec, exec, s[8:9]
	s_waitcnt lgkmcnt(0)
	s_barrier
	s_barrier
	s_and_saveexec_b64 s[8:9], s[16:17]
; %bb.107:
	v_lshlrev_b32_e32 v22, 4, v19
	v_lshl_or_b32 v22, v20, 9, v22
	ds_write_b128 v22, v[11:14] offset:14720
; %bb.108:
	s_or_b64 exec, exec, s[8:9]
	v_cmp_gt_u32_e64 s[8:9], 4, v0
	s_and_b64 s[56:57], s[10:11], s[8:9]
	s_waitcnt lgkmcnt(0)
	s_barrier
	s_barrier
	s_and_saveexec_b64 s[8:9], s[56:57]
	s_cbranch_execz .LBB78_110
; %bb.109:
	v_lshlrev_b32_e32 v22, 4, v0
	s_movk_i32 s12, 0x1f0
	v_mad_u32_u24 v23, v0, s12, v22
	ds_read_b128 v[11:14], v23 offset:14720
	s_waitcnt lgkmcnt(0)
	ds_write_b128 v22, v[11:14] offset:12736
	ds_read_b128 v[11:14], v23 offset:14736
	s_waitcnt lgkmcnt(0)
	ds_write_b128 v22, v[11:14] offset:13248
	;; [unrolled: 3-line block ×4, first 2 shown]
.LBB78_110:
	s_or_b64 exec, exec, s[8:9]
	s_waitcnt lgkmcnt(0)
	s_barrier
	s_and_saveexec_b64 s[8:9], vcc
	s_cbranch_execz .LBB78_112
; %bb.111:
	v_mov_b32_e32 v32, 0
	ds_read_b128 v[11:14], v32 offset:14256
	ds_read_b128 v[22:25], v32 offset:13728
	;; [unrolled: 1-line block ×3, first 2 shown]
	s_waitcnt lgkmcnt(1)
	v_mul_f64 v[30:31], v[11:12], v[24:25]
	v_mul_f64 v[24:25], v[13:14], v[24:25]
	v_fma_f64 v[13:14], v[13:14], v[22:23], v[30:31]
	v_fma_f64 v[11:12], v[11:12], v[22:23], -v[24:25]
	s_waitcnt lgkmcnt(0)
	v_mul_f64 v[22:23], v[13:14], v[28:29]
	v_mul_f64 v[24:25], v[11:12], v[28:29]
	v_fma_f64 v[11:12], v[26:27], v[11:12], -v[22:23]
	v_fma_f64 v[13:14], v[26:27], v[13:14], v[24:25]
	ds_write_b128 v32, v[11:14] offset:14240
	ds_write_b128 v32, v[11:14] offset:13744
.LBB78_112:
	s_or_b64 exec, exec, s[8:9]
	v_mov_b32_e32 v11, 0
	v_mov_b32_e32 v13, 0
	;; [unrolled: 1-line block ×4, first 2 shown]
	s_waitcnt lgkmcnt(0)
	s_barrier
	buffer_wbinvl1_vol
	s_and_saveexec_b64 s[12:13], s[2:3]
	s_cbranch_execz .LBB78_116
; %bb.113:
	v_lshlrev_b32_e32 v22, 4, v15
	v_lshlrev_b32_e32 v11, 9, v16
	ds_read_b128 v[11:14], v11 offset:13728
	ds_read_b128 v[22:25], v22 offset:13696
	v_cmp_gt_u32_e64 s[8:9], 2, v18
	s_waitcnt lgkmcnt(0)
	v_mul_f64 v[26:27], v[13:14], v[24:25]
	v_mul_f64 v[24:25], v[11:12], v[24:25]
	v_fma_f64 v[11:12], v[11:12], v[22:23], -v[26:27]
	v_fma_f64 v[13:14], v[13:14], v[22:23], v[24:25]
	v_add_f64 v[11:12], v[11:12], 0
	v_add_f64 v[13:14], v[13:14], 0
	s_and_saveexec_b64 s[14:15], s[8:9]
	s_cbranch_execz .LBB78_115
; %bb.114:
	v_lshlrev_b32_e32 v26, 4, v0
	v_mov_b32_e32 v22, 0
	ds_read_b128 v[22:25], v22 offset:14256
	ds_read_b128 v[26:29], v26 offset:14208
	s_waitcnt lgkmcnt(0)
	v_mul_f64 v[30:31], v[24:25], v[28:29]
	v_mul_f64 v[28:29], v[22:23], v[28:29]
	v_fma_f64 v[22:23], v[22:23], v[26:27], -v[30:31]
	v_fma_f64 v[24:25], v[24:25], v[26:27], v[28:29]
	v_add_f64 v[11:12], v[11:12], v[22:23]
	v_add_f64 v[13:14], v[13:14], v[24:25]
.LBB78_115:
	s_or_b64 exec, exec, s[14:15]
.LBB78_116:
	s_or_b64 exec, exec, s[12:13]
	s_and_saveexec_b64 s[8:9], s[40:41]
	s_cbranch_execz .LBB78_118
; %bb.117:
	v_mov_b32_e32 v22, 0
	ds_read_b128 v[22:25], v22 offset:13200
	s_waitcnt lgkmcnt(0)
	v_mul_f64 v[26:27], v[13:14], v[24:25]
	v_mul_f64 v[24:25], v[11:12], v[24:25]
	v_fma_f64 v[11:12], v[11:12], v[22:23], -v[26:27]
	v_fma_f64 v[13:14], v[13:14], v[22:23], v[24:25]
	v_xor_b32_e32 v23, 0x80000000, v12
	v_xor_b32_e32 v25, 0x80000000, v14
	v_mov_b32_e32 v22, v11
	v_mov_b32_e32 v24, v13
	ds_write_b128 v17, v[22:25]
.LBB78_118:
	s_or_b64 exec, exec, s[8:9]
	s_waitcnt lgkmcnt(0)
	s_barrier
	s_and_saveexec_b64 s[8:9], s[24:25]
	s_cbranch_execz .LBB78_120
; %bb.119:
	v_mov_b32_e32 v26, 0
	ds_read_b128 v[22:25], v17
	ds_read_b128 v[26:29], v26 offset:13184
	s_waitcnt lgkmcnt(0)
	v_mul_f64 v[30:31], v[24:25], v[28:29]
	v_mul_f64 v[28:29], v[22:23], v[28:29]
	v_fma_f64 v[22:23], v[22:23], v[26:27], -v[30:31]
	v_fma_f64 v[24:25], v[24:25], v[26:27], v[28:29]
	v_add_f64 v[11:12], v[11:12], -v[22:23]
	v_add_f64 v[13:14], v[13:14], -v[24:25]
.LBB78_120:
	s_or_b64 exec, exec, s[8:9]
	s_barrier
	s_and_saveexec_b64 s[8:9], s[24:25]
	s_cbranch_execz .LBB78_122
; %bb.121:
	v_mov_b32_e32 v22, 0
	ds_read_b128 v[22:25], v22 offset:12672
	s_waitcnt lgkmcnt(0)
	v_mul_f64 v[26:27], v[13:14], v[24:25]
	v_mul_f64 v[24:25], v[11:12], v[24:25]
	v_fma_f64 v[11:12], v[11:12], v[22:23], -v[26:27]
	v_fma_f64 v[13:14], v[13:14], v[22:23], v[24:25]
	v_xor_b32_e32 v23, 0x80000000, v12
	v_xor_b32_e32 v25, 0x80000000, v14
	v_mov_b32_e32 v22, v11
	v_mov_b32_e32 v24, v13
	ds_write_b128 v17, v[22:25]
.LBB78_122:
	s_or_b64 exec, exec, s[8:9]
	s_waitcnt lgkmcnt(0)
	s_barrier
	s_barrier
	s_and_saveexec_b64 s[8:9], s[2:3]
; %bb.123:
	v_lshlrev_b32_e32 v22, 4, v15
	v_lshl_or_b32 v22, v16, 9, v22
	ds_write_b128 v22, v[11:14] offset:13696
; %bb.124:
	s_or_b64 exec, exec, s[8:9]
	s_waitcnt lgkmcnt(0)
	s_barrier
	s_barrier
	s_and_saveexec_b64 s[8:9], s[42:43]
	s_cbranch_execz .LBB78_126
; %bb.125:
	v_lshlrev_b32_e32 v22, 9, v0
	ds_read_b128 v[11:14], v22 offset:13696
	s_movk_i32 s12, 0xfe10
	v_mad_i32_i24 v23, v0, s12, v22
	s_waitcnt lgkmcnt(0)
	ds_write_b128 v23, v[11:14] offset:12704
	ds_read_b128 v[11:14], v22 offset:13712
	s_waitcnt lgkmcnt(0)
	ds_write_b128 v23, v[11:14] offset:13216
.LBB78_126:
	s_or_b64 exec, exec, s[8:9]
	s_waitcnt lgkmcnt(0)
	s_barrier
	s_and_saveexec_b64 s[8:9], vcc
	s_cbranch_execz .LBB78_128
; %bb.127:
	v_mov_b32_e32 v32, 0
	ds_read_b128 v[11:14], v32 offset:13200
	ds_read_b128 v[22:25], v32 offset:12672
	;; [unrolled: 1-line block ×3, first 2 shown]
	s_waitcnt lgkmcnt(1)
	v_mul_f64 v[30:31], v[11:12], v[24:25]
	v_mul_f64 v[24:25], v[13:14], v[24:25]
	v_fma_f64 v[13:14], v[13:14], v[22:23], v[30:31]
	v_fma_f64 v[11:12], v[11:12], v[22:23], -v[24:25]
	s_waitcnt lgkmcnt(0)
	v_mul_f64 v[22:23], v[13:14], v[28:29]
	v_mul_f64 v[24:25], v[11:12], v[28:29]
	v_fma_f64 v[11:12], v[26:27], v[11:12], -v[22:23]
	v_fma_f64 v[13:14], v[26:27], v[13:14], v[24:25]
	ds_write_b128 v32, v[11:14] offset:13184
	ds_write_b128 v32, v[11:14] offset:12688
.LBB78_128:
	s_or_b64 exec, exec, s[8:9]
	v_lshrrev_b32_e32 v24, 3, v18
	v_mov_b32_e32 v13, 0
	v_mov_b32_e32 v11, 0
	v_and_b32_e32 v22, 7, v0
	v_sub_u32_e32 v23, 7, v24
	v_cmp_lt_u32_e64 s[12:13], 63, v18
	v_mov_b32_e32 v14, 0
	v_mov_b32_e32 v12, 0
	v_cmp_gt_u32_e64 s[8:9], 64, v18
	s_waitcnt lgkmcnt(0)
	s_barrier
	buffer_wbinvl1_vol
	s_and_saveexec_b64 s[18:19], s[8:9]
	s_cbranch_execz .LBB78_138
; %bb.129:
	v_lshlrev_b32_e32 v26, 9, v23
	v_lshlrev_b32_e32 v25, 4, v22
	ds_read_b128 v[11:14], v26 offset:12672
	ds_read_b128 v[27:30], v25 offset:12544
	v_cmp_gt_u32_e64 s[14:15], 56, v18
	s_waitcnt lgkmcnt(0)
	v_mul_f64 v[31:32], v[13:14], v[29:30]
	v_mul_f64 v[29:30], v[11:12], v[29:30]
	v_fma_f64 v[11:12], v[11:12], v[27:28], -v[31:32]
	v_fma_f64 v[13:14], v[13:14], v[27:28], v[29:30]
	v_add_f64 v[11:12], v[11:12], 0
	v_add_f64 v[13:14], v[13:14], 0
	s_and_saveexec_b64 s[58:59], s[14:15]
	s_cbranch_execnz .LBB78_553
; %bb.130:
	s_or_b64 exec, exec, s[58:59]
	v_cmp_gt_u32_e64 s[14:15], 48, v18
	s_and_saveexec_b64 s[58:59], s[14:15]
	s_cbranch_execnz .LBB78_554
.LBB78_131:
	s_or_b64 exec, exec, s[58:59]
	v_cmp_gt_u32_e64 s[14:15], 40, v18
	s_and_saveexec_b64 s[58:59], s[14:15]
	s_cbranch_execnz .LBB78_555
.LBB78_132:
	s_or_b64 exec, exec, s[58:59]
	v_cmp_gt_u32_e64 s[14:15], 32, v18
	s_and_saveexec_b64 s[58:59], s[14:15]
	s_cbranch_execnz .LBB78_556
.LBB78_133:
	s_or_b64 exec, exec, s[58:59]
	v_cmp_gt_u32_e64 s[14:15], 24, v18
	s_and_saveexec_b64 s[58:59], s[14:15]
	s_cbranch_execnz .LBB78_557
.LBB78_134:
	s_or_b64 exec, exec, s[58:59]
	s_and_saveexec_b64 s[14:15], s[16:17]
	s_cbranch_execnz .LBB78_558
.LBB78_135:
	s_or_b64 exec, exec, s[14:15]
	v_cmp_gt_u32_e64 s[14:15], 8, v18
	s_and_saveexec_b64 s[58:59], s[14:15]
	s_cbranch_execz .LBB78_137
.LBB78_136:
	v_lshlrev_b32_e32 v29, 4, v0
	v_mov_b32_e32 v25, 0
	ds_read_b128 v[25:28], v25 offset:16368
	ds_read_b128 v[29:32], v29 offset:16128
	s_waitcnt lgkmcnt(0)
	v_mul_f64 v[33:34], v[27:28], v[31:32]
	v_mul_f64 v[31:32], v[25:26], v[31:32]
	v_fma_f64 v[25:26], v[25:26], v[29:30], -v[33:34]
	v_fma_f64 v[27:28], v[27:28], v[29:30], v[31:32]
	v_add_f64 v[11:12], v[11:12], v[25:26]
	v_add_f64 v[13:14], v[13:14], v[27:28]
.LBB78_137:
	s_or_b64 exec, exec, s[58:59]
.LBB78_138:
	s_or_b64 exec, exec, s[18:19]
	v_mov_b32_e32 v25, 0x4000
	v_cmp_eq_u32_e64 s[14:15], 7, v22
	s_xor_b64 s[18:19], s[12:13], -1
	v_lshl_add_u32 v24, v24, 4, v25
	s_and_b64 s[60:61], s[14:15], s[18:19]
	s_and_saveexec_b64 s[12:13], s[60:61]
	s_cbranch_execz .LBB78_140
; %bb.139:
	v_mov_b32_e32 v25, 0
	ds_read_b128 v[25:28], v25 offset:12144
	s_waitcnt lgkmcnt(0)
	v_mul_f64 v[29:30], v[13:14], v[27:28]
	v_mul_f64 v[27:28], v[11:12], v[27:28]
	v_fma_f64 v[11:12], v[11:12], v[25:26], -v[29:30]
	v_fma_f64 v[13:14], v[13:14], v[25:26], v[27:28]
	v_xor_b32_e32 v26, 0x80000000, v12
	v_xor_b32_e32 v28, 0x80000000, v14
	v_mov_b32_e32 v25, v11
	v_mov_b32_e32 v27, v13
	ds_write_b128 v24, v[25:28]
.LBB78_140:
	s_or_b64 exec, exec, s[12:13]
	v_cmp_ne_u32_e64 s[12:13], 7, v22
	s_and_b64 s[62:63], s[12:13], s[18:19]
	s_waitcnt lgkmcnt(0)
	s_barrier
	s_and_saveexec_b64 s[12:13], s[62:63]
	s_cbranch_execz .LBB78_142
; %bb.141:
	v_lshlrev_b32_e32 v29, 4, v22
	ds_read_b128 v[25:28], v24
	ds_read_b128 v[29:32], v29 offset:12032
	s_waitcnt lgkmcnt(0)
	v_mul_f64 v[33:34], v[27:28], v[31:32]
	v_mul_f64 v[31:32], v[25:26], v[31:32]
	v_fma_f64 v[25:26], v[25:26], v[29:30], -v[33:34]
	v_fma_f64 v[27:28], v[27:28], v[29:30], v[31:32]
	v_add_f64 v[11:12], v[11:12], -v[25:26]
	v_add_f64 v[13:14], v[13:14], -v[27:28]
.LBB78_142:
	s_or_b64 exec, exec, s[12:13]
	v_cmp_eq_u32_e64 s[12:13], 6, v22
	s_and_b64 s[64:65], s[12:13], s[18:19]
	s_barrier
	s_and_saveexec_b64 s[12:13], s[64:65]
	s_cbranch_execz .LBB78_144
; %bb.143:
	v_mov_b32_e32 v25, 0
	ds_read_b128 v[25:28], v25 offset:11616
	s_waitcnt lgkmcnt(0)
	v_mul_f64 v[29:30], v[13:14], v[27:28]
	v_mul_f64 v[27:28], v[11:12], v[27:28]
	v_fma_f64 v[11:12], v[11:12], v[25:26], -v[29:30]
	v_fma_f64 v[13:14], v[13:14], v[25:26], v[27:28]
	v_xor_b32_e32 v26, 0x80000000, v12
	v_xor_b32_e32 v28, 0x80000000, v14
	v_mov_b32_e32 v25, v11
	v_mov_b32_e32 v27, v13
	ds_write_b128 v24, v[25:28]
.LBB78_144:
	s_or_b64 exec, exec, s[12:13]
	v_cmp_gt_u32_e64 s[12:13], 6, v22
	s_and_b64 s[66:67], s[12:13], s[18:19]
	s_waitcnt lgkmcnt(0)
	s_barrier
	s_and_saveexec_b64 s[12:13], s[66:67]
	s_cbranch_execz .LBB78_146
; %bb.145:
	v_lshlrev_b32_e32 v29, 4, v22
	ds_read_b128 v[25:28], v24
	ds_read_b128 v[29:32], v29 offset:11520
	s_waitcnt lgkmcnt(0)
	v_mul_f64 v[33:34], v[27:28], v[31:32]
	v_mul_f64 v[31:32], v[25:26], v[31:32]
	v_fma_f64 v[25:26], v[25:26], v[29:30], -v[33:34]
	v_fma_f64 v[27:28], v[27:28], v[29:30], v[31:32]
	v_add_f64 v[11:12], v[11:12], -v[25:26]
	v_add_f64 v[13:14], v[13:14], -v[27:28]
.LBB78_146:
	s_or_b64 exec, exec, s[12:13]
	v_cmp_eq_u32_e64 s[12:13], 5, v22
	s_and_b64 s[68:69], s[12:13], s[18:19]
	s_barrier
	s_and_saveexec_b64 s[12:13], s[68:69]
	s_cbranch_execz .LBB78_148
; %bb.147:
	v_mov_b32_e32 v25, 0
	ds_read_b128 v[25:28], v25 offset:11088
	s_waitcnt lgkmcnt(0)
	v_mul_f64 v[29:30], v[13:14], v[27:28]
	v_mul_f64 v[27:28], v[11:12], v[27:28]
	v_fma_f64 v[11:12], v[11:12], v[25:26], -v[29:30]
	v_fma_f64 v[13:14], v[13:14], v[25:26], v[27:28]
	v_xor_b32_e32 v26, 0x80000000, v12
	v_xor_b32_e32 v28, 0x80000000, v14
	v_mov_b32_e32 v25, v11
	v_mov_b32_e32 v27, v13
	ds_write_b128 v24, v[25:28]
.LBB78_148:
	s_or_b64 exec, exec, s[12:13]
	v_cmp_gt_u32_e64 s[12:13], 5, v22
	;; [unrolled: 39-line block ×5, first 2 shown]
	s_and_b64 s[82:83], s[12:13], s[18:19]
	s_waitcnt lgkmcnt(0)
	s_barrier
	s_and_saveexec_b64 s[12:13], s[82:83]
	s_cbranch_execz .LBB78_162
; %bb.161:
	v_lshlrev_b32_e32 v29, 4, v22
	ds_read_b128 v[25:28], v24
	ds_read_b128 v[29:32], v29 offset:9472
	s_waitcnt lgkmcnt(0)
	v_mul_f64 v[33:34], v[27:28], v[31:32]
	v_mul_f64 v[31:32], v[25:26], v[31:32]
	v_fma_f64 v[25:26], v[25:26], v[29:30], -v[33:34]
	v_fma_f64 v[27:28], v[27:28], v[29:30], v[31:32]
	v_add_f64 v[11:12], v[11:12], -v[25:26]
	v_add_f64 v[13:14], v[13:14], -v[27:28]
.LBB78_162:
	s_or_b64 exec, exec, s[12:13]
	v_cmp_eq_u32_e64 s[12:13], 1, v22
	s_and_b64 s[84:85], s[12:13], s[18:19]
	s_barrier
	s_and_saveexec_b64 s[12:13], s[84:85]
	s_cbranch_execz .LBB78_164
; %bb.163:
	v_mov_b32_e32 v25, 0
	ds_read_b128 v[25:28], v25 offset:8976
	s_waitcnt lgkmcnt(0)
	v_mul_f64 v[29:30], v[13:14], v[27:28]
	v_mul_f64 v[27:28], v[11:12], v[27:28]
	v_fma_f64 v[11:12], v[11:12], v[25:26], -v[29:30]
	v_fma_f64 v[13:14], v[13:14], v[25:26], v[27:28]
	v_xor_b32_e32 v26, 0x80000000, v12
	v_xor_b32_e32 v28, 0x80000000, v14
	v_mov_b32_e32 v25, v11
	v_mov_b32_e32 v27, v13
	ds_write_b128 v24, v[25:28]
.LBB78_164:
	s_or_b64 exec, exec, s[12:13]
	v_cmp_eq_u32_e64 s[12:13], 0, v22
	s_and_b64 s[58:59], s[12:13], s[18:19]
	s_waitcnt lgkmcnt(0)
	s_barrier
	s_and_saveexec_b64 s[12:13], s[58:59]
	s_cbranch_execz .LBB78_166
; %bb.165:
	v_mov_b32_e32 v29, 0
	ds_read_b128 v[25:28], v24
	ds_read_b128 v[29:32], v29 offset:8960
	s_waitcnt lgkmcnt(0)
	v_mul_f64 v[33:34], v[27:28], v[31:32]
	v_mul_f64 v[31:32], v[25:26], v[31:32]
	v_fma_f64 v[25:26], v[25:26], v[29:30], -v[33:34]
	v_fma_f64 v[27:28], v[27:28], v[29:30], v[31:32]
	v_add_f64 v[11:12], v[11:12], -v[25:26]
	v_add_f64 v[13:14], v[13:14], -v[27:28]
.LBB78_166:
	s_or_b64 exec, exec, s[12:13]
	s_barrier
	s_and_saveexec_b64 s[12:13], s[58:59]
	s_cbranch_execz .LBB78_168
; %bb.167:
	v_mov_b32_e32 v25, 0
	ds_read_b128 v[25:28], v25 offset:8448
	s_waitcnt lgkmcnt(0)
	v_mul_f64 v[29:30], v[13:14], v[27:28]
	v_mul_f64 v[27:28], v[11:12], v[27:28]
	v_fma_f64 v[11:12], v[11:12], v[25:26], -v[29:30]
	v_fma_f64 v[13:14], v[13:14], v[25:26], v[27:28]
	v_xor_b32_e32 v26, 0x80000000, v12
	v_xor_b32_e32 v28, 0x80000000, v14
	v_mov_b32_e32 v25, v11
	v_mov_b32_e32 v27, v13
	ds_write_b128 v24, v[25:28]
.LBB78_168:
	s_or_b64 exec, exec, s[12:13]
	s_waitcnt lgkmcnt(0)
	s_barrier
	s_barrier
	s_and_saveexec_b64 s[12:13], s[8:9]
; %bb.169:
	v_lshlrev_b32_e32 v25, 4, v22
	v_lshl_or_b32 v25, v23, 9, v25
	ds_write_b128 v25, v[11:14] offset:12544
; %bb.170:
	s_or_b64 exec, exec, s[12:13]
	v_cmp_gt_u32_e64 s[12:13], 8, v0
	s_and_b64 s[86:87], s[10:11], s[12:13]
	s_waitcnt lgkmcnt(0)
	s_barrier
	s_barrier
	s_and_saveexec_b64 s[12:13], s[86:87]
	s_cbranch_execz .LBB78_172
; %bb.171:
	v_lshlrev_b32_e32 v25, 9, v0
	ds_read_b128 v[11:14], v25 offset:12544
	s_movk_i32 s14, 0xfe10
	v_mad_i32_i24 v26, v0, s14, v25
	s_waitcnt lgkmcnt(0)
	ds_write_b128 v26, v[11:14] offset:8576
	ds_read_b128 v[11:14], v25 offset:12560
	s_waitcnt lgkmcnt(0)
	ds_write_b128 v26, v[11:14] offset:9088
	ds_read_b128 v[11:14], v25 offset:12576
	;; [unrolled: 3-line block ×7, first 2 shown]
	s_waitcnt lgkmcnt(0)
	ds_write_b128 v26, v[11:14] offset:12160
.LBB78_172:
	s_or_b64 exec, exec, s[12:13]
	s_waitcnt lgkmcnt(0)
	s_barrier
	s_and_saveexec_b64 s[12:13], vcc
	s_cbranch_execz .LBB78_174
; %bb.173:
	v_mov_b32_e32 v35, 0
	ds_read_b128 v[11:14], v35 offset:12144
	ds_read_b128 v[25:28], v35 offset:11616
	;; [unrolled: 1-line block ×3, first 2 shown]
	s_waitcnt lgkmcnt(1)
	v_mul_f64 v[33:34], v[11:12], v[27:28]
	v_mul_f64 v[27:28], v[13:14], v[27:28]
	v_fma_f64 v[13:14], v[13:14], v[25:26], v[33:34]
	v_fma_f64 v[11:12], v[11:12], v[25:26], -v[27:28]
	s_waitcnt lgkmcnt(0)
	v_mul_f64 v[25:26], v[13:14], v[31:32]
	v_mul_f64 v[27:28], v[11:12], v[31:32]
	v_fma_f64 v[11:12], v[29:30], v[11:12], -v[25:26]
	v_fma_f64 v[13:14], v[29:30], v[13:14], v[27:28]
	ds_write_b128 v35, v[11:14] offset:12128
	ds_write_b128 v35, v[11:14] offset:11632
.LBB78_174:
	s_or_b64 exec, exec, s[12:13]
	v_mov_b32_e32 v11, 0
	v_mov_b32_e32 v13, 0
	;; [unrolled: 1-line block ×4, first 2 shown]
	s_waitcnt lgkmcnt(0)
	s_barrier
	buffer_wbinvl1_vol
	s_and_saveexec_b64 s[14:15], s[2:3]
	s_cbranch_execz .LBB78_178
; %bb.175:
	v_lshlrev_b32_e32 v25, 4, v15
	v_lshlrev_b32_e32 v11, 9, v16
	ds_read_b128 v[11:14], v11 offset:11616
	ds_read_b128 v[25:28], v25 offset:11584
	v_cmp_gt_u32_e64 s[12:13], 2, v18
	s_waitcnt lgkmcnt(0)
	v_mul_f64 v[29:30], v[13:14], v[27:28]
	v_mul_f64 v[27:28], v[11:12], v[27:28]
	v_fma_f64 v[11:12], v[11:12], v[25:26], -v[29:30]
	v_fma_f64 v[13:14], v[13:14], v[25:26], v[27:28]
	v_add_f64 v[11:12], v[11:12], 0
	v_add_f64 v[13:14], v[13:14], 0
	s_and_saveexec_b64 s[18:19], s[12:13]
	s_cbranch_execz .LBB78_177
; %bb.176:
	v_lshlrev_b32_e32 v29, 4, v0
	v_mov_b32_e32 v25, 0
	ds_read_b128 v[25:28], v25 offset:12144
	ds_read_b128 v[29:32], v29 offset:12096
	s_waitcnt lgkmcnt(0)
	v_mul_f64 v[33:34], v[27:28], v[31:32]
	v_mul_f64 v[31:32], v[25:26], v[31:32]
	v_fma_f64 v[25:26], v[25:26], v[29:30], -v[33:34]
	v_fma_f64 v[27:28], v[27:28], v[29:30], v[31:32]
	v_add_f64 v[11:12], v[11:12], v[25:26]
	v_add_f64 v[13:14], v[13:14], v[27:28]
.LBB78_177:
	s_or_b64 exec, exec, s[18:19]
.LBB78_178:
	s_or_b64 exec, exec, s[14:15]
	s_and_saveexec_b64 s[12:13], s[40:41]
	s_cbranch_execz .LBB78_180
; %bb.179:
	v_mov_b32_e32 v25, 0
	ds_read_b128 v[25:28], v25 offset:11088
	s_waitcnt lgkmcnt(0)
	v_mul_f64 v[29:30], v[13:14], v[27:28]
	v_mul_f64 v[27:28], v[11:12], v[27:28]
	v_fma_f64 v[11:12], v[11:12], v[25:26], -v[29:30]
	v_fma_f64 v[13:14], v[13:14], v[25:26], v[27:28]
	v_xor_b32_e32 v26, 0x80000000, v12
	v_xor_b32_e32 v28, 0x80000000, v14
	v_mov_b32_e32 v25, v11
	v_mov_b32_e32 v27, v13
	ds_write_b128 v17, v[25:28]
.LBB78_180:
	s_or_b64 exec, exec, s[12:13]
	s_waitcnt lgkmcnt(0)
	s_barrier
	s_and_saveexec_b64 s[12:13], s[24:25]
	s_cbranch_execz .LBB78_182
; %bb.181:
	v_mov_b32_e32 v29, 0
	ds_read_b128 v[25:28], v17
	ds_read_b128 v[29:32], v29 offset:11072
	s_waitcnt lgkmcnt(0)
	v_mul_f64 v[33:34], v[27:28], v[31:32]
	v_mul_f64 v[31:32], v[25:26], v[31:32]
	v_fma_f64 v[25:26], v[25:26], v[29:30], -v[33:34]
	v_fma_f64 v[27:28], v[27:28], v[29:30], v[31:32]
	v_add_f64 v[11:12], v[11:12], -v[25:26]
	v_add_f64 v[13:14], v[13:14], -v[27:28]
.LBB78_182:
	s_or_b64 exec, exec, s[12:13]
	s_barrier
	s_and_saveexec_b64 s[12:13], s[24:25]
	s_cbranch_execz .LBB78_184
; %bb.183:
	v_mov_b32_e32 v25, 0
	ds_read_b128 v[25:28], v25 offset:10560
	s_waitcnt lgkmcnt(0)
	v_mul_f64 v[29:30], v[13:14], v[27:28]
	v_mul_f64 v[27:28], v[11:12], v[27:28]
	v_fma_f64 v[11:12], v[11:12], v[25:26], -v[29:30]
	v_fma_f64 v[13:14], v[13:14], v[25:26], v[27:28]
	v_xor_b32_e32 v26, 0x80000000, v12
	v_xor_b32_e32 v28, 0x80000000, v14
	v_mov_b32_e32 v25, v11
	v_mov_b32_e32 v27, v13
	ds_write_b128 v17, v[25:28]
.LBB78_184:
	s_or_b64 exec, exec, s[12:13]
	s_waitcnt lgkmcnt(0)
	s_barrier
	s_barrier
	s_and_saveexec_b64 s[12:13], s[2:3]
; %bb.185:
	v_lshlrev_b32_e32 v25, 4, v15
	v_lshl_or_b32 v25, v16, 9, v25
	ds_write_b128 v25, v[11:14] offset:11584
; %bb.186:
	s_or_b64 exec, exec, s[12:13]
	s_waitcnt lgkmcnt(0)
	s_barrier
	s_barrier
	s_and_saveexec_b64 s[12:13], s[42:43]
	s_cbranch_execz .LBB78_188
; %bb.187:
	v_lshlrev_b32_e32 v25, 9, v0
	ds_read_b128 v[11:14], v25 offset:11584
	s_movk_i32 s14, 0xfe10
	v_mad_i32_i24 v26, v0, s14, v25
	s_waitcnt lgkmcnt(0)
	ds_write_b128 v26, v[11:14] offset:10592
	ds_read_b128 v[11:14], v25 offset:11600
	s_waitcnt lgkmcnt(0)
	ds_write_b128 v26, v[11:14] offset:11104
.LBB78_188:
	s_or_b64 exec, exec, s[12:13]
	s_waitcnt lgkmcnt(0)
	s_barrier
	s_and_saveexec_b64 s[12:13], vcc
	s_cbranch_execz .LBB78_190
; %bb.189:
	v_mov_b32_e32 v35, 0
	ds_read_b128 v[11:14], v35 offset:11088
	ds_read_b128 v[25:28], v35 offset:10560
	;; [unrolled: 1-line block ×3, first 2 shown]
	s_waitcnt lgkmcnt(1)
	v_mul_f64 v[33:34], v[11:12], v[27:28]
	v_mul_f64 v[27:28], v[13:14], v[27:28]
	v_fma_f64 v[13:14], v[13:14], v[25:26], v[33:34]
	v_fma_f64 v[11:12], v[11:12], v[25:26], -v[27:28]
	s_waitcnt lgkmcnt(0)
	v_mul_f64 v[25:26], v[13:14], v[31:32]
	v_mul_f64 v[27:28], v[11:12], v[31:32]
	v_fma_f64 v[11:12], v[29:30], v[11:12], -v[25:26]
	v_fma_f64 v[13:14], v[29:30], v[13:14], v[27:28]
	ds_write_b128 v35, v[11:14] offset:11072
	ds_write_b128 v35, v[11:14] offset:10576
.LBB78_190:
	s_or_b64 exec, exec, s[12:13]
	v_mov_b32_e32 v13, 0
	v_mov_b32_e32 v11, 0
	;; [unrolled: 1-line block ×4, first 2 shown]
	s_waitcnt lgkmcnt(0)
	s_barrier
	buffer_wbinvl1_vol
	s_and_saveexec_b64 s[14:15], s[16:17]
	s_cbranch_execz .LBB78_196
; %bb.191:
	v_lshlrev_b32_e32 v26, 9, v20
	v_lshlrev_b32_e32 v25, 4, v19
	ds_read_b128 v[11:14], v26 offset:10560
	ds_read_b128 v[27:30], v25 offset:10496
	v_cmp_gt_u32_e64 s[12:13], 12, v18
	s_waitcnt lgkmcnt(0)
	v_mul_f64 v[31:32], v[13:14], v[29:30]
	v_mul_f64 v[29:30], v[11:12], v[29:30]
	v_fma_f64 v[11:12], v[11:12], v[27:28], -v[31:32]
	v_fma_f64 v[13:14], v[13:14], v[27:28], v[29:30]
	v_add_f64 v[11:12], v[11:12], 0
	v_add_f64 v[13:14], v[13:14], 0
	s_and_saveexec_b64 s[18:19], s[12:13]
	s_cbranch_execnz .LBB78_559
; %bb.192:
	s_or_b64 exec, exec, s[18:19]
	v_cmp_gt_u32_e64 s[12:13], 8, v18
	s_and_saveexec_b64 s[18:19], s[12:13]
	s_cbranch_execnz .LBB78_560
.LBB78_193:
	s_or_b64 exec, exec, s[18:19]
	v_cmp_gt_u32_e64 s[12:13], 4, v18
	s_and_saveexec_b64 s[18:19], s[12:13]
	s_cbranch_execz .LBB78_195
.LBB78_194:
	v_lshlrev_b32_e32 v29, 4, v0
	v_mov_b32_e32 v25, 0
	ds_read_b128 v[25:28], v25 offset:12144
	ds_read_b128 v[29:32], v29 offset:12032
	s_waitcnt lgkmcnt(0)
	v_mul_f64 v[33:34], v[27:28], v[31:32]
	v_mul_f64 v[31:32], v[25:26], v[31:32]
	v_fma_f64 v[25:26], v[25:26], v[29:30], -v[33:34]
	v_fma_f64 v[27:28], v[27:28], v[29:30], v[31:32]
	v_add_f64 v[11:12], v[11:12], v[25:26]
	v_add_f64 v[13:14], v[13:14], v[27:28]
.LBB78_195:
	s_or_b64 exec, exec, s[18:19]
.LBB78_196:
	s_or_b64 exec, exec, s[14:15]
	s_and_saveexec_b64 s[12:13], s[46:47]
	s_cbranch_execz .LBB78_198
; %bb.197:
	v_mov_b32_e32 v25, 0
	ds_read_b128 v[25:28], v25 offset:10032
	s_waitcnt lgkmcnt(0)
	v_mul_f64 v[29:30], v[13:14], v[27:28]
	v_mul_f64 v[27:28], v[11:12], v[27:28]
	v_fma_f64 v[11:12], v[11:12], v[25:26], -v[29:30]
	v_fma_f64 v[13:14], v[13:14], v[25:26], v[27:28]
	v_xor_b32_e32 v26, 0x80000000, v12
	v_xor_b32_e32 v28, 0x80000000, v14
	v_mov_b32_e32 v25, v11
	v_mov_b32_e32 v27, v13
	ds_write_b128 v21, v[25:28]
.LBB78_198:
	s_or_b64 exec, exec, s[12:13]
	s_waitcnt lgkmcnt(0)
	s_barrier
	s_and_saveexec_b64 s[12:13], s[48:49]
	s_cbranch_execz .LBB78_200
; %bb.199:
	v_lshlrev_b32_e32 v29, 4, v19
	ds_read_b128 v[25:28], v21
	ds_read_b128 v[29:32], v29 offset:9984
	s_waitcnt lgkmcnt(0)
	v_mul_f64 v[33:34], v[27:28], v[31:32]
	v_mul_f64 v[31:32], v[25:26], v[31:32]
	v_fma_f64 v[25:26], v[25:26], v[29:30], -v[33:34]
	v_fma_f64 v[27:28], v[27:28], v[29:30], v[31:32]
	v_add_f64 v[11:12], v[11:12], -v[25:26]
	v_add_f64 v[13:14], v[13:14], -v[27:28]
.LBB78_200:
	s_or_b64 exec, exec, s[12:13]
	s_barrier
	s_and_saveexec_b64 s[12:13], s[50:51]
	s_cbranch_execz .LBB78_202
; %bb.201:
	v_mov_b32_e32 v25, 0
	ds_read_b128 v[25:28], v25 offset:9504
	s_waitcnt lgkmcnt(0)
	v_mul_f64 v[29:30], v[13:14], v[27:28]
	v_mul_f64 v[27:28], v[11:12], v[27:28]
	v_fma_f64 v[11:12], v[11:12], v[25:26], -v[29:30]
	v_fma_f64 v[13:14], v[13:14], v[25:26], v[27:28]
	v_xor_b32_e32 v26, 0x80000000, v12
	v_xor_b32_e32 v28, 0x80000000, v14
	v_mov_b32_e32 v25, v11
	v_mov_b32_e32 v27, v13
	ds_write_b128 v21, v[25:28]
.LBB78_202:
	s_or_b64 exec, exec, s[12:13]
	s_waitcnt lgkmcnt(0)
	s_barrier
	s_and_saveexec_b64 s[12:13], s[52:53]
	s_cbranch_execz .LBB78_204
; %bb.203:
	v_lshlrev_b32_e32 v29, 4, v19
	ds_read_b128 v[25:28], v21
	ds_read_b128 v[29:32], v29 offset:9472
	s_waitcnt lgkmcnt(0)
	v_mul_f64 v[33:34], v[27:28], v[31:32]
	v_mul_f64 v[31:32], v[25:26], v[31:32]
	v_fma_f64 v[25:26], v[25:26], v[29:30], -v[33:34]
	v_fma_f64 v[27:28], v[27:28], v[29:30], v[31:32]
	v_add_f64 v[11:12], v[11:12], -v[25:26]
	v_add_f64 v[13:14], v[13:14], -v[27:28]
.LBB78_204:
	s_or_b64 exec, exec, s[12:13]
	s_barrier
	s_and_saveexec_b64 s[12:13], s[54:55]
	s_cbranch_execz .LBB78_206
; %bb.205:
	v_mov_b32_e32 v25, 0
	ds_read_b128 v[25:28], v25 offset:8976
	s_waitcnt lgkmcnt(0)
	v_mul_f64 v[29:30], v[13:14], v[27:28]
	v_mul_f64 v[27:28], v[11:12], v[27:28]
	v_fma_f64 v[11:12], v[11:12], v[25:26], -v[29:30]
	v_fma_f64 v[13:14], v[13:14], v[25:26], v[27:28]
	v_xor_b32_e32 v26, 0x80000000, v12
	v_xor_b32_e32 v28, 0x80000000, v14
	v_mov_b32_e32 v25, v11
	v_mov_b32_e32 v27, v13
	ds_write_b128 v21, v[25:28]
.LBB78_206:
	s_or_b64 exec, exec, s[12:13]
	s_waitcnt lgkmcnt(0)
	s_barrier
	s_and_saveexec_b64 s[12:13], s[44:45]
	s_cbranch_execz .LBB78_208
; %bb.207:
	v_mov_b32_e32 v29, 0
	ds_read_b128 v[25:28], v21
	ds_read_b128 v[29:32], v29 offset:8960
	s_waitcnt lgkmcnt(0)
	v_mul_f64 v[33:34], v[27:28], v[31:32]
	v_mul_f64 v[31:32], v[25:26], v[31:32]
	v_fma_f64 v[25:26], v[25:26], v[29:30], -v[33:34]
	v_fma_f64 v[27:28], v[27:28], v[29:30], v[31:32]
	v_add_f64 v[11:12], v[11:12], -v[25:26]
	v_add_f64 v[13:14], v[13:14], -v[27:28]
.LBB78_208:
	s_or_b64 exec, exec, s[12:13]
	s_barrier
	s_and_saveexec_b64 s[12:13], s[44:45]
	s_cbranch_execz .LBB78_210
; %bb.209:
	v_mov_b32_e32 v25, 0
	ds_read_b128 v[25:28], v25 offset:8448
	s_waitcnt lgkmcnt(0)
	v_mul_f64 v[29:30], v[13:14], v[27:28]
	v_mul_f64 v[27:28], v[11:12], v[27:28]
	v_fma_f64 v[11:12], v[11:12], v[25:26], -v[29:30]
	v_fma_f64 v[13:14], v[13:14], v[25:26], v[27:28]
	v_xor_b32_e32 v26, 0x80000000, v12
	v_xor_b32_e32 v28, 0x80000000, v14
	v_mov_b32_e32 v25, v11
	v_mov_b32_e32 v27, v13
	ds_write_b128 v21, v[25:28]
.LBB78_210:
	s_or_b64 exec, exec, s[12:13]
	s_waitcnt lgkmcnt(0)
	s_barrier
	s_barrier
	s_and_saveexec_b64 s[12:13], s[16:17]
; %bb.211:
	v_lshlrev_b32_e32 v25, 4, v19
	v_lshl_or_b32 v25, v20, 9, v25
	ds_write_b128 v25, v[11:14] offset:10496
; %bb.212:
	s_or_b64 exec, exec, s[12:13]
	s_waitcnt lgkmcnt(0)
	s_barrier
	s_barrier
	s_and_saveexec_b64 s[12:13], s[56:57]
	s_cbranch_execz .LBB78_214
; %bb.213:
	v_lshlrev_b32_e32 v25, 4, v0
	s_movk_i32 s14, 0x1f0
	v_mad_u32_u24 v26, v0, s14, v25
	ds_read_b128 v[11:14], v26 offset:10496
	s_waitcnt lgkmcnt(0)
	ds_write_b128 v25, v[11:14] offset:8512
	ds_read_b128 v[11:14], v26 offset:10512
	s_waitcnt lgkmcnt(0)
	ds_write_b128 v25, v[11:14] offset:9024
	;; [unrolled: 3-line block ×4, first 2 shown]
.LBB78_214:
	s_or_b64 exec, exec, s[12:13]
	s_waitcnt lgkmcnt(0)
	s_barrier
	s_and_saveexec_b64 s[12:13], vcc
	s_cbranch_execz .LBB78_216
; %bb.215:
	v_mov_b32_e32 v35, 0
	ds_read_b128 v[11:14], v35 offset:10032
	ds_read_b128 v[25:28], v35 offset:9504
	;; [unrolled: 1-line block ×3, first 2 shown]
	s_waitcnt lgkmcnt(1)
	v_mul_f64 v[33:34], v[11:12], v[27:28]
	v_mul_f64 v[27:28], v[13:14], v[27:28]
	v_fma_f64 v[13:14], v[13:14], v[25:26], v[33:34]
	v_fma_f64 v[11:12], v[11:12], v[25:26], -v[27:28]
	s_waitcnt lgkmcnt(0)
	v_mul_f64 v[25:26], v[13:14], v[31:32]
	v_mul_f64 v[27:28], v[11:12], v[31:32]
	v_fma_f64 v[11:12], v[29:30], v[11:12], -v[25:26]
	v_fma_f64 v[13:14], v[29:30], v[13:14], v[27:28]
	ds_write_b128 v35, v[11:14] offset:10016
	ds_write_b128 v35, v[11:14] offset:9520
.LBB78_216:
	s_or_b64 exec, exec, s[12:13]
	v_mov_b32_e32 v11, 0
	v_mov_b32_e32 v13, 0
	;; [unrolled: 1-line block ×4, first 2 shown]
	s_waitcnt lgkmcnt(0)
	s_barrier
	buffer_wbinvl1_vol
	s_and_saveexec_b64 s[14:15], s[2:3]
	s_cbranch_execz .LBB78_220
; %bb.217:
	v_lshlrev_b32_e32 v25, 4, v15
	v_lshlrev_b32_e32 v11, 9, v16
	ds_read_b128 v[11:14], v11 offset:9504
	ds_read_b128 v[25:28], v25 offset:9472
	v_cmp_gt_u32_e64 s[12:13], 2, v18
	s_waitcnt lgkmcnt(0)
	v_mul_f64 v[29:30], v[13:14], v[27:28]
	v_mul_f64 v[27:28], v[11:12], v[27:28]
	v_fma_f64 v[11:12], v[11:12], v[25:26], -v[29:30]
	v_fma_f64 v[13:14], v[13:14], v[25:26], v[27:28]
	v_add_f64 v[11:12], v[11:12], 0
	v_add_f64 v[13:14], v[13:14], 0
	s_and_saveexec_b64 s[18:19], s[12:13]
	s_cbranch_execz .LBB78_219
; %bb.218:
	v_lshlrev_b32_e32 v29, 4, v0
	v_mov_b32_e32 v25, 0
	ds_read_b128 v[25:28], v25 offset:10032
	ds_read_b128 v[29:32], v29 offset:9984
	s_waitcnt lgkmcnt(0)
	v_mul_f64 v[33:34], v[27:28], v[31:32]
	v_mul_f64 v[31:32], v[25:26], v[31:32]
	v_fma_f64 v[25:26], v[25:26], v[29:30], -v[33:34]
	v_fma_f64 v[27:28], v[27:28], v[29:30], v[31:32]
	v_add_f64 v[11:12], v[11:12], v[25:26]
	v_add_f64 v[13:14], v[13:14], v[27:28]
.LBB78_219:
	s_or_b64 exec, exec, s[18:19]
.LBB78_220:
	s_or_b64 exec, exec, s[14:15]
	s_and_saveexec_b64 s[12:13], s[40:41]
	s_cbranch_execz .LBB78_222
; %bb.221:
	v_mov_b32_e32 v25, 0
	ds_read_b128 v[25:28], v25 offset:8976
	s_waitcnt lgkmcnt(0)
	v_mul_f64 v[29:30], v[13:14], v[27:28]
	v_mul_f64 v[27:28], v[11:12], v[27:28]
	v_fma_f64 v[11:12], v[11:12], v[25:26], -v[29:30]
	v_fma_f64 v[13:14], v[13:14], v[25:26], v[27:28]
	v_xor_b32_e32 v26, 0x80000000, v12
	v_xor_b32_e32 v28, 0x80000000, v14
	v_mov_b32_e32 v25, v11
	v_mov_b32_e32 v27, v13
	ds_write_b128 v17, v[25:28]
.LBB78_222:
	s_or_b64 exec, exec, s[12:13]
	s_waitcnt lgkmcnt(0)
	s_barrier
	s_and_saveexec_b64 s[12:13], s[24:25]
	s_cbranch_execz .LBB78_224
; %bb.223:
	v_mov_b32_e32 v29, 0
	ds_read_b128 v[25:28], v17
	ds_read_b128 v[29:32], v29 offset:8960
	s_waitcnt lgkmcnt(0)
	v_mul_f64 v[33:34], v[27:28], v[31:32]
	v_mul_f64 v[31:32], v[25:26], v[31:32]
	v_fma_f64 v[25:26], v[25:26], v[29:30], -v[33:34]
	v_fma_f64 v[27:28], v[27:28], v[29:30], v[31:32]
	v_add_f64 v[11:12], v[11:12], -v[25:26]
	v_add_f64 v[13:14], v[13:14], -v[27:28]
.LBB78_224:
	s_or_b64 exec, exec, s[12:13]
	s_barrier
	s_and_saveexec_b64 s[12:13], s[24:25]
	s_cbranch_execz .LBB78_226
; %bb.225:
	v_mov_b32_e32 v25, 0
	ds_read_b128 v[25:28], v25 offset:8448
	s_waitcnt lgkmcnt(0)
	v_mul_f64 v[29:30], v[13:14], v[27:28]
	v_mul_f64 v[27:28], v[11:12], v[27:28]
	v_fma_f64 v[11:12], v[11:12], v[25:26], -v[29:30]
	v_fma_f64 v[13:14], v[13:14], v[25:26], v[27:28]
	v_xor_b32_e32 v26, 0x80000000, v12
	v_xor_b32_e32 v28, 0x80000000, v14
	v_mov_b32_e32 v25, v11
	v_mov_b32_e32 v27, v13
	ds_write_b128 v17, v[25:28]
.LBB78_226:
	s_or_b64 exec, exec, s[12:13]
	s_waitcnt lgkmcnt(0)
	s_barrier
	s_barrier
	s_and_saveexec_b64 s[12:13], s[2:3]
; %bb.227:
	v_lshlrev_b32_e32 v25, 4, v15
	v_lshl_or_b32 v25, v16, 9, v25
	ds_write_b128 v25, v[11:14] offset:9472
; %bb.228:
	s_or_b64 exec, exec, s[12:13]
	s_waitcnt lgkmcnt(0)
	s_barrier
	s_barrier
	s_and_saveexec_b64 s[12:13], s[42:43]
	s_cbranch_execz .LBB78_230
; %bb.229:
	v_lshlrev_b32_e32 v25, 9, v0
	ds_read_b128 v[11:14], v25 offset:9472
	s_movk_i32 s14, 0xfe10
	v_mad_i32_i24 v26, v0, s14, v25
	s_waitcnt lgkmcnt(0)
	ds_write_b128 v26, v[11:14] offset:8480
	ds_read_b128 v[11:14], v25 offset:9488
	s_waitcnt lgkmcnt(0)
	ds_write_b128 v26, v[11:14] offset:8992
.LBB78_230:
	s_or_b64 exec, exec, s[12:13]
	s_waitcnt lgkmcnt(0)
	s_barrier
	s_and_saveexec_b64 s[12:13], vcc
	s_cbranch_execz .LBB78_232
; %bb.231:
	v_mov_b32_e32 v35, 0
	ds_read_b128 v[11:14], v35 offset:8976
	ds_read_b128 v[25:28], v35 offset:8448
	ds_read_b128 v[29:32], v35 offset:8960
	s_waitcnt lgkmcnt(1)
	v_mul_f64 v[33:34], v[11:12], v[27:28]
	v_mul_f64 v[27:28], v[13:14], v[27:28]
	v_fma_f64 v[13:14], v[13:14], v[25:26], v[33:34]
	v_fma_f64 v[11:12], v[11:12], v[25:26], -v[27:28]
	s_waitcnt lgkmcnt(0)
	v_mul_f64 v[25:26], v[13:14], v[31:32]
	v_mul_f64 v[27:28], v[11:12], v[31:32]
	v_fma_f64 v[11:12], v[29:30], v[11:12], -v[25:26]
	v_fma_f64 v[13:14], v[29:30], v[13:14], v[27:28]
	ds_write_b128 v35, v[11:14] offset:8960
	ds_write_b128 v35, v[11:14] offset:8464
.LBB78_232:
	s_or_b64 exec, exec, s[12:13]
	s_movk_i32 s12, 0xff
	v_lshrrev_b32_e32 v27, 4, v18
	v_cmp_lt_u32_e64 s[14:15], s12, v18
	s_movk_i32 s12, 0x100
	v_mov_b32_e32 v13, 0
	v_mov_b32_e32 v11, 0
	v_and_b32_e32 v25, 15, v0
	v_sub_u32_e32 v26, 15, v27
	v_mov_b32_e32 v14, 0
	v_mov_b32_e32 v12, 0
	v_cmp_gt_u32_e64 s[12:13], s12, v18
	s_waitcnt lgkmcnt(0)
	s_barrier
	buffer_wbinvl1_vol
	s_and_saveexec_b64 s[88:89], s[12:13]
	s_cbranch_execz .LBB78_260
; %bb.233:
	v_lshlrev_b32_e32 v29, 9, v26
	v_lshlrev_b32_e32 v28, 4, v25
	ds_read_b128 v[11:14], v29 offset:8448
	ds_read_b128 v[30:33], v28 offset:8192
	s_movk_i32 s18, 0xf0
	v_cmp_gt_u32_e64 s[18:19], s18, v18
	s_waitcnt lgkmcnt(0)
	v_mul_f64 v[34:35], v[13:14], v[32:33]
	v_mul_f64 v[32:33], v[11:12], v[32:33]
	v_fma_f64 v[11:12], v[11:12], v[30:31], -v[34:35]
	v_fma_f64 v[13:14], v[13:14], v[30:31], v[32:33]
	v_add_f64 v[11:12], v[11:12], 0
	v_add_f64 v[13:14], v[13:14], 0
	s_and_saveexec_b64 s[90:91], s[18:19]
	s_cbranch_execz .LBB78_235
; %bb.234:
	ds_read_b128 v[30:33], v29 offset:8464
	ds_read_b128 v[34:37], v28 offset:8704
	s_waitcnt lgkmcnt(0)
	v_mul_f64 v[38:39], v[32:33], v[36:37]
	v_mul_f64 v[36:37], v[30:31], v[36:37]
	v_fma_f64 v[30:31], v[30:31], v[34:35], -v[38:39]
	v_fma_f64 v[32:33], v[32:33], v[34:35], v[36:37]
	v_add_f64 v[11:12], v[11:12], v[30:31]
	v_add_f64 v[13:14], v[13:14], v[32:33]
.LBB78_235:
	s_or_b64 exec, exec, s[90:91]
	s_movk_i32 s18, 0xe0
	v_cmp_gt_u32_e64 s[18:19], s18, v18
	s_and_saveexec_b64 s[90:91], s[18:19]
	s_cbranch_execz .LBB78_237
; %bb.236:
	ds_read_b128 v[30:33], v29 offset:8480
	ds_read_b128 v[34:37], v28 offset:9216
	s_waitcnt lgkmcnt(0)
	v_mul_f64 v[38:39], v[32:33], v[36:37]
	v_mul_f64 v[36:37], v[30:31], v[36:37]
	v_fma_f64 v[30:31], v[30:31], v[34:35], -v[38:39]
	v_fma_f64 v[32:33], v[32:33], v[34:35], v[36:37]
	v_add_f64 v[11:12], v[11:12], v[30:31]
	v_add_f64 v[13:14], v[13:14], v[32:33]
.LBB78_237:
	s_or_b64 exec, exec, s[90:91]
	s_movk_i32 s18, 0xd0
	v_cmp_gt_u32_e64 s[18:19], s18, v18
	;; [unrolled: 16-line block ×10, first 2 shown]
	s_and_saveexec_b64 s[90:91], s[18:19]
	s_cbranch_execnz .LBB78_561
; %bb.254:
	s_or_b64 exec, exec, s[90:91]
	s_and_saveexec_b64 s[18:19], s[8:9]
	s_cbranch_execnz .LBB78_562
.LBB78_255:
	s_or_b64 exec, exec, s[18:19]
	v_cmp_gt_u32_e64 s[18:19], 48, v18
	s_and_saveexec_b64 s[90:91], s[18:19]
	s_cbranch_execnz .LBB78_563
.LBB78_256:
	s_or_b64 exec, exec, s[90:91]
	v_cmp_gt_u32_e64 s[18:19], 32, v18
	s_and_saveexec_b64 s[90:91], s[18:19]
	s_cbranch_execnz .LBB78_564
.LBB78_257:
	s_or_b64 exec, exec, s[90:91]
	v_cmp_gt_u32_e64 s[18:19], 16, v18
	s_and_saveexec_b64 s[90:91], s[18:19]
	s_cbranch_execz .LBB78_259
.LBB78_258:
	v_lshlrev_b32_e32 v32, 4, v0
	v_mov_b32_e32 v28, 0
	ds_read_b128 v[28:31], v28 offset:16368
	ds_read_b128 v[32:35], v32 offset:15872
	s_waitcnt lgkmcnt(0)
	v_mul_f64 v[36:37], v[30:31], v[34:35]
	v_mul_f64 v[34:35], v[28:29], v[34:35]
	v_fma_f64 v[28:29], v[28:29], v[32:33], -v[36:37]
	v_fma_f64 v[30:31], v[30:31], v[32:33], v[34:35]
	v_add_f64 v[11:12], v[11:12], v[28:29]
	v_add_f64 v[13:14], v[13:14], v[30:31]
.LBB78_259:
	s_or_b64 exec, exec, s[90:91]
.LBB78_260:
	s_or_b64 exec, exec, s[88:89]
	v_mov_b32_e32 v28, 0x4000
	v_cmp_eq_u32_e64 s[18:19], 15, v25
	s_xor_b64 s[88:89], s[14:15], -1
	v_lshl_add_u32 v27, v27, 4, v28
	s_and_b64 s[18:19], s[18:19], s[88:89]
	s_and_saveexec_b64 s[14:15], s[18:19]
	s_cbranch_execz .LBB78_262
; %bb.261:
	v_mov_b32_e32 v28, 0
	ds_read_b128 v[28:31], v28 offset:7920
	s_waitcnt lgkmcnt(0)
	v_mul_f64 v[32:33], v[13:14], v[30:31]
	v_mul_f64 v[30:31], v[11:12], v[30:31]
	v_fma_f64 v[11:12], v[11:12], v[28:29], -v[32:33]
	v_fma_f64 v[13:14], v[13:14], v[28:29], v[30:31]
	v_xor_b32_e32 v29, 0x80000000, v12
	v_xor_b32_e32 v31, 0x80000000, v14
	v_mov_b32_e32 v28, v11
	v_mov_b32_e32 v30, v13
	ds_write_b128 v27, v[28:31]
.LBB78_262:
	s_or_b64 exec, exec, s[14:15]
	v_cmp_ne_u32_e64 s[14:15], 15, v25
	s_and_b64 s[18:19], s[14:15], s[88:89]
	s_waitcnt lgkmcnt(0)
	s_barrier
	s_and_saveexec_b64 s[14:15], s[18:19]
	s_cbranch_execz .LBB78_264
; %bb.263:
	v_lshlrev_b32_e32 v32, 4, v25
	ds_read_b128 v[28:31], v27
	ds_read_b128 v[32:35], v32 offset:7680
	s_waitcnt lgkmcnt(0)
	v_mul_f64 v[36:37], v[30:31], v[34:35]
	v_mul_f64 v[34:35], v[28:29], v[34:35]
	v_fma_f64 v[28:29], v[28:29], v[32:33], -v[36:37]
	v_fma_f64 v[30:31], v[30:31], v[32:33], v[34:35]
	v_add_f64 v[11:12], v[11:12], -v[28:29]
	v_add_f64 v[13:14], v[13:14], -v[30:31]
.LBB78_264:
	s_or_b64 exec, exec, s[14:15]
	v_cmp_eq_u32_e64 s[14:15], 14, v25
	s_and_b64 s[18:19], s[14:15], s[88:89]
	s_barrier
	s_and_saveexec_b64 s[14:15], s[18:19]
	s_cbranch_execz .LBB78_266
; %bb.265:
	v_mov_b32_e32 v28, 0
	ds_read_b128 v[28:31], v28 offset:7392
	s_waitcnt lgkmcnt(0)
	v_mul_f64 v[32:33], v[13:14], v[30:31]
	v_mul_f64 v[30:31], v[11:12], v[30:31]
	v_fma_f64 v[11:12], v[11:12], v[28:29], -v[32:33]
	v_fma_f64 v[13:14], v[13:14], v[28:29], v[30:31]
	v_xor_b32_e32 v29, 0x80000000, v12
	v_xor_b32_e32 v31, 0x80000000, v14
	v_mov_b32_e32 v28, v11
	v_mov_b32_e32 v30, v13
	ds_write_b128 v27, v[28:31]
.LBB78_266:
	s_or_b64 exec, exec, s[14:15]
	v_cmp_gt_u32_e64 s[14:15], 14, v25
	s_and_b64 s[18:19], s[14:15], s[88:89]
	s_waitcnt lgkmcnt(0)
	s_barrier
	s_and_saveexec_b64 s[14:15], s[18:19]
	s_cbranch_execz .LBB78_268
; %bb.267:
	v_lshlrev_b32_e32 v32, 4, v25
	ds_read_b128 v[28:31], v27
	ds_read_b128 v[32:35], v32 offset:7168
	s_waitcnt lgkmcnt(0)
	v_mul_f64 v[36:37], v[30:31], v[34:35]
	v_mul_f64 v[34:35], v[28:29], v[34:35]
	v_fma_f64 v[28:29], v[28:29], v[32:33], -v[36:37]
	v_fma_f64 v[30:31], v[30:31], v[32:33], v[34:35]
	v_add_f64 v[11:12], v[11:12], -v[28:29]
	v_add_f64 v[13:14], v[13:14], -v[30:31]
.LBB78_268:
	s_or_b64 exec, exec, s[14:15]
	v_cmp_eq_u32_e64 s[14:15], 13, v25
	s_and_b64 s[18:19], s[14:15], s[88:89]
	s_barrier
	s_and_saveexec_b64 s[14:15], s[18:19]
	s_cbranch_execz .LBB78_270
; %bb.269:
	v_mov_b32_e32 v28, 0
	ds_read_b128 v[28:31], v28 offset:6864
	s_waitcnt lgkmcnt(0)
	v_mul_f64 v[32:33], v[13:14], v[30:31]
	v_mul_f64 v[30:31], v[11:12], v[30:31]
	v_fma_f64 v[11:12], v[11:12], v[28:29], -v[32:33]
	v_fma_f64 v[13:14], v[13:14], v[28:29], v[30:31]
	v_xor_b32_e32 v29, 0x80000000, v12
	v_xor_b32_e32 v31, 0x80000000, v14
	v_mov_b32_e32 v28, v11
	v_mov_b32_e32 v30, v13
	ds_write_b128 v27, v[28:31]
.LBB78_270:
	s_or_b64 exec, exec, s[14:15]
	v_cmp_gt_u32_e64 s[14:15], 13, v25
	;; [unrolled: 39-line block ×13, first 2 shown]
	s_and_b64 s[18:19], s[14:15], s[88:89]
	s_waitcnt lgkmcnt(0)
	s_barrier
	s_and_saveexec_b64 s[14:15], s[18:19]
	s_cbranch_execz .LBB78_316
; %bb.315:
	v_lshlrev_b32_e32 v32, 4, v25
	ds_read_b128 v[28:31], v27
	ds_read_b128 v[32:35], v32 offset:1024
	s_waitcnt lgkmcnt(0)
	v_mul_f64 v[36:37], v[30:31], v[34:35]
	v_mul_f64 v[34:35], v[28:29], v[34:35]
	v_fma_f64 v[28:29], v[28:29], v[32:33], -v[36:37]
	v_fma_f64 v[30:31], v[30:31], v[32:33], v[34:35]
	v_add_f64 v[11:12], v[11:12], -v[28:29]
	v_add_f64 v[13:14], v[13:14], -v[30:31]
.LBB78_316:
	s_or_b64 exec, exec, s[14:15]
	v_cmp_eq_u32_e64 s[14:15], 1, v25
	s_and_b64 s[18:19], s[14:15], s[88:89]
	s_barrier
	s_and_saveexec_b64 s[14:15], s[18:19]
	s_cbranch_execz .LBB78_318
; %bb.317:
	v_mov_b32_e32 v28, 0
	ds_read_b128 v[28:31], v28 offset:528
	s_waitcnt lgkmcnt(0)
	v_mul_f64 v[32:33], v[13:14], v[30:31]
	v_mul_f64 v[30:31], v[11:12], v[30:31]
	v_fma_f64 v[11:12], v[11:12], v[28:29], -v[32:33]
	v_fma_f64 v[13:14], v[13:14], v[28:29], v[30:31]
	v_xor_b32_e32 v29, 0x80000000, v12
	v_xor_b32_e32 v31, 0x80000000, v14
	v_mov_b32_e32 v28, v11
	v_mov_b32_e32 v30, v13
	ds_write_b128 v27, v[28:31]
.LBB78_318:
	s_or_b64 exec, exec, s[14:15]
	v_cmp_eq_u32_e64 s[14:15], 0, v25
	s_and_b64 s[14:15], s[14:15], s[88:89]
	s_waitcnt lgkmcnt(0)
	s_barrier
	s_and_saveexec_b64 s[18:19], s[14:15]
	s_cbranch_execz .LBB78_320
; %bb.319:
	v_mov_b32_e32 v32, 0
	ds_read_b128 v[28:31], v27
	ds_read_b128 v[32:35], v32 offset:512
	s_waitcnt lgkmcnt(0)
	v_mul_f64 v[36:37], v[30:31], v[34:35]
	v_mul_f64 v[34:35], v[28:29], v[34:35]
	v_fma_f64 v[28:29], v[28:29], v[32:33], -v[36:37]
	v_fma_f64 v[30:31], v[30:31], v[32:33], v[34:35]
	v_add_f64 v[11:12], v[11:12], -v[28:29]
	v_add_f64 v[13:14], v[13:14], -v[30:31]
.LBB78_320:
	s_or_b64 exec, exec, s[18:19]
	s_barrier
	s_and_saveexec_b64 s[18:19], s[14:15]
	s_cbranch_execz .LBB78_322
; %bb.321:
	v_mov_b32_e32 v28, 0
	ds_read_b128 v[28:31], v28
	s_waitcnt lgkmcnt(0)
	v_mul_f64 v[32:33], v[13:14], v[30:31]
	v_mul_f64 v[30:31], v[11:12], v[30:31]
	v_fma_f64 v[11:12], v[11:12], v[28:29], -v[32:33]
	v_fma_f64 v[13:14], v[13:14], v[28:29], v[30:31]
	v_xor_b32_e32 v29, 0x80000000, v12
	v_xor_b32_e32 v31, 0x80000000, v14
	v_mov_b32_e32 v28, v11
	v_mov_b32_e32 v30, v13
	ds_write_b128 v27, v[28:31]
.LBB78_322:
	s_or_b64 exec, exec, s[18:19]
	s_waitcnt lgkmcnt(0)
	s_barrier
	s_barrier
	s_and_saveexec_b64 s[14:15], s[12:13]
; %bb.323:
	v_lshlrev_b32_e32 v25, 4, v25
	v_lshl_or_b32 v25, v26, 9, v25
	ds_write_b128 v25, v[11:14] offset:8192
; %bb.324:
	s_or_b64 exec, exec, s[14:15]
	v_cmp_gt_u32_e64 s[12:13], 16, v0
	s_and_b64 s[12:13], s[10:11], s[12:13]
	s_waitcnt lgkmcnt(0)
	s_barrier
	s_barrier
	s_and_saveexec_b64 s[10:11], s[12:13]
	s_cbranch_execz .LBB78_326
; %bb.325:
	v_lshlrev_b32_e32 v25, 9, v0
	ds_read_b128 v[11:14], v25 offset:8192
	s_movk_i32 s12, 0xfe10
	v_mad_i32_i24 v26, v0, s12, v25
	s_waitcnt lgkmcnt(0)
	ds_write_b128 v26, v[11:14] offset:256
	ds_read_b128 v[11:14], v25 offset:8208
	s_waitcnt lgkmcnt(0)
	ds_write_b128 v26, v[11:14] offset:768
	ds_read_b128 v[11:14], v25 offset:8224
	;; [unrolled: 3-line block ×15, first 2 shown]
	s_waitcnt lgkmcnt(0)
	ds_write_b128 v26, v[11:14] offset:7936
.LBB78_326:
	s_or_b64 exec, exec, s[10:11]
	s_waitcnt lgkmcnt(0)
	s_barrier
	s_and_saveexec_b64 s[10:11], vcc
	s_cbranch_execz .LBB78_328
; %bb.327:
	v_mov_b32_e32 v35, 0
	ds_read_b128 v[11:14], v35 offset:7920
	ds_read_b128 v[25:28], v35 offset:7392
	;; [unrolled: 1-line block ×3, first 2 shown]
	s_waitcnt lgkmcnt(1)
	v_mul_f64 v[33:34], v[11:12], v[27:28]
	v_mul_f64 v[27:28], v[13:14], v[27:28]
	v_fma_f64 v[13:14], v[13:14], v[25:26], v[33:34]
	v_fma_f64 v[11:12], v[11:12], v[25:26], -v[27:28]
	s_waitcnt lgkmcnt(0)
	v_mul_f64 v[25:26], v[13:14], v[31:32]
	v_mul_f64 v[27:28], v[11:12], v[31:32]
	v_fma_f64 v[11:12], v[29:30], v[11:12], -v[25:26]
	v_fma_f64 v[13:14], v[29:30], v[13:14], v[27:28]
	ds_write_b128 v35, v[11:14] offset:7904
	ds_write_b128 v35, v[11:14] offset:7408
.LBB78_328:
	s_or_b64 exec, exec, s[10:11]
	v_mov_b32_e32 v11, 0
	v_mov_b32_e32 v13, 0
	;; [unrolled: 1-line block ×4, first 2 shown]
	s_waitcnt lgkmcnt(0)
	s_barrier
	buffer_wbinvl1_vol
	s_and_saveexec_b64 s[12:13], s[2:3]
	s_cbranch_execz .LBB78_332
; %bb.329:
	v_lshlrev_b32_e32 v25, 4, v15
	v_lshlrev_b32_e32 v11, 9, v16
	ds_read_b128 v[11:14], v11 offset:7392
	ds_read_b128 v[25:28], v25 offset:7360
	v_cmp_gt_u32_e64 s[10:11], 2, v18
	s_waitcnt lgkmcnt(0)
	v_mul_f64 v[29:30], v[13:14], v[27:28]
	v_mul_f64 v[27:28], v[11:12], v[27:28]
	v_fma_f64 v[11:12], v[11:12], v[25:26], -v[29:30]
	v_fma_f64 v[13:14], v[13:14], v[25:26], v[27:28]
	v_add_f64 v[11:12], v[11:12], 0
	v_add_f64 v[13:14], v[13:14], 0
	s_and_saveexec_b64 s[14:15], s[10:11]
	s_cbranch_execz .LBB78_331
; %bb.330:
	v_lshlrev_b32_e32 v29, 4, v0
	v_mov_b32_e32 v25, 0
	ds_read_b128 v[25:28], v25 offset:7920
	ds_read_b128 v[29:32], v29 offset:7872
	s_waitcnt lgkmcnt(0)
	v_mul_f64 v[33:34], v[27:28], v[31:32]
	v_mul_f64 v[31:32], v[25:26], v[31:32]
	v_fma_f64 v[25:26], v[25:26], v[29:30], -v[33:34]
	v_fma_f64 v[27:28], v[27:28], v[29:30], v[31:32]
	v_add_f64 v[11:12], v[11:12], v[25:26]
	v_add_f64 v[13:14], v[13:14], v[27:28]
.LBB78_331:
	s_or_b64 exec, exec, s[14:15]
.LBB78_332:
	s_or_b64 exec, exec, s[12:13]
	s_and_saveexec_b64 s[10:11], s[40:41]
	s_cbranch_execz .LBB78_334
; %bb.333:
	v_mov_b32_e32 v25, 0
	ds_read_b128 v[25:28], v25 offset:6864
	s_waitcnt lgkmcnt(0)
	v_mul_f64 v[29:30], v[13:14], v[27:28]
	v_mul_f64 v[27:28], v[11:12], v[27:28]
	v_fma_f64 v[11:12], v[11:12], v[25:26], -v[29:30]
	v_fma_f64 v[13:14], v[13:14], v[25:26], v[27:28]
	v_xor_b32_e32 v26, 0x80000000, v12
	v_xor_b32_e32 v28, 0x80000000, v14
	v_mov_b32_e32 v25, v11
	v_mov_b32_e32 v27, v13
	ds_write_b128 v17, v[25:28]
.LBB78_334:
	s_or_b64 exec, exec, s[10:11]
	s_waitcnt lgkmcnt(0)
	s_barrier
	s_and_saveexec_b64 s[10:11], s[24:25]
	s_cbranch_execz .LBB78_336
; %bb.335:
	v_mov_b32_e32 v29, 0
	ds_read_b128 v[25:28], v17
	ds_read_b128 v[29:32], v29 offset:6848
	s_waitcnt lgkmcnt(0)
	v_mul_f64 v[33:34], v[27:28], v[31:32]
	v_mul_f64 v[31:32], v[25:26], v[31:32]
	v_fma_f64 v[25:26], v[25:26], v[29:30], -v[33:34]
	v_fma_f64 v[27:28], v[27:28], v[29:30], v[31:32]
	v_add_f64 v[11:12], v[11:12], -v[25:26]
	v_add_f64 v[13:14], v[13:14], -v[27:28]
.LBB78_336:
	s_or_b64 exec, exec, s[10:11]
	s_barrier
	s_and_saveexec_b64 s[10:11], s[24:25]
	s_cbranch_execz .LBB78_338
; %bb.337:
	v_mov_b32_e32 v25, 0
	ds_read_b128 v[25:28], v25 offset:6336
	s_waitcnt lgkmcnt(0)
	v_mul_f64 v[29:30], v[13:14], v[27:28]
	v_mul_f64 v[27:28], v[11:12], v[27:28]
	v_fma_f64 v[11:12], v[11:12], v[25:26], -v[29:30]
	v_fma_f64 v[13:14], v[13:14], v[25:26], v[27:28]
	v_xor_b32_e32 v26, 0x80000000, v12
	v_xor_b32_e32 v28, 0x80000000, v14
	v_mov_b32_e32 v25, v11
	v_mov_b32_e32 v27, v13
	ds_write_b128 v17, v[25:28]
.LBB78_338:
	s_or_b64 exec, exec, s[10:11]
	s_waitcnt lgkmcnt(0)
	s_barrier
	s_barrier
	s_and_saveexec_b64 s[10:11], s[2:3]
; %bb.339:
	v_lshlrev_b32_e32 v25, 4, v15
	v_lshl_or_b32 v25, v16, 9, v25
	ds_write_b128 v25, v[11:14] offset:7360
; %bb.340:
	s_or_b64 exec, exec, s[10:11]
	s_waitcnt lgkmcnt(0)
	s_barrier
	s_barrier
	s_and_saveexec_b64 s[10:11], s[42:43]
	s_cbranch_execz .LBB78_342
; %bb.341:
	v_lshlrev_b32_e32 v25, 9, v0
	ds_read_b128 v[11:14], v25 offset:7360
	s_movk_i32 s12, 0xfe10
	v_mad_i32_i24 v26, v0, s12, v25
	s_waitcnt lgkmcnt(0)
	ds_write_b128 v26, v[11:14] offset:6368
	ds_read_b128 v[11:14], v25 offset:7376
	s_waitcnt lgkmcnt(0)
	ds_write_b128 v26, v[11:14] offset:6880
.LBB78_342:
	s_or_b64 exec, exec, s[10:11]
	s_waitcnt lgkmcnt(0)
	s_barrier
	s_and_saveexec_b64 s[10:11], vcc
	s_cbranch_execz .LBB78_344
; %bb.343:
	v_mov_b32_e32 v35, 0
	ds_read_b128 v[11:14], v35 offset:6864
	ds_read_b128 v[25:28], v35 offset:6336
	;; [unrolled: 1-line block ×3, first 2 shown]
	s_waitcnt lgkmcnt(1)
	v_mul_f64 v[33:34], v[11:12], v[27:28]
	v_mul_f64 v[27:28], v[13:14], v[27:28]
	v_fma_f64 v[13:14], v[13:14], v[25:26], v[33:34]
	v_fma_f64 v[11:12], v[11:12], v[25:26], -v[27:28]
	s_waitcnt lgkmcnt(0)
	v_mul_f64 v[25:26], v[13:14], v[31:32]
	v_mul_f64 v[27:28], v[11:12], v[31:32]
	v_fma_f64 v[11:12], v[29:30], v[11:12], -v[25:26]
	v_fma_f64 v[13:14], v[29:30], v[13:14], v[27:28]
	ds_write_b128 v35, v[11:14] offset:6848
	ds_write_b128 v35, v[11:14] offset:6352
.LBB78_344:
	s_or_b64 exec, exec, s[10:11]
	v_mov_b32_e32 v13, 0
	v_mov_b32_e32 v11, 0
	;; [unrolled: 1-line block ×4, first 2 shown]
	s_waitcnt lgkmcnt(0)
	s_barrier
	buffer_wbinvl1_vol
	s_and_saveexec_b64 s[12:13], s[16:17]
	s_cbranch_execz .LBB78_350
; %bb.345:
	v_lshlrev_b32_e32 v26, 9, v20
	v_lshlrev_b32_e32 v25, 4, v19
	ds_read_b128 v[11:14], v26 offset:6336
	ds_read_b128 v[27:30], v25 offset:6272
	v_cmp_gt_u32_e64 s[10:11], 12, v18
	s_waitcnt lgkmcnt(0)
	v_mul_f64 v[31:32], v[13:14], v[29:30]
	v_mul_f64 v[29:30], v[11:12], v[29:30]
	v_fma_f64 v[11:12], v[11:12], v[27:28], -v[31:32]
	v_fma_f64 v[13:14], v[13:14], v[27:28], v[29:30]
	v_add_f64 v[11:12], v[11:12], 0
	v_add_f64 v[13:14], v[13:14], 0
	s_and_saveexec_b64 s[14:15], s[10:11]
	s_cbranch_execnz .LBB78_565
; %bb.346:
	s_or_b64 exec, exec, s[14:15]
	v_cmp_gt_u32_e64 s[10:11], 8, v18
	s_and_saveexec_b64 s[14:15], s[10:11]
	s_cbranch_execnz .LBB78_566
.LBB78_347:
	s_or_b64 exec, exec, s[14:15]
	v_cmp_gt_u32_e64 s[10:11], 4, v18
	s_and_saveexec_b64 s[14:15], s[10:11]
	s_cbranch_execz .LBB78_349
.LBB78_348:
	v_lshlrev_b32_e32 v29, 4, v0
	v_mov_b32_e32 v25, 0
	ds_read_b128 v[25:28], v25 offset:7920
	ds_read_b128 v[29:32], v29 offset:7808
	s_waitcnt lgkmcnt(0)
	v_mul_f64 v[33:34], v[27:28], v[31:32]
	v_mul_f64 v[31:32], v[25:26], v[31:32]
	v_fma_f64 v[25:26], v[25:26], v[29:30], -v[33:34]
	v_fma_f64 v[27:28], v[27:28], v[29:30], v[31:32]
	v_add_f64 v[11:12], v[11:12], v[25:26]
	v_add_f64 v[13:14], v[13:14], v[27:28]
.LBB78_349:
	s_or_b64 exec, exec, s[14:15]
.LBB78_350:
	s_or_b64 exec, exec, s[12:13]
	s_and_saveexec_b64 s[10:11], s[46:47]
	s_cbranch_execz .LBB78_352
; %bb.351:
	v_mov_b32_e32 v25, 0
	ds_read_b128 v[25:28], v25 offset:5808
	s_waitcnt lgkmcnt(0)
	v_mul_f64 v[29:30], v[13:14], v[27:28]
	v_mul_f64 v[27:28], v[11:12], v[27:28]
	v_fma_f64 v[11:12], v[11:12], v[25:26], -v[29:30]
	v_fma_f64 v[13:14], v[13:14], v[25:26], v[27:28]
	v_xor_b32_e32 v26, 0x80000000, v12
	v_xor_b32_e32 v28, 0x80000000, v14
	v_mov_b32_e32 v25, v11
	v_mov_b32_e32 v27, v13
	ds_write_b128 v21, v[25:28]
.LBB78_352:
	s_or_b64 exec, exec, s[10:11]
	s_waitcnt lgkmcnt(0)
	s_barrier
	s_and_saveexec_b64 s[10:11], s[48:49]
	s_cbranch_execz .LBB78_354
; %bb.353:
	v_lshlrev_b32_e32 v29, 4, v19
	ds_read_b128 v[25:28], v21
	ds_read_b128 v[29:32], v29 offset:5760
	s_waitcnt lgkmcnt(0)
	v_mul_f64 v[33:34], v[27:28], v[31:32]
	v_mul_f64 v[31:32], v[25:26], v[31:32]
	v_fma_f64 v[25:26], v[25:26], v[29:30], -v[33:34]
	v_fma_f64 v[27:28], v[27:28], v[29:30], v[31:32]
	v_add_f64 v[11:12], v[11:12], -v[25:26]
	v_add_f64 v[13:14], v[13:14], -v[27:28]
.LBB78_354:
	s_or_b64 exec, exec, s[10:11]
	s_barrier
	s_and_saveexec_b64 s[10:11], s[50:51]
	s_cbranch_execz .LBB78_356
; %bb.355:
	v_mov_b32_e32 v25, 0
	ds_read_b128 v[25:28], v25 offset:5280
	s_waitcnt lgkmcnt(0)
	v_mul_f64 v[29:30], v[13:14], v[27:28]
	v_mul_f64 v[27:28], v[11:12], v[27:28]
	v_fma_f64 v[11:12], v[11:12], v[25:26], -v[29:30]
	v_fma_f64 v[13:14], v[13:14], v[25:26], v[27:28]
	v_xor_b32_e32 v26, 0x80000000, v12
	v_xor_b32_e32 v28, 0x80000000, v14
	v_mov_b32_e32 v25, v11
	v_mov_b32_e32 v27, v13
	ds_write_b128 v21, v[25:28]
.LBB78_356:
	s_or_b64 exec, exec, s[10:11]
	s_waitcnt lgkmcnt(0)
	s_barrier
	s_and_saveexec_b64 s[10:11], s[52:53]
	s_cbranch_execz .LBB78_358
; %bb.357:
	v_lshlrev_b32_e32 v29, 4, v19
	ds_read_b128 v[25:28], v21
	ds_read_b128 v[29:32], v29 offset:5248
	s_waitcnt lgkmcnt(0)
	v_mul_f64 v[33:34], v[27:28], v[31:32]
	v_mul_f64 v[31:32], v[25:26], v[31:32]
	v_fma_f64 v[25:26], v[25:26], v[29:30], -v[33:34]
	v_fma_f64 v[27:28], v[27:28], v[29:30], v[31:32]
	v_add_f64 v[11:12], v[11:12], -v[25:26]
	v_add_f64 v[13:14], v[13:14], -v[27:28]
.LBB78_358:
	s_or_b64 exec, exec, s[10:11]
	s_barrier
	s_and_saveexec_b64 s[10:11], s[54:55]
	s_cbranch_execz .LBB78_360
; %bb.359:
	v_mov_b32_e32 v25, 0
	ds_read_b128 v[25:28], v25 offset:4752
	s_waitcnt lgkmcnt(0)
	v_mul_f64 v[29:30], v[13:14], v[27:28]
	v_mul_f64 v[27:28], v[11:12], v[27:28]
	v_fma_f64 v[11:12], v[11:12], v[25:26], -v[29:30]
	v_fma_f64 v[13:14], v[13:14], v[25:26], v[27:28]
	v_xor_b32_e32 v26, 0x80000000, v12
	v_xor_b32_e32 v28, 0x80000000, v14
	v_mov_b32_e32 v25, v11
	v_mov_b32_e32 v27, v13
	ds_write_b128 v21, v[25:28]
.LBB78_360:
	s_or_b64 exec, exec, s[10:11]
	s_waitcnt lgkmcnt(0)
	s_barrier
	s_and_saveexec_b64 s[10:11], s[44:45]
	s_cbranch_execz .LBB78_362
; %bb.361:
	v_mov_b32_e32 v29, 0
	ds_read_b128 v[25:28], v21
	ds_read_b128 v[29:32], v29 offset:4736
	s_waitcnt lgkmcnt(0)
	v_mul_f64 v[33:34], v[27:28], v[31:32]
	v_mul_f64 v[31:32], v[25:26], v[31:32]
	v_fma_f64 v[25:26], v[25:26], v[29:30], -v[33:34]
	v_fma_f64 v[27:28], v[27:28], v[29:30], v[31:32]
	v_add_f64 v[11:12], v[11:12], -v[25:26]
	v_add_f64 v[13:14], v[13:14], -v[27:28]
.LBB78_362:
	s_or_b64 exec, exec, s[10:11]
	s_barrier
	s_and_saveexec_b64 s[10:11], s[44:45]
	s_cbranch_execz .LBB78_364
; %bb.363:
	v_mov_b32_e32 v25, 0
	ds_read_b128 v[25:28], v25 offset:4224
	s_waitcnt lgkmcnt(0)
	v_mul_f64 v[29:30], v[13:14], v[27:28]
	v_mul_f64 v[27:28], v[11:12], v[27:28]
	v_fma_f64 v[11:12], v[11:12], v[25:26], -v[29:30]
	v_fma_f64 v[13:14], v[13:14], v[25:26], v[27:28]
	v_xor_b32_e32 v26, 0x80000000, v12
	v_xor_b32_e32 v28, 0x80000000, v14
	v_mov_b32_e32 v25, v11
	v_mov_b32_e32 v27, v13
	ds_write_b128 v21, v[25:28]
.LBB78_364:
	s_or_b64 exec, exec, s[10:11]
	s_waitcnt lgkmcnt(0)
	s_barrier
	s_barrier
	s_and_saveexec_b64 s[10:11], s[16:17]
; %bb.365:
	v_lshlrev_b32_e32 v25, 4, v19
	v_lshl_or_b32 v25, v20, 9, v25
	ds_write_b128 v25, v[11:14] offset:6272
; %bb.366:
	s_or_b64 exec, exec, s[10:11]
	s_waitcnt lgkmcnt(0)
	s_barrier
	s_barrier
	s_and_saveexec_b64 s[10:11], s[56:57]
	s_cbranch_execz .LBB78_368
; %bb.367:
	v_lshlrev_b32_e32 v25, 4, v0
	s_movk_i32 s12, 0x1f0
	v_mad_u32_u24 v26, v0, s12, v25
	ds_read_b128 v[11:14], v26 offset:6272
	s_waitcnt lgkmcnt(0)
	ds_write_b128 v25, v[11:14] offset:4288
	ds_read_b128 v[11:14], v26 offset:6288
	s_waitcnt lgkmcnt(0)
	ds_write_b128 v25, v[11:14] offset:4800
	;; [unrolled: 3-line block ×4, first 2 shown]
.LBB78_368:
	s_or_b64 exec, exec, s[10:11]
	s_waitcnt lgkmcnt(0)
	s_barrier
	s_and_saveexec_b64 s[10:11], vcc
	s_cbranch_execz .LBB78_370
; %bb.369:
	v_mov_b32_e32 v35, 0
	ds_read_b128 v[11:14], v35 offset:5808
	ds_read_b128 v[25:28], v35 offset:5280
	;; [unrolled: 1-line block ×3, first 2 shown]
	s_waitcnt lgkmcnt(1)
	v_mul_f64 v[33:34], v[11:12], v[27:28]
	v_mul_f64 v[27:28], v[13:14], v[27:28]
	v_fma_f64 v[13:14], v[13:14], v[25:26], v[33:34]
	v_fma_f64 v[11:12], v[11:12], v[25:26], -v[27:28]
	s_waitcnt lgkmcnt(0)
	v_mul_f64 v[25:26], v[13:14], v[31:32]
	v_mul_f64 v[27:28], v[11:12], v[31:32]
	v_fma_f64 v[11:12], v[29:30], v[11:12], -v[25:26]
	v_fma_f64 v[13:14], v[29:30], v[13:14], v[27:28]
	ds_write_b128 v35, v[11:14] offset:5792
	ds_write_b128 v35, v[11:14] offset:5296
.LBB78_370:
	s_or_b64 exec, exec, s[10:11]
	v_mov_b32_e32 v11, 0
	v_mov_b32_e32 v13, 0
	;; [unrolled: 1-line block ×4, first 2 shown]
	s_waitcnt lgkmcnt(0)
	s_barrier
	buffer_wbinvl1_vol
	s_and_saveexec_b64 s[12:13], s[2:3]
	s_cbranch_execz .LBB78_374
; %bb.371:
	v_lshlrev_b32_e32 v25, 4, v15
	v_lshlrev_b32_e32 v11, 9, v16
	ds_read_b128 v[11:14], v11 offset:5280
	ds_read_b128 v[25:28], v25 offset:5248
	v_cmp_gt_u32_e64 s[10:11], 2, v18
	s_waitcnt lgkmcnt(0)
	v_mul_f64 v[29:30], v[13:14], v[27:28]
	v_mul_f64 v[27:28], v[11:12], v[27:28]
	v_fma_f64 v[11:12], v[11:12], v[25:26], -v[29:30]
	v_fma_f64 v[13:14], v[13:14], v[25:26], v[27:28]
	v_add_f64 v[11:12], v[11:12], 0
	v_add_f64 v[13:14], v[13:14], 0
	s_and_saveexec_b64 s[14:15], s[10:11]
	s_cbranch_execz .LBB78_373
; %bb.372:
	v_lshlrev_b32_e32 v29, 4, v0
	v_mov_b32_e32 v25, 0
	ds_read_b128 v[25:28], v25 offset:5808
	ds_read_b128 v[29:32], v29 offset:5760
	s_waitcnt lgkmcnt(0)
	v_mul_f64 v[33:34], v[27:28], v[31:32]
	v_mul_f64 v[31:32], v[25:26], v[31:32]
	v_fma_f64 v[25:26], v[25:26], v[29:30], -v[33:34]
	v_fma_f64 v[27:28], v[27:28], v[29:30], v[31:32]
	v_add_f64 v[11:12], v[11:12], v[25:26]
	v_add_f64 v[13:14], v[13:14], v[27:28]
.LBB78_373:
	s_or_b64 exec, exec, s[14:15]
.LBB78_374:
	s_or_b64 exec, exec, s[12:13]
	s_and_saveexec_b64 s[10:11], s[40:41]
	s_cbranch_execz .LBB78_376
; %bb.375:
	v_mov_b32_e32 v25, 0
	ds_read_b128 v[25:28], v25 offset:4752
	s_waitcnt lgkmcnt(0)
	v_mul_f64 v[29:30], v[13:14], v[27:28]
	v_mul_f64 v[27:28], v[11:12], v[27:28]
	v_fma_f64 v[11:12], v[11:12], v[25:26], -v[29:30]
	v_fma_f64 v[13:14], v[13:14], v[25:26], v[27:28]
	v_xor_b32_e32 v26, 0x80000000, v12
	v_xor_b32_e32 v28, 0x80000000, v14
	v_mov_b32_e32 v25, v11
	v_mov_b32_e32 v27, v13
	ds_write_b128 v17, v[25:28]
.LBB78_376:
	s_or_b64 exec, exec, s[10:11]
	s_waitcnt lgkmcnt(0)
	s_barrier
	s_and_saveexec_b64 s[10:11], s[24:25]
	s_cbranch_execz .LBB78_378
; %bb.377:
	v_mov_b32_e32 v29, 0
	ds_read_b128 v[25:28], v17
	ds_read_b128 v[29:32], v29 offset:4736
	s_waitcnt lgkmcnt(0)
	v_mul_f64 v[33:34], v[27:28], v[31:32]
	v_mul_f64 v[31:32], v[25:26], v[31:32]
	v_fma_f64 v[25:26], v[25:26], v[29:30], -v[33:34]
	v_fma_f64 v[27:28], v[27:28], v[29:30], v[31:32]
	v_add_f64 v[11:12], v[11:12], -v[25:26]
	v_add_f64 v[13:14], v[13:14], -v[27:28]
.LBB78_378:
	s_or_b64 exec, exec, s[10:11]
	s_barrier
	s_and_saveexec_b64 s[10:11], s[24:25]
	s_cbranch_execz .LBB78_380
; %bb.379:
	v_mov_b32_e32 v25, 0
	ds_read_b128 v[25:28], v25 offset:4224
	s_waitcnt lgkmcnt(0)
	v_mul_f64 v[29:30], v[13:14], v[27:28]
	v_mul_f64 v[27:28], v[11:12], v[27:28]
	v_fma_f64 v[11:12], v[11:12], v[25:26], -v[29:30]
	v_fma_f64 v[13:14], v[13:14], v[25:26], v[27:28]
	v_xor_b32_e32 v26, 0x80000000, v12
	v_xor_b32_e32 v28, 0x80000000, v14
	v_mov_b32_e32 v25, v11
	v_mov_b32_e32 v27, v13
	ds_write_b128 v17, v[25:28]
.LBB78_380:
	s_or_b64 exec, exec, s[10:11]
	s_waitcnt lgkmcnt(0)
	s_barrier
	s_barrier
	s_and_saveexec_b64 s[10:11], s[2:3]
; %bb.381:
	v_lshlrev_b32_e32 v25, 4, v15
	v_lshl_or_b32 v25, v16, 9, v25
	ds_write_b128 v25, v[11:14] offset:5248
; %bb.382:
	s_or_b64 exec, exec, s[10:11]
	s_waitcnt lgkmcnt(0)
	s_barrier
	s_barrier
	s_and_saveexec_b64 s[10:11], s[42:43]
	s_cbranch_execz .LBB78_384
; %bb.383:
	v_lshlrev_b32_e32 v25, 9, v0
	ds_read_b128 v[11:14], v25 offset:5248
	s_movk_i32 s12, 0xfe10
	v_mad_i32_i24 v26, v0, s12, v25
	s_waitcnt lgkmcnt(0)
	ds_write_b128 v26, v[11:14] offset:4256
	ds_read_b128 v[11:14], v25 offset:5264
	s_waitcnt lgkmcnt(0)
	ds_write_b128 v26, v[11:14] offset:4768
.LBB78_384:
	s_or_b64 exec, exec, s[10:11]
	s_waitcnt lgkmcnt(0)
	s_barrier
	s_and_saveexec_b64 s[10:11], vcc
	s_cbranch_execz .LBB78_386
; %bb.385:
	v_mov_b32_e32 v35, 0
	ds_read_b128 v[11:14], v35 offset:4752
	ds_read_b128 v[25:28], v35 offset:4224
	;; [unrolled: 1-line block ×3, first 2 shown]
	s_waitcnt lgkmcnt(1)
	v_mul_f64 v[33:34], v[11:12], v[27:28]
	v_mul_f64 v[27:28], v[13:14], v[27:28]
	v_fma_f64 v[13:14], v[13:14], v[25:26], v[33:34]
	v_fma_f64 v[11:12], v[11:12], v[25:26], -v[27:28]
	s_waitcnt lgkmcnt(0)
	v_mul_f64 v[25:26], v[13:14], v[31:32]
	v_mul_f64 v[27:28], v[11:12], v[31:32]
	v_fma_f64 v[11:12], v[29:30], v[11:12], -v[25:26]
	v_fma_f64 v[13:14], v[29:30], v[13:14], v[27:28]
	ds_write_b128 v35, v[11:14] offset:4736
	ds_write_b128 v35, v[11:14] offset:4240
.LBB78_386:
	s_or_b64 exec, exec, s[10:11]
	v_mov_b32_e32 v13, 0
	v_mov_b32_e32 v11, 0
	;; [unrolled: 1-line block ×4, first 2 shown]
	s_waitcnt lgkmcnt(0)
	s_barrier
	buffer_wbinvl1_vol
	s_and_saveexec_b64 s[12:13], s[8:9]
	s_cbranch_execz .LBB78_396
; %bb.387:
	v_lshlrev_b32_e32 v26, 9, v23
	v_lshlrev_b32_e32 v25, 4, v22
	ds_read_b128 v[11:14], v26 offset:4224
	ds_read_b128 v[27:30], v25 offset:4096
	v_cmp_gt_u32_e64 s[10:11], 56, v18
	s_waitcnt lgkmcnt(0)
	v_mul_f64 v[31:32], v[13:14], v[29:30]
	v_mul_f64 v[29:30], v[11:12], v[29:30]
	v_fma_f64 v[11:12], v[11:12], v[27:28], -v[31:32]
	v_fma_f64 v[13:14], v[13:14], v[27:28], v[29:30]
	v_add_f64 v[11:12], v[11:12], 0
	v_add_f64 v[13:14], v[13:14], 0
	s_and_saveexec_b64 s[14:15], s[10:11]
	s_cbranch_execnz .LBB78_567
; %bb.388:
	s_or_b64 exec, exec, s[14:15]
	v_cmp_gt_u32_e64 s[10:11], 48, v18
	s_and_saveexec_b64 s[14:15], s[10:11]
	s_cbranch_execnz .LBB78_568
.LBB78_389:
	s_or_b64 exec, exec, s[14:15]
	v_cmp_gt_u32_e64 s[10:11], 40, v18
	s_and_saveexec_b64 s[14:15], s[10:11]
	s_cbranch_execnz .LBB78_569
.LBB78_390:
	s_or_b64 exec, exec, s[14:15]
	v_cmp_gt_u32_e64 s[10:11], 32, v18
	s_and_saveexec_b64 s[14:15], s[10:11]
	s_cbranch_execnz .LBB78_570
.LBB78_391:
	s_or_b64 exec, exec, s[14:15]
	v_cmp_gt_u32_e64 s[10:11], 24, v18
	s_and_saveexec_b64 s[14:15], s[10:11]
	s_cbranch_execnz .LBB78_571
.LBB78_392:
	s_or_b64 exec, exec, s[14:15]
	s_and_saveexec_b64 s[10:11], s[16:17]
	s_cbranch_execnz .LBB78_572
.LBB78_393:
	s_or_b64 exec, exec, s[10:11]
	v_cmp_gt_u32_e64 s[10:11], 8, v18
	s_and_saveexec_b64 s[14:15], s[10:11]
	s_cbranch_execz .LBB78_395
.LBB78_394:
	v_lshlrev_b32_e32 v29, 4, v0
	v_mov_b32_e32 v25, 0
	ds_read_b128 v[25:28], v25 offset:7920
	ds_read_b128 v[29:32], v29 offset:7680
	s_waitcnt lgkmcnt(0)
	v_mul_f64 v[33:34], v[27:28], v[31:32]
	v_mul_f64 v[31:32], v[25:26], v[31:32]
	v_fma_f64 v[25:26], v[25:26], v[29:30], -v[33:34]
	v_fma_f64 v[27:28], v[27:28], v[29:30], v[31:32]
	v_add_f64 v[11:12], v[11:12], v[25:26]
	v_add_f64 v[13:14], v[13:14], v[27:28]
.LBB78_395:
	s_or_b64 exec, exec, s[14:15]
.LBB78_396:
	s_or_b64 exec, exec, s[12:13]
	s_and_saveexec_b64 s[10:11], s[60:61]
	s_cbranch_execz .LBB78_398
; %bb.397:
	v_mov_b32_e32 v25, 0
	ds_read_b128 v[25:28], v25 offset:3696
	s_waitcnt lgkmcnt(0)
	v_mul_f64 v[29:30], v[13:14], v[27:28]
	v_mul_f64 v[27:28], v[11:12], v[27:28]
	v_fma_f64 v[11:12], v[11:12], v[25:26], -v[29:30]
	v_fma_f64 v[13:14], v[13:14], v[25:26], v[27:28]
	v_xor_b32_e32 v26, 0x80000000, v12
	v_xor_b32_e32 v28, 0x80000000, v14
	v_mov_b32_e32 v25, v11
	v_mov_b32_e32 v27, v13
	ds_write_b128 v24, v[25:28]
.LBB78_398:
	s_or_b64 exec, exec, s[10:11]
	s_waitcnt lgkmcnt(0)
	s_barrier
	s_and_saveexec_b64 s[10:11], s[62:63]
	s_cbranch_execz .LBB78_400
; %bb.399:
	v_lshlrev_b32_e32 v29, 4, v22
	ds_read_b128 v[25:28], v24
	ds_read_b128 v[29:32], v29 offset:3584
	s_waitcnt lgkmcnt(0)
	v_mul_f64 v[33:34], v[27:28], v[31:32]
	v_mul_f64 v[31:32], v[25:26], v[31:32]
	v_fma_f64 v[25:26], v[25:26], v[29:30], -v[33:34]
	v_fma_f64 v[27:28], v[27:28], v[29:30], v[31:32]
	v_add_f64 v[11:12], v[11:12], -v[25:26]
	v_add_f64 v[13:14], v[13:14], -v[27:28]
.LBB78_400:
	s_or_b64 exec, exec, s[10:11]
	s_barrier
	s_and_saveexec_b64 s[10:11], s[64:65]
	s_cbranch_execz .LBB78_402
; %bb.401:
	v_mov_b32_e32 v25, 0
	ds_read_b128 v[25:28], v25 offset:3168
	s_waitcnt lgkmcnt(0)
	v_mul_f64 v[29:30], v[13:14], v[27:28]
	v_mul_f64 v[27:28], v[11:12], v[27:28]
	v_fma_f64 v[11:12], v[11:12], v[25:26], -v[29:30]
	v_fma_f64 v[13:14], v[13:14], v[25:26], v[27:28]
	v_xor_b32_e32 v26, 0x80000000, v12
	v_xor_b32_e32 v28, 0x80000000, v14
	v_mov_b32_e32 v25, v11
	v_mov_b32_e32 v27, v13
	ds_write_b128 v24, v[25:28]
.LBB78_402:
	s_or_b64 exec, exec, s[10:11]
	s_waitcnt lgkmcnt(0)
	s_barrier
	s_and_saveexec_b64 s[10:11], s[66:67]
	s_cbranch_execz .LBB78_404
; %bb.403:
	v_lshlrev_b32_e32 v29, 4, v22
	ds_read_b128 v[25:28], v24
	ds_read_b128 v[29:32], v29 offset:3072
	s_waitcnt lgkmcnt(0)
	v_mul_f64 v[33:34], v[27:28], v[31:32]
	v_mul_f64 v[31:32], v[25:26], v[31:32]
	v_fma_f64 v[25:26], v[25:26], v[29:30], -v[33:34]
	v_fma_f64 v[27:28], v[27:28], v[29:30], v[31:32]
	v_add_f64 v[11:12], v[11:12], -v[25:26]
	v_add_f64 v[13:14], v[13:14], -v[27:28]
.LBB78_404:
	s_or_b64 exec, exec, s[10:11]
	s_barrier
	;; [unrolled: 35-line block ×6, first 2 shown]
	s_and_saveexec_b64 s[10:11], s[84:85]
	s_cbranch_execz .LBB78_422
; %bb.421:
	v_mov_b32_e32 v25, 0
	ds_read_b128 v[25:28], v25 offset:528
	s_waitcnt lgkmcnt(0)
	v_mul_f64 v[29:30], v[13:14], v[27:28]
	v_mul_f64 v[27:28], v[11:12], v[27:28]
	v_fma_f64 v[11:12], v[11:12], v[25:26], -v[29:30]
	v_fma_f64 v[13:14], v[13:14], v[25:26], v[27:28]
	v_xor_b32_e32 v26, 0x80000000, v12
	v_xor_b32_e32 v28, 0x80000000, v14
	v_mov_b32_e32 v25, v11
	v_mov_b32_e32 v27, v13
	ds_write_b128 v24, v[25:28]
.LBB78_422:
	s_or_b64 exec, exec, s[10:11]
	s_waitcnt lgkmcnt(0)
	s_barrier
	s_and_saveexec_b64 s[10:11], s[58:59]
	s_cbranch_execz .LBB78_424
; %bb.423:
	v_mov_b32_e32 v29, 0
	ds_read_b128 v[25:28], v24
	ds_read_b128 v[29:32], v29 offset:512
	s_waitcnt lgkmcnt(0)
	v_mul_f64 v[33:34], v[27:28], v[31:32]
	v_mul_f64 v[31:32], v[25:26], v[31:32]
	v_fma_f64 v[25:26], v[25:26], v[29:30], -v[33:34]
	v_fma_f64 v[27:28], v[27:28], v[29:30], v[31:32]
	v_add_f64 v[11:12], v[11:12], -v[25:26]
	v_add_f64 v[13:14], v[13:14], -v[27:28]
.LBB78_424:
	s_or_b64 exec, exec, s[10:11]
	s_barrier
	s_and_saveexec_b64 s[10:11], s[58:59]
	s_cbranch_execz .LBB78_426
; %bb.425:
	v_mov_b32_e32 v25, 0
	ds_read_b128 v[25:28], v25
	s_waitcnt lgkmcnt(0)
	v_mul_f64 v[29:30], v[13:14], v[27:28]
	v_mul_f64 v[27:28], v[11:12], v[27:28]
	v_fma_f64 v[11:12], v[11:12], v[25:26], -v[29:30]
	v_fma_f64 v[13:14], v[13:14], v[25:26], v[27:28]
	v_xor_b32_e32 v26, 0x80000000, v12
	v_xor_b32_e32 v28, 0x80000000, v14
	v_mov_b32_e32 v25, v11
	v_mov_b32_e32 v27, v13
	ds_write_b128 v24, v[25:28]
.LBB78_426:
	s_or_b64 exec, exec, s[10:11]
	s_waitcnt lgkmcnt(0)
	s_barrier
	s_barrier
	s_and_saveexec_b64 s[10:11], s[8:9]
; %bb.427:
	v_lshlrev_b32_e32 v22, 4, v22
	v_lshl_or_b32 v22, v23, 9, v22
	ds_write_b128 v22, v[11:14] offset:4096
; %bb.428:
	s_or_b64 exec, exec, s[10:11]
	s_waitcnt lgkmcnt(0)
	s_barrier
	s_barrier
	s_and_saveexec_b64 s[8:9], s[86:87]
	s_cbranch_execz .LBB78_430
; %bb.429:
	v_lshlrev_b32_e32 v22, 9, v0
	ds_read_b128 v[11:14], v22 offset:4096
	s_movk_i32 s10, 0xfe10
	v_mad_i32_i24 v23, v0, s10, v22
	s_waitcnt lgkmcnt(0)
	ds_write_b128 v23, v[11:14] offset:128
	ds_read_b128 v[11:14], v22 offset:4112
	s_waitcnt lgkmcnt(0)
	ds_write_b128 v23, v[11:14] offset:640
	ds_read_b128 v[11:14], v22 offset:4128
	;; [unrolled: 3-line block ×7, first 2 shown]
	s_waitcnt lgkmcnt(0)
	ds_write_b128 v23, v[11:14] offset:3712
.LBB78_430:
	s_or_b64 exec, exec, s[8:9]
	s_waitcnt lgkmcnt(0)
	s_barrier
	s_and_saveexec_b64 s[8:9], vcc
	s_cbranch_execz .LBB78_432
; %bb.431:
	v_mov_b32_e32 v32, 0
	ds_read_b128 v[11:14], v32 offset:3696
	ds_read_b128 v[22:25], v32 offset:3168
	ds_read_b128 v[26:29], v32 offset:3680
	s_waitcnt lgkmcnt(1)
	v_mul_f64 v[30:31], v[11:12], v[24:25]
	v_mul_f64 v[24:25], v[13:14], v[24:25]
	v_fma_f64 v[13:14], v[13:14], v[22:23], v[30:31]
	v_fma_f64 v[11:12], v[11:12], v[22:23], -v[24:25]
	s_waitcnt lgkmcnt(0)
	v_mul_f64 v[22:23], v[13:14], v[28:29]
	v_mul_f64 v[24:25], v[11:12], v[28:29]
	v_fma_f64 v[11:12], v[26:27], v[11:12], -v[22:23]
	v_fma_f64 v[13:14], v[26:27], v[13:14], v[24:25]
	ds_write_b128 v32, v[11:14] offset:3680
	ds_write_b128 v32, v[11:14] offset:3184
.LBB78_432:
	s_or_b64 exec, exec, s[8:9]
	v_mov_b32_e32 v11, 0
	v_mov_b32_e32 v13, 0
	;; [unrolled: 1-line block ×4, first 2 shown]
	s_waitcnt lgkmcnt(0)
	s_barrier
	buffer_wbinvl1_vol
	s_and_saveexec_b64 s[10:11], s[2:3]
	s_cbranch_execz .LBB78_436
; %bb.433:
	v_lshlrev_b32_e32 v22, 4, v15
	v_lshlrev_b32_e32 v11, 9, v16
	ds_read_b128 v[11:14], v11 offset:3168
	ds_read_b128 v[22:25], v22 offset:3136
	v_cmp_gt_u32_e64 s[8:9], 2, v18
	s_waitcnt lgkmcnt(0)
	v_mul_f64 v[26:27], v[13:14], v[24:25]
	v_mul_f64 v[24:25], v[11:12], v[24:25]
	v_fma_f64 v[11:12], v[11:12], v[22:23], -v[26:27]
	v_fma_f64 v[13:14], v[13:14], v[22:23], v[24:25]
	v_add_f64 v[11:12], v[11:12], 0
	v_add_f64 v[13:14], v[13:14], 0
	s_and_saveexec_b64 s[12:13], s[8:9]
	s_cbranch_execz .LBB78_435
; %bb.434:
	v_lshlrev_b32_e32 v26, 4, v0
	v_mov_b32_e32 v22, 0
	ds_read_b128 v[22:25], v22 offset:3696
	ds_read_b128 v[26:29], v26 offset:3648
	s_waitcnt lgkmcnt(0)
	v_mul_f64 v[30:31], v[24:25], v[28:29]
	v_mul_f64 v[28:29], v[22:23], v[28:29]
	v_fma_f64 v[22:23], v[22:23], v[26:27], -v[30:31]
	v_fma_f64 v[24:25], v[24:25], v[26:27], v[28:29]
	v_add_f64 v[11:12], v[11:12], v[22:23]
	v_add_f64 v[13:14], v[13:14], v[24:25]
.LBB78_435:
	s_or_b64 exec, exec, s[12:13]
.LBB78_436:
	s_or_b64 exec, exec, s[10:11]
	s_and_saveexec_b64 s[8:9], s[40:41]
	s_cbranch_execz .LBB78_438
; %bb.437:
	v_mov_b32_e32 v22, 0
	ds_read_b128 v[22:25], v22 offset:2640
	s_waitcnt lgkmcnt(0)
	v_mul_f64 v[26:27], v[13:14], v[24:25]
	v_mul_f64 v[24:25], v[11:12], v[24:25]
	v_fma_f64 v[11:12], v[11:12], v[22:23], -v[26:27]
	v_fma_f64 v[13:14], v[13:14], v[22:23], v[24:25]
	v_xor_b32_e32 v23, 0x80000000, v12
	v_xor_b32_e32 v25, 0x80000000, v14
	v_mov_b32_e32 v22, v11
	v_mov_b32_e32 v24, v13
	ds_write_b128 v17, v[22:25]
.LBB78_438:
	s_or_b64 exec, exec, s[8:9]
	s_waitcnt lgkmcnt(0)
	s_barrier
	s_and_saveexec_b64 s[8:9], s[24:25]
	s_cbranch_execz .LBB78_440
; %bb.439:
	v_mov_b32_e32 v26, 0
	ds_read_b128 v[22:25], v17
	ds_read_b128 v[26:29], v26 offset:2624
	s_waitcnt lgkmcnt(0)
	v_mul_f64 v[30:31], v[24:25], v[28:29]
	v_mul_f64 v[28:29], v[22:23], v[28:29]
	v_fma_f64 v[22:23], v[22:23], v[26:27], -v[30:31]
	v_fma_f64 v[24:25], v[24:25], v[26:27], v[28:29]
	v_add_f64 v[11:12], v[11:12], -v[22:23]
	v_add_f64 v[13:14], v[13:14], -v[24:25]
.LBB78_440:
	s_or_b64 exec, exec, s[8:9]
	s_barrier
	s_and_saveexec_b64 s[8:9], s[24:25]
	s_cbranch_execz .LBB78_442
; %bb.441:
	v_mov_b32_e32 v22, 0
	ds_read_b128 v[22:25], v22 offset:2112
	s_waitcnt lgkmcnt(0)
	v_mul_f64 v[26:27], v[13:14], v[24:25]
	v_mul_f64 v[24:25], v[11:12], v[24:25]
	v_fma_f64 v[11:12], v[11:12], v[22:23], -v[26:27]
	v_fma_f64 v[13:14], v[13:14], v[22:23], v[24:25]
	v_xor_b32_e32 v23, 0x80000000, v12
	v_xor_b32_e32 v25, 0x80000000, v14
	v_mov_b32_e32 v22, v11
	v_mov_b32_e32 v24, v13
	ds_write_b128 v17, v[22:25]
.LBB78_442:
	s_or_b64 exec, exec, s[8:9]
	s_waitcnt lgkmcnt(0)
	s_barrier
	s_barrier
	s_and_saveexec_b64 s[8:9], s[2:3]
; %bb.443:
	v_lshlrev_b32_e32 v22, 4, v15
	v_lshl_or_b32 v22, v16, 9, v22
	ds_write_b128 v22, v[11:14] offset:3136
; %bb.444:
	s_or_b64 exec, exec, s[8:9]
	s_waitcnt lgkmcnt(0)
	s_barrier
	s_barrier
	s_and_saveexec_b64 s[8:9], s[42:43]
	s_cbranch_execz .LBB78_446
; %bb.445:
	v_lshlrev_b32_e32 v22, 9, v0
	ds_read_b128 v[11:14], v22 offset:3136
	s_movk_i32 s10, 0xfe10
	v_mad_i32_i24 v23, v0, s10, v22
	s_waitcnt lgkmcnt(0)
	ds_write_b128 v23, v[11:14] offset:2144
	ds_read_b128 v[11:14], v22 offset:3152
	s_waitcnt lgkmcnt(0)
	ds_write_b128 v23, v[11:14] offset:2656
.LBB78_446:
	s_or_b64 exec, exec, s[8:9]
	s_waitcnt lgkmcnt(0)
	s_barrier
	s_and_saveexec_b64 s[8:9], vcc
	s_cbranch_execz .LBB78_448
; %bb.447:
	v_mov_b32_e32 v32, 0
	ds_read_b128 v[11:14], v32 offset:2640
	ds_read_b128 v[22:25], v32 offset:2112
	;; [unrolled: 1-line block ×3, first 2 shown]
	s_waitcnt lgkmcnt(1)
	v_mul_f64 v[30:31], v[11:12], v[24:25]
	v_mul_f64 v[24:25], v[13:14], v[24:25]
	v_fma_f64 v[13:14], v[13:14], v[22:23], v[30:31]
	v_fma_f64 v[11:12], v[11:12], v[22:23], -v[24:25]
	s_waitcnt lgkmcnt(0)
	v_mul_f64 v[22:23], v[13:14], v[28:29]
	v_mul_f64 v[24:25], v[11:12], v[28:29]
	v_fma_f64 v[11:12], v[26:27], v[11:12], -v[22:23]
	v_fma_f64 v[13:14], v[26:27], v[13:14], v[24:25]
	ds_write_b128 v32, v[11:14] offset:2624
	ds_write_b128 v32, v[11:14] offset:2128
.LBB78_448:
	s_or_b64 exec, exec, s[8:9]
	v_mov_b32_e32 v13, 0
	v_mov_b32_e32 v11, 0
	;; [unrolled: 1-line block ×4, first 2 shown]
	s_waitcnt lgkmcnt(0)
	s_barrier
	buffer_wbinvl1_vol
	s_and_saveexec_b64 s[10:11], s[16:17]
	s_cbranch_execz .LBB78_454
; %bb.449:
	v_lshlrev_b32_e32 v23, 9, v20
	v_lshlrev_b32_e32 v22, 4, v19
	ds_read_b128 v[11:14], v23 offset:2112
	ds_read_b128 v[24:27], v22 offset:2048
	v_cmp_gt_u32_e64 s[8:9], 12, v18
	s_waitcnt lgkmcnt(0)
	v_mul_f64 v[28:29], v[13:14], v[26:27]
	v_mul_f64 v[26:27], v[11:12], v[26:27]
	v_fma_f64 v[11:12], v[11:12], v[24:25], -v[28:29]
	v_fma_f64 v[13:14], v[13:14], v[24:25], v[26:27]
	v_add_f64 v[11:12], v[11:12], 0
	v_add_f64 v[13:14], v[13:14], 0
	s_and_saveexec_b64 s[12:13], s[8:9]
	s_cbranch_execnz .LBB78_573
; %bb.450:
	s_or_b64 exec, exec, s[12:13]
	v_cmp_gt_u32_e64 s[8:9], 8, v18
	s_and_saveexec_b64 s[12:13], s[8:9]
	s_cbranch_execnz .LBB78_574
.LBB78_451:
	s_or_b64 exec, exec, s[12:13]
	v_cmp_gt_u32_e64 s[8:9], 4, v18
	s_and_saveexec_b64 s[12:13], s[8:9]
	s_cbranch_execz .LBB78_453
.LBB78_452:
	v_lshlrev_b32_e32 v26, 4, v0
	v_mov_b32_e32 v22, 0
	ds_read_b128 v[22:25], v22 offset:3696
	ds_read_b128 v[26:29], v26 offset:3584
	s_waitcnt lgkmcnt(0)
	v_mul_f64 v[30:31], v[24:25], v[28:29]
	v_mul_f64 v[28:29], v[22:23], v[28:29]
	v_fma_f64 v[22:23], v[22:23], v[26:27], -v[30:31]
	v_fma_f64 v[24:25], v[24:25], v[26:27], v[28:29]
	v_add_f64 v[11:12], v[11:12], v[22:23]
	v_add_f64 v[13:14], v[13:14], v[24:25]
.LBB78_453:
	s_or_b64 exec, exec, s[12:13]
.LBB78_454:
	s_or_b64 exec, exec, s[10:11]
	s_and_saveexec_b64 s[8:9], s[46:47]
	s_cbranch_execz .LBB78_456
; %bb.455:
	v_mov_b32_e32 v22, 0
	ds_read_b128 v[22:25], v22 offset:1584
	s_waitcnt lgkmcnt(0)
	v_mul_f64 v[26:27], v[13:14], v[24:25]
	v_mul_f64 v[24:25], v[11:12], v[24:25]
	v_fma_f64 v[11:12], v[11:12], v[22:23], -v[26:27]
	v_fma_f64 v[13:14], v[13:14], v[22:23], v[24:25]
	v_xor_b32_e32 v23, 0x80000000, v12
	v_xor_b32_e32 v25, 0x80000000, v14
	v_mov_b32_e32 v22, v11
	v_mov_b32_e32 v24, v13
	ds_write_b128 v21, v[22:25]
.LBB78_456:
	s_or_b64 exec, exec, s[8:9]
	s_waitcnt lgkmcnt(0)
	s_barrier
	s_and_saveexec_b64 s[8:9], s[48:49]
	s_load_dword s46, s[4:5], 0x6c
	s_cbranch_execz .LBB78_458
; %bb.457:
	v_lshlrev_b32_e32 v26, 4, v19
	ds_read_b128 v[22:25], v21
	ds_read_b128 v[26:29], v26 offset:1536
	s_waitcnt lgkmcnt(0)
	v_mul_f64 v[30:31], v[24:25], v[28:29]
	v_mul_f64 v[28:29], v[22:23], v[28:29]
	v_fma_f64 v[22:23], v[22:23], v[26:27], -v[30:31]
	v_fma_f64 v[24:25], v[24:25], v[26:27], v[28:29]
	v_add_f64 v[11:12], v[11:12], -v[22:23]
	v_add_f64 v[13:14], v[13:14], -v[24:25]
.LBB78_458:
	s_or_b64 exec, exec, s[8:9]
	s_waitcnt lgkmcnt(0)
	s_barrier
	s_and_saveexec_b64 s[8:9], s[50:51]
	s_cbranch_execz .LBB78_460
; %bb.459:
	v_mov_b32_e32 v22, 0
	ds_read_b128 v[22:25], v22 offset:1056
	s_waitcnt lgkmcnt(0)
	v_mul_f64 v[26:27], v[13:14], v[24:25]
	v_mul_f64 v[24:25], v[11:12], v[24:25]
	v_fma_f64 v[11:12], v[11:12], v[22:23], -v[26:27]
	v_fma_f64 v[13:14], v[13:14], v[22:23], v[24:25]
	v_xor_b32_e32 v23, 0x80000000, v12
	v_xor_b32_e32 v25, 0x80000000, v14
	v_mov_b32_e32 v22, v11
	v_mov_b32_e32 v24, v13
	ds_write_b128 v21, v[22:25]
.LBB78_460:
	s_or_b64 exec, exec, s[8:9]
	s_waitcnt lgkmcnt(0)
	s_barrier
	s_and_saveexec_b64 s[8:9], s[52:53]
	s_cbranch_execz .LBB78_462
; %bb.461:
	v_lshlrev_b32_e32 v26, 4, v19
	ds_read_b128 v[22:25], v21
	ds_read_b128 v[26:29], v26 offset:1024
	s_waitcnt lgkmcnt(0)
	v_mul_f64 v[30:31], v[24:25], v[28:29]
	v_mul_f64 v[28:29], v[22:23], v[28:29]
	v_fma_f64 v[22:23], v[22:23], v[26:27], -v[30:31]
	v_fma_f64 v[24:25], v[24:25], v[26:27], v[28:29]
	v_add_f64 v[11:12], v[11:12], -v[22:23]
	v_add_f64 v[13:14], v[13:14], -v[24:25]
.LBB78_462:
	s_or_b64 exec, exec, s[8:9]
	s_barrier
	s_and_saveexec_b64 s[8:9], s[54:55]
	s_cbranch_execz .LBB78_464
; %bb.463:
	v_mov_b32_e32 v22, 0
	ds_read_b128 v[22:25], v22 offset:528
	s_waitcnt lgkmcnt(0)
	v_mul_f64 v[26:27], v[13:14], v[24:25]
	v_mul_f64 v[24:25], v[11:12], v[24:25]
	v_fma_f64 v[11:12], v[11:12], v[22:23], -v[26:27]
	v_fma_f64 v[13:14], v[13:14], v[22:23], v[24:25]
	v_xor_b32_e32 v23, 0x80000000, v12
	v_xor_b32_e32 v25, 0x80000000, v14
	v_mov_b32_e32 v22, v11
	v_mov_b32_e32 v24, v13
	ds_write_b128 v21, v[22:25]
.LBB78_464:
	s_or_b64 exec, exec, s[8:9]
	s_waitcnt lgkmcnt(0)
	s_barrier
	s_and_saveexec_b64 s[8:9], s[44:45]
	s_cbranch_execz .LBB78_466
; %bb.465:
	v_mov_b32_e32 v26, 0
	ds_read_b128 v[22:25], v21
	ds_read_b128 v[26:29], v26 offset:512
	s_waitcnt lgkmcnt(0)
	v_mul_f64 v[30:31], v[24:25], v[28:29]
	v_mul_f64 v[28:29], v[22:23], v[28:29]
	v_fma_f64 v[22:23], v[22:23], v[26:27], -v[30:31]
	v_fma_f64 v[24:25], v[24:25], v[26:27], v[28:29]
	v_add_f64 v[11:12], v[11:12], -v[22:23]
	v_add_f64 v[13:14], v[13:14], -v[24:25]
.LBB78_466:
	s_or_b64 exec, exec, s[8:9]
	s_barrier
	s_and_saveexec_b64 s[8:9], s[44:45]
	s_cbranch_execz .LBB78_468
; %bb.467:
	v_mov_b32_e32 v22, 0
	ds_read_b128 v[22:25], v22
	s_waitcnt lgkmcnt(0)
	v_mul_f64 v[26:27], v[13:14], v[24:25]
	v_mul_f64 v[24:25], v[11:12], v[24:25]
	v_fma_f64 v[11:12], v[11:12], v[22:23], -v[26:27]
	v_fma_f64 v[13:14], v[13:14], v[22:23], v[24:25]
	v_xor_b32_e32 v23, 0x80000000, v12
	v_xor_b32_e32 v25, 0x80000000, v14
	v_mov_b32_e32 v22, v11
	v_mov_b32_e32 v24, v13
	ds_write_b128 v21, v[22:25]
.LBB78_468:
	s_or_b64 exec, exec, s[8:9]
	s_waitcnt lgkmcnt(0)
	s_barrier
	s_barrier
	s_and_saveexec_b64 s[8:9], s[16:17]
; %bb.469:
	v_lshlrev_b32_e32 v19, 4, v19
	v_lshl_or_b32 v19, v20, 9, v19
	ds_write_b128 v19, v[11:14] offset:2048
; %bb.470:
	s_or_b64 exec, exec, s[8:9]
	s_waitcnt lgkmcnt(0)
	s_barrier
	s_barrier
	s_and_saveexec_b64 s[8:9], s[56:57]
	s_cbranch_execz .LBB78_472
; %bb.471:
	v_lshlrev_b32_e32 v19, 4, v0
	s_movk_i32 s10, 0x1f0
	v_mad_u32_u24 v20, v0, s10, v19
	ds_read_b128 v[11:14], v20 offset:2048
	s_waitcnt lgkmcnt(0)
	ds_write_b128 v19, v[11:14] offset:64
	ds_read_b128 v[11:14], v20 offset:2064
	s_waitcnt lgkmcnt(0)
	ds_write_b128 v19, v[11:14] offset:576
	;; [unrolled: 3-line block ×4, first 2 shown]
.LBB78_472:
	s_or_b64 exec, exec, s[8:9]
	s_waitcnt lgkmcnt(0)
	s_barrier
	s_and_saveexec_b64 s[8:9], vcc
	s_cbranch_execz .LBB78_474
; %bb.473:
	v_mov_b32_e32 v29, 0
	ds_read_b128 v[11:14], v29 offset:1584
	ds_read_b128 v[19:22], v29 offset:1056
	;; [unrolled: 1-line block ×3, first 2 shown]
	s_waitcnt lgkmcnt(1)
	v_mul_f64 v[27:28], v[11:12], v[21:22]
	v_mul_f64 v[21:22], v[13:14], v[21:22]
	v_fma_f64 v[13:14], v[13:14], v[19:20], v[27:28]
	v_fma_f64 v[11:12], v[11:12], v[19:20], -v[21:22]
	s_waitcnt lgkmcnt(0)
	v_mul_f64 v[19:20], v[13:14], v[25:26]
	v_mul_f64 v[21:22], v[11:12], v[25:26]
	v_fma_f64 v[11:12], v[23:24], v[11:12], -v[19:20]
	v_fma_f64 v[13:14], v[23:24], v[13:14], v[21:22]
	ds_write_b128 v29, v[11:14] offset:1568
	ds_write_b128 v29, v[11:14] offset:1072
.LBB78_474:
	s_or_b64 exec, exec, s[8:9]
	v_mov_b32_e32 v11, 0
	v_mov_b32_e32 v13, 0
	;; [unrolled: 1-line block ×4, first 2 shown]
	s_waitcnt lgkmcnt(0)
	s_barrier
	buffer_wbinvl1_vol
	s_and_saveexec_b64 s[10:11], s[2:3]
	s_cbranch_execz .LBB78_478
; %bb.475:
	v_lshlrev_b32_e32 v19, 4, v15
	v_lshlrev_b32_e32 v11, 9, v16
	ds_read_b128 v[11:14], v11 offset:1056
	ds_read_b128 v[19:22], v19 offset:1024
	v_cmp_gt_u32_e64 s[8:9], 2, v18
	s_waitcnt lgkmcnt(0)
	v_mul_f64 v[23:24], v[13:14], v[21:22]
	v_mul_f64 v[21:22], v[11:12], v[21:22]
	v_fma_f64 v[11:12], v[11:12], v[19:20], -v[23:24]
	v_fma_f64 v[13:14], v[13:14], v[19:20], v[21:22]
	v_add_f64 v[11:12], v[11:12], 0
	v_add_f64 v[13:14], v[13:14], 0
	s_and_saveexec_b64 s[12:13], s[8:9]
	s_cbranch_execz .LBB78_477
; %bb.476:
	v_lshlrev_b32_e32 v22, 4, v0
	v_mov_b32_e32 v18, 0
	ds_read_b128 v[18:21], v18 offset:1584
	ds_read_b128 v[22:25], v22 offset:1536
	s_waitcnt lgkmcnt(0)
	v_mul_f64 v[26:27], v[20:21], v[24:25]
	v_mul_f64 v[24:25], v[18:19], v[24:25]
	v_fma_f64 v[18:19], v[18:19], v[22:23], -v[26:27]
	v_fma_f64 v[20:21], v[20:21], v[22:23], v[24:25]
	v_add_f64 v[11:12], v[11:12], v[18:19]
	v_add_f64 v[13:14], v[13:14], v[20:21]
.LBB78_477:
	s_or_b64 exec, exec, s[12:13]
.LBB78_478:
	s_or_b64 exec, exec, s[10:11]
	s_and_saveexec_b64 s[8:9], s[40:41]
	s_cbranch_execz .LBB78_480
; %bb.479:
	v_mov_b32_e32 v18, 0
	ds_read_b128 v[18:21], v18 offset:528
	s_waitcnt lgkmcnt(0)
	v_mul_f64 v[22:23], v[13:14], v[20:21]
	v_mul_f64 v[20:21], v[11:12], v[20:21]
	v_fma_f64 v[11:12], v[11:12], v[18:19], -v[22:23]
	v_fma_f64 v[13:14], v[13:14], v[18:19], v[20:21]
	v_xor_b32_e32 v19, 0x80000000, v12
	v_xor_b32_e32 v21, 0x80000000, v14
	v_mov_b32_e32 v18, v11
	v_mov_b32_e32 v20, v13
	ds_write_b128 v17, v[18:21]
.LBB78_480:
	s_or_b64 exec, exec, s[8:9]
	s_waitcnt lgkmcnt(0)
	s_barrier
	s_and_saveexec_b64 s[8:9], s[24:25]
	s_cbranch_execz .LBB78_482
; %bb.481:
	v_mov_b32_e32 v22, 0
	ds_read_b128 v[18:21], v17
	ds_read_b128 v[22:25], v22 offset:512
	s_waitcnt lgkmcnt(0)
	v_mul_f64 v[26:27], v[20:21], v[24:25]
	v_mul_f64 v[24:25], v[18:19], v[24:25]
	v_fma_f64 v[18:19], v[18:19], v[22:23], -v[26:27]
	v_fma_f64 v[20:21], v[20:21], v[22:23], v[24:25]
	v_add_f64 v[11:12], v[11:12], -v[18:19]
	v_add_f64 v[13:14], v[13:14], -v[20:21]
.LBB78_482:
	s_or_b64 exec, exec, s[8:9]
	s_barrier
	s_and_saveexec_b64 s[8:9], s[24:25]
	s_cbranch_execz .LBB78_484
; %bb.483:
	v_mov_b32_e32 v18, 0
	ds_read_b128 v[18:21], v18
	s_waitcnt lgkmcnt(0)
	v_mul_f64 v[22:23], v[13:14], v[20:21]
	v_mul_f64 v[20:21], v[11:12], v[20:21]
	v_fma_f64 v[11:12], v[11:12], v[18:19], -v[22:23]
	v_fma_f64 v[13:14], v[13:14], v[18:19], v[20:21]
	v_xor_b32_e32 v19, 0x80000000, v12
	v_xor_b32_e32 v21, 0x80000000, v14
	v_mov_b32_e32 v18, v11
	v_mov_b32_e32 v20, v13
	ds_write_b128 v17, v[18:21]
.LBB78_484:
	s_or_b64 exec, exec, s[8:9]
	s_waitcnt lgkmcnt(0)
	s_barrier
	s_barrier
	s_and_saveexec_b64 s[8:9], s[2:3]
; %bb.485:
	v_lshlrev_b32_e32 v15, 4, v15
	v_lshl_or_b32 v15, v16, 9, v15
	ds_write_b128 v15, v[11:14] offset:1024
; %bb.486:
	s_or_b64 exec, exec, s[8:9]
	s_waitcnt lgkmcnt(0)
	s_barrier
	s_barrier
	s_and_saveexec_b64 s[2:3], s[42:43]
	s_cbranch_execz .LBB78_488
; %bb.487:
	v_lshlrev_b32_e32 v15, 9, v0
	ds_read_b128 v[11:14], v15 offset:1024
	s_movk_i32 s8, 0xfe10
	v_mad_i32_i24 v16, v0, s8, v15
	s_waitcnt lgkmcnt(0)
	ds_write_b128 v16, v[11:14] offset:32
	ds_read_b128 v[11:14], v15 offset:1040
	s_waitcnt lgkmcnt(0)
	ds_write_b128 v16, v[11:14] offset:544
.LBB78_488:
	s_or_b64 exec, exec, s[2:3]
	s_waitcnt lgkmcnt(0)
	s_barrier
	s_and_saveexec_b64 s[2:3], vcc
	s_cbranch_execz .LBB78_490
; %bb.489:
	v_mov_b32_e32 v25, 0
	ds_read_b128 v[11:14], v25 offset:528
	ds_read_b128 v[15:18], v25
	ds_read_b128 v[19:22], v25 offset:512
	s_waitcnt lgkmcnt(1)
	v_mul_f64 v[23:24], v[11:12], v[17:18]
	v_mul_f64 v[17:18], v[13:14], v[17:18]
	v_fma_f64 v[13:14], v[13:14], v[15:16], v[23:24]
	v_fma_f64 v[11:12], v[11:12], v[15:16], -v[17:18]
	s_waitcnt lgkmcnt(0)
	v_mul_f64 v[15:16], v[13:14], v[21:22]
	v_mul_f64 v[17:18], v[11:12], v[21:22]
	v_fma_f64 v[11:12], v[19:20], v[11:12], -v[15:16]
	v_fma_f64 v[13:14], v[19:20], v[13:14], v[17:18]
	ds_write_b128 v25, v[11:14] offset:512
	ds_write_b128 v25, v[11:14] offset:16
.LBB78_490:
	s_or_b64 exec, exec, s[2:3]
.LBB78_491:
	s_load_dwordx4 s[12:15], s[4:5], 0x48
	v_cmp_le_i32_e32 vcc, s93, v0
	v_mov_b32_e32 v13, 0
	v_mov_b32_e32 v11, 0
	;; [unrolled: 1-line block ×3, first 2 shown]
	s_waitcnt lgkmcnt(0)
	s_mul_i32 s3, s13, s34
	s_mul_hi_u32 s4, s12, s34
	s_mul_i32 s2, s12, s34
	s_add_i32 s3, s4, s3
	s_lshl_b64 s[2:3], s[2:3], 4
	s_add_u32 s4, s26, s2
	s_addc_u32 s5, s27, s3
	s_lshl_b64 s[2:3], s[28:29], 4
	s_add_u32 s24, s4, s2
	s_addc_u32 s25, s5, s3
	s_and_b64 s[16:17], vcc, s[22:23]
	v_cmp_eq_u32_e64 s[2:3], 0, v2
	s_xor_b64 s[4:5], s[16:17], -1
	s_and_b64 s[8:9], s[2:3], s[4:5]
	v_mov_b32_e32 v12, 0
	v_add_u32_e32 v15, s33, v0
	s_barrier
	s_and_saveexec_b64 s[4:5], s[8:9]
	s_cbranch_execz .LBB78_493
; %bb.492:
	v_ashrrev_i32_e32 v13, 31, v15
	v_mul_lo_u32 v14, s31, v15
	v_mad_u64_u32 v[11:12], s[8:9], s30, v15, 0
	v_mul_lo_u32 v13, s30, v13
	v_add3_u32 v12, v12, v13, v14
	v_lshlrev_b64 v[11:12], 4, v[11:12]
	v_mov_b32_e32 v13, s25
	v_add_co_u32_e32 v11, vcc, s24, v11
	v_addc_co_u32_e32 v12, vcc, v13, v12, vcc
	global_load_dwordx4 v[11:14], v[11:12], off
	s_waitcnt vmcnt(0)
	v_mul_f64 v[16:17], s[36:37], v[11:12]
	v_mul_f64 v[18:19], s[36:37], v[13:14]
	v_fma_f64 v[13:14], s[38:39], v[13:14], -v[16:17]
	v_fma_f64 v[11:12], v[11:12], -s[38:39], -v[18:19]
.LBB78_493:
	s_or_b64 exec, exec, s[4:5]
	s_and_b32 s4, 0xffff, s46
	v_mad_u32_u24 v23, v2, s4, v0
	v_mov_b32_e32 v16, 0
	s_cmp_lt_i32 s6, 1
	v_cmp_eq_u32_e64 s[4:5], 0, v23
	s_cbranch_scc1 .LBB78_516
; %bb.494:
	v_mad_u64_u32 v[17:18], s[8:9], s20, v15, 0
	s_mov_b32 s26, 0
	v_cmp_gt_u32_e64 s[12:13], 32, v23
	v_mad_u64_u32 v[18:19], s[8:9], s21, v15, v[18:19]
	s_lshl_b64 s[8:9], s[34:35], 2
	s_add_u32 s18, s14, s8
	v_lshlrev_b64 v[17:18], 4, v[17:18]
	s_addc_u32 s19, s15, s9
	v_mov_b32_e32 v19, 0x6000
	v_cmp_gt_i32_e64 s[8:9], s7, v15
	v_mov_b32_e32 v15, s95
	v_add_co_u32_e32 v26, vcc, s94, v17
	v_lshl_add_u32 v24, v23, 4, v19
	v_lshl_or_b32 v25, v2, 4, v19
	s_add_i32 s27, s6, -1
	v_addc_co_u32_e32 v27, vcc, v15, v18, vcc
	v_mov_b32_e32 v28, -1
	s_branch .LBB78_497
.LBB78_495:                             ;   in Loop: Header=BB78_497 Depth=1
	ds_read_b128 v[29:32], v25 offset:256
	s_waitcnt vmcnt(0) lgkmcnt(0)
	v_mul_f64 v[17:18], v[21:22], v[31:32]
	v_mul_f64 v[21:22], v[21:22], v[29:30]
	v_fma_f64 v[17:18], v[19:20], v[29:30], v[17:18]
	v_fma_f64 v[19:20], v[19:20], v[31:32], -v[21:22]
	v_add_f64 v[13:14], v[13:14], v[17:18]
	v_add_f64 v[11:12], v[11:12], v[19:20]
.LBB78_496:                             ;   in Loop: Header=BB78_497 Depth=1
	s_or_b64 exec, exec, s[20:21]
	s_add_i32 s26, s26, 1
	s_cmp_eq_u32 s26, s6
	s_cbranch_scc1 .LBB78_516
.LBB78_497:                             ; =>This Loop Header: Depth=1
                                        ;     Child Loop BB78_499 Depth 2
	v_cmp_gt_i32_e32 vcc, s26, v28
	s_and_b64 s[20:21], s[4:5], vcc
	s_and_saveexec_b64 s[10:11], s[20:21]
	s_cbranch_execz .LBB78_500
; %bb.498:                              ;   in Loop: Header=BB78_497 Depth=1
	global_load_dword v28, v16, s[18:19]
	s_waitcnt vmcnt(0)
	v_cmp_le_i32_e32 vcc, s26, v28
	s_cbranch_vccnz .LBB78_500
.LBB78_499:                             ;   Parent Loop BB78_497 Depth=1
                                        ; =>  This Inner Loop Header: Depth=2
	buffer_wbinvl1_vol
	global_load_dword v28, v16, s[18:19]
	s_waitcnt vmcnt(0)
	v_cmp_gt_i32_e32 vcc, s26, v28
	s_cbranch_vccnz .LBB78_499
.LBB78_500:                             ;   in Loop: Header=BB78_497 Depth=1
	s_or_b64 exec, exec, s[10:11]
	s_lshl_b32 s28, s26, 5
	buffer_wbinvl1_vol
	s_barrier
	s_and_saveexec_b64 s[10:11], s[12:13]
	s_cbranch_execz .LBB78_505
; %bb.501:                              ;   in Loop: Header=BB78_497 Depth=1
	v_or_b32_e32 v15, s28, v23
	v_cmp_le_i32_e32 vcc, s7, v15
	s_and_saveexec_b64 s[20:21], vcc
	s_xor_b64 s[20:21], exec, s[20:21]
; %bb.502:                              ;   in Loop: Header=BB78_497 Depth=1
	v_mov_b32_e32 v15, v16
	v_mov_b32_e32 v17, v16
	;; [unrolled: 1-line block ×3, first 2 shown]
	ds_write_b128 v24, v[15:18]
                                        ; implicit-def: $vgpr15
; %bb.503:                              ;   in Loop: Header=BB78_497 Depth=1
	s_andn2_saveexec_b64 s[20:21], s[20:21]
	s_cbranch_execz .LBB78_505
; %bb.504:                              ;   in Loop: Header=BB78_497 Depth=1
	v_mad_u64_u32 v[17:18], s[20:21], s30, v15, 0
	v_mad_u64_u32 v[18:19], s[20:21], s31, v15, v[18:19]
	v_mov_b32_e32 v15, s25
	v_lshlrev_b64 v[17:18], 4, v[17:18]
	v_add_co_u32_e32 v17, vcc, s24, v17
	v_addc_co_u32_e32 v18, vcc, v15, v18, vcc
	global_load_dwordx4 v[17:20], v[17:18], off
	s_waitcnt vmcnt(0)
	ds_write2_b64 v24, v[17:18], v[19:20] offset1:1
.LBB78_505:                             ;   in Loop: Header=BB78_497 Depth=1
	s_or_b64 exec, exec, s[10:11]
	v_add_u32_e32 v15, s28, v2
	v_lshlrev_b64 v[17:18], 4, v[15:16]
	s_cmp_lg_u32 s26, s27
	v_add_co_u32_e32 v17, vcc, v26, v17
	s_cselect_b64 s[10:11], -1, 0
	v_addc_co_u32_e32 v18, vcc, v27, v18, vcc
	v_cmp_gt_i32_e32 vcc, s7, v15
	v_cndmask_b32_e64 v19, 0, 1, s[10:11]
	s_and_b64 s[28:29], vcc, s[8:9]
	v_cmp_ne_u32_e64 s[10:11], 1, v19
	s_waitcnt lgkmcnt(0)
	s_barrier
	s_and_saveexec_b64 s[20:21], s[28:29]
	s_cbranch_execz .LBB78_511
; %bb.506:                              ;   in Loop: Header=BB78_497 Depth=1
	v_mov_b32_e32 v20, v8
	s_and_b64 vcc, exec, s[10:11]
	v_mov_b32_e32 v19, v7
	s_cbranch_vccnz .LBB78_508
; %bb.507:                              ;   in Loop: Header=BB78_497 Depth=1
	global_load_dwordx2 v[19:20], v[17:18], off
.LBB78_508:                             ;   in Loop: Header=BB78_497 Depth=1
	v_mov_b32_e32 v22, v10
	s_and_b64 vcc, exec, s[10:11]
	v_mov_b32_e32 v21, v9
	s_cbranch_vccnz .LBB78_510
; %bb.509:                              ;   in Loop: Header=BB78_497 Depth=1
	global_load_dwordx2 v[21:22], v[17:18], off offset:8
.LBB78_510:                             ;   in Loop: Header=BB78_497 Depth=1
	ds_read_b128 v[29:32], v25
	s_waitcnt vmcnt(0) lgkmcnt(0)
	v_mul_f64 v[33:34], v[21:22], v[31:32]
	v_mul_f64 v[21:22], v[21:22], v[29:30]
	v_fma_f64 v[29:30], v[19:20], v[29:30], v[33:34]
	v_fma_f64 v[19:20], v[19:20], v[31:32], -v[21:22]
	v_add_f64 v[13:14], v[13:14], v[29:30]
	v_add_f64 v[11:12], v[11:12], v[19:20]
.LBB78_511:                             ;   in Loop: Header=BB78_497 Depth=1
	s_or_b64 exec, exec, s[20:21]
	v_add_u32_e32 v15, 16, v15
	v_cmp_gt_i32_e32 vcc, s7, v15
	s_and_b64 s[28:29], vcc, s[8:9]
	s_and_saveexec_b64 s[20:21], s[28:29]
	s_cbranch_execz .LBB78_496
; %bb.512:                              ;   in Loop: Header=BB78_497 Depth=1
	v_mov_b32_e32 v20, v4
	s_and_b64 vcc, exec, s[10:11]
	v_mov_b32_e32 v19, v3
	s_cbranch_vccnz .LBB78_514
; %bb.513:                              ;   in Loop: Header=BB78_497 Depth=1
	global_load_dwordx2 v[19:20], v[17:18], off offset:256
.LBB78_514:                             ;   in Loop: Header=BB78_497 Depth=1
	v_mov_b32_e32 v22, v6
	s_and_b64 vcc, exec, s[10:11]
	v_mov_b32_e32 v21, v5
	s_cbranch_vccnz .LBB78_495
; %bb.515:                              ;   in Loop: Header=BB78_497 Depth=1
	global_load_dwordx2 v[21:22], v[17:18], off offset:264
	s_branch .LBB78_495
.LBB78_516:
	s_xor_b64 s[4:5], s[22:23], -1
	v_lshlrev_b32_e32 v1, 4, v1
	v_mov_b32_e32 v15, v11
	v_mov_b32_e32 v16, v12
	ds_write_b128 v1, v[13:16] offset:16384
	s_waitcnt lgkmcnt(0)
	s_barrier
	s_and_saveexec_b64 s[6:7], s[2:3]
	s_cbranch_execz .LBB78_518
; %bb.517:
	v_lshlrev_b32_e32 v15, 4, v0
	ds_read_b128 v[3:6], v15 offset:16896
	ds_read_b128 v[7:10], v15 offset:17408
	s_waitcnt lgkmcnt(1)
	v_add_f64 v[3:4], v[13:14], v[3:4]
	v_add_f64 v[5:6], v[11:12], v[5:6]
	s_waitcnt lgkmcnt(0)
	v_add_f64 v[11:12], v[3:4], v[7:8]
	v_add_f64 v[13:14], v[5:6], v[9:10]
	ds_read_b128 v[3:6], v15 offset:17920
	ds_read_b128 v[7:10], v15 offset:18432
	s_waitcnt lgkmcnt(1)
	v_add_f64 v[3:4], v[11:12], v[3:4]
	v_add_f64 v[5:6], v[13:14], v[5:6]
	s_waitcnt lgkmcnt(0)
	v_add_f64 v[11:12], v[3:4], v[7:8]
	v_add_f64 v[13:14], v[5:6], v[9:10]
	;; [unrolled: 8-line block ×7, first 2 shown]
	ds_read_b128 v[3:6], v15 offset:24064
	s_waitcnt lgkmcnt(0)
	v_add_f64 v[3:4], v[7:8], v[3:4]
	v_add_f64 v[5:6], v[9:10], v[5:6]
	v_xor_b32_e32 v4, 0x80000000, v4
	v_xor_b32_e32 v6, 0x80000000, v6
	v_cndmask_b32_e64 v13, v3, 0, s[16:17]
	v_cndmask_b32_e64 v14, v4, 0, s[16:17]
	v_cndmask_b32_e64 v12, v6, 0, s[16:17]
	v_cndmask_b32_e64 v11, v5, 0, s[16:17]
.LBB78_518:
	s_or_b64 exec, exec, s[6:7]
	s_and_b64 vcc, exec, s[0:1]
	s_cbranch_vccnz .LBB78_527
; %bb.519:
	v_mov_b32_e32 v3, 0x6000
	v_lshl_or_b32 v7, v2, 4, v3
	s_and_saveexec_b64 s[0:1], s[2:3]
; %bb.520:
	v_lshl_add_u32 v3, v0, 4, v7
	v_mov_b32_e32 v15, v11
	v_mov_b32_e32 v16, v12
	ds_write_b128 v3, v[13:16]
; %bb.521:
	s_or_b64 exec, exec, s[0:1]
	v_mov_b32_e32 v3, 0
	v_mov_b32_e32 v5, 0
	;; [unrolled: 1-line block ×4, first 2 shown]
	v_cmp_le_u32_e32 vcc, v2, v0
	s_waitcnt lgkmcnt(0)
	s_barrier
	s_and_saveexec_b64 s[0:1], vcc
	s_cbranch_execz .LBB78_523
; %bb.522:
	ds_read_b128 v[3:6], v7
	ds_read_b128 v[15:18], v1
	s_waitcnt lgkmcnt(0)
	v_mul_f64 v[8:9], v[5:6], v[17:18]
	v_mul_f64 v[17:18], v[3:4], v[17:18]
	v_fma_f64 v[3:4], v[3:4], v[15:16], -v[8:9]
	v_fma_f64 v[5:6], v[5:6], v[15:16], v[17:18]
	v_add_f64 v[3:4], v[3:4], 0
	v_add_f64 v[5:6], v[5:6], 0
.LBB78_523:
	s_or_b64 exec, exec, s[0:1]
	v_add_u32_e32 v2, 16, v2
	v_add_u32_e32 v8, 0x4000, v1
	v_cmp_ge_u32_e32 vcc, v0, v2
	s_and_saveexec_b64 s[0:1], vcc
	s_cbranch_execz .LBB78_525
; %bb.524:
	ds_read_b128 v[15:18], v7 offset:256
	ds_read_b128 v[19:22], v1 offset:8192
	s_waitcnt lgkmcnt(0)
	v_mul_f64 v[1:2], v[17:18], v[21:22]
	v_mul_f64 v[9:10], v[15:16], v[21:22]
	v_fma_f64 v[1:2], v[15:16], v[19:20], -v[1:2]
	v_fma_f64 v[9:10], v[17:18], v[19:20], v[9:10]
	v_add_f64 v[3:4], v[3:4], v[1:2]
	v_add_f64 v[5:6], v[5:6], v[9:10]
.LBB78_525:
	s_or_b64 exec, exec, s[0:1]
	s_mov_b64 s[6:7], 0
	s_mov_b64 s[0:1], 0
	ds_write_b128 v8, v[3:6]
	s_waitcnt lgkmcnt(0)
	s_barrier
                                        ; implicit-def: $vgpr7_vgpr8
                                        ; implicit-def: $vgpr9_vgpr10
                                        ; implicit-def: $vgpr1_vgpr2
	s_and_saveexec_b64 s[8:9], s[2:3]
	s_cbranch_execz .LBB78_540
; %bb.526:
	v_lshlrev_b32_e32 v19, 4, v0
	ds_read_b128 v[7:10], v19 offset:16896
	ds_read_b128 v[15:18], v19 offset:17408
	s_mov_b64 s[0:1], exec
	s_waitcnt lgkmcnt(1)
	v_add_f64 v[1:2], v[3:4], v[7:8]
	v_add_f64 v[3:4], v[5:6], v[9:10]
	s_waitcnt lgkmcnt(0)
	v_add_f64 v[9:10], v[1:2], v[15:16]
	v_add_f64 v[15:16], v[3:4], v[17:18]
	ds_read_b128 v[1:4], v19 offset:17920
	ds_read_b128 v[5:8], v19 offset:18432
	s_waitcnt lgkmcnt(1)
	v_add_f64 v[1:2], v[9:10], v[1:2]
	v_add_f64 v[3:4], v[15:16], v[3:4]
	s_waitcnt lgkmcnt(0)
	v_add_f64 v[9:10], v[1:2], v[5:6]
	v_add_f64 v[15:16], v[3:4], v[7:8]
	ds_read_b128 v[1:4], v19 offset:18944
	ds_read_b128 v[5:8], v19 offset:19456
	;; [unrolled: 8-line block ×6, first 2 shown]
	s_waitcnt lgkmcnt(1)
	v_add_f64 v[1:2], v[9:10], v[1:2]
	v_add_f64 v[3:4], v[15:16], v[3:4]
	v_add_u32_e32 v15, s33, v23
	s_waitcnt lgkmcnt(0)
	v_add_f64 v[9:10], v[1:2], v[5:6]
	v_add_f64 v[7:8], v[3:4], v[7:8]
	ds_read_b128 v[3:6], v19 offset:24064
	v_mad_u64_u32 v[1:2], s[10:11], s30, v15, 0
	s_waitcnt lgkmcnt(0)
	v_add_f64 v[9:10], v[9:10], v[3:4]
	v_add_f64 v[7:8], v[7:8], v[5:6]
	v_mad_u64_u32 v[2:3], s[10:11], s31, v15, v[2:3]
	s_or_b64 exec, exec, s[8:9]
	s_and_b64 vcc, exec, s[6:7]
	s_cbranch_vccnz .LBB78_528
	s_branch .LBB78_541
.LBB78_527:
	s_mov_b64 s[0:1], 0
                                        ; implicit-def: $vgpr7_vgpr8
                                        ; implicit-def: $vgpr9_vgpr10
                                        ; implicit-def: $vgpr1_vgpr2
	s_cbranch_execz .LBB78_541
.LBB78_528:
	v_mul_u32_u24_e32 v1, 0x210, v0
	v_lshlrev_b32_e32 v2, 9, v0
	v_sub_u32_e32 v2, v1, v2
	s_mov_b32 s8, 0
	v_mov_b32_e32 v3, 0
	v_mov_b32_e32 v4, v0
	s_branch .LBB78_530
.LBB78_529:                             ;   in Loop: Header=BB78_530 Depth=1
	s_or_b64 exec, exec, s[6:7]
	s_add_i32 s8, s8, 2
	v_add_u32_e32 v2, 0x400, v2
	s_cmp_lg_u32 s8, 32
	v_add_u32_e32 v4, -2, v4
	s_barrier
	s_cbranch_scc0 .LBB78_538
.LBB78_530:                             ; =>This Inner Loop Header: Depth=1
	v_cmp_eq_u32_e32 vcc, 0, v4
	s_and_b64 s[10:11], s[2:3], vcc
	s_and_saveexec_b64 s[6:7], s[10:11]
	s_cbranch_execz .LBB78_532
; %bb.531:                              ;   in Loop: Header=BB78_530 Depth=1
	ds_read_b128 v[5:8], v1
	s_waitcnt lgkmcnt(0)
	v_mul_f64 v[9:10], v[11:12], v[7:8]
	v_mul_f64 v[7:8], v[13:14], v[7:8]
	v_fma_f64 v[9:10], v[13:14], v[5:6], -v[9:10]
	v_fma_f64 v[11:12], v[11:12], v[5:6], v[7:8]
	v_mov_b32_e32 v14, v10
	v_mov_b32_e32 v13, v9
	ds_write_b128 v3, v[9:12] offset:25088
.LBB78_532:                             ;   in Loop: Header=BB78_530 Depth=1
	s_or_b64 exec, exec, s[6:7]
	v_cmp_lt_u32_e32 vcc, s8, v0
	s_and_b64 s[10:11], s[2:3], vcc
	s_waitcnt lgkmcnt(0)
	s_barrier
	s_and_saveexec_b64 s[6:7], s[10:11]
	s_cbranch_execz .LBB78_534
; %bb.533:                              ;   in Loop: Header=BB78_530 Depth=1
	ds_read_b128 v[5:8], v3 offset:25088
	ds_read_b128 v[15:18], v2
	s_waitcnt lgkmcnt(0)
	v_mul_f64 v[9:10], v[7:8], v[17:18]
	v_mul_f64 v[17:18], v[5:6], v[17:18]
	v_fma_f64 v[5:6], v[5:6], v[15:16], -v[9:10]
	v_fma_f64 v[7:8], v[7:8], v[15:16], v[17:18]
	v_add_f64 v[13:14], v[13:14], v[5:6]
	v_add_f64 v[11:12], v[11:12], v[7:8]
.LBB78_534:                             ;   in Loop: Header=BB78_530 Depth=1
	s_or_b64 exec, exec, s[6:7]
	s_or_b32 s9, s8, 1
	v_cmp_eq_u32_e32 vcc, s9, v0
	s_and_b64 s[10:11], s[2:3], vcc
	s_barrier
	s_and_saveexec_b64 s[6:7], s[10:11]
	s_cbranch_execz .LBB78_536
; %bb.535:                              ;   in Loop: Header=BB78_530 Depth=1
	ds_read_b128 v[5:8], v1
	s_waitcnt lgkmcnt(0)
	v_mul_f64 v[9:10], v[11:12], v[7:8]
	v_mul_f64 v[7:8], v[13:14], v[7:8]
	v_fma_f64 v[9:10], v[13:14], v[5:6], -v[9:10]
	v_fma_f64 v[11:12], v[11:12], v[5:6], v[7:8]
	v_mov_b32_e32 v14, v10
	v_mov_b32_e32 v13, v9
	ds_write_b128 v3, v[9:12] offset:25088
.LBB78_536:                             ;   in Loop: Header=BB78_530 Depth=1
	s_or_b64 exec, exec, s[6:7]
	v_cmp_lt_u32_e32 vcc, s9, v0
	s_and_b64 s[10:11], s[2:3], vcc
	s_waitcnt lgkmcnt(0)
	s_barrier
	s_and_saveexec_b64 s[6:7], s[10:11]
	s_cbranch_execz .LBB78_529
; %bb.537:                              ;   in Loop: Header=BB78_530 Depth=1
	ds_read_b128 v[5:8], v3 offset:25088
	ds_read_b128 v[15:18], v2 offset:512
	s_waitcnt lgkmcnt(0)
	v_mul_f64 v[9:10], v[7:8], v[17:18]
	v_mul_f64 v[17:18], v[5:6], v[17:18]
	v_fma_f64 v[5:6], v[5:6], v[15:16], -v[9:10]
	v_fma_f64 v[7:8], v[7:8], v[15:16], v[17:18]
	v_add_f64 v[13:14], v[13:14], v[5:6]
	v_add_f64 v[11:12], v[11:12], v[7:8]
	s_branch .LBB78_529
.LBB78_538:
	s_and_b64 vcc, exec, s[4:5]
	s_cbranch_vccz .LBB78_542
; %bb.539:
	s_and_b64 s[4:5], s[2:3], exec
	s_cbranch_execz .LBB78_543
	s_branch .LBB78_544
.LBB78_540:
	s_or_b64 exec, exec, s[8:9]
	s_and_b64 vcc, exec, s[6:7]
	s_cbranch_vccnz .LBB78_528
.LBB78_541:
	v_mov_b32_e32 v12, v8
	v_mov_b32_e32 v14, v10
	v_mov_b32_e32 v11, v7
	v_mov_b32_e32 v13, v9
	s_and_saveexec_b64 s[2:3], s[0:1]
	s_cbranch_execnz .LBB78_547
	s_branch .LBB78_548
.LBB78_542:
	s_mov_b64 s[4:5], 0
.LBB78_543:
	v_cmp_gt_i32_e32 vcc, s93, v0
	s_and_b64 s[2:3], s[2:3], vcc
	s_andn2_b64 s[4:5], s[4:5], exec
	s_and_b64 s[2:3], s[2:3], exec
	s_or_b64 s[4:5], s[4:5], s[2:3]
.LBB78_544:
                                        ; implicit-def: $vgpr1_vgpr2
	s_and_saveexec_b64 s[2:3], s[4:5]
	s_cbranch_execz .LBB78_546
; %bb.545:
	v_mov_b32_e32 v0, s92
	v_add_co_u32_e32 v1, vcc, s33, v23
	v_addc_co_u32_e32 v0, vcc, 0, v0, vcc
	v_mul_lo_u32 v0, v0, s30
	v_mul_lo_u32 v3, v1, s31
	v_mad_u64_u32 v[1:2], s[4:5], v1, s30, 0
	s_or_b64 s[0:1], s[0:1], exec
	v_add3_u32 v2, v2, v3, v0
.LBB78_546:
	s_or_b64 exec, exec, s[2:3]
	s_and_saveexec_b64 s[2:3], s[0:1]
	s_cbranch_execz .LBB78_548
.LBB78_547:
	v_lshlrev_b64 v[0:1], 4, v[1:2]
	v_mov_b32_e32 v2, s25
	v_add_co_u32_e32 v0, vcc, s24, v0
	v_addc_co_u32_e32 v1, vcc, v2, v1, vcc
	v_mov_b32_e32 v15, v11
	v_mov_b32_e32 v16, v12
	global_store_dwordx4 v[0:1], v[13:16], off
.LBB78_548:
	s_or_b64 exec, exec, s[2:3]
	v_cmp_eq_u32_e32 vcc, 0, v23
	s_waitcnt vmcnt(0)
	buffer_wbinvl1_vol
	s_barrier
	s_and_saveexec_b64 s[0:1], vcc
	s_cbranch_execz .LBB78_550
; %bb.549:
	s_lshl_b64 s[2:3], s[34:35], 2
	s_add_u32 s2, s14, s2
	s_addc_u32 s3, s15, s3
	v_mov_b32_e32 v0, 0
	global_load_dword v1, v0, s[2:3]
	s_waitcnt vmcnt(0)
	v_add_u32_e32 v1, 1, v1
	global_store_dword v0, v1, s[2:3]
.LBB78_550:
	s_or_b64 exec, exec, s[0:1]
	s_waitcnt vmcnt(0)
	buffer_wbinvl1_vol
	s_endpgm
.LBB78_551:
	ds_read_b128 v[24:27], v23 offset:14800
	ds_read_b128 v[28:31], v22 offset:15232
	s_waitcnt lgkmcnt(0)
	v_mul_f64 v[32:33], v[26:27], v[30:31]
	v_mul_f64 v[30:31], v[24:25], v[30:31]
	v_fma_f64 v[24:25], v[24:25], v[28:29], -v[32:33]
	v_fma_f64 v[26:27], v[26:27], v[28:29], v[30:31]
	v_add_f64 v[11:12], v[11:12], v[24:25]
	v_add_f64 v[13:14], v[13:14], v[26:27]
	s_or_b64 exec, exec, s[18:19]
	v_cmp_gt_u32_e64 s[12:13], 8, v18
	s_and_saveexec_b64 s[18:19], s[12:13]
	s_cbranch_execz .LBB78_89
.LBB78_552:
	ds_read_b128 v[23:26], v23 offset:14816
	ds_read_b128 v[27:30], v22 offset:15744
	s_waitcnt lgkmcnt(0)
	v_mul_f64 v[31:32], v[25:26], v[29:30]
	v_mul_f64 v[29:30], v[23:24], v[29:30]
	v_fma_f64 v[22:23], v[23:24], v[27:28], -v[31:32]
	v_fma_f64 v[24:25], v[25:26], v[27:28], v[29:30]
	v_add_f64 v[11:12], v[11:12], v[22:23]
	v_add_f64 v[13:14], v[13:14], v[24:25]
	s_or_b64 exec, exec, s[18:19]
	v_cmp_gt_u32_e64 s[12:13], 4, v18
	s_and_saveexec_b64 s[18:19], s[12:13]
	s_cbranch_execnz .LBB78_90
	s_branch .LBB78_91
.LBB78_553:
	ds_read_b128 v[27:30], v26 offset:12688
	ds_read_b128 v[31:34], v25 offset:13056
	s_waitcnt lgkmcnt(0)
	v_mul_f64 v[35:36], v[29:30], v[33:34]
	v_mul_f64 v[33:34], v[27:28], v[33:34]
	v_fma_f64 v[27:28], v[27:28], v[31:32], -v[35:36]
	v_fma_f64 v[29:30], v[29:30], v[31:32], v[33:34]
	v_add_f64 v[11:12], v[11:12], v[27:28]
	v_add_f64 v[13:14], v[13:14], v[29:30]
	s_or_b64 exec, exec, s[58:59]
	v_cmp_gt_u32_e64 s[14:15], 48, v18
	s_and_saveexec_b64 s[58:59], s[14:15]
	s_cbranch_execz .LBB78_131
.LBB78_554:
	ds_read_b128 v[27:30], v26 offset:12704
	ds_read_b128 v[31:34], v25 offset:13568
	s_waitcnt lgkmcnt(0)
	v_mul_f64 v[35:36], v[29:30], v[33:34]
	v_mul_f64 v[33:34], v[27:28], v[33:34]
	v_fma_f64 v[27:28], v[27:28], v[31:32], -v[35:36]
	v_fma_f64 v[29:30], v[29:30], v[31:32], v[33:34]
	v_add_f64 v[11:12], v[11:12], v[27:28]
	v_add_f64 v[13:14], v[13:14], v[29:30]
	s_or_b64 exec, exec, s[58:59]
	v_cmp_gt_u32_e64 s[14:15], 40, v18
	s_and_saveexec_b64 s[58:59], s[14:15]
	s_cbranch_execz .LBB78_132
.LBB78_555:
	ds_read_b128 v[27:30], v26 offset:12720
	ds_read_b128 v[31:34], v25 offset:14080
	s_waitcnt lgkmcnt(0)
	v_mul_f64 v[35:36], v[29:30], v[33:34]
	v_mul_f64 v[33:34], v[27:28], v[33:34]
	v_fma_f64 v[27:28], v[27:28], v[31:32], -v[35:36]
	v_fma_f64 v[29:30], v[29:30], v[31:32], v[33:34]
	v_add_f64 v[11:12], v[11:12], v[27:28]
	v_add_f64 v[13:14], v[13:14], v[29:30]
	s_or_b64 exec, exec, s[58:59]
	v_cmp_gt_u32_e64 s[14:15], 32, v18
	s_and_saveexec_b64 s[58:59], s[14:15]
	s_cbranch_execz .LBB78_133
.LBB78_556:
	ds_read_b128 v[27:30], v26 offset:12736
	ds_read_b128 v[31:34], v25 offset:14592
	s_waitcnt lgkmcnt(0)
	v_mul_f64 v[35:36], v[29:30], v[33:34]
	v_mul_f64 v[33:34], v[27:28], v[33:34]
	v_fma_f64 v[27:28], v[27:28], v[31:32], -v[35:36]
	v_fma_f64 v[29:30], v[29:30], v[31:32], v[33:34]
	v_add_f64 v[11:12], v[11:12], v[27:28]
	v_add_f64 v[13:14], v[13:14], v[29:30]
	s_or_b64 exec, exec, s[58:59]
	v_cmp_gt_u32_e64 s[14:15], 24, v18
	s_and_saveexec_b64 s[58:59], s[14:15]
	s_cbranch_execz .LBB78_134
.LBB78_557:
	ds_read_b128 v[27:30], v26 offset:12752
	ds_read_b128 v[31:34], v25 offset:15104
	s_waitcnt lgkmcnt(0)
	v_mul_f64 v[35:36], v[29:30], v[33:34]
	v_mul_f64 v[33:34], v[27:28], v[33:34]
	v_fma_f64 v[27:28], v[27:28], v[31:32], -v[35:36]
	v_fma_f64 v[29:30], v[29:30], v[31:32], v[33:34]
	v_add_f64 v[11:12], v[11:12], v[27:28]
	v_add_f64 v[13:14], v[13:14], v[29:30]
	s_or_b64 exec, exec, s[58:59]
	s_and_saveexec_b64 s[14:15], s[16:17]
	s_cbranch_execz .LBB78_135
.LBB78_558:
	ds_read_b128 v[26:29], v26 offset:12768
	ds_read_b128 v[30:33], v25 offset:15616
	s_waitcnt lgkmcnt(0)
	v_mul_f64 v[34:35], v[28:29], v[32:33]
	v_mul_f64 v[32:33], v[26:27], v[32:33]
	v_fma_f64 v[25:26], v[26:27], v[30:31], -v[34:35]
	v_fma_f64 v[27:28], v[28:29], v[30:31], v[32:33]
	v_add_f64 v[11:12], v[11:12], v[25:26]
	v_add_f64 v[13:14], v[13:14], v[27:28]
	s_or_b64 exec, exec, s[14:15]
	v_cmp_gt_u32_e64 s[14:15], 8, v18
	s_and_saveexec_b64 s[58:59], s[14:15]
	s_cbranch_execnz .LBB78_136
	s_branch .LBB78_137
.LBB78_559:
	ds_read_b128 v[27:30], v26 offset:10576
	ds_read_b128 v[31:34], v25 offset:11008
	s_waitcnt lgkmcnt(0)
	v_mul_f64 v[35:36], v[29:30], v[33:34]
	v_mul_f64 v[33:34], v[27:28], v[33:34]
	v_fma_f64 v[27:28], v[27:28], v[31:32], -v[35:36]
	v_fma_f64 v[29:30], v[29:30], v[31:32], v[33:34]
	v_add_f64 v[11:12], v[11:12], v[27:28]
	v_add_f64 v[13:14], v[13:14], v[29:30]
	s_or_b64 exec, exec, s[18:19]
	v_cmp_gt_u32_e64 s[12:13], 8, v18
	s_and_saveexec_b64 s[18:19], s[12:13]
	s_cbranch_execz .LBB78_193
.LBB78_560:
	ds_read_b128 v[26:29], v26 offset:10592
	ds_read_b128 v[30:33], v25 offset:11520
	s_waitcnt lgkmcnt(0)
	v_mul_f64 v[34:35], v[28:29], v[32:33]
	v_mul_f64 v[32:33], v[26:27], v[32:33]
	v_fma_f64 v[25:26], v[26:27], v[30:31], -v[34:35]
	v_fma_f64 v[27:28], v[28:29], v[30:31], v[32:33]
	v_add_f64 v[11:12], v[11:12], v[25:26]
	v_add_f64 v[13:14], v[13:14], v[27:28]
	s_or_b64 exec, exec, s[18:19]
	v_cmp_gt_u32_e64 s[12:13], 4, v18
	s_and_saveexec_b64 s[18:19], s[12:13]
	s_cbranch_execnz .LBB78_194
	s_branch .LBB78_195
.LBB78_561:
	ds_read_b128 v[30:33], v29 offset:8624
	ds_read_b128 v[34:37], v28 offset:13824
	s_waitcnt lgkmcnt(0)
	v_mul_f64 v[38:39], v[32:33], v[36:37]
	v_mul_f64 v[36:37], v[30:31], v[36:37]
	v_fma_f64 v[30:31], v[30:31], v[34:35], -v[38:39]
	v_fma_f64 v[32:33], v[32:33], v[34:35], v[36:37]
	v_add_f64 v[11:12], v[11:12], v[30:31]
	v_add_f64 v[13:14], v[13:14], v[32:33]
	s_or_b64 exec, exec, s[90:91]
	s_and_saveexec_b64 s[18:19], s[8:9]
	s_cbranch_execz .LBB78_255
.LBB78_562:
	ds_read_b128 v[30:33], v29 offset:8640
	ds_read_b128 v[34:37], v28 offset:14336
	s_waitcnt lgkmcnt(0)
	v_mul_f64 v[38:39], v[32:33], v[36:37]
	v_mul_f64 v[36:37], v[30:31], v[36:37]
	v_fma_f64 v[30:31], v[30:31], v[34:35], -v[38:39]
	v_fma_f64 v[32:33], v[32:33], v[34:35], v[36:37]
	v_add_f64 v[11:12], v[11:12], v[30:31]
	v_add_f64 v[13:14], v[13:14], v[32:33]
	s_or_b64 exec, exec, s[18:19]
	v_cmp_gt_u32_e64 s[18:19], 48, v18
	s_and_saveexec_b64 s[90:91], s[18:19]
	s_cbranch_execz .LBB78_256
.LBB78_563:
	ds_read_b128 v[30:33], v29 offset:8656
	ds_read_b128 v[34:37], v28 offset:14848
	s_waitcnt lgkmcnt(0)
	v_mul_f64 v[38:39], v[32:33], v[36:37]
	v_mul_f64 v[36:37], v[30:31], v[36:37]
	v_fma_f64 v[30:31], v[30:31], v[34:35], -v[38:39]
	v_fma_f64 v[32:33], v[32:33], v[34:35], v[36:37]
	v_add_f64 v[11:12], v[11:12], v[30:31]
	v_add_f64 v[13:14], v[13:14], v[32:33]
	s_or_b64 exec, exec, s[90:91]
	v_cmp_gt_u32_e64 s[18:19], 32, v18
	s_and_saveexec_b64 s[90:91], s[18:19]
	s_cbranch_execz .LBB78_257
.LBB78_564:
	ds_read_b128 v[29:32], v29 offset:8672
	ds_read_b128 v[33:36], v28 offset:15360
	s_waitcnt lgkmcnt(0)
	v_mul_f64 v[37:38], v[31:32], v[35:36]
	v_mul_f64 v[35:36], v[29:30], v[35:36]
	v_fma_f64 v[28:29], v[29:30], v[33:34], -v[37:38]
	v_fma_f64 v[30:31], v[31:32], v[33:34], v[35:36]
	v_add_f64 v[11:12], v[11:12], v[28:29]
	v_add_f64 v[13:14], v[13:14], v[30:31]
	s_or_b64 exec, exec, s[90:91]
	v_cmp_gt_u32_e64 s[18:19], 16, v18
	s_and_saveexec_b64 s[90:91], s[18:19]
	s_cbranch_execnz .LBB78_258
	s_branch .LBB78_259
.LBB78_565:
	ds_read_b128 v[27:30], v26 offset:6352
	ds_read_b128 v[31:34], v25 offset:6784
	s_waitcnt lgkmcnt(0)
	v_mul_f64 v[35:36], v[29:30], v[33:34]
	v_mul_f64 v[33:34], v[27:28], v[33:34]
	v_fma_f64 v[27:28], v[27:28], v[31:32], -v[35:36]
	v_fma_f64 v[29:30], v[29:30], v[31:32], v[33:34]
	v_add_f64 v[11:12], v[11:12], v[27:28]
	v_add_f64 v[13:14], v[13:14], v[29:30]
	s_or_b64 exec, exec, s[14:15]
	v_cmp_gt_u32_e64 s[10:11], 8, v18
	s_and_saveexec_b64 s[14:15], s[10:11]
	s_cbranch_execz .LBB78_347
.LBB78_566:
	ds_read_b128 v[26:29], v26 offset:6368
	ds_read_b128 v[30:33], v25 offset:7296
	s_waitcnt lgkmcnt(0)
	v_mul_f64 v[34:35], v[28:29], v[32:33]
	v_mul_f64 v[32:33], v[26:27], v[32:33]
	v_fma_f64 v[25:26], v[26:27], v[30:31], -v[34:35]
	v_fma_f64 v[27:28], v[28:29], v[30:31], v[32:33]
	v_add_f64 v[11:12], v[11:12], v[25:26]
	v_add_f64 v[13:14], v[13:14], v[27:28]
	s_or_b64 exec, exec, s[14:15]
	v_cmp_gt_u32_e64 s[10:11], 4, v18
	s_and_saveexec_b64 s[14:15], s[10:11]
	s_cbranch_execnz .LBB78_348
	s_branch .LBB78_349
.LBB78_567:
	ds_read_b128 v[27:30], v26 offset:4240
	ds_read_b128 v[31:34], v25 offset:4608
	s_waitcnt lgkmcnt(0)
	v_mul_f64 v[35:36], v[29:30], v[33:34]
	v_mul_f64 v[33:34], v[27:28], v[33:34]
	v_fma_f64 v[27:28], v[27:28], v[31:32], -v[35:36]
	v_fma_f64 v[29:30], v[29:30], v[31:32], v[33:34]
	v_add_f64 v[11:12], v[11:12], v[27:28]
	v_add_f64 v[13:14], v[13:14], v[29:30]
	s_or_b64 exec, exec, s[14:15]
	v_cmp_gt_u32_e64 s[10:11], 48, v18
	s_and_saveexec_b64 s[14:15], s[10:11]
	s_cbranch_execz .LBB78_389
.LBB78_568:
	ds_read_b128 v[27:30], v26 offset:4256
	ds_read_b128 v[31:34], v25 offset:5120
	s_waitcnt lgkmcnt(0)
	v_mul_f64 v[35:36], v[29:30], v[33:34]
	v_mul_f64 v[33:34], v[27:28], v[33:34]
	v_fma_f64 v[27:28], v[27:28], v[31:32], -v[35:36]
	v_fma_f64 v[29:30], v[29:30], v[31:32], v[33:34]
	v_add_f64 v[11:12], v[11:12], v[27:28]
	v_add_f64 v[13:14], v[13:14], v[29:30]
	s_or_b64 exec, exec, s[14:15]
	v_cmp_gt_u32_e64 s[10:11], 40, v18
	s_and_saveexec_b64 s[14:15], s[10:11]
	s_cbranch_execz .LBB78_390
.LBB78_569:
	ds_read_b128 v[27:30], v26 offset:4272
	ds_read_b128 v[31:34], v25 offset:5632
	s_waitcnt lgkmcnt(0)
	v_mul_f64 v[35:36], v[29:30], v[33:34]
	v_mul_f64 v[33:34], v[27:28], v[33:34]
	v_fma_f64 v[27:28], v[27:28], v[31:32], -v[35:36]
	v_fma_f64 v[29:30], v[29:30], v[31:32], v[33:34]
	v_add_f64 v[11:12], v[11:12], v[27:28]
	v_add_f64 v[13:14], v[13:14], v[29:30]
	s_or_b64 exec, exec, s[14:15]
	v_cmp_gt_u32_e64 s[10:11], 32, v18
	s_and_saveexec_b64 s[14:15], s[10:11]
	s_cbranch_execz .LBB78_391
.LBB78_570:
	ds_read_b128 v[27:30], v26 offset:4288
	ds_read_b128 v[31:34], v25 offset:6144
	s_waitcnt lgkmcnt(0)
	v_mul_f64 v[35:36], v[29:30], v[33:34]
	v_mul_f64 v[33:34], v[27:28], v[33:34]
	v_fma_f64 v[27:28], v[27:28], v[31:32], -v[35:36]
	v_fma_f64 v[29:30], v[29:30], v[31:32], v[33:34]
	v_add_f64 v[11:12], v[11:12], v[27:28]
	v_add_f64 v[13:14], v[13:14], v[29:30]
	s_or_b64 exec, exec, s[14:15]
	v_cmp_gt_u32_e64 s[10:11], 24, v18
	s_and_saveexec_b64 s[14:15], s[10:11]
	s_cbranch_execz .LBB78_392
.LBB78_571:
	ds_read_b128 v[27:30], v26 offset:4304
	ds_read_b128 v[31:34], v25 offset:6656
	s_waitcnt lgkmcnt(0)
	v_mul_f64 v[35:36], v[29:30], v[33:34]
	v_mul_f64 v[33:34], v[27:28], v[33:34]
	v_fma_f64 v[27:28], v[27:28], v[31:32], -v[35:36]
	v_fma_f64 v[29:30], v[29:30], v[31:32], v[33:34]
	v_add_f64 v[11:12], v[11:12], v[27:28]
	v_add_f64 v[13:14], v[13:14], v[29:30]
	s_or_b64 exec, exec, s[14:15]
	s_and_saveexec_b64 s[10:11], s[16:17]
	s_cbranch_execz .LBB78_393
.LBB78_572:
	ds_read_b128 v[26:29], v26 offset:4320
	ds_read_b128 v[30:33], v25 offset:7168
	s_waitcnt lgkmcnt(0)
	v_mul_f64 v[34:35], v[28:29], v[32:33]
	v_mul_f64 v[32:33], v[26:27], v[32:33]
	v_fma_f64 v[25:26], v[26:27], v[30:31], -v[34:35]
	v_fma_f64 v[27:28], v[28:29], v[30:31], v[32:33]
	v_add_f64 v[11:12], v[11:12], v[25:26]
	v_add_f64 v[13:14], v[13:14], v[27:28]
	s_or_b64 exec, exec, s[10:11]
	v_cmp_gt_u32_e64 s[10:11], 8, v18
	s_and_saveexec_b64 s[14:15], s[10:11]
	s_cbranch_execnz .LBB78_394
	s_branch .LBB78_395
.LBB78_573:
	ds_read_b128 v[24:27], v23 offset:2128
	ds_read_b128 v[28:31], v22 offset:2560
	s_waitcnt lgkmcnt(0)
	v_mul_f64 v[32:33], v[26:27], v[30:31]
	v_mul_f64 v[30:31], v[24:25], v[30:31]
	v_fma_f64 v[24:25], v[24:25], v[28:29], -v[32:33]
	v_fma_f64 v[26:27], v[26:27], v[28:29], v[30:31]
	v_add_f64 v[11:12], v[11:12], v[24:25]
	v_add_f64 v[13:14], v[13:14], v[26:27]
	s_or_b64 exec, exec, s[12:13]
	v_cmp_gt_u32_e64 s[8:9], 8, v18
	s_and_saveexec_b64 s[12:13], s[8:9]
	s_cbranch_execz .LBB78_451
.LBB78_574:
	ds_read_b128 v[23:26], v23 offset:2144
	ds_read_b128 v[27:30], v22 offset:3072
	s_waitcnt lgkmcnt(0)
	v_mul_f64 v[31:32], v[25:26], v[29:30]
	v_mul_f64 v[29:30], v[23:24], v[29:30]
	v_fma_f64 v[22:23], v[23:24], v[27:28], -v[31:32]
	v_fma_f64 v[24:25], v[25:26], v[27:28], v[29:30]
	v_add_f64 v[11:12], v[11:12], v[22:23]
	v_add_f64 v[13:14], v[13:14], v[24:25]
	s_or_b64 exec, exec, s[12:13]
	v_cmp_gt_u32_e64 s[8:9], 4, v18
	s_and_saveexec_b64 s[12:13], s[8:9]
	s_cbranch_execnz .LBB78_452
	s_branch .LBB78_453
	.section	.rodata,"a",@progbits
	.p2align	6, 0x0
	.amdhsa_kernel _ZL19rocblas_trsv_deviceILi32ELi16ELb0ELb1ELb1ELb0E19rocblas_complex_numIdEPKS1_S3_PS1_EviT7_lllT6_T8_lllPii
		.amdhsa_group_segment_fixed_size 25104
		.amdhsa_private_segment_fixed_size 0
		.amdhsa_kernarg_size 352
		.amdhsa_user_sgpr_count 6
		.amdhsa_user_sgpr_private_segment_buffer 1
		.amdhsa_user_sgpr_dispatch_ptr 0
		.amdhsa_user_sgpr_queue_ptr 0
		.amdhsa_user_sgpr_kernarg_segment_ptr 1
		.amdhsa_user_sgpr_dispatch_id 0
		.amdhsa_user_sgpr_flat_scratch_init 0
		.amdhsa_user_sgpr_private_segment_size 0
		.amdhsa_uses_dynamic_stack 0
		.amdhsa_system_sgpr_private_segment_wavefront_offset 0
		.amdhsa_system_sgpr_workgroup_id_x 1
		.amdhsa_system_sgpr_workgroup_id_y 0
		.amdhsa_system_sgpr_workgroup_id_z 1
		.amdhsa_system_sgpr_workgroup_info 0
		.amdhsa_system_vgpr_workitem_id 1
		.amdhsa_next_free_vgpr 49
		.amdhsa_next_free_sgpr 98
		.amdhsa_reserve_vcc 1
		.amdhsa_reserve_flat_scratch 0
		.amdhsa_float_round_mode_32 0
		.amdhsa_float_round_mode_16_64 0
		.amdhsa_float_denorm_mode_32 3
		.amdhsa_float_denorm_mode_16_64 3
		.amdhsa_dx10_clamp 1
		.amdhsa_ieee_mode 1
		.amdhsa_fp16_overflow 0
		.amdhsa_exception_fp_ieee_invalid_op 0
		.amdhsa_exception_fp_denorm_src 0
		.amdhsa_exception_fp_ieee_div_zero 0
		.amdhsa_exception_fp_ieee_overflow 0
		.amdhsa_exception_fp_ieee_underflow 0
		.amdhsa_exception_fp_ieee_inexact 0
		.amdhsa_exception_int_div_zero 0
	.end_amdhsa_kernel
	.section	.text._ZL19rocblas_trsv_deviceILi32ELi16ELb0ELb1ELb1ELb0E19rocblas_complex_numIdEPKS1_S3_PS1_EviT7_lllT6_T8_lllPii,"axG",@progbits,_ZL19rocblas_trsv_deviceILi32ELi16ELb0ELb1ELb1ELb0E19rocblas_complex_numIdEPKS1_S3_PS1_EviT7_lllT6_T8_lllPii,comdat
.Lfunc_end78:
	.size	_ZL19rocblas_trsv_deviceILi32ELi16ELb0ELb1ELb1ELb0E19rocblas_complex_numIdEPKS1_S3_PS1_EviT7_lllT6_T8_lllPii, .Lfunc_end78-_ZL19rocblas_trsv_deviceILi32ELi16ELb0ELb1ELb1ELb0E19rocblas_complex_numIdEPKS1_S3_PS1_EviT7_lllT6_T8_lllPii
                                        ; -- End function
	.set _ZL19rocblas_trsv_deviceILi32ELi16ELb0ELb1ELb1ELb0E19rocblas_complex_numIdEPKS1_S3_PS1_EviT7_lllT6_T8_lllPii.num_vgpr, 40
	.set _ZL19rocblas_trsv_deviceILi32ELi16ELb0ELb1ELb1ELb0E19rocblas_complex_numIdEPKS1_S3_PS1_EviT7_lllT6_T8_lllPii.num_agpr, 0
	.set _ZL19rocblas_trsv_deviceILi32ELi16ELb0ELb1ELb1ELb0E19rocblas_complex_numIdEPKS1_S3_PS1_EviT7_lllT6_T8_lllPii.numbered_sgpr, 96
	.set _ZL19rocblas_trsv_deviceILi32ELi16ELb0ELb1ELb1ELb0E19rocblas_complex_numIdEPKS1_S3_PS1_EviT7_lllT6_T8_lllPii.num_named_barrier, 0
	.set _ZL19rocblas_trsv_deviceILi32ELi16ELb0ELb1ELb1ELb0E19rocblas_complex_numIdEPKS1_S3_PS1_EviT7_lllT6_T8_lllPii.private_seg_size, 0
	.set _ZL19rocblas_trsv_deviceILi32ELi16ELb0ELb1ELb1ELb0E19rocblas_complex_numIdEPKS1_S3_PS1_EviT7_lllT6_T8_lllPii.uses_vcc, 1
	.set _ZL19rocblas_trsv_deviceILi32ELi16ELb0ELb1ELb1ELb0E19rocblas_complex_numIdEPKS1_S3_PS1_EviT7_lllT6_T8_lllPii.uses_flat_scratch, 0
	.set _ZL19rocblas_trsv_deviceILi32ELi16ELb0ELb1ELb1ELb0E19rocblas_complex_numIdEPKS1_S3_PS1_EviT7_lllT6_T8_lllPii.has_dyn_sized_stack, 0
	.set _ZL19rocblas_trsv_deviceILi32ELi16ELb0ELb1ELb1ELb0E19rocblas_complex_numIdEPKS1_S3_PS1_EviT7_lllT6_T8_lllPii.has_recursion, 0
	.set _ZL19rocblas_trsv_deviceILi32ELi16ELb0ELb1ELb1ELb0E19rocblas_complex_numIdEPKS1_S3_PS1_EviT7_lllT6_T8_lllPii.has_indirect_call, 0
	.section	.AMDGPU.csdata,"",@progbits
; Kernel info:
; codeLenInByte = 28896
; TotalNumSgprs: 100
; NumVgprs: 40
; ScratchSize: 0
; MemoryBound: 1
; FloatMode: 240
; IeeeMode: 1
; LDSByteSize: 25104 bytes/workgroup (compile time only)
; SGPRBlocks: 12
; VGPRBlocks: 12
; NumSGPRsForWavesPerEU: 102
; NumVGPRsForWavesPerEU: 49
; Occupancy: 4
; WaveLimiterHint : 0
; COMPUTE_PGM_RSRC2:SCRATCH_EN: 0
; COMPUTE_PGM_RSRC2:USER_SGPR: 6
; COMPUTE_PGM_RSRC2:TRAP_HANDLER: 0
; COMPUTE_PGM_RSRC2:TGID_X_EN: 1
; COMPUTE_PGM_RSRC2:TGID_Y_EN: 0
; COMPUTE_PGM_RSRC2:TGID_Z_EN: 1
; COMPUTE_PGM_RSRC2:TIDIG_COMP_CNT: 1
	.section	.text._ZL19rocblas_trsv_deviceILi32ELi16ELb1ELb0ELb0ELb1E19rocblas_complex_numIdEPKS1_S3_PS1_EviT7_lllT6_T8_lllPii,"axG",@progbits,_ZL19rocblas_trsv_deviceILi32ELi16ELb1ELb0ELb0ELb1E19rocblas_complex_numIdEPKS1_S3_PS1_EviT7_lllT6_T8_lllPii,comdat
	.globl	_ZL19rocblas_trsv_deviceILi32ELi16ELb1ELb0ELb0ELb1E19rocblas_complex_numIdEPKS1_S3_PS1_EviT7_lllT6_T8_lllPii ; -- Begin function _ZL19rocblas_trsv_deviceILi32ELi16ELb1ELb0ELb0ELb1E19rocblas_complex_numIdEPKS1_S3_PS1_EviT7_lllT6_T8_lllPii
	.p2align	8
	.type	_ZL19rocblas_trsv_deviceILi32ELi16ELb1ELb0ELb0ELb1E19rocblas_complex_numIdEPKS1_S3_PS1_EviT7_lllT6_T8_lllPii,@function
_ZL19rocblas_trsv_deviceILi32ELi16ELb1ELb0ELb0ELb1E19rocblas_complex_numIdEPKS1_S3_PS1_EviT7_lllT6_T8_lllPii: ; @_ZL19rocblas_trsv_deviceILi32ELi16ELb1ELb0ELb0ELb1E19rocblas_complex_numIdEPKS1_S3_PS1_EviT7_lllT6_T8_lllPii
; %bb.0:
	s_load_dwordx16 s[12:27], s[4:5], 0x8
	s_load_dword s33, s[4:5], 0x0
	s_mov_b32 s34, s7
	s_mov_b32 s35, 0
	s_waitcnt lgkmcnt(0)
	s_load_dwordx4 s[28:31], s[20:21], 0x0
	s_load_dword s86, s[4:5], 0x6c
	s_mul_i32 s0, s19, s7
	s_mul_hi_u32 s1, s18, s7
	s_add_i32 s1, s1, s0
	s_mul_i32 s0, s18, s7
	s_lshl_b64 s[0:1], s[0:1], 4
	s_add_u32 s2, s12, s0
	s_addc_u32 s3, s13, s1
	s_lshl_b64 s[0:1], s[14:15], 4
	s_add_u32 s84, s2, s0
	s_addc_u32 s85, s3, s1
	s_cmp_eq_u32 s6, 0
	s_cbranch_scc1 .LBB79_6
; %bb.1:
	s_lshl_b32 s2, s6, 5
	v_add_u32_e32 v2, s2, v1
	v_subrev_u32_e32 v6, 32, v2
	v_ashrrev_i32_e32 v2, 31, v6
	v_mul_lo_u32 v7, s16, v2
	v_mul_lo_u32 v8, s17, v6
	v_mad_u64_u32 v[2:3], s[0:1], s16, v6, 0
	v_add_u32_e32 v4, s2, v0
	v_ashrrev_i32_e32 v5, 31, v4
	v_add3_u32 v3, v3, v7, v8
	v_lshlrev_b64 v[2:3], 4, v[2:3]
	v_mov_b32_e32 v7, s85
	v_add_co_u32_e64 v8, s[0:1], s84, v2
	v_addc_co_u32_e64 v7, s[0:1], v7, v3, s[0:1]
	v_lshlrev_b64 v[2:3], 4, v[4:5]
	v_cmp_gt_i32_e32 vcc, s33, v4
	v_add_co_u32_e64 v10, s[0:1], v8, v2
	v_addc_co_u32_e64 v11, s[0:1], v7, v3, s[0:1]
	v_cmp_gt_i32_e64 s[0:1], s33, v6
	v_mov_b32_e32 v8, 0
	v_mov_b32_e32 v2, 0
	;; [unrolled: 1-line block ×6, first 2 shown]
	s_and_b64 s[2:3], vcc, s[0:1]
	s_waitcnt lgkmcnt(0)
	s_barrier
	s_and_saveexec_b64 s[0:1], s[2:3]
	s_cbranch_execz .LBB79_3
; %bb.2:
	global_load_dwordx4 v[2:5], v[10:11], off
.LBB79_3:
	s_or_b64 exec, exec, s[0:1]
	v_add_u32_e32 v6, 16, v6
	v_cmp_gt_i32_e64 s[0:1], s33, v6
	v_mov_b32_e32 v6, 0
	v_mov_b32_e32 v7, 0
	s_and_b64 s[2:3], vcc, s[0:1]
	s_waitcnt vmcnt(0)
	s_barrier
	s_and_saveexec_b64 s[0:1], s[2:3]
	s_cbranch_execz .LBB79_5
; %bb.4:
	s_lshl_b64 s[2:3], s[16:17], 8
	v_mov_b32_e32 v7, s3
	v_add_co_u32_e32 v6, vcc, s2, v10
	v_addc_co_u32_e32 v7, vcc, v11, v7, vcc
	global_load_dwordx4 v[6:9], v[6:7], off
.LBB79_5:
	s_or_b64 exec, exec, s[0:1]
	s_branch .LBB79_7
.LBB79_6:
                                        ; implicit-def: $vgpr8_vgpr9
                                        ; implicit-def: $vgpr4_vgpr5
.LBB79_7:
	s_ashr_i32 s0, s33, 31
	s_lshr_b32 s0, s0, 27
	s_add_i32 s0, s33, s0
	s_andn2_b32 s0, s0, 31
	s_sub_i32 s7, s33, s0
	s_add_i32 s0, s33, -1
	s_ashr_i32 s1, s0, 31
	s_lshr_b32 s1, s1, 27
	s_add_i32 s0, s0, s1
	s_ashr_i32 s0, s0, 5
	s_cmp_eq_u32 s0, s6
	s_cselect_b64 s[0:1], -1, 0
	s_cmp_lg_u32 s7, 0
	s_cselect_b64 s[2:3], -1, 0
	s_and_b64 s[18:19], s[2:3], s[0:1]
	s_mov_b64 s[2:3], -1
	s_and_b64 vcc, exec, s[18:19]
	v_cmp_le_u32_e64 s[0:1], v0, v1
	v_lshlrev_b32_e32 v21, 4, v0
	v_lshl_add_u32 v22, v1, 5, v0
	s_cbranch_vccnz .LBB79_21
; %bb.8:
	s_add_u32 s2, s16, 1
	s_addc_u32 s3, s17, 0
	s_lshl_b32 s8, s6, 5
	s_ashr_i32 s9, s8, 31
	s_mul_hi_u32 s10, s2, s8
	s_mul_i32 s9, s2, s9
	s_add_i32 s9, s10, s9
	s_mul_i32 s3, s3, s8
	s_add_i32 s3, s9, s3
	s_mul_i32 s2, s2, s8
	s_lshl_b64 s[2:3], s[2:3], 4
	s_add_u32 s2, s84, s2
	s_addc_u32 s3, s85, s3
	v_lshlrev_b32_e32 v10, 4, v0
	v_mov_b32_e32 v11, s3
	v_add_co_u32_e32 v10, vcc, s2, v10
	v_addc_co_u32_e32 v11, vcc, 0, v11, vcc
	s_and_saveexec_b64 s[2:3], s[0:1]
	s_xor_b64 s[0:1], exec, s[2:3]
	s_cbranch_execz .LBB79_12
; %bb.9:
	v_or_b32_e32 v12, v1, v0
	v_cmp_gt_u32_e32 vcc, 32, v12
	s_and_saveexec_b64 s[2:3], vcc
	s_cbranch_execz .LBB79_11
; %bb.10:
	v_mov_b32_e32 v12, 0
	v_lshlrev_b32_e32 v16, 4, v22
	v_mov_b32_e32 v13, v12
	v_mov_b32_e32 v14, v12
	;; [unrolled: 1-line block ×3, first 2 shown]
	ds_write_b128 v16, v[12:15]
.LBB79_11:
	s_or_b64 exec, exec, s[2:3]
.LBB79_12:
	s_andn2_saveexec_b64 s[0:1], s[0:1]
	s_cbranch_execz .LBB79_14
; %bb.13:
	v_mad_u64_u32 v[12:13], s[2:3], s16, v1, 0
	v_lshlrev_b32_e32 v16, 4, v22
	v_mad_u64_u32 v[13:14], s[2:3], s17, v1, v[13:14]
	v_lshlrev_b64 v[12:13], 4, v[12:13]
	v_add_co_u32_e32 v12, vcc, v10, v12
	v_addc_co_u32_e32 v13, vcc, v11, v13, vcc
	global_load_dwordx4 v[12:15], v[12:13], off
	s_waitcnt vmcnt(0)
	v_xor_b32_e32 v13, 0x80000000, v13
	v_xor_b32_e32 v15, 0x80000000, v15
	ds_write_b128 v16, v[12:15]
.LBB79_14:
	s_or_b64 exec, exec, s[0:1]
	v_add_u32_e32 v13, 16, v1
	v_lshl_add_u32 v12, v13, 5, v0
	v_cmp_le_u32_e32 vcc, v0, v13
	s_and_saveexec_b64 s[0:1], vcc
	s_xor_b64 s[0:1], exec, s[0:1]
	s_cbranch_execz .LBB79_18
; %bb.15:
	v_or_b32_e32 v10, v13, v0
	v_cmp_gt_u32_e32 vcc, 32, v10
	s_and_saveexec_b64 s[2:3], vcc
	s_cbranch_execz .LBB79_17
; %bb.16:
	v_mov_b32_e32 v10, 0
	v_lshlrev_b32_e32 v14, 4, v12
	v_mov_b32_e32 v11, v10
	v_mov_b32_e32 v12, v10
	;; [unrolled: 1-line block ×3, first 2 shown]
	ds_write_b128 v14, v[10:13]
.LBB79_17:
	s_or_b64 exec, exec, s[2:3]
                                        ; implicit-def: $vgpr13
                                        ; implicit-def: $vgpr10
                                        ; implicit-def: $vgpr11
                                        ; implicit-def: $vgpr12
.LBB79_18:
	s_andn2_saveexec_b64 s[0:1], s[0:1]
	s_cbranch_execz .LBB79_20
; %bb.19:
	v_mad_u64_u32 v[14:15], s[2:3], s16, v13, 0
	v_mad_u64_u32 v[15:16], s[2:3], s17, v13, v[15:16]
	v_lshlrev_b64 v[13:14], 4, v[14:15]
	v_add_co_u32_e32 v10, vcc, v10, v13
	v_addc_co_u32_e32 v11, vcc, v11, v14, vcc
	global_load_dwordx4 v[13:16], v[10:11], off
	v_lshlrev_b32_e32 v10, 4, v12
	s_waitcnt vmcnt(0)
	v_xor_b32_e32 v14, 0x80000000, v14
	v_xor_b32_e32 v16, 0x80000000, v16
	ds_write_b128 v10, v[13:16]
.LBB79_20:
	s_or_b64 exec, exec, s[0:1]
	s_mov_b64 s[2:3], 0
.LBB79_21:
	s_and_b64 vcc, exec, s[2:3]
	s_cbranch_vccz .LBB79_35
; %bb.22:
	s_add_u32 s0, s16, 1
	s_addc_u32 s1, s17, 0
	s_lshl_b32 s2, s6, 5
	s_ashr_i32 s3, s2, 31
	s_mul_hi_u32 s8, s0, s2
	s_mul_i32 s3, s0, s3
	s_add_i32 s3, s8, s3
	s_mul_i32 s1, s1, s2
	s_add_i32 s1, s3, s1
	s_mul_i32 s0, s0, s2
	s_lshl_b64 s[0:1], s[0:1], 4
	s_add_u32 s0, s84, s0
	s_addc_u32 s1, s85, s1
	v_lshlrev_b32_e32 v10, 4, v0
	v_mov_b32_e32 v11, s1
	v_add_co_u32_e64 v10, s[0:1], s0, v10
	v_addc_co_u32_e64 v11, s[0:1], 0, v11, s[0:1]
	v_max_i32_e32 v12, v1, v0
	v_cmp_le_u32_e64 s[0:1], v0, v1
	v_cmp_le_i32_e64 s[2:3], s7, v12
	v_cmp_gt_i32_e32 vcc, s7, v0
	s_or_b64 s[0:1], s[2:3], s[0:1]
	s_and_saveexec_b64 s[2:3], s[0:1]
	s_xor_b64 s[2:3], exec, s[2:3]
	s_cbranch_execz .LBB79_26
; %bb.23:
	v_or_b32_e32 v12, v1, v0
	v_cmp_gt_u32_e64 s[0:1], 32, v12
	s_and_saveexec_b64 s[8:9], s[0:1]
	s_cbranch_execz .LBB79_25
; %bb.24:
	v_mov_b32_e32 v12, 0
	v_lshlrev_b32_e32 v16, 4, v22
	v_mov_b32_e32 v13, v12
	v_mov_b32_e32 v14, v12
	v_mov_b32_e32 v15, v12
	ds_write_b128 v16, v[12:15]
.LBB79_25:
	s_or_b64 exec, exec, s[8:9]
.LBB79_26:
	s_andn2_saveexec_b64 s[2:3], s[2:3]
	s_cbranch_execz .LBB79_28
; %bb.27:
	v_mad_u64_u32 v[12:13], s[0:1], s16, v1, 0
	v_lshlrev_b32_e32 v16, 4, v22
	v_mad_u64_u32 v[13:14], s[0:1], s17, v1, v[13:14]
	v_lshlrev_b64 v[12:13], 4, v[12:13]
	v_add_co_u32_e64 v12, s[0:1], v10, v12
	v_addc_co_u32_e64 v13, s[0:1], v11, v13, s[0:1]
	global_load_dwordx4 v[12:15], v[12:13], off
	s_waitcnt vmcnt(0)
	v_xor_b32_e32 v13, 0x80000000, v13
	v_xor_b32_e32 v15, 0x80000000, v15
	ds_write_b128 v16, v[12:15]
.LBB79_28:
	s_or_b64 exec, exec, s[2:3]
	v_add_u32_e32 v13, 16, v1
	v_cmp_gt_u32_e64 s[0:1], v0, v13
	v_cmp_gt_i32_e64 s[2:3], s7, v13
	s_and_b64 s[0:1], s[0:1], s[2:3]
	s_and_b64 s[0:1], s[0:1], vcc
	v_lshl_add_u32 v12, v13, 5, v0
	s_xor_b64 s[0:1], s[0:1], -1
	s_and_saveexec_b64 s[2:3], s[0:1]
	s_xor_b64 s[0:1], exec, s[2:3]
	s_cbranch_execz .LBB79_32
; %bb.29:
	v_or_b32_e32 v10, v13, v0
	v_cmp_gt_u32_e32 vcc, 32, v10
	s_and_saveexec_b64 s[2:3], vcc
	s_cbranch_execz .LBB79_31
; %bb.30:
	v_mov_b32_e32 v10, 0
	v_lshlrev_b32_e32 v14, 4, v12
	v_mov_b32_e32 v11, v10
	v_mov_b32_e32 v12, v10
	;; [unrolled: 1-line block ×3, first 2 shown]
	ds_write_b128 v14, v[10:13]
.LBB79_31:
	s_or_b64 exec, exec, s[2:3]
                                        ; implicit-def: $vgpr13
                                        ; implicit-def: $vgpr10
                                        ; implicit-def: $vgpr11
                                        ; implicit-def: $vgpr12
.LBB79_32:
	s_andn2_saveexec_b64 s[0:1], s[0:1]
	s_cbranch_execz .LBB79_34
; %bb.33:
	v_mad_u64_u32 v[14:15], s[2:3], s16, v13, 0
	v_mad_u64_u32 v[15:16], s[2:3], s17, v13, v[15:16]
	v_lshlrev_b64 v[13:14], 4, v[14:15]
	v_add_co_u32_e32 v10, vcc, v10, v13
	v_addc_co_u32_e32 v11, vcc, v11, v14, vcc
	global_load_dwordx4 v[13:16], v[10:11], off
	v_lshlrev_b32_e32 v10, 4, v12
	s_waitcnt vmcnt(0)
	v_xor_b32_e32 v14, 0x80000000, v14
	v_xor_b32_e32 v16, 0x80000000, v16
	ds_write_b128 v10, v[13:16]
.LBB79_34:
	s_or_b64 exec, exec, s[0:1]
.LBB79_35:
	s_cmp_lt_i32 s6, 5
	s_cselect_b64 s[0:1], -1, 0
	s_or_b64 s[20:21], s[0:1], s[18:19]
	s_and_b64 vcc, exec, s[20:21]
	s_waitcnt vmcnt(0) lgkmcnt(0)
	s_barrier
	s_cbranch_vccnz .LBB79_429
; %bb.36:
	v_or_b32_e32 v10, v0, v1
	s_mov_b32 s0, 0
	v_cmp_eq_u32_e32 vcc, 0, v10
	s_and_saveexec_b64 s[8:9], vcc
	s_cbranch_execz .LBB79_38
; %bb.37:
	s_mov_b32 s3, s0
	s_mov_b32 s1, 0x3ff00000
	;; [unrolled: 1-line block ×3, first 2 shown]
	v_mov_b32_e32 v13, s3
	v_mov_b32_e32 v14, 0
	;; [unrolled: 1-line block ×5, first 2 shown]
	ds_write_b128 v14, v[10:13]
	ds_write_b128 v14, v[10:13] offset:528
.LBB79_38:
	s_or_b64 exec, exec, s[8:9]
	v_and_b32_e32 v17, 1, v0
	v_lshrrev_b32_e32 v16, 1, v22
	v_lshlrev_b32_e32 v14, 4, v17
	v_mov_b32_e32 v12, 0
	v_mov_b32_e32 v10, 0
	v_cmp_lt_u32_e64 s[2:3], 3, v22
	v_cmp_gt_u32_e64 s[0:1], 4, v22
	v_mov_b32_e32 v13, 0
	v_mov_b32_e32 v11, 0
	v_lshl_or_b32 v14, v16, 9, v14
	s_waitcnt lgkmcnt(0)
	s_barrier
	s_and_saveexec_b64 s[10:11], s[0:1]
	s_cbranch_execz .LBB79_42
; %bb.39:
	v_mul_u32_u24_e32 v10, 0x210, v16
	ds_read_b128 v[10:13], v10
	ds_read_b128 v[23:26], v14 offset:32
	v_cmp_gt_u32_e64 s[8:9], 2, v22
	s_waitcnt lgkmcnt(0)
	v_mul_f64 v[18:19], v[12:13], v[25:26]
	v_mul_f64 v[25:26], v[10:11], v[25:26]
	v_fma_f64 v[10:11], v[10:11], v[23:24], -v[18:19]
	v_fma_f64 v[12:13], v[12:13], v[23:24], v[25:26]
	v_add_f64 v[10:11], v[10:11], 0
	v_add_f64 v[12:13], v[12:13], 0
	s_and_saveexec_b64 s[12:13], s[8:9]
	s_cbranch_execz .LBB79_41
; %bb.40:
	v_mov_b32_e32 v18, 0
	v_lshlrev_b32_e32 v15, 4, v0
	ds_read_b128 v[23:26], v18 offset:16
	ds_read_b128 v[27:30], v15 offset:544
	s_waitcnt lgkmcnt(0)
	v_mul_f64 v[18:19], v[25:26], v[29:30]
	v_mul_f64 v[29:30], v[23:24], v[29:30]
	v_fma_f64 v[18:19], v[23:24], v[27:28], -v[18:19]
	v_fma_f64 v[23:24], v[25:26], v[27:28], v[29:30]
	v_add_f64 v[10:11], v[10:11], v[18:19]
	v_add_f64 v[12:13], v[12:13], v[23:24]
.LBB79_41:
	s_or_b64 exec, exec, s[12:13]
	v_xor_b32_e32 v11, 0x80000000, v11
	v_xor_b32_e32 v13, 0x80000000, v13
.LBB79_42:
	s_or_b64 exec, exec, s[10:11]
	v_mov_b32_e32 v15, 0x4000
	v_cmp_eq_u32_e64 s[8:9], 0, v17
	s_xor_b64 s[10:11], s[2:3], -1
	v_lshl_add_u32 v15, v16, 4, v15
	s_and_b64 s[38:39], s[8:9], s[10:11]
	s_and_saveexec_b64 s[2:3], s[38:39]
; %bb.43:
	ds_write_b128 v15, v[10:13]
; %bb.44:
	s_or_b64 exec, exec, s[2:3]
	v_cmp_ne_u32_e64 s[2:3], 0, v17
	s_and_b64 s[36:37], s[2:3], s[10:11]
	s_waitcnt lgkmcnt(0)
	s_barrier
	s_and_saveexec_b64 s[2:3], s[36:37]
	s_cbranch_execz .LBB79_46
; %bb.45:
	v_mov_b32_e32 v23, 0
	ds_read_b128 v[17:20], v15
	ds_read_b128 v[23:26], v23 offset:1072
	s_waitcnt lgkmcnt(0)
	v_mul_f64 v[27:28], v[19:20], v[25:26]
	v_mul_f64 v[25:26], v[17:18], v[25:26]
	v_fma_f64 v[17:18], v[17:18], v[23:24], -v[27:28]
	v_fma_f64 v[19:20], v[19:20], v[23:24], v[25:26]
	v_add_f64 v[10:11], v[10:11], v[17:18]
	v_add_f64 v[12:13], v[12:13], v[19:20]
.LBB79_46:
	s_or_b64 exec, exec, s[2:3]
	s_barrier
	s_and_saveexec_b64 s[2:3], s[36:37]
; %bb.47:
	ds_write_b128 v15, v[10:13]
; %bb.48:
	s_or_b64 exec, exec, s[2:3]
	s_waitcnt lgkmcnt(0)
	s_barrier
	s_barrier
	s_and_saveexec_b64 s[2:3], s[0:1]
; %bb.49:
	v_xor_b32_e32 v11, 0x80000000, v11
	v_xor_b32_e32 v13, 0x80000000, v13
	ds_write_b128 v14, v[10:13] offset:32
; %bb.50:
	s_or_b64 exec, exec, s[2:3]
	s_waitcnt lgkmcnt(0)
	s_barrier
	s_barrier
	s_and_saveexec_b64 s[2:3], vcc
	s_cbranch_execz .LBB79_52
; %bb.51:
	s_mov_b32 s8, 0
	s_mov_b32 s11, s8
	;; [unrolled: 1-line block ×4, first 2 shown]
	v_mov_b32_e32 v13, s11
	v_mov_b32_e32 v17, 0
	;; [unrolled: 1-line block ×5, first 2 shown]
	ds_write_b128 v17, v[10:13] offset:1056
	ds_write_b128 v17, v[10:13] offset:1584
.LBB79_52:
	s_or_b64 exec, exec, s[2:3]
	v_and_b32_e32 v20, 3, v0
	v_lshrrev_b32_e32 v23, 2, v22
	v_lshlrev_b32_e32 v18, 4, v20
	v_mov_b32_e32 v12, 0
	v_mov_b32_e32 v10, 0
	v_cmp_lt_u32_e64 s[8:9], 15, v22
	v_cmp_gt_u32_e64 s[2:3], 16, v22
	v_mov_b32_e32 v13, 0
	v_mov_b32_e32 v11, 0
	v_lshl_or_b32 v17, v23, 9, v18
	s_waitcnt lgkmcnt(0)
	s_barrier
	s_and_saveexec_b64 s[12:13], s[2:3]
	s_cbranch_execz .LBB79_58
; %bb.53:
	v_mul_u32_u24_e32 v19, 0x210, v23
	ds_read_b128 v[10:13], v19
	ds_read_b128 v[24:27], v17 offset:64
	v_cmp_gt_u32_e64 s[10:11], 12, v22
	s_waitcnt lgkmcnt(0)
	v_mul_f64 v[28:29], v[12:13], v[26:27]
	v_mul_f64 v[26:27], v[10:11], v[26:27]
	v_fma_f64 v[10:11], v[10:11], v[24:25], -v[28:29]
	v_fma_f64 v[12:13], v[12:13], v[24:25], v[26:27]
	v_add_f64 v[10:11], v[10:11], 0
	v_add_f64 v[12:13], v[12:13], 0
	s_and_saveexec_b64 s[14:15], s[10:11]
	s_cbranch_execnz .LBB79_489
; %bb.54:
	s_or_b64 exec, exec, s[14:15]
	v_cmp_gt_u32_e64 s[10:11], 8, v22
	s_and_saveexec_b64 s[14:15], s[10:11]
	s_cbranch_execnz .LBB79_490
.LBB79_55:
	s_or_b64 exec, exec, s[14:15]
	v_cmp_gt_u32_e64 s[10:11], 4, v22
	s_and_saveexec_b64 s[14:15], s[10:11]
	s_cbranch_execz .LBB79_57
.LBB79_56:
	v_mov_b32_e32 v24, 0
	v_lshlrev_b32_e32 v19, 4, v0
	ds_read_b128 v[24:27], v24 offset:48
	ds_read_b128 v[28:31], v19 offset:1600
	s_waitcnt lgkmcnt(0)
	v_mul_f64 v[32:33], v[26:27], v[30:31]
	v_mul_f64 v[30:31], v[24:25], v[30:31]
	v_fma_f64 v[24:25], v[24:25], v[28:29], -v[32:33]
	v_fma_f64 v[26:27], v[26:27], v[28:29], v[30:31]
	v_add_f64 v[10:11], v[10:11], v[24:25]
	v_add_f64 v[12:13], v[12:13], v[26:27]
.LBB79_57:
	s_or_b64 exec, exec, s[14:15]
	v_xor_b32_e32 v11, 0x80000000, v11
	v_xor_b32_e32 v13, 0x80000000, v13
.LBB79_58:
	s_or_b64 exec, exec, s[12:13]
	v_mov_b32_e32 v19, 0x4000
	v_cmp_eq_u32_e64 s[10:11], 0, v20
	s_xor_b64 s[12:13], s[8:9], -1
	v_lshl_add_u32 v19, v23, 4, v19
	s_and_b64 s[42:43], s[10:11], s[12:13]
	s_and_saveexec_b64 s[8:9], s[42:43]
; %bb.59:
	ds_write_b128 v19, v[10:13]
; %bb.60:
	s_or_b64 exec, exec, s[8:9]
	v_cmp_ne_u32_e64 s[8:9], 0, v20
	s_and_b64 s[44:45], s[8:9], s[12:13]
	s_waitcnt lgkmcnt(0)
	s_barrier
	s_and_saveexec_b64 s[8:9], s[44:45]
	s_cbranch_execz .LBB79_62
; %bb.61:
	ds_read_b128 v[24:27], v19
	ds_read_b128 v[28:31], v18 offset:2112
	s_waitcnt lgkmcnt(0)
	v_mul_f64 v[32:33], v[26:27], v[30:31]
	v_mul_f64 v[30:31], v[24:25], v[30:31]
	v_fma_f64 v[24:25], v[24:25], v[28:29], -v[32:33]
	v_fma_f64 v[26:27], v[26:27], v[28:29], v[30:31]
	v_add_f64 v[10:11], v[10:11], v[24:25]
	v_add_f64 v[12:13], v[12:13], v[26:27]
.LBB79_62:
	s_or_b64 exec, exec, s[8:9]
	v_cmp_eq_u32_e64 s[8:9], 1, v20
	s_and_b64 s[46:47], s[8:9], s[12:13]
	s_barrier
	s_and_saveexec_b64 s[8:9], s[46:47]
; %bb.63:
	ds_write_b128 v19, v[10:13]
; %bb.64:
	s_or_b64 exec, exec, s[8:9]
	v_cmp_lt_u32_e64 s[8:9], 1, v20
	s_and_b64 s[48:49], s[8:9], s[12:13]
	s_waitcnt lgkmcnt(0)
	s_barrier
	s_and_saveexec_b64 s[8:9], s[48:49]
	s_cbranch_execz .LBB79_66
; %bb.65:
	ds_read_b128 v[24:27], v19
	ds_read_b128 v[28:31], v18 offset:2624
	s_waitcnt lgkmcnt(0)
	v_mul_f64 v[32:33], v[26:27], v[30:31]
	v_mul_f64 v[30:31], v[24:25], v[30:31]
	v_fma_f64 v[24:25], v[24:25], v[28:29], -v[32:33]
	v_fma_f64 v[26:27], v[26:27], v[28:29], v[30:31]
	v_add_f64 v[10:11], v[10:11], v[24:25]
	v_add_f64 v[12:13], v[12:13], v[26:27]
.LBB79_66:
	s_or_b64 exec, exec, s[8:9]
	v_cmp_eq_u32_e64 s[8:9], 2, v20
	s_and_b64 s[50:51], s[8:9], s[12:13]
	s_barrier
	s_and_saveexec_b64 s[8:9], s[50:51]
; %bb.67:
	ds_write_b128 v19, v[10:13]
; %bb.68:
	s_or_b64 exec, exec, s[8:9]
	v_cmp_eq_u32_e64 s[8:9], 3, v20
	s_and_b64 s[40:41], s[8:9], s[12:13]
	s_waitcnt lgkmcnt(0)
	s_barrier
	s_and_saveexec_b64 s[8:9], s[40:41]
	s_cbranch_execz .LBB79_70
; %bb.69:
	v_mov_b32_e32 v28, 0
	ds_read_b128 v[24:27], v19
	ds_read_b128 v[28:31], v28 offset:3184
	s_waitcnt lgkmcnt(0)
	v_mul_f64 v[32:33], v[26:27], v[30:31]
	v_mul_f64 v[30:31], v[24:25], v[30:31]
	v_fma_f64 v[24:25], v[24:25], v[28:29], -v[32:33]
	v_fma_f64 v[26:27], v[26:27], v[28:29], v[30:31]
	v_add_f64 v[10:11], v[10:11], v[24:25]
	v_add_f64 v[12:13], v[12:13], v[26:27]
.LBB79_70:
	s_or_b64 exec, exec, s[8:9]
	s_barrier
	s_and_saveexec_b64 s[8:9], s[40:41]
; %bb.71:
	ds_write_b128 v19, v[10:13]
; %bb.72:
	s_or_b64 exec, exec, s[8:9]
	s_waitcnt lgkmcnt(0)
	s_barrier
	s_barrier
	s_and_saveexec_b64 s[8:9], s[2:3]
; %bb.73:
	v_xor_b32_e32 v13, 0x80000000, v13
	v_xor_b32_e32 v11, 0x80000000, v11
	ds_write_b128 v17, v[10:13] offset:64
; %bb.74:
	s_or_b64 exec, exec, s[8:9]
	s_waitcnt lgkmcnt(0)
	s_barrier
	s_barrier
	s_and_saveexec_b64 s[8:9], vcc
	s_cbranch_execz .LBB79_76
; %bb.75:
	s_mov_b32 s12, 0
	s_mov_b32 s13, 0x3ff00000
	;; [unrolled: 1-line block ×4, first 2 shown]
	v_mov_b32_e32 v10, s12
	v_mov_b32_e32 v24, 0
	;; [unrolled: 1-line block ×5, first 2 shown]
	ds_write_b128 v24, v[10:13] offset:2112
	ds_write_b128 v24, v[10:13] offset:2640
.LBB79_76:
	s_or_b64 exec, exec, s[8:9]
	v_mov_b32_e32 v12, 0
	v_mov_b32_e32 v10, 0
	;; [unrolled: 1-line block ×4, first 2 shown]
	s_waitcnt lgkmcnt(0)
	s_barrier
	s_and_saveexec_b64 s[10:11], s[0:1]
	s_cbranch_execz .LBB79_80
; %bb.77:
	v_mul_u32_u24_e32 v10, 0x210, v16
	ds_read_b128 v[10:13], v10 offset:2112
	ds_read_b128 v[24:27], v14 offset:2144
	v_cmp_gt_u32_e64 s[8:9], 2, v22
	s_waitcnt lgkmcnt(0)
	v_mul_f64 v[28:29], v[12:13], v[26:27]
	v_mul_f64 v[26:27], v[10:11], v[26:27]
	v_fma_f64 v[10:11], v[10:11], v[24:25], -v[28:29]
	v_fma_f64 v[12:13], v[12:13], v[24:25], v[26:27]
	v_add_f64 v[10:11], v[10:11], 0
	v_add_f64 v[12:13], v[12:13], 0
	s_and_saveexec_b64 s[12:13], s[8:9]
	s_cbranch_execz .LBB79_79
; %bb.78:
	v_lshlrev_b32_e32 v28, 4, v0
	v_mov_b32_e32 v24, 0
	ds_read_b128 v[24:27], v24 offset:2128
	ds_read_b128 v[28:31], v28 offset:2656
	s_waitcnt lgkmcnt(0)
	v_mul_f64 v[32:33], v[26:27], v[30:31]
	v_mul_f64 v[30:31], v[24:25], v[30:31]
	v_fma_f64 v[24:25], v[24:25], v[28:29], -v[32:33]
	v_fma_f64 v[26:27], v[26:27], v[28:29], v[30:31]
	v_add_f64 v[10:11], v[10:11], v[24:25]
	v_add_f64 v[12:13], v[12:13], v[26:27]
.LBB79_79:
	s_or_b64 exec, exec, s[12:13]
	v_xor_b32_e32 v11, 0x80000000, v11
	v_xor_b32_e32 v13, 0x80000000, v13
.LBB79_80:
	s_or_b64 exec, exec, s[10:11]
	s_and_saveexec_b64 s[8:9], s[38:39]
; %bb.81:
	ds_write_b128 v15, v[10:13]
; %bb.82:
	s_or_b64 exec, exec, s[8:9]
	s_waitcnt lgkmcnt(0)
	s_barrier
	s_and_saveexec_b64 s[8:9], s[36:37]
	s_cbranch_execz .LBB79_84
; %bb.83:
	v_mov_b32_e32 v28, 0
	ds_read_b128 v[24:27], v15
	ds_read_b128 v[28:31], v28 offset:3184
	s_waitcnt lgkmcnt(0)
	v_mul_f64 v[32:33], v[26:27], v[30:31]
	v_mul_f64 v[30:31], v[24:25], v[30:31]
	v_fma_f64 v[24:25], v[24:25], v[28:29], -v[32:33]
	v_fma_f64 v[26:27], v[26:27], v[28:29], v[30:31]
	v_add_f64 v[10:11], v[10:11], v[24:25]
	v_add_f64 v[12:13], v[12:13], v[26:27]
.LBB79_84:
	s_or_b64 exec, exec, s[8:9]
	s_barrier
	s_and_saveexec_b64 s[8:9], s[36:37]
; %bb.85:
	ds_write_b128 v15, v[10:13]
; %bb.86:
	s_or_b64 exec, exec, s[8:9]
	s_waitcnt lgkmcnt(0)
	s_barrier
	s_barrier
	s_and_saveexec_b64 s[8:9], s[0:1]
; %bb.87:
	v_xor_b32_e32 v11, 0x80000000, v11
	v_xor_b32_e32 v13, 0x80000000, v13
	ds_write_b128 v14, v[10:13] offset:2144
; %bb.88:
	s_or_b64 exec, exec, s[8:9]
	s_waitcnt lgkmcnt(0)
	s_barrier
	s_barrier
	s_and_saveexec_b64 s[8:9], vcc
	s_cbranch_execz .LBB79_90
; %bb.89:
	s_mov_b32 s12, 0
	s_mov_b32 s13, 0x3ff00000
	;; [unrolled: 1-line block ×4, first 2 shown]
	v_mov_b32_e32 v10, s12
	v_mov_b32_e32 v24, 0
	;; [unrolled: 1-line block ×5, first 2 shown]
	ds_write_b128 v24, v[10:13] offset:3168
	ds_write_b128 v24, v[10:13] offset:3696
.LBB79_90:
	s_or_b64 exec, exec, s[8:9]
	v_and_b32_e32 v27, 7, v0
	v_lshrrev_b32_e32 v28, 3, v22
	v_lshlrev_b32_e32 v25, 4, v27
	v_mov_b32_e32 v12, 0
	v_mov_b32_e32 v10, 0
	v_cmp_lt_u32_e64 s[8:9], 63, v22
	v_cmp_gt_u32_e64 s[12:13], 64, v22
	v_mov_b32_e32 v13, 0
	v_mov_b32_e32 v11, 0
	v_lshl_or_b32 v24, v28, 9, v25
	s_waitcnt lgkmcnt(0)
	s_barrier
	s_and_saveexec_b64 s[14:15], s[12:13]
	s_cbranch_execz .LBB79_100
; %bb.91:
	v_mul_u32_u24_e32 v26, 0x210, v28
	ds_read_b128 v[10:13], v26
	ds_read_b128 v[29:32], v24 offset:128
	v_cmp_gt_u32_e64 s[10:11], 56, v22
	s_waitcnt lgkmcnt(0)
	v_mul_f64 v[33:34], v[12:13], v[31:32]
	v_mul_f64 v[31:32], v[10:11], v[31:32]
	v_fma_f64 v[10:11], v[10:11], v[29:30], -v[33:34]
	v_fma_f64 v[12:13], v[12:13], v[29:30], v[31:32]
	v_add_f64 v[10:11], v[10:11], 0
	v_add_f64 v[12:13], v[12:13], 0
	s_and_saveexec_b64 s[52:53], s[10:11]
	s_cbranch_execnz .LBB79_491
; %bb.92:
	s_or_b64 exec, exec, s[52:53]
	v_cmp_gt_u32_e64 s[10:11], 48, v22
	s_and_saveexec_b64 s[52:53], s[10:11]
	s_cbranch_execnz .LBB79_492
.LBB79_93:
	s_or_b64 exec, exec, s[52:53]
	v_cmp_gt_u32_e64 s[10:11], 40, v22
	s_and_saveexec_b64 s[52:53], s[10:11]
	s_cbranch_execnz .LBB79_493
.LBB79_94:
	s_or_b64 exec, exec, s[52:53]
	v_cmp_gt_u32_e64 s[10:11], 32, v22
	s_and_saveexec_b64 s[52:53], s[10:11]
	s_cbranch_execnz .LBB79_494
.LBB79_95:
	s_or_b64 exec, exec, s[52:53]
	v_cmp_gt_u32_e64 s[10:11], 24, v22
	s_and_saveexec_b64 s[52:53], s[10:11]
	s_cbranch_execnz .LBB79_495
.LBB79_96:
	s_or_b64 exec, exec, s[52:53]
	v_cmp_gt_u32_e64 s[10:11], 16, v22
	s_and_saveexec_b64 s[52:53], s[10:11]
	s_cbranch_execnz .LBB79_496
.LBB79_97:
	s_or_b64 exec, exec, s[52:53]
	v_cmp_gt_u32_e64 s[10:11], 8, v22
	s_and_saveexec_b64 s[52:53], s[10:11]
	s_cbranch_execz .LBB79_99
.LBB79_98:
	v_mov_b32_e32 v29, 0
	v_lshlrev_b32_e32 v26, 4, v0
	ds_read_b128 v[29:32], v29 offset:112
	ds_read_b128 v[33:36], v26 offset:3712
	s_waitcnt lgkmcnt(0)
	v_mul_f64 v[37:38], v[31:32], v[35:36]
	v_mul_f64 v[35:36], v[29:30], v[35:36]
	v_fma_f64 v[29:30], v[29:30], v[33:34], -v[37:38]
	v_fma_f64 v[31:32], v[31:32], v[33:34], v[35:36]
	v_add_f64 v[10:11], v[10:11], v[29:30]
	v_add_f64 v[12:13], v[12:13], v[31:32]
.LBB79_99:
	s_or_b64 exec, exec, s[52:53]
	v_xor_b32_e32 v11, 0x80000000, v11
	v_xor_b32_e32 v13, 0x80000000, v13
.LBB79_100:
	s_or_b64 exec, exec, s[14:15]
	v_mov_b32_e32 v26, 0x4000
	v_cmp_eq_u32_e64 s[10:11], 0, v27
	s_xor_b64 s[14:15], s[8:9], -1
	v_lshl_add_u32 v26, v28, 4, v26
	s_and_b64 s[54:55], s[10:11], s[14:15]
	s_and_saveexec_b64 s[8:9], s[54:55]
; %bb.101:
	ds_write_b128 v26, v[10:13]
; %bb.102:
	s_or_b64 exec, exec, s[8:9]
	v_cmp_ne_u32_e64 s[8:9], 0, v27
	s_and_b64 s[56:57], s[8:9], s[14:15]
	s_waitcnt lgkmcnt(0)
	s_barrier
	s_and_saveexec_b64 s[8:9], s[56:57]
	s_cbranch_execz .LBB79_104
; %bb.103:
	ds_read_b128 v[29:32], v26
	ds_read_b128 v[33:36], v25 offset:4224
	s_waitcnt lgkmcnt(0)
	v_mul_f64 v[37:38], v[31:32], v[35:36]
	v_mul_f64 v[35:36], v[29:30], v[35:36]
	v_fma_f64 v[29:30], v[29:30], v[33:34], -v[37:38]
	v_fma_f64 v[31:32], v[31:32], v[33:34], v[35:36]
	v_add_f64 v[10:11], v[10:11], v[29:30]
	v_add_f64 v[12:13], v[12:13], v[31:32]
.LBB79_104:
	s_or_b64 exec, exec, s[8:9]
	v_cmp_eq_u32_e64 s[8:9], 1, v27
	s_and_b64 s[58:59], s[8:9], s[14:15]
	s_barrier
	s_and_saveexec_b64 s[8:9], s[58:59]
; %bb.105:
	ds_write_b128 v26, v[10:13]
; %bb.106:
	s_or_b64 exec, exec, s[8:9]
	v_cmp_lt_u32_e64 s[8:9], 1, v27
	s_and_b64 s[60:61], s[8:9], s[14:15]
	s_waitcnt lgkmcnt(0)
	s_barrier
	s_and_saveexec_b64 s[8:9], s[60:61]
	s_cbranch_execz .LBB79_108
; %bb.107:
	ds_read_b128 v[29:32], v26
	ds_read_b128 v[33:36], v25 offset:4736
	s_waitcnt lgkmcnt(0)
	v_mul_f64 v[37:38], v[31:32], v[35:36]
	v_mul_f64 v[35:36], v[29:30], v[35:36]
	v_fma_f64 v[29:30], v[29:30], v[33:34], -v[37:38]
	v_fma_f64 v[31:32], v[31:32], v[33:34], v[35:36]
	v_add_f64 v[10:11], v[10:11], v[29:30]
	v_add_f64 v[12:13], v[12:13], v[31:32]
.LBB79_108:
	s_or_b64 exec, exec, s[8:9]
	v_cmp_eq_u32_e64 s[8:9], 2, v27
	s_and_b64 s[62:63], s[8:9], s[14:15]
	s_barrier
	s_and_saveexec_b64 s[8:9], s[62:63]
; %bb.109:
	ds_write_b128 v26, v[10:13]
; %bb.110:
	s_or_b64 exec, exec, s[8:9]
	v_cmp_lt_u32_e64 s[8:9], 2, v27
	;; [unrolled: 26-line block ×5, first 2 shown]
	s_and_b64 s[76:77], s[8:9], s[14:15]
	s_waitcnt lgkmcnt(0)
	s_barrier
	s_and_saveexec_b64 s[8:9], s[76:77]
	s_cbranch_execz .LBB79_124
; %bb.123:
	ds_read_b128 v[29:32], v26
	ds_read_b128 v[33:36], v25 offset:6784
	s_waitcnt lgkmcnt(0)
	v_mul_f64 v[37:38], v[31:32], v[35:36]
	v_mul_f64 v[35:36], v[29:30], v[35:36]
	v_fma_f64 v[29:30], v[29:30], v[33:34], -v[37:38]
	v_fma_f64 v[31:32], v[31:32], v[33:34], v[35:36]
	v_add_f64 v[10:11], v[10:11], v[29:30]
	v_add_f64 v[12:13], v[12:13], v[31:32]
.LBB79_124:
	s_or_b64 exec, exec, s[8:9]
	v_cmp_eq_u32_e64 s[8:9], 6, v27
	s_and_b64 s[78:79], s[8:9], s[14:15]
	s_barrier
	s_and_saveexec_b64 s[8:9], s[78:79]
; %bb.125:
	ds_write_b128 v26, v[10:13]
; %bb.126:
	s_or_b64 exec, exec, s[8:9]
	v_cmp_eq_u32_e64 s[8:9], 7, v27
	s_and_b64 s[52:53], s[8:9], s[14:15]
	s_waitcnt lgkmcnt(0)
	s_barrier
	s_and_saveexec_b64 s[8:9], s[52:53]
	s_cbranch_execz .LBB79_128
; %bb.127:
	v_mov_b32_e32 v33, 0
	ds_read_b128 v[29:32], v26
	ds_read_b128 v[33:36], v33 offset:7408
	s_waitcnt lgkmcnt(0)
	v_mul_f64 v[37:38], v[31:32], v[35:36]
	v_mul_f64 v[35:36], v[29:30], v[35:36]
	v_fma_f64 v[29:30], v[29:30], v[33:34], -v[37:38]
	v_fma_f64 v[31:32], v[31:32], v[33:34], v[35:36]
	v_add_f64 v[10:11], v[10:11], v[29:30]
	v_add_f64 v[12:13], v[12:13], v[31:32]
.LBB79_128:
	s_or_b64 exec, exec, s[8:9]
	s_barrier
	s_and_saveexec_b64 s[8:9], s[52:53]
; %bb.129:
	ds_write_b128 v26, v[10:13]
; %bb.130:
	s_or_b64 exec, exec, s[8:9]
	s_waitcnt lgkmcnt(0)
	s_barrier
	s_barrier
	s_and_saveexec_b64 s[8:9], s[12:13]
; %bb.131:
	v_xor_b32_e32 v11, 0x80000000, v11
	v_xor_b32_e32 v13, 0x80000000, v13
	ds_write_b128 v24, v[10:13] offset:128
; %bb.132:
	s_or_b64 exec, exec, s[8:9]
	s_waitcnt lgkmcnt(0)
	s_barrier
	s_barrier
	s_and_saveexec_b64 s[8:9], vcc
	s_cbranch_execz .LBB79_134
; %bb.133:
	s_mov_b32 s80, 0
	s_mov_b32 s81, 0x3ff00000
	;; [unrolled: 1-line block ×4, first 2 shown]
	v_mov_b32_e32 v10, s80
	v_mov_b32_e32 v29, 0
	;; [unrolled: 1-line block ×5, first 2 shown]
	ds_write_b128 v29, v[10:13] offset:4224
	ds_write_b128 v29, v[10:13] offset:4752
.LBB79_134:
	s_or_b64 exec, exec, s[8:9]
	v_mov_b32_e32 v12, 0
	v_mov_b32_e32 v10, 0
	;; [unrolled: 1-line block ×4, first 2 shown]
	s_waitcnt lgkmcnt(0)
	s_barrier
	s_and_saveexec_b64 s[10:11], s[0:1]
	s_cbranch_execz .LBB79_138
; %bb.135:
	v_mul_u32_u24_e32 v10, 0x210, v16
	ds_read_b128 v[10:13], v10 offset:4224
	ds_read_b128 v[29:32], v14 offset:4256
	v_cmp_gt_u32_e64 s[8:9], 2, v22
	s_waitcnt lgkmcnt(0)
	v_mul_f64 v[33:34], v[12:13], v[31:32]
	v_mul_f64 v[31:32], v[10:11], v[31:32]
	v_fma_f64 v[10:11], v[10:11], v[29:30], -v[33:34]
	v_fma_f64 v[12:13], v[12:13], v[29:30], v[31:32]
	v_add_f64 v[10:11], v[10:11], 0
	v_add_f64 v[12:13], v[12:13], 0
	s_and_saveexec_b64 s[14:15], s[8:9]
	s_cbranch_execz .LBB79_137
; %bb.136:
	v_lshlrev_b32_e32 v33, 4, v0
	v_mov_b32_e32 v29, 0
	ds_read_b128 v[29:32], v29 offset:4240
	ds_read_b128 v[33:36], v33 offset:4768
	s_waitcnt lgkmcnt(0)
	v_mul_f64 v[37:38], v[31:32], v[35:36]
	v_mul_f64 v[35:36], v[29:30], v[35:36]
	v_fma_f64 v[29:30], v[29:30], v[33:34], -v[37:38]
	v_fma_f64 v[31:32], v[31:32], v[33:34], v[35:36]
	v_add_f64 v[10:11], v[10:11], v[29:30]
	v_add_f64 v[12:13], v[12:13], v[31:32]
.LBB79_137:
	s_or_b64 exec, exec, s[14:15]
	v_xor_b32_e32 v11, 0x80000000, v11
	v_xor_b32_e32 v13, 0x80000000, v13
.LBB79_138:
	s_or_b64 exec, exec, s[10:11]
	s_and_saveexec_b64 s[8:9], s[38:39]
; %bb.139:
	ds_write_b128 v15, v[10:13]
; %bb.140:
	s_or_b64 exec, exec, s[8:9]
	s_waitcnt lgkmcnt(0)
	s_barrier
	s_and_saveexec_b64 s[8:9], s[36:37]
	s_cbranch_execz .LBB79_142
; %bb.141:
	v_mov_b32_e32 v33, 0
	ds_read_b128 v[29:32], v15
	ds_read_b128 v[33:36], v33 offset:5296
	s_waitcnt lgkmcnt(0)
	v_mul_f64 v[37:38], v[31:32], v[35:36]
	v_mul_f64 v[35:36], v[29:30], v[35:36]
	v_fma_f64 v[29:30], v[29:30], v[33:34], -v[37:38]
	v_fma_f64 v[31:32], v[31:32], v[33:34], v[35:36]
	v_add_f64 v[10:11], v[10:11], v[29:30]
	v_add_f64 v[12:13], v[12:13], v[31:32]
.LBB79_142:
	s_or_b64 exec, exec, s[8:9]
	s_barrier
	s_and_saveexec_b64 s[8:9], s[36:37]
; %bb.143:
	ds_write_b128 v15, v[10:13]
; %bb.144:
	s_or_b64 exec, exec, s[8:9]
	s_waitcnt lgkmcnt(0)
	s_barrier
	s_barrier
	s_and_saveexec_b64 s[8:9], s[0:1]
; %bb.145:
	v_xor_b32_e32 v11, 0x80000000, v11
	v_xor_b32_e32 v13, 0x80000000, v13
	ds_write_b128 v14, v[10:13] offset:4256
; %bb.146:
	s_or_b64 exec, exec, s[8:9]
	s_waitcnt lgkmcnt(0)
	s_barrier
	s_barrier
	s_and_saveexec_b64 s[8:9], vcc
	s_cbranch_execz .LBB79_148
; %bb.147:
	s_mov_b32 s80, 0
	s_mov_b32 s81, 0x3ff00000
	s_mov_b32 s82, s80
	s_mov_b32 s83, s80
	v_mov_b32_e32 v10, s80
	v_mov_b32_e32 v29, 0
	;; [unrolled: 1-line block ×5, first 2 shown]
	ds_write_b128 v29, v[10:13] offset:5280
	ds_write_b128 v29, v[10:13] offset:5808
.LBB79_148:
	s_or_b64 exec, exec, s[8:9]
	v_mov_b32_e32 v12, 0
	v_mov_b32_e32 v10, 0
	;; [unrolled: 1-line block ×4, first 2 shown]
	s_waitcnt lgkmcnt(0)
	s_barrier
	s_and_saveexec_b64 s[10:11], s[2:3]
	s_cbranch_execz .LBB79_154
; %bb.149:
	v_mul_u32_u24_e32 v29, 0x210, v23
	ds_read_b128 v[10:13], v29 offset:4224
	ds_read_b128 v[30:33], v17 offset:4288
	v_cmp_gt_u32_e64 s[8:9], 12, v22
	s_waitcnt lgkmcnt(0)
	v_mul_f64 v[34:35], v[12:13], v[32:33]
	v_mul_f64 v[32:33], v[10:11], v[32:33]
	v_fma_f64 v[10:11], v[10:11], v[30:31], -v[34:35]
	v_fma_f64 v[12:13], v[12:13], v[30:31], v[32:33]
	v_add_f64 v[10:11], v[10:11], 0
	v_add_f64 v[12:13], v[12:13], 0
	s_and_saveexec_b64 s[14:15], s[8:9]
	s_cbranch_execnz .LBB79_497
; %bb.150:
	s_or_b64 exec, exec, s[14:15]
	v_cmp_gt_u32_e64 s[8:9], 8, v22
	s_and_saveexec_b64 s[14:15], s[8:9]
	s_cbranch_execnz .LBB79_498
.LBB79_151:
	s_or_b64 exec, exec, s[14:15]
	v_cmp_gt_u32_e64 s[8:9], 4, v22
	s_and_saveexec_b64 s[14:15], s[8:9]
	s_cbranch_execz .LBB79_153
.LBB79_152:
	v_lshlrev_b32_e32 v33, 4, v0
	v_mov_b32_e32 v29, 0
	ds_read_b128 v[29:32], v29 offset:4272
	ds_read_b128 v[33:36], v33 offset:5824
	s_waitcnt lgkmcnt(0)
	v_mul_f64 v[37:38], v[31:32], v[35:36]
	v_mul_f64 v[35:36], v[29:30], v[35:36]
	v_fma_f64 v[29:30], v[29:30], v[33:34], -v[37:38]
	v_fma_f64 v[31:32], v[31:32], v[33:34], v[35:36]
	v_add_f64 v[10:11], v[10:11], v[29:30]
	v_add_f64 v[12:13], v[12:13], v[31:32]
.LBB79_153:
	s_or_b64 exec, exec, s[14:15]
	v_xor_b32_e32 v11, 0x80000000, v11
	v_xor_b32_e32 v13, 0x80000000, v13
.LBB79_154:
	s_or_b64 exec, exec, s[10:11]
	s_and_saveexec_b64 s[8:9], s[42:43]
; %bb.155:
	ds_write_b128 v19, v[10:13]
; %bb.156:
	s_or_b64 exec, exec, s[8:9]
	s_waitcnt lgkmcnt(0)
	s_barrier
	s_and_saveexec_b64 s[8:9], s[44:45]
	s_cbranch_execz .LBB79_158
; %bb.157:
	ds_read_b128 v[29:32], v19
	ds_read_b128 v[33:36], v18 offset:6336
	s_waitcnt lgkmcnt(0)
	v_mul_f64 v[37:38], v[31:32], v[35:36]
	v_mul_f64 v[35:36], v[29:30], v[35:36]
	v_fma_f64 v[29:30], v[29:30], v[33:34], -v[37:38]
	v_fma_f64 v[31:32], v[31:32], v[33:34], v[35:36]
	v_add_f64 v[10:11], v[10:11], v[29:30]
	v_add_f64 v[12:13], v[12:13], v[31:32]
.LBB79_158:
	s_or_b64 exec, exec, s[8:9]
	s_barrier
	s_and_saveexec_b64 s[8:9], s[46:47]
; %bb.159:
	ds_write_b128 v19, v[10:13]
; %bb.160:
	s_or_b64 exec, exec, s[8:9]
	s_waitcnt lgkmcnt(0)
	s_barrier
	s_and_saveexec_b64 s[8:9], s[48:49]
	s_cbranch_execz .LBB79_162
; %bb.161:
	ds_read_b128 v[29:32], v19
	ds_read_b128 v[33:36], v18 offset:6848
	s_waitcnt lgkmcnt(0)
	v_mul_f64 v[37:38], v[31:32], v[35:36]
	v_mul_f64 v[35:36], v[29:30], v[35:36]
	v_fma_f64 v[29:30], v[29:30], v[33:34], -v[37:38]
	v_fma_f64 v[31:32], v[31:32], v[33:34], v[35:36]
	v_add_f64 v[10:11], v[10:11], v[29:30]
	v_add_f64 v[12:13], v[12:13], v[31:32]
.LBB79_162:
	s_or_b64 exec, exec, s[8:9]
	s_barrier
	s_and_saveexec_b64 s[8:9], s[50:51]
; %bb.163:
	ds_write_b128 v19, v[10:13]
; %bb.164:
	s_or_b64 exec, exec, s[8:9]
	s_waitcnt lgkmcnt(0)
	s_barrier
	s_and_saveexec_b64 s[8:9], s[40:41]
	s_cbranch_execz .LBB79_166
; %bb.165:
	v_mov_b32_e32 v33, 0
	ds_read_b128 v[29:32], v19
	ds_read_b128 v[33:36], v33 offset:7408
	s_waitcnt lgkmcnt(0)
	v_mul_f64 v[37:38], v[31:32], v[35:36]
	v_mul_f64 v[35:36], v[29:30], v[35:36]
	v_fma_f64 v[29:30], v[29:30], v[33:34], -v[37:38]
	v_fma_f64 v[31:32], v[31:32], v[33:34], v[35:36]
	v_add_f64 v[10:11], v[10:11], v[29:30]
	v_add_f64 v[12:13], v[12:13], v[31:32]
.LBB79_166:
	s_or_b64 exec, exec, s[8:9]
	s_barrier
	s_and_saveexec_b64 s[8:9], s[40:41]
; %bb.167:
	ds_write_b128 v19, v[10:13]
; %bb.168:
	s_or_b64 exec, exec, s[8:9]
	s_waitcnt lgkmcnt(0)
	s_barrier
	s_barrier
	s_and_saveexec_b64 s[8:9], s[2:3]
; %bb.169:
	v_xor_b32_e32 v13, 0x80000000, v13
	v_xor_b32_e32 v11, 0x80000000, v11
	ds_write_b128 v17, v[10:13] offset:4288
; %bb.170:
	s_or_b64 exec, exec, s[8:9]
	s_waitcnt lgkmcnt(0)
	s_barrier
	s_barrier
	s_and_saveexec_b64 s[8:9], vcc
	s_cbranch_execz .LBB79_172
; %bb.171:
	s_mov_b32 s80, 0
	s_mov_b32 s81, 0x3ff00000
	s_mov_b32 s82, s80
	s_mov_b32 s83, s80
	v_mov_b32_e32 v10, s80
	v_mov_b32_e32 v29, 0
	;; [unrolled: 1-line block ×5, first 2 shown]
	ds_write_b128 v29, v[10:13] offset:6336
	ds_write_b128 v29, v[10:13] offset:6864
.LBB79_172:
	s_or_b64 exec, exec, s[8:9]
	v_mov_b32_e32 v12, 0
	v_mov_b32_e32 v10, 0
	;; [unrolled: 1-line block ×4, first 2 shown]
	s_waitcnt lgkmcnt(0)
	s_barrier
	s_and_saveexec_b64 s[10:11], s[0:1]
	s_cbranch_execz .LBB79_176
; %bb.173:
	v_mul_u32_u24_e32 v10, 0x210, v16
	ds_read_b128 v[10:13], v10 offset:6336
	ds_read_b128 v[29:32], v14 offset:6368
	v_cmp_gt_u32_e64 s[8:9], 2, v22
	s_waitcnt lgkmcnt(0)
	v_mul_f64 v[33:34], v[12:13], v[31:32]
	v_mul_f64 v[31:32], v[10:11], v[31:32]
	v_fma_f64 v[10:11], v[10:11], v[29:30], -v[33:34]
	v_fma_f64 v[12:13], v[12:13], v[29:30], v[31:32]
	v_add_f64 v[10:11], v[10:11], 0
	v_add_f64 v[12:13], v[12:13], 0
	s_and_saveexec_b64 s[14:15], s[8:9]
	s_cbranch_execz .LBB79_175
; %bb.174:
	v_lshlrev_b32_e32 v33, 4, v0
	v_mov_b32_e32 v29, 0
	ds_read_b128 v[29:32], v29 offset:6352
	ds_read_b128 v[33:36], v33 offset:6880
	s_waitcnt lgkmcnt(0)
	v_mul_f64 v[37:38], v[31:32], v[35:36]
	v_mul_f64 v[35:36], v[29:30], v[35:36]
	v_fma_f64 v[29:30], v[29:30], v[33:34], -v[37:38]
	v_fma_f64 v[31:32], v[31:32], v[33:34], v[35:36]
	v_add_f64 v[10:11], v[10:11], v[29:30]
	v_add_f64 v[12:13], v[12:13], v[31:32]
.LBB79_175:
	s_or_b64 exec, exec, s[14:15]
	v_xor_b32_e32 v11, 0x80000000, v11
	v_xor_b32_e32 v13, 0x80000000, v13
.LBB79_176:
	s_or_b64 exec, exec, s[10:11]
	s_and_saveexec_b64 s[8:9], s[38:39]
; %bb.177:
	ds_write_b128 v15, v[10:13]
; %bb.178:
	s_or_b64 exec, exec, s[8:9]
	s_waitcnt lgkmcnt(0)
	s_barrier
	s_and_saveexec_b64 s[8:9], s[36:37]
	s_cbranch_execz .LBB79_180
; %bb.179:
	v_mov_b32_e32 v33, 0
	ds_read_b128 v[29:32], v15
	ds_read_b128 v[33:36], v33 offset:7408
	s_waitcnt lgkmcnt(0)
	v_mul_f64 v[37:38], v[31:32], v[35:36]
	v_mul_f64 v[35:36], v[29:30], v[35:36]
	v_fma_f64 v[29:30], v[29:30], v[33:34], -v[37:38]
	v_fma_f64 v[31:32], v[31:32], v[33:34], v[35:36]
	v_add_f64 v[10:11], v[10:11], v[29:30]
	v_add_f64 v[12:13], v[12:13], v[31:32]
.LBB79_180:
	s_or_b64 exec, exec, s[8:9]
	s_barrier
	s_and_saveexec_b64 s[8:9], s[36:37]
; %bb.181:
	ds_write_b128 v15, v[10:13]
; %bb.182:
	s_or_b64 exec, exec, s[8:9]
	s_waitcnt lgkmcnt(0)
	s_barrier
	s_barrier
	s_and_saveexec_b64 s[8:9], s[0:1]
; %bb.183:
	v_xor_b32_e32 v11, 0x80000000, v11
	v_xor_b32_e32 v13, 0x80000000, v13
	ds_write_b128 v14, v[10:13] offset:6368
; %bb.184:
	s_or_b64 exec, exec, s[8:9]
	s_waitcnt lgkmcnt(0)
	s_barrier
	s_barrier
	s_and_saveexec_b64 s[8:9], vcc
	s_cbranch_execz .LBB79_186
; %bb.185:
	s_mov_b32 s80, 0
	s_mov_b32 s81, 0x3ff00000
	;; [unrolled: 1-line block ×4, first 2 shown]
	v_mov_b32_e32 v10, s80
	v_mov_b32_e32 v29, 0
	;; [unrolled: 1-line block ×5, first 2 shown]
	ds_write_b128 v29, v[10:13] offset:7392
	ds_write_b128 v29, v[10:13] offset:7920
.LBB79_186:
	s_or_b64 exec, exec, s[8:9]
	v_and_b32_e32 v30, 15, v0
	s_movk_i32 s8, 0xff
	v_lshrrev_b32_e32 v32, 4, v22
	v_cmp_lt_u32_e64 s[10:11], s8, v22
	s_movk_i32 s8, 0x100
	v_lshlrev_b32_e32 v31, 4, v30
	v_mov_b32_e32 v12, 0
	v_mov_b32_e32 v10, 0
	v_cmp_gt_u32_e64 s[8:9], s8, v22
	v_mov_b32_e32 v13, 0
	v_mov_b32_e32 v11, 0
	v_lshl_or_b32 v29, v32, 9, v31
	s_waitcnt lgkmcnt(0)
	s_barrier
	s_and_saveexec_b64 s[80:81], s[8:9]
	s_cbranch_execz .LBB79_214
; %bb.187:
	v_mul_u32_u24_e32 v33, 0x210, v32
	ds_read_b128 v[10:13], v33
	ds_read_b128 v[34:37], v29 offset:256
	s_movk_i32 s14, 0xf0
	v_cmp_gt_u32_e64 s[14:15], s14, v22
	s_waitcnt lgkmcnt(0)
	v_mul_f64 v[38:39], v[12:13], v[36:37]
	v_mul_f64 v[36:37], v[10:11], v[36:37]
	v_fma_f64 v[10:11], v[10:11], v[34:35], -v[38:39]
	v_fma_f64 v[12:13], v[12:13], v[34:35], v[36:37]
	v_add_f64 v[10:11], v[10:11], 0
	v_add_f64 v[12:13], v[12:13], 0
	s_and_saveexec_b64 s[82:83], s[14:15]
	s_cbranch_execz .LBB79_189
; %bb.188:
	ds_read_b128 v[34:37], v33 offset:16
	ds_read_b128 v[38:41], v29 offset:768
	s_waitcnt lgkmcnt(0)
	v_mul_f64 v[42:43], v[36:37], v[40:41]
	v_mul_f64 v[40:41], v[34:35], v[40:41]
	v_fma_f64 v[34:35], v[34:35], v[38:39], -v[42:43]
	v_fma_f64 v[36:37], v[36:37], v[38:39], v[40:41]
	v_add_f64 v[10:11], v[10:11], v[34:35]
	v_add_f64 v[12:13], v[12:13], v[36:37]
.LBB79_189:
	s_or_b64 exec, exec, s[82:83]
	s_movk_i32 s14, 0xe0
	v_cmp_gt_u32_e64 s[14:15], s14, v22
	s_and_saveexec_b64 s[82:83], s[14:15]
	s_cbranch_execz .LBB79_191
; %bb.190:
	ds_read_b128 v[34:37], v33 offset:32
	ds_read_b128 v[38:41], v29 offset:1280
	s_waitcnt lgkmcnt(0)
	v_mul_f64 v[42:43], v[36:37], v[40:41]
	v_mul_f64 v[40:41], v[34:35], v[40:41]
	v_fma_f64 v[34:35], v[34:35], v[38:39], -v[42:43]
	v_fma_f64 v[36:37], v[36:37], v[38:39], v[40:41]
	v_add_f64 v[10:11], v[10:11], v[34:35]
	v_add_f64 v[12:13], v[12:13], v[36:37]
.LBB79_191:
	s_or_b64 exec, exec, s[82:83]
	s_movk_i32 s14, 0xd0
	v_cmp_gt_u32_e64 s[14:15], s14, v22
	;; [unrolled: 16-line block ×10, first 2 shown]
	s_and_saveexec_b64 s[82:83], s[14:15]
	s_cbranch_execnz .LBB79_499
; %bb.208:
	s_or_b64 exec, exec, s[82:83]
	v_cmp_gt_u32_e64 s[14:15], 64, v22
	s_and_saveexec_b64 s[82:83], s[14:15]
	s_cbranch_execnz .LBB79_500
.LBB79_209:
	s_or_b64 exec, exec, s[82:83]
	v_cmp_gt_u32_e64 s[14:15], 48, v22
	s_and_saveexec_b64 s[82:83], s[14:15]
	s_cbranch_execnz .LBB79_501
.LBB79_210:
	s_or_b64 exec, exec, s[82:83]
	v_cmp_gt_u32_e64 s[14:15], 32, v22
	s_and_saveexec_b64 s[82:83], s[14:15]
	s_cbranch_execnz .LBB79_502
.LBB79_211:
	s_or_b64 exec, exec, s[82:83]
	v_cmp_gt_u32_e64 s[14:15], 16, v22
	s_and_saveexec_b64 s[82:83], s[14:15]
	s_cbranch_execz .LBB79_213
.LBB79_212:
	v_lshlrev_b32_e32 v37, 4, v0
	v_mov_b32_e32 v33, 0
	ds_read_b128 v[33:36], v33 offset:240
	ds_read_b128 v[37:40], v37 offset:7936
	s_waitcnt lgkmcnt(0)
	v_mul_f64 v[41:42], v[35:36], v[39:40]
	v_mul_f64 v[39:40], v[33:34], v[39:40]
	v_fma_f64 v[33:34], v[33:34], v[37:38], -v[41:42]
	v_fma_f64 v[35:36], v[35:36], v[37:38], v[39:40]
	v_add_f64 v[10:11], v[10:11], v[33:34]
	v_add_f64 v[12:13], v[12:13], v[35:36]
.LBB79_213:
	s_or_b64 exec, exec, s[82:83]
	v_xor_b32_e32 v11, 0x80000000, v11
	v_xor_b32_e32 v13, 0x80000000, v13
.LBB79_214:
	s_or_b64 exec, exec, s[80:81]
	v_mov_b32_e32 v33, 0x4000
	v_cmp_eq_u32_e64 s[14:15], 0, v30
	s_xor_b64 s[80:81], s[10:11], -1
	v_lshl_add_u32 v32, v32, 4, v33
	s_and_b64 s[14:15], s[14:15], s[80:81]
	s_and_saveexec_b64 s[10:11], s[14:15]
; %bb.215:
	ds_write_b128 v32, v[10:13]
; %bb.216:
	s_or_b64 exec, exec, s[10:11]
	v_cmp_ne_u32_e64 s[10:11], 0, v30
	s_and_b64 s[14:15], s[10:11], s[80:81]
	s_waitcnt lgkmcnt(0)
	s_barrier
	s_and_saveexec_b64 s[10:11], s[14:15]
	s_cbranch_execz .LBB79_218
; %bb.217:
	ds_read_b128 v[33:36], v32
	ds_read_b128 v[37:40], v31 offset:8448
	s_waitcnt lgkmcnt(0)
	v_mul_f64 v[41:42], v[35:36], v[39:40]
	v_mul_f64 v[39:40], v[33:34], v[39:40]
	v_fma_f64 v[33:34], v[33:34], v[37:38], -v[41:42]
	v_fma_f64 v[35:36], v[35:36], v[37:38], v[39:40]
	v_add_f64 v[10:11], v[10:11], v[33:34]
	v_add_f64 v[12:13], v[12:13], v[35:36]
.LBB79_218:
	s_or_b64 exec, exec, s[10:11]
	v_cmp_eq_u32_e64 s[10:11], 1, v30
	s_and_b64 s[14:15], s[10:11], s[80:81]
	s_barrier
	s_and_saveexec_b64 s[10:11], s[14:15]
; %bb.219:
	ds_write_b128 v32, v[10:13]
; %bb.220:
	s_or_b64 exec, exec, s[10:11]
	v_cmp_lt_u32_e64 s[10:11], 1, v30
	s_and_b64 s[14:15], s[10:11], s[80:81]
	s_waitcnt lgkmcnt(0)
	s_barrier
	s_and_saveexec_b64 s[10:11], s[14:15]
	s_cbranch_execz .LBB79_222
; %bb.221:
	ds_read_b128 v[33:36], v32
	ds_read_b128 v[37:40], v31 offset:8960
	s_waitcnt lgkmcnt(0)
	v_mul_f64 v[41:42], v[35:36], v[39:40]
	v_mul_f64 v[39:40], v[33:34], v[39:40]
	v_fma_f64 v[33:34], v[33:34], v[37:38], -v[41:42]
	v_fma_f64 v[35:36], v[35:36], v[37:38], v[39:40]
	v_add_f64 v[10:11], v[10:11], v[33:34]
	v_add_f64 v[12:13], v[12:13], v[35:36]
.LBB79_222:
	s_or_b64 exec, exec, s[10:11]
	v_cmp_eq_u32_e64 s[10:11], 2, v30
	s_and_b64 s[14:15], s[10:11], s[80:81]
	s_barrier
	s_and_saveexec_b64 s[10:11], s[14:15]
; %bb.223:
	ds_write_b128 v32, v[10:13]
; %bb.224:
	s_or_b64 exec, exec, s[10:11]
	v_cmp_lt_u32_e64 s[10:11], 2, v30
	;; [unrolled: 26-line block ×13, first 2 shown]
	s_and_b64 s[14:15], s[10:11], s[80:81]
	s_waitcnt lgkmcnt(0)
	s_barrier
	s_and_saveexec_b64 s[10:11], s[14:15]
	s_cbranch_execz .LBB79_270
; %bb.269:
	ds_read_b128 v[33:36], v32
	ds_read_b128 v[37:40], v31 offset:15104
	s_waitcnt lgkmcnt(0)
	v_mul_f64 v[41:42], v[35:36], v[39:40]
	v_mul_f64 v[39:40], v[33:34], v[39:40]
	v_fma_f64 v[33:34], v[33:34], v[37:38], -v[41:42]
	v_fma_f64 v[35:36], v[35:36], v[37:38], v[39:40]
	v_add_f64 v[10:11], v[10:11], v[33:34]
	v_add_f64 v[12:13], v[12:13], v[35:36]
.LBB79_270:
	s_or_b64 exec, exec, s[10:11]
	v_cmp_eq_u32_e64 s[10:11], 14, v30
	s_and_b64 s[14:15], s[10:11], s[80:81]
	s_barrier
	s_and_saveexec_b64 s[10:11], s[14:15]
; %bb.271:
	ds_write_b128 v32, v[10:13]
; %bb.272:
	s_or_b64 exec, exec, s[10:11]
	v_cmp_eq_u32_e64 s[10:11], 15, v30
	s_and_b64 s[10:11], s[10:11], s[80:81]
	s_waitcnt lgkmcnt(0)
	s_barrier
	s_and_saveexec_b64 s[14:15], s[10:11]
	s_cbranch_execz .LBB79_274
; %bb.273:
	v_mov_b32_e32 v30, 0
	ds_read_b128 v[33:36], v32
	ds_read_b128 v[37:40], v30 offset:15856
	s_waitcnt lgkmcnt(0)
	v_mul_f64 v[30:31], v[35:36], v[39:40]
	v_mul_f64 v[39:40], v[33:34], v[39:40]
	v_fma_f64 v[30:31], v[33:34], v[37:38], -v[30:31]
	v_fma_f64 v[33:34], v[35:36], v[37:38], v[39:40]
	v_add_f64 v[10:11], v[10:11], v[30:31]
	v_add_f64 v[12:13], v[12:13], v[33:34]
.LBB79_274:
	s_or_b64 exec, exec, s[14:15]
	s_barrier
	s_and_saveexec_b64 s[14:15], s[10:11]
; %bb.275:
	ds_write_b128 v32, v[10:13]
; %bb.276:
	s_or_b64 exec, exec, s[14:15]
	s_waitcnt lgkmcnt(0)
	s_barrier
	s_barrier
	s_and_saveexec_b64 s[10:11], s[8:9]
; %bb.277:
	v_xor_b32_e32 v13, 0x80000000, v13
	v_xor_b32_e32 v11, 0x80000000, v11
	ds_write_b128 v29, v[10:13] offset:256
; %bb.278:
	s_or_b64 exec, exec, s[10:11]
	s_waitcnt lgkmcnt(0)
	s_barrier
	s_barrier
	s_and_saveexec_b64 s[8:9], vcc
	s_cbranch_execz .LBB79_280
; %bb.279:
	s_mov_b32 s80, 0
	s_mov_b32 s81, 0x3ff00000
	;; [unrolled: 1-line block ×4, first 2 shown]
	v_mov_b32_e32 v10, s80
	v_mov_b32_e32 v29, 0
	;; [unrolled: 1-line block ×5, first 2 shown]
	ds_write_b128 v29, v[10:13] offset:8448
	ds_write_b128 v29, v[10:13] offset:8976
.LBB79_280:
	s_or_b64 exec, exec, s[8:9]
	v_mov_b32_e32 v12, 0
	v_mov_b32_e32 v10, 0
	;; [unrolled: 1-line block ×4, first 2 shown]
	s_waitcnt lgkmcnt(0)
	s_barrier
	s_and_saveexec_b64 s[10:11], s[0:1]
	s_cbranch_execz .LBB79_284
; %bb.281:
	v_mul_u32_u24_e32 v10, 0x210, v16
	ds_read_b128 v[10:13], v10 offset:8448
	ds_read_b128 v[29:32], v14 offset:8480
	v_cmp_gt_u32_e64 s[8:9], 2, v22
	s_waitcnt lgkmcnt(0)
	v_mul_f64 v[33:34], v[12:13], v[31:32]
	v_mul_f64 v[31:32], v[10:11], v[31:32]
	v_fma_f64 v[10:11], v[10:11], v[29:30], -v[33:34]
	v_fma_f64 v[12:13], v[12:13], v[29:30], v[31:32]
	v_add_f64 v[10:11], v[10:11], 0
	v_add_f64 v[12:13], v[12:13], 0
	s_and_saveexec_b64 s[14:15], s[8:9]
	s_cbranch_execz .LBB79_283
; %bb.282:
	v_lshlrev_b32_e32 v33, 4, v0
	v_mov_b32_e32 v29, 0
	ds_read_b128 v[29:32], v29 offset:8464
	ds_read_b128 v[33:36], v33 offset:8992
	s_waitcnt lgkmcnt(0)
	v_mul_f64 v[37:38], v[31:32], v[35:36]
	v_mul_f64 v[35:36], v[29:30], v[35:36]
	v_fma_f64 v[29:30], v[29:30], v[33:34], -v[37:38]
	v_fma_f64 v[31:32], v[31:32], v[33:34], v[35:36]
	v_add_f64 v[10:11], v[10:11], v[29:30]
	v_add_f64 v[12:13], v[12:13], v[31:32]
.LBB79_283:
	s_or_b64 exec, exec, s[14:15]
	v_xor_b32_e32 v11, 0x80000000, v11
	v_xor_b32_e32 v13, 0x80000000, v13
.LBB79_284:
	s_or_b64 exec, exec, s[10:11]
	s_and_saveexec_b64 s[8:9], s[38:39]
; %bb.285:
	ds_write_b128 v15, v[10:13]
; %bb.286:
	s_or_b64 exec, exec, s[8:9]
	s_waitcnt lgkmcnt(0)
	s_barrier
	s_and_saveexec_b64 s[8:9], s[36:37]
	s_cbranch_execz .LBB79_288
; %bb.287:
	v_mov_b32_e32 v33, 0
	ds_read_b128 v[29:32], v15
	ds_read_b128 v[33:36], v33 offset:9520
	s_waitcnt lgkmcnt(0)
	v_mul_f64 v[37:38], v[31:32], v[35:36]
	v_mul_f64 v[35:36], v[29:30], v[35:36]
	v_fma_f64 v[29:30], v[29:30], v[33:34], -v[37:38]
	v_fma_f64 v[31:32], v[31:32], v[33:34], v[35:36]
	v_add_f64 v[10:11], v[10:11], v[29:30]
	v_add_f64 v[12:13], v[12:13], v[31:32]
.LBB79_288:
	s_or_b64 exec, exec, s[8:9]
	s_barrier
	s_and_saveexec_b64 s[8:9], s[36:37]
; %bb.289:
	ds_write_b128 v15, v[10:13]
; %bb.290:
	s_or_b64 exec, exec, s[8:9]
	s_waitcnt lgkmcnt(0)
	s_barrier
	s_barrier
	s_and_saveexec_b64 s[8:9], s[0:1]
; %bb.291:
	v_xor_b32_e32 v11, 0x80000000, v11
	v_xor_b32_e32 v13, 0x80000000, v13
	ds_write_b128 v14, v[10:13] offset:8480
; %bb.292:
	s_or_b64 exec, exec, s[8:9]
	s_waitcnt lgkmcnt(0)
	s_barrier
	s_barrier
	s_and_saveexec_b64 s[8:9], vcc
	s_cbranch_execz .LBB79_294
; %bb.293:
	s_mov_b32 s80, 0
	s_mov_b32 s81, 0x3ff00000
	;; [unrolled: 1-line block ×4, first 2 shown]
	v_mov_b32_e32 v10, s80
	v_mov_b32_e32 v29, 0
	v_mov_b32_e32 v11, s81
	v_mov_b32_e32 v12, s82
	v_mov_b32_e32 v13, s83
	ds_write_b128 v29, v[10:13] offset:9504
	ds_write_b128 v29, v[10:13] offset:10032
.LBB79_294:
	s_or_b64 exec, exec, s[8:9]
	v_mov_b32_e32 v12, 0
	v_mov_b32_e32 v10, 0
	;; [unrolled: 1-line block ×4, first 2 shown]
	s_waitcnt lgkmcnt(0)
	s_barrier
	s_and_saveexec_b64 s[10:11], s[2:3]
	s_cbranch_execz .LBB79_300
; %bb.295:
	v_mul_u32_u24_e32 v29, 0x210, v23
	ds_read_b128 v[10:13], v29 offset:8448
	ds_read_b128 v[30:33], v17 offset:8512
	v_cmp_gt_u32_e64 s[8:9], 12, v22
	s_waitcnt lgkmcnt(0)
	v_mul_f64 v[34:35], v[12:13], v[32:33]
	v_mul_f64 v[32:33], v[10:11], v[32:33]
	v_fma_f64 v[10:11], v[10:11], v[30:31], -v[34:35]
	v_fma_f64 v[12:13], v[12:13], v[30:31], v[32:33]
	v_add_f64 v[10:11], v[10:11], 0
	v_add_f64 v[12:13], v[12:13], 0
	s_and_saveexec_b64 s[14:15], s[8:9]
	s_cbranch_execnz .LBB79_503
; %bb.296:
	s_or_b64 exec, exec, s[14:15]
	v_cmp_gt_u32_e64 s[8:9], 8, v22
	s_and_saveexec_b64 s[14:15], s[8:9]
	s_cbranch_execnz .LBB79_504
.LBB79_297:
	s_or_b64 exec, exec, s[14:15]
	v_cmp_gt_u32_e64 s[8:9], 4, v22
	s_and_saveexec_b64 s[14:15], s[8:9]
	s_cbranch_execz .LBB79_299
.LBB79_298:
	v_lshlrev_b32_e32 v33, 4, v0
	v_mov_b32_e32 v29, 0
	ds_read_b128 v[29:32], v29 offset:8496
	ds_read_b128 v[33:36], v33 offset:10048
	s_waitcnt lgkmcnt(0)
	v_mul_f64 v[37:38], v[31:32], v[35:36]
	v_mul_f64 v[35:36], v[29:30], v[35:36]
	v_fma_f64 v[29:30], v[29:30], v[33:34], -v[37:38]
	v_fma_f64 v[31:32], v[31:32], v[33:34], v[35:36]
	v_add_f64 v[10:11], v[10:11], v[29:30]
	v_add_f64 v[12:13], v[12:13], v[31:32]
.LBB79_299:
	s_or_b64 exec, exec, s[14:15]
	v_xor_b32_e32 v11, 0x80000000, v11
	v_xor_b32_e32 v13, 0x80000000, v13
.LBB79_300:
	s_or_b64 exec, exec, s[10:11]
	s_and_saveexec_b64 s[8:9], s[42:43]
; %bb.301:
	ds_write_b128 v19, v[10:13]
; %bb.302:
	s_or_b64 exec, exec, s[8:9]
	s_waitcnt lgkmcnt(0)
	s_barrier
	s_and_saveexec_b64 s[8:9], s[44:45]
	s_cbranch_execz .LBB79_304
; %bb.303:
	ds_read_b128 v[29:32], v19
	ds_read_b128 v[33:36], v18 offset:10560
	s_waitcnt lgkmcnt(0)
	v_mul_f64 v[37:38], v[31:32], v[35:36]
	v_mul_f64 v[35:36], v[29:30], v[35:36]
	v_fma_f64 v[29:30], v[29:30], v[33:34], -v[37:38]
	v_fma_f64 v[31:32], v[31:32], v[33:34], v[35:36]
	v_add_f64 v[10:11], v[10:11], v[29:30]
	v_add_f64 v[12:13], v[12:13], v[31:32]
.LBB79_304:
	s_or_b64 exec, exec, s[8:9]
	s_barrier
	s_and_saveexec_b64 s[8:9], s[46:47]
; %bb.305:
	ds_write_b128 v19, v[10:13]
; %bb.306:
	s_or_b64 exec, exec, s[8:9]
	s_waitcnt lgkmcnt(0)
	s_barrier
	s_and_saveexec_b64 s[8:9], s[48:49]
	s_cbranch_execz .LBB79_308
; %bb.307:
	ds_read_b128 v[29:32], v19
	ds_read_b128 v[33:36], v18 offset:11072
	s_waitcnt lgkmcnt(0)
	v_mul_f64 v[37:38], v[31:32], v[35:36]
	v_mul_f64 v[35:36], v[29:30], v[35:36]
	v_fma_f64 v[29:30], v[29:30], v[33:34], -v[37:38]
	v_fma_f64 v[31:32], v[31:32], v[33:34], v[35:36]
	v_add_f64 v[10:11], v[10:11], v[29:30]
	v_add_f64 v[12:13], v[12:13], v[31:32]
.LBB79_308:
	s_or_b64 exec, exec, s[8:9]
	s_barrier
	s_and_saveexec_b64 s[8:9], s[50:51]
; %bb.309:
	ds_write_b128 v19, v[10:13]
; %bb.310:
	s_or_b64 exec, exec, s[8:9]
	s_waitcnt lgkmcnt(0)
	s_barrier
	s_and_saveexec_b64 s[8:9], s[40:41]
	s_cbranch_execz .LBB79_312
; %bb.311:
	v_mov_b32_e32 v33, 0
	ds_read_b128 v[29:32], v19
	ds_read_b128 v[33:36], v33 offset:11632
	s_waitcnt lgkmcnt(0)
	v_mul_f64 v[37:38], v[31:32], v[35:36]
	v_mul_f64 v[35:36], v[29:30], v[35:36]
	v_fma_f64 v[29:30], v[29:30], v[33:34], -v[37:38]
	v_fma_f64 v[31:32], v[31:32], v[33:34], v[35:36]
	v_add_f64 v[10:11], v[10:11], v[29:30]
	v_add_f64 v[12:13], v[12:13], v[31:32]
.LBB79_312:
	s_or_b64 exec, exec, s[8:9]
	s_barrier
	s_and_saveexec_b64 s[8:9], s[40:41]
; %bb.313:
	ds_write_b128 v19, v[10:13]
; %bb.314:
	s_or_b64 exec, exec, s[8:9]
	s_waitcnt lgkmcnt(0)
	s_barrier
	s_barrier
	s_and_saveexec_b64 s[8:9], s[2:3]
; %bb.315:
	v_xor_b32_e32 v13, 0x80000000, v13
	v_xor_b32_e32 v11, 0x80000000, v11
	ds_write_b128 v17, v[10:13] offset:8512
; %bb.316:
	s_or_b64 exec, exec, s[8:9]
	s_waitcnt lgkmcnt(0)
	s_barrier
	s_barrier
	s_and_saveexec_b64 s[8:9], vcc
	s_cbranch_execz .LBB79_318
; %bb.317:
	s_mov_b32 s80, 0
	s_mov_b32 s81, 0x3ff00000
	;; [unrolled: 1-line block ×4, first 2 shown]
	v_mov_b32_e32 v10, s80
	v_mov_b32_e32 v29, 0
	;; [unrolled: 1-line block ×5, first 2 shown]
	ds_write_b128 v29, v[10:13] offset:10560
	ds_write_b128 v29, v[10:13] offset:11088
.LBB79_318:
	s_or_b64 exec, exec, s[8:9]
	v_mov_b32_e32 v12, 0
	v_mov_b32_e32 v10, 0
	;; [unrolled: 1-line block ×4, first 2 shown]
	s_waitcnt lgkmcnt(0)
	s_barrier
	s_and_saveexec_b64 s[10:11], s[0:1]
	s_cbranch_execz .LBB79_322
; %bb.319:
	v_mul_u32_u24_e32 v10, 0x210, v16
	ds_read_b128 v[10:13], v10 offset:10560
	ds_read_b128 v[29:32], v14 offset:10592
	v_cmp_gt_u32_e64 s[8:9], 2, v22
	s_waitcnt lgkmcnt(0)
	v_mul_f64 v[33:34], v[12:13], v[31:32]
	v_mul_f64 v[31:32], v[10:11], v[31:32]
	v_fma_f64 v[10:11], v[10:11], v[29:30], -v[33:34]
	v_fma_f64 v[12:13], v[12:13], v[29:30], v[31:32]
	v_add_f64 v[10:11], v[10:11], 0
	v_add_f64 v[12:13], v[12:13], 0
	s_and_saveexec_b64 s[14:15], s[8:9]
	s_cbranch_execz .LBB79_321
; %bb.320:
	v_lshlrev_b32_e32 v33, 4, v0
	v_mov_b32_e32 v29, 0
	ds_read_b128 v[29:32], v29 offset:10576
	ds_read_b128 v[33:36], v33 offset:11104
	s_waitcnt lgkmcnt(0)
	v_mul_f64 v[37:38], v[31:32], v[35:36]
	v_mul_f64 v[35:36], v[29:30], v[35:36]
	v_fma_f64 v[29:30], v[29:30], v[33:34], -v[37:38]
	v_fma_f64 v[31:32], v[31:32], v[33:34], v[35:36]
	v_add_f64 v[10:11], v[10:11], v[29:30]
	v_add_f64 v[12:13], v[12:13], v[31:32]
.LBB79_321:
	s_or_b64 exec, exec, s[14:15]
	v_xor_b32_e32 v11, 0x80000000, v11
	v_xor_b32_e32 v13, 0x80000000, v13
.LBB79_322:
	s_or_b64 exec, exec, s[10:11]
	s_and_saveexec_b64 s[8:9], s[38:39]
; %bb.323:
	ds_write_b128 v15, v[10:13]
; %bb.324:
	s_or_b64 exec, exec, s[8:9]
	s_waitcnt lgkmcnt(0)
	s_barrier
	s_and_saveexec_b64 s[8:9], s[36:37]
	s_cbranch_execz .LBB79_326
; %bb.325:
	v_mov_b32_e32 v33, 0
	ds_read_b128 v[29:32], v15
	ds_read_b128 v[33:36], v33 offset:11632
	s_waitcnt lgkmcnt(0)
	v_mul_f64 v[37:38], v[31:32], v[35:36]
	v_mul_f64 v[35:36], v[29:30], v[35:36]
	v_fma_f64 v[29:30], v[29:30], v[33:34], -v[37:38]
	v_fma_f64 v[31:32], v[31:32], v[33:34], v[35:36]
	v_add_f64 v[10:11], v[10:11], v[29:30]
	v_add_f64 v[12:13], v[12:13], v[31:32]
.LBB79_326:
	s_or_b64 exec, exec, s[8:9]
	s_barrier
	s_and_saveexec_b64 s[8:9], s[36:37]
; %bb.327:
	ds_write_b128 v15, v[10:13]
; %bb.328:
	s_or_b64 exec, exec, s[8:9]
	s_waitcnt lgkmcnt(0)
	s_barrier
	s_barrier
	s_and_saveexec_b64 s[8:9], s[0:1]
; %bb.329:
	v_xor_b32_e32 v11, 0x80000000, v11
	v_xor_b32_e32 v13, 0x80000000, v13
	ds_write_b128 v14, v[10:13] offset:10592
; %bb.330:
	s_or_b64 exec, exec, s[8:9]
	s_waitcnt lgkmcnt(0)
	s_barrier
	s_barrier
	s_and_saveexec_b64 s[8:9], vcc
	s_cbranch_execz .LBB79_332
; %bb.331:
	s_mov_b32 s80, 0
	s_mov_b32 s81, 0x3ff00000
	;; [unrolled: 1-line block ×4, first 2 shown]
	v_mov_b32_e32 v10, s80
	v_mov_b32_e32 v29, 0
	;; [unrolled: 1-line block ×5, first 2 shown]
	ds_write_b128 v29, v[10:13] offset:11616
	ds_write_b128 v29, v[10:13] offset:12144
.LBB79_332:
	s_or_b64 exec, exec, s[8:9]
	v_mov_b32_e32 v12, 0
	v_mov_b32_e32 v10, 0
	;; [unrolled: 1-line block ×4, first 2 shown]
	s_waitcnt lgkmcnt(0)
	s_barrier
	s_and_saveexec_b64 s[10:11], s[12:13]
	s_cbranch_execz .LBB79_342
; %bb.333:
	v_mul_u32_u24_e32 v29, 0x210, v28
	ds_read_b128 v[10:13], v29 offset:8448
	ds_read_b128 v[30:33], v24 offset:8576
	v_cmp_gt_u32_e64 s[8:9], 56, v22
	s_waitcnt lgkmcnt(0)
	v_mul_f64 v[34:35], v[12:13], v[32:33]
	v_mul_f64 v[32:33], v[10:11], v[32:33]
	v_fma_f64 v[10:11], v[10:11], v[30:31], -v[34:35]
	v_fma_f64 v[12:13], v[12:13], v[30:31], v[32:33]
	v_add_f64 v[10:11], v[10:11], 0
	v_add_f64 v[12:13], v[12:13], 0
	s_and_saveexec_b64 s[14:15], s[8:9]
	s_cbranch_execnz .LBB79_505
; %bb.334:
	s_or_b64 exec, exec, s[14:15]
	v_cmp_gt_u32_e64 s[8:9], 48, v22
	s_and_saveexec_b64 s[14:15], s[8:9]
	s_cbranch_execnz .LBB79_506
.LBB79_335:
	s_or_b64 exec, exec, s[14:15]
	v_cmp_gt_u32_e64 s[8:9], 40, v22
	s_and_saveexec_b64 s[14:15], s[8:9]
	s_cbranch_execnz .LBB79_507
.LBB79_336:
	s_or_b64 exec, exec, s[14:15]
	v_cmp_gt_u32_e64 s[8:9], 32, v22
	s_and_saveexec_b64 s[14:15], s[8:9]
	s_cbranch_execnz .LBB79_508
.LBB79_337:
	s_or_b64 exec, exec, s[14:15]
	v_cmp_gt_u32_e64 s[8:9], 24, v22
	s_and_saveexec_b64 s[14:15], s[8:9]
	s_cbranch_execnz .LBB79_509
.LBB79_338:
	s_or_b64 exec, exec, s[14:15]
	v_cmp_gt_u32_e64 s[8:9], 16, v22
	s_and_saveexec_b64 s[14:15], s[8:9]
	s_cbranch_execnz .LBB79_510
.LBB79_339:
	s_or_b64 exec, exec, s[14:15]
	v_cmp_gt_u32_e64 s[8:9], 8, v22
	s_and_saveexec_b64 s[14:15], s[8:9]
	s_cbranch_execz .LBB79_341
.LBB79_340:
	v_lshlrev_b32_e32 v31, 4, v0
	v_mov_b32_e32 v27, 0
	ds_read_b128 v[27:30], v27 offset:8560
	ds_read_b128 v[31:34], v31 offset:12160
	s_waitcnt lgkmcnt(0)
	v_mul_f64 v[35:36], v[29:30], v[33:34]
	v_mul_f64 v[33:34], v[27:28], v[33:34]
	v_fma_f64 v[27:28], v[27:28], v[31:32], -v[35:36]
	v_fma_f64 v[29:30], v[29:30], v[31:32], v[33:34]
	v_add_f64 v[10:11], v[10:11], v[27:28]
	v_add_f64 v[12:13], v[12:13], v[29:30]
.LBB79_341:
	s_or_b64 exec, exec, s[14:15]
	v_xor_b32_e32 v11, 0x80000000, v11
	v_xor_b32_e32 v13, 0x80000000, v13
.LBB79_342:
	s_or_b64 exec, exec, s[10:11]
	s_and_saveexec_b64 s[8:9], s[54:55]
; %bb.343:
	ds_write_b128 v26, v[10:13]
; %bb.344:
	s_or_b64 exec, exec, s[8:9]
	s_waitcnt lgkmcnt(0)
	s_barrier
	s_and_saveexec_b64 s[8:9], s[56:57]
	s_cbranch_execz .LBB79_346
; %bb.345:
	ds_read_b128 v[27:30], v26
	ds_read_b128 v[31:34], v25 offset:12672
	s_waitcnt lgkmcnt(0)
	v_mul_f64 v[35:36], v[29:30], v[33:34]
	v_mul_f64 v[33:34], v[27:28], v[33:34]
	v_fma_f64 v[27:28], v[27:28], v[31:32], -v[35:36]
	v_fma_f64 v[29:30], v[29:30], v[31:32], v[33:34]
	v_add_f64 v[10:11], v[10:11], v[27:28]
	v_add_f64 v[12:13], v[12:13], v[29:30]
.LBB79_346:
	s_or_b64 exec, exec, s[8:9]
	s_barrier
	s_and_saveexec_b64 s[8:9], s[58:59]
; %bb.347:
	ds_write_b128 v26, v[10:13]
; %bb.348:
	s_or_b64 exec, exec, s[8:9]
	s_waitcnt lgkmcnt(0)
	s_barrier
	s_and_saveexec_b64 s[8:9], s[60:61]
	s_cbranch_execz .LBB79_350
; %bb.349:
	ds_read_b128 v[27:30], v26
	ds_read_b128 v[31:34], v25 offset:13184
	s_waitcnt lgkmcnt(0)
	v_mul_f64 v[35:36], v[29:30], v[33:34]
	v_mul_f64 v[33:34], v[27:28], v[33:34]
	v_fma_f64 v[27:28], v[27:28], v[31:32], -v[35:36]
	v_fma_f64 v[29:30], v[29:30], v[31:32], v[33:34]
	v_add_f64 v[10:11], v[10:11], v[27:28]
	v_add_f64 v[12:13], v[12:13], v[29:30]
.LBB79_350:
	s_or_b64 exec, exec, s[8:9]
	s_barrier
	;; [unrolled: 22-line block ×6, first 2 shown]
	s_and_saveexec_b64 s[8:9], s[78:79]
; %bb.367:
	ds_write_b128 v26, v[10:13]
; %bb.368:
	s_or_b64 exec, exec, s[8:9]
	s_waitcnt lgkmcnt(0)
	s_barrier
	s_and_saveexec_b64 s[8:9], s[52:53]
	s_cbranch_execz .LBB79_370
; %bb.369:
	v_mov_b32_e32 v25, 0
	ds_read_b128 v[27:30], v26
	ds_read_b128 v[31:34], v25 offset:15856
	s_waitcnt lgkmcnt(0)
	v_mul_f64 v[35:36], v[29:30], v[33:34]
	v_mul_f64 v[33:34], v[27:28], v[33:34]
	v_fma_f64 v[27:28], v[27:28], v[31:32], -v[35:36]
	v_fma_f64 v[29:30], v[29:30], v[31:32], v[33:34]
	v_add_f64 v[10:11], v[10:11], v[27:28]
	v_add_f64 v[12:13], v[12:13], v[29:30]
.LBB79_370:
	s_or_b64 exec, exec, s[8:9]
	s_barrier
	s_and_saveexec_b64 s[8:9], s[52:53]
; %bb.371:
	ds_write_b128 v26, v[10:13]
; %bb.372:
	s_or_b64 exec, exec, s[8:9]
	s_waitcnt lgkmcnt(0)
	s_barrier
	s_barrier
	s_and_saveexec_b64 s[8:9], s[12:13]
; %bb.373:
	v_xor_b32_e32 v11, 0x80000000, v11
	v_xor_b32_e32 v13, 0x80000000, v13
	ds_write_b128 v24, v[10:13] offset:8576
; %bb.374:
	s_or_b64 exec, exec, s[8:9]
	s_waitcnt lgkmcnt(0)
	s_barrier
	s_barrier
	s_and_saveexec_b64 s[8:9], vcc
	s_cbranch_execz .LBB79_376
; %bb.375:
	s_mov_b32 s12, 0
	s_mov_b32 s13, 0x3ff00000
	s_mov_b32 s14, s12
	s_mov_b32 s15, s12
	v_mov_b32_e32 v10, s12
	v_mov_b32_e32 v24, 0
	;; [unrolled: 1-line block ×5, first 2 shown]
	ds_write_b128 v24, v[10:13] offset:12672
	ds_write_b128 v24, v[10:13] offset:13200
.LBB79_376:
	s_or_b64 exec, exec, s[8:9]
	v_mov_b32_e32 v12, 0
	v_mov_b32_e32 v10, 0
	;; [unrolled: 1-line block ×4, first 2 shown]
	s_waitcnt lgkmcnt(0)
	s_barrier
	s_and_saveexec_b64 s[10:11], s[0:1]
	s_cbranch_execz .LBB79_380
; %bb.377:
	v_mul_u32_u24_e32 v10, 0x210, v16
	ds_read_b128 v[10:13], v10 offset:12672
	ds_read_b128 v[24:27], v14 offset:12704
	v_cmp_gt_u32_e64 s[8:9], 2, v22
	s_waitcnt lgkmcnt(0)
	v_mul_f64 v[28:29], v[12:13], v[26:27]
	v_mul_f64 v[26:27], v[10:11], v[26:27]
	v_fma_f64 v[10:11], v[10:11], v[24:25], -v[28:29]
	v_fma_f64 v[12:13], v[12:13], v[24:25], v[26:27]
	v_add_f64 v[10:11], v[10:11], 0
	v_add_f64 v[12:13], v[12:13], 0
	s_and_saveexec_b64 s[12:13], s[8:9]
	s_cbranch_execz .LBB79_379
; %bb.378:
	v_lshlrev_b32_e32 v28, 4, v0
	v_mov_b32_e32 v24, 0
	ds_read_b128 v[24:27], v24 offset:12688
	ds_read_b128 v[28:31], v28 offset:13216
	s_waitcnt lgkmcnt(0)
	v_mul_f64 v[32:33], v[26:27], v[30:31]
	v_mul_f64 v[30:31], v[24:25], v[30:31]
	v_fma_f64 v[24:25], v[24:25], v[28:29], -v[32:33]
	v_fma_f64 v[26:27], v[26:27], v[28:29], v[30:31]
	v_add_f64 v[10:11], v[10:11], v[24:25]
	v_add_f64 v[12:13], v[12:13], v[26:27]
.LBB79_379:
	s_or_b64 exec, exec, s[12:13]
	v_xor_b32_e32 v11, 0x80000000, v11
	v_xor_b32_e32 v13, 0x80000000, v13
.LBB79_380:
	s_or_b64 exec, exec, s[10:11]
	s_and_saveexec_b64 s[8:9], s[38:39]
; %bb.381:
	ds_write_b128 v15, v[10:13]
; %bb.382:
	s_or_b64 exec, exec, s[8:9]
	s_waitcnt lgkmcnt(0)
	s_barrier
	s_and_saveexec_b64 s[8:9], s[36:37]
	s_cbranch_execz .LBB79_384
; %bb.383:
	v_mov_b32_e32 v28, 0
	ds_read_b128 v[24:27], v15
	ds_read_b128 v[28:31], v28 offset:13744
	s_waitcnt lgkmcnt(0)
	v_mul_f64 v[32:33], v[26:27], v[30:31]
	v_mul_f64 v[30:31], v[24:25], v[30:31]
	v_fma_f64 v[24:25], v[24:25], v[28:29], -v[32:33]
	v_fma_f64 v[26:27], v[26:27], v[28:29], v[30:31]
	v_add_f64 v[10:11], v[10:11], v[24:25]
	v_add_f64 v[12:13], v[12:13], v[26:27]
.LBB79_384:
	s_or_b64 exec, exec, s[8:9]
	s_barrier
	s_and_saveexec_b64 s[8:9], s[36:37]
; %bb.385:
	ds_write_b128 v15, v[10:13]
; %bb.386:
	s_or_b64 exec, exec, s[8:9]
	s_waitcnt lgkmcnt(0)
	s_barrier
	s_barrier
	s_and_saveexec_b64 s[8:9], s[0:1]
; %bb.387:
	v_xor_b32_e32 v11, 0x80000000, v11
	v_xor_b32_e32 v13, 0x80000000, v13
	ds_write_b128 v14, v[10:13] offset:12704
; %bb.388:
	s_or_b64 exec, exec, s[8:9]
	s_waitcnt lgkmcnt(0)
	s_barrier
	s_barrier
	s_and_saveexec_b64 s[8:9], vcc
	s_cbranch_execz .LBB79_390
; %bb.389:
	s_mov_b32 s12, 0
	s_mov_b32 s13, 0x3ff00000
	;; [unrolled: 1-line block ×4, first 2 shown]
	v_mov_b32_e32 v10, s12
	v_mov_b32_e32 v24, 0
	;; [unrolled: 1-line block ×5, first 2 shown]
	ds_write_b128 v24, v[10:13] offset:13728
	ds_write_b128 v24, v[10:13] offset:14256
.LBB79_390:
	s_or_b64 exec, exec, s[8:9]
	v_mov_b32_e32 v12, 0
	v_mov_b32_e32 v10, 0
	;; [unrolled: 1-line block ×4, first 2 shown]
	s_waitcnt lgkmcnt(0)
	s_barrier
	s_and_saveexec_b64 s[10:11], s[2:3]
	s_cbranch_execz .LBB79_396
; %bb.391:
	v_mul_u32_u24_e32 v24, 0x210, v23
	ds_read_b128 v[10:13], v24 offset:12672
	ds_read_b128 v[25:28], v17 offset:12736
	v_cmp_gt_u32_e64 s[8:9], 12, v22
	s_waitcnt lgkmcnt(0)
	v_mul_f64 v[29:30], v[12:13], v[27:28]
	v_mul_f64 v[27:28], v[10:11], v[27:28]
	v_fma_f64 v[10:11], v[10:11], v[25:26], -v[29:30]
	v_fma_f64 v[12:13], v[12:13], v[25:26], v[27:28]
	v_add_f64 v[10:11], v[10:11], 0
	v_add_f64 v[12:13], v[12:13], 0
	s_and_saveexec_b64 s[12:13], s[8:9]
	s_cbranch_execnz .LBB79_511
; %bb.392:
	s_or_b64 exec, exec, s[12:13]
	v_cmp_gt_u32_e64 s[8:9], 8, v22
	s_and_saveexec_b64 s[12:13], s[8:9]
	s_cbranch_execnz .LBB79_512
.LBB79_393:
	s_or_b64 exec, exec, s[12:13]
	v_cmp_gt_u32_e64 s[8:9], 4, v22
	s_and_saveexec_b64 s[12:13], s[8:9]
	s_cbranch_execz .LBB79_395
.LBB79_394:
	v_mov_b32_e32 v23, 0
	v_lshlrev_b32_e32 v20, 4, v0
	ds_read_b128 v[23:26], v23 offset:12720
	ds_read_b128 v[27:30], v20 offset:14272
	s_waitcnt lgkmcnt(0)
	v_mul_f64 v[31:32], v[25:26], v[29:30]
	v_mul_f64 v[29:30], v[23:24], v[29:30]
	v_fma_f64 v[23:24], v[23:24], v[27:28], -v[31:32]
	v_fma_f64 v[25:26], v[25:26], v[27:28], v[29:30]
	v_add_f64 v[10:11], v[10:11], v[23:24]
	v_add_f64 v[12:13], v[12:13], v[25:26]
.LBB79_395:
	s_or_b64 exec, exec, s[12:13]
	v_xor_b32_e32 v11, 0x80000000, v11
	v_xor_b32_e32 v13, 0x80000000, v13
.LBB79_396:
	s_or_b64 exec, exec, s[10:11]
	s_and_saveexec_b64 s[8:9], s[42:43]
; %bb.397:
	ds_write_b128 v19, v[10:13]
; %bb.398:
	s_or_b64 exec, exec, s[8:9]
	s_waitcnt lgkmcnt(0)
	s_barrier
	s_and_saveexec_b64 s[8:9], s[44:45]
	s_cbranch_execz .LBB79_400
; %bb.399:
	ds_read_b128 v[23:26], v19
	ds_read_b128 v[27:30], v18 offset:14784
	s_waitcnt lgkmcnt(0)
	v_mul_f64 v[31:32], v[25:26], v[29:30]
	v_mul_f64 v[29:30], v[23:24], v[29:30]
	v_fma_f64 v[23:24], v[23:24], v[27:28], -v[31:32]
	v_fma_f64 v[25:26], v[25:26], v[27:28], v[29:30]
	v_add_f64 v[10:11], v[10:11], v[23:24]
	v_add_f64 v[12:13], v[12:13], v[25:26]
.LBB79_400:
	s_or_b64 exec, exec, s[8:9]
	s_barrier
	s_and_saveexec_b64 s[8:9], s[46:47]
; %bb.401:
	ds_write_b128 v19, v[10:13]
; %bb.402:
	s_or_b64 exec, exec, s[8:9]
	s_waitcnt lgkmcnt(0)
	s_barrier
	s_and_saveexec_b64 s[8:9], s[48:49]
	s_cbranch_execz .LBB79_404
; %bb.403:
	ds_read_b128 v[23:26], v19
	ds_read_b128 v[27:30], v18 offset:15296
	s_waitcnt lgkmcnt(0)
	v_mul_f64 v[31:32], v[25:26], v[29:30]
	v_mul_f64 v[29:30], v[23:24], v[29:30]
	v_fma_f64 v[23:24], v[23:24], v[27:28], -v[31:32]
	v_fma_f64 v[25:26], v[25:26], v[27:28], v[29:30]
	v_add_f64 v[10:11], v[10:11], v[23:24]
	v_add_f64 v[12:13], v[12:13], v[25:26]
.LBB79_404:
	s_or_b64 exec, exec, s[8:9]
	s_barrier
	s_and_saveexec_b64 s[8:9], s[50:51]
; %bb.405:
	ds_write_b128 v19, v[10:13]
; %bb.406:
	s_or_b64 exec, exec, s[8:9]
	s_waitcnt lgkmcnt(0)
	s_barrier
	s_and_saveexec_b64 s[8:9], s[40:41]
	s_cbranch_execz .LBB79_408
; %bb.407:
	v_mov_b32_e32 v18, 0
	ds_read_b128 v[23:26], v19
	ds_read_b128 v[27:30], v18 offset:15856
	s_waitcnt lgkmcnt(0)
	v_mul_f64 v[31:32], v[25:26], v[29:30]
	v_mul_f64 v[29:30], v[23:24], v[29:30]
	v_fma_f64 v[23:24], v[23:24], v[27:28], -v[31:32]
	v_fma_f64 v[25:26], v[25:26], v[27:28], v[29:30]
	v_add_f64 v[10:11], v[10:11], v[23:24]
	v_add_f64 v[12:13], v[12:13], v[25:26]
.LBB79_408:
	s_or_b64 exec, exec, s[8:9]
	s_barrier
	s_and_saveexec_b64 s[8:9], s[40:41]
; %bb.409:
	ds_write_b128 v19, v[10:13]
; %bb.410:
	s_or_b64 exec, exec, s[8:9]
	s_waitcnt lgkmcnt(0)
	s_barrier
	s_barrier
	s_and_saveexec_b64 s[8:9], s[2:3]
; %bb.411:
	v_xor_b32_e32 v13, 0x80000000, v13
	v_xor_b32_e32 v11, 0x80000000, v11
	ds_write_b128 v17, v[10:13] offset:12736
; %bb.412:
	s_or_b64 exec, exec, s[8:9]
	s_waitcnt lgkmcnt(0)
	s_barrier
	s_barrier
	s_and_saveexec_b64 s[2:3], vcc
	s_cbranch_execz .LBB79_414
; %bb.413:
	s_mov_b32 s8, 0
	s_mov_b32 s11, s8
	;; [unrolled: 1-line block ×4, first 2 shown]
	v_mov_b32_e32 v13, s11
	v_mov_b32_e32 v17, 0
	;; [unrolled: 1-line block ×5, first 2 shown]
	ds_write_b128 v17, v[10:13] offset:14784
	ds_write_b128 v17, v[10:13] offset:15312
.LBB79_414:
	s_or_b64 exec, exec, s[2:3]
	v_mov_b32_e32 v12, 0
	v_mov_b32_e32 v10, 0
	;; [unrolled: 1-line block ×4, first 2 shown]
	s_waitcnt lgkmcnt(0)
	s_barrier
	s_and_saveexec_b64 s[8:9], s[0:1]
	s_cbranch_execz .LBB79_418
; %bb.415:
	v_mul_u32_u24_e32 v10, 0x210, v16
	ds_read_b128 v[10:13], v10 offset:14784
	ds_read_b128 v[16:19], v14 offset:14816
	v_cmp_gt_u32_e64 s[2:3], 2, v22
	s_waitcnt lgkmcnt(0)
	v_mul_f64 v[23:24], v[12:13], v[18:19]
	v_mul_f64 v[18:19], v[10:11], v[18:19]
	v_fma_f64 v[10:11], v[10:11], v[16:17], -v[23:24]
	v_fma_f64 v[12:13], v[12:13], v[16:17], v[18:19]
	v_add_f64 v[10:11], v[10:11], 0
	v_add_f64 v[12:13], v[12:13], 0
	s_and_saveexec_b64 s[10:11], s[2:3]
	s_cbranch_execz .LBB79_417
; %bb.416:
	v_mov_b32_e32 v16, 0
	v_lshlrev_b32_e32 v20, 4, v0
	ds_read_b128 v[16:19], v16 offset:14800
	ds_read_b128 v[23:26], v20 offset:15328
	s_waitcnt lgkmcnt(0)
	v_mul_f64 v[27:28], v[18:19], v[25:26]
	v_mul_f64 v[25:26], v[16:17], v[25:26]
	v_fma_f64 v[16:17], v[16:17], v[23:24], -v[27:28]
	v_fma_f64 v[18:19], v[18:19], v[23:24], v[25:26]
	v_add_f64 v[10:11], v[10:11], v[16:17]
	v_add_f64 v[12:13], v[12:13], v[18:19]
.LBB79_417:
	s_or_b64 exec, exec, s[10:11]
	v_xor_b32_e32 v11, 0x80000000, v11
	v_xor_b32_e32 v13, 0x80000000, v13
.LBB79_418:
	s_or_b64 exec, exec, s[8:9]
	s_and_saveexec_b64 s[2:3], s[38:39]
; %bb.419:
	ds_write_b128 v15, v[10:13]
; %bb.420:
	s_or_b64 exec, exec, s[2:3]
	s_waitcnt lgkmcnt(0)
	s_barrier
	s_and_saveexec_b64 s[2:3], s[36:37]
	s_cbranch_execz .LBB79_422
; %bb.421:
	v_mov_b32_e32 v20, 0
	ds_read_b128 v[16:19], v15
	ds_read_b128 v[23:26], v20 offset:15856
	s_waitcnt lgkmcnt(0)
	v_mul_f64 v[27:28], v[18:19], v[25:26]
	v_mul_f64 v[25:26], v[16:17], v[25:26]
	v_fma_f64 v[16:17], v[16:17], v[23:24], -v[27:28]
	v_fma_f64 v[18:19], v[18:19], v[23:24], v[25:26]
	v_add_f64 v[10:11], v[10:11], v[16:17]
	v_add_f64 v[12:13], v[12:13], v[18:19]
.LBB79_422:
	s_or_b64 exec, exec, s[2:3]
	s_barrier
	s_and_saveexec_b64 s[2:3], s[36:37]
; %bb.423:
	ds_write_b128 v15, v[10:13]
; %bb.424:
	s_or_b64 exec, exec, s[2:3]
	s_waitcnt lgkmcnt(0)
	s_barrier
	s_barrier
	s_and_saveexec_b64 s[2:3], s[0:1]
; %bb.425:
	v_xor_b32_e32 v11, 0x80000000, v11
	v_xor_b32_e32 v13, 0x80000000, v13
	ds_write_b128 v14, v[10:13] offset:14816
; %bb.426:
	s_or_b64 exec, exec, s[2:3]
	s_waitcnt lgkmcnt(0)
	s_barrier
	s_barrier
	s_and_saveexec_b64 s[0:1], vcc
	s_cbranch_execz .LBB79_428
; %bb.427:
	s_mov_b32 s8, 0
	s_mov_b32 s11, s8
	;; [unrolled: 1-line block ×4, first 2 shown]
	v_mov_b32_e32 v13, s11
	v_mov_b32_e32 v14, 0
	v_mov_b32_e32 v12, s10
	v_mov_b32_e32 v11, s9
	v_mov_b32_e32 v10, s8
	ds_write_b128 v14, v[10:13] offset:15840
	ds_write_b128 v14, v[10:13] offset:16368
.LBB79_428:
	s_or_b64 exec, exec, s[0:1]
.LBB79_429:
	s_load_dwordx4 s[12:15], s[4:5], 0x48
	v_cmp_le_i32_e32 vcc, s7, v0
	v_mov_b32_e32 v10, 0
	v_mov_b32_e32 v11, 0
	;; [unrolled: 1-line block ×3, first 2 shown]
	s_waitcnt lgkmcnt(0)
	s_mul_i32 s1, s13, s34
	s_mul_hi_u32 s2, s12, s34
	s_mul_i32 s0, s12, s34
	s_add_i32 s1, s2, s1
	s_lshl_b64 s[0:1], s[0:1], 4
	s_add_u32 s2, s22, s0
	s_addc_u32 s3, s23, s1
	s_lshl_b64 s[0:1], s[24:25], 4
	s_add_u32 s36, s2, s0
	s_addc_u32 s37, s3, s1
	s_and_b64 s[12:13], vcc, s[18:19]
	v_cmp_eq_u32_e64 s[0:1], 0, v1
	s_xor_b64 s[2:3], s[12:13], -1
	s_and_b64 s[4:5], s[0:1], s[2:3]
	v_lshl_add_u32 v15, s6, 5, v0
	v_mov_b32_e32 v12, v10
	s_barrier
	s_and_saveexec_b64 s[2:3], s[4:5]
	s_cbranch_execz .LBB79_431
; %bb.430:
	v_ashrrev_i32_e32 v12, 31, v15
	v_mul_lo_u32 v13, s27, v15
	v_mad_u64_u32 v[10:11], s[4:5], s26, v15, 0
	v_mul_lo_u32 v12, s26, v12
	v_add3_u32 v11, v11, v12, v13
	v_lshlrev_b64 v[10:11], 4, v[10:11]
	v_mov_b32_e32 v12, s37
	v_add_co_u32_e32 v10, vcc, s36, v10
	v_addc_co_u32_e32 v11, vcc, v12, v11, vcc
	global_load_dwordx4 v[16:19], v[10:11], off
	s_waitcnt vmcnt(0)
	v_mul_f64 v[10:11], s[28:29], v[16:17]
	v_mul_f64 v[12:13], s[28:29], v[18:19]
	v_fma_f64 v[10:11], s[30:31], v[18:19], -v[10:11]
	v_fma_f64 v[12:13], v[16:17], -s[30:31], -v[12:13]
.LBB79_431:
	s_or_b64 exec, exec, s[2:3]
	s_and_b32 s2, 0xffff, s86
	v_mad_u32_u24 v23, v1, s2, v0
	v_mov_b32_e32 v14, 0
	s_cmp_lt_i32 s6, 1
	v_cmp_eq_u32_e64 s[2:3], 0, v23
	s_cbranch_scc1 .LBB79_454
; %bb.432:
	v_mov_b32_e32 v16, v14
	v_cmp_gt_i32_e64 s[10:11], s33, v15
	v_lshlrev_b64 v[15:16], 4, v[15:16]
	s_lshl_b64 s[4:5], s[34:35], 2
	v_mov_b32_e32 v17, 0x6000
	s_add_u32 s22, s14, s4
	v_lshl_add_u32 v24, v23, 4, v17
	v_lshl_or_b32 v25, v1, 4, v17
	v_mov_b32_e32 v17, s85
	v_add_co_u32_e32 v26, vcc, s84, v15
	s_mov_b32 s30, 0
	s_addc_u32 s23, s15, s5
	v_cmp_gt_u32_e64 s[4:5], 32, v23
	s_add_i32 s31, s6, -1
	v_addc_co_u32_e32 v27, vcc, v17, v16, vcc
	s_lshl_b64 s[24:25], s[16:17], 8
	v_mov_b32_e32 v28, -1
	s_branch .LBB79_435
.LBB79_433:                             ;   in Loop: Header=BB79_435 Depth=1
	ds_read_b128 v[29:32], v25 offset:256
	s_waitcnt vmcnt(0) lgkmcnt(0)
	v_mul_f64 v[17:18], v[19:20], v[31:32]
	v_mul_f64 v[31:32], v[15:16], v[31:32]
	v_fma_f64 v[15:16], v[15:16], v[29:30], -v[17:18]
	v_fma_f64 v[17:18], v[19:20], v[29:30], v[31:32]
	v_add_f64 v[10:11], v[10:11], v[15:16]
	v_add_f64 v[12:13], v[12:13], v[17:18]
.LBB79_434:                             ;   in Loop: Header=BB79_435 Depth=1
	s_or_b64 exec, exec, s[28:29]
	s_add_i32 s30, s30, 1
	s_cmp_eq_u32 s30, s6
	s_cbranch_scc1 .LBB79_454
.LBB79_435:                             ; =>This Loop Header: Depth=1
                                        ;     Child Loop BB79_437 Depth 2
	v_cmp_gt_i32_e32 vcc, s30, v28
	s_and_b64 s[28:29], s[2:3], vcc
	s_and_saveexec_b64 s[8:9], s[28:29]
	s_cbranch_execz .LBB79_438
; %bb.436:                              ;   in Loop: Header=BB79_435 Depth=1
	global_load_dword v28, v14, s[22:23]
	s_waitcnt vmcnt(0)
	v_cmp_le_i32_e32 vcc, s30, v28
	s_cbranch_vccnz .LBB79_438
.LBB79_437:                             ;   Parent Loop BB79_435 Depth=1
                                        ; =>  This Inner Loop Header: Depth=2
	buffer_wbinvl1_vol
	global_load_dword v28, v14, s[22:23]
	s_waitcnt vmcnt(0)
	v_cmp_gt_i32_e32 vcc, s30, v28
	s_cbranch_vccnz .LBB79_437
.LBB79_438:                             ;   in Loop: Header=BB79_435 Depth=1
	s_or_b64 exec, exec, s[8:9]
	s_lshl_b32 s38, s30, 5
	buffer_wbinvl1_vol
	s_barrier
	s_and_saveexec_b64 s[8:9], s[4:5]
	s_cbranch_execz .LBB79_443
; %bb.439:                              ;   in Loop: Header=BB79_435 Depth=1
	v_or_b32_e32 v15, s38, v23
	v_cmp_le_i32_e32 vcc, s33, v15
	s_and_saveexec_b64 s[28:29], vcc
	s_xor_b64 s[28:29], exec, s[28:29]
; %bb.440:                              ;   in Loop: Header=BB79_435 Depth=1
	v_mov_b32_e32 v15, v14
	v_mov_b32_e32 v16, v14
	;; [unrolled: 1-line block ×3, first 2 shown]
	ds_write_b128 v24, v[14:17]
                                        ; implicit-def: $vgpr15
; %bb.441:                              ;   in Loop: Header=BB79_435 Depth=1
	s_andn2_saveexec_b64 s[28:29], s[28:29]
	s_cbranch_execz .LBB79_443
; %bb.442:                              ;   in Loop: Header=BB79_435 Depth=1
	v_mad_u64_u32 v[16:17], s[28:29], s26, v15, 0
	v_mad_u64_u32 v[17:18], s[28:29], s27, v15, v[17:18]
	v_mov_b32_e32 v18, s37
	v_lshlrev_b64 v[15:16], 4, v[16:17]
	v_add_co_u32_e32 v15, vcc, s36, v15
	v_addc_co_u32_e32 v16, vcc, v18, v16, vcc
	global_load_dwordx4 v[15:18], v[15:16], off
	s_waitcnt vmcnt(0)
	ds_write2_b64 v24, v[15:16], v[17:18] offset1:1
.LBB79_443:                             ;   in Loop: Header=BB79_435 Depth=1
	s_or_b64 exec, exec, s[8:9]
	v_add_u32_e32 v29, s38, v1
	v_mad_u64_u32 v[15:16], s[8:9], s16, v29, 0
	s_cmp_lg_u32 s30, s31
	s_waitcnt lgkmcnt(0)
	v_mad_u64_u32 v[16:17], s[8:9], s17, v29, v[16:17]
	s_cselect_b64 s[8:9], -1, 0
	v_cndmask_b32_e64 v17, 0, 1, s[8:9]
	v_lshlrev_b64 v[15:16], 4, v[15:16]
	v_cmp_ne_u32_e64 s[8:9], 1, v17
	v_add_co_u32_e32 v15, vcc, v26, v15
	v_addc_co_u32_e32 v16, vcc, v27, v16, vcc
	v_cmp_gt_i32_e32 vcc, s33, v29
	s_and_b64 s[38:39], s[10:11], vcc
	s_barrier
	s_and_saveexec_b64 s[28:29], s[38:39]
	s_cbranch_execz .LBB79_449
; %bb.444:                              ;   in Loop: Header=BB79_435 Depth=1
	v_mov_b32_e32 v18, v3
	s_and_b64 vcc, exec, s[8:9]
	v_mov_b32_e32 v17, v2
	s_cbranch_vccnz .LBB79_446
; %bb.445:                              ;   in Loop: Header=BB79_435 Depth=1
	global_load_dwordx2 v[17:18], v[15:16], off
.LBB79_446:                             ;   in Loop: Header=BB79_435 Depth=1
	v_mov_b32_e32 v20, v5
	s_and_b64 vcc, exec, s[8:9]
	v_mov_b32_e32 v19, v4
	s_cbranch_vccnz .LBB79_448
; %bb.447:                              ;   in Loop: Header=BB79_435 Depth=1
	global_load_dwordx2 v[19:20], v[15:16], off offset:8
.LBB79_448:                             ;   in Loop: Header=BB79_435 Depth=1
	ds_read_b128 v[30:33], v25
	s_waitcnt vmcnt(0) lgkmcnt(0)
	v_mul_f64 v[34:35], v[19:20], v[32:33]
	v_mul_f64 v[32:33], v[17:18], v[32:33]
	v_fma_f64 v[17:18], v[17:18], v[30:31], -v[34:35]
	v_fma_f64 v[19:20], v[19:20], v[30:31], v[32:33]
	v_add_f64 v[10:11], v[10:11], v[17:18]
	v_add_f64 v[12:13], v[12:13], v[19:20]
.LBB79_449:                             ;   in Loop: Header=BB79_435 Depth=1
	s_or_b64 exec, exec, s[28:29]
	v_add_u32_e32 v17, 16, v29
	v_cmp_gt_i32_e32 vcc, s33, v17
	s_and_b64 s[38:39], s[10:11], vcc
	s_and_saveexec_b64 s[28:29], s[38:39]
	s_cbranch_execz .LBB79_434
; %bb.450:                              ;   in Loop: Header=BB79_435 Depth=1
	v_mov_b32_e32 v18, s25
	v_add_co_u32_e32 v17, vcc, s24, v15
	v_addc_co_u32_e32 v18, vcc, v16, v18, vcc
	v_mov_b32_e32 v16, v7
	s_and_b64 vcc, exec, s[8:9]
	v_mov_b32_e32 v15, v6
	s_cbranch_vccnz .LBB79_452
; %bb.451:                              ;   in Loop: Header=BB79_435 Depth=1
	global_load_dwordx2 v[15:16], v[17:18], off
.LBB79_452:                             ;   in Loop: Header=BB79_435 Depth=1
	v_mov_b32_e32 v20, v9
	s_and_b64 vcc, exec, s[8:9]
	v_mov_b32_e32 v19, v8
	s_cbranch_vccnz .LBB79_433
; %bb.453:                              ;   in Loop: Header=BB79_435 Depth=1
	global_load_dwordx2 v[19:20], v[17:18], off offset:8
	s_branch .LBB79_433
.LBB79_454:
	s_xor_b64 s[2:3], s[18:19], -1
	s_xor_b64 s[4:5], s[20:21], -1
	v_lshlrev_b32_e32 v6, 4, v22
	ds_write_b128 v6, v[10:13] offset:16384
	s_waitcnt lgkmcnt(0)
	s_barrier
	s_and_saveexec_b64 s[8:9], s[0:1]
	s_cbranch_execz .LBB79_456
; %bb.455:
	v_lshlrev_b32_e32 v18, 4, v0
	ds_read_b128 v[2:5], v18 offset:16896
	ds_read_b128 v[14:17], v18 offset:17408
	s_waitcnt lgkmcnt(1)
	v_add_f64 v[2:3], v[10:11], v[2:3]
	v_add_f64 v[4:5], v[12:13], v[4:5]
	s_waitcnt lgkmcnt(0)
	v_add_f64 v[11:12], v[2:3], v[14:15]
	v_add_f64 v[13:14], v[4:5], v[16:17]
	ds_read_b128 v[2:5], v18 offset:17920
	ds_read_b128 v[7:10], v18 offset:18432
	s_waitcnt lgkmcnt(1)
	v_add_f64 v[2:3], v[11:12], v[2:3]
	v_add_f64 v[4:5], v[13:14], v[4:5]
	s_waitcnt lgkmcnt(0)
	v_add_f64 v[11:12], v[2:3], v[7:8]
	v_add_f64 v[13:14], v[4:5], v[9:10]
	;; [unrolled: 8-line block ×7, first 2 shown]
	ds_read_b128 v[2:5], v18 offset:24064
	s_waitcnt lgkmcnt(0)
	v_add_f64 v[2:3], v[7:8], v[2:3]
	v_add_f64 v[4:5], v[9:10], v[4:5]
	v_xor_b32_e32 v3, 0x80000000, v3
	v_xor_b32_e32 v5, 0x80000000, v5
	v_cndmask_b32_e64 v10, v2, 0, s[12:13]
	v_cndmask_b32_e64 v11, v3, 0, s[12:13]
	;; [unrolled: 1-line block ×4, first 2 shown]
.LBB79_456:
	s_or_b64 exec, exec, s[8:9]
	s_andn2_b64 vcc, exec, s[4:5]
	s_cbranch_vccnz .LBB79_465
; %bb.457:
	v_mov_b32_e32 v2, 0x6000
	v_lshl_or_b32 v7, v1, 4, v2
	s_and_saveexec_b64 s[4:5], s[0:1]
; %bb.458:
	v_lshl_add_u32 v2, v0, 4, v7
	ds_write_b128 v2, v[10:13]
; %bb.459:
	s_or_b64 exec, exec, s[4:5]
	v_mov_b32_e32 v2, 0
	v_mov_b32_e32 v4, 0
	;; [unrolled: 1-line block ×4, first 2 shown]
	v_cmp_ge_u32_e32 vcc, v0, v1
	s_waitcnt lgkmcnt(0)
	s_barrier
	s_and_saveexec_b64 s[4:5], vcc
	s_cbranch_execz .LBB79_461
; %bb.460:
	ds_read_b128 v[2:5], v7
	ds_read_b128 v[14:17], v6
	s_waitcnt lgkmcnt(0)
	v_mul_f64 v[8:9], v[4:5], v[16:17]
	v_mul_f64 v[16:17], v[2:3], v[16:17]
	v_fma_f64 v[2:3], v[2:3], v[14:15], -v[8:9]
	v_fma_f64 v[4:5], v[4:5], v[14:15], v[16:17]
	v_add_f64 v[2:3], v[2:3], 0
	v_add_f64 v[4:5], v[4:5], 0
.LBB79_461:
	s_or_b64 exec, exec, s[4:5]
	v_add_u32_e32 v1, 16, v1
	v_add_u32_e32 v8, 0x4000, v6
	v_cmp_ge_u32_e32 vcc, v0, v1
	s_and_saveexec_b64 s[4:5], vcc
	s_cbranch_execz .LBB79_463
; %bb.462:
	ds_read_b128 v[14:17], v7 offset:256
	ds_read_b128 v[24:27], v6 offset:8192
	s_waitcnt lgkmcnt(0)
	v_mul_f64 v[6:7], v[16:17], v[26:27]
	v_mul_f64 v[18:19], v[14:15], v[26:27]
	v_fma_f64 v[6:7], v[14:15], v[24:25], -v[6:7]
	v_fma_f64 v[14:15], v[16:17], v[24:25], v[18:19]
	v_add_f64 v[2:3], v[2:3], v[6:7]
	v_add_f64 v[4:5], v[4:5], v[14:15]
.LBB79_463:
	s_or_b64 exec, exec, s[4:5]
	s_mov_b64 s[8:9], 0
	s_mov_b64 s[4:5], 0
	ds_write_b128 v8, v[2:5]
	s_waitcnt lgkmcnt(0)
	s_barrier
                                        ; implicit-def: $vgpr8_vgpr9
                                        ; implicit-def: $vgpr14_vgpr15
                                        ; implicit-def: $vgpr6_vgpr7
	s_and_saveexec_b64 s[10:11], s[0:1]
	s_cbranch_execz .LBB79_478
; %bb.464:
	v_lshlrev_b32_e32 v18, 4, v0
	ds_read_b128 v[6:9], v18 offset:16896
	ds_read_b128 v[14:17], v18 offset:17408
	s_mov_b64 s[4:5], exec
	s_waitcnt lgkmcnt(1)
	v_add_f64 v[1:2], v[2:3], v[6:7]
	v_add_f64 v[3:4], v[4:5], v[8:9]
	s_waitcnt lgkmcnt(0)
	v_add_f64 v[14:15], v[1:2], v[14:15]
	v_add_f64 v[16:17], v[3:4], v[16:17]
	ds_read_b128 v[1:4], v18 offset:17920
	ds_read_b128 v[5:8], v18 offset:18432
	s_waitcnt lgkmcnt(1)
	v_add_f64 v[1:2], v[14:15], v[1:2]
	v_add_f64 v[3:4], v[16:17], v[3:4]
	s_waitcnt lgkmcnt(0)
	v_add_f64 v[14:15], v[1:2], v[5:6]
	v_add_f64 v[16:17], v[3:4], v[7:8]
	ds_read_b128 v[1:4], v18 offset:18944
	ds_read_b128 v[5:8], v18 offset:19456
	;; [unrolled: 8-line block ×6, first 2 shown]
	s_waitcnt lgkmcnt(1)
	v_add_f64 v[1:2], v[14:15], v[1:2]
	v_add_f64 v[3:4], v[16:17], v[3:4]
	s_waitcnt lgkmcnt(0)
	v_add_f64 v[14:15], v[1:2], v[5:6]
	v_add_f64 v[8:9], v[3:4], v[7:8]
	ds_read_b128 v[1:4], v18 offset:24064
	v_lshl_add_u32 v5, s6, 5, v23
	v_mad_u64_u32 v[6:7], s[12:13], s26, v5, 0
	s_waitcnt lgkmcnt(0)
	v_add_f64 v[14:15], v[14:15], v[1:2]
	v_add_f64 v[8:9], v[8:9], v[3:4]
	v_mov_b32_e32 v1, v7
	v_mad_u64_u32 v[1:2], s[12:13], s27, v5, v[1:2]
	v_mov_b32_e32 v7, v1
	s_or_b64 exec, exec, s[10:11]
	s_and_b64 vcc, exec, s[8:9]
	s_cbranch_vccnz .LBB79_466
	s_branch .LBB79_479
.LBB79_465:
	s_mov_b64 s[4:5], 0
                                        ; implicit-def: $vgpr8_vgpr9
                                        ; implicit-def: $vgpr14_vgpr15
                                        ; implicit-def: $vgpr6_vgpr7
	s_cbranch_execz .LBB79_479
.LBB79_466:
	s_mov_b32 s10, 0
	v_mov_b32_e32 v1, 0
	v_mov_b32_e32 v2, v0
	s_branch .LBB79_468
.LBB79_467:                             ;   in Loop: Header=BB79_468 Depth=1
	s_or_b64 exec, exec, s[8:9]
	s_add_i32 s10, s10, 2
	v_add_u32_e32 v21, 0x400, v21
	s_cmp_lg_u32 s10, 32
	v_add_u32_e32 v2, -2, v2
	s_barrier
	s_cbranch_scc0 .LBB79_476
.LBB79_468:                             ; =>This Inner Loop Header: Depth=1
	v_cmp_eq_u32_e32 vcc, 0, v2
	s_and_b64 s[12:13], s[0:1], vcc
	s_and_saveexec_b64 s[8:9], s[12:13]
; %bb.469:                              ;   in Loop: Header=BB79_468 Depth=1
	ds_write_b128 v1, v[10:13] offset:25088
; %bb.470:                              ;   in Loop: Header=BB79_468 Depth=1
	s_or_b64 exec, exec, s[8:9]
	v_cmp_lt_u32_e32 vcc, s10, v0
	s_and_b64 s[12:13], s[0:1], vcc
	s_waitcnt lgkmcnt(0)
	s_barrier
	s_and_saveexec_b64 s[8:9], s[12:13]
	s_cbranch_execz .LBB79_472
; %bb.471:                              ;   in Loop: Header=BB79_468 Depth=1
	ds_read_b128 v[3:6], v1 offset:25088
	ds_read_b128 v[14:17], v21
	s_waitcnt lgkmcnt(0)
	v_mul_f64 v[7:8], v[5:6], v[16:17]
	v_mul_f64 v[16:17], v[3:4], v[16:17]
	v_fma_f64 v[3:4], v[3:4], v[14:15], -v[7:8]
	v_fma_f64 v[5:6], v[5:6], v[14:15], v[16:17]
	v_add_f64 v[10:11], v[10:11], v[3:4]
	v_add_f64 v[12:13], v[12:13], v[5:6]
.LBB79_472:                             ;   in Loop: Header=BB79_468 Depth=1
	s_or_b64 exec, exec, s[8:9]
	s_or_b32 s11, s10, 1
	v_cmp_eq_u32_e32 vcc, s11, v0
	s_and_b64 s[12:13], s[0:1], vcc
	s_barrier
	s_and_saveexec_b64 s[8:9], s[12:13]
; %bb.473:                              ;   in Loop: Header=BB79_468 Depth=1
	ds_write_b128 v1, v[10:13] offset:25088
; %bb.474:                              ;   in Loop: Header=BB79_468 Depth=1
	s_or_b64 exec, exec, s[8:9]
	v_cmp_lt_u32_e32 vcc, s11, v0
	s_and_b64 s[12:13], s[0:1], vcc
	s_waitcnt lgkmcnt(0)
	s_barrier
	s_and_saveexec_b64 s[8:9], s[12:13]
	s_cbranch_execz .LBB79_467
; %bb.475:                              ;   in Loop: Header=BB79_468 Depth=1
	ds_read_b128 v[3:6], v1 offset:25088
	ds_read_b128 v[14:17], v21 offset:512
	s_waitcnt lgkmcnt(0)
	v_mul_f64 v[7:8], v[5:6], v[16:17]
	v_mul_f64 v[16:17], v[3:4], v[16:17]
	v_fma_f64 v[3:4], v[3:4], v[14:15], -v[7:8]
	v_fma_f64 v[5:6], v[5:6], v[14:15], v[16:17]
	v_add_f64 v[10:11], v[10:11], v[3:4]
	v_add_f64 v[12:13], v[12:13], v[5:6]
	s_branch .LBB79_467
.LBB79_476:
	s_and_b64 vcc, exec, s[2:3]
	s_cbranch_vccz .LBB79_480
; %bb.477:
	s_and_b64 s[2:3], s[0:1], exec
	s_cbranch_execz .LBB79_481
	s_branch .LBB79_482
.LBB79_478:
	s_or_b64 exec, exec, s[10:11]
	s_and_b64 vcc, exec, s[8:9]
	s_cbranch_vccnz .LBB79_466
.LBB79_479:
	v_mov_b32_e32 v13, v9
	v_mov_b32_e32 v10, v14
	;; [unrolled: 1-line block ×4, first 2 shown]
	s_and_saveexec_b64 s[0:1], s[4:5]
	s_cbranch_execnz .LBB79_485
	s_branch .LBB79_486
.LBB79_480:
	s_mov_b64 s[2:3], 0
.LBB79_481:
	v_cmp_gt_i32_e32 vcc, s7, v0
	s_and_b64 s[0:1], s[0:1], vcc
	s_andn2_b64 s[2:3], s[2:3], exec
	s_and_b64 s[0:1], s[0:1], exec
	s_or_b64 s[2:3], s[2:3], s[0:1]
.LBB79_482:
                                        ; implicit-def: $vgpr6_vgpr7
	s_and_saveexec_b64 s[0:1], s[2:3]
	s_cbranch_execz .LBB79_484
; %bb.483:
	s_lshl_b32 s2, s6, 5
	s_ashr_i32 s3, s2, 31
	v_mov_b32_e32 v0, s3
	v_add_co_u32_e32 v1, vcc, s2, v23
	v_addc_co_u32_e32 v0, vcc, 0, v0, vcc
	v_mul_lo_u32 v0, v0, s26
	v_mul_lo_u32 v2, v1, s27
	v_mad_u64_u32 v[6:7], s[2:3], v1, s26, 0
	s_or_b64 s[4:5], s[4:5], exec
	v_add3_u32 v7, v7, v2, v0
.LBB79_484:
	s_or_b64 exec, exec, s[0:1]
	s_and_saveexec_b64 s[0:1], s[4:5]
	s_cbranch_execz .LBB79_486
.LBB79_485:
	v_lshlrev_b64 v[0:1], 4, v[6:7]
	v_mov_b32_e32 v2, s37
	v_add_co_u32_e32 v0, vcc, s36, v0
	v_addc_co_u32_e32 v1, vcc, v2, v1, vcc
	global_store_dwordx4 v[0:1], v[10:13], off
.LBB79_486:
	s_or_b64 exec, exec, s[0:1]
	v_cmp_eq_u32_e32 vcc, 0, v23
	s_waitcnt vmcnt(0)
	buffer_wbinvl1_vol
	s_barrier
	s_and_saveexec_b64 s[0:1], vcc
	s_cbranch_execz .LBB79_488
; %bb.487:
	s_lshl_b64 s[2:3], s[34:35], 2
	s_add_u32 s2, s14, s2
	s_addc_u32 s3, s15, s3
	v_mov_b32_e32 v0, 0
	global_load_dword v1, v0, s[2:3]
	s_waitcnt vmcnt(0)
	v_add_u32_e32 v1, 1, v1
	global_store_dword v0, v1, s[2:3]
.LBB79_488:
	s_or_b64 exec, exec, s[0:1]
	s_waitcnt vmcnt(0)
	buffer_wbinvl1_vol
	s_endpgm
.LBB79_489:
	v_lshlrev_b32_e32 v24, 4, v23
	v_sub_u32_e32 v24, v19, v24
	v_lshl_add_u32 v28, v20, 4, v24
	ds_read_b128 v[24:27], v19 offset:16
	ds_read_b128 v[28:31], v28 offset:576
	s_waitcnt lgkmcnt(0)
	v_mul_f64 v[32:33], v[26:27], v[30:31]
	v_mul_f64 v[30:31], v[24:25], v[30:31]
	v_fma_f64 v[24:25], v[24:25], v[28:29], -v[32:33]
	v_fma_f64 v[26:27], v[26:27], v[28:29], v[30:31]
	v_add_f64 v[10:11], v[10:11], v[24:25]
	v_add_f64 v[12:13], v[12:13], v[26:27]
	s_or_b64 exec, exec, s[14:15]
	v_cmp_gt_u32_e64 s[10:11], 8, v22
	s_and_saveexec_b64 s[14:15], s[10:11]
	s_cbranch_execz .LBB79_55
.LBB79_490:
	ds_read_b128 v[24:27], v19 offset:32
	ds_read_b128 v[28:31], v17 offset:1088
	s_waitcnt lgkmcnt(0)
	v_mul_f64 v[32:33], v[26:27], v[30:31]
	v_mul_f64 v[30:31], v[24:25], v[30:31]
	v_fma_f64 v[24:25], v[24:25], v[28:29], -v[32:33]
	v_fma_f64 v[26:27], v[26:27], v[28:29], v[30:31]
	v_add_f64 v[10:11], v[10:11], v[24:25]
	v_add_f64 v[12:13], v[12:13], v[26:27]
	s_or_b64 exec, exec, s[14:15]
	v_cmp_gt_u32_e64 s[10:11], 4, v22
	s_and_saveexec_b64 s[14:15], s[10:11]
	s_cbranch_execnz .LBB79_56
	s_branch .LBB79_57
.LBB79_491:
	v_lshlrev_b32_e32 v29, 4, v28
	v_sub_u32_e32 v29, v26, v29
	v_lshl_add_u32 v33, v27, 4, v29
	ds_read_b128 v[29:32], v26 offset:16
	ds_read_b128 v[33:36], v33 offset:640
	s_waitcnt lgkmcnt(0)
	v_mul_f64 v[37:38], v[31:32], v[35:36]
	v_mul_f64 v[35:36], v[29:30], v[35:36]
	v_fma_f64 v[29:30], v[29:30], v[33:34], -v[37:38]
	v_fma_f64 v[31:32], v[31:32], v[33:34], v[35:36]
	v_add_f64 v[10:11], v[10:11], v[29:30]
	v_add_f64 v[12:13], v[12:13], v[31:32]
	s_or_b64 exec, exec, s[52:53]
	v_cmp_gt_u32_e64 s[10:11], 48, v22
	s_and_saveexec_b64 s[52:53], s[10:11]
	s_cbranch_execz .LBB79_93
.LBB79_492:
	v_lshlrev_b32_e32 v29, 4, v28
	v_sub_u32_e32 v29, v26, v29
	v_lshl_add_u32 v33, v27, 4, v29
	ds_read_b128 v[29:32], v26 offset:32
	ds_read_b128 v[33:36], v33 offset:1152
	s_waitcnt lgkmcnt(0)
	v_mul_f64 v[37:38], v[31:32], v[35:36]
	v_mul_f64 v[35:36], v[29:30], v[35:36]
	v_fma_f64 v[29:30], v[29:30], v[33:34], -v[37:38]
	v_fma_f64 v[31:32], v[31:32], v[33:34], v[35:36]
	v_add_f64 v[10:11], v[10:11], v[29:30]
	v_add_f64 v[12:13], v[12:13], v[31:32]
	s_or_b64 exec, exec, s[52:53]
	v_cmp_gt_u32_e64 s[10:11], 40, v22
	s_and_saveexec_b64 s[52:53], s[10:11]
	s_cbranch_execz .LBB79_94
.LBB79_493:
	v_lshlrev_b32_e32 v29, 4, v28
	v_sub_u32_e32 v29, v26, v29
	v_lshl_add_u32 v33, v27, 4, v29
	ds_read_b128 v[29:32], v26 offset:48
	ds_read_b128 v[33:36], v33 offset:1664
	s_waitcnt lgkmcnt(0)
	v_mul_f64 v[37:38], v[31:32], v[35:36]
	v_mul_f64 v[35:36], v[29:30], v[35:36]
	v_fma_f64 v[29:30], v[29:30], v[33:34], -v[37:38]
	v_fma_f64 v[31:32], v[31:32], v[33:34], v[35:36]
	v_add_f64 v[10:11], v[10:11], v[29:30]
	v_add_f64 v[12:13], v[12:13], v[31:32]
	s_or_b64 exec, exec, s[52:53]
	v_cmp_gt_u32_e64 s[10:11], 32, v22
	s_and_saveexec_b64 s[52:53], s[10:11]
	s_cbranch_execz .LBB79_95
.LBB79_494:
	ds_read_b128 v[29:32], v26 offset:64
	ds_read_b128 v[33:36], v24 offset:2176
	s_waitcnt lgkmcnt(0)
	v_mul_f64 v[37:38], v[31:32], v[35:36]
	v_mul_f64 v[35:36], v[29:30], v[35:36]
	v_fma_f64 v[29:30], v[29:30], v[33:34], -v[37:38]
	v_fma_f64 v[31:32], v[31:32], v[33:34], v[35:36]
	v_add_f64 v[10:11], v[10:11], v[29:30]
	v_add_f64 v[12:13], v[12:13], v[31:32]
	s_or_b64 exec, exec, s[52:53]
	v_cmp_gt_u32_e64 s[10:11], 24, v22
	s_and_saveexec_b64 s[52:53], s[10:11]
	s_cbranch_execz .LBB79_96
.LBB79_495:
	v_lshlrev_b32_e32 v29, 4, v28
	v_sub_u32_e32 v29, v26, v29
	v_lshl_add_u32 v33, v27, 4, v29
	ds_read_b128 v[29:32], v26 offset:80
	ds_read_b128 v[33:36], v33 offset:2688
	s_waitcnt lgkmcnt(0)
	v_mul_f64 v[37:38], v[31:32], v[35:36]
	v_mul_f64 v[35:36], v[29:30], v[35:36]
	v_fma_f64 v[29:30], v[29:30], v[33:34], -v[37:38]
	v_fma_f64 v[31:32], v[31:32], v[33:34], v[35:36]
	v_add_f64 v[10:11], v[10:11], v[29:30]
	v_add_f64 v[12:13], v[12:13], v[31:32]
	s_or_b64 exec, exec, s[52:53]
	v_cmp_gt_u32_e64 s[10:11], 16, v22
	s_and_saveexec_b64 s[52:53], s[10:11]
	s_cbranch_execz .LBB79_97
.LBB79_496:
	ds_read_b128 v[29:32], v26 offset:96
	ds_read_b128 v[33:36], v24 offset:3200
	s_waitcnt lgkmcnt(0)
	v_mul_f64 v[37:38], v[31:32], v[35:36]
	v_mul_f64 v[35:36], v[29:30], v[35:36]
	v_fma_f64 v[29:30], v[29:30], v[33:34], -v[37:38]
	v_fma_f64 v[31:32], v[31:32], v[33:34], v[35:36]
	v_add_f64 v[10:11], v[10:11], v[29:30]
	v_add_f64 v[12:13], v[12:13], v[31:32]
	s_or_b64 exec, exec, s[52:53]
	v_cmp_gt_u32_e64 s[10:11], 8, v22
	s_and_saveexec_b64 s[52:53], s[10:11]
	s_cbranch_execnz .LBB79_98
	s_branch .LBB79_99
.LBB79_497:
	v_lshlrev_b32_e32 v30, 4, v23
	v_sub_u32_e32 v30, v29, v30
	v_lshl_add_u32 v34, v20, 4, v30
	ds_read_b128 v[30:33], v29 offset:4240
	ds_read_b128 v[34:37], v34 offset:4800
	s_waitcnt lgkmcnt(0)
	v_mul_f64 v[38:39], v[32:33], v[36:37]
	v_mul_f64 v[36:37], v[30:31], v[36:37]
	v_fma_f64 v[30:31], v[30:31], v[34:35], -v[38:39]
	v_fma_f64 v[32:33], v[32:33], v[34:35], v[36:37]
	v_add_f64 v[10:11], v[10:11], v[30:31]
	v_add_f64 v[12:13], v[12:13], v[32:33]
	s_or_b64 exec, exec, s[14:15]
	v_cmp_gt_u32_e64 s[8:9], 8, v22
	s_and_saveexec_b64 s[14:15], s[8:9]
	s_cbranch_execz .LBB79_151
.LBB79_498:
	ds_read_b128 v[29:32], v29 offset:4256
	ds_read_b128 v[33:36], v17 offset:5312
	s_waitcnt lgkmcnt(0)
	v_mul_f64 v[37:38], v[31:32], v[35:36]
	v_mul_f64 v[35:36], v[29:30], v[35:36]
	v_fma_f64 v[29:30], v[29:30], v[33:34], -v[37:38]
	v_fma_f64 v[31:32], v[31:32], v[33:34], v[35:36]
	v_add_f64 v[10:11], v[10:11], v[29:30]
	v_add_f64 v[12:13], v[12:13], v[31:32]
	s_or_b64 exec, exec, s[14:15]
	v_cmp_gt_u32_e64 s[8:9], 4, v22
	s_and_saveexec_b64 s[14:15], s[8:9]
	s_cbranch_execnz .LBB79_152
	s_branch .LBB79_153
.LBB79_499:
	ds_read_b128 v[34:37], v33 offset:176
	ds_read_b128 v[38:41], v29 offset:5888
	s_waitcnt lgkmcnt(0)
	v_mul_f64 v[42:43], v[36:37], v[40:41]
	v_mul_f64 v[40:41], v[34:35], v[40:41]
	v_fma_f64 v[34:35], v[34:35], v[38:39], -v[42:43]
	v_fma_f64 v[36:37], v[36:37], v[38:39], v[40:41]
	v_add_f64 v[10:11], v[10:11], v[34:35]
	v_add_f64 v[12:13], v[12:13], v[36:37]
	s_or_b64 exec, exec, s[82:83]
	v_cmp_gt_u32_e64 s[14:15], 64, v22
	s_and_saveexec_b64 s[82:83], s[14:15]
	s_cbranch_execz .LBB79_209
.LBB79_500:
	ds_read_b128 v[34:37], v33 offset:192
	ds_read_b128 v[38:41], v29 offset:6400
	s_waitcnt lgkmcnt(0)
	v_mul_f64 v[42:43], v[36:37], v[40:41]
	v_mul_f64 v[40:41], v[34:35], v[40:41]
	v_fma_f64 v[34:35], v[34:35], v[38:39], -v[42:43]
	v_fma_f64 v[36:37], v[36:37], v[38:39], v[40:41]
	v_add_f64 v[10:11], v[10:11], v[34:35]
	v_add_f64 v[12:13], v[12:13], v[36:37]
	s_or_b64 exec, exec, s[82:83]
	v_cmp_gt_u32_e64 s[14:15], 48, v22
	s_and_saveexec_b64 s[82:83], s[14:15]
	s_cbranch_execz .LBB79_210
.LBB79_501:
	ds_read_b128 v[34:37], v33 offset:208
	ds_read_b128 v[38:41], v29 offset:6912
	s_waitcnt lgkmcnt(0)
	v_mul_f64 v[42:43], v[36:37], v[40:41]
	v_mul_f64 v[40:41], v[34:35], v[40:41]
	v_fma_f64 v[34:35], v[34:35], v[38:39], -v[42:43]
	v_fma_f64 v[36:37], v[36:37], v[38:39], v[40:41]
	v_add_f64 v[10:11], v[10:11], v[34:35]
	v_add_f64 v[12:13], v[12:13], v[36:37]
	s_or_b64 exec, exec, s[82:83]
	v_cmp_gt_u32_e64 s[14:15], 32, v22
	s_and_saveexec_b64 s[82:83], s[14:15]
	s_cbranch_execz .LBB79_211
.LBB79_502:
	ds_read_b128 v[33:36], v33 offset:224
	ds_read_b128 v[37:40], v29 offset:7424
	s_waitcnt lgkmcnt(0)
	v_mul_f64 v[41:42], v[35:36], v[39:40]
	v_mul_f64 v[39:40], v[33:34], v[39:40]
	v_fma_f64 v[33:34], v[33:34], v[37:38], -v[41:42]
	v_fma_f64 v[35:36], v[35:36], v[37:38], v[39:40]
	v_add_f64 v[10:11], v[10:11], v[33:34]
	v_add_f64 v[12:13], v[12:13], v[35:36]
	s_or_b64 exec, exec, s[82:83]
	v_cmp_gt_u32_e64 s[14:15], 16, v22
	s_and_saveexec_b64 s[82:83], s[14:15]
	s_cbranch_execnz .LBB79_212
	s_branch .LBB79_213
.LBB79_503:
	v_lshlrev_b32_e32 v30, 4, v23
	v_sub_u32_e32 v30, v29, v30
	v_lshl_add_u32 v34, v20, 4, v30
	ds_read_b128 v[30:33], v29 offset:8464
	ds_read_b128 v[34:37], v34 offset:9024
	s_waitcnt lgkmcnt(0)
	v_mul_f64 v[38:39], v[32:33], v[36:37]
	v_mul_f64 v[36:37], v[30:31], v[36:37]
	v_fma_f64 v[30:31], v[30:31], v[34:35], -v[38:39]
	v_fma_f64 v[32:33], v[32:33], v[34:35], v[36:37]
	v_add_f64 v[10:11], v[10:11], v[30:31]
	v_add_f64 v[12:13], v[12:13], v[32:33]
	s_or_b64 exec, exec, s[14:15]
	v_cmp_gt_u32_e64 s[8:9], 8, v22
	s_and_saveexec_b64 s[14:15], s[8:9]
	s_cbranch_execz .LBB79_297
.LBB79_504:
	ds_read_b128 v[29:32], v29 offset:8480
	ds_read_b128 v[33:36], v17 offset:9536
	s_waitcnt lgkmcnt(0)
	v_mul_f64 v[37:38], v[31:32], v[35:36]
	v_mul_f64 v[35:36], v[29:30], v[35:36]
	v_fma_f64 v[29:30], v[29:30], v[33:34], -v[37:38]
	v_fma_f64 v[31:32], v[31:32], v[33:34], v[35:36]
	v_add_f64 v[10:11], v[10:11], v[29:30]
	v_add_f64 v[12:13], v[12:13], v[31:32]
	s_or_b64 exec, exec, s[14:15]
	v_cmp_gt_u32_e64 s[8:9], 4, v22
	s_and_saveexec_b64 s[14:15], s[8:9]
	s_cbranch_execnz .LBB79_298
	s_branch .LBB79_299
.LBB79_505:
	v_lshlrev_b32_e32 v30, 4, v28
	v_sub_u32_e32 v30, v29, v30
	v_lshl_add_u32 v34, v27, 4, v30
	ds_read_b128 v[30:33], v29 offset:8464
	ds_read_b128 v[34:37], v34 offset:9088
	s_waitcnt lgkmcnt(0)
	v_mul_f64 v[38:39], v[32:33], v[36:37]
	v_mul_f64 v[36:37], v[30:31], v[36:37]
	v_fma_f64 v[30:31], v[30:31], v[34:35], -v[38:39]
	v_fma_f64 v[32:33], v[32:33], v[34:35], v[36:37]
	v_add_f64 v[10:11], v[10:11], v[30:31]
	v_add_f64 v[12:13], v[12:13], v[32:33]
	s_or_b64 exec, exec, s[14:15]
	v_cmp_gt_u32_e64 s[8:9], 48, v22
	s_and_saveexec_b64 s[14:15], s[8:9]
	s_cbranch_execz .LBB79_335
.LBB79_506:
	v_lshlrev_b32_e32 v30, 4, v28
	v_sub_u32_e32 v30, v29, v30
	v_lshl_add_u32 v34, v27, 4, v30
	ds_read_b128 v[30:33], v29 offset:8480
	ds_read_b128 v[34:37], v34 offset:9600
	s_waitcnt lgkmcnt(0)
	v_mul_f64 v[38:39], v[32:33], v[36:37]
	v_mul_f64 v[36:37], v[30:31], v[36:37]
	v_fma_f64 v[30:31], v[30:31], v[34:35], -v[38:39]
	v_fma_f64 v[32:33], v[32:33], v[34:35], v[36:37]
	v_add_f64 v[10:11], v[10:11], v[30:31]
	v_add_f64 v[12:13], v[12:13], v[32:33]
	s_or_b64 exec, exec, s[14:15]
	v_cmp_gt_u32_e64 s[8:9], 40, v22
	s_and_saveexec_b64 s[14:15], s[8:9]
	s_cbranch_execz .LBB79_336
.LBB79_507:
	v_lshlrev_b32_e32 v30, 4, v28
	v_sub_u32_e32 v30, v29, v30
	v_lshl_add_u32 v34, v27, 4, v30
	ds_read_b128 v[30:33], v29 offset:8496
	ds_read_b128 v[34:37], v34 offset:10112
	s_waitcnt lgkmcnt(0)
	v_mul_f64 v[38:39], v[32:33], v[36:37]
	v_mul_f64 v[36:37], v[30:31], v[36:37]
	v_fma_f64 v[30:31], v[30:31], v[34:35], -v[38:39]
	v_fma_f64 v[32:33], v[32:33], v[34:35], v[36:37]
	v_add_f64 v[10:11], v[10:11], v[30:31]
	v_add_f64 v[12:13], v[12:13], v[32:33]
	s_or_b64 exec, exec, s[14:15]
	v_cmp_gt_u32_e64 s[8:9], 32, v22
	s_and_saveexec_b64 s[14:15], s[8:9]
	s_cbranch_execz .LBB79_337
.LBB79_508:
	ds_read_b128 v[30:33], v29 offset:8512
	ds_read_b128 v[34:37], v24 offset:10624
	s_waitcnt lgkmcnt(0)
	v_mul_f64 v[38:39], v[32:33], v[36:37]
	v_mul_f64 v[36:37], v[30:31], v[36:37]
	v_fma_f64 v[30:31], v[30:31], v[34:35], -v[38:39]
	v_fma_f64 v[32:33], v[32:33], v[34:35], v[36:37]
	v_add_f64 v[10:11], v[10:11], v[30:31]
	v_add_f64 v[12:13], v[12:13], v[32:33]
	s_or_b64 exec, exec, s[14:15]
	v_cmp_gt_u32_e64 s[8:9], 24, v22
	s_and_saveexec_b64 s[14:15], s[8:9]
	s_cbranch_execz .LBB79_338
.LBB79_509:
	v_lshlrev_b32_e32 v28, 4, v28
	v_sub_u32_e32 v28, v29, v28
	v_lshl_add_u32 v27, v27, 4, v28
	ds_read_b128 v[30:33], v29 offset:8528
	ds_read_b128 v[34:37], v27 offset:11136
	s_waitcnt lgkmcnt(0)
	v_mul_f64 v[27:28], v[32:33], v[36:37]
	v_mul_f64 v[36:37], v[30:31], v[36:37]
	v_fma_f64 v[27:28], v[30:31], v[34:35], -v[27:28]
	v_fma_f64 v[30:31], v[32:33], v[34:35], v[36:37]
	v_add_f64 v[10:11], v[10:11], v[27:28]
	v_add_f64 v[12:13], v[12:13], v[30:31]
	s_or_b64 exec, exec, s[14:15]
	v_cmp_gt_u32_e64 s[8:9], 16, v22
	s_and_saveexec_b64 s[14:15], s[8:9]
	s_cbranch_execz .LBB79_339
.LBB79_510:
	ds_read_b128 v[27:30], v29 offset:8544
	ds_read_b128 v[31:34], v24 offset:11648
	s_waitcnt lgkmcnt(0)
	v_mul_f64 v[35:36], v[29:30], v[33:34]
	v_mul_f64 v[33:34], v[27:28], v[33:34]
	v_fma_f64 v[27:28], v[27:28], v[31:32], -v[35:36]
	v_fma_f64 v[29:30], v[29:30], v[31:32], v[33:34]
	v_add_f64 v[10:11], v[10:11], v[27:28]
	v_add_f64 v[12:13], v[12:13], v[29:30]
	s_or_b64 exec, exec, s[14:15]
	v_cmp_gt_u32_e64 s[8:9], 8, v22
	s_and_saveexec_b64 s[14:15], s[8:9]
	s_cbranch_execnz .LBB79_340
	s_branch .LBB79_341
.LBB79_511:
	v_lshlrev_b32_e32 v23, 4, v23
	v_sub_u32_e32 v23, v24, v23
	v_lshl_add_u32 v20, v20, 4, v23
	ds_read_b128 v[25:28], v24 offset:12688
	ds_read_b128 v[29:32], v20 offset:13248
	s_waitcnt lgkmcnt(0)
	v_mul_f64 v[33:34], v[27:28], v[31:32]
	v_mul_f64 v[31:32], v[25:26], v[31:32]
	v_fma_f64 v[25:26], v[25:26], v[29:30], -v[33:34]
	v_fma_f64 v[27:28], v[27:28], v[29:30], v[31:32]
	v_add_f64 v[10:11], v[10:11], v[25:26]
	v_add_f64 v[12:13], v[12:13], v[27:28]
	s_or_b64 exec, exec, s[12:13]
	v_cmp_gt_u32_e64 s[8:9], 8, v22
	s_and_saveexec_b64 s[12:13], s[8:9]
	s_cbranch_execz .LBB79_393
.LBB79_512:
	ds_read_b128 v[23:26], v24 offset:12704
	ds_read_b128 v[27:30], v17 offset:13760
	s_waitcnt lgkmcnt(0)
	v_mul_f64 v[31:32], v[25:26], v[29:30]
	v_mul_f64 v[29:30], v[23:24], v[29:30]
	v_fma_f64 v[23:24], v[23:24], v[27:28], -v[31:32]
	v_fma_f64 v[25:26], v[25:26], v[27:28], v[29:30]
	v_add_f64 v[10:11], v[10:11], v[23:24]
	v_add_f64 v[12:13], v[12:13], v[25:26]
	s_or_b64 exec, exec, s[12:13]
	v_cmp_gt_u32_e64 s[8:9], 4, v22
	s_and_saveexec_b64 s[12:13], s[8:9]
	s_cbranch_execnz .LBB79_394
	s_branch .LBB79_395
	.section	.rodata,"a",@progbits
	.p2align	6, 0x0
	.amdhsa_kernel _ZL19rocblas_trsv_deviceILi32ELi16ELb1ELb0ELb0ELb1E19rocblas_complex_numIdEPKS1_S3_PS1_EviT7_lllT6_T8_lllPii
		.amdhsa_group_segment_fixed_size 25104
		.amdhsa_private_segment_fixed_size 0
		.amdhsa_kernarg_size 352
		.amdhsa_user_sgpr_count 6
		.amdhsa_user_sgpr_private_segment_buffer 1
		.amdhsa_user_sgpr_dispatch_ptr 0
		.amdhsa_user_sgpr_queue_ptr 0
		.amdhsa_user_sgpr_kernarg_segment_ptr 1
		.amdhsa_user_sgpr_dispatch_id 0
		.amdhsa_user_sgpr_flat_scratch_init 0
		.amdhsa_user_sgpr_private_segment_size 0
		.amdhsa_uses_dynamic_stack 0
		.amdhsa_system_sgpr_private_segment_wavefront_offset 0
		.amdhsa_system_sgpr_workgroup_id_x 1
		.amdhsa_system_sgpr_workgroup_id_y 0
		.amdhsa_system_sgpr_workgroup_id_z 1
		.amdhsa_system_sgpr_workgroup_info 0
		.amdhsa_system_vgpr_workitem_id 1
		.amdhsa_next_free_vgpr 49
		.amdhsa_next_free_sgpr 98
		.amdhsa_reserve_vcc 1
		.amdhsa_reserve_flat_scratch 0
		.amdhsa_float_round_mode_32 0
		.amdhsa_float_round_mode_16_64 0
		.amdhsa_float_denorm_mode_32 3
		.amdhsa_float_denorm_mode_16_64 3
		.amdhsa_dx10_clamp 1
		.amdhsa_ieee_mode 1
		.amdhsa_fp16_overflow 0
		.amdhsa_exception_fp_ieee_invalid_op 0
		.amdhsa_exception_fp_denorm_src 0
		.amdhsa_exception_fp_ieee_div_zero 0
		.amdhsa_exception_fp_ieee_overflow 0
		.amdhsa_exception_fp_ieee_underflow 0
		.amdhsa_exception_fp_ieee_inexact 0
		.amdhsa_exception_int_div_zero 0
	.end_amdhsa_kernel
	.section	.text._ZL19rocblas_trsv_deviceILi32ELi16ELb1ELb0ELb0ELb1E19rocblas_complex_numIdEPKS1_S3_PS1_EviT7_lllT6_T8_lllPii,"axG",@progbits,_ZL19rocblas_trsv_deviceILi32ELi16ELb1ELb0ELb0ELb1E19rocblas_complex_numIdEPKS1_S3_PS1_EviT7_lllT6_T8_lllPii,comdat
.Lfunc_end79:
	.size	_ZL19rocblas_trsv_deviceILi32ELi16ELb1ELb0ELb0ELb1E19rocblas_complex_numIdEPKS1_S3_PS1_EviT7_lllT6_T8_lllPii, .Lfunc_end79-_ZL19rocblas_trsv_deviceILi32ELi16ELb1ELb0ELb0ELb1E19rocblas_complex_numIdEPKS1_S3_PS1_EviT7_lllT6_T8_lllPii
                                        ; -- End function
	.set _ZL19rocblas_trsv_deviceILi32ELi16ELb1ELb0ELb0ELb1E19rocblas_complex_numIdEPKS1_S3_PS1_EviT7_lllT6_T8_lllPii.num_vgpr, 44
	.set _ZL19rocblas_trsv_deviceILi32ELi16ELb1ELb0ELb0ELb1E19rocblas_complex_numIdEPKS1_S3_PS1_EviT7_lllT6_T8_lllPii.num_agpr, 0
	.set _ZL19rocblas_trsv_deviceILi32ELi16ELb1ELb0ELb0ELb1E19rocblas_complex_numIdEPKS1_S3_PS1_EviT7_lllT6_T8_lllPii.numbered_sgpr, 87
	.set _ZL19rocblas_trsv_deviceILi32ELi16ELb1ELb0ELb0ELb1E19rocblas_complex_numIdEPKS1_S3_PS1_EviT7_lllT6_T8_lllPii.num_named_barrier, 0
	.set _ZL19rocblas_trsv_deviceILi32ELi16ELb1ELb0ELb0ELb1E19rocblas_complex_numIdEPKS1_S3_PS1_EviT7_lllT6_T8_lllPii.private_seg_size, 0
	.set _ZL19rocblas_trsv_deviceILi32ELi16ELb1ELb0ELb0ELb1E19rocblas_complex_numIdEPKS1_S3_PS1_EviT7_lllT6_T8_lllPii.uses_vcc, 1
	.set _ZL19rocblas_trsv_deviceILi32ELi16ELb1ELb0ELb0ELb1E19rocblas_complex_numIdEPKS1_S3_PS1_EviT7_lllT6_T8_lllPii.uses_flat_scratch, 0
	.set _ZL19rocblas_trsv_deviceILi32ELi16ELb1ELb0ELb0ELb1E19rocblas_complex_numIdEPKS1_S3_PS1_EviT7_lllT6_T8_lllPii.has_dyn_sized_stack, 0
	.set _ZL19rocblas_trsv_deviceILi32ELi16ELb1ELb0ELb0ELb1E19rocblas_complex_numIdEPKS1_S3_PS1_EviT7_lllT6_T8_lllPii.has_recursion, 0
	.set _ZL19rocblas_trsv_deviceILi32ELi16ELb1ELb0ELb0ELb1E19rocblas_complex_numIdEPKS1_S3_PS1_EviT7_lllT6_T8_lllPii.has_indirect_call, 0
	.section	.AMDGPU.csdata,"",@progbits
; Kernel info:
; codeLenInByte = 19524
; TotalNumSgprs: 91
; NumVgprs: 44
; ScratchSize: 0
; MemoryBound: 1
; FloatMode: 240
; IeeeMode: 1
; LDSByteSize: 25104 bytes/workgroup (compile time only)
; SGPRBlocks: 12
; VGPRBlocks: 12
; NumSGPRsForWavesPerEU: 102
; NumVGPRsForWavesPerEU: 49
; Occupancy: 4
; WaveLimiterHint : 0
; COMPUTE_PGM_RSRC2:SCRATCH_EN: 0
; COMPUTE_PGM_RSRC2:USER_SGPR: 6
; COMPUTE_PGM_RSRC2:TRAP_HANDLER: 0
; COMPUTE_PGM_RSRC2:TGID_X_EN: 1
; COMPUTE_PGM_RSRC2:TGID_Y_EN: 0
; COMPUTE_PGM_RSRC2:TGID_Z_EN: 1
; COMPUTE_PGM_RSRC2:TIDIG_COMP_CNT: 1
	.section	.text._ZL19rocblas_trsv_deviceILi32ELi16ELb1ELb1ELb0ELb1E19rocblas_complex_numIdEPKS1_S3_PS1_EviT7_lllT6_T8_lllPii,"axG",@progbits,_ZL19rocblas_trsv_deviceILi32ELi16ELb1ELb1ELb0ELb1E19rocblas_complex_numIdEPKS1_S3_PS1_EviT7_lllT6_T8_lllPii,comdat
	.globl	_ZL19rocblas_trsv_deviceILi32ELi16ELb1ELb1ELb0ELb1E19rocblas_complex_numIdEPKS1_S3_PS1_EviT7_lllT6_T8_lllPii ; -- Begin function _ZL19rocblas_trsv_deviceILi32ELi16ELb1ELb1ELb0ELb1E19rocblas_complex_numIdEPKS1_S3_PS1_EviT7_lllT6_T8_lllPii
	.p2align	8
	.type	_ZL19rocblas_trsv_deviceILi32ELi16ELb1ELb1ELb0ELb1E19rocblas_complex_numIdEPKS1_S3_PS1_EviT7_lllT6_T8_lllPii,@function
_ZL19rocblas_trsv_deviceILi32ELi16ELb1ELb1ELb0ELb1E19rocblas_complex_numIdEPKS1_S3_PS1_EviT7_lllT6_T8_lllPii: ; @_ZL19rocblas_trsv_deviceILi32ELi16ELb1ELb1ELb0ELb1E19rocblas_complex_numIdEPKS1_S3_PS1_EviT7_lllT6_T8_lllPii
; %bb.0:
	s_load_dwordx16 s[16:31], s[4:5], 0x8
	s_load_dword s40, s[4:5], 0x0
	s_mov_b32 s34, s7
	s_mov_b32 s35, 0
	s_waitcnt lgkmcnt(0)
	s_mul_i32 s0, s23, s7
	s_mul_hi_u32 s1, s22, s7
	s_add_i32 s1, s1, s0
	s_mul_i32 s0, s22, s7
	s_load_dword s7, s[4:5], 0x60
	s_lshl_b64 s[0:1], s[0:1], 4
	s_add_u32 s2, s16, s0
	s_addc_u32 s3, s17, s1
	s_lshl_b64 s[0:1], s[18:19], 4
	s_load_dwordx4 s[36:39], s[24:25], 0x0
	s_load_dword s63, s[4:5], 0x6c
	s_add_u32 s95, s2, s0
	s_addc_u32 s62, s3, s1
	s_waitcnt lgkmcnt(0)
	s_add_i32 s7, s7, -1
	s_sub_i32 s33, s7, s6
	s_cmp_eq_u32 s6, 0
	s_cbranch_scc1 .LBB80_6
; %bb.1:
	s_lshl_b32 s2, s33, 5
	v_add_u32_e32 v6, s2, v0
	v_ashrrev_i32_e32 v2, 31, v6
	v_mul_lo_u32 v7, s20, v2
	v_mul_lo_u32 v8, s21, v6
	v_mad_u64_u32 v[4:5], s[0:1], s20, v6, 0
	v_add3_u32 v2, v1, s2, 32
	v_ashrrev_i32_e32 v3, 31, v2
	v_add3_u32 v5, v5, v7, v8
	v_lshlrev_b64 v[4:5], 4, v[4:5]
	v_cmp_gt_i32_e32 vcc, s40, v6
	v_mov_b32_e32 v6, s62
	v_add_co_u32_e64 v7, s[0:1], s95, v4
	v_lshlrev_b64 v[3:4], 4, v[2:3]
	v_addc_co_u32_e64 v5, s[0:1], v6, v5, s[0:1]
	v_add_co_u32_e64 v10, s[0:1], v7, v3
	v_addc_co_u32_e64 v11, s[0:1], v5, v4, s[0:1]
	v_cmp_gt_i32_e64 s[0:1], s40, v2
	v_mov_b32_e32 v4, 0
	v_mov_b32_e32 v6, 0
	;; [unrolled: 1-line block ×6, first 2 shown]
	s_and_b64 s[2:3], s[0:1], vcc
	s_barrier
	s_and_saveexec_b64 s[0:1], s[2:3]
	s_cbranch_execz .LBB80_3
; %bb.2:
	global_load_dwordx4 v[6:9], v[10:11], off
.LBB80_3:
	s_or_b64 exec, exec, s[0:1]
	v_add_u32_e32 v2, 16, v2
	v_cmp_gt_i32_e64 s[0:1], s40, v2
	v_mov_b32_e32 v2, 0
	v_mov_b32_e32 v3, 0
	s_and_b64 s[2:3], s[0:1], vcc
	s_waitcnt vmcnt(0)
	s_barrier
	s_and_saveexec_b64 s[0:1], s[2:3]
	s_cbranch_execz .LBB80_5
; %bb.4:
	global_load_dwordx4 v[2:5], v[10:11], off offset:256
.LBB80_5:
	s_or_b64 exec, exec, s[0:1]
	s_branch .LBB80_7
.LBB80_6:
                                        ; implicit-def: $vgpr4_vgpr5
                                        ; implicit-def: $vgpr8_vgpr9
.LBB80_7:
	s_ashr_i32 s41, s40, 31
	s_lshr_b32 s0, s41, 27
	s_add_i32 s0, s40, s0
	s_andn2_b32 s0, s0, 31
	s_sub_i32 s94, s40, s0
	s_add_i32 s0, s40, -1
	s_ashr_i32 s1, s0, 31
	s_lshr_b32 s1, s1, 27
	s_add_i32 s0, s0, s1
	s_ashr_i32 s0, s0, 5
	s_cmp_eq_u32 s0, s33
	s_cselect_b64 s[0:1], -1, 0
	s_cmp_lg_u32 s94, 0
	s_cselect_b64 s[2:3], -1, 0
	s_and_b64 s[22:23], s[2:3], s[0:1]
	s_cmp_lt_i32 s6, 5
	s_cselect_b64 s[2:3], -1, 0
	v_lshlrev_b32_e32 v10, 5, v0
	s_mov_b64 s[12:13], -1
	s_or_b64 s[0:1], s[2:3], s[22:23]
	s_and_b64 vcc, exec, s[22:23]
	v_add_u32_e32 v11, v1, v10
	v_cmp_le_u32_e64 s[8:9], v0, v1
	v_lshl_add_u32 v22, v1, 5, v0
	s_cbranch_vccnz .LBB80_21
; %bb.8:
	s_add_u32 s10, s20, 1
	s_addc_u32 s11, s21, 0
	s_lshl_b32 s12, s33, 5
	s_ashr_i32 s13, s12, 31
	s_mul_hi_u32 s14, s10, s12
	s_mul_i32 s13, s10, s13
	s_add_i32 s13, s14, s13
	s_mul_i32 s11, s11, s12
	s_add_i32 s11, s13, s11
	s_mul_i32 s10, s10, s12
	s_lshl_b64 s[10:11], s[10:11], 4
	s_add_u32 s10, s95, s10
	s_addc_u32 s11, s62, s11
	v_lshlrev_b32_e32 v12, 4, v0
	v_mov_b32_e32 v13, s11
	v_add_co_u32_e32 v12, vcc, s10, v12
	v_addc_co_u32_e32 v13, vcc, 0, v13, vcc
	v_cndmask_b32_e64 v14, v22, v11, s[2:3]
	s_and_saveexec_b64 s[2:3], s[8:9]
	s_xor_b64 s[2:3], exec, s[2:3]
	s_cbranch_execz .LBB80_12
; %bb.9:
	v_or_b32_e32 v15, v1, v0
	v_cmp_gt_u32_e32 vcc, 32, v15
	s_and_saveexec_b64 s[8:9], vcc
	s_cbranch_execz .LBB80_11
; %bb.10:
	v_lshlrev_b32_e32 v18, 4, v14
	v_mov_b32_e32 v14, 0
	v_mov_b32_e32 v15, v14
	;; [unrolled: 1-line block ×4, first 2 shown]
	ds_write_b128 v18, v[14:17]
.LBB80_11:
	s_or_b64 exec, exec, s[8:9]
                                        ; implicit-def: $vgpr14
.LBB80_12:
	s_andn2_saveexec_b64 s[2:3], s[2:3]
	s_cbranch_execz .LBB80_14
; %bb.13:
	v_mad_u64_u32 v[15:16], s[8:9], s20, v1, 0
	v_lshlrev_b32_e32 v14, 4, v14
	v_mad_u64_u32 v[16:17], s[8:9], s21, v1, v[16:17]
	v_lshlrev_b64 v[15:16], 4, v[15:16]
	v_add_co_u32_e32 v15, vcc, v12, v15
	v_addc_co_u32_e32 v16, vcc, v13, v16, vcc
	global_load_dwordx4 v[15:18], v[15:16], off
	s_waitcnt vmcnt(0)
	v_xor_b32_e32 v16, 0x80000000, v16
	v_xor_b32_e32 v18, 0x80000000, v18
	ds_write_b128 v14, v[15:18]
.LBB80_14:
	s_or_b64 exec, exec, s[2:3]
	v_add_u32_e32 v15, 16, v1
	v_add_u32_e32 v14, v15, v10
	v_lshl_add_u32 v16, v15, 5, v0
	v_cndmask_b32_e64 v14, v16, v14, s[0:1]
	v_cmp_le_u32_e32 vcc, v0, v15
	s_and_saveexec_b64 s[2:3], vcc
	s_xor_b64 s[2:3], exec, s[2:3]
	s_cbranch_execz .LBB80_18
; %bb.15:
	v_or_b32_e32 v12, v15, v0
	v_cmp_gt_u32_e32 vcc, 32, v12
	s_and_saveexec_b64 s[8:9], vcc
	s_cbranch_execz .LBB80_17
; %bb.16:
	v_mov_b32_e32 v12, 0
	v_lshlrev_b32_e32 v16, 4, v14
	v_mov_b32_e32 v13, v12
	v_mov_b32_e32 v14, v12
	;; [unrolled: 1-line block ×3, first 2 shown]
	ds_write_b128 v16, v[12:15]
.LBB80_17:
	s_or_b64 exec, exec, s[8:9]
                                        ; implicit-def: $vgpr15
                                        ; implicit-def: $vgpr12
                                        ; implicit-def: $vgpr13
                                        ; implicit-def: $vgpr14
.LBB80_18:
	s_andn2_saveexec_b64 s[2:3], s[2:3]
	s_cbranch_execz .LBB80_20
; %bb.19:
	v_mad_u64_u32 v[16:17], s[8:9], s20, v15, 0
	v_mad_u64_u32 v[17:18], s[8:9], s21, v15, v[17:18]
	v_lshlrev_b64 v[15:16], 4, v[16:17]
	v_add_co_u32_e32 v12, vcc, v12, v15
	v_addc_co_u32_e32 v13, vcc, v13, v16, vcc
	global_load_dwordx4 v[15:18], v[12:13], off
	v_lshlrev_b32_e32 v12, 4, v14
	s_waitcnt vmcnt(0)
	v_xor_b32_e32 v16, 0x80000000, v16
	v_xor_b32_e32 v18, 0x80000000, v18
	ds_write_b128 v12, v[15:18]
.LBB80_20:
	s_or_b64 exec, exec, s[2:3]
	s_mov_b64 s[12:13], 0
.LBB80_21:
	s_xor_b64 s[10:11], s[0:1], -1
	s_and_b64 vcc, exec, s[12:13]
	s_cbranch_vccz .LBB80_35
; %bb.22:
	s_add_u32 s2, s20, 1
	s_addc_u32 s3, s21, 0
	s_lshl_b32 s8, s33, 5
	s_ashr_i32 s9, s8, 31
	s_mul_hi_u32 s12, s2, s8
	s_mul_i32 s9, s2, s9
	s_add_i32 s9, s12, s9
	s_mul_i32 s3, s3, s8
	s_add_i32 s3, s9, s3
	s_mul_i32 s2, s2, s8
	s_lshl_b64 s[2:3], s[2:3], 4
	s_add_u32 s2, s95, s2
	s_addc_u32 s3, s62, s3
	v_lshlrev_b32_e32 v12, 4, v0
	v_mov_b32_e32 v13, s3
	v_add_co_u32_e64 v12, s[2:3], s2, v12
	v_addc_co_u32_e64 v13, s[2:3], 0, v13, s[2:3]
	v_max_i32_e32 v14, v1, v0
	v_cmp_le_u32_e64 s[2:3], v0, v1
	v_cmp_le_i32_e64 s[8:9], s94, v14
	v_cmp_gt_i32_e32 vcc, s94, v0
	s_or_b64 s[2:3], s[8:9], s[2:3]
	s_and_saveexec_b64 s[8:9], s[2:3]
	s_xor_b64 s[8:9], exec, s[8:9]
	s_cbranch_execz .LBB80_26
; %bb.23:
	v_or_b32_e32 v14, v1, v0
	v_cmp_gt_u32_e64 s[2:3], 32, v14
	s_and_saveexec_b64 s[12:13], s[2:3]
	s_cbranch_execz .LBB80_25
; %bb.24:
	v_mov_b32_e32 v14, 0
	v_lshlrev_b32_e32 v11, 4, v11
	v_mov_b32_e32 v15, v14
	v_mov_b32_e32 v16, v14
	v_mov_b32_e32 v17, v14
	ds_write_b128 v11, v[14:17]
.LBB80_25:
	s_or_b64 exec, exec, s[12:13]
                                        ; implicit-def: $vgpr11
.LBB80_26:
	s_andn2_saveexec_b64 s[8:9], s[8:9]
	s_cbranch_execz .LBB80_28
; %bb.27:
	v_mad_u64_u32 v[14:15], s[2:3], s20, v1, 0
	v_lshlrev_b32_e32 v11, 4, v11
	v_mad_u64_u32 v[15:16], s[2:3], s21, v1, v[15:16]
	v_lshlrev_b64 v[14:15], 4, v[14:15]
	v_add_co_u32_e64 v14, s[2:3], v12, v14
	v_addc_co_u32_e64 v15, s[2:3], v13, v15, s[2:3]
	global_load_dwordx4 v[14:17], v[14:15], off
	s_waitcnt vmcnt(0)
	v_xor_b32_e32 v15, 0x80000000, v15
	v_xor_b32_e32 v17, 0x80000000, v17
	ds_write_b128 v11, v[14:17]
.LBB80_28:
	s_or_b64 exec, exec, s[8:9]
	v_add_u32_e32 v11, 16, v1
	v_add_u32_e32 v10, v11, v10
	v_lshl_add_u32 v14, v11, 5, v0
	v_cndmask_b32_e64 v10, v14, v10, s[0:1]
	v_cmp_gt_u32_e64 s[0:1], v0, v11
	v_cmp_gt_i32_e64 s[2:3], s94, v11
	s_and_b64 s[0:1], s[0:1], s[2:3]
	s_and_b64 s[0:1], s[0:1], vcc
	s_xor_b64 s[0:1], s[0:1], -1
	s_and_saveexec_b64 s[2:3], s[0:1]
	s_xor_b64 s[0:1], exec, s[2:3]
	s_cbranch_execz .LBB80_32
; %bb.29:
	v_or_b32_e32 v11, v11, v0
	v_cmp_gt_u32_e32 vcc, 32, v11
	s_and_saveexec_b64 s[2:3], vcc
	s_cbranch_execz .LBB80_31
; %bb.30:
	v_lshlrev_b32_e32 v14, 4, v10
	v_mov_b32_e32 v10, 0
	v_mov_b32_e32 v11, v10
	;; [unrolled: 1-line block ×4, first 2 shown]
	ds_write_b128 v14, v[10:13]
.LBB80_31:
	s_or_b64 exec, exec, s[2:3]
                                        ; implicit-def: $vgpr11
                                        ; implicit-def: $vgpr12
                                        ; implicit-def: $vgpr13
                                        ; implicit-def: $vgpr10
.LBB80_32:
	s_andn2_saveexec_b64 s[0:1], s[0:1]
	s_cbranch_execz .LBB80_34
; %bb.33:
	v_mad_u64_u32 v[14:15], s[2:3], s20, v11, 0
	v_lshlrev_b32_e32 v10, 4, v10
	v_mad_u64_u32 v[15:16], s[2:3], s21, v11, v[15:16]
	v_lshlrev_b64 v[14:15], 4, v[14:15]
	v_add_co_u32_e32 v11, vcc, v12, v14
	v_addc_co_u32_e32 v12, vcc, v13, v15, vcc
	global_load_dwordx4 v[11:14], v[11:12], off
	s_waitcnt vmcnt(0)
	v_xor_b32_e32 v12, 0x80000000, v12
	v_xor_b32_e32 v14, 0x80000000, v14
	ds_write_b128 v10, v[11:14]
.LBB80_34:
	s_or_b64 exec, exec, s[0:1]
.LBB80_35:
	v_cndmask_b32_e64 v10, 0, 1, s[10:11]
	v_cmp_ne_u32_e64 s[42:43], 1, v10
	s_andn2_b64 vcc, exec, s[10:11]
	s_waitcnt vmcnt(0) lgkmcnt(0)
	s_barrier
	s_cbranch_vccnz .LBB80_459
; %bb.36:
	v_or_b32_e32 v10, v0, v1
	s_mov_b32 s8, 0
	v_cmp_eq_u32_e32 vcc, 0, v10
	s_and_saveexec_b64 s[2:3], vcc
	s_cbranch_execz .LBB80_38
; %bb.37:
	v_mov_b32_e32 v18, 0
	ds_read_b128 v[10:13], v18 offset:16
	s_mov_b32 s11, s8
	s_mov_b32 s9, 0x3ff00000
	;; [unrolled: 1-line block ×3, first 2 shown]
	v_mov_b32_e32 v17, s11
	v_mov_b32_e32 v16, s10
	;; [unrolled: 1-line block ×4, first 2 shown]
	ds_write_b128 v18, v[14:17]
	ds_write_b128 v18, v[14:17] offset:528
	s_waitcnt lgkmcnt(2)
	ds_write_b128 v18, v[10:13] offset:512
.LBB80_38:
	s_or_b64 exec, exec, s[2:3]
	v_and_b32_e32 v17, 1, v0
	v_lshrrev_b32_e32 v16, 1, v22
	v_lshlrev_b32_e32 v14, 4, v17
	v_mov_b32_e32 v12, 0
	v_mov_b32_e32 v10, 0
	v_cmp_lt_u32_e64 s[8:9], 3, v22
	v_cmp_gt_u32_e64 s[2:3], 4, v22
	v_mov_b32_e32 v13, 0
	v_mov_b32_e32 v11, 0
	v_lshl_or_b32 v14, v16, 9, v14
	s_waitcnt lgkmcnt(0)
	s_barrier
	s_and_saveexec_b64 s[12:13], s[2:3]
	s_cbranch_execz .LBB80_42
; %bb.39:
	v_mul_u32_u24_e32 v10, 0x210, v16
	ds_read_b128 v[10:13], v10
	ds_read_b128 v[18:21], v14 offset:32
	v_cmp_gt_u32_e64 s[10:11], 2, v22
	s_waitcnt lgkmcnt(0)
	v_mul_f64 v[23:24], v[12:13], v[20:21]
	v_mul_f64 v[20:21], v[10:11], v[20:21]
	v_fma_f64 v[10:11], v[10:11], v[18:19], -v[23:24]
	v_fma_f64 v[12:13], v[12:13], v[18:19], v[20:21]
	v_add_f64 v[10:11], v[10:11], 0
	v_add_f64 v[12:13], v[12:13], 0
	s_and_saveexec_b64 s[14:15], s[10:11]
	s_cbranch_execz .LBB80_41
; %bb.40:
	v_mov_b32_e32 v18, 0
	v_lshlrev_b32_e32 v15, 4, v0
	ds_read_b128 v[18:21], v18 offset:16
	ds_read_b128 v[23:26], v15 offset:544
	s_waitcnt lgkmcnt(0)
	v_mul_f64 v[27:28], v[20:21], v[25:26]
	v_mul_f64 v[25:26], v[18:19], v[25:26]
	v_fma_f64 v[18:19], v[18:19], v[23:24], -v[27:28]
	v_fma_f64 v[20:21], v[20:21], v[23:24], v[25:26]
	v_add_f64 v[10:11], v[10:11], v[18:19]
	v_add_f64 v[12:13], v[12:13], v[20:21]
.LBB80_41:
	s_or_b64 exec, exec, s[14:15]
	v_xor_b32_e32 v11, 0x80000000, v11
	v_xor_b32_e32 v13, 0x80000000, v13
.LBB80_42:
                                        ; implicit-def: $vgpr43 : SGPR spill to VGPR lane
	v_writelane_b32 v43, s42, 0
	v_writelane_b32 v43, s43, 1
	s_or_b64 exec, exec, s[12:13]
	v_mov_b32_e32 v15, 0x4000
	v_cmp_eq_u32_e64 s[10:11], 0, v17
	s_xor_b64 s[12:13], s[8:9], -1
	v_lshl_add_u32 v15, v16, 4, v15
	s_and_b64 s[42:43], s[10:11], s[12:13]
	s_and_saveexec_b64 s[8:9], s[42:43]
; %bb.43:
	ds_write_b128 v15, v[10:13]
; %bb.44:
	s_or_b64 exec, exec, s[8:9]
	v_cmp_ne_u32_e64 s[8:9], 0, v17
	s_and_b64 s[24:25], s[8:9], s[12:13]
	s_waitcnt lgkmcnt(0)
	s_barrier
	s_and_saveexec_b64 s[8:9], s[24:25]
	s_cbranch_execz .LBB80_46
; %bb.45:
	v_mov_b32_e32 v21, 0
	ds_read_b128 v[17:20], v15
	ds_read_b128 v[23:26], v21 offset:1072
	s_waitcnt lgkmcnt(0)
	v_mul_f64 v[27:28], v[19:20], v[25:26]
	v_mul_f64 v[25:26], v[17:18], v[25:26]
	v_fma_f64 v[17:18], v[17:18], v[23:24], -v[27:28]
	v_fma_f64 v[19:20], v[19:20], v[23:24], v[25:26]
	v_add_f64 v[10:11], v[10:11], v[17:18]
	v_add_f64 v[12:13], v[12:13], v[19:20]
.LBB80_46:
	s_or_b64 exec, exec, s[8:9]
	s_barrier
	s_and_saveexec_b64 s[8:9], s[24:25]
; %bb.47:
	ds_write_b128 v15, v[10:13]
; %bb.48:
	s_or_b64 exec, exec, s[8:9]
	s_waitcnt lgkmcnt(0)
	s_barrier
	s_barrier
	s_and_saveexec_b64 s[8:9], s[2:3]
; %bb.49:
	v_xor_b32_e32 v11, 0x80000000, v11
	v_xor_b32_e32 v13, 0x80000000, v13
	ds_write_b128 v14, v[10:13] offset:32
; %bb.50:
	s_or_b64 exec, exec, s[8:9]
	v_cmp_eq_u32_e64 s[10:11], 0, v1
	v_cmp_gt_u32_e64 s[8:9], 2, v0
	s_and_b64 s[44:45], s[10:11], s[8:9]
	s_waitcnt lgkmcnt(0)
	s_barrier
	s_barrier
	s_and_saveexec_b64 s[8:9], s[44:45]
	s_cbranch_execz .LBB80_52
; %bb.51:
	v_lshlrev_b32_e32 v17, 9, v0
	ds_read_b128 v[10:13], v17 offset:32
	s_movk_i32 s0, 0xfe10
	v_mad_i32_i24 v18, v0, s0, v17
	s_waitcnt lgkmcnt(0)
	ds_write_b128 v18, v[10:13] offset:1024
	ds_read_b128 v[10:13], v17 offset:48
	s_waitcnt lgkmcnt(0)
	ds_write_b128 v18, v[10:13] offset:1536
.LBB80_52:
	s_or_b64 exec, exec, s[8:9]
	s_waitcnt lgkmcnt(0)
	s_barrier
	s_and_saveexec_b64 s[8:9], vcc
	s_cbranch_execz .LBB80_54
; %bb.53:
	s_mov_b32 s12, 0
	v_mov_b32_e32 v21, 0
	ds_read_b128 v[10:13], v21 offset:1072
	s_mov_b32 s15, s12
	s_mov_b32 s13, 0x3ff00000
	;; [unrolled: 1-line block ×3, first 2 shown]
	v_mov_b32_e32 v20, s15
	v_mov_b32_e32 v19, s14
	;; [unrolled: 1-line block ×4, first 2 shown]
	ds_write_b128 v21, v[17:20] offset:1056
	ds_write_b128 v21, v[17:20] offset:1584
	s_waitcnt lgkmcnt(2)
	ds_write_b128 v21, v[10:13] offset:1568
.LBB80_54:
	s_or_b64 exec, exec, s[8:9]
	v_and_b32_e32 v20, 3, v0
	v_lshrrev_b32_e32 v21, 2, v22
	v_lshlrev_b32_e32 v18, 4, v20
	v_mov_b32_e32 v12, 0
	v_mov_b32_e32 v10, 0
	v_cmp_lt_u32_e64 s[8:9], 15, v22
	v_cmp_gt_u32_e64 s[16:17], 16, v22
	v_mov_b32_e32 v13, 0
	v_mov_b32_e32 v11, 0
	v_lshl_or_b32 v17, v21, 9, v18
	s_waitcnt lgkmcnt(0)
	s_barrier
	s_and_saveexec_b64 s[14:15], s[16:17]
	s_cbranch_execz .LBB80_60
; %bb.55:
	v_mul_u32_u24_e32 v19, 0x210, v21
	ds_read_b128 v[10:13], v19
	ds_read_b128 v[23:26], v17 offset:64
	v_cmp_gt_u32_e64 s[12:13], 12, v22
	s_waitcnt lgkmcnt(0)
	v_mul_f64 v[27:28], v[12:13], v[25:26]
	v_mul_f64 v[25:26], v[10:11], v[25:26]
	v_fma_f64 v[10:11], v[10:11], v[23:24], -v[27:28]
	v_fma_f64 v[12:13], v[12:13], v[23:24], v[25:26]
	v_add_f64 v[10:11], v[10:11], 0
	v_add_f64 v[12:13], v[12:13], 0
	s_and_saveexec_b64 s[18:19], s[12:13]
	s_cbranch_execnz .LBB80_517
; %bb.56:
	s_or_b64 exec, exec, s[18:19]
	v_cmp_gt_u32_e64 s[12:13], 8, v22
	s_and_saveexec_b64 s[18:19], s[12:13]
	s_cbranch_execnz .LBB80_518
.LBB80_57:
	s_or_b64 exec, exec, s[18:19]
	v_cmp_gt_u32_e64 s[12:13], 4, v22
	s_and_saveexec_b64 s[18:19], s[12:13]
	s_cbranch_execz .LBB80_59
.LBB80_58:
	v_mov_b32_e32 v23, 0
	v_lshlrev_b32_e32 v19, 4, v0
	ds_read_b128 v[23:26], v23 offset:48
	ds_read_b128 v[27:30], v19 offset:1600
	s_waitcnt lgkmcnt(0)
	v_mul_f64 v[31:32], v[25:26], v[29:30]
	v_mul_f64 v[29:30], v[23:24], v[29:30]
	v_fma_f64 v[23:24], v[23:24], v[27:28], -v[31:32]
	v_fma_f64 v[25:26], v[25:26], v[27:28], v[29:30]
	v_add_f64 v[10:11], v[10:11], v[23:24]
	v_add_f64 v[12:13], v[12:13], v[25:26]
.LBB80_59:
	s_or_b64 exec, exec, s[18:19]
	v_xor_b32_e32 v11, 0x80000000, v11
	v_xor_b32_e32 v13, 0x80000000, v13
.LBB80_60:
	s_or_b64 exec, exec, s[14:15]
	v_mov_b32_e32 v19, 0x4000
	v_cmp_eq_u32_e64 s[12:13], 0, v20
	s_xor_b64 s[14:15], s[8:9], -1
	v_lshl_add_u32 v19, v21, 4, v19
	s_and_b64 s[48:49], s[12:13], s[14:15]
	s_and_saveexec_b64 s[8:9], s[48:49]
; %bb.61:
	ds_write_b128 v19, v[10:13]
; %bb.62:
	s_or_b64 exec, exec, s[8:9]
	v_cmp_ne_u32_e64 s[8:9], 0, v20
	s_and_b64 s[50:51], s[8:9], s[14:15]
	s_waitcnt lgkmcnt(0)
	s_barrier
	s_and_saveexec_b64 s[8:9], s[50:51]
	s_cbranch_execz .LBB80_64
; %bb.63:
	ds_read_b128 v[23:26], v19
	ds_read_b128 v[27:30], v18 offset:2112
	s_waitcnt lgkmcnt(0)
	v_mul_f64 v[31:32], v[25:26], v[29:30]
	v_mul_f64 v[29:30], v[23:24], v[29:30]
	v_fma_f64 v[23:24], v[23:24], v[27:28], -v[31:32]
	v_fma_f64 v[25:26], v[25:26], v[27:28], v[29:30]
	v_add_f64 v[10:11], v[10:11], v[23:24]
	v_add_f64 v[12:13], v[12:13], v[25:26]
.LBB80_64:
	s_or_b64 exec, exec, s[8:9]
	v_cmp_eq_u32_e64 s[8:9], 1, v20
	s_and_b64 s[52:53], s[8:9], s[14:15]
	s_barrier
	s_and_saveexec_b64 s[8:9], s[52:53]
; %bb.65:
	ds_write_b128 v19, v[10:13]
; %bb.66:
	s_or_b64 exec, exec, s[8:9]
	v_cmp_lt_u32_e64 s[8:9], 1, v20
	s_and_b64 s[54:55], s[8:9], s[14:15]
	s_waitcnt lgkmcnt(0)
	s_barrier
	s_and_saveexec_b64 s[8:9], s[54:55]
	s_cbranch_execz .LBB80_68
; %bb.67:
	ds_read_b128 v[23:26], v19
	ds_read_b128 v[27:30], v18 offset:2624
	s_waitcnt lgkmcnt(0)
	v_mul_f64 v[31:32], v[25:26], v[29:30]
	v_mul_f64 v[29:30], v[23:24], v[29:30]
	v_fma_f64 v[23:24], v[23:24], v[27:28], -v[31:32]
	v_fma_f64 v[25:26], v[25:26], v[27:28], v[29:30]
	v_add_f64 v[10:11], v[10:11], v[23:24]
	v_add_f64 v[12:13], v[12:13], v[25:26]
.LBB80_68:
	s_or_b64 exec, exec, s[8:9]
	v_cmp_eq_u32_e64 s[8:9], 2, v20
	s_and_b64 s[56:57], s[8:9], s[14:15]
	s_barrier
	s_and_saveexec_b64 s[8:9], s[56:57]
; %bb.69:
	ds_write_b128 v19, v[10:13]
; %bb.70:
	s_or_b64 exec, exec, s[8:9]
	v_cmp_eq_u32_e64 s[8:9], 3, v20
	s_and_b64 s[46:47], s[8:9], s[14:15]
	s_waitcnt lgkmcnt(0)
	s_barrier
	s_and_saveexec_b64 s[8:9], s[46:47]
	s_cbranch_execz .LBB80_72
; %bb.71:
	v_mov_b32_e32 v27, 0
	ds_read_b128 v[23:26], v19
	ds_read_b128 v[27:30], v27 offset:3184
	s_waitcnt lgkmcnt(0)
	v_mul_f64 v[31:32], v[25:26], v[29:30]
	v_mul_f64 v[29:30], v[23:24], v[29:30]
	v_fma_f64 v[23:24], v[23:24], v[27:28], -v[31:32]
	v_fma_f64 v[25:26], v[25:26], v[27:28], v[29:30]
	v_add_f64 v[10:11], v[10:11], v[23:24]
	v_add_f64 v[12:13], v[12:13], v[25:26]
.LBB80_72:
	s_or_b64 exec, exec, s[8:9]
	s_barrier
	s_and_saveexec_b64 s[8:9], s[46:47]
; %bb.73:
	ds_write_b128 v19, v[10:13]
; %bb.74:
	s_or_b64 exec, exec, s[8:9]
	s_waitcnt lgkmcnt(0)
	s_barrier
	s_barrier
	s_and_saveexec_b64 s[8:9], s[16:17]
; %bb.75:
	v_xor_b32_e32 v13, 0x80000000, v13
	v_xor_b32_e32 v11, 0x80000000, v11
	ds_write_b128 v17, v[10:13] offset:64
; %bb.76:
	s_or_b64 exec, exec, s[8:9]
	v_cmp_gt_u32_e64 s[8:9], 4, v0
	s_and_b64 s[58:59], s[10:11], s[8:9]
	s_waitcnt lgkmcnt(0)
	s_barrier
	s_barrier
	s_and_saveexec_b64 s[8:9], s[58:59]
	s_cbranch_execz .LBB80_78
; %bb.77:
	v_lshlrev_b32_e32 v23, 4, v0
	s_movk_i32 s0, 0x1f0
	v_mad_u32_u24 v24, v0, s0, v23
	ds_read_b128 v[10:13], v24 offset:64
	s_waitcnt lgkmcnt(0)
	ds_write_b128 v23, v[10:13] offset:2048
	ds_read_b128 v[10:13], v24 offset:80
	s_waitcnt lgkmcnt(0)
	ds_write_b128 v23, v[10:13] offset:2560
	;; [unrolled: 3-line block ×4, first 2 shown]
.LBB80_78:
	s_or_b64 exec, exec, s[8:9]
	s_waitcnt lgkmcnt(0)
	s_barrier
	s_and_saveexec_b64 s[8:9], vcc
	s_cbranch_execz .LBB80_80
; %bb.79:
	s_mov_b32 s12, 0
	v_mov_b32_e32 v27, 0
	ds_read_b128 v[10:13], v27 offset:2128
	s_mov_b32 s15, s12
	s_mov_b32 s13, 0x3ff00000
	;; [unrolled: 1-line block ×3, first 2 shown]
	v_mov_b32_e32 v26, s15
	v_mov_b32_e32 v25, s14
	;; [unrolled: 1-line block ×4, first 2 shown]
	ds_write_b128 v27, v[23:26] offset:2112
	ds_write_b128 v27, v[23:26] offset:2640
	s_waitcnt lgkmcnt(2)
	ds_write_b128 v27, v[10:13] offset:2624
.LBB80_80:
	s_or_b64 exec, exec, s[8:9]
	v_mov_b32_e32 v12, 0
	v_mov_b32_e32 v10, 0
	;; [unrolled: 1-line block ×4, first 2 shown]
	s_waitcnt lgkmcnt(0)
	s_barrier
	s_and_saveexec_b64 s[12:13], s[2:3]
	s_cbranch_execz .LBB80_84
; %bb.81:
	v_mul_u32_u24_e32 v10, 0x210, v16
	ds_read_b128 v[10:13], v10 offset:2112
	ds_read_b128 v[23:26], v14 offset:2144
	v_cmp_gt_u32_e64 s[8:9], 2, v22
	s_waitcnt lgkmcnt(0)
	v_mul_f64 v[27:28], v[12:13], v[25:26]
	v_mul_f64 v[25:26], v[10:11], v[25:26]
	v_fma_f64 v[10:11], v[10:11], v[23:24], -v[27:28]
	v_fma_f64 v[12:13], v[12:13], v[23:24], v[25:26]
	v_add_f64 v[10:11], v[10:11], 0
	v_add_f64 v[12:13], v[12:13], 0
	s_and_saveexec_b64 s[14:15], s[8:9]
	s_cbranch_execz .LBB80_83
; %bb.82:
	v_lshlrev_b32_e32 v27, 4, v0
	v_mov_b32_e32 v23, 0
	ds_read_b128 v[23:26], v23 offset:2128
	ds_read_b128 v[27:30], v27 offset:2656
	s_waitcnt lgkmcnt(0)
	v_mul_f64 v[31:32], v[25:26], v[29:30]
	v_mul_f64 v[29:30], v[23:24], v[29:30]
	v_fma_f64 v[23:24], v[23:24], v[27:28], -v[31:32]
	v_fma_f64 v[25:26], v[25:26], v[27:28], v[29:30]
	v_add_f64 v[10:11], v[10:11], v[23:24]
	v_add_f64 v[12:13], v[12:13], v[25:26]
.LBB80_83:
	s_or_b64 exec, exec, s[14:15]
	v_xor_b32_e32 v11, 0x80000000, v11
	v_xor_b32_e32 v13, 0x80000000, v13
.LBB80_84:
	s_or_b64 exec, exec, s[12:13]
	s_and_saveexec_b64 s[8:9], s[42:43]
; %bb.85:
	ds_write_b128 v15, v[10:13]
; %bb.86:
	s_or_b64 exec, exec, s[8:9]
	s_waitcnt lgkmcnt(0)
	s_barrier
	s_and_saveexec_b64 s[8:9], s[24:25]
	s_cbranch_execz .LBB80_88
; %bb.87:
	v_mov_b32_e32 v27, 0
	ds_read_b128 v[23:26], v15
	ds_read_b128 v[27:30], v27 offset:3184
	s_waitcnt lgkmcnt(0)
	v_mul_f64 v[31:32], v[25:26], v[29:30]
	v_mul_f64 v[29:30], v[23:24], v[29:30]
	v_fma_f64 v[23:24], v[23:24], v[27:28], -v[31:32]
	v_fma_f64 v[25:26], v[25:26], v[27:28], v[29:30]
	v_add_f64 v[10:11], v[10:11], v[23:24]
	v_add_f64 v[12:13], v[12:13], v[25:26]
.LBB80_88:
	s_or_b64 exec, exec, s[8:9]
	s_barrier
	s_and_saveexec_b64 s[8:9], s[24:25]
; %bb.89:
	ds_write_b128 v15, v[10:13]
; %bb.90:
	s_or_b64 exec, exec, s[8:9]
	s_waitcnt lgkmcnt(0)
	s_barrier
	s_barrier
	s_and_saveexec_b64 s[8:9], s[2:3]
; %bb.91:
	v_xor_b32_e32 v11, 0x80000000, v11
	v_xor_b32_e32 v13, 0x80000000, v13
	ds_write_b128 v14, v[10:13] offset:2144
; %bb.92:
	s_or_b64 exec, exec, s[8:9]
	s_waitcnt lgkmcnt(0)
	s_barrier
	s_barrier
	s_and_saveexec_b64 s[8:9], s[44:45]
	s_cbranch_execz .LBB80_94
; %bb.93:
	v_lshlrev_b32_e32 v23, 9, v0
	ds_read_b128 v[10:13], v23 offset:2144
	s_movk_i32 s0, 0xfe10
	v_mad_i32_i24 v24, v0, s0, v23
	s_waitcnt lgkmcnt(0)
	ds_write_b128 v24, v[10:13] offset:3136
	ds_read_b128 v[10:13], v23 offset:2160
	s_waitcnt lgkmcnt(0)
	ds_write_b128 v24, v[10:13] offset:3648
.LBB80_94:
	s_or_b64 exec, exec, s[8:9]
	s_waitcnt lgkmcnt(0)
	s_barrier
	s_and_saveexec_b64 s[8:9], vcc
	s_cbranch_execz .LBB80_96
; %bb.95:
	s_mov_b32 s12, 0
	v_mov_b32_e32 v27, 0
	ds_read_b128 v[10:13], v27 offset:3184
	s_mov_b32 s15, s12
	s_mov_b32 s13, 0x3ff00000
	;; [unrolled: 1-line block ×3, first 2 shown]
	v_mov_b32_e32 v26, s15
	v_mov_b32_e32 v25, s14
	;; [unrolled: 1-line block ×4, first 2 shown]
	ds_write_b128 v27, v[23:26] offset:3168
	ds_write_b128 v27, v[23:26] offset:3696
	s_waitcnt lgkmcnt(2)
	ds_write_b128 v27, v[10:13] offset:3680
.LBB80_96:
	s_or_b64 exec, exec, s[8:9]
	v_and_b32_e32 v26, 7, v0
	v_lshrrev_b32_e32 v27, 3, v22
	v_lshlrev_b32_e32 v24, 4, v26
	v_mov_b32_e32 v12, 0
	v_mov_b32_e32 v10, 0
	v_cmp_lt_u32_e64 s[12:13], 63, v22
	v_cmp_gt_u32_e64 s[8:9], 64, v22
	v_mov_b32_e32 v13, 0
	v_mov_b32_e32 v11, 0
	v_lshl_or_b32 v23, v27, 9, v24
	s_waitcnt lgkmcnt(0)
	s_barrier
	s_and_saveexec_b64 s[18:19], s[8:9]
	s_cbranch_execz .LBB80_106
; %bb.97:
	v_mul_u32_u24_e32 v25, 0x210, v27
	ds_read_b128 v[10:13], v25
	ds_read_b128 v[28:31], v23 offset:128
	v_cmp_gt_u32_e64 s[14:15], 56, v22
	s_waitcnt lgkmcnt(0)
	v_mul_f64 v[32:33], v[12:13], v[30:31]
	v_mul_f64 v[30:31], v[10:11], v[30:31]
	v_fma_f64 v[10:11], v[10:11], v[28:29], -v[32:33]
	v_fma_f64 v[12:13], v[12:13], v[28:29], v[30:31]
	v_add_f64 v[10:11], v[10:11], 0
	v_add_f64 v[12:13], v[12:13], 0
	s_and_saveexec_b64 s[60:61], s[14:15]
	s_cbranch_execnz .LBB80_519
; %bb.98:
	s_or_b64 exec, exec, s[60:61]
	v_cmp_gt_u32_e64 s[14:15], 48, v22
	s_and_saveexec_b64 s[60:61], s[14:15]
	s_cbranch_execnz .LBB80_520
.LBB80_99:
	s_or_b64 exec, exec, s[60:61]
	v_cmp_gt_u32_e64 s[14:15], 40, v22
	s_and_saveexec_b64 s[60:61], s[14:15]
	s_cbranch_execnz .LBB80_521
.LBB80_100:
	s_or_b64 exec, exec, s[60:61]
	v_cmp_gt_u32_e64 s[14:15], 32, v22
	s_and_saveexec_b64 s[60:61], s[14:15]
	s_cbranch_execnz .LBB80_522
.LBB80_101:
	s_or_b64 exec, exec, s[60:61]
	v_cmp_gt_u32_e64 s[14:15], 24, v22
	s_and_saveexec_b64 s[60:61], s[14:15]
	s_cbranch_execnz .LBB80_523
.LBB80_102:
	s_or_b64 exec, exec, s[60:61]
	v_cmp_gt_u32_e64 s[14:15], 16, v22
	s_and_saveexec_b64 s[60:61], s[14:15]
	s_cbranch_execnz .LBB80_524
.LBB80_103:
	s_or_b64 exec, exec, s[60:61]
	v_cmp_gt_u32_e64 s[14:15], 8, v22
	s_and_saveexec_b64 s[60:61], s[14:15]
	s_cbranch_execz .LBB80_105
.LBB80_104:
	v_mov_b32_e32 v28, 0
	v_lshlrev_b32_e32 v25, 4, v0
	ds_read_b128 v[28:31], v28 offset:112
	ds_read_b128 v[32:35], v25 offset:3712
	s_waitcnt lgkmcnt(0)
	v_mul_f64 v[36:37], v[30:31], v[34:35]
	v_mul_f64 v[34:35], v[28:29], v[34:35]
	v_fma_f64 v[28:29], v[28:29], v[32:33], -v[36:37]
	v_fma_f64 v[30:31], v[30:31], v[32:33], v[34:35]
	v_add_f64 v[10:11], v[10:11], v[28:29]
	v_add_f64 v[12:13], v[12:13], v[30:31]
.LBB80_105:
	s_or_b64 exec, exec, s[60:61]
	v_xor_b32_e32 v11, 0x80000000, v11
	v_xor_b32_e32 v13, 0x80000000, v13
.LBB80_106:
	s_or_b64 exec, exec, s[18:19]
	v_mov_b32_e32 v25, 0x4000
	v_lshl_add_u32 v25, v27, 4, v25
	v_cmp_eq_u32_e64 s[14:15], 0, v26
	s_xor_b64 s[18:19], s[12:13], -1
	s_and_b64 s[0:1], s[14:15], s[18:19]
	s_mov_b64 s[12:13], exec
	v_writelane_b32 v43, s0, 2
	v_writelane_b32 v43, s1, 3
	s_and_b64 s[0:1], s[12:13], s[0:1]
	s_mov_b64 exec, s[0:1]
; %bb.107:
	ds_write_b128 v25, v[10:13]
; %bb.108:
	s_or_b64 exec, exec, s[12:13]
	v_cmp_ne_u32_e64 s[12:13], 0, v26
	s_waitcnt lgkmcnt(0)
	s_barrier
	s_and_b64 s[0:1], s[12:13], s[18:19]
	s_mov_b64 s[12:13], exec
	v_writelane_b32 v43, s0, 4
	v_writelane_b32 v43, s1, 5
	s_and_b64 s[0:1], s[12:13], s[0:1]
	s_mov_b64 exec, s[0:1]
	s_cbranch_execz .LBB80_110
; %bb.109:
	ds_read_b128 v[28:31], v25
	ds_read_b128 v[32:35], v24 offset:4224
	s_waitcnt lgkmcnt(0)
	v_mul_f64 v[36:37], v[30:31], v[34:35]
	v_mul_f64 v[34:35], v[28:29], v[34:35]
	v_fma_f64 v[28:29], v[28:29], v[32:33], -v[36:37]
	v_fma_f64 v[30:31], v[30:31], v[32:33], v[34:35]
	v_add_f64 v[10:11], v[10:11], v[28:29]
	v_add_f64 v[12:13], v[12:13], v[30:31]
.LBB80_110:
	s_or_b64 exec, exec, s[12:13]
	v_cmp_eq_u32_e64 s[12:13], 1, v26
	s_and_b64 s[0:1], s[12:13], s[18:19]
	s_barrier
	s_and_saveexec_b64 s[12:13], s[0:1]
; %bb.111:
	ds_write_b128 v25, v[10:13]
; %bb.112:
	s_or_b64 exec, exec, s[12:13]
	v_cmp_lt_u32_e64 s[12:13], 1, v26
	s_and_b64 s[68:69], s[12:13], s[18:19]
	s_waitcnt lgkmcnt(0)
	s_barrier
	s_and_saveexec_b64 s[12:13], s[68:69]
	s_cbranch_execz .LBB80_114
; %bb.113:
	ds_read_b128 v[28:31], v25
	ds_read_b128 v[32:35], v24 offset:4736
	s_waitcnt lgkmcnt(0)
	v_mul_f64 v[36:37], v[30:31], v[34:35]
	v_mul_f64 v[34:35], v[28:29], v[34:35]
	v_fma_f64 v[28:29], v[28:29], v[32:33], -v[36:37]
	v_fma_f64 v[30:31], v[30:31], v[32:33], v[34:35]
	v_add_f64 v[10:11], v[10:11], v[28:29]
	v_add_f64 v[12:13], v[12:13], v[30:31]
.LBB80_114:
	s_or_b64 exec, exec, s[12:13]
	v_cmp_eq_u32_e64 s[12:13], 2, v26
	s_and_b64 s[70:71], s[12:13], s[18:19]
	s_barrier
	s_and_saveexec_b64 s[12:13], s[70:71]
; %bb.115:
	ds_write_b128 v25, v[10:13]
; %bb.116:
	s_or_b64 exec, exec, s[12:13]
	v_cmp_lt_u32_e64 s[12:13], 2, v26
	s_and_b64 s[72:73], s[12:13], s[18:19]
	s_waitcnt lgkmcnt(0)
	s_barrier
	s_and_saveexec_b64 s[12:13], s[72:73]
	;; [unrolled: 26-line block ×5, first 2 shown]
	s_cbranch_execz .LBB80_130
; %bb.129:
	ds_read_b128 v[28:31], v25
	ds_read_b128 v[32:35], v24 offset:6784
	s_waitcnt lgkmcnt(0)
	v_mul_f64 v[36:37], v[30:31], v[34:35]
	v_mul_f64 v[34:35], v[28:29], v[34:35]
	v_fma_f64 v[28:29], v[28:29], v[32:33], -v[36:37]
	v_fma_f64 v[30:31], v[30:31], v[32:33], v[34:35]
	v_add_f64 v[10:11], v[10:11], v[28:29]
	v_add_f64 v[12:13], v[12:13], v[30:31]
.LBB80_130:
	s_or_b64 exec, exec, s[12:13]
	v_cmp_eq_u32_e64 s[12:13], 6, v26
	s_and_b64 s[86:87], s[12:13], s[18:19]
	s_barrier
	s_and_saveexec_b64 s[12:13], s[86:87]
; %bb.131:
	ds_write_b128 v25, v[10:13]
; %bb.132:
	s_or_b64 exec, exec, s[12:13]
	v_cmp_eq_u32_e64 s[12:13], 7, v26
	s_and_b64 s[60:61], s[12:13], s[18:19]
	s_waitcnt lgkmcnt(0)
	s_barrier
	s_and_saveexec_b64 s[12:13], s[60:61]
	s_cbranch_execz .LBB80_134
; %bb.133:
	v_mov_b32_e32 v32, 0
	ds_read_b128 v[28:31], v25
	ds_read_b128 v[32:35], v32 offset:7408
	s_waitcnt lgkmcnt(0)
	v_mul_f64 v[36:37], v[30:31], v[34:35]
	v_mul_f64 v[34:35], v[28:29], v[34:35]
	v_fma_f64 v[28:29], v[28:29], v[32:33], -v[36:37]
	v_fma_f64 v[30:31], v[30:31], v[32:33], v[34:35]
	v_add_f64 v[10:11], v[10:11], v[28:29]
	v_add_f64 v[12:13], v[12:13], v[30:31]
.LBB80_134:
	s_or_b64 exec, exec, s[12:13]
	s_barrier
	s_and_saveexec_b64 s[12:13], s[60:61]
; %bb.135:
	ds_write_b128 v25, v[10:13]
; %bb.136:
	s_or_b64 exec, exec, s[12:13]
	s_waitcnt lgkmcnt(0)
	s_barrier
	s_barrier
	s_and_saveexec_b64 s[12:13], s[8:9]
; %bb.137:
	v_xor_b32_e32 v11, 0x80000000, v11
	v_xor_b32_e32 v13, 0x80000000, v13
	ds_write_b128 v23, v[10:13] offset:128
; %bb.138:
	s_or_b64 exec, exec, s[12:13]
	v_cmp_gt_u32_e64 s[12:13], 8, v0
	s_and_b64 s[88:89], s[10:11], s[12:13]
	s_waitcnt lgkmcnt(0)
	s_barrier
	s_barrier
	s_and_saveexec_b64 s[12:13], s[88:89]
	s_cbranch_execz .LBB80_140
; %bb.139:
	v_lshlrev_b32_e32 v28, 9, v0
	ds_read_b128 v[10:13], v28 offset:128
	s_movk_i32 s14, 0xfe10
	v_mad_i32_i24 v29, v0, s14, v28
	s_waitcnt lgkmcnt(0)
	ds_write_b128 v29, v[10:13] offset:4096
	ds_read_b128 v[10:13], v28 offset:144
	s_waitcnt lgkmcnt(0)
	ds_write_b128 v29, v[10:13] offset:4608
	ds_read_b128 v[10:13], v28 offset:160
	;; [unrolled: 3-line block ×7, first 2 shown]
	s_waitcnt lgkmcnt(0)
	ds_write_b128 v29, v[10:13] offset:7680
.LBB80_140:
	s_or_b64 exec, exec, s[12:13]
	s_waitcnt lgkmcnt(0)
	s_barrier
	s_and_saveexec_b64 s[12:13], vcc
	s_cbranch_execz .LBB80_142
; %bb.141:
	v_mov_b32_e32 v32, 0
	s_mov_b32 s64, 0
	ds_read_b128 v[10:13], v32 offset:4240
	s_mov_b32 s65, 0x3ff00000
	s_mov_b32 s66, s64
	;; [unrolled: 1-line block ×3, first 2 shown]
	v_mov_b32_e32 v28, s64
	v_mov_b32_e32 v29, s65
	;; [unrolled: 1-line block ×4, first 2 shown]
	ds_write_b128 v32, v[28:31] offset:4224
	ds_write_b128 v32, v[28:31] offset:4752
	s_waitcnt lgkmcnt(2)
	ds_write_b128 v32, v[10:13] offset:4736
.LBB80_142:
	s_or_b64 exec, exec, s[12:13]
	v_mov_b32_e32 v12, 0
	v_mov_b32_e32 v10, 0
	;; [unrolled: 1-line block ×4, first 2 shown]
	s_waitcnt lgkmcnt(0)
	s_barrier
	s_and_saveexec_b64 s[14:15], s[2:3]
	s_cbranch_execz .LBB80_146
; %bb.143:
	v_mul_u32_u24_e32 v10, 0x210, v16
	ds_read_b128 v[10:13], v10 offset:4224
	ds_read_b128 v[28:31], v14 offset:4256
	v_cmp_gt_u32_e64 s[12:13], 2, v22
	s_waitcnt lgkmcnt(0)
	v_mul_f64 v[32:33], v[12:13], v[30:31]
	v_mul_f64 v[30:31], v[10:11], v[30:31]
	v_fma_f64 v[10:11], v[10:11], v[28:29], -v[32:33]
	v_fma_f64 v[12:13], v[12:13], v[28:29], v[30:31]
	v_add_f64 v[10:11], v[10:11], 0
	v_add_f64 v[12:13], v[12:13], 0
	s_and_saveexec_b64 s[18:19], s[12:13]
	s_cbranch_execz .LBB80_145
; %bb.144:
	v_lshlrev_b32_e32 v32, 4, v0
	v_mov_b32_e32 v28, 0
	ds_read_b128 v[28:31], v28 offset:4240
	ds_read_b128 v[32:35], v32 offset:4768
	s_waitcnt lgkmcnt(0)
	v_mul_f64 v[36:37], v[30:31], v[34:35]
	v_mul_f64 v[34:35], v[28:29], v[34:35]
	v_fma_f64 v[28:29], v[28:29], v[32:33], -v[36:37]
	v_fma_f64 v[30:31], v[30:31], v[32:33], v[34:35]
	v_add_f64 v[10:11], v[10:11], v[28:29]
	v_add_f64 v[12:13], v[12:13], v[30:31]
.LBB80_145:
	s_or_b64 exec, exec, s[18:19]
	v_xor_b32_e32 v11, 0x80000000, v11
	v_xor_b32_e32 v13, 0x80000000, v13
.LBB80_146:
	s_or_b64 exec, exec, s[14:15]
	s_and_saveexec_b64 s[12:13], s[42:43]
; %bb.147:
	ds_write_b128 v15, v[10:13]
; %bb.148:
	s_or_b64 exec, exec, s[12:13]
	s_waitcnt lgkmcnt(0)
	s_barrier
	s_and_saveexec_b64 s[12:13], s[24:25]
	s_cbranch_execz .LBB80_150
; %bb.149:
	v_mov_b32_e32 v32, 0
	ds_read_b128 v[28:31], v15
	ds_read_b128 v[32:35], v32 offset:5296
	s_waitcnt lgkmcnt(0)
	v_mul_f64 v[36:37], v[30:31], v[34:35]
	v_mul_f64 v[34:35], v[28:29], v[34:35]
	v_fma_f64 v[28:29], v[28:29], v[32:33], -v[36:37]
	v_fma_f64 v[30:31], v[30:31], v[32:33], v[34:35]
	v_add_f64 v[10:11], v[10:11], v[28:29]
	v_add_f64 v[12:13], v[12:13], v[30:31]
.LBB80_150:
	s_or_b64 exec, exec, s[12:13]
	s_barrier
	s_and_saveexec_b64 s[12:13], s[24:25]
; %bb.151:
	ds_write_b128 v15, v[10:13]
; %bb.152:
	s_or_b64 exec, exec, s[12:13]
	s_waitcnt lgkmcnt(0)
	s_barrier
	s_barrier
	s_and_saveexec_b64 s[12:13], s[2:3]
; %bb.153:
	v_xor_b32_e32 v11, 0x80000000, v11
	v_xor_b32_e32 v13, 0x80000000, v13
	ds_write_b128 v14, v[10:13] offset:4256
; %bb.154:
	s_or_b64 exec, exec, s[12:13]
	s_waitcnt lgkmcnt(0)
	s_barrier
	s_barrier
	s_and_saveexec_b64 s[12:13], s[44:45]
	s_cbranch_execz .LBB80_156
; %bb.155:
	v_lshlrev_b32_e32 v28, 9, v0
	ds_read_b128 v[10:13], v28 offset:4256
	s_movk_i32 s14, 0xfe10
	v_mad_i32_i24 v29, v0, s14, v28
	s_waitcnt lgkmcnt(0)
	ds_write_b128 v29, v[10:13] offset:5248
	ds_read_b128 v[10:13], v28 offset:4272
	s_waitcnt lgkmcnt(0)
	ds_write_b128 v29, v[10:13] offset:5760
.LBB80_156:
	s_or_b64 exec, exec, s[12:13]
	s_waitcnt lgkmcnt(0)
	s_barrier
	s_and_saveexec_b64 s[12:13], vcc
	s_cbranch_execz .LBB80_158
; %bb.157:
	v_mov_b32_e32 v32, 0
	s_mov_b32 s64, 0
	ds_read_b128 v[10:13], v32 offset:5296
	s_mov_b32 s65, 0x3ff00000
	s_mov_b32 s66, s64
	;; [unrolled: 1-line block ×3, first 2 shown]
	v_mov_b32_e32 v28, s64
	v_mov_b32_e32 v29, s65
	;; [unrolled: 1-line block ×4, first 2 shown]
	ds_write_b128 v32, v[28:31] offset:5280
	ds_write_b128 v32, v[28:31] offset:5808
	s_waitcnt lgkmcnt(2)
	ds_write_b128 v32, v[10:13] offset:5792
.LBB80_158:
	s_or_b64 exec, exec, s[12:13]
	v_mov_b32_e32 v12, 0
	v_mov_b32_e32 v10, 0
	;; [unrolled: 1-line block ×4, first 2 shown]
	s_waitcnt lgkmcnt(0)
	s_barrier
	s_and_saveexec_b64 s[14:15], s[16:17]
	s_cbranch_execz .LBB80_164
; %bb.159:
	v_mul_u32_u24_e32 v28, 0x210, v21
	ds_read_b128 v[10:13], v28 offset:4224
	ds_read_b128 v[29:32], v17 offset:4288
	v_cmp_gt_u32_e64 s[12:13], 12, v22
	s_waitcnt lgkmcnt(0)
	v_mul_f64 v[33:34], v[12:13], v[31:32]
	v_mul_f64 v[31:32], v[10:11], v[31:32]
	v_fma_f64 v[10:11], v[10:11], v[29:30], -v[33:34]
	v_fma_f64 v[12:13], v[12:13], v[29:30], v[31:32]
	v_add_f64 v[10:11], v[10:11], 0
	v_add_f64 v[12:13], v[12:13], 0
	s_and_saveexec_b64 s[18:19], s[12:13]
	s_cbranch_execnz .LBB80_525
; %bb.160:
	s_or_b64 exec, exec, s[18:19]
	v_cmp_gt_u32_e64 s[12:13], 8, v22
	s_and_saveexec_b64 s[18:19], s[12:13]
	s_cbranch_execnz .LBB80_526
.LBB80_161:
	s_or_b64 exec, exec, s[18:19]
	v_cmp_gt_u32_e64 s[12:13], 4, v22
	s_and_saveexec_b64 s[18:19], s[12:13]
	s_cbranch_execz .LBB80_163
.LBB80_162:
	v_lshlrev_b32_e32 v32, 4, v0
	v_mov_b32_e32 v28, 0
	ds_read_b128 v[28:31], v28 offset:4272
	ds_read_b128 v[32:35], v32 offset:5824
	s_waitcnt lgkmcnt(0)
	v_mul_f64 v[36:37], v[30:31], v[34:35]
	v_mul_f64 v[34:35], v[28:29], v[34:35]
	v_fma_f64 v[28:29], v[28:29], v[32:33], -v[36:37]
	v_fma_f64 v[30:31], v[30:31], v[32:33], v[34:35]
	v_add_f64 v[10:11], v[10:11], v[28:29]
	v_add_f64 v[12:13], v[12:13], v[30:31]
.LBB80_163:
	s_or_b64 exec, exec, s[18:19]
	v_xor_b32_e32 v11, 0x80000000, v11
	v_xor_b32_e32 v13, 0x80000000, v13
.LBB80_164:
	s_or_b64 exec, exec, s[14:15]
	s_and_saveexec_b64 s[12:13], s[48:49]
; %bb.165:
	ds_write_b128 v19, v[10:13]
; %bb.166:
	s_or_b64 exec, exec, s[12:13]
	s_waitcnt lgkmcnt(0)
	s_barrier
	s_and_saveexec_b64 s[12:13], s[50:51]
	s_cbranch_execz .LBB80_168
; %bb.167:
	ds_read_b128 v[28:31], v19
	ds_read_b128 v[32:35], v18 offset:6336
	s_waitcnt lgkmcnt(0)
	v_mul_f64 v[36:37], v[30:31], v[34:35]
	v_mul_f64 v[34:35], v[28:29], v[34:35]
	v_fma_f64 v[28:29], v[28:29], v[32:33], -v[36:37]
	v_fma_f64 v[30:31], v[30:31], v[32:33], v[34:35]
	v_add_f64 v[10:11], v[10:11], v[28:29]
	v_add_f64 v[12:13], v[12:13], v[30:31]
.LBB80_168:
	s_or_b64 exec, exec, s[12:13]
	s_barrier
	s_and_saveexec_b64 s[12:13], s[52:53]
; %bb.169:
	ds_write_b128 v19, v[10:13]
; %bb.170:
	s_or_b64 exec, exec, s[12:13]
	s_waitcnt lgkmcnt(0)
	s_barrier
	s_and_saveexec_b64 s[12:13], s[54:55]
	s_cbranch_execz .LBB80_172
; %bb.171:
	ds_read_b128 v[28:31], v19
	ds_read_b128 v[32:35], v18 offset:6848
	s_waitcnt lgkmcnt(0)
	v_mul_f64 v[36:37], v[30:31], v[34:35]
	v_mul_f64 v[34:35], v[28:29], v[34:35]
	v_fma_f64 v[28:29], v[28:29], v[32:33], -v[36:37]
	v_fma_f64 v[30:31], v[30:31], v[32:33], v[34:35]
	v_add_f64 v[10:11], v[10:11], v[28:29]
	v_add_f64 v[12:13], v[12:13], v[30:31]
.LBB80_172:
	s_or_b64 exec, exec, s[12:13]
	s_barrier
	s_and_saveexec_b64 s[12:13], s[56:57]
; %bb.173:
	ds_write_b128 v19, v[10:13]
; %bb.174:
	s_or_b64 exec, exec, s[12:13]
	s_waitcnt lgkmcnt(0)
	s_barrier
	s_and_saveexec_b64 s[12:13], s[46:47]
	s_cbranch_execz .LBB80_176
; %bb.175:
	v_mov_b32_e32 v32, 0
	ds_read_b128 v[28:31], v19
	ds_read_b128 v[32:35], v32 offset:7408
	s_waitcnt lgkmcnt(0)
	v_mul_f64 v[36:37], v[30:31], v[34:35]
	v_mul_f64 v[34:35], v[28:29], v[34:35]
	v_fma_f64 v[28:29], v[28:29], v[32:33], -v[36:37]
	v_fma_f64 v[30:31], v[30:31], v[32:33], v[34:35]
	v_add_f64 v[10:11], v[10:11], v[28:29]
	v_add_f64 v[12:13], v[12:13], v[30:31]
.LBB80_176:
	s_or_b64 exec, exec, s[12:13]
	s_barrier
	s_and_saveexec_b64 s[12:13], s[46:47]
; %bb.177:
	ds_write_b128 v19, v[10:13]
; %bb.178:
	s_or_b64 exec, exec, s[12:13]
	s_waitcnt lgkmcnt(0)
	s_barrier
	s_barrier
	s_and_saveexec_b64 s[12:13], s[16:17]
; %bb.179:
	v_xor_b32_e32 v13, 0x80000000, v13
	v_xor_b32_e32 v11, 0x80000000, v11
	ds_write_b128 v17, v[10:13] offset:4288
; %bb.180:
	s_or_b64 exec, exec, s[12:13]
	s_waitcnt lgkmcnt(0)
	s_barrier
	s_barrier
	s_and_saveexec_b64 s[12:13], s[58:59]
	s_cbranch_execz .LBB80_182
; %bb.181:
	v_lshlrev_b32_e32 v28, 4, v0
	s_movk_i32 s14, 0x1f0
	v_mad_u32_u24 v29, v0, s14, v28
	ds_read_b128 v[10:13], v29 offset:4288
	s_waitcnt lgkmcnt(0)
	ds_write_b128 v28, v[10:13] offset:6272
	ds_read_b128 v[10:13], v29 offset:4304
	s_waitcnt lgkmcnt(0)
	ds_write_b128 v28, v[10:13] offset:6784
	;; [unrolled: 3-line block ×4, first 2 shown]
.LBB80_182:
	s_or_b64 exec, exec, s[12:13]
	s_waitcnt lgkmcnt(0)
	s_barrier
	s_and_saveexec_b64 s[12:13], vcc
	s_cbranch_execz .LBB80_184
; %bb.183:
	v_mov_b32_e32 v32, 0
	s_mov_b32 s64, 0
	ds_read_b128 v[10:13], v32 offset:6352
	s_mov_b32 s65, 0x3ff00000
	s_mov_b32 s66, s64
	;; [unrolled: 1-line block ×3, first 2 shown]
	v_mov_b32_e32 v28, s64
	v_mov_b32_e32 v29, s65
	;; [unrolled: 1-line block ×4, first 2 shown]
	ds_write_b128 v32, v[28:31] offset:6336
	ds_write_b128 v32, v[28:31] offset:6864
	s_waitcnt lgkmcnt(2)
	ds_write_b128 v32, v[10:13] offset:6848
.LBB80_184:
	s_or_b64 exec, exec, s[12:13]
	v_mov_b32_e32 v12, 0
	v_mov_b32_e32 v10, 0
	;; [unrolled: 1-line block ×4, first 2 shown]
	s_waitcnt lgkmcnt(0)
	s_barrier
	s_and_saveexec_b64 s[14:15], s[2:3]
	s_cbranch_execz .LBB80_188
; %bb.185:
	v_mul_u32_u24_e32 v10, 0x210, v16
	ds_read_b128 v[10:13], v10 offset:6336
	ds_read_b128 v[28:31], v14 offset:6368
	v_cmp_gt_u32_e64 s[12:13], 2, v22
	s_waitcnt lgkmcnt(0)
	v_mul_f64 v[32:33], v[12:13], v[30:31]
	v_mul_f64 v[30:31], v[10:11], v[30:31]
	v_fma_f64 v[10:11], v[10:11], v[28:29], -v[32:33]
	v_fma_f64 v[12:13], v[12:13], v[28:29], v[30:31]
	v_add_f64 v[10:11], v[10:11], 0
	v_add_f64 v[12:13], v[12:13], 0
	s_and_saveexec_b64 s[18:19], s[12:13]
	s_cbranch_execz .LBB80_187
; %bb.186:
	v_lshlrev_b32_e32 v32, 4, v0
	v_mov_b32_e32 v28, 0
	ds_read_b128 v[28:31], v28 offset:6352
	ds_read_b128 v[32:35], v32 offset:6880
	s_waitcnt lgkmcnt(0)
	v_mul_f64 v[36:37], v[30:31], v[34:35]
	v_mul_f64 v[34:35], v[28:29], v[34:35]
	v_fma_f64 v[28:29], v[28:29], v[32:33], -v[36:37]
	v_fma_f64 v[30:31], v[30:31], v[32:33], v[34:35]
	v_add_f64 v[10:11], v[10:11], v[28:29]
	v_add_f64 v[12:13], v[12:13], v[30:31]
.LBB80_187:
	s_or_b64 exec, exec, s[18:19]
	v_xor_b32_e32 v11, 0x80000000, v11
	v_xor_b32_e32 v13, 0x80000000, v13
.LBB80_188:
	s_or_b64 exec, exec, s[14:15]
	s_and_saveexec_b64 s[12:13], s[42:43]
; %bb.189:
	ds_write_b128 v15, v[10:13]
; %bb.190:
	s_or_b64 exec, exec, s[12:13]
	s_waitcnt lgkmcnt(0)
	s_barrier
	s_and_saveexec_b64 s[12:13], s[24:25]
	s_cbranch_execz .LBB80_192
; %bb.191:
	v_mov_b32_e32 v32, 0
	ds_read_b128 v[28:31], v15
	ds_read_b128 v[32:35], v32 offset:7408
	s_waitcnt lgkmcnt(0)
	v_mul_f64 v[36:37], v[30:31], v[34:35]
	v_mul_f64 v[34:35], v[28:29], v[34:35]
	v_fma_f64 v[28:29], v[28:29], v[32:33], -v[36:37]
	v_fma_f64 v[30:31], v[30:31], v[32:33], v[34:35]
	v_add_f64 v[10:11], v[10:11], v[28:29]
	v_add_f64 v[12:13], v[12:13], v[30:31]
.LBB80_192:
	s_or_b64 exec, exec, s[12:13]
	s_barrier
	s_and_saveexec_b64 s[12:13], s[24:25]
; %bb.193:
	ds_write_b128 v15, v[10:13]
; %bb.194:
	s_or_b64 exec, exec, s[12:13]
	s_waitcnt lgkmcnt(0)
	s_barrier
	s_barrier
	s_and_saveexec_b64 s[12:13], s[2:3]
; %bb.195:
	v_xor_b32_e32 v11, 0x80000000, v11
	v_xor_b32_e32 v13, 0x80000000, v13
	ds_write_b128 v14, v[10:13] offset:6368
; %bb.196:
	s_or_b64 exec, exec, s[12:13]
	s_waitcnt lgkmcnt(0)
	s_barrier
	s_barrier
	s_and_saveexec_b64 s[12:13], s[44:45]
	s_cbranch_execz .LBB80_198
; %bb.197:
	v_lshlrev_b32_e32 v28, 9, v0
	ds_read_b128 v[10:13], v28 offset:6368
	s_movk_i32 s14, 0xfe10
	v_mad_i32_i24 v29, v0, s14, v28
	s_waitcnt lgkmcnt(0)
	ds_write_b128 v29, v[10:13] offset:7360
	ds_read_b128 v[10:13], v28 offset:6384
	s_waitcnt lgkmcnt(0)
	ds_write_b128 v29, v[10:13] offset:7872
.LBB80_198:
	s_or_b64 exec, exec, s[12:13]
	s_waitcnt lgkmcnt(0)
	s_barrier
	s_and_saveexec_b64 s[12:13], vcc
	s_cbranch_execz .LBB80_200
; %bb.199:
	v_mov_b32_e32 v32, 0
	s_mov_b32 s64, 0
	ds_read_b128 v[10:13], v32 offset:7408
	s_mov_b32 s65, 0x3ff00000
	s_mov_b32 s66, s64
	;; [unrolled: 1-line block ×3, first 2 shown]
	v_mov_b32_e32 v28, s64
	v_mov_b32_e32 v29, s65
	;; [unrolled: 1-line block ×4, first 2 shown]
	ds_write_b128 v32, v[28:31] offset:7392
	ds_write_b128 v32, v[28:31] offset:7920
	s_waitcnt lgkmcnt(2)
	ds_write_b128 v32, v[10:13] offset:7904
.LBB80_200:
	s_or_b64 exec, exec, s[12:13]
	v_and_b32_e32 v29, 15, v0
	s_movk_i32 s12, 0xff
	v_lshrrev_b32_e32 v31, 4, v22
	v_cmp_lt_u32_e64 s[14:15], s12, v22
	s_movk_i32 s12, 0x100
	v_lshlrev_b32_e32 v30, 4, v29
	v_mov_b32_e32 v12, 0
	v_mov_b32_e32 v10, 0
	v_cmp_gt_u32_e64 s[12:13], s12, v22
	v_mov_b32_e32 v13, 0
	v_mov_b32_e32 v11, 0
	v_lshl_or_b32 v28, v31, 9, v30
	s_waitcnt lgkmcnt(0)
	s_barrier
	s_and_saveexec_b64 s[90:91], s[12:13]
	s_cbranch_execz .LBB80_228
; %bb.201:
	v_mul_u32_u24_e32 v32, 0x210, v31
	ds_read_b128 v[10:13], v32
	ds_read_b128 v[33:36], v28 offset:256
	s_movk_i32 s18, 0xf0
	v_cmp_gt_u32_e64 s[18:19], s18, v22
	s_waitcnt lgkmcnt(0)
	v_mul_f64 v[37:38], v[12:13], v[35:36]
	v_mul_f64 v[35:36], v[10:11], v[35:36]
	v_fma_f64 v[10:11], v[10:11], v[33:34], -v[37:38]
	v_fma_f64 v[12:13], v[12:13], v[33:34], v[35:36]
	v_add_f64 v[10:11], v[10:11], 0
	v_add_f64 v[12:13], v[12:13], 0
	s_and_saveexec_b64 s[92:93], s[18:19]
	s_cbranch_execz .LBB80_203
; %bb.202:
	ds_read_b128 v[33:36], v32 offset:16
	ds_read_b128 v[37:40], v28 offset:768
	s_waitcnt lgkmcnt(0)
	v_mul_f64 v[41:42], v[35:36], v[39:40]
	v_mul_f64 v[39:40], v[33:34], v[39:40]
	v_fma_f64 v[33:34], v[33:34], v[37:38], -v[41:42]
	v_fma_f64 v[35:36], v[35:36], v[37:38], v[39:40]
	v_add_f64 v[10:11], v[10:11], v[33:34]
	v_add_f64 v[12:13], v[12:13], v[35:36]
.LBB80_203:
	s_or_b64 exec, exec, s[92:93]
	s_movk_i32 s18, 0xe0
	v_cmp_gt_u32_e64 s[18:19], s18, v22
	s_and_saveexec_b64 s[92:93], s[18:19]
	s_cbranch_execz .LBB80_205
; %bb.204:
	ds_read_b128 v[33:36], v32 offset:32
	ds_read_b128 v[37:40], v28 offset:1280
	s_waitcnt lgkmcnt(0)
	v_mul_f64 v[41:42], v[35:36], v[39:40]
	v_mul_f64 v[39:40], v[33:34], v[39:40]
	v_fma_f64 v[33:34], v[33:34], v[37:38], -v[41:42]
	v_fma_f64 v[35:36], v[35:36], v[37:38], v[39:40]
	v_add_f64 v[10:11], v[10:11], v[33:34]
	v_add_f64 v[12:13], v[12:13], v[35:36]
.LBB80_205:
	s_or_b64 exec, exec, s[92:93]
	s_movk_i32 s18, 0xd0
	v_cmp_gt_u32_e64 s[18:19], s18, v22
	;; [unrolled: 16-line block ×10, first 2 shown]
	s_and_saveexec_b64 s[92:93], s[18:19]
	s_cbranch_execnz .LBB80_527
; %bb.222:
	s_or_b64 exec, exec, s[92:93]
	v_cmp_gt_u32_e64 s[18:19], 64, v22
	s_and_saveexec_b64 s[92:93], s[18:19]
	s_cbranch_execnz .LBB80_528
.LBB80_223:
	s_or_b64 exec, exec, s[92:93]
	v_cmp_gt_u32_e64 s[18:19], 48, v22
	s_and_saveexec_b64 s[92:93], s[18:19]
	s_cbranch_execnz .LBB80_529
.LBB80_224:
	s_or_b64 exec, exec, s[92:93]
	v_cmp_gt_u32_e64 s[18:19], 32, v22
	s_and_saveexec_b64 s[92:93], s[18:19]
	s_cbranch_execnz .LBB80_530
.LBB80_225:
	s_or_b64 exec, exec, s[92:93]
	v_cmp_gt_u32_e64 s[18:19], 16, v22
	s_and_saveexec_b64 s[92:93], s[18:19]
	s_cbranch_execz .LBB80_227
.LBB80_226:
	v_lshlrev_b32_e32 v36, 4, v0
	v_mov_b32_e32 v32, 0
	ds_read_b128 v[32:35], v32 offset:240
	ds_read_b128 v[36:39], v36 offset:7936
	s_waitcnt lgkmcnt(0)
	v_mul_f64 v[40:41], v[34:35], v[38:39]
	v_mul_f64 v[38:39], v[32:33], v[38:39]
	v_fma_f64 v[32:33], v[32:33], v[36:37], -v[40:41]
	v_fma_f64 v[34:35], v[34:35], v[36:37], v[38:39]
	v_add_f64 v[10:11], v[10:11], v[32:33]
	v_add_f64 v[12:13], v[12:13], v[34:35]
.LBB80_227:
	s_or_b64 exec, exec, s[92:93]
	v_xor_b32_e32 v11, 0x80000000, v11
	v_xor_b32_e32 v13, 0x80000000, v13
.LBB80_228:
	s_or_b64 exec, exec, s[90:91]
	v_mov_b32_e32 v32, 0x4000
	v_cmp_eq_u32_e64 s[18:19], 0, v29
	s_xor_b64 s[90:91], s[14:15], -1
	v_lshl_add_u32 v31, v31, 4, v32
	s_and_b64 s[18:19], s[18:19], s[90:91]
	s_and_saveexec_b64 s[14:15], s[18:19]
; %bb.229:
	ds_write_b128 v31, v[10:13]
; %bb.230:
	s_or_b64 exec, exec, s[14:15]
	v_cmp_ne_u32_e64 s[14:15], 0, v29
	s_and_b64 s[18:19], s[14:15], s[90:91]
	s_waitcnt lgkmcnt(0)
	s_barrier
	s_and_saveexec_b64 s[14:15], s[18:19]
	s_cbranch_execz .LBB80_232
; %bb.231:
	ds_read_b128 v[32:35], v31
	ds_read_b128 v[36:39], v30 offset:8448
	s_waitcnt lgkmcnt(0)
	v_mul_f64 v[40:41], v[34:35], v[38:39]
	v_mul_f64 v[38:39], v[32:33], v[38:39]
	v_fma_f64 v[32:33], v[32:33], v[36:37], -v[40:41]
	v_fma_f64 v[34:35], v[34:35], v[36:37], v[38:39]
	v_add_f64 v[10:11], v[10:11], v[32:33]
	v_add_f64 v[12:13], v[12:13], v[34:35]
.LBB80_232:
	s_or_b64 exec, exec, s[14:15]
	v_cmp_eq_u32_e64 s[14:15], 1, v29
	s_and_b64 s[18:19], s[14:15], s[90:91]
	s_barrier
	s_and_saveexec_b64 s[14:15], s[18:19]
; %bb.233:
	ds_write_b128 v31, v[10:13]
; %bb.234:
	s_or_b64 exec, exec, s[14:15]
	v_cmp_lt_u32_e64 s[14:15], 1, v29
	s_and_b64 s[18:19], s[14:15], s[90:91]
	s_waitcnt lgkmcnt(0)
	s_barrier
	s_and_saveexec_b64 s[14:15], s[18:19]
	s_cbranch_execz .LBB80_236
; %bb.235:
	ds_read_b128 v[32:35], v31
	ds_read_b128 v[36:39], v30 offset:8960
	s_waitcnt lgkmcnt(0)
	v_mul_f64 v[40:41], v[34:35], v[38:39]
	v_mul_f64 v[38:39], v[32:33], v[38:39]
	v_fma_f64 v[32:33], v[32:33], v[36:37], -v[40:41]
	v_fma_f64 v[34:35], v[34:35], v[36:37], v[38:39]
	v_add_f64 v[10:11], v[10:11], v[32:33]
	v_add_f64 v[12:13], v[12:13], v[34:35]
.LBB80_236:
	s_or_b64 exec, exec, s[14:15]
	v_cmp_eq_u32_e64 s[14:15], 2, v29
	s_and_b64 s[18:19], s[14:15], s[90:91]
	s_barrier
	s_and_saveexec_b64 s[14:15], s[18:19]
; %bb.237:
	ds_write_b128 v31, v[10:13]
; %bb.238:
	s_or_b64 exec, exec, s[14:15]
	v_cmp_lt_u32_e64 s[14:15], 2, v29
	;; [unrolled: 26-line block ×13, first 2 shown]
	s_and_b64 s[18:19], s[14:15], s[90:91]
	s_waitcnt lgkmcnt(0)
	s_barrier
	s_and_saveexec_b64 s[14:15], s[18:19]
	s_cbranch_execz .LBB80_284
; %bb.283:
	ds_read_b128 v[32:35], v31
	ds_read_b128 v[36:39], v30 offset:15104
	s_waitcnt lgkmcnt(0)
	v_mul_f64 v[40:41], v[34:35], v[38:39]
	v_mul_f64 v[38:39], v[32:33], v[38:39]
	v_fma_f64 v[32:33], v[32:33], v[36:37], -v[40:41]
	v_fma_f64 v[34:35], v[34:35], v[36:37], v[38:39]
	v_add_f64 v[10:11], v[10:11], v[32:33]
	v_add_f64 v[12:13], v[12:13], v[34:35]
.LBB80_284:
	s_or_b64 exec, exec, s[14:15]
	v_cmp_eq_u32_e64 s[14:15], 14, v29
	s_and_b64 s[18:19], s[14:15], s[90:91]
	s_barrier
	s_and_saveexec_b64 s[14:15], s[18:19]
; %bb.285:
	ds_write_b128 v31, v[10:13]
; %bb.286:
	s_or_b64 exec, exec, s[14:15]
	v_cmp_eq_u32_e64 s[14:15], 15, v29
	s_and_b64 s[14:15], s[14:15], s[90:91]
	s_waitcnt lgkmcnt(0)
	s_barrier
	s_and_saveexec_b64 s[18:19], s[14:15]
	s_cbranch_execz .LBB80_288
; %bb.287:
	v_mov_b32_e32 v29, 0
	ds_read_b128 v[32:35], v31
	ds_read_b128 v[36:39], v29 offset:15856
	s_waitcnt lgkmcnt(0)
	v_mul_f64 v[29:30], v[34:35], v[38:39]
	v_mul_f64 v[38:39], v[32:33], v[38:39]
	v_fma_f64 v[29:30], v[32:33], v[36:37], -v[29:30]
	v_fma_f64 v[32:33], v[34:35], v[36:37], v[38:39]
	v_add_f64 v[10:11], v[10:11], v[29:30]
	v_add_f64 v[12:13], v[12:13], v[32:33]
.LBB80_288:
	s_or_b64 exec, exec, s[18:19]
	s_barrier
	s_and_saveexec_b64 s[18:19], s[14:15]
; %bb.289:
	ds_write_b128 v31, v[10:13]
; %bb.290:
	s_or_b64 exec, exec, s[18:19]
	s_waitcnt lgkmcnt(0)
	s_barrier
	s_barrier
	s_and_saveexec_b64 s[14:15], s[12:13]
; %bb.291:
	v_xor_b32_e32 v13, 0x80000000, v13
	v_xor_b32_e32 v11, 0x80000000, v11
	ds_write_b128 v28, v[10:13] offset:256
; %bb.292:
	s_or_b64 exec, exec, s[14:15]
	v_cmp_gt_u32_e64 s[12:13], 16, v0
	s_and_b64 s[12:13], s[10:11], s[12:13]
	s_waitcnt lgkmcnt(0)
	s_barrier
	s_barrier
	s_and_saveexec_b64 s[10:11], s[12:13]
	s_cbranch_execz .LBB80_294
; %bb.293:
	v_lshlrev_b32_e32 v28, 9, v0
	ds_read_b128 v[10:13], v28 offset:256
	s_movk_i32 s12, 0xfe10
	v_mad_i32_i24 v29, v0, s12, v28
	s_waitcnt lgkmcnt(0)
	ds_write_b128 v29, v[10:13] offset:8192
	ds_read_b128 v[10:13], v28 offset:272
	s_waitcnt lgkmcnt(0)
	ds_write_b128 v29, v[10:13] offset:8704
	ds_read_b128 v[10:13], v28 offset:288
	;; [unrolled: 3-line block ×15, first 2 shown]
	s_waitcnt lgkmcnt(0)
	ds_write_b128 v29, v[10:13] offset:15872
.LBB80_294:
	s_or_b64 exec, exec, s[10:11]
	s_waitcnt lgkmcnt(0)
	s_barrier
	s_and_saveexec_b64 s[10:11], vcc
	s_cbranch_execz .LBB80_296
; %bb.295:
	s_mov_b32 s12, 0
	v_mov_b32_e32 v32, 0
	ds_read_b128 v[10:13], v32 offset:8464
	s_mov_b32 s15, s12
	s_mov_b32 s13, 0x3ff00000
	;; [unrolled: 1-line block ×3, first 2 shown]
	v_mov_b32_e32 v31, s15
	v_mov_b32_e32 v30, s14
	;; [unrolled: 1-line block ×4, first 2 shown]
	ds_write_b128 v32, v[28:31] offset:8448
	ds_write_b128 v32, v[28:31] offset:8976
	s_waitcnt lgkmcnt(2)
	ds_write_b128 v32, v[10:13] offset:8960
.LBB80_296:
	s_or_b64 exec, exec, s[10:11]
	v_mov_b32_e32 v12, 0
	v_mov_b32_e32 v10, 0
	;; [unrolled: 1-line block ×4, first 2 shown]
	s_waitcnt lgkmcnt(0)
	s_barrier
	s_and_saveexec_b64 s[12:13], s[2:3]
	s_cbranch_execz .LBB80_300
; %bb.297:
	v_mul_u32_u24_e32 v10, 0x210, v16
	ds_read_b128 v[10:13], v10 offset:8448
	ds_read_b128 v[28:31], v14 offset:8480
	v_cmp_gt_u32_e64 s[10:11], 2, v22
	s_waitcnt lgkmcnt(0)
	v_mul_f64 v[32:33], v[12:13], v[30:31]
	v_mul_f64 v[30:31], v[10:11], v[30:31]
	v_fma_f64 v[10:11], v[10:11], v[28:29], -v[32:33]
	v_fma_f64 v[12:13], v[12:13], v[28:29], v[30:31]
	v_add_f64 v[10:11], v[10:11], 0
	v_add_f64 v[12:13], v[12:13], 0
	s_and_saveexec_b64 s[14:15], s[10:11]
	s_cbranch_execz .LBB80_299
; %bb.298:
	v_lshlrev_b32_e32 v32, 4, v0
	v_mov_b32_e32 v28, 0
	ds_read_b128 v[28:31], v28 offset:8464
	ds_read_b128 v[32:35], v32 offset:8992
	s_waitcnt lgkmcnt(0)
	v_mul_f64 v[36:37], v[30:31], v[34:35]
	v_mul_f64 v[34:35], v[28:29], v[34:35]
	v_fma_f64 v[28:29], v[28:29], v[32:33], -v[36:37]
	v_fma_f64 v[30:31], v[30:31], v[32:33], v[34:35]
	v_add_f64 v[10:11], v[10:11], v[28:29]
	v_add_f64 v[12:13], v[12:13], v[30:31]
.LBB80_299:
	s_or_b64 exec, exec, s[14:15]
	v_xor_b32_e32 v11, 0x80000000, v11
	v_xor_b32_e32 v13, 0x80000000, v13
.LBB80_300:
	s_or_b64 exec, exec, s[12:13]
	s_and_saveexec_b64 s[10:11], s[42:43]
; %bb.301:
	ds_write_b128 v15, v[10:13]
; %bb.302:
	s_or_b64 exec, exec, s[10:11]
	s_waitcnt lgkmcnt(0)
	s_barrier
	s_and_saveexec_b64 s[10:11], s[24:25]
	s_cbranch_execz .LBB80_304
; %bb.303:
	v_mov_b32_e32 v32, 0
	ds_read_b128 v[28:31], v15
	ds_read_b128 v[32:35], v32 offset:9520
	s_waitcnt lgkmcnt(0)
	v_mul_f64 v[36:37], v[30:31], v[34:35]
	v_mul_f64 v[34:35], v[28:29], v[34:35]
	v_fma_f64 v[28:29], v[28:29], v[32:33], -v[36:37]
	v_fma_f64 v[30:31], v[30:31], v[32:33], v[34:35]
	v_add_f64 v[10:11], v[10:11], v[28:29]
	v_add_f64 v[12:13], v[12:13], v[30:31]
.LBB80_304:
	s_or_b64 exec, exec, s[10:11]
	s_barrier
	s_and_saveexec_b64 s[10:11], s[24:25]
; %bb.305:
	ds_write_b128 v15, v[10:13]
; %bb.306:
	s_or_b64 exec, exec, s[10:11]
	s_waitcnt lgkmcnt(0)
	s_barrier
	s_barrier
	s_and_saveexec_b64 s[10:11], s[2:3]
; %bb.307:
	v_xor_b32_e32 v11, 0x80000000, v11
	v_xor_b32_e32 v13, 0x80000000, v13
	ds_write_b128 v14, v[10:13] offset:8480
; %bb.308:
	s_or_b64 exec, exec, s[10:11]
	s_waitcnt lgkmcnt(0)
	s_barrier
	s_barrier
	s_and_saveexec_b64 s[10:11], s[44:45]
	s_cbranch_execz .LBB80_310
; %bb.309:
	v_lshlrev_b32_e32 v28, 9, v0
	ds_read_b128 v[10:13], v28 offset:8480
	s_movk_i32 s12, 0xfe10
	v_mad_i32_i24 v29, v0, s12, v28
	s_waitcnt lgkmcnt(0)
	ds_write_b128 v29, v[10:13] offset:9472
	ds_read_b128 v[10:13], v28 offset:8496
	s_waitcnt lgkmcnt(0)
	ds_write_b128 v29, v[10:13] offset:9984
.LBB80_310:
	s_or_b64 exec, exec, s[10:11]
	s_waitcnt lgkmcnt(0)
	s_barrier
	s_and_saveexec_b64 s[10:11], vcc
	s_cbranch_execz .LBB80_312
; %bb.311:
	s_mov_b32 s12, 0
	v_mov_b32_e32 v32, 0
	ds_read_b128 v[10:13], v32 offset:9520
	s_mov_b32 s15, s12
	s_mov_b32 s13, 0x3ff00000
	;; [unrolled: 1-line block ×3, first 2 shown]
	v_mov_b32_e32 v31, s15
	v_mov_b32_e32 v30, s14
	v_mov_b32_e32 v29, s13
	v_mov_b32_e32 v28, s12
	ds_write_b128 v32, v[28:31] offset:9504
	ds_write_b128 v32, v[28:31] offset:10032
	s_waitcnt lgkmcnt(2)
	ds_write_b128 v32, v[10:13] offset:10016
.LBB80_312:
	s_or_b64 exec, exec, s[10:11]
	v_mov_b32_e32 v12, 0
	v_mov_b32_e32 v10, 0
	;; [unrolled: 1-line block ×4, first 2 shown]
	s_waitcnt lgkmcnt(0)
	s_barrier
	s_and_saveexec_b64 s[12:13], s[16:17]
	s_cbranch_execz .LBB80_318
; %bb.313:
	v_mul_u32_u24_e32 v28, 0x210, v21
	ds_read_b128 v[10:13], v28 offset:8448
	ds_read_b128 v[29:32], v17 offset:8512
	v_cmp_gt_u32_e64 s[10:11], 12, v22
	s_waitcnt lgkmcnt(0)
	v_mul_f64 v[33:34], v[12:13], v[31:32]
	v_mul_f64 v[31:32], v[10:11], v[31:32]
	v_fma_f64 v[10:11], v[10:11], v[29:30], -v[33:34]
	v_fma_f64 v[12:13], v[12:13], v[29:30], v[31:32]
	v_add_f64 v[10:11], v[10:11], 0
	v_add_f64 v[12:13], v[12:13], 0
	s_and_saveexec_b64 s[14:15], s[10:11]
	s_cbranch_execnz .LBB80_531
; %bb.314:
	s_or_b64 exec, exec, s[14:15]
	v_cmp_gt_u32_e64 s[10:11], 8, v22
	s_and_saveexec_b64 s[14:15], s[10:11]
	s_cbranch_execnz .LBB80_532
.LBB80_315:
	s_or_b64 exec, exec, s[14:15]
	v_cmp_gt_u32_e64 s[10:11], 4, v22
	s_and_saveexec_b64 s[14:15], s[10:11]
	s_cbranch_execz .LBB80_317
.LBB80_316:
	v_lshlrev_b32_e32 v32, 4, v0
	v_mov_b32_e32 v28, 0
	ds_read_b128 v[28:31], v28 offset:8496
	ds_read_b128 v[32:35], v32 offset:10048
	s_waitcnt lgkmcnt(0)
	v_mul_f64 v[36:37], v[30:31], v[34:35]
	v_mul_f64 v[34:35], v[28:29], v[34:35]
	v_fma_f64 v[28:29], v[28:29], v[32:33], -v[36:37]
	v_fma_f64 v[30:31], v[30:31], v[32:33], v[34:35]
	v_add_f64 v[10:11], v[10:11], v[28:29]
	v_add_f64 v[12:13], v[12:13], v[30:31]
.LBB80_317:
	s_or_b64 exec, exec, s[14:15]
	v_xor_b32_e32 v11, 0x80000000, v11
	v_xor_b32_e32 v13, 0x80000000, v13
.LBB80_318:
	s_or_b64 exec, exec, s[12:13]
	s_and_saveexec_b64 s[10:11], s[48:49]
; %bb.319:
	ds_write_b128 v19, v[10:13]
; %bb.320:
	s_or_b64 exec, exec, s[10:11]
	s_waitcnt lgkmcnt(0)
	s_barrier
	s_and_saveexec_b64 s[10:11], s[50:51]
	s_cbranch_execz .LBB80_322
; %bb.321:
	ds_read_b128 v[28:31], v19
	ds_read_b128 v[32:35], v18 offset:10560
	s_waitcnt lgkmcnt(0)
	v_mul_f64 v[36:37], v[30:31], v[34:35]
	v_mul_f64 v[34:35], v[28:29], v[34:35]
	v_fma_f64 v[28:29], v[28:29], v[32:33], -v[36:37]
	v_fma_f64 v[30:31], v[30:31], v[32:33], v[34:35]
	v_add_f64 v[10:11], v[10:11], v[28:29]
	v_add_f64 v[12:13], v[12:13], v[30:31]
.LBB80_322:
	s_or_b64 exec, exec, s[10:11]
	s_barrier
	s_and_saveexec_b64 s[10:11], s[52:53]
; %bb.323:
	ds_write_b128 v19, v[10:13]
; %bb.324:
	s_or_b64 exec, exec, s[10:11]
	s_waitcnt lgkmcnt(0)
	s_barrier
	s_and_saveexec_b64 s[10:11], s[54:55]
	s_cbranch_execz .LBB80_326
; %bb.325:
	ds_read_b128 v[28:31], v19
	ds_read_b128 v[32:35], v18 offset:11072
	s_waitcnt lgkmcnt(0)
	v_mul_f64 v[36:37], v[30:31], v[34:35]
	v_mul_f64 v[34:35], v[28:29], v[34:35]
	v_fma_f64 v[28:29], v[28:29], v[32:33], -v[36:37]
	v_fma_f64 v[30:31], v[30:31], v[32:33], v[34:35]
	v_add_f64 v[10:11], v[10:11], v[28:29]
	v_add_f64 v[12:13], v[12:13], v[30:31]
.LBB80_326:
	s_or_b64 exec, exec, s[10:11]
	s_barrier
	s_and_saveexec_b64 s[10:11], s[56:57]
; %bb.327:
	ds_write_b128 v19, v[10:13]
; %bb.328:
	s_or_b64 exec, exec, s[10:11]
	s_waitcnt lgkmcnt(0)
	s_barrier
	s_and_saveexec_b64 s[10:11], s[46:47]
	s_cbranch_execz .LBB80_330
; %bb.329:
	v_mov_b32_e32 v32, 0
	ds_read_b128 v[28:31], v19
	ds_read_b128 v[32:35], v32 offset:11632
	s_waitcnt lgkmcnt(0)
	v_mul_f64 v[36:37], v[30:31], v[34:35]
	v_mul_f64 v[34:35], v[28:29], v[34:35]
	v_fma_f64 v[28:29], v[28:29], v[32:33], -v[36:37]
	v_fma_f64 v[30:31], v[30:31], v[32:33], v[34:35]
	v_add_f64 v[10:11], v[10:11], v[28:29]
	v_add_f64 v[12:13], v[12:13], v[30:31]
.LBB80_330:
	s_or_b64 exec, exec, s[10:11]
	s_barrier
	s_and_saveexec_b64 s[10:11], s[46:47]
; %bb.331:
	ds_write_b128 v19, v[10:13]
; %bb.332:
	s_or_b64 exec, exec, s[10:11]
	s_waitcnt lgkmcnt(0)
	s_barrier
	s_barrier
	s_and_saveexec_b64 s[10:11], s[16:17]
; %bb.333:
	v_xor_b32_e32 v13, 0x80000000, v13
	v_xor_b32_e32 v11, 0x80000000, v11
	ds_write_b128 v17, v[10:13] offset:8512
; %bb.334:
	s_or_b64 exec, exec, s[10:11]
	s_waitcnt lgkmcnt(0)
	s_barrier
	s_barrier
	s_and_saveexec_b64 s[10:11], s[58:59]
	s_cbranch_execz .LBB80_336
; %bb.335:
	v_lshlrev_b32_e32 v28, 4, v0
	s_movk_i32 s12, 0x1f0
	v_mad_u32_u24 v29, v0, s12, v28
	ds_read_b128 v[10:13], v29 offset:8512
	s_waitcnt lgkmcnt(0)
	ds_write_b128 v28, v[10:13] offset:10496
	ds_read_b128 v[10:13], v29 offset:8528
	s_waitcnt lgkmcnt(0)
	ds_write_b128 v28, v[10:13] offset:11008
	;; [unrolled: 3-line block ×4, first 2 shown]
.LBB80_336:
	s_or_b64 exec, exec, s[10:11]
	s_waitcnt lgkmcnt(0)
	s_barrier
	s_and_saveexec_b64 s[10:11], vcc
	s_cbranch_execz .LBB80_338
; %bb.337:
	s_mov_b32 s12, 0
	v_mov_b32_e32 v32, 0
	ds_read_b128 v[10:13], v32 offset:10576
	s_mov_b32 s15, s12
	s_mov_b32 s13, 0x3ff00000
	;; [unrolled: 1-line block ×3, first 2 shown]
	v_mov_b32_e32 v31, s15
	v_mov_b32_e32 v30, s14
	;; [unrolled: 1-line block ×4, first 2 shown]
	ds_write_b128 v32, v[28:31] offset:10560
	ds_write_b128 v32, v[28:31] offset:11088
	s_waitcnt lgkmcnt(2)
	ds_write_b128 v32, v[10:13] offset:11072
.LBB80_338:
	s_or_b64 exec, exec, s[10:11]
	v_mov_b32_e32 v12, 0
	v_mov_b32_e32 v10, 0
	;; [unrolled: 1-line block ×4, first 2 shown]
	s_waitcnt lgkmcnt(0)
	s_barrier
	s_and_saveexec_b64 s[12:13], s[2:3]
	s_cbranch_execz .LBB80_342
; %bb.339:
	v_mul_u32_u24_e32 v10, 0x210, v16
	ds_read_b128 v[10:13], v10 offset:10560
	ds_read_b128 v[28:31], v14 offset:10592
	v_cmp_gt_u32_e64 s[10:11], 2, v22
	s_waitcnt lgkmcnt(0)
	v_mul_f64 v[32:33], v[12:13], v[30:31]
	v_mul_f64 v[30:31], v[10:11], v[30:31]
	v_fma_f64 v[10:11], v[10:11], v[28:29], -v[32:33]
	v_fma_f64 v[12:13], v[12:13], v[28:29], v[30:31]
	v_add_f64 v[10:11], v[10:11], 0
	v_add_f64 v[12:13], v[12:13], 0
	s_and_saveexec_b64 s[14:15], s[10:11]
	s_cbranch_execz .LBB80_341
; %bb.340:
	v_lshlrev_b32_e32 v32, 4, v0
	v_mov_b32_e32 v28, 0
	ds_read_b128 v[28:31], v28 offset:10576
	ds_read_b128 v[32:35], v32 offset:11104
	s_waitcnt lgkmcnt(0)
	v_mul_f64 v[36:37], v[30:31], v[34:35]
	v_mul_f64 v[34:35], v[28:29], v[34:35]
	v_fma_f64 v[28:29], v[28:29], v[32:33], -v[36:37]
	v_fma_f64 v[30:31], v[30:31], v[32:33], v[34:35]
	v_add_f64 v[10:11], v[10:11], v[28:29]
	v_add_f64 v[12:13], v[12:13], v[30:31]
.LBB80_341:
	s_or_b64 exec, exec, s[14:15]
	v_xor_b32_e32 v11, 0x80000000, v11
	v_xor_b32_e32 v13, 0x80000000, v13
.LBB80_342:
	s_or_b64 exec, exec, s[12:13]
	s_and_saveexec_b64 s[10:11], s[42:43]
; %bb.343:
	ds_write_b128 v15, v[10:13]
; %bb.344:
	s_or_b64 exec, exec, s[10:11]
	s_waitcnt lgkmcnt(0)
	s_barrier
	s_and_saveexec_b64 s[10:11], s[24:25]
	s_cbranch_execz .LBB80_346
; %bb.345:
	v_mov_b32_e32 v32, 0
	ds_read_b128 v[28:31], v15
	ds_read_b128 v[32:35], v32 offset:11632
	s_waitcnt lgkmcnt(0)
	v_mul_f64 v[36:37], v[30:31], v[34:35]
	v_mul_f64 v[34:35], v[28:29], v[34:35]
	v_fma_f64 v[28:29], v[28:29], v[32:33], -v[36:37]
	v_fma_f64 v[30:31], v[30:31], v[32:33], v[34:35]
	v_add_f64 v[10:11], v[10:11], v[28:29]
	v_add_f64 v[12:13], v[12:13], v[30:31]
.LBB80_346:
	s_or_b64 exec, exec, s[10:11]
	s_barrier
	s_and_saveexec_b64 s[10:11], s[24:25]
; %bb.347:
	ds_write_b128 v15, v[10:13]
; %bb.348:
	s_or_b64 exec, exec, s[10:11]
	s_waitcnt lgkmcnt(0)
	s_barrier
	s_barrier
	s_and_saveexec_b64 s[10:11], s[2:3]
; %bb.349:
	v_xor_b32_e32 v11, 0x80000000, v11
	v_xor_b32_e32 v13, 0x80000000, v13
	ds_write_b128 v14, v[10:13] offset:10592
; %bb.350:
	s_or_b64 exec, exec, s[10:11]
	s_waitcnt lgkmcnt(0)
	s_barrier
	s_barrier
	s_and_saveexec_b64 s[10:11], s[44:45]
	s_cbranch_execz .LBB80_352
; %bb.351:
	v_lshlrev_b32_e32 v28, 9, v0
	ds_read_b128 v[10:13], v28 offset:10592
	s_movk_i32 s12, 0xfe10
	v_mad_i32_i24 v29, v0, s12, v28
	s_waitcnt lgkmcnt(0)
	ds_write_b128 v29, v[10:13] offset:11584
	ds_read_b128 v[10:13], v28 offset:10608
	s_waitcnt lgkmcnt(0)
	ds_write_b128 v29, v[10:13] offset:12096
.LBB80_352:
	s_or_b64 exec, exec, s[10:11]
	s_waitcnt lgkmcnt(0)
	s_barrier
	s_and_saveexec_b64 s[10:11], vcc
	s_cbranch_execz .LBB80_354
; %bb.353:
	s_mov_b32 s12, 0
	v_mov_b32_e32 v32, 0
	ds_read_b128 v[10:13], v32 offset:11632
	s_mov_b32 s15, s12
	s_mov_b32 s13, 0x3ff00000
	;; [unrolled: 1-line block ×3, first 2 shown]
	v_mov_b32_e32 v31, s15
	v_mov_b32_e32 v30, s14
	;; [unrolled: 1-line block ×4, first 2 shown]
	ds_write_b128 v32, v[28:31] offset:11616
	ds_write_b128 v32, v[28:31] offset:12144
	s_waitcnt lgkmcnt(2)
	ds_write_b128 v32, v[10:13] offset:12128
.LBB80_354:
	s_or_b64 exec, exec, s[10:11]
	v_mov_b32_e32 v12, 0
	v_mov_b32_e32 v10, 0
	;; [unrolled: 1-line block ×4, first 2 shown]
	s_waitcnt lgkmcnt(0)
	s_barrier
	s_and_saveexec_b64 s[12:13], s[8:9]
	s_cbranch_execz .LBB80_364
; %bb.355:
	v_mul_u32_u24_e32 v28, 0x210, v27
	ds_read_b128 v[10:13], v28 offset:8448
	ds_read_b128 v[29:32], v23 offset:8576
	v_cmp_gt_u32_e64 s[10:11], 56, v22
	s_waitcnt lgkmcnt(0)
	v_mul_f64 v[33:34], v[12:13], v[31:32]
	v_mul_f64 v[31:32], v[10:11], v[31:32]
	v_fma_f64 v[10:11], v[10:11], v[29:30], -v[33:34]
	v_fma_f64 v[12:13], v[12:13], v[29:30], v[31:32]
	v_add_f64 v[10:11], v[10:11], 0
	v_add_f64 v[12:13], v[12:13], 0
	s_and_saveexec_b64 s[14:15], s[10:11]
	s_cbranch_execnz .LBB80_533
; %bb.356:
	s_or_b64 exec, exec, s[14:15]
	v_cmp_gt_u32_e64 s[10:11], 48, v22
	s_and_saveexec_b64 s[14:15], s[10:11]
	s_cbranch_execnz .LBB80_534
.LBB80_357:
	s_or_b64 exec, exec, s[14:15]
	v_cmp_gt_u32_e64 s[10:11], 40, v22
	s_and_saveexec_b64 s[14:15], s[10:11]
	s_cbranch_execnz .LBB80_535
.LBB80_358:
	s_or_b64 exec, exec, s[14:15]
	v_cmp_gt_u32_e64 s[10:11], 32, v22
	s_and_saveexec_b64 s[14:15], s[10:11]
	s_cbranch_execnz .LBB80_536
.LBB80_359:
	s_or_b64 exec, exec, s[14:15]
	v_cmp_gt_u32_e64 s[10:11], 24, v22
	s_and_saveexec_b64 s[14:15], s[10:11]
	s_cbranch_execnz .LBB80_537
.LBB80_360:
	s_or_b64 exec, exec, s[14:15]
	v_cmp_gt_u32_e64 s[10:11], 16, v22
	s_and_saveexec_b64 s[14:15], s[10:11]
	s_cbranch_execnz .LBB80_538
.LBB80_361:
	s_or_b64 exec, exec, s[14:15]
	v_cmp_gt_u32_e64 s[10:11], 8, v22
	s_and_saveexec_b64 s[14:15], s[10:11]
	s_cbranch_execz .LBB80_363
.LBB80_362:
	v_lshlrev_b32_e32 v30, 4, v0
	v_mov_b32_e32 v26, 0
	ds_read_b128 v[26:29], v26 offset:8560
	ds_read_b128 v[30:33], v30 offset:12160
	s_waitcnt lgkmcnt(0)
	v_mul_f64 v[34:35], v[28:29], v[32:33]
	v_mul_f64 v[32:33], v[26:27], v[32:33]
	v_fma_f64 v[26:27], v[26:27], v[30:31], -v[34:35]
	v_fma_f64 v[28:29], v[28:29], v[30:31], v[32:33]
	v_add_f64 v[10:11], v[10:11], v[26:27]
	v_add_f64 v[12:13], v[12:13], v[28:29]
.LBB80_363:
	s_or_b64 exec, exec, s[14:15]
	v_xor_b32_e32 v11, 0x80000000, v11
	v_xor_b32_e32 v13, 0x80000000, v13
.LBB80_364:
	s_or_b64 exec, exec, s[12:13]
	s_mov_b64 s[10:11], exec
	v_readlane_b32 s12, v43, 2
	v_readlane_b32 s13, v43, 3
	s_and_b64 s[12:13], s[10:11], s[12:13]
	s_mov_b64 exec, s[12:13]
; %bb.365:
	ds_write_b128 v25, v[10:13]
; %bb.366:
	s_or_b64 exec, exec, s[10:11]
	s_waitcnt lgkmcnt(0)
	s_barrier
	s_mov_b64 s[10:11], exec
	v_readlane_b32 s12, v43, 4
	v_readlane_b32 s13, v43, 5
	s_and_b64 s[12:13], s[10:11], s[12:13]
	s_mov_b64 exec, s[12:13]
	s_cbranch_execz .LBB80_368
; %bb.367:
	ds_read_b128 v[26:29], v25
	ds_read_b128 v[30:33], v24 offset:12672
	s_waitcnt lgkmcnt(0)
	v_mul_f64 v[34:35], v[28:29], v[32:33]
	v_mul_f64 v[32:33], v[26:27], v[32:33]
	v_fma_f64 v[26:27], v[26:27], v[30:31], -v[34:35]
	v_fma_f64 v[28:29], v[28:29], v[30:31], v[32:33]
	v_add_f64 v[10:11], v[10:11], v[26:27]
	v_add_f64 v[12:13], v[12:13], v[28:29]
.LBB80_368:
	s_or_b64 exec, exec, s[10:11]
	s_barrier
	s_and_saveexec_b64 s[10:11], s[0:1]
; %bb.369:
	ds_write_b128 v25, v[10:13]
; %bb.370:
	s_or_b64 exec, exec, s[10:11]
	s_waitcnt lgkmcnt(0)
	s_barrier
	s_and_saveexec_b64 s[10:11], s[68:69]
	s_cbranch_execz .LBB80_372
; %bb.371:
	ds_read_b128 v[26:29], v25
	ds_read_b128 v[30:33], v24 offset:13184
	s_waitcnt lgkmcnt(0)
	v_mul_f64 v[34:35], v[28:29], v[32:33]
	v_mul_f64 v[32:33], v[26:27], v[32:33]
	v_fma_f64 v[26:27], v[26:27], v[30:31], -v[34:35]
	v_fma_f64 v[28:29], v[28:29], v[30:31], v[32:33]
	v_add_f64 v[10:11], v[10:11], v[26:27]
	v_add_f64 v[12:13], v[12:13], v[28:29]
.LBB80_372:
	s_or_b64 exec, exec, s[10:11]
	s_barrier
	s_and_saveexec_b64 s[10:11], s[70:71]
; %bb.373:
	ds_write_b128 v25, v[10:13]
; %bb.374:
	s_or_b64 exec, exec, s[10:11]
	s_waitcnt lgkmcnt(0)
	s_barrier
	s_and_saveexec_b64 s[10:11], s[72:73]
	;; [unrolled: 22-line block ×6, first 2 shown]
	s_cbranch_execz .LBB80_392
; %bb.391:
	v_mov_b32_e32 v24, 0
	ds_read_b128 v[26:29], v25
	ds_read_b128 v[30:33], v24 offset:15856
	s_waitcnt lgkmcnt(0)
	v_mul_f64 v[34:35], v[28:29], v[32:33]
	v_mul_f64 v[32:33], v[26:27], v[32:33]
	v_fma_f64 v[26:27], v[26:27], v[30:31], -v[34:35]
	v_fma_f64 v[28:29], v[28:29], v[30:31], v[32:33]
	v_add_f64 v[10:11], v[10:11], v[26:27]
	v_add_f64 v[12:13], v[12:13], v[28:29]
.LBB80_392:
	s_or_b64 exec, exec, s[10:11]
	s_barrier
	s_and_saveexec_b64 s[10:11], s[60:61]
; %bb.393:
	ds_write_b128 v25, v[10:13]
; %bb.394:
	s_or_b64 exec, exec, s[10:11]
	s_waitcnt lgkmcnt(0)
	s_barrier
	s_barrier
	s_and_saveexec_b64 s[10:11], s[8:9]
; %bb.395:
	v_xor_b32_e32 v11, 0x80000000, v11
	v_xor_b32_e32 v13, 0x80000000, v13
	ds_write_b128 v23, v[10:13] offset:8576
; %bb.396:
	s_or_b64 exec, exec, s[10:11]
	s_waitcnt lgkmcnt(0)
	s_barrier
	s_barrier
	s_and_saveexec_b64 s[8:9], s[88:89]
	s_cbranch_execz .LBB80_398
; %bb.397:
	v_lshlrev_b32_e32 v23, 9, v0
	ds_read_b128 v[10:13], v23 offset:8576
	s_movk_i32 s0, 0xfe10
	v_mad_i32_i24 v24, v0, s0, v23
	s_waitcnt lgkmcnt(0)
	ds_write_b128 v24, v[10:13] offset:12544
	ds_read_b128 v[10:13], v23 offset:8592
	s_waitcnt lgkmcnt(0)
	ds_write_b128 v24, v[10:13] offset:13056
	ds_read_b128 v[10:13], v23 offset:8608
	s_waitcnt lgkmcnt(0)
	ds_write_b128 v24, v[10:13] offset:13568
	ds_read_b128 v[10:13], v23 offset:8624
	s_waitcnt lgkmcnt(0)
	ds_write_b128 v24, v[10:13] offset:14080
	ds_read_b128 v[10:13], v23 offset:8640
	s_waitcnt lgkmcnt(0)
	ds_write_b128 v24, v[10:13] offset:14592
	ds_read_b128 v[10:13], v23 offset:8656
	s_waitcnt lgkmcnt(0)
	ds_write_b128 v24, v[10:13] offset:15104
	ds_read_b128 v[10:13], v23 offset:8672
	s_waitcnt lgkmcnt(0)
	ds_write_b128 v24, v[10:13] offset:15616
	ds_read_b128 v[10:13], v23 offset:8688
	s_waitcnt lgkmcnt(0)
	ds_write_b128 v24, v[10:13] offset:16128
.LBB80_398:
	s_or_b64 exec, exec, s[8:9]
	s_waitcnt lgkmcnt(0)
	s_barrier
	s_and_saveexec_b64 s[8:9], vcc
	s_cbranch_execz .LBB80_400
; %bb.399:
	s_mov_b32 s12, 0
	v_mov_b32_e32 v27, 0
	ds_read_b128 v[10:13], v27 offset:12688
	s_mov_b32 s15, s12
	s_mov_b32 s13, 0x3ff00000
	;; [unrolled: 1-line block ×3, first 2 shown]
	v_mov_b32_e32 v26, s15
	v_mov_b32_e32 v25, s14
	;; [unrolled: 1-line block ×4, first 2 shown]
	ds_write_b128 v27, v[23:26] offset:12672
	ds_write_b128 v27, v[23:26] offset:13200
	s_waitcnt lgkmcnt(2)
	ds_write_b128 v27, v[10:13] offset:13184
.LBB80_400:
	s_or_b64 exec, exec, s[8:9]
	v_mov_b32_e32 v12, 0
	v_mov_b32_e32 v10, 0
	;; [unrolled: 1-line block ×4, first 2 shown]
	s_waitcnt lgkmcnt(0)
	s_barrier
	s_and_saveexec_b64 s[10:11], s[2:3]
	s_cbranch_execz .LBB80_404
; %bb.401:
	v_mul_u32_u24_e32 v10, 0x210, v16
	ds_read_b128 v[10:13], v10 offset:12672
	ds_read_b128 v[23:26], v14 offset:12704
	v_cmp_gt_u32_e64 s[8:9], 2, v22
	s_waitcnt lgkmcnt(0)
	v_mul_f64 v[27:28], v[12:13], v[25:26]
	v_mul_f64 v[25:26], v[10:11], v[25:26]
	v_fma_f64 v[10:11], v[10:11], v[23:24], -v[27:28]
	v_fma_f64 v[12:13], v[12:13], v[23:24], v[25:26]
	v_add_f64 v[10:11], v[10:11], 0
	v_add_f64 v[12:13], v[12:13], 0
	s_and_saveexec_b64 s[12:13], s[8:9]
	s_cbranch_execz .LBB80_403
; %bb.402:
	v_lshlrev_b32_e32 v27, 4, v0
	v_mov_b32_e32 v23, 0
	ds_read_b128 v[23:26], v23 offset:12688
	ds_read_b128 v[27:30], v27 offset:13216
	s_waitcnt lgkmcnt(0)
	v_mul_f64 v[31:32], v[25:26], v[29:30]
	v_mul_f64 v[29:30], v[23:24], v[29:30]
	v_fma_f64 v[23:24], v[23:24], v[27:28], -v[31:32]
	v_fma_f64 v[25:26], v[25:26], v[27:28], v[29:30]
	v_add_f64 v[10:11], v[10:11], v[23:24]
	v_add_f64 v[12:13], v[12:13], v[25:26]
.LBB80_403:
	s_or_b64 exec, exec, s[12:13]
	v_xor_b32_e32 v11, 0x80000000, v11
	v_xor_b32_e32 v13, 0x80000000, v13
.LBB80_404:
	s_or_b64 exec, exec, s[10:11]
	s_and_saveexec_b64 s[8:9], s[42:43]
; %bb.405:
	ds_write_b128 v15, v[10:13]
; %bb.406:
	s_or_b64 exec, exec, s[8:9]
	s_waitcnt lgkmcnt(0)
	s_barrier
	s_and_saveexec_b64 s[8:9], s[24:25]
	s_cbranch_execz .LBB80_408
; %bb.407:
	v_mov_b32_e32 v27, 0
	ds_read_b128 v[23:26], v15
	ds_read_b128 v[27:30], v27 offset:13744
	s_waitcnt lgkmcnt(0)
	v_mul_f64 v[31:32], v[25:26], v[29:30]
	v_mul_f64 v[29:30], v[23:24], v[29:30]
	v_fma_f64 v[23:24], v[23:24], v[27:28], -v[31:32]
	v_fma_f64 v[25:26], v[25:26], v[27:28], v[29:30]
	v_add_f64 v[10:11], v[10:11], v[23:24]
	v_add_f64 v[12:13], v[12:13], v[25:26]
.LBB80_408:
	s_or_b64 exec, exec, s[8:9]
	s_barrier
	s_and_saveexec_b64 s[8:9], s[24:25]
; %bb.409:
	ds_write_b128 v15, v[10:13]
; %bb.410:
	s_or_b64 exec, exec, s[8:9]
	s_waitcnt lgkmcnt(0)
	s_barrier
	s_barrier
	s_and_saveexec_b64 s[8:9], s[2:3]
; %bb.411:
	v_xor_b32_e32 v11, 0x80000000, v11
	v_xor_b32_e32 v13, 0x80000000, v13
	ds_write_b128 v14, v[10:13] offset:12704
; %bb.412:
	s_or_b64 exec, exec, s[8:9]
	s_waitcnt lgkmcnt(0)
	s_barrier
	s_barrier
	s_and_saveexec_b64 s[8:9], s[44:45]
	s_cbranch_execz .LBB80_414
; %bb.413:
	v_lshlrev_b32_e32 v23, 9, v0
	ds_read_b128 v[10:13], v23 offset:12704
	s_movk_i32 s0, 0xfe10
	v_mad_i32_i24 v24, v0, s0, v23
	s_waitcnt lgkmcnt(0)
	ds_write_b128 v24, v[10:13] offset:13696
	ds_read_b128 v[10:13], v23 offset:12720
	s_waitcnt lgkmcnt(0)
	ds_write_b128 v24, v[10:13] offset:14208
.LBB80_414:
	s_or_b64 exec, exec, s[8:9]
	s_waitcnt lgkmcnt(0)
	s_barrier
	s_and_saveexec_b64 s[8:9], vcc
	s_cbranch_execz .LBB80_416
; %bb.415:
	s_mov_b32 s12, 0
	v_mov_b32_e32 v27, 0
	ds_read_b128 v[10:13], v27 offset:13744
	s_mov_b32 s15, s12
	s_mov_b32 s13, 0x3ff00000
	;; [unrolled: 1-line block ×3, first 2 shown]
	v_mov_b32_e32 v26, s15
	v_mov_b32_e32 v25, s14
	;; [unrolled: 1-line block ×4, first 2 shown]
	ds_write_b128 v27, v[23:26] offset:13728
	ds_write_b128 v27, v[23:26] offset:14256
	s_waitcnt lgkmcnt(2)
	ds_write_b128 v27, v[10:13] offset:14240
.LBB80_416:
	s_or_b64 exec, exec, s[8:9]
	v_mov_b32_e32 v12, 0
	v_mov_b32_e32 v10, 0
	;; [unrolled: 1-line block ×4, first 2 shown]
	s_waitcnt lgkmcnt(0)
	s_barrier
	s_and_saveexec_b64 s[10:11], s[16:17]
	s_cbranch_execz .LBB80_422
; %bb.417:
	v_mul_u32_u24_e32 v23, 0x210, v21
	ds_read_b128 v[10:13], v23 offset:12672
	ds_read_b128 v[24:27], v17 offset:12736
	v_cmp_gt_u32_e64 s[8:9], 12, v22
	s_waitcnt lgkmcnt(0)
	v_mul_f64 v[28:29], v[12:13], v[26:27]
	v_mul_f64 v[26:27], v[10:11], v[26:27]
	v_fma_f64 v[10:11], v[10:11], v[24:25], -v[28:29]
	v_fma_f64 v[12:13], v[12:13], v[24:25], v[26:27]
	v_add_f64 v[10:11], v[10:11], 0
	v_add_f64 v[12:13], v[12:13], 0
	s_and_saveexec_b64 s[12:13], s[8:9]
	s_cbranch_execnz .LBB80_539
; %bb.418:
	s_or_b64 exec, exec, s[12:13]
	v_cmp_gt_u32_e64 s[8:9], 8, v22
	s_and_saveexec_b64 s[12:13], s[8:9]
	s_cbranch_execnz .LBB80_540
.LBB80_419:
	s_or_b64 exec, exec, s[12:13]
	v_cmp_gt_u32_e64 s[8:9], 4, v22
	s_and_saveexec_b64 s[12:13], s[8:9]
	s_cbranch_execz .LBB80_421
.LBB80_420:
	v_mov_b32_e32 v21, 0
	v_lshlrev_b32_e32 v20, 4, v0
	ds_read_b128 v[23:26], v21 offset:12720
	ds_read_b128 v[27:30], v20 offset:14272
	s_waitcnt lgkmcnt(0)
	v_mul_f64 v[20:21], v[25:26], v[29:30]
	v_mul_f64 v[29:30], v[23:24], v[29:30]
	v_fma_f64 v[20:21], v[23:24], v[27:28], -v[20:21]
	v_fma_f64 v[23:24], v[25:26], v[27:28], v[29:30]
	v_add_f64 v[10:11], v[10:11], v[20:21]
	v_add_f64 v[12:13], v[12:13], v[23:24]
.LBB80_421:
	s_or_b64 exec, exec, s[12:13]
	v_xor_b32_e32 v11, 0x80000000, v11
	v_xor_b32_e32 v13, 0x80000000, v13
.LBB80_422:
	s_or_b64 exec, exec, s[10:11]
	s_and_saveexec_b64 s[8:9], s[48:49]
; %bb.423:
	ds_write_b128 v19, v[10:13]
; %bb.424:
	s_or_b64 exec, exec, s[8:9]
	s_waitcnt lgkmcnt(0)
	s_barrier
	s_and_saveexec_b64 s[8:9], s[50:51]
	s_cbranch_execz .LBB80_426
; %bb.425:
	ds_read_b128 v[23:26], v19
	ds_read_b128 v[27:30], v18 offset:14784
	s_waitcnt lgkmcnt(0)
	v_mul_f64 v[20:21], v[25:26], v[29:30]
	v_mul_f64 v[29:30], v[23:24], v[29:30]
	v_fma_f64 v[20:21], v[23:24], v[27:28], -v[20:21]
	v_fma_f64 v[23:24], v[25:26], v[27:28], v[29:30]
	v_add_f64 v[10:11], v[10:11], v[20:21]
	v_add_f64 v[12:13], v[12:13], v[23:24]
.LBB80_426:
	s_or_b64 exec, exec, s[8:9]
	s_barrier
	s_and_saveexec_b64 s[8:9], s[52:53]
; %bb.427:
	ds_write_b128 v19, v[10:13]
; %bb.428:
	s_or_b64 exec, exec, s[8:9]
	s_waitcnt lgkmcnt(0)
	s_barrier
	s_and_saveexec_b64 s[8:9], s[54:55]
	s_cbranch_execz .LBB80_430
; %bb.429:
	ds_read_b128 v[23:26], v19
	ds_read_b128 v[27:30], v18 offset:15296
	s_waitcnt lgkmcnt(0)
	v_mul_f64 v[20:21], v[25:26], v[29:30]
	v_mul_f64 v[29:30], v[23:24], v[29:30]
	v_fma_f64 v[20:21], v[23:24], v[27:28], -v[20:21]
	v_fma_f64 v[23:24], v[25:26], v[27:28], v[29:30]
	v_add_f64 v[10:11], v[10:11], v[20:21]
	v_add_f64 v[12:13], v[12:13], v[23:24]
.LBB80_430:
	s_or_b64 exec, exec, s[8:9]
	s_barrier
	s_and_saveexec_b64 s[8:9], s[56:57]
; %bb.431:
	ds_write_b128 v19, v[10:13]
; %bb.432:
	s_or_b64 exec, exec, s[8:9]
	s_waitcnt lgkmcnt(0)
	s_barrier
	s_and_saveexec_b64 s[8:9], s[46:47]
	s_cbranch_execz .LBB80_434
; %bb.433:
	v_mov_b32_e32 v18, 0
	ds_read_b128 v[23:26], v19
	ds_read_b128 v[27:30], v18 offset:15856
	s_waitcnt lgkmcnt(0)
	v_mul_f64 v[20:21], v[25:26], v[29:30]
	v_mul_f64 v[29:30], v[23:24], v[29:30]
	v_fma_f64 v[20:21], v[23:24], v[27:28], -v[20:21]
	v_fma_f64 v[23:24], v[25:26], v[27:28], v[29:30]
	v_add_f64 v[10:11], v[10:11], v[20:21]
	v_add_f64 v[12:13], v[12:13], v[23:24]
.LBB80_434:
	s_or_b64 exec, exec, s[8:9]
	s_barrier
	s_and_saveexec_b64 s[8:9], s[46:47]
; %bb.435:
	ds_write_b128 v19, v[10:13]
; %bb.436:
	s_or_b64 exec, exec, s[8:9]
	s_waitcnt lgkmcnt(0)
	s_barrier
	s_barrier
	s_and_saveexec_b64 s[8:9], s[16:17]
; %bb.437:
	v_xor_b32_e32 v13, 0x80000000, v13
	v_xor_b32_e32 v11, 0x80000000, v11
	ds_write_b128 v17, v[10:13] offset:12736
; %bb.438:
	s_or_b64 exec, exec, s[8:9]
	s_waitcnt lgkmcnt(0)
	s_barrier
	s_barrier
	s_and_saveexec_b64 s[8:9], s[58:59]
	s_cbranch_execz .LBB80_440
; %bb.439:
	v_lshlrev_b32_e32 v17, 4, v0
	s_movk_i32 s0, 0x1f0
	v_mad_u32_u24 v18, v0, s0, v17
	ds_read_b128 v[10:13], v18 offset:12736
	s_waitcnt lgkmcnt(0)
	ds_write_b128 v17, v[10:13] offset:14720
	ds_read_b128 v[10:13], v18 offset:12752
	s_waitcnt lgkmcnt(0)
	ds_write_b128 v17, v[10:13] offset:15232
	;; [unrolled: 3-line block ×4, first 2 shown]
.LBB80_440:
	s_or_b64 exec, exec, s[8:9]
	s_waitcnt lgkmcnt(0)
	s_barrier
	s_and_saveexec_b64 s[8:9], vcc
	s_cbranch_execz .LBB80_442
; %bb.441:
	s_mov_b32 s12, 0
	v_mov_b32_e32 v21, 0
	ds_read_b128 v[10:13], v21 offset:14800
	s_mov_b32 s15, s12
	s_mov_b32 s13, 0x3ff00000
	;; [unrolled: 1-line block ×3, first 2 shown]
	v_mov_b32_e32 v20, s15
	v_mov_b32_e32 v19, s14
	;; [unrolled: 1-line block ×4, first 2 shown]
	ds_write_b128 v21, v[17:20] offset:14784
	ds_write_b128 v21, v[17:20] offset:15312
	s_waitcnt lgkmcnt(2)
	ds_write_b128 v21, v[10:13] offset:15296
.LBB80_442:
	s_or_b64 exec, exec, s[8:9]
	v_mov_b32_e32 v12, 0
	v_mov_b32_e32 v10, 0
	;; [unrolled: 1-line block ×4, first 2 shown]
	s_waitcnt lgkmcnt(0)
	s_barrier
	s_and_saveexec_b64 s[10:11], s[2:3]
	s_cbranch_execz .LBB80_446
; %bb.443:
	v_mul_u32_u24_e32 v10, 0x210, v16
	ds_read_b128 v[10:13], v10 offset:14784
	ds_read_b128 v[16:19], v14 offset:14816
	v_cmp_gt_u32_e64 s[8:9], 2, v22
	s_waitcnt lgkmcnt(0)
	v_mul_f64 v[20:21], v[12:13], v[18:19]
	v_mul_f64 v[18:19], v[10:11], v[18:19]
	v_fma_f64 v[10:11], v[10:11], v[16:17], -v[20:21]
	v_fma_f64 v[12:13], v[12:13], v[16:17], v[18:19]
	v_add_f64 v[10:11], v[10:11], 0
	v_add_f64 v[12:13], v[12:13], 0
	s_and_saveexec_b64 s[12:13], s[8:9]
	s_cbranch_execz .LBB80_445
; %bb.444:
	v_mov_b32_e32 v16, 0
	v_lshlrev_b32_e32 v20, 4, v0
	ds_read_b128 v[16:19], v16 offset:14800
	ds_read_b128 v[23:26], v20 offset:15328
	s_waitcnt lgkmcnt(0)
	v_mul_f64 v[20:21], v[18:19], v[25:26]
	v_mul_f64 v[25:26], v[16:17], v[25:26]
	v_fma_f64 v[16:17], v[16:17], v[23:24], -v[20:21]
	v_fma_f64 v[18:19], v[18:19], v[23:24], v[25:26]
	v_add_f64 v[10:11], v[10:11], v[16:17]
	v_add_f64 v[12:13], v[12:13], v[18:19]
.LBB80_445:
	s_or_b64 exec, exec, s[12:13]
	v_xor_b32_e32 v11, 0x80000000, v11
	v_xor_b32_e32 v13, 0x80000000, v13
.LBB80_446:
	s_or_b64 exec, exec, s[10:11]
	s_and_saveexec_b64 s[8:9], s[42:43]
; %bb.447:
	ds_write_b128 v15, v[10:13]
; %bb.448:
	s_or_b64 exec, exec, s[8:9]
	s_waitcnt lgkmcnt(0)
	s_barrier
	s_and_saveexec_b64 s[8:9], s[24:25]
	v_readlane_b32 s42, v43, 0
	v_readlane_b32 s43, v43, 1
	s_cbranch_execz .LBB80_450
; %bb.449:
	v_mov_b32_e32 v20, 0
	ds_read_b128 v[16:19], v15
	ds_read_b128 v[23:26], v20 offset:15856
	s_waitcnt lgkmcnt(0)
	v_mul_f64 v[20:21], v[18:19], v[25:26]
	v_mul_f64 v[25:26], v[16:17], v[25:26]
	v_fma_f64 v[16:17], v[16:17], v[23:24], -v[20:21]
	v_fma_f64 v[18:19], v[18:19], v[23:24], v[25:26]
	v_add_f64 v[10:11], v[10:11], v[16:17]
	v_add_f64 v[12:13], v[12:13], v[18:19]
.LBB80_450:
	s_or_b64 exec, exec, s[8:9]
	s_barrier
	s_and_saveexec_b64 s[8:9], s[24:25]
; %bb.451:
	ds_write_b128 v15, v[10:13]
; %bb.452:
	s_or_b64 exec, exec, s[8:9]
	s_waitcnt lgkmcnt(0)
	s_barrier
	s_barrier
	s_and_saveexec_b64 s[8:9], s[2:3]
; %bb.453:
	v_xor_b32_e32 v11, 0x80000000, v11
	v_xor_b32_e32 v13, 0x80000000, v13
	ds_write_b128 v14, v[10:13] offset:14816
; %bb.454:
	s_or_b64 exec, exec, s[8:9]
	s_waitcnt lgkmcnt(0)
	s_barrier
	s_barrier
	s_and_saveexec_b64 s[2:3], s[44:45]
	s_cbranch_execz .LBB80_456
; %bb.455:
	v_lshlrev_b32_e32 v14, 9, v0
	ds_read_b128 v[10:13], v14 offset:14816
	s_movk_i32 s0, 0xfe10
	v_mad_i32_i24 v15, v0, s0, v14
	s_waitcnt lgkmcnt(0)
	ds_write_b128 v15, v[10:13] offset:15808
	ds_read_b128 v[10:13], v14 offset:14832
	s_waitcnt lgkmcnt(0)
	ds_write_b128 v15, v[10:13] offset:16320
.LBB80_456:
	s_or_b64 exec, exec, s[2:3]
	s_waitcnt lgkmcnt(0)
	s_barrier
	s_and_saveexec_b64 s[2:3], vcc
	s_cbranch_execz .LBB80_458
; %bb.457:
	s_mov_b32 s8, 0
	v_mov_b32_e32 v18, 0
	ds_read_b128 v[10:13], v18 offset:15856
	s_mov_b32 s11, s8
	s_mov_b32 s9, 0x3ff00000
	;; [unrolled: 1-line block ×3, first 2 shown]
	v_mov_b32_e32 v17, s11
	v_mov_b32_e32 v16, s10
	;; [unrolled: 1-line block ×4, first 2 shown]
	ds_write_b128 v18, v[14:17] offset:15840
	ds_write_b128 v18, v[14:17] offset:16368
	s_waitcnt lgkmcnt(2)
	ds_write_b128 v18, v[10:13] offset:16352
.LBB80_458:
	s_or_b64 exec, exec, s[2:3]
.LBB80_459:
	s_load_dwordx4 s[12:15], s[4:5], 0x48
	v_cmp_le_i32_e32 vcc, s94, v0
	v_mov_b32_e32 v10, 0
	v_mov_b32_e32 v11, 0
	;; [unrolled: 1-line block ×3, first 2 shown]
	s_waitcnt lgkmcnt(0)
	s_mul_i32 s1, s13, s34
	s_mul_hi_u32 s2, s12, s34
	s_mul_i32 s0, s12, s34
	s_add_i32 s1, s2, s1
	s_lshl_b64 s[0:1], s[0:1], 4
	s_add_u32 s2, s26, s0
	s_addc_u32 s3, s27, s1
	s_lshl_b64 s[0:1], s[28:29], 4
	s_add_u32 s24, s2, s0
	s_addc_u32 s25, s3, s1
	s_and_b64 s[16:17], vcc, s[22:23]
	v_cmp_eq_u32_e64 s[2:3], 0, v1
	s_xor_b64 s[0:1], s[16:17], -1
	s_and_b64 s[0:1], s[2:3], s[0:1]
	v_lshl_add_u32 v15, s33, 5, v0
	v_mov_b32_e32 v12, v10
	s_barrier
	s_and_saveexec_b64 s[4:5], s[0:1]
	s_cbranch_execz .LBB80_461
; %bb.460:
	v_ashrrev_i32_e32 v12, 31, v15
	v_mul_lo_u32 v13, s31, v15
	v_mad_u64_u32 v[10:11], s[0:1], s30, v15, 0
	v_mul_lo_u32 v12, s30, v12
	v_add3_u32 v11, v11, v12, v13
	v_lshlrev_b64 v[10:11], 4, v[10:11]
	v_mov_b32_e32 v12, s25
	v_add_co_u32_e32 v10, vcc, s24, v10
	v_addc_co_u32_e32 v11, vcc, v12, v11, vcc
	global_load_dwordx4 v[16:19], v[10:11], off
	s_waitcnt vmcnt(0)
	v_mul_f64 v[10:11], s[36:37], v[16:17]
	v_mul_f64 v[12:13], s[36:37], v[18:19]
	v_fma_f64 v[10:11], s[38:39], v[18:19], -v[10:11]
	v_fma_f64 v[12:13], v[16:17], -s[38:39], -v[12:13]
.LBB80_461:
	s_or_b64 exec, exec, s[4:5]
	s_and_b32 s0, 0xffff, s63
	v_mad_u32_u24 v23, v1, s0, v0
	v_mov_b32_e32 v14, 0
	s_cmp_lt_i32 s6, 1
	v_cmp_eq_u32_e64 s[4:5], 0, v23
	s_cbranch_scc1 .LBB80_484
; %bb.462:
	v_ashrrev_i32_e32 v18, 31, v15
	v_mul_lo_u32 v19, s21, v15
	v_mad_u64_u32 v[16:17], s[0:1], s20, v15, 0
	v_mul_lo_u32 v18, s20, v18
	s_lshl_b64 s[8:9], s[34:35], 2
	s_add_u32 s18, s14, s8
	s_addc_u32 s19, s15, s9
	v_add3_u32 v17, v17, v18, v19
	v_cmp_gt_i32_e64 s[8:9], s40, v15
	v_lshlrev_b64 v[15:16], 4, v[16:17]
	v_mov_b32_e32 v18, 0x6000
	v_mov_b32_e32 v17, s62
	v_add_co_u32_e32 v26, vcc, s95, v15
	s_mov_b32 s0, 0
	v_cmp_gt_u32_e64 s[12:13], 32, v23
	v_lshl_add_u32 v24, v23, 4, v18
	v_lshl_or_b32 v25, v1, 4, v18
	s_add_i32 s1, s33, 1
	v_addc_co_u32_e32 v27, vcc, v17, v16, vcc
	v_mov_b32_e32 v28, -1
	s_branch .LBB80_465
.LBB80_463:                             ;   in Loop: Header=BB80_465 Depth=1
	ds_read_b128 v[29:32], v25 offset:256
	s_waitcnt vmcnt(0) lgkmcnt(0)
	v_mul_f64 v[15:16], v[19:20], v[31:32]
	v_mul_f64 v[31:32], v[17:18], v[31:32]
	v_fma_f64 v[15:16], v[17:18], v[29:30], -v[15:16]
	v_fma_f64 v[17:18], v[19:20], v[29:30], v[31:32]
	v_add_f64 v[10:11], v[10:11], v[15:16]
	v_add_f64 v[12:13], v[12:13], v[17:18]
.LBB80_464:                             ;   in Loop: Header=BB80_465 Depth=1
	s_or_b64 exec, exec, s[20:21]
	s_add_i32 s0, s0, 1
	s_cmp_eq_u32 s0, s6
	s_cbranch_scc1 .LBB80_484
.LBB80_465:                             ; =>This Loop Header: Depth=1
                                        ;     Child Loop BB80_467 Depth 2
	v_cmp_gt_i32_e32 vcc, s0, v28
	s_and_b64 s[20:21], s[4:5], vcc
	s_and_saveexec_b64 s[10:11], s[20:21]
	s_cbranch_execz .LBB80_468
; %bb.466:                              ;   in Loop: Header=BB80_465 Depth=1
	global_load_dword v28, v14, s[18:19]
	s_waitcnt vmcnt(0)
	v_cmp_le_i32_e32 vcc, s0, v28
	s_cbranch_vccnz .LBB80_468
.LBB80_467:                             ;   Parent Loop BB80_465 Depth=1
                                        ; =>  This Inner Loop Header: Depth=2
	buffer_wbinvl1_vol
	global_load_dword v28, v14, s[18:19]
	s_waitcnt vmcnt(0)
	v_cmp_gt_i32_e32 vcc, s0, v28
	s_cbranch_vccnz .LBB80_467
.LBB80_468:                             ;   in Loop: Header=BB80_465 Depth=1
	s_or_b64 exec, exec, s[10:11]
	s_sub_i32 s26, s7, s0
	s_lshl_b32 s27, s26, 5
	buffer_wbinvl1_vol
	s_barrier
	s_and_saveexec_b64 s[10:11], s[12:13]
	s_cbranch_execz .LBB80_473
; %bb.469:                              ;   in Loop: Header=BB80_465 Depth=1
	s_ashr_i32 s20, s27, 31
	v_mov_b32_e32 v16, s20
	v_or_b32_e32 v15, s27, v23
	v_cmp_le_i64_e32 vcc, s[40:41], v[15:16]
	s_and_saveexec_b64 s[20:21], vcc
	s_xor_b64 s[20:21], exec, s[20:21]
; %bb.470:                              ;   in Loop: Header=BB80_465 Depth=1
	v_mov_b32_e32 v15, v14
	v_mov_b32_e32 v16, v14
	;; [unrolled: 1-line block ×3, first 2 shown]
	ds_write_b128 v24, v[14:17]
                                        ; implicit-def: $vgpr15_vgpr16
; %bb.471:                              ;   in Loop: Header=BB80_465 Depth=1
	s_andn2_saveexec_b64 s[20:21], s[20:21]
	s_cbranch_execz .LBB80_473
; %bb.472:                              ;   in Loop: Header=BB80_465 Depth=1
	v_mul_lo_u32 v17, v16, s30
	v_mul_lo_u32 v18, v15, s31
	v_mad_u64_u32 v[15:16], s[20:21], v15, s30, 0
	v_add3_u32 v16, v16, v18, v17
	v_lshlrev_b64 v[15:16], 4, v[15:16]
	v_mov_b32_e32 v17, s25
	v_add_co_u32_e32 v15, vcc, s24, v15
	v_addc_co_u32_e32 v16, vcc, v17, v16, vcc
	global_load_dwordx4 v[15:18], v[15:16], off
	s_waitcnt vmcnt(0)
	ds_write2_b64 v24, v[15:16], v[17:18] offset1:1
.LBB80_473:                             ;   in Loop: Header=BB80_465 Depth=1
	s_or_b64 exec, exec, s[10:11]
	v_add_u32_e32 v17, s27, v1
	v_ashrrev_i32_e32 v18, 31, v17
	v_lshlrev_b64 v[15:16], 4, v[17:18]
	s_cmp_lg_u32 s26, s1
	v_add_co_u32_e32 v15, vcc, v26, v15
	s_cselect_b64 s[10:11], -1, 0
	v_addc_co_u32_e32 v16, vcc, v27, v16, vcc
	v_cmp_gt_i32_e32 vcc, s40, v17
	v_cndmask_b32_e64 v18, 0, 1, s[10:11]
	s_and_b64 s[26:27], vcc, s[8:9]
	v_cmp_ne_u32_e64 s[10:11], 1, v18
	s_waitcnt lgkmcnt(0)
	s_barrier
	s_and_saveexec_b64 s[20:21], s[26:27]
	s_cbranch_execz .LBB80_479
; %bb.474:                              ;   in Loop: Header=BB80_465 Depth=1
	v_mov_b32_e32 v19, v7
	s_and_b64 vcc, exec, s[10:11]
	v_mov_b32_e32 v18, v6
	s_cbranch_vccnz .LBB80_476
; %bb.475:                              ;   in Loop: Header=BB80_465 Depth=1
	global_load_dwordx2 v[18:19], v[15:16], off
.LBB80_476:                             ;   in Loop: Header=BB80_465 Depth=1
	v_mov_b32_e32 v21, v9
	s_and_b64 vcc, exec, s[10:11]
	v_mov_b32_e32 v20, v8
	s_cbranch_vccnz .LBB80_478
; %bb.477:                              ;   in Loop: Header=BB80_465 Depth=1
	global_load_dwordx2 v[20:21], v[15:16], off offset:8
.LBB80_478:                             ;   in Loop: Header=BB80_465 Depth=1
	ds_read_b128 v[29:32], v25
	s_waitcnt vmcnt(0) lgkmcnt(0)
	v_mul_f64 v[33:34], v[20:21], v[31:32]
	v_mul_f64 v[31:32], v[18:19], v[31:32]
	v_fma_f64 v[18:19], v[18:19], v[29:30], -v[33:34]
	v_fma_f64 v[20:21], v[20:21], v[29:30], v[31:32]
	v_add_f64 v[10:11], v[10:11], v[18:19]
	v_add_f64 v[12:13], v[12:13], v[20:21]
.LBB80_479:                             ;   in Loop: Header=BB80_465 Depth=1
	s_or_b64 exec, exec, s[20:21]
	v_add_u32_e32 v17, 16, v17
	v_cmp_gt_i32_e32 vcc, s40, v17
	s_and_b64 s[26:27], vcc, s[8:9]
	s_and_saveexec_b64 s[20:21], s[26:27]
	s_cbranch_execz .LBB80_464
; %bb.480:                              ;   in Loop: Header=BB80_465 Depth=1
	v_mov_b32_e32 v18, v3
	s_and_b64 vcc, exec, s[10:11]
	v_mov_b32_e32 v17, v2
	s_cbranch_vccnz .LBB80_482
; %bb.481:                              ;   in Loop: Header=BB80_465 Depth=1
	global_load_dwordx2 v[17:18], v[15:16], off offset:256
.LBB80_482:                             ;   in Loop: Header=BB80_465 Depth=1
	v_mov_b32_e32 v20, v5
	s_and_b64 vcc, exec, s[10:11]
	v_mov_b32_e32 v19, v4
	s_cbranch_vccnz .LBB80_463
; %bb.483:                              ;   in Loop: Header=BB80_465 Depth=1
	global_load_dwordx2 v[19:20], v[15:16], off offset:264
	s_branch .LBB80_463
.LBB80_484:
	s_xor_b64 s[4:5], s[22:23], -1
	v_lshlrev_b32_e32 v6, 4, v22
	ds_write_b128 v6, v[10:13] offset:16384
	s_waitcnt lgkmcnt(0)
	s_barrier
	s_and_saveexec_b64 s[6:7], s[2:3]
	s_cbranch_execz .LBB80_486
; %bb.485:
	v_lshlrev_b32_e32 v18, 4, v0
	ds_read_b128 v[2:5], v18 offset:16896
	ds_read_b128 v[14:17], v18 offset:17408
	s_waitcnt lgkmcnt(1)
	v_add_f64 v[2:3], v[10:11], v[2:3]
	v_add_f64 v[4:5], v[12:13], v[4:5]
	s_waitcnt lgkmcnt(0)
	v_add_f64 v[11:12], v[2:3], v[14:15]
	v_add_f64 v[13:14], v[4:5], v[16:17]
	ds_read_b128 v[2:5], v18 offset:17920
	ds_read_b128 v[7:10], v18 offset:18432
	s_waitcnt lgkmcnt(1)
	v_add_f64 v[2:3], v[11:12], v[2:3]
	v_add_f64 v[4:5], v[13:14], v[4:5]
	s_waitcnt lgkmcnt(0)
	v_add_f64 v[11:12], v[2:3], v[7:8]
	v_add_f64 v[13:14], v[4:5], v[9:10]
	;; [unrolled: 8-line block ×7, first 2 shown]
	ds_read_b128 v[2:5], v18 offset:24064
	s_waitcnt lgkmcnt(0)
	v_add_f64 v[2:3], v[7:8], v[2:3]
	v_add_f64 v[4:5], v[9:10], v[4:5]
	v_xor_b32_e32 v3, 0x80000000, v3
	v_xor_b32_e32 v5, 0x80000000, v5
	v_cndmask_b32_e64 v10, v2, 0, s[16:17]
	v_cndmask_b32_e64 v11, v3, 0, s[16:17]
	;; [unrolled: 1-line block ×4, first 2 shown]
.LBB80_486:
	s_or_b64 exec, exec, s[6:7]
	s_and_b64 vcc, exec, s[42:43]
	s_cbranch_vccnz .LBB80_495
; %bb.487:
	v_mov_b32_e32 v2, 0x6000
	v_lshl_or_b32 v7, v1, 4, v2
	s_and_saveexec_b64 s[0:1], s[2:3]
; %bb.488:
	v_lshl_add_u32 v2, v0, 4, v7
	ds_write_b128 v2, v[10:13]
; %bb.489:
	s_or_b64 exec, exec, s[0:1]
	v_mov_b32_e32 v2, 0
	v_mov_b32_e32 v4, 0
	;; [unrolled: 1-line block ×4, first 2 shown]
	v_cmp_le_u32_e32 vcc, v0, v1
	s_waitcnt lgkmcnt(0)
	s_barrier
	s_and_saveexec_b64 s[0:1], vcc
	s_cbranch_execz .LBB80_491
; %bb.490:
	ds_read_b128 v[2:5], v7
	ds_read_b128 v[14:17], v6
	s_waitcnt lgkmcnt(0)
	v_mul_f64 v[8:9], v[4:5], v[16:17]
	v_mul_f64 v[16:17], v[2:3], v[16:17]
	v_fma_f64 v[2:3], v[2:3], v[14:15], -v[8:9]
	v_fma_f64 v[4:5], v[4:5], v[14:15], v[16:17]
	v_add_f64 v[2:3], v[2:3], 0
	v_add_f64 v[4:5], v[4:5], 0
.LBB80_491:
	s_or_b64 exec, exec, s[0:1]
	v_add_u32_e32 v1, 16, v1
	v_add_u32_e32 v8, 0x4000, v6
	v_cmp_le_u32_e32 vcc, v0, v1
	s_and_saveexec_b64 s[0:1], vcc
	s_cbranch_execz .LBB80_493
; %bb.492:
	ds_read_b128 v[14:17], v7 offset:256
	ds_read_b128 v[18:21], v6 offset:8192
	s_waitcnt lgkmcnt(0)
	v_mul_f64 v[6:7], v[16:17], v[20:21]
	v_mul_f64 v[20:21], v[14:15], v[20:21]
	v_fma_f64 v[6:7], v[14:15], v[18:19], -v[6:7]
	v_fma_f64 v[14:15], v[16:17], v[18:19], v[20:21]
	v_add_f64 v[2:3], v[2:3], v[6:7]
	v_add_f64 v[4:5], v[4:5], v[14:15]
.LBB80_493:
	s_or_b64 exec, exec, s[0:1]
	s_mov_b64 s[6:7], 0
	s_mov_b64 s[0:1], 0
	ds_write_b128 v8, v[2:5]
	s_waitcnt lgkmcnt(0)
	s_barrier
                                        ; implicit-def: $vgpr6_vgpr7
                                        ; implicit-def: $vgpr8_vgpr9
	s_and_saveexec_b64 s[8:9], s[2:3]
	s_cbranch_execz .LBB80_513
; %bb.494:
	v_lshlrev_b32_e32 v18, 4, v0
	ds_read_b128 v[6:9], v18 offset:16896
	ds_read_b128 v[14:17], v18 offset:17408
	s_mov_b64 s[0:1], exec
	s_waitcnt lgkmcnt(1)
	v_add_f64 v[1:2], v[2:3], v[6:7]
	v_add_f64 v[3:4], v[4:5], v[8:9]
	s_waitcnt lgkmcnt(0)
	v_add_f64 v[14:15], v[1:2], v[14:15]
	v_add_f64 v[16:17], v[3:4], v[16:17]
	ds_read_b128 v[1:4], v18 offset:17920
	ds_read_b128 v[5:8], v18 offset:18432
	s_waitcnt lgkmcnt(1)
	v_add_f64 v[1:2], v[14:15], v[1:2]
	v_add_f64 v[3:4], v[16:17], v[3:4]
	s_waitcnt lgkmcnt(0)
	v_add_f64 v[14:15], v[1:2], v[5:6]
	v_add_f64 v[16:17], v[3:4], v[7:8]
	ds_read_b128 v[1:4], v18 offset:18944
	ds_read_b128 v[5:8], v18 offset:19456
	s_waitcnt lgkmcnt(1)
	v_add_f64 v[1:2], v[14:15], v[1:2]
	v_add_f64 v[3:4], v[16:17], v[3:4]
	s_waitcnt lgkmcnt(0)
	v_add_f64 v[14:15], v[1:2], v[5:6]
	v_add_f64 v[16:17], v[3:4], v[7:8]
	ds_read_b128 v[1:4], v18 offset:19968
	ds_read_b128 v[5:8], v18 offset:20480
	s_waitcnt lgkmcnt(1)
	v_add_f64 v[1:2], v[14:15], v[1:2]
	v_add_f64 v[3:4], v[16:17], v[3:4]
	s_waitcnt lgkmcnt(0)
	v_add_f64 v[14:15], v[1:2], v[5:6]
	v_add_f64 v[16:17], v[3:4], v[7:8]
	ds_read_b128 v[1:4], v18 offset:20992
	ds_read_b128 v[5:8], v18 offset:21504
	s_waitcnt lgkmcnt(1)
	v_add_f64 v[1:2], v[14:15], v[1:2]
	v_add_f64 v[3:4], v[16:17], v[3:4]
	s_waitcnt lgkmcnt(0)
	v_add_f64 v[14:15], v[1:2], v[5:6]
	v_add_f64 v[16:17], v[3:4], v[7:8]
	ds_read_b128 v[1:4], v18 offset:22016
	ds_read_b128 v[5:8], v18 offset:22528
	s_waitcnt lgkmcnt(1)
	v_add_f64 v[1:2], v[14:15], v[1:2]
	v_add_f64 v[3:4], v[16:17], v[3:4]
	s_waitcnt lgkmcnt(0)
	v_add_f64 v[14:15], v[1:2], v[5:6]
	v_add_f64 v[16:17], v[3:4], v[7:8]
	ds_read_b128 v[1:4], v18 offset:23040
	ds_read_b128 v[5:8], v18 offset:23552
	s_waitcnt lgkmcnt(1)
	v_add_f64 v[1:2], v[14:15], v[1:2]
	v_add_f64 v[3:4], v[16:17], v[3:4]
	s_waitcnt lgkmcnt(0)
	v_add_f64 v[5:6], v[1:2], v[5:6]
	v_add_f64 v[14:15], v[3:4], v[7:8]
	ds_read_b128 v[1:4], v18 offset:24064
	s_waitcnt lgkmcnt(0)
	v_add_f64 v[8:9], v[5:6], v[1:2]
	v_add_f64 v[6:7], v[14:15], v[3:4]
	s_or_b64 exec, exec, s[8:9]
	s_and_b64 vcc, exec, s[6:7]
	s_cbranch_vccnz .LBB80_496
	s_branch .LBB80_514
.LBB80_495:
	s_mov_b64 s[0:1], 0
                                        ; implicit-def: $vgpr6_vgpr7
                                        ; implicit-def: $vgpr8_vgpr9
	s_cbranch_execz .LBB80_514
.LBB80_496:
	v_mov_b32_e32 v1, 0x3c00
	v_lshl_add_u32 v1, v0, 4, v1
	v_mov_b32_e32 v3, 31
	v_mov_b32_e32 v2, 0
	s_branch .LBB80_498
.LBB80_497:                             ;   in Loop: Header=BB80_498 Depth=1
	s_or_b64 exec, exec, s[6:7]
	v_subrev_co_u32_e32 v3, vcc, 1, v3
	s_andn2_b64 vcc, exec, vcc
	v_add_u32_e32 v1, 0xfffffc00, v1
	s_barrier
	s_cbranch_vccz .LBB80_506
.LBB80_498:                             ; =>This Inner Loop Header: Depth=1
	v_cmp_eq_u32_e32 vcc, v0, v3
	s_and_b64 s[8:9], s[2:3], vcc
	s_and_saveexec_b64 s[6:7], s[8:9]
; %bb.499:                              ;   in Loop: Header=BB80_498 Depth=1
	ds_write_b128 v2, v[10:13] offset:25088
; %bb.500:                              ;   in Loop: Header=BB80_498 Depth=1
	s_or_b64 exec, exec, s[6:7]
	v_cmp_lt_u32_e32 vcc, v0, v3
	s_and_b64 s[8:9], s[2:3], vcc
	s_waitcnt lgkmcnt(0)
	s_barrier
	s_and_saveexec_b64 s[6:7], s[8:9]
	s_cbranch_execz .LBB80_502
; %bb.501:                              ;   in Loop: Header=BB80_498 Depth=1
	ds_read_b128 v[4:7], v2 offset:25088
	ds_read_b128 v[14:17], v1 offset:512
	s_waitcnt lgkmcnt(0)
	v_mul_f64 v[8:9], v[6:7], v[16:17]
	v_mul_f64 v[16:17], v[4:5], v[16:17]
	v_fma_f64 v[4:5], v[4:5], v[14:15], -v[8:9]
	v_fma_f64 v[6:7], v[6:7], v[14:15], v[16:17]
	v_add_f64 v[10:11], v[10:11], v[4:5]
	v_add_f64 v[12:13], v[12:13], v[6:7]
.LBB80_502:                             ;   in Loop: Header=BB80_498 Depth=1
	s_or_b64 exec, exec, s[6:7]
	v_add_u32_e32 v3, -1, v3
	v_cmp_eq_u32_e32 vcc, v0, v3
	s_and_b64 s[8:9], s[2:3], vcc
	s_barrier
	s_and_saveexec_b64 s[6:7], s[8:9]
; %bb.503:                              ;   in Loop: Header=BB80_498 Depth=1
	ds_write_b128 v2, v[10:13] offset:25088
; %bb.504:                              ;   in Loop: Header=BB80_498 Depth=1
	s_or_b64 exec, exec, s[6:7]
	v_cmp_lt_u32_e32 vcc, v0, v3
	s_and_b64 s[8:9], s[2:3], vcc
	s_waitcnt lgkmcnt(0)
	s_barrier
	s_and_saveexec_b64 s[6:7], s[8:9]
	s_cbranch_execz .LBB80_497
; %bb.505:                              ;   in Loop: Header=BB80_498 Depth=1
	ds_read_b128 v[4:7], v2 offset:25088
	ds_read_b128 v[14:17], v1
	s_waitcnt lgkmcnt(0)
	v_mul_f64 v[8:9], v[6:7], v[16:17]
	v_mul_f64 v[16:17], v[4:5], v[16:17]
	v_fma_f64 v[4:5], v[4:5], v[14:15], -v[8:9]
	v_fma_f64 v[6:7], v[6:7], v[14:15], v[16:17]
	v_add_f64 v[10:11], v[10:11], v[4:5]
	v_add_f64 v[12:13], v[12:13], v[6:7]
	s_branch .LBB80_497
.LBB80_506:
	s_mov_b64 s[6:7], -1
	s_and_b64 vcc, exec, s[4:5]
	s_cbranch_vccnz .LBB80_515
; %bb.507:
	s_andn2_b64 vcc, exec, s[6:7]
	s_cbranch_vccz .LBB80_516
.LBB80_508:
	s_and_saveexec_b64 s[2:3], s[0:1]
	s_cbranch_execz .LBB80_510
.LBB80_509:
	s_lshl_b32 s0, s33, 5
	s_ashr_i32 s1, s0, 31
	v_mov_b32_e32 v0, s1
	v_add_co_u32_e32 v1, vcc, s0, v23
	v_addc_co_u32_e32 v0, vcc, 0, v0, vcc
	v_mul_lo_u32 v2, v0, s30
	v_mul_lo_u32 v3, v1, s31
	v_mad_u64_u32 v[0:1], s[0:1], v1, s30, 0
	v_add3_u32 v1, v1, v3, v2
	v_lshlrev_b64 v[0:1], 4, v[0:1]
	v_mov_b32_e32 v2, s25
	v_add_co_u32_e32 v0, vcc, s24, v0
	v_addc_co_u32_e32 v1, vcc, v2, v1, vcc
	global_store_dwordx4 v[0:1], v[10:13], off
.LBB80_510:
	s_or_b64 exec, exec, s[2:3]
	v_cmp_eq_u32_e32 vcc, 0, v23
	s_waitcnt vmcnt(0)
	buffer_wbinvl1_vol
	s_barrier
	s_and_saveexec_b64 s[0:1], vcc
	s_cbranch_execz .LBB80_512
; %bb.511:
	s_lshl_b64 s[2:3], s[34:35], 2
	s_add_u32 s2, s14, s2
	s_addc_u32 s3, s15, s3
	v_mov_b32_e32 v0, 0
	global_load_dword v1, v0, s[2:3]
	s_waitcnt vmcnt(0)
	v_add_u32_e32 v1, 1, v1
	global_store_dword v0, v1, s[2:3]
.LBB80_512:
	s_or_b64 exec, exec, s[0:1]
	s_waitcnt vmcnt(0)
	buffer_wbinvl1_vol
	s_endpgm
.LBB80_513:
	s_or_b64 exec, exec, s[8:9]
	s_and_b64 vcc, exec, s[6:7]
	s_cbranch_vccnz .LBB80_496
.LBB80_514:
	v_mov_b32_e32 v13, v7
	v_mov_b32_e32 v11, v9
	;; [unrolled: 1-line block ×4, first 2 shown]
	s_and_saveexec_b64 s[2:3], s[0:1]
	s_cbranch_execnz .LBB80_509
	s_branch .LBB80_510
.LBB80_515:
	s_andn2_b64 s[0:1], s[0:1], exec
	s_and_b64 s[4:5], s[2:3], exec
	s_or_b64 s[0:1], s[0:1], s[4:5]
	s_cbranch_execnz .LBB80_508
.LBB80_516:
	v_cmp_gt_i32_e32 vcc, s94, v0
	s_and_b64 s[2:3], s[2:3], vcc
	s_andn2_b64 s[0:1], s[0:1], exec
	s_and_b64 s[2:3], s[2:3], exec
	s_or_b64 s[0:1], s[0:1], s[2:3]
	s_and_saveexec_b64 s[2:3], s[0:1]
	s_cbranch_execnz .LBB80_509
	s_branch .LBB80_510
.LBB80_517:
	v_lshlrev_b32_e32 v23, 4, v21
	v_sub_u32_e32 v23, v19, v23
	v_lshl_add_u32 v27, v20, 4, v23
	ds_read_b128 v[23:26], v19 offset:16
	ds_read_b128 v[27:30], v27 offset:576
	s_waitcnt lgkmcnt(0)
	v_mul_f64 v[31:32], v[25:26], v[29:30]
	v_mul_f64 v[29:30], v[23:24], v[29:30]
	v_fma_f64 v[23:24], v[23:24], v[27:28], -v[31:32]
	v_fma_f64 v[25:26], v[25:26], v[27:28], v[29:30]
	v_add_f64 v[10:11], v[10:11], v[23:24]
	v_add_f64 v[12:13], v[12:13], v[25:26]
	s_or_b64 exec, exec, s[18:19]
	v_cmp_gt_u32_e64 s[12:13], 8, v22
	s_and_saveexec_b64 s[18:19], s[12:13]
	s_cbranch_execz .LBB80_57
.LBB80_518:
	ds_read_b128 v[23:26], v19 offset:32
	ds_read_b128 v[27:30], v17 offset:1088
	s_waitcnt lgkmcnt(0)
	v_mul_f64 v[31:32], v[25:26], v[29:30]
	v_mul_f64 v[29:30], v[23:24], v[29:30]
	v_fma_f64 v[23:24], v[23:24], v[27:28], -v[31:32]
	v_fma_f64 v[25:26], v[25:26], v[27:28], v[29:30]
	v_add_f64 v[10:11], v[10:11], v[23:24]
	v_add_f64 v[12:13], v[12:13], v[25:26]
	s_or_b64 exec, exec, s[18:19]
	v_cmp_gt_u32_e64 s[12:13], 4, v22
	s_and_saveexec_b64 s[18:19], s[12:13]
	s_cbranch_execnz .LBB80_58
	s_branch .LBB80_59
.LBB80_519:
	v_lshlrev_b32_e32 v28, 4, v27
	v_sub_u32_e32 v28, v25, v28
	v_lshl_add_u32 v32, v26, 4, v28
	ds_read_b128 v[28:31], v25 offset:16
	ds_read_b128 v[32:35], v32 offset:640
	s_waitcnt lgkmcnt(0)
	v_mul_f64 v[36:37], v[30:31], v[34:35]
	v_mul_f64 v[34:35], v[28:29], v[34:35]
	v_fma_f64 v[28:29], v[28:29], v[32:33], -v[36:37]
	v_fma_f64 v[30:31], v[30:31], v[32:33], v[34:35]
	v_add_f64 v[10:11], v[10:11], v[28:29]
	v_add_f64 v[12:13], v[12:13], v[30:31]
	s_or_b64 exec, exec, s[60:61]
	v_cmp_gt_u32_e64 s[14:15], 48, v22
	s_and_saveexec_b64 s[60:61], s[14:15]
	s_cbranch_execz .LBB80_99
.LBB80_520:
	v_lshlrev_b32_e32 v28, 4, v27
	v_sub_u32_e32 v28, v25, v28
	v_lshl_add_u32 v32, v26, 4, v28
	ds_read_b128 v[28:31], v25 offset:32
	ds_read_b128 v[32:35], v32 offset:1152
	s_waitcnt lgkmcnt(0)
	v_mul_f64 v[36:37], v[30:31], v[34:35]
	v_mul_f64 v[34:35], v[28:29], v[34:35]
	v_fma_f64 v[28:29], v[28:29], v[32:33], -v[36:37]
	v_fma_f64 v[30:31], v[30:31], v[32:33], v[34:35]
	v_add_f64 v[10:11], v[10:11], v[28:29]
	v_add_f64 v[12:13], v[12:13], v[30:31]
	s_or_b64 exec, exec, s[60:61]
	v_cmp_gt_u32_e64 s[14:15], 40, v22
	s_and_saveexec_b64 s[60:61], s[14:15]
	s_cbranch_execz .LBB80_100
.LBB80_521:
	v_lshlrev_b32_e32 v28, 4, v27
	v_sub_u32_e32 v28, v25, v28
	v_lshl_add_u32 v32, v26, 4, v28
	ds_read_b128 v[28:31], v25 offset:48
	ds_read_b128 v[32:35], v32 offset:1664
	s_waitcnt lgkmcnt(0)
	v_mul_f64 v[36:37], v[30:31], v[34:35]
	v_mul_f64 v[34:35], v[28:29], v[34:35]
	v_fma_f64 v[28:29], v[28:29], v[32:33], -v[36:37]
	v_fma_f64 v[30:31], v[30:31], v[32:33], v[34:35]
	v_add_f64 v[10:11], v[10:11], v[28:29]
	v_add_f64 v[12:13], v[12:13], v[30:31]
	s_or_b64 exec, exec, s[60:61]
	v_cmp_gt_u32_e64 s[14:15], 32, v22
	s_and_saveexec_b64 s[60:61], s[14:15]
	s_cbranch_execz .LBB80_101
.LBB80_522:
	ds_read_b128 v[28:31], v25 offset:64
	ds_read_b128 v[32:35], v23 offset:2176
	s_waitcnt lgkmcnt(0)
	v_mul_f64 v[36:37], v[30:31], v[34:35]
	v_mul_f64 v[34:35], v[28:29], v[34:35]
	v_fma_f64 v[28:29], v[28:29], v[32:33], -v[36:37]
	v_fma_f64 v[30:31], v[30:31], v[32:33], v[34:35]
	v_add_f64 v[10:11], v[10:11], v[28:29]
	v_add_f64 v[12:13], v[12:13], v[30:31]
	s_or_b64 exec, exec, s[60:61]
	v_cmp_gt_u32_e64 s[14:15], 24, v22
	s_and_saveexec_b64 s[60:61], s[14:15]
	s_cbranch_execz .LBB80_102
.LBB80_523:
	v_lshlrev_b32_e32 v28, 4, v27
	v_sub_u32_e32 v28, v25, v28
	v_lshl_add_u32 v32, v26, 4, v28
	ds_read_b128 v[28:31], v25 offset:80
	ds_read_b128 v[32:35], v32 offset:2688
	s_waitcnt lgkmcnt(0)
	v_mul_f64 v[36:37], v[30:31], v[34:35]
	v_mul_f64 v[34:35], v[28:29], v[34:35]
	v_fma_f64 v[28:29], v[28:29], v[32:33], -v[36:37]
	v_fma_f64 v[30:31], v[30:31], v[32:33], v[34:35]
	v_add_f64 v[10:11], v[10:11], v[28:29]
	v_add_f64 v[12:13], v[12:13], v[30:31]
	s_or_b64 exec, exec, s[60:61]
	v_cmp_gt_u32_e64 s[14:15], 16, v22
	s_and_saveexec_b64 s[60:61], s[14:15]
	s_cbranch_execz .LBB80_103
.LBB80_524:
	ds_read_b128 v[28:31], v25 offset:96
	ds_read_b128 v[32:35], v23 offset:3200
	s_waitcnt lgkmcnt(0)
	v_mul_f64 v[36:37], v[30:31], v[34:35]
	v_mul_f64 v[34:35], v[28:29], v[34:35]
	v_fma_f64 v[28:29], v[28:29], v[32:33], -v[36:37]
	v_fma_f64 v[30:31], v[30:31], v[32:33], v[34:35]
	v_add_f64 v[10:11], v[10:11], v[28:29]
	v_add_f64 v[12:13], v[12:13], v[30:31]
	s_or_b64 exec, exec, s[60:61]
	v_cmp_gt_u32_e64 s[14:15], 8, v22
	s_and_saveexec_b64 s[60:61], s[14:15]
	s_cbranch_execnz .LBB80_104
	s_branch .LBB80_105
.LBB80_525:
	v_lshlrev_b32_e32 v29, 4, v21
	v_sub_u32_e32 v29, v28, v29
	v_lshl_add_u32 v33, v20, 4, v29
	ds_read_b128 v[29:32], v28 offset:4240
	ds_read_b128 v[33:36], v33 offset:4800
	s_waitcnt lgkmcnt(0)
	v_mul_f64 v[37:38], v[31:32], v[35:36]
	v_mul_f64 v[35:36], v[29:30], v[35:36]
	v_fma_f64 v[29:30], v[29:30], v[33:34], -v[37:38]
	v_fma_f64 v[31:32], v[31:32], v[33:34], v[35:36]
	v_add_f64 v[10:11], v[10:11], v[29:30]
	v_add_f64 v[12:13], v[12:13], v[31:32]
	s_or_b64 exec, exec, s[18:19]
	v_cmp_gt_u32_e64 s[12:13], 8, v22
	s_and_saveexec_b64 s[18:19], s[12:13]
	s_cbranch_execz .LBB80_161
.LBB80_526:
	ds_read_b128 v[28:31], v28 offset:4256
	ds_read_b128 v[32:35], v17 offset:5312
	s_waitcnt lgkmcnt(0)
	v_mul_f64 v[36:37], v[30:31], v[34:35]
	v_mul_f64 v[34:35], v[28:29], v[34:35]
	v_fma_f64 v[28:29], v[28:29], v[32:33], -v[36:37]
	v_fma_f64 v[30:31], v[30:31], v[32:33], v[34:35]
	v_add_f64 v[10:11], v[10:11], v[28:29]
	v_add_f64 v[12:13], v[12:13], v[30:31]
	s_or_b64 exec, exec, s[18:19]
	v_cmp_gt_u32_e64 s[12:13], 4, v22
	s_and_saveexec_b64 s[18:19], s[12:13]
	s_cbranch_execnz .LBB80_162
	s_branch .LBB80_163
.LBB80_527:
	ds_read_b128 v[33:36], v32 offset:176
	ds_read_b128 v[37:40], v28 offset:5888
	s_waitcnt lgkmcnt(0)
	v_mul_f64 v[41:42], v[35:36], v[39:40]
	v_mul_f64 v[39:40], v[33:34], v[39:40]
	v_fma_f64 v[33:34], v[33:34], v[37:38], -v[41:42]
	v_fma_f64 v[35:36], v[35:36], v[37:38], v[39:40]
	v_add_f64 v[10:11], v[10:11], v[33:34]
	v_add_f64 v[12:13], v[12:13], v[35:36]
	s_or_b64 exec, exec, s[92:93]
	v_cmp_gt_u32_e64 s[18:19], 64, v22
	s_and_saveexec_b64 s[92:93], s[18:19]
	s_cbranch_execz .LBB80_223
.LBB80_528:
	ds_read_b128 v[33:36], v32 offset:192
	ds_read_b128 v[37:40], v28 offset:6400
	s_waitcnt lgkmcnt(0)
	v_mul_f64 v[41:42], v[35:36], v[39:40]
	v_mul_f64 v[39:40], v[33:34], v[39:40]
	v_fma_f64 v[33:34], v[33:34], v[37:38], -v[41:42]
	v_fma_f64 v[35:36], v[35:36], v[37:38], v[39:40]
	v_add_f64 v[10:11], v[10:11], v[33:34]
	v_add_f64 v[12:13], v[12:13], v[35:36]
	s_or_b64 exec, exec, s[92:93]
	v_cmp_gt_u32_e64 s[18:19], 48, v22
	s_and_saveexec_b64 s[92:93], s[18:19]
	s_cbranch_execz .LBB80_224
.LBB80_529:
	ds_read_b128 v[33:36], v32 offset:208
	ds_read_b128 v[37:40], v28 offset:6912
	s_waitcnt lgkmcnt(0)
	v_mul_f64 v[41:42], v[35:36], v[39:40]
	v_mul_f64 v[39:40], v[33:34], v[39:40]
	v_fma_f64 v[33:34], v[33:34], v[37:38], -v[41:42]
	v_fma_f64 v[35:36], v[35:36], v[37:38], v[39:40]
	v_add_f64 v[10:11], v[10:11], v[33:34]
	v_add_f64 v[12:13], v[12:13], v[35:36]
	s_or_b64 exec, exec, s[92:93]
	v_cmp_gt_u32_e64 s[18:19], 32, v22
	s_and_saveexec_b64 s[92:93], s[18:19]
	s_cbranch_execz .LBB80_225
.LBB80_530:
	ds_read_b128 v[32:35], v32 offset:224
	ds_read_b128 v[36:39], v28 offset:7424
	s_waitcnt lgkmcnt(0)
	v_mul_f64 v[40:41], v[34:35], v[38:39]
	v_mul_f64 v[38:39], v[32:33], v[38:39]
	v_fma_f64 v[32:33], v[32:33], v[36:37], -v[40:41]
	v_fma_f64 v[34:35], v[34:35], v[36:37], v[38:39]
	v_add_f64 v[10:11], v[10:11], v[32:33]
	v_add_f64 v[12:13], v[12:13], v[34:35]
	s_or_b64 exec, exec, s[92:93]
	v_cmp_gt_u32_e64 s[18:19], 16, v22
	s_and_saveexec_b64 s[92:93], s[18:19]
	s_cbranch_execnz .LBB80_226
	s_branch .LBB80_227
.LBB80_531:
	v_lshlrev_b32_e32 v29, 4, v21
	v_sub_u32_e32 v29, v28, v29
	v_lshl_add_u32 v33, v20, 4, v29
	ds_read_b128 v[29:32], v28 offset:8464
	ds_read_b128 v[33:36], v33 offset:9024
	s_waitcnt lgkmcnt(0)
	v_mul_f64 v[37:38], v[31:32], v[35:36]
	v_mul_f64 v[35:36], v[29:30], v[35:36]
	v_fma_f64 v[29:30], v[29:30], v[33:34], -v[37:38]
	v_fma_f64 v[31:32], v[31:32], v[33:34], v[35:36]
	v_add_f64 v[10:11], v[10:11], v[29:30]
	v_add_f64 v[12:13], v[12:13], v[31:32]
	s_or_b64 exec, exec, s[14:15]
	v_cmp_gt_u32_e64 s[10:11], 8, v22
	s_and_saveexec_b64 s[14:15], s[10:11]
	s_cbranch_execz .LBB80_315
.LBB80_532:
	ds_read_b128 v[28:31], v28 offset:8480
	ds_read_b128 v[32:35], v17 offset:9536
	s_waitcnt lgkmcnt(0)
	v_mul_f64 v[36:37], v[30:31], v[34:35]
	v_mul_f64 v[34:35], v[28:29], v[34:35]
	v_fma_f64 v[28:29], v[28:29], v[32:33], -v[36:37]
	v_fma_f64 v[30:31], v[30:31], v[32:33], v[34:35]
	v_add_f64 v[10:11], v[10:11], v[28:29]
	v_add_f64 v[12:13], v[12:13], v[30:31]
	s_or_b64 exec, exec, s[14:15]
	v_cmp_gt_u32_e64 s[10:11], 4, v22
	s_and_saveexec_b64 s[14:15], s[10:11]
	s_cbranch_execnz .LBB80_316
	s_branch .LBB80_317
.LBB80_533:
	v_lshlrev_b32_e32 v29, 4, v27
	v_sub_u32_e32 v29, v28, v29
	v_lshl_add_u32 v33, v26, 4, v29
	ds_read_b128 v[29:32], v28 offset:8464
	ds_read_b128 v[33:36], v33 offset:9088
	s_waitcnt lgkmcnt(0)
	v_mul_f64 v[37:38], v[31:32], v[35:36]
	v_mul_f64 v[35:36], v[29:30], v[35:36]
	v_fma_f64 v[29:30], v[29:30], v[33:34], -v[37:38]
	v_fma_f64 v[31:32], v[31:32], v[33:34], v[35:36]
	v_add_f64 v[10:11], v[10:11], v[29:30]
	v_add_f64 v[12:13], v[12:13], v[31:32]
	s_or_b64 exec, exec, s[14:15]
	v_cmp_gt_u32_e64 s[10:11], 48, v22
	s_and_saveexec_b64 s[14:15], s[10:11]
	s_cbranch_execz .LBB80_357
.LBB80_534:
	v_lshlrev_b32_e32 v29, 4, v27
	v_sub_u32_e32 v29, v28, v29
	v_lshl_add_u32 v33, v26, 4, v29
	ds_read_b128 v[29:32], v28 offset:8480
	ds_read_b128 v[33:36], v33 offset:9600
	s_waitcnt lgkmcnt(0)
	v_mul_f64 v[37:38], v[31:32], v[35:36]
	v_mul_f64 v[35:36], v[29:30], v[35:36]
	v_fma_f64 v[29:30], v[29:30], v[33:34], -v[37:38]
	v_fma_f64 v[31:32], v[31:32], v[33:34], v[35:36]
	v_add_f64 v[10:11], v[10:11], v[29:30]
	v_add_f64 v[12:13], v[12:13], v[31:32]
	s_or_b64 exec, exec, s[14:15]
	v_cmp_gt_u32_e64 s[10:11], 40, v22
	s_and_saveexec_b64 s[14:15], s[10:11]
	s_cbranch_execz .LBB80_358
.LBB80_535:
	v_lshlrev_b32_e32 v29, 4, v27
	v_sub_u32_e32 v29, v28, v29
	v_lshl_add_u32 v33, v26, 4, v29
	ds_read_b128 v[29:32], v28 offset:8496
	ds_read_b128 v[33:36], v33 offset:10112
	s_waitcnt lgkmcnt(0)
	v_mul_f64 v[37:38], v[31:32], v[35:36]
	v_mul_f64 v[35:36], v[29:30], v[35:36]
	v_fma_f64 v[29:30], v[29:30], v[33:34], -v[37:38]
	v_fma_f64 v[31:32], v[31:32], v[33:34], v[35:36]
	v_add_f64 v[10:11], v[10:11], v[29:30]
	v_add_f64 v[12:13], v[12:13], v[31:32]
	s_or_b64 exec, exec, s[14:15]
	v_cmp_gt_u32_e64 s[10:11], 32, v22
	s_and_saveexec_b64 s[14:15], s[10:11]
	s_cbranch_execz .LBB80_359
.LBB80_536:
	ds_read_b128 v[29:32], v28 offset:8512
	ds_read_b128 v[33:36], v23 offset:10624
	s_waitcnt lgkmcnt(0)
	v_mul_f64 v[37:38], v[31:32], v[35:36]
	v_mul_f64 v[35:36], v[29:30], v[35:36]
	v_fma_f64 v[29:30], v[29:30], v[33:34], -v[37:38]
	v_fma_f64 v[31:32], v[31:32], v[33:34], v[35:36]
	v_add_f64 v[10:11], v[10:11], v[29:30]
	v_add_f64 v[12:13], v[12:13], v[31:32]
	s_or_b64 exec, exec, s[14:15]
	v_cmp_gt_u32_e64 s[10:11], 24, v22
	s_and_saveexec_b64 s[14:15], s[10:11]
	s_cbranch_execz .LBB80_360
.LBB80_537:
	v_lshlrev_b32_e32 v27, 4, v27
	v_sub_u32_e32 v27, v28, v27
	v_lshl_add_u32 v26, v26, 4, v27
	ds_read_b128 v[29:32], v28 offset:8528
	ds_read_b128 v[33:36], v26 offset:11136
	s_waitcnt lgkmcnt(0)
	v_mul_f64 v[26:27], v[31:32], v[35:36]
	v_mul_f64 v[35:36], v[29:30], v[35:36]
	v_fma_f64 v[26:27], v[29:30], v[33:34], -v[26:27]
	v_fma_f64 v[29:30], v[31:32], v[33:34], v[35:36]
	v_add_f64 v[10:11], v[10:11], v[26:27]
	v_add_f64 v[12:13], v[12:13], v[29:30]
	s_or_b64 exec, exec, s[14:15]
	v_cmp_gt_u32_e64 s[10:11], 16, v22
	s_and_saveexec_b64 s[14:15], s[10:11]
	s_cbranch_execz .LBB80_361
.LBB80_538:
	ds_read_b128 v[26:29], v28 offset:8544
	ds_read_b128 v[30:33], v23 offset:11648
	s_waitcnt lgkmcnt(0)
	v_mul_f64 v[34:35], v[28:29], v[32:33]
	v_mul_f64 v[32:33], v[26:27], v[32:33]
	v_fma_f64 v[26:27], v[26:27], v[30:31], -v[34:35]
	v_fma_f64 v[28:29], v[28:29], v[30:31], v[32:33]
	v_add_f64 v[10:11], v[10:11], v[26:27]
	v_add_f64 v[12:13], v[12:13], v[28:29]
	s_or_b64 exec, exec, s[14:15]
	v_cmp_gt_u32_e64 s[10:11], 8, v22
	s_and_saveexec_b64 s[14:15], s[10:11]
	s_cbranch_execnz .LBB80_362
	s_branch .LBB80_363
.LBB80_539:
	v_lshlrev_b32_e32 v21, 4, v21
	v_sub_u32_e32 v21, v23, v21
	v_lshl_add_u32 v20, v20, 4, v21
	ds_read_b128 v[24:27], v23 offset:12688
	ds_read_b128 v[28:31], v20 offset:13248
	s_waitcnt lgkmcnt(0)
	v_mul_f64 v[20:21], v[26:27], v[30:31]
	v_mul_f64 v[30:31], v[24:25], v[30:31]
	v_fma_f64 v[20:21], v[24:25], v[28:29], -v[20:21]
	v_fma_f64 v[24:25], v[26:27], v[28:29], v[30:31]
	v_add_f64 v[10:11], v[10:11], v[20:21]
	v_add_f64 v[12:13], v[12:13], v[24:25]
	s_or_b64 exec, exec, s[12:13]
	v_cmp_gt_u32_e64 s[8:9], 8, v22
	s_and_saveexec_b64 s[12:13], s[8:9]
	s_cbranch_execz .LBB80_419
.LBB80_540:
	ds_read_b128 v[23:26], v23 offset:12704
	ds_read_b128 v[27:30], v17 offset:13760
	s_waitcnt lgkmcnt(0)
	v_mul_f64 v[20:21], v[25:26], v[29:30]
	v_mul_f64 v[29:30], v[23:24], v[29:30]
	v_fma_f64 v[20:21], v[23:24], v[27:28], -v[20:21]
	v_fma_f64 v[23:24], v[25:26], v[27:28], v[29:30]
	v_add_f64 v[10:11], v[10:11], v[20:21]
	v_add_f64 v[12:13], v[12:13], v[23:24]
	s_or_b64 exec, exec, s[12:13]
	v_cmp_gt_u32_e64 s[8:9], 4, v22
	s_and_saveexec_b64 s[12:13], s[8:9]
	s_cbranch_execnz .LBB80_420
	s_branch .LBB80_421
	.section	.rodata,"a",@progbits
	.p2align	6, 0x0
	.amdhsa_kernel _ZL19rocblas_trsv_deviceILi32ELi16ELb1ELb1ELb0ELb1E19rocblas_complex_numIdEPKS1_S3_PS1_EviT7_lllT6_T8_lllPii
		.amdhsa_group_segment_fixed_size 25104
		.amdhsa_private_segment_fixed_size 0
		.amdhsa_kernarg_size 352
		.amdhsa_user_sgpr_count 6
		.amdhsa_user_sgpr_private_segment_buffer 1
		.amdhsa_user_sgpr_dispatch_ptr 0
		.amdhsa_user_sgpr_queue_ptr 0
		.amdhsa_user_sgpr_kernarg_segment_ptr 1
		.amdhsa_user_sgpr_dispatch_id 0
		.amdhsa_user_sgpr_flat_scratch_init 0
		.amdhsa_user_sgpr_private_segment_size 0
		.amdhsa_uses_dynamic_stack 0
		.amdhsa_system_sgpr_private_segment_wavefront_offset 0
		.amdhsa_system_sgpr_workgroup_id_x 1
		.amdhsa_system_sgpr_workgroup_id_y 0
		.amdhsa_system_sgpr_workgroup_id_z 1
		.amdhsa_system_sgpr_workgroup_info 0
		.amdhsa_system_vgpr_workitem_id 1
		.amdhsa_next_free_vgpr 49
		.amdhsa_next_free_sgpr 98
		.amdhsa_reserve_vcc 1
		.amdhsa_reserve_flat_scratch 0
		.amdhsa_float_round_mode_32 0
		.amdhsa_float_round_mode_16_64 0
		.amdhsa_float_denorm_mode_32 3
		.amdhsa_float_denorm_mode_16_64 3
		.amdhsa_dx10_clamp 1
		.amdhsa_ieee_mode 1
		.amdhsa_fp16_overflow 0
		.amdhsa_exception_fp_ieee_invalid_op 0
		.amdhsa_exception_fp_denorm_src 0
		.amdhsa_exception_fp_ieee_div_zero 0
		.amdhsa_exception_fp_ieee_overflow 0
		.amdhsa_exception_fp_ieee_underflow 0
		.amdhsa_exception_fp_ieee_inexact 0
		.amdhsa_exception_int_div_zero 0
	.end_amdhsa_kernel
	.section	.text._ZL19rocblas_trsv_deviceILi32ELi16ELb1ELb1ELb0ELb1E19rocblas_complex_numIdEPKS1_S3_PS1_EviT7_lllT6_T8_lllPii,"axG",@progbits,_ZL19rocblas_trsv_deviceILi32ELi16ELb1ELb1ELb0ELb1E19rocblas_complex_numIdEPKS1_S3_PS1_EviT7_lllT6_T8_lllPii,comdat
.Lfunc_end80:
	.size	_ZL19rocblas_trsv_deviceILi32ELi16ELb1ELb1ELb0ELb1E19rocblas_complex_numIdEPKS1_S3_PS1_EviT7_lllT6_T8_lllPii, .Lfunc_end80-_ZL19rocblas_trsv_deviceILi32ELi16ELb1ELb1ELb0ELb1E19rocblas_complex_numIdEPKS1_S3_PS1_EviT7_lllT6_T8_lllPii
                                        ; -- End function
	.set _ZL19rocblas_trsv_deviceILi32ELi16ELb1ELb1ELb0ELb1E19rocblas_complex_numIdEPKS1_S3_PS1_EviT7_lllT6_T8_lllPii.num_vgpr, 44
	.set _ZL19rocblas_trsv_deviceILi32ELi16ELb1ELb1ELb0ELb1E19rocblas_complex_numIdEPKS1_S3_PS1_EviT7_lllT6_T8_lllPii.num_agpr, 0
	.set _ZL19rocblas_trsv_deviceILi32ELi16ELb1ELb1ELb0ELb1E19rocblas_complex_numIdEPKS1_S3_PS1_EviT7_lllT6_T8_lllPii.numbered_sgpr, 96
	.set _ZL19rocblas_trsv_deviceILi32ELi16ELb1ELb1ELb0ELb1E19rocblas_complex_numIdEPKS1_S3_PS1_EviT7_lllT6_T8_lllPii.num_named_barrier, 0
	.set _ZL19rocblas_trsv_deviceILi32ELi16ELb1ELb1ELb0ELb1E19rocblas_complex_numIdEPKS1_S3_PS1_EviT7_lllT6_T8_lllPii.private_seg_size, 0
	.set _ZL19rocblas_trsv_deviceILi32ELi16ELb1ELb1ELb0ELb1E19rocblas_complex_numIdEPKS1_S3_PS1_EviT7_lllT6_T8_lllPii.uses_vcc, 1
	.set _ZL19rocblas_trsv_deviceILi32ELi16ELb1ELb1ELb0ELb1E19rocblas_complex_numIdEPKS1_S3_PS1_EviT7_lllT6_T8_lllPii.uses_flat_scratch, 0
	.set _ZL19rocblas_trsv_deviceILi32ELi16ELb1ELb1ELb0ELb1E19rocblas_complex_numIdEPKS1_S3_PS1_EviT7_lllT6_T8_lllPii.has_dyn_sized_stack, 0
	.set _ZL19rocblas_trsv_deviceILi32ELi16ELb1ELb1ELb0ELb1E19rocblas_complex_numIdEPKS1_S3_PS1_EviT7_lllT6_T8_lllPii.has_recursion, 0
	.set _ZL19rocblas_trsv_deviceILi32ELi16ELb1ELb1ELb0ELb1E19rocblas_complex_numIdEPKS1_S3_PS1_EviT7_lllT6_T8_lllPii.has_indirect_call, 0
	.section	.AMDGPU.csdata,"",@progbits
; Kernel info:
; codeLenInByte = 21916
; TotalNumSgprs: 100
; NumVgprs: 44
; ScratchSize: 0
; MemoryBound: 1
; FloatMode: 240
; IeeeMode: 1
; LDSByteSize: 25104 bytes/workgroup (compile time only)
; SGPRBlocks: 12
; VGPRBlocks: 12
; NumSGPRsForWavesPerEU: 102
; NumVGPRsForWavesPerEU: 49
; Occupancy: 4
; WaveLimiterHint : 0
; COMPUTE_PGM_RSRC2:SCRATCH_EN: 0
; COMPUTE_PGM_RSRC2:USER_SGPR: 6
; COMPUTE_PGM_RSRC2:TRAP_HANDLER: 0
; COMPUTE_PGM_RSRC2:TGID_X_EN: 1
; COMPUTE_PGM_RSRC2:TGID_Y_EN: 0
; COMPUTE_PGM_RSRC2:TGID_Z_EN: 1
; COMPUTE_PGM_RSRC2:TIDIG_COMP_CNT: 1
	.section	.text._ZL19rocblas_trsv_deviceILi32ELi16ELb1ELb1ELb1ELb1E19rocblas_complex_numIdEPKS1_S3_PS1_EviT7_lllT6_T8_lllPii,"axG",@progbits,_ZL19rocblas_trsv_deviceILi32ELi16ELb1ELb1ELb1ELb1E19rocblas_complex_numIdEPKS1_S3_PS1_EviT7_lllT6_T8_lllPii,comdat
	.globl	_ZL19rocblas_trsv_deviceILi32ELi16ELb1ELb1ELb1ELb1E19rocblas_complex_numIdEPKS1_S3_PS1_EviT7_lllT6_T8_lllPii ; -- Begin function _ZL19rocblas_trsv_deviceILi32ELi16ELb1ELb1ELb1ELb1E19rocblas_complex_numIdEPKS1_S3_PS1_EviT7_lllT6_T8_lllPii
	.p2align	8
	.type	_ZL19rocblas_trsv_deviceILi32ELi16ELb1ELb1ELb1ELb1E19rocblas_complex_numIdEPKS1_S3_PS1_EviT7_lllT6_T8_lllPii,@function
_ZL19rocblas_trsv_deviceILi32ELi16ELb1ELb1ELb1ELb1E19rocblas_complex_numIdEPKS1_S3_PS1_EviT7_lllT6_T8_lllPii: ; @_ZL19rocblas_trsv_deviceILi32ELi16ELb1ELb1ELb1ELb1E19rocblas_complex_numIdEPKS1_S3_PS1_EviT7_lllT6_T8_lllPii
; %bb.0:
	s_load_dwordx16 s[16:31], s[4:5], 0x8
	s_load_dword s40, s[4:5], 0x0
	s_mov_b32 s34, s7
	s_mov_b32 s35, 0
	s_waitcnt lgkmcnt(0)
	s_mul_i32 s0, s23, s7
	s_mul_hi_u32 s1, s22, s7
	s_add_i32 s1, s1, s0
	s_mul_i32 s0, s22, s7
	s_load_dword s7, s[4:5], 0x60
	s_lshl_b64 s[0:1], s[0:1], 4
	s_add_u32 s2, s16, s0
	s_addc_u32 s3, s17, s1
	s_lshl_b64 s[0:1], s[18:19], 4
	s_load_dwordx4 s[36:39], s[24:25], 0x0
	s_load_dword s63, s[4:5], 0x6c
	s_add_u32 s95, s2, s0
	s_addc_u32 s62, s3, s1
	s_waitcnt lgkmcnt(0)
	s_add_i32 s7, s7, -1
	s_sub_i32 s33, s7, s6
	s_cmp_eq_u32 s6, 0
	s_cbranch_scc1 .LBB81_6
; %bb.1:
	s_lshl_b32 s2, s33, 5
	v_add_u32_e32 v6, s2, v0
	v_ashrrev_i32_e32 v2, 31, v6
	v_mul_lo_u32 v7, s20, v2
	v_mul_lo_u32 v8, s21, v6
	v_mad_u64_u32 v[4:5], s[0:1], s20, v6, 0
	v_add3_u32 v2, v1, s2, 32
	v_ashrrev_i32_e32 v3, 31, v2
	v_add3_u32 v5, v5, v7, v8
	v_lshlrev_b64 v[4:5], 4, v[4:5]
	v_cmp_gt_i32_e32 vcc, s40, v6
	v_mov_b32_e32 v6, s62
	v_add_co_u32_e64 v7, s[0:1], s95, v4
	v_lshlrev_b64 v[3:4], 4, v[2:3]
	v_addc_co_u32_e64 v5, s[0:1], v6, v5, s[0:1]
	v_add_co_u32_e64 v10, s[0:1], v7, v3
	v_addc_co_u32_e64 v11, s[0:1], v5, v4, s[0:1]
	v_cmp_gt_i32_e64 s[0:1], s40, v2
	v_mov_b32_e32 v4, 0
	v_mov_b32_e32 v6, 0
	;; [unrolled: 1-line block ×6, first 2 shown]
	s_and_b64 s[2:3], s[0:1], vcc
	s_barrier
	s_and_saveexec_b64 s[0:1], s[2:3]
	s_cbranch_execz .LBB81_3
; %bb.2:
	global_load_dwordx4 v[6:9], v[10:11], off
.LBB81_3:
	s_or_b64 exec, exec, s[0:1]
	v_add_u32_e32 v2, 16, v2
	v_cmp_gt_i32_e64 s[0:1], s40, v2
	v_mov_b32_e32 v2, 0
	v_mov_b32_e32 v3, 0
	s_and_b64 s[2:3], s[0:1], vcc
	s_waitcnt vmcnt(0)
	s_barrier
	s_and_saveexec_b64 s[0:1], s[2:3]
	s_cbranch_execz .LBB81_5
; %bb.4:
	global_load_dwordx4 v[2:5], v[10:11], off offset:256
.LBB81_5:
	s_or_b64 exec, exec, s[0:1]
	s_branch .LBB81_7
.LBB81_6:
                                        ; implicit-def: $vgpr4_vgpr5
                                        ; implicit-def: $vgpr8_vgpr9
.LBB81_7:
	s_ashr_i32 s41, s40, 31
	s_lshr_b32 s0, s41, 27
	s_add_i32 s0, s40, s0
	s_andn2_b32 s0, s0, 31
	s_sub_i32 s94, s40, s0
	s_add_i32 s0, s40, -1
	s_ashr_i32 s1, s0, 31
	s_lshr_b32 s1, s1, 27
	s_add_i32 s0, s0, s1
	s_ashr_i32 s0, s0, 5
	s_cmp_eq_u32 s0, s33
	s_cselect_b64 s[0:1], -1, 0
	s_cmp_lg_u32 s94, 0
	s_cselect_b64 s[2:3], -1, 0
	s_and_b64 s[22:23], s[2:3], s[0:1]
	s_cmp_lt_i32 s6, 5
	s_cselect_b64 s[2:3], -1, 0
	v_lshlrev_b32_e32 v10, 5, v0
	s_mov_b64 s[12:13], -1
	s_or_b64 s[0:1], s[2:3], s[22:23]
	s_and_b64 vcc, exec, s[22:23]
	v_add_u32_e32 v11, v1, v10
	v_cmp_le_u32_e64 s[8:9], v0, v1
	v_lshl_add_u32 v22, v1, 5, v0
	s_cbranch_vccnz .LBB81_21
; %bb.8:
	s_add_u32 s10, s20, 1
	s_addc_u32 s11, s21, 0
	s_lshl_b32 s12, s33, 5
	s_ashr_i32 s13, s12, 31
	s_mul_hi_u32 s14, s10, s12
	s_mul_i32 s13, s10, s13
	s_add_i32 s13, s14, s13
	s_mul_i32 s11, s11, s12
	s_add_i32 s11, s13, s11
	s_mul_i32 s10, s10, s12
	s_lshl_b64 s[10:11], s[10:11], 4
	s_add_u32 s10, s95, s10
	s_addc_u32 s11, s62, s11
	v_lshlrev_b32_e32 v12, 4, v0
	v_mov_b32_e32 v13, s11
	v_add_co_u32_e32 v12, vcc, s10, v12
	v_addc_co_u32_e32 v13, vcc, 0, v13, vcc
	v_cndmask_b32_e64 v14, v22, v11, s[2:3]
	s_and_saveexec_b64 s[2:3], s[8:9]
	s_xor_b64 s[2:3], exec, s[2:3]
	s_cbranch_execz .LBB81_12
; %bb.9:
	v_or_b32_e32 v15, v1, v0
	v_cmp_gt_u32_e32 vcc, 32, v15
	s_and_saveexec_b64 s[8:9], vcc
	s_cbranch_execz .LBB81_11
; %bb.10:
	v_lshlrev_b32_e32 v18, 4, v14
	v_mov_b32_e32 v14, 0
	v_mov_b32_e32 v15, v14
	v_mov_b32_e32 v16, v14
	v_mov_b32_e32 v17, v14
	ds_write_b128 v18, v[14:17]
.LBB81_11:
	s_or_b64 exec, exec, s[8:9]
                                        ; implicit-def: $vgpr14
.LBB81_12:
	s_andn2_saveexec_b64 s[2:3], s[2:3]
	s_cbranch_execz .LBB81_14
; %bb.13:
	v_mad_u64_u32 v[15:16], s[8:9], s20, v1, 0
	v_lshlrev_b32_e32 v14, 4, v14
	v_mad_u64_u32 v[16:17], s[8:9], s21, v1, v[16:17]
	v_lshlrev_b64 v[15:16], 4, v[15:16]
	v_add_co_u32_e32 v15, vcc, v12, v15
	v_addc_co_u32_e32 v16, vcc, v13, v16, vcc
	global_load_dwordx4 v[15:18], v[15:16], off
	s_waitcnt vmcnt(0)
	v_xor_b32_e32 v16, 0x80000000, v16
	ds_write_b128 v14, v[15:18]
.LBB81_14:
	s_or_b64 exec, exec, s[2:3]
	v_add_u32_e32 v15, 16, v1
	v_add_u32_e32 v14, v15, v10
	v_lshl_add_u32 v16, v15, 5, v0
	v_cndmask_b32_e64 v14, v16, v14, s[0:1]
	v_cmp_le_u32_e32 vcc, v0, v15
	s_and_saveexec_b64 s[2:3], vcc
	s_xor_b64 s[2:3], exec, s[2:3]
	s_cbranch_execz .LBB81_18
; %bb.15:
	v_or_b32_e32 v12, v15, v0
	v_cmp_gt_u32_e32 vcc, 32, v12
	s_and_saveexec_b64 s[8:9], vcc
	s_cbranch_execz .LBB81_17
; %bb.16:
	v_mov_b32_e32 v12, 0
	v_lshlrev_b32_e32 v16, 4, v14
	v_mov_b32_e32 v13, v12
	v_mov_b32_e32 v14, v12
	;; [unrolled: 1-line block ×3, first 2 shown]
	ds_write_b128 v16, v[12:15]
.LBB81_17:
	s_or_b64 exec, exec, s[8:9]
                                        ; implicit-def: $vgpr15
                                        ; implicit-def: $vgpr12
                                        ; implicit-def: $vgpr13
                                        ; implicit-def: $vgpr14
.LBB81_18:
	s_andn2_saveexec_b64 s[2:3], s[2:3]
	s_cbranch_execz .LBB81_20
; %bb.19:
	v_mad_u64_u32 v[16:17], s[8:9], s20, v15, 0
	v_mad_u64_u32 v[17:18], s[8:9], s21, v15, v[17:18]
	v_lshlrev_b64 v[15:16], 4, v[16:17]
	v_add_co_u32_e32 v12, vcc, v12, v15
	v_addc_co_u32_e32 v13, vcc, v13, v16, vcc
	global_load_dwordx4 v[15:18], v[12:13], off
	v_lshlrev_b32_e32 v12, 4, v14
	s_waitcnt vmcnt(0)
	v_xor_b32_e32 v16, 0x80000000, v16
	ds_write_b128 v12, v[15:18]
.LBB81_20:
	s_or_b64 exec, exec, s[2:3]
	s_mov_b64 s[12:13], 0
.LBB81_21:
	s_xor_b64 s[10:11], s[0:1], -1
	s_and_b64 vcc, exec, s[12:13]
	s_cbranch_vccz .LBB81_35
; %bb.22:
	s_add_u32 s2, s20, 1
	s_addc_u32 s3, s21, 0
	s_lshl_b32 s8, s33, 5
	s_ashr_i32 s9, s8, 31
	s_mul_hi_u32 s12, s2, s8
	s_mul_i32 s9, s2, s9
	s_add_i32 s9, s12, s9
	s_mul_i32 s3, s3, s8
	s_add_i32 s3, s9, s3
	s_mul_i32 s2, s2, s8
	s_lshl_b64 s[2:3], s[2:3], 4
	s_add_u32 s2, s95, s2
	s_addc_u32 s3, s62, s3
	v_lshlrev_b32_e32 v12, 4, v0
	v_mov_b32_e32 v13, s3
	v_add_co_u32_e64 v12, s[2:3], s2, v12
	v_addc_co_u32_e64 v13, s[2:3], 0, v13, s[2:3]
	v_max_i32_e32 v14, v1, v0
	v_cmp_le_u32_e64 s[2:3], v0, v1
	v_cmp_le_i32_e64 s[8:9], s94, v14
	v_cmp_gt_i32_e32 vcc, s94, v0
	s_or_b64 s[2:3], s[8:9], s[2:3]
	s_and_saveexec_b64 s[8:9], s[2:3]
	s_xor_b64 s[8:9], exec, s[8:9]
	s_cbranch_execz .LBB81_26
; %bb.23:
	v_or_b32_e32 v14, v1, v0
	v_cmp_gt_u32_e64 s[2:3], 32, v14
	s_and_saveexec_b64 s[12:13], s[2:3]
	s_cbranch_execz .LBB81_25
; %bb.24:
	v_mov_b32_e32 v14, 0
	v_lshlrev_b32_e32 v11, 4, v11
	v_mov_b32_e32 v15, v14
	v_mov_b32_e32 v16, v14
	;; [unrolled: 1-line block ×3, first 2 shown]
	ds_write_b128 v11, v[14:17]
.LBB81_25:
	s_or_b64 exec, exec, s[12:13]
                                        ; implicit-def: $vgpr11
.LBB81_26:
	s_andn2_saveexec_b64 s[8:9], s[8:9]
	s_cbranch_execz .LBB81_28
; %bb.27:
	v_mad_u64_u32 v[14:15], s[2:3], s20, v1, 0
	v_lshlrev_b32_e32 v11, 4, v11
	v_mad_u64_u32 v[15:16], s[2:3], s21, v1, v[15:16]
	v_lshlrev_b64 v[14:15], 4, v[14:15]
	v_add_co_u32_e64 v14, s[2:3], v12, v14
	v_addc_co_u32_e64 v15, s[2:3], v13, v15, s[2:3]
	global_load_dwordx4 v[14:17], v[14:15], off
	s_waitcnt vmcnt(0)
	v_xor_b32_e32 v15, 0x80000000, v15
	ds_write_b128 v11, v[14:17]
.LBB81_28:
	s_or_b64 exec, exec, s[8:9]
	v_add_u32_e32 v11, 16, v1
	v_add_u32_e32 v10, v11, v10
	v_lshl_add_u32 v14, v11, 5, v0
	v_cndmask_b32_e64 v10, v14, v10, s[0:1]
	v_cmp_gt_u32_e64 s[0:1], v0, v11
	v_cmp_gt_i32_e64 s[2:3], s94, v11
	s_and_b64 s[0:1], s[0:1], s[2:3]
	s_and_b64 s[0:1], s[0:1], vcc
	s_xor_b64 s[0:1], s[0:1], -1
	s_and_saveexec_b64 s[2:3], s[0:1]
	s_xor_b64 s[0:1], exec, s[2:3]
	s_cbranch_execz .LBB81_32
; %bb.29:
	v_or_b32_e32 v11, v11, v0
	v_cmp_gt_u32_e32 vcc, 32, v11
	s_and_saveexec_b64 s[2:3], vcc
	s_cbranch_execz .LBB81_31
; %bb.30:
	v_lshlrev_b32_e32 v14, 4, v10
	v_mov_b32_e32 v10, 0
	v_mov_b32_e32 v11, v10
	;; [unrolled: 1-line block ×4, first 2 shown]
	ds_write_b128 v14, v[10:13]
.LBB81_31:
	s_or_b64 exec, exec, s[2:3]
                                        ; implicit-def: $vgpr11
                                        ; implicit-def: $vgpr12
                                        ; implicit-def: $vgpr13
                                        ; implicit-def: $vgpr10
.LBB81_32:
	s_andn2_saveexec_b64 s[0:1], s[0:1]
	s_cbranch_execz .LBB81_34
; %bb.33:
	v_mad_u64_u32 v[14:15], s[2:3], s20, v11, 0
	v_lshlrev_b32_e32 v10, 4, v10
	v_mad_u64_u32 v[15:16], s[2:3], s21, v11, v[15:16]
	v_lshlrev_b64 v[14:15], 4, v[14:15]
	v_add_co_u32_e32 v11, vcc, v12, v14
	v_addc_co_u32_e32 v12, vcc, v13, v15, vcc
	global_load_dwordx4 v[11:14], v[11:12], off
	s_waitcnt vmcnt(0)
	v_xor_b32_e32 v12, 0x80000000, v12
	ds_write_b128 v10, v[11:14]
.LBB81_34:
	s_or_b64 exec, exec, s[0:1]
.LBB81_35:
	v_cndmask_b32_e64 v10, 0, 1, s[10:11]
	v_cmp_ne_u32_e64 s[42:43], 1, v10
	s_andn2_b64 vcc, exec, s[10:11]
	s_waitcnt vmcnt(0) lgkmcnt(0)
	s_barrier
	s_cbranch_vccnz .LBB81_459
; %bb.36:
	v_or_b32_e32 v10, v0, v1
	s_mov_b32 s8, 0
	v_cmp_eq_u32_e32 vcc, 0, v10
	s_and_saveexec_b64 s[2:3], vcc
	s_cbranch_execz .LBB81_38
; %bb.37:
	v_mov_b32_e32 v18, 0
	ds_read_b128 v[10:13], v18 offset:16
	s_mov_b32 s11, s8
	s_mov_b32 s9, 0x3ff00000
	;; [unrolled: 1-line block ×3, first 2 shown]
	v_mov_b32_e32 v17, s11
	v_mov_b32_e32 v16, s10
	;; [unrolled: 1-line block ×4, first 2 shown]
	ds_write_b128 v18, v[14:17]
	ds_write_b128 v18, v[14:17] offset:528
	s_waitcnt lgkmcnt(2)
	ds_write_b128 v18, v[10:13] offset:512
.LBB81_38:
	s_or_b64 exec, exec, s[2:3]
	v_and_b32_e32 v17, 1, v0
	v_lshrrev_b32_e32 v16, 1, v22
	v_lshlrev_b32_e32 v14, 4, v17
	v_mov_b32_e32 v12, 0
	v_mov_b32_e32 v10, 0
	v_cmp_lt_u32_e64 s[8:9], 3, v22
	v_cmp_gt_u32_e64 s[2:3], 4, v22
	v_mov_b32_e32 v13, 0
	v_mov_b32_e32 v11, 0
	v_lshl_or_b32 v14, v16, 9, v14
	s_waitcnt lgkmcnt(0)
	s_barrier
	s_and_saveexec_b64 s[12:13], s[2:3]
	s_cbranch_execz .LBB81_42
; %bb.39:
	v_mul_u32_u24_e32 v10, 0x210, v16
	ds_read_b128 v[10:13], v10
	ds_read_b128 v[18:21], v14 offset:32
	v_cmp_gt_u32_e64 s[10:11], 2, v22
	s_waitcnt lgkmcnt(0)
	v_mul_f64 v[23:24], v[12:13], v[20:21]
	v_mul_f64 v[20:21], v[10:11], v[20:21]
	v_fma_f64 v[10:11], v[10:11], v[18:19], -v[23:24]
	v_fma_f64 v[12:13], v[12:13], v[18:19], v[20:21]
	v_add_f64 v[10:11], v[10:11], 0
	v_add_f64 v[12:13], v[12:13], 0
	s_and_saveexec_b64 s[14:15], s[10:11]
	s_cbranch_execz .LBB81_41
; %bb.40:
	v_mov_b32_e32 v18, 0
	v_lshlrev_b32_e32 v15, 4, v0
	ds_read_b128 v[18:21], v18 offset:16
	ds_read_b128 v[23:26], v15 offset:544
	s_waitcnt lgkmcnt(0)
	v_mul_f64 v[27:28], v[20:21], v[25:26]
	v_mul_f64 v[25:26], v[18:19], v[25:26]
	v_fma_f64 v[18:19], v[18:19], v[23:24], -v[27:28]
	v_fma_f64 v[20:21], v[20:21], v[23:24], v[25:26]
	v_add_f64 v[10:11], v[10:11], v[18:19]
	v_add_f64 v[12:13], v[12:13], v[20:21]
.LBB81_41:
	s_or_b64 exec, exec, s[14:15]
	v_xor_b32_e32 v11, 0x80000000, v11
	v_xor_b32_e32 v13, 0x80000000, v13
.LBB81_42:
                                        ; implicit-def: $vgpr43 : SGPR spill to VGPR lane
	v_writelane_b32 v43, s42, 0
	v_writelane_b32 v43, s43, 1
	s_or_b64 exec, exec, s[12:13]
	v_mov_b32_e32 v15, 0x4000
	v_cmp_eq_u32_e64 s[10:11], 0, v17
	s_xor_b64 s[12:13], s[8:9], -1
	v_lshl_add_u32 v15, v16, 4, v15
	s_and_b64 s[42:43], s[10:11], s[12:13]
	s_and_saveexec_b64 s[8:9], s[42:43]
; %bb.43:
	ds_write_b128 v15, v[10:13]
; %bb.44:
	s_or_b64 exec, exec, s[8:9]
	v_cmp_ne_u32_e64 s[8:9], 0, v17
	s_and_b64 s[24:25], s[8:9], s[12:13]
	s_waitcnt lgkmcnt(0)
	s_barrier
	s_and_saveexec_b64 s[8:9], s[24:25]
	s_cbranch_execz .LBB81_46
; %bb.45:
	v_mov_b32_e32 v21, 0
	ds_read_b128 v[17:20], v15
	ds_read_b128 v[23:26], v21 offset:1072
	s_waitcnt lgkmcnt(0)
	v_mul_f64 v[27:28], v[19:20], v[25:26]
	v_mul_f64 v[25:26], v[17:18], v[25:26]
	v_fma_f64 v[17:18], v[17:18], v[23:24], -v[27:28]
	v_fma_f64 v[19:20], v[19:20], v[23:24], v[25:26]
	v_add_f64 v[10:11], v[10:11], v[17:18]
	v_add_f64 v[12:13], v[12:13], v[19:20]
.LBB81_46:
	s_or_b64 exec, exec, s[8:9]
	s_barrier
	s_and_saveexec_b64 s[8:9], s[24:25]
; %bb.47:
	ds_write_b128 v15, v[10:13]
; %bb.48:
	s_or_b64 exec, exec, s[8:9]
	s_waitcnt lgkmcnt(0)
	s_barrier
	s_barrier
	s_and_saveexec_b64 s[8:9], s[2:3]
; %bb.49:
	v_xor_b32_e32 v11, 0x80000000, v11
	v_xor_b32_e32 v13, 0x80000000, v13
	ds_write_b128 v14, v[10:13] offset:32
; %bb.50:
	s_or_b64 exec, exec, s[8:9]
	v_cmp_eq_u32_e64 s[10:11], 0, v1
	v_cmp_gt_u32_e64 s[8:9], 2, v0
	s_and_b64 s[44:45], s[10:11], s[8:9]
	s_waitcnt lgkmcnt(0)
	s_barrier
	s_barrier
	s_and_saveexec_b64 s[8:9], s[44:45]
	s_cbranch_execz .LBB81_52
; %bb.51:
	v_lshlrev_b32_e32 v17, 9, v0
	ds_read_b128 v[10:13], v17 offset:32
	s_movk_i32 s0, 0xfe10
	v_mad_i32_i24 v18, v0, s0, v17
	s_waitcnt lgkmcnt(0)
	ds_write_b128 v18, v[10:13] offset:1024
	ds_read_b128 v[10:13], v17 offset:48
	s_waitcnt lgkmcnt(0)
	ds_write_b128 v18, v[10:13] offset:1536
.LBB81_52:
	s_or_b64 exec, exec, s[8:9]
	s_waitcnt lgkmcnt(0)
	s_barrier
	s_and_saveexec_b64 s[8:9], vcc
	s_cbranch_execz .LBB81_54
; %bb.53:
	s_mov_b32 s12, 0
	v_mov_b32_e32 v21, 0
	ds_read_b128 v[10:13], v21 offset:1072
	s_mov_b32 s15, s12
	s_mov_b32 s13, 0x3ff00000
	;; [unrolled: 1-line block ×3, first 2 shown]
	v_mov_b32_e32 v20, s15
	v_mov_b32_e32 v19, s14
	;; [unrolled: 1-line block ×4, first 2 shown]
	ds_write_b128 v21, v[17:20] offset:1056
	ds_write_b128 v21, v[17:20] offset:1584
	s_waitcnt lgkmcnt(2)
	ds_write_b128 v21, v[10:13] offset:1568
.LBB81_54:
	s_or_b64 exec, exec, s[8:9]
	v_and_b32_e32 v20, 3, v0
	v_lshrrev_b32_e32 v21, 2, v22
	v_lshlrev_b32_e32 v18, 4, v20
	v_mov_b32_e32 v12, 0
	v_mov_b32_e32 v10, 0
	v_cmp_lt_u32_e64 s[8:9], 15, v22
	v_cmp_gt_u32_e64 s[16:17], 16, v22
	v_mov_b32_e32 v13, 0
	v_mov_b32_e32 v11, 0
	v_lshl_or_b32 v17, v21, 9, v18
	s_waitcnt lgkmcnt(0)
	s_barrier
	s_and_saveexec_b64 s[14:15], s[16:17]
	s_cbranch_execz .LBB81_60
; %bb.55:
	v_mul_u32_u24_e32 v19, 0x210, v21
	ds_read_b128 v[10:13], v19
	ds_read_b128 v[23:26], v17 offset:64
	v_cmp_gt_u32_e64 s[12:13], 12, v22
	s_waitcnt lgkmcnt(0)
	v_mul_f64 v[27:28], v[12:13], v[25:26]
	v_mul_f64 v[25:26], v[10:11], v[25:26]
	v_fma_f64 v[10:11], v[10:11], v[23:24], -v[27:28]
	v_fma_f64 v[12:13], v[12:13], v[23:24], v[25:26]
	v_add_f64 v[10:11], v[10:11], 0
	v_add_f64 v[12:13], v[12:13], 0
	s_and_saveexec_b64 s[18:19], s[12:13]
	s_cbranch_execnz .LBB81_517
; %bb.56:
	s_or_b64 exec, exec, s[18:19]
	v_cmp_gt_u32_e64 s[12:13], 8, v22
	s_and_saveexec_b64 s[18:19], s[12:13]
	s_cbranch_execnz .LBB81_518
.LBB81_57:
	s_or_b64 exec, exec, s[18:19]
	v_cmp_gt_u32_e64 s[12:13], 4, v22
	s_and_saveexec_b64 s[18:19], s[12:13]
	s_cbranch_execz .LBB81_59
.LBB81_58:
	v_mov_b32_e32 v23, 0
	v_lshlrev_b32_e32 v19, 4, v0
	ds_read_b128 v[23:26], v23 offset:48
	ds_read_b128 v[27:30], v19 offset:1600
	s_waitcnt lgkmcnt(0)
	v_mul_f64 v[31:32], v[25:26], v[29:30]
	v_mul_f64 v[29:30], v[23:24], v[29:30]
	v_fma_f64 v[23:24], v[23:24], v[27:28], -v[31:32]
	v_fma_f64 v[25:26], v[25:26], v[27:28], v[29:30]
	v_add_f64 v[10:11], v[10:11], v[23:24]
	v_add_f64 v[12:13], v[12:13], v[25:26]
.LBB81_59:
	s_or_b64 exec, exec, s[18:19]
	v_xor_b32_e32 v11, 0x80000000, v11
	v_xor_b32_e32 v13, 0x80000000, v13
.LBB81_60:
	s_or_b64 exec, exec, s[14:15]
	v_mov_b32_e32 v19, 0x4000
	v_cmp_eq_u32_e64 s[12:13], 0, v20
	s_xor_b64 s[14:15], s[8:9], -1
	v_lshl_add_u32 v19, v21, 4, v19
	s_and_b64 s[48:49], s[12:13], s[14:15]
	s_and_saveexec_b64 s[8:9], s[48:49]
; %bb.61:
	ds_write_b128 v19, v[10:13]
; %bb.62:
	s_or_b64 exec, exec, s[8:9]
	v_cmp_ne_u32_e64 s[8:9], 0, v20
	s_and_b64 s[50:51], s[8:9], s[14:15]
	s_waitcnt lgkmcnt(0)
	s_barrier
	s_and_saveexec_b64 s[8:9], s[50:51]
	s_cbranch_execz .LBB81_64
; %bb.63:
	ds_read_b128 v[23:26], v19
	ds_read_b128 v[27:30], v18 offset:2112
	s_waitcnt lgkmcnt(0)
	v_mul_f64 v[31:32], v[25:26], v[29:30]
	v_mul_f64 v[29:30], v[23:24], v[29:30]
	v_fma_f64 v[23:24], v[23:24], v[27:28], -v[31:32]
	v_fma_f64 v[25:26], v[25:26], v[27:28], v[29:30]
	v_add_f64 v[10:11], v[10:11], v[23:24]
	v_add_f64 v[12:13], v[12:13], v[25:26]
.LBB81_64:
	s_or_b64 exec, exec, s[8:9]
	v_cmp_eq_u32_e64 s[8:9], 1, v20
	s_and_b64 s[52:53], s[8:9], s[14:15]
	s_barrier
	s_and_saveexec_b64 s[8:9], s[52:53]
; %bb.65:
	ds_write_b128 v19, v[10:13]
; %bb.66:
	s_or_b64 exec, exec, s[8:9]
	v_cmp_lt_u32_e64 s[8:9], 1, v20
	s_and_b64 s[54:55], s[8:9], s[14:15]
	s_waitcnt lgkmcnt(0)
	s_barrier
	s_and_saveexec_b64 s[8:9], s[54:55]
	s_cbranch_execz .LBB81_68
; %bb.67:
	ds_read_b128 v[23:26], v19
	ds_read_b128 v[27:30], v18 offset:2624
	s_waitcnt lgkmcnt(0)
	v_mul_f64 v[31:32], v[25:26], v[29:30]
	v_mul_f64 v[29:30], v[23:24], v[29:30]
	v_fma_f64 v[23:24], v[23:24], v[27:28], -v[31:32]
	v_fma_f64 v[25:26], v[25:26], v[27:28], v[29:30]
	v_add_f64 v[10:11], v[10:11], v[23:24]
	v_add_f64 v[12:13], v[12:13], v[25:26]
.LBB81_68:
	s_or_b64 exec, exec, s[8:9]
	v_cmp_eq_u32_e64 s[8:9], 2, v20
	s_and_b64 s[56:57], s[8:9], s[14:15]
	s_barrier
	s_and_saveexec_b64 s[8:9], s[56:57]
; %bb.69:
	ds_write_b128 v19, v[10:13]
; %bb.70:
	s_or_b64 exec, exec, s[8:9]
	v_cmp_eq_u32_e64 s[8:9], 3, v20
	s_and_b64 s[46:47], s[8:9], s[14:15]
	s_waitcnt lgkmcnt(0)
	s_barrier
	s_and_saveexec_b64 s[8:9], s[46:47]
	s_cbranch_execz .LBB81_72
; %bb.71:
	v_mov_b32_e32 v27, 0
	ds_read_b128 v[23:26], v19
	ds_read_b128 v[27:30], v27 offset:3184
	s_waitcnt lgkmcnt(0)
	v_mul_f64 v[31:32], v[25:26], v[29:30]
	v_mul_f64 v[29:30], v[23:24], v[29:30]
	v_fma_f64 v[23:24], v[23:24], v[27:28], -v[31:32]
	v_fma_f64 v[25:26], v[25:26], v[27:28], v[29:30]
	v_add_f64 v[10:11], v[10:11], v[23:24]
	v_add_f64 v[12:13], v[12:13], v[25:26]
.LBB81_72:
	s_or_b64 exec, exec, s[8:9]
	s_barrier
	s_and_saveexec_b64 s[8:9], s[46:47]
; %bb.73:
	ds_write_b128 v19, v[10:13]
; %bb.74:
	s_or_b64 exec, exec, s[8:9]
	s_waitcnt lgkmcnt(0)
	s_barrier
	s_barrier
	s_and_saveexec_b64 s[8:9], s[16:17]
; %bb.75:
	v_xor_b32_e32 v13, 0x80000000, v13
	v_xor_b32_e32 v11, 0x80000000, v11
	ds_write_b128 v17, v[10:13] offset:64
; %bb.76:
	s_or_b64 exec, exec, s[8:9]
	v_cmp_gt_u32_e64 s[8:9], 4, v0
	s_and_b64 s[58:59], s[10:11], s[8:9]
	s_waitcnt lgkmcnt(0)
	s_barrier
	s_barrier
	s_and_saveexec_b64 s[8:9], s[58:59]
	s_cbranch_execz .LBB81_78
; %bb.77:
	v_lshlrev_b32_e32 v23, 4, v0
	s_movk_i32 s0, 0x1f0
	v_mad_u32_u24 v24, v0, s0, v23
	ds_read_b128 v[10:13], v24 offset:64
	s_waitcnt lgkmcnt(0)
	ds_write_b128 v23, v[10:13] offset:2048
	ds_read_b128 v[10:13], v24 offset:80
	s_waitcnt lgkmcnt(0)
	ds_write_b128 v23, v[10:13] offset:2560
	ds_read_b128 v[10:13], v24 offset:96
	s_waitcnt lgkmcnt(0)
	ds_write_b128 v23, v[10:13] offset:3072
	ds_read_b128 v[10:13], v24 offset:112
	s_waitcnt lgkmcnt(0)
	ds_write_b128 v23, v[10:13] offset:3584
.LBB81_78:
	s_or_b64 exec, exec, s[8:9]
	s_waitcnt lgkmcnt(0)
	s_barrier
	s_and_saveexec_b64 s[8:9], vcc
	s_cbranch_execz .LBB81_80
; %bb.79:
	s_mov_b32 s12, 0
	v_mov_b32_e32 v27, 0
	ds_read_b128 v[10:13], v27 offset:2128
	s_mov_b32 s15, s12
	s_mov_b32 s13, 0x3ff00000
	;; [unrolled: 1-line block ×3, first 2 shown]
	v_mov_b32_e32 v26, s15
	v_mov_b32_e32 v25, s14
	v_mov_b32_e32 v24, s13
	v_mov_b32_e32 v23, s12
	ds_write_b128 v27, v[23:26] offset:2112
	ds_write_b128 v27, v[23:26] offset:2640
	s_waitcnt lgkmcnt(2)
	ds_write_b128 v27, v[10:13] offset:2624
.LBB81_80:
	s_or_b64 exec, exec, s[8:9]
	v_mov_b32_e32 v12, 0
	v_mov_b32_e32 v10, 0
	;; [unrolled: 1-line block ×4, first 2 shown]
	s_waitcnt lgkmcnt(0)
	s_barrier
	s_and_saveexec_b64 s[12:13], s[2:3]
	s_cbranch_execz .LBB81_84
; %bb.81:
	v_mul_u32_u24_e32 v10, 0x210, v16
	ds_read_b128 v[10:13], v10 offset:2112
	ds_read_b128 v[23:26], v14 offset:2144
	v_cmp_gt_u32_e64 s[8:9], 2, v22
	s_waitcnt lgkmcnt(0)
	v_mul_f64 v[27:28], v[12:13], v[25:26]
	v_mul_f64 v[25:26], v[10:11], v[25:26]
	v_fma_f64 v[10:11], v[10:11], v[23:24], -v[27:28]
	v_fma_f64 v[12:13], v[12:13], v[23:24], v[25:26]
	v_add_f64 v[10:11], v[10:11], 0
	v_add_f64 v[12:13], v[12:13], 0
	s_and_saveexec_b64 s[14:15], s[8:9]
	s_cbranch_execz .LBB81_83
; %bb.82:
	v_lshlrev_b32_e32 v27, 4, v0
	v_mov_b32_e32 v23, 0
	ds_read_b128 v[23:26], v23 offset:2128
	ds_read_b128 v[27:30], v27 offset:2656
	s_waitcnt lgkmcnt(0)
	v_mul_f64 v[31:32], v[25:26], v[29:30]
	v_mul_f64 v[29:30], v[23:24], v[29:30]
	v_fma_f64 v[23:24], v[23:24], v[27:28], -v[31:32]
	v_fma_f64 v[25:26], v[25:26], v[27:28], v[29:30]
	v_add_f64 v[10:11], v[10:11], v[23:24]
	v_add_f64 v[12:13], v[12:13], v[25:26]
.LBB81_83:
	s_or_b64 exec, exec, s[14:15]
	v_xor_b32_e32 v11, 0x80000000, v11
	v_xor_b32_e32 v13, 0x80000000, v13
.LBB81_84:
	s_or_b64 exec, exec, s[12:13]
	s_and_saveexec_b64 s[8:9], s[42:43]
; %bb.85:
	ds_write_b128 v15, v[10:13]
; %bb.86:
	s_or_b64 exec, exec, s[8:9]
	s_waitcnt lgkmcnt(0)
	s_barrier
	s_and_saveexec_b64 s[8:9], s[24:25]
	s_cbranch_execz .LBB81_88
; %bb.87:
	v_mov_b32_e32 v27, 0
	ds_read_b128 v[23:26], v15
	ds_read_b128 v[27:30], v27 offset:3184
	s_waitcnt lgkmcnt(0)
	v_mul_f64 v[31:32], v[25:26], v[29:30]
	v_mul_f64 v[29:30], v[23:24], v[29:30]
	v_fma_f64 v[23:24], v[23:24], v[27:28], -v[31:32]
	v_fma_f64 v[25:26], v[25:26], v[27:28], v[29:30]
	v_add_f64 v[10:11], v[10:11], v[23:24]
	v_add_f64 v[12:13], v[12:13], v[25:26]
.LBB81_88:
	s_or_b64 exec, exec, s[8:9]
	s_barrier
	s_and_saveexec_b64 s[8:9], s[24:25]
; %bb.89:
	ds_write_b128 v15, v[10:13]
; %bb.90:
	s_or_b64 exec, exec, s[8:9]
	s_waitcnt lgkmcnt(0)
	s_barrier
	s_barrier
	s_and_saveexec_b64 s[8:9], s[2:3]
; %bb.91:
	v_xor_b32_e32 v11, 0x80000000, v11
	v_xor_b32_e32 v13, 0x80000000, v13
	ds_write_b128 v14, v[10:13] offset:2144
; %bb.92:
	s_or_b64 exec, exec, s[8:9]
	s_waitcnt lgkmcnt(0)
	s_barrier
	s_barrier
	s_and_saveexec_b64 s[8:9], s[44:45]
	s_cbranch_execz .LBB81_94
; %bb.93:
	v_lshlrev_b32_e32 v23, 9, v0
	ds_read_b128 v[10:13], v23 offset:2144
	s_movk_i32 s0, 0xfe10
	v_mad_i32_i24 v24, v0, s0, v23
	s_waitcnt lgkmcnt(0)
	ds_write_b128 v24, v[10:13] offset:3136
	ds_read_b128 v[10:13], v23 offset:2160
	s_waitcnt lgkmcnt(0)
	ds_write_b128 v24, v[10:13] offset:3648
.LBB81_94:
	s_or_b64 exec, exec, s[8:9]
	s_waitcnt lgkmcnt(0)
	s_barrier
	s_and_saveexec_b64 s[8:9], vcc
	s_cbranch_execz .LBB81_96
; %bb.95:
	s_mov_b32 s12, 0
	v_mov_b32_e32 v27, 0
	ds_read_b128 v[10:13], v27 offset:3184
	s_mov_b32 s15, s12
	s_mov_b32 s13, 0x3ff00000
	;; [unrolled: 1-line block ×3, first 2 shown]
	v_mov_b32_e32 v26, s15
	v_mov_b32_e32 v25, s14
	v_mov_b32_e32 v24, s13
	v_mov_b32_e32 v23, s12
	ds_write_b128 v27, v[23:26] offset:3168
	ds_write_b128 v27, v[23:26] offset:3696
	s_waitcnt lgkmcnt(2)
	ds_write_b128 v27, v[10:13] offset:3680
.LBB81_96:
	s_or_b64 exec, exec, s[8:9]
	v_and_b32_e32 v26, 7, v0
	v_lshrrev_b32_e32 v27, 3, v22
	v_lshlrev_b32_e32 v24, 4, v26
	v_mov_b32_e32 v12, 0
	v_mov_b32_e32 v10, 0
	v_cmp_lt_u32_e64 s[12:13], 63, v22
	v_cmp_gt_u32_e64 s[8:9], 64, v22
	v_mov_b32_e32 v13, 0
	v_mov_b32_e32 v11, 0
	v_lshl_or_b32 v23, v27, 9, v24
	s_waitcnt lgkmcnt(0)
	s_barrier
	s_and_saveexec_b64 s[18:19], s[8:9]
	s_cbranch_execz .LBB81_106
; %bb.97:
	v_mul_u32_u24_e32 v25, 0x210, v27
	ds_read_b128 v[10:13], v25
	ds_read_b128 v[28:31], v23 offset:128
	v_cmp_gt_u32_e64 s[14:15], 56, v22
	s_waitcnt lgkmcnt(0)
	v_mul_f64 v[32:33], v[12:13], v[30:31]
	v_mul_f64 v[30:31], v[10:11], v[30:31]
	v_fma_f64 v[10:11], v[10:11], v[28:29], -v[32:33]
	v_fma_f64 v[12:13], v[12:13], v[28:29], v[30:31]
	v_add_f64 v[10:11], v[10:11], 0
	v_add_f64 v[12:13], v[12:13], 0
	s_and_saveexec_b64 s[60:61], s[14:15]
	s_cbranch_execnz .LBB81_519
; %bb.98:
	s_or_b64 exec, exec, s[60:61]
	v_cmp_gt_u32_e64 s[14:15], 48, v22
	s_and_saveexec_b64 s[60:61], s[14:15]
	s_cbranch_execnz .LBB81_520
.LBB81_99:
	s_or_b64 exec, exec, s[60:61]
	v_cmp_gt_u32_e64 s[14:15], 40, v22
	s_and_saveexec_b64 s[60:61], s[14:15]
	s_cbranch_execnz .LBB81_521
.LBB81_100:
	s_or_b64 exec, exec, s[60:61]
	v_cmp_gt_u32_e64 s[14:15], 32, v22
	s_and_saveexec_b64 s[60:61], s[14:15]
	s_cbranch_execnz .LBB81_522
.LBB81_101:
	s_or_b64 exec, exec, s[60:61]
	v_cmp_gt_u32_e64 s[14:15], 24, v22
	s_and_saveexec_b64 s[60:61], s[14:15]
	s_cbranch_execnz .LBB81_523
.LBB81_102:
	s_or_b64 exec, exec, s[60:61]
	v_cmp_gt_u32_e64 s[14:15], 16, v22
	s_and_saveexec_b64 s[60:61], s[14:15]
	s_cbranch_execnz .LBB81_524
.LBB81_103:
	s_or_b64 exec, exec, s[60:61]
	v_cmp_gt_u32_e64 s[14:15], 8, v22
	s_and_saveexec_b64 s[60:61], s[14:15]
	s_cbranch_execz .LBB81_105
.LBB81_104:
	v_mov_b32_e32 v28, 0
	v_lshlrev_b32_e32 v25, 4, v0
	ds_read_b128 v[28:31], v28 offset:112
	ds_read_b128 v[32:35], v25 offset:3712
	s_waitcnt lgkmcnt(0)
	v_mul_f64 v[36:37], v[30:31], v[34:35]
	v_mul_f64 v[34:35], v[28:29], v[34:35]
	v_fma_f64 v[28:29], v[28:29], v[32:33], -v[36:37]
	v_fma_f64 v[30:31], v[30:31], v[32:33], v[34:35]
	v_add_f64 v[10:11], v[10:11], v[28:29]
	v_add_f64 v[12:13], v[12:13], v[30:31]
.LBB81_105:
	s_or_b64 exec, exec, s[60:61]
	v_xor_b32_e32 v11, 0x80000000, v11
	v_xor_b32_e32 v13, 0x80000000, v13
.LBB81_106:
	s_or_b64 exec, exec, s[18:19]
	v_mov_b32_e32 v25, 0x4000
	v_lshl_add_u32 v25, v27, 4, v25
	v_cmp_eq_u32_e64 s[14:15], 0, v26
	s_xor_b64 s[18:19], s[12:13], -1
	s_and_b64 s[0:1], s[14:15], s[18:19]
	s_mov_b64 s[12:13], exec
	v_writelane_b32 v43, s0, 2
	v_writelane_b32 v43, s1, 3
	s_and_b64 s[0:1], s[12:13], s[0:1]
	s_mov_b64 exec, s[0:1]
; %bb.107:
	ds_write_b128 v25, v[10:13]
; %bb.108:
	s_or_b64 exec, exec, s[12:13]
	v_cmp_ne_u32_e64 s[12:13], 0, v26
	s_waitcnt lgkmcnt(0)
	s_barrier
	s_and_b64 s[0:1], s[12:13], s[18:19]
	s_mov_b64 s[12:13], exec
	v_writelane_b32 v43, s0, 4
	v_writelane_b32 v43, s1, 5
	s_and_b64 s[0:1], s[12:13], s[0:1]
	s_mov_b64 exec, s[0:1]
	s_cbranch_execz .LBB81_110
; %bb.109:
	ds_read_b128 v[28:31], v25
	ds_read_b128 v[32:35], v24 offset:4224
	s_waitcnt lgkmcnt(0)
	v_mul_f64 v[36:37], v[30:31], v[34:35]
	v_mul_f64 v[34:35], v[28:29], v[34:35]
	v_fma_f64 v[28:29], v[28:29], v[32:33], -v[36:37]
	v_fma_f64 v[30:31], v[30:31], v[32:33], v[34:35]
	v_add_f64 v[10:11], v[10:11], v[28:29]
	v_add_f64 v[12:13], v[12:13], v[30:31]
.LBB81_110:
	s_or_b64 exec, exec, s[12:13]
	v_cmp_eq_u32_e64 s[12:13], 1, v26
	s_and_b64 s[0:1], s[12:13], s[18:19]
	s_barrier
	s_and_saveexec_b64 s[12:13], s[0:1]
; %bb.111:
	ds_write_b128 v25, v[10:13]
; %bb.112:
	s_or_b64 exec, exec, s[12:13]
	v_cmp_lt_u32_e64 s[12:13], 1, v26
	s_and_b64 s[68:69], s[12:13], s[18:19]
	s_waitcnt lgkmcnt(0)
	s_barrier
	s_and_saveexec_b64 s[12:13], s[68:69]
	s_cbranch_execz .LBB81_114
; %bb.113:
	ds_read_b128 v[28:31], v25
	ds_read_b128 v[32:35], v24 offset:4736
	s_waitcnt lgkmcnt(0)
	v_mul_f64 v[36:37], v[30:31], v[34:35]
	v_mul_f64 v[34:35], v[28:29], v[34:35]
	v_fma_f64 v[28:29], v[28:29], v[32:33], -v[36:37]
	v_fma_f64 v[30:31], v[30:31], v[32:33], v[34:35]
	v_add_f64 v[10:11], v[10:11], v[28:29]
	v_add_f64 v[12:13], v[12:13], v[30:31]
.LBB81_114:
	s_or_b64 exec, exec, s[12:13]
	v_cmp_eq_u32_e64 s[12:13], 2, v26
	s_and_b64 s[70:71], s[12:13], s[18:19]
	s_barrier
	s_and_saveexec_b64 s[12:13], s[70:71]
; %bb.115:
	ds_write_b128 v25, v[10:13]
; %bb.116:
	s_or_b64 exec, exec, s[12:13]
	v_cmp_lt_u32_e64 s[12:13], 2, v26
	s_and_b64 s[72:73], s[12:13], s[18:19]
	s_waitcnt lgkmcnt(0)
	s_barrier
	s_and_saveexec_b64 s[12:13], s[72:73]
	s_cbranch_execz .LBB81_118
; %bb.117:
	ds_read_b128 v[28:31], v25
	ds_read_b128 v[32:35], v24 offset:5248
	s_waitcnt lgkmcnt(0)
	v_mul_f64 v[36:37], v[30:31], v[34:35]
	v_mul_f64 v[34:35], v[28:29], v[34:35]
	v_fma_f64 v[28:29], v[28:29], v[32:33], -v[36:37]
	v_fma_f64 v[30:31], v[30:31], v[32:33], v[34:35]
	v_add_f64 v[10:11], v[10:11], v[28:29]
	v_add_f64 v[12:13], v[12:13], v[30:31]
.LBB81_118:
	s_or_b64 exec, exec, s[12:13]
	v_cmp_eq_u32_e64 s[12:13], 3, v26
	s_and_b64 s[74:75], s[12:13], s[18:19]
	s_barrier
	s_and_saveexec_b64 s[12:13], s[74:75]
; %bb.119:
	ds_write_b128 v25, v[10:13]
; %bb.120:
	s_or_b64 exec, exec, s[12:13]
	v_cmp_lt_u32_e64 s[12:13], 3, v26
	s_and_b64 s[76:77], s[12:13], s[18:19]
	s_waitcnt lgkmcnt(0)
	s_barrier
	s_and_saveexec_b64 s[12:13], s[76:77]
	s_cbranch_execz .LBB81_122
; %bb.121:
	ds_read_b128 v[28:31], v25
	ds_read_b128 v[32:35], v24 offset:5760
	s_waitcnt lgkmcnt(0)
	v_mul_f64 v[36:37], v[30:31], v[34:35]
	v_mul_f64 v[34:35], v[28:29], v[34:35]
	v_fma_f64 v[28:29], v[28:29], v[32:33], -v[36:37]
	v_fma_f64 v[30:31], v[30:31], v[32:33], v[34:35]
	v_add_f64 v[10:11], v[10:11], v[28:29]
	v_add_f64 v[12:13], v[12:13], v[30:31]
.LBB81_122:
	s_or_b64 exec, exec, s[12:13]
	v_cmp_eq_u32_e64 s[12:13], 4, v26
	s_and_b64 s[78:79], s[12:13], s[18:19]
	s_barrier
	s_and_saveexec_b64 s[12:13], s[78:79]
; %bb.123:
	ds_write_b128 v25, v[10:13]
; %bb.124:
	s_or_b64 exec, exec, s[12:13]
	v_cmp_lt_u32_e64 s[12:13], 4, v26
	s_and_b64 s[80:81], s[12:13], s[18:19]
	s_waitcnt lgkmcnt(0)
	s_barrier
	s_and_saveexec_b64 s[12:13], s[80:81]
	s_cbranch_execz .LBB81_126
; %bb.125:
	ds_read_b128 v[28:31], v25
	ds_read_b128 v[32:35], v24 offset:6272
	s_waitcnt lgkmcnt(0)
	v_mul_f64 v[36:37], v[30:31], v[34:35]
	v_mul_f64 v[34:35], v[28:29], v[34:35]
	v_fma_f64 v[28:29], v[28:29], v[32:33], -v[36:37]
	v_fma_f64 v[30:31], v[30:31], v[32:33], v[34:35]
	v_add_f64 v[10:11], v[10:11], v[28:29]
	v_add_f64 v[12:13], v[12:13], v[30:31]
.LBB81_126:
	s_or_b64 exec, exec, s[12:13]
	v_cmp_eq_u32_e64 s[12:13], 5, v26
	s_and_b64 s[82:83], s[12:13], s[18:19]
	s_barrier
	s_and_saveexec_b64 s[12:13], s[82:83]
; %bb.127:
	ds_write_b128 v25, v[10:13]
; %bb.128:
	s_or_b64 exec, exec, s[12:13]
	v_cmp_lt_u32_e64 s[12:13], 5, v26
	s_and_b64 s[84:85], s[12:13], s[18:19]
	s_waitcnt lgkmcnt(0)
	s_barrier
	s_and_saveexec_b64 s[12:13], s[84:85]
	s_cbranch_execz .LBB81_130
; %bb.129:
	ds_read_b128 v[28:31], v25
	ds_read_b128 v[32:35], v24 offset:6784
	s_waitcnt lgkmcnt(0)
	v_mul_f64 v[36:37], v[30:31], v[34:35]
	v_mul_f64 v[34:35], v[28:29], v[34:35]
	v_fma_f64 v[28:29], v[28:29], v[32:33], -v[36:37]
	v_fma_f64 v[30:31], v[30:31], v[32:33], v[34:35]
	v_add_f64 v[10:11], v[10:11], v[28:29]
	v_add_f64 v[12:13], v[12:13], v[30:31]
.LBB81_130:
	s_or_b64 exec, exec, s[12:13]
	v_cmp_eq_u32_e64 s[12:13], 6, v26
	s_and_b64 s[86:87], s[12:13], s[18:19]
	s_barrier
	s_and_saveexec_b64 s[12:13], s[86:87]
; %bb.131:
	ds_write_b128 v25, v[10:13]
; %bb.132:
	s_or_b64 exec, exec, s[12:13]
	v_cmp_eq_u32_e64 s[12:13], 7, v26
	s_and_b64 s[60:61], s[12:13], s[18:19]
	s_waitcnt lgkmcnt(0)
	s_barrier
	s_and_saveexec_b64 s[12:13], s[60:61]
	s_cbranch_execz .LBB81_134
; %bb.133:
	v_mov_b32_e32 v32, 0
	ds_read_b128 v[28:31], v25
	ds_read_b128 v[32:35], v32 offset:7408
	s_waitcnt lgkmcnt(0)
	v_mul_f64 v[36:37], v[30:31], v[34:35]
	v_mul_f64 v[34:35], v[28:29], v[34:35]
	v_fma_f64 v[28:29], v[28:29], v[32:33], -v[36:37]
	v_fma_f64 v[30:31], v[30:31], v[32:33], v[34:35]
	v_add_f64 v[10:11], v[10:11], v[28:29]
	v_add_f64 v[12:13], v[12:13], v[30:31]
.LBB81_134:
	s_or_b64 exec, exec, s[12:13]
	s_barrier
	s_and_saveexec_b64 s[12:13], s[60:61]
; %bb.135:
	ds_write_b128 v25, v[10:13]
; %bb.136:
	s_or_b64 exec, exec, s[12:13]
	s_waitcnt lgkmcnt(0)
	s_barrier
	s_barrier
	s_and_saveexec_b64 s[12:13], s[8:9]
; %bb.137:
	v_xor_b32_e32 v11, 0x80000000, v11
	v_xor_b32_e32 v13, 0x80000000, v13
	ds_write_b128 v23, v[10:13] offset:128
; %bb.138:
	s_or_b64 exec, exec, s[12:13]
	v_cmp_gt_u32_e64 s[12:13], 8, v0
	s_and_b64 s[88:89], s[10:11], s[12:13]
	s_waitcnt lgkmcnt(0)
	s_barrier
	s_barrier
	s_and_saveexec_b64 s[12:13], s[88:89]
	s_cbranch_execz .LBB81_140
; %bb.139:
	v_lshlrev_b32_e32 v28, 9, v0
	ds_read_b128 v[10:13], v28 offset:128
	s_movk_i32 s14, 0xfe10
	v_mad_i32_i24 v29, v0, s14, v28
	s_waitcnt lgkmcnt(0)
	ds_write_b128 v29, v[10:13] offset:4096
	ds_read_b128 v[10:13], v28 offset:144
	s_waitcnt lgkmcnt(0)
	ds_write_b128 v29, v[10:13] offset:4608
	ds_read_b128 v[10:13], v28 offset:160
	;; [unrolled: 3-line block ×7, first 2 shown]
	s_waitcnt lgkmcnt(0)
	ds_write_b128 v29, v[10:13] offset:7680
.LBB81_140:
	s_or_b64 exec, exec, s[12:13]
	s_waitcnt lgkmcnt(0)
	s_barrier
	s_and_saveexec_b64 s[12:13], vcc
	s_cbranch_execz .LBB81_142
; %bb.141:
	v_mov_b32_e32 v32, 0
	s_mov_b32 s64, 0
	ds_read_b128 v[10:13], v32 offset:4240
	s_mov_b32 s65, 0x3ff00000
	s_mov_b32 s66, s64
	;; [unrolled: 1-line block ×3, first 2 shown]
	v_mov_b32_e32 v28, s64
	v_mov_b32_e32 v29, s65
	;; [unrolled: 1-line block ×4, first 2 shown]
	ds_write_b128 v32, v[28:31] offset:4224
	ds_write_b128 v32, v[28:31] offset:4752
	s_waitcnt lgkmcnt(2)
	ds_write_b128 v32, v[10:13] offset:4736
.LBB81_142:
	s_or_b64 exec, exec, s[12:13]
	v_mov_b32_e32 v12, 0
	v_mov_b32_e32 v10, 0
	;; [unrolled: 1-line block ×4, first 2 shown]
	s_waitcnt lgkmcnt(0)
	s_barrier
	s_and_saveexec_b64 s[14:15], s[2:3]
	s_cbranch_execz .LBB81_146
; %bb.143:
	v_mul_u32_u24_e32 v10, 0x210, v16
	ds_read_b128 v[10:13], v10 offset:4224
	ds_read_b128 v[28:31], v14 offset:4256
	v_cmp_gt_u32_e64 s[12:13], 2, v22
	s_waitcnt lgkmcnt(0)
	v_mul_f64 v[32:33], v[12:13], v[30:31]
	v_mul_f64 v[30:31], v[10:11], v[30:31]
	v_fma_f64 v[10:11], v[10:11], v[28:29], -v[32:33]
	v_fma_f64 v[12:13], v[12:13], v[28:29], v[30:31]
	v_add_f64 v[10:11], v[10:11], 0
	v_add_f64 v[12:13], v[12:13], 0
	s_and_saveexec_b64 s[18:19], s[12:13]
	s_cbranch_execz .LBB81_145
; %bb.144:
	v_lshlrev_b32_e32 v32, 4, v0
	v_mov_b32_e32 v28, 0
	ds_read_b128 v[28:31], v28 offset:4240
	ds_read_b128 v[32:35], v32 offset:4768
	s_waitcnt lgkmcnt(0)
	v_mul_f64 v[36:37], v[30:31], v[34:35]
	v_mul_f64 v[34:35], v[28:29], v[34:35]
	v_fma_f64 v[28:29], v[28:29], v[32:33], -v[36:37]
	v_fma_f64 v[30:31], v[30:31], v[32:33], v[34:35]
	v_add_f64 v[10:11], v[10:11], v[28:29]
	v_add_f64 v[12:13], v[12:13], v[30:31]
.LBB81_145:
	s_or_b64 exec, exec, s[18:19]
	v_xor_b32_e32 v11, 0x80000000, v11
	v_xor_b32_e32 v13, 0x80000000, v13
.LBB81_146:
	s_or_b64 exec, exec, s[14:15]
	s_and_saveexec_b64 s[12:13], s[42:43]
; %bb.147:
	ds_write_b128 v15, v[10:13]
; %bb.148:
	s_or_b64 exec, exec, s[12:13]
	s_waitcnt lgkmcnt(0)
	s_barrier
	s_and_saveexec_b64 s[12:13], s[24:25]
	s_cbranch_execz .LBB81_150
; %bb.149:
	v_mov_b32_e32 v32, 0
	ds_read_b128 v[28:31], v15
	ds_read_b128 v[32:35], v32 offset:5296
	s_waitcnt lgkmcnt(0)
	v_mul_f64 v[36:37], v[30:31], v[34:35]
	v_mul_f64 v[34:35], v[28:29], v[34:35]
	v_fma_f64 v[28:29], v[28:29], v[32:33], -v[36:37]
	v_fma_f64 v[30:31], v[30:31], v[32:33], v[34:35]
	v_add_f64 v[10:11], v[10:11], v[28:29]
	v_add_f64 v[12:13], v[12:13], v[30:31]
.LBB81_150:
	s_or_b64 exec, exec, s[12:13]
	s_barrier
	s_and_saveexec_b64 s[12:13], s[24:25]
; %bb.151:
	ds_write_b128 v15, v[10:13]
; %bb.152:
	s_or_b64 exec, exec, s[12:13]
	s_waitcnt lgkmcnt(0)
	s_barrier
	s_barrier
	s_and_saveexec_b64 s[12:13], s[2:3]
; %bb.153:
	v_xor_b32_e32 v11, 0x80000000, v11
	v_xor_b32_e32 v13, 0x80000000, v13
	ds_write_b128 v14, v[10:13] offset:4256
; %bb.154:
	s_or_b64 exec, exec, s[12:13]
	s_waitcnt lgkmcnt(0)
	s_barrier
	s_barrier
	s_and_saveexec_b64 s[12:13], s[44:45]
	s_cbranch_execz .LBB81_156
; %bb.155:
	v_lshlrev_b32_e32 v28, 9, v0
	ds_read_b128 v[10:13], v28 offset:4256
	s_movk_i32 s14, 0xfe10
	v_mad_i32_i24 v29, v0, s14, v28
	s_waitcnt lgkmcnt(0)
	ds_write_b128 v29, v[10:13] offset:5248
	ds_read_b128 v[10:13], v28 offset:4272
	s_waitcnt lgkmcnt(0)
	ds_write_b128 v29, v[10:13] offset:5760
.LBB81_156:
	s_or_b64 exec, exec, s[12:13]
	s_waitcnt lgkmcnt(0)
	s_barrier
	s_and_saveexec_b64 s[12:13], vcc
	s_cbranch_execz .LBB81_158
; %bb.157:
	v_mov_b32_e32 v32, 0
	s_mov_b32 s64, 0
	ds_read_b128 v[10:13], v32 offset:5296
	s_mov_b32 s65, 0x3ff00000
	s_mov_b32 s66, s64
	;; [unrolled: 1-line block ×3, first 2 shown]
	v_mov_b32_e32 v28, s64
	v_mov_b32_e32 v29, s65
	;; [unrolled: 1-line block ×4, first 2 shown]
	ds_write_b128 v32, v[28:31] offset:5280
	ds_write_b128 v32, v[28:31] offset:5808
	s_waitcnt lgkmcnt(2)
	ds_write_b128 v32, v[10:13] offset:5792
.LBB81_158:
	s_or_b64 exec, exec, s[12:13]
	v_mov_b32_e32 v12, 0
	v_mov_b32_e32 v10, 0
	;; [unrolled: 1-line block ×4, first 2 shown]
	s_waitcnt lgkmcnt(0)
	s_barrier
	s_and_saveexec_b64 s[14:15], s[16:17]
	s_cbranch_execz .LBB81_164
; %bb.159:
	v_mul_u32_u24_e32 v28, 0x210, v21
	ds_read_b128 v[10:13], v28 offset:4224
	ds_read_b128 v[29:32], v17 offset:4288
	v_cmp_gt_u32_e64 s[12:13], 12, v22
	s_waitcnt lgkmcnt(0)
	v_mul_f64 v[33:34], v[12:13], v[31:32]
	v_mul_f64 v[31:32], v[10:11], v[31:32]
	v_fma_f64 v[10:11], v[10:11], v[29:30], -v[33:34]
	v_fma_f64 v[12:13], v[12:13], v[29:30], v[31:32]
	v_add_f64 v[10:11], v[10:11], 0
	v_add_f64 v[12:13], v[12:13], 0
	s_and_saveexec_b64 s[18:19], s[12:13]
	s_cbranch_execnz .LBB81_525
; %bb.160:
	s_or_b64 exec, exec, s[18:19]
	v_cmp_gt_u32_e64 s[12:13], 8, v22
	s_and_saveexec_b64 s[18:19], s[12:13]
	s_cbranch_execnz .LBB81_526
.LBB81_161:
	s_or_b64 exec, exec, s[18:19]
	v_cmp_gt_u32_e64 s[12:13], 4, v22
	s_and_saveexec_b64 s[18:19], s[12:13]
	s_cbranch_execz .LBB81_163
.LBB81_162:
	v_lshlrev_b32_e32 v32, 4, v0
	v_mov_b32_e32 v28, 0
	ds_read_b128 v[28:31], v28 offset:4272
	ds_read_b128 v[32:35], v32 offset:5824
	s_waitcnt lgkmcnt(0)
	v_mul_f64 v[36:37], v[30:31], v[34:35]
	v_mul_f64 v[34:35], v[28:29], v[34:35]
	v_fma_f64 v[28:29], v[28:29], v[32:33], -v[36:37]
	v_fma_f64 v[30:31], v[30:31], v[32:33], v[34:35]
	v_add_f64 v[10:11], v[10:11], v[28:29]
	v_add_f64 v[12:13], v[12:13], v[30:31]
.LBB81_163:
	s_or_b64 exec, exec, s[18:19]
	v_xor_b32_e32 v11, 0x80000000, v11
	v_xor_b32_e32 v13, 0x80000000, v13
.LBB81_164:
	s_or_b64 exec, exec, s[14:15]
	s_and_saveexec_b64 s[12:13], s[48:49]
; %bb.165:
	ds_write_b128 v19, v[10:13]
; %bb.166:
	s_or_b64 exec, exec, s[12:13]
	s_waitcnt lgkmcnt(0)
	s_barrier
	s_and_saveexec_b64 s[12:13], s[50:51]
	s_cbranch_execz .LBB81_168
; %bb.167:
	ds_read_b128 v[28:31], v19
	ds_read_b128 v[32:35], v18 offset:6336
	s_waitcnt lgkmcnt(0)
	v_mul_f64 v[36:37], v[30:31], v[34:35]
	v_mul_f64 v[34:35], v[28:29], v[34:35]
	v_fma_f64 v[28:29], v[28:29], v[32:33], -v[36:37]
	v_fma_f64 v[30:31], v[30:31], v[32:33], v[34:35]
	v_add_f64 v[10:11], v[10:11], v[28:29]
	v_add_f64 v[12:13], v[12:13], v[30:31]
.LBB81_168:
	s_or_b64 exec, exec, s[12:13]
	s_barrier
	s_and_saveexec_b64 s[12:13], s[52:53]
; %bb.169:
	ds_write_b128 v19, v[10:13]
; %bb.170:
	s_or_b64 exec, exec, s[12:13]
	s_waitcnt lgkmcnt(0)
	s_barrier
	s_and_saveexec_b64 s[12:13], s[54:55]
	s_cbranch_execz .LBB81_172
; %bb.171:
	ds_read_b128 v[28:31], v19
	ds_read_b128 v[32:35], v18 offset:6848
	s_waitcnt lgkmcnt(0)
	v_mul_f64 v[36:37], v[30:31], v[34:35]
	v_mul_f64 v[34:35], v[28:29], v[34:35]
	v_fma_f64 v[28:29], v[28:29], v[32:33], -v[36:37]
	v_fma_f64 v[30:31], v[30:31], v[32:33], v[34:35]
	v_add_f64 v[10:11], v[10:11], v[28:29]
	v_add_f64 v[12:13], v[12:13], v[30:31]
.LBB81_172:
	s_or_b64 exec, exec, s[12:13]
	s_barrier
	s_and_saveexec_b64 s[12:13], s[56:57]
; %bb.173:
	ds_write_b128 v19, v[10:13]
; %bb.174:
	s_or_b64 exec, exec, s[12:13]
	s_waitcnt lgkmcnt(0)
	s_barrier
	s_and_saveexec_b64 s[12:13], s[46:47]
	s_cbranch_execz .LBB81_176
; %bb.175:
	v_mov_b32_e32 v32, 0
	ds_read_b128 v[28:31], v19
	ds_read_b128 v[32:35], v32 offset:7408
	s_waitcnt lgkmcnt(0)
	v_mul_f64 v[36:37], v[30:31], v[34:35]
	v_mul_f64 v[34:35], v[28:29], v[34:35]
	v_fma_f64 v[28:29], v[28:29], v[32:33], -v[36:37]
	v_fma_f64 v[30:31], v[30:31], v[32:33], v[34:35]
	v_add_f64 v[10:11], v[10:11], v[28:29]
	v_add_f64 v[12:13], v[12:13], v[30:31]
.LBB81_176:
	s_or_b64 exec, exec, s[12:13]
	s_barrier
	s_and_saveexec_b64 s[12:13], s[46:47]
; %bb.177:
	ds_write_b128 v19, v[10:13]
; %bb.178:
	s_or_b64 exec, exec, s[12:13]
	s_waitcnt lgkmcnt(0)
	s_barrier
	s_barrier
	s_and_saveexec_b64 s[12:13], s[16:17]
; %bb.179:
	v_xor_b32_e32 v13, 0x80000000, v13
	v_xor_b32_e32 v11, 0x80000000, v11
	ds_write_b128 v17, v[10:13] offset:4288
; %bb.180:
	s_or_b64 exec, exec, s[12:13]
	s_waitcnt lgkmcnt(0)
	s_barrier
	s_barrier
	s_and_saveexec_b64 s[12:13], s[58:59]
	s_cbranch_execz .LBB81_182
; %bb.181:
	v_lshlrev_b32_e32 v28, 4, v0
	s_movk_i32 s14, 0x1f0
	v_mad_u32_u24 v29, v0, s14, v28
	ds_read_b128 v[10:13], v29 offset:4288
	s_waitcnt lgkmcnt(0)
	ds_write_b128 v28, v[10:13] offset:6272
	ds_read_b128 v[10:13], v29 offset:4304
	s_waitcnt lgkmcnt(0)
	ds_write_b128 v28, v[10:13] offset:6784
	;; [unrolled: 3-line block ×4, first 2 shown]
.LBB81_182:
	s_or_b64 exec, exec, s[12:13]
	s_waitcnt lgkmcnt(0)
	s_barrier
	s_and_saveexec_b64 s[12:13], vcc
	s_cbranch_execz .LBB81_184
; %bb.183:
	v_mov_b32_e32 v32, 0
	s_mov_b32 s64, 0
	ds_read_b128 v[10:13], v32 offset:6352
	s_mov_b32 s65, 0x3ff00000
	s_mov_b32 s66, s64
	;; [unrolled: 1-line block ×3, first 2 shown]
	v_mov_b32_e32 v28, s64
	v_mov_b32_e32 v29, s65
	;; [unrolled: 1-line block ×4, first 2 shown]
	ds_write_b128 v32, v[28:31] offset:6336
	ds_write_b128 v32, v[28:31] offset:6864
	s_waitcnt lgkmcnt(2)
	ds_write_b128 v32, v[10:13] offset:6848
.LBB81_184:
	s_or_b64 exec, exec, s[12:13]
	v_mov_b32_e32 v12, 0
	v_mov_b32_e32 v10, 0
	;; [unrolled: 1-line block ×4, first 2 shown]
	s_waitcnt lgkmcnt(0)
	s_barrier
	s_and_saveexec_b64 s[14:15], s[2:3]
	s_cbranch_execz .LBB81_188
; %bb.185:
	v_mul_u32_u24_e32 v10, 0x210, v16
	ds_read_b128 v[10:13], v10 offset:6336
	ds_read_b128 v[28:31], v14 offset:6368
	v_cmp_gt_u32_e64 s[12:13], 2, v22
	s_waitcnt lgkmcnt(0)
	v_mul_f64 v[32:33], v[12:13], v[30:31]
	v_mul_f64 v[30:31], v[10:11], v[30:31]
	v_fma_f64 v[10:11], v[10:11], v[28:29], -v[32:33]
	v_fma_f64 v[12:13], v[12:13], v[28:29], v[30:31]
	v_add_f64 v[10:11], v[10:11], 0
	v_add_f64 v[12:13], v[12:13], 0
	s_and_saveexec_b64 s[18:19], s[12:13]
	s_cbranch_execz .LBB81_187
; %bb.186:
	v_lshlrev_b32_e32 v32, 4, v0
	v_mov_b32_e32 v28, 0
	ds_read_b128 v[28:31], v28 offset:6352
	ds_read_b128 v[32:35], v32 offset:6880
	s_waitcnt lgkmcnt(0)
	v_mul_f64 v[36:37], v[30:31], v[34:35]
	v_mul_f64 v[34:35], v[28:29], v[34:35]
	v_fma_f64 v[28:29], v[28:29], v[32:33], -v[36:37]
	v_fma_f64 v[30:31], v[30:31], v[32:33], v[34:35]
	v_add_f64 v[10:11], v[10:11], v[28:29]
	v_add_f64 v[12:13], v[12:13], v[30:31]
.LBB81_187:
	s_or_b64 exec, exec, s[18:19]
	v_xor_b32_e32 v11, 0x80000000, v11
	v_xor_b32_e32 v13, 0x80000000, v13
.LBB81_188:
	s_or_b64 exec, exec, s[14:15]
	s_and_saveexec_b64 s[12:13], s[42:43]
; %bb.189:
	ds_write_b128 v15, v[10:13]
; %bb.190:
	s_or_b64 exec, exec, s[12:13]
	s_waitcnt lgkmcnt(0)
	s_barrier
	s_and_saveexec_b64 s[12:13], s[24:25]
	s_cbranch_execz .LBB81_192
; %bb.191:
	v_mov_b32_e32 v32, 0
	ds_read_b128 v[28:31], v15
	ds_read_b128 v[32:35], v32 offset:7408
	s_waitcnt lgkmcnt(0)
	v_mul_f64 v[36:37], v[30:31], v[34:35]
	v_mul_f64 v[34:35], v[28:29], v[34:35]
	v_fma_f64 v[28:29], v[28:29], v[32:33], -v[36:37]
	v_fma_f64 v[30:31], v[30:31], v[32:33], v[34:35]
	v_add_f64 v[10:11], v[10:11], v[28:29]
	v_add_f64 v[12:13], v[12:13], v[30:31]
.LBB81_192:
	s_or_b64 exec, exec, s[12:13]
	s_barrier
	s_and_saveexec_b64 s[12:13], s[24:25]
; %bb.193:
	ds_write_b128 v15, v[10:13]
; %bb.194:
	s_or_b64 exec, exec, s[12:13]
	s_waitcnt lgkmcnt(0)
	s_barrier
	s_barrier
	s_and_saveexec_b64 s[12:13], s[2:3]
; %bb.195:
	v_xor_b32_e32 v11, 0x80000000, v11
	v_xor_b32_e32 v13, 0x80000000, v13
	ds_write_b128 v14, v[10:13] offset:6368
; %bb.196:
	s_or_b64 exec, exec, s[12:13]
	s_waitcnt lgkmcnt(0)
	s_barrier
	s_barrier
	s_and_saveexec_b64 s[12:13], s[44:45]
	s_cbranch_execz .LBB81_198
; %bb.197:
	v_lshlrev_b32_e32 v28, 9, v0
	ds_read_b128 v[10:13], v28 offset:6368
	s_movk_i32 s14, 0xfe10
	v_mad_i32_i24 v29, v0, s14, v28
	s_waitcnt lgkmcnt(0)
	ds_write_b128 v29, v[10:13] offset:7360
	ds_read_b128 v[10:13], v28 offset:6384
	s_waitcnt lgkmcnt(0)
	ds_write_b128 v29, v[10:13] offset:7872
.LBB81_198:
	s_or_b64 exec, exec, s[12:13]
	s_waitcnt lgkmcnt(0)
	s_barrier
	s_and_saveexec_b64 s[12:13], vcc
	s_cbranch_execz .LBB81_200
; %bb.199:
	v_mov_b32_e32 v32, 0
	s_mov_b32 s64, 0
	ds_read_b128 v[10:13], v32 offset:7408
	s_mov_b32 s65, 0x3ff00000
	s_mov_b32 s66, s64
	;; [unrolled: 1-line block ×3, first 2 shown]
	v_mov_b32_e32 v28, s64
	v_mov_b32_e32 v29, s65
	;; [unrolled: 1-line block ×4, first 2 shown]
	ds_write_b128 v32, v[28:31] offset:7392
	ds_write_b128 v32, v[28:31] offset:7920
	s_waitcnt lgkmcnt(2)
	ds_write_b128 v32, v[10:13] offset:7904
.LBB81_200:
	s_or_b64 exec, exec, s[12:13]
	v_and_b32_e32 v29, 15, v0
	s_movk_i32 s12, 0xff
	v_lshrrev_b32_e32 v31, 4, v22
	v_cmp_lt_u32_e64 s[14:15], s12, v22
	s_movk_i32 s12, 0x100
	v_lshlrev_b32_e32 v30, 4, v29
	v_mov_b32_e32 v12, 0
	v_mov_b32_e32 v10, 0
	v_cmp_gt_u32_e64 s[12:13], s12, v22
	v_mov_b32_e32 v13, 0
	v_mov_b32_e32 v11, 0
	v_lshl_or_b32 v28, v31, 9, v30
	s_waitcnt lgkmcnt(0)
	s_barrier
	s_and_saveexec_b64 s[90:91], s[12:13]
	s_cbranch_execz .LBB81_228
; %bb.201:
	v_mul_u32_u24_e32 v32, 0x210, v31
	ds_read_b128 v[10:13], v32
	ds_read_b128 v[33:36], v28 offset:256
	s_movk_i32 s18, 0xf0
	v_cmp_gt_u32_e64 s[18:19], s18, v22
	s_waitcnt lgkmcnt(0)
	v_mul_f64 v[37:38], v[12:13], v[35:36]
	v_mul_f64 v[35:36], v[10:11], v[35:36]
	v_fma_f64 v[10:11], v[10:11], v[33:34], -v[37:38]
	v_fma_f64 v[12:13], v[12:13], v[33:34], v[35:36]
	v_add_f64 v[10:11], v[10:11], 0
	v_add_f64 v[12:13], v[12:13], 0
	s_and_saveexec_b64 s[92:93], s[18:19]
	s_cbranch_execz .LBB81_203
; %bb.202:
	ds_read_b128 v[33:36], v32 offset:16
	ds_read_b128 v[37:40], v28 offset:768
	s_waitcnt lgkmcnt(0)
	v_mul_f64 v[41:42], v[35:36], v[39:40]
	v_mul_f64 v[39:40], v[33:34], v[39:40]
	v_fma_f64 v[33:34], v[33:34], v[37:38], -v[41:42]
	v_fma_f64 v[35:36], v[35:36], v[37:38], v[39:40]
	v_add_f64 v[10:11], v[10:11], v[33:34]
	v_add_f64 v[12:13], v[12:13], v[35:36]
.LBB81_203:
	s_or_b64 exec, exec, s[92:93]
	s_movk_i32 s18, 0xe0
	v_cmp_gt_u32_e64 s[18:19], s18, v22
	s_and_saveexec_b64 s[92:93], s[18:19]
	s_cbranch_execz .LBB81_205
; %bb.204:
	ds_read_b128 v[33:36], v32 offset:32
	ds_read_b128 v[37:40], v28 offset:1280
	s_waitcnt lgkmcnt(0)
	v_mul_f64 v[41:42], v[35:36], v[39:40]
	v_mul_f64 v[39:40], v[33:34], v[39:40]
	v_fma_f64 v[33:34], v[33:34], v[37:38], -v[41:42]
	v_fma_f64 v[35:36], v[35:36], v[37:38], v[39:40]
	v_add_f64 v[10:11], v[10:11], v[33:34]
	v_add_f64 v[12:13], v[12:13], v[35:36]
.LBB81_205:
	s_or_b64 exec, exec, s[92:93]
	s_movk_i32 s18, 0xd0
	v_cmp_gt_u32_e64 s[18:19], s18, v22
	;; [unrolled: 16-line block ×10, first 2 shown]
	s_and_saveexec_b64 s[92:93], s[18:19]
	s_cbranch_execnz .LBB81_527
; %bb.222:
	s_or_b64 exec, exec, s[92:93]
	v_cmp_gt_u32_e64 s[18:19], 64, v22
	s_and_saveexec_b64 s[92:93], s[18:19]
	s_cbranch_execnz .LBB81_528
.LBB81_223:
	s_or_b64 exec, exec, s[92:93]
	v_cmp_gt_u32_e64 s[18:19], 48, v22
	s_and_saveexec_b64 s[92:93], s[18:19]
	s_cbranch_execnz .LBB81_529
.LBB81_224:
	s_or_b64 exec, exec, s[92:93]
	v_cmp_gt_u32_e64 s[18:19], 32, v22
	s_and_saveexec_b64 s[92:93], s[18:19]
	s_cbranch_execnz .LBB81_530
.LBB81_225:
	s_or_b64 exec, exec, s[92:93]
	v_cmp_gt_u32_e64 s[18:19], 16, v22
	s_and_saveexec_b64 s[92:93], s[18:19]
	s_cbranch_execz .LBB81_227
.LBB81_226:
	v_lshlrev_b32_e32 v36, 4, v0
	v_mov_b32_e32 v32, 0
	ds_read_b128 v[32:35], v32 offset:240
	ds_read_b128 v[36:39], v36 offset:7936
	s_waitcnt lgkmcnt(0)
	v_mul_f64 v[40:41], v[34:35], v[38:39]
	v_mul_f64 v[38:39], v[32:33], v[38:39]
	v_fma_f64 v[32:33], v[32:33], v[36:37], -v[40:41]
	v_fma_f64 v[34:35], v[34:35], v[36:37], v[38:39]
	v_add_f64 v[10:11], v[10:11], v[32:33]
	v_add_f64 v[12:13], v[12:13], v[34:35]
.LBB81_227:
	s_or_b64 exec, exec, s[92:93]
	v_xor_b32_e32 v11, 0x80000000, v11
	v_xor_b32_e32 v13, 0x80000000, v13
.LBB81_228:
	s_or_b64 exec, exec, s[90:91]
	v_mov_b32_e32 v32, 0x4000
	v_cmp_eq_u32_e64 s[18:19], 0, v29
	s_xor_b64 s[90:91], s[14:15], -1
	v_lshl_add_u32 v31, v31, 4, v32
	s_and_b64 s[18:19], s[18:19], s[90:91]
	s_and_saveexec_b64 s[14:15], s[18:19]
; %bb.229:
	ds_write_b128 v31, v[10:13]
; %bb.230:
	s_or_b64 exec, exec, s[14:15]
	v_cmp_ne_u32_e64 s[14:15], 0, v29
	s_and_b64 s[18:19], s[14:15], s[90:91]
	s_waitcnt lgkmcnt(0)
	s_barrier
	s_and_saveexec_b64 s[14:15], s[18:19]
	s_cbranch_execz .LBB81_232
; %bb.231:
	ds_read_b128 v[32:35], v31
	ds_read_b128 v[36:39], v30 offset:8448
	s_waitcnt lgkmcnt(0)
	v_mul_f64 v[40:41], v[34:35], v[38:39]
	v_mul_f64 v[38:39], v[32:33], v[38:39]
	v_fma_f64 v[32:33], v[32:33], v[36:37], -v[40:41]
	v_fma_f64 v[34:35], v[34:35], v[36:37], v[38:39]
	v_add_f64 v[10:11], v[10:11], v[32:33]
	v_add_f64 v[12:13], v[12:13], v[34:35]
.LBB81_232:
	s_or_b64 exec, exec, s[14:15]
	v_cmp_eq_u32_e64 s[14:15], 1, v29
	s_and_b64 s[18:19], s[14:15], s[90:91]
	s_barrier
	s_and_saveexec_b64 s[14:15], s[18:19]
; %bb.233:
	ds_write_b128 v31, v[10:13]
; %bb.234:
	s_or_b64 exec, exec, s[14:15]
	v_cmp_lt_u32_e64 s[14:15], 1, v29
	s_and_b64 s[18:19], s[14:15], s[90:91]
	s_waitcnt lgkmcnt(0)
	s_barrier
	s_and_saveexec_b64 s[14:15], s[18:19]
	s_cbranch_execz .LBB81_236
; %bb.235:
	ds_read_b128 v[32:35], v31
	ds_read_b128 v[36:39], v30 offset:8960
	s_waitcnt lgkmcnt(0)
	v_mul_f64 v[40:41], v[34:35], v[38:39]
	v_mul_f64 v[38:39], v[32:33], v[38:39]
	v_fma_f64 v[32:33], v[32:33], v[36:37], -v[40:41]
	v_fma_f64 v[34:35], v[34:35], v[36:37], v[38:39]
	v_add_f64 v[10:11], v[10:11], v[32:33]
	v_add_f64 v[12:13], v[12:13], v[34:35]
.LBB81_236:
	s_or_b64 exec, exec, s[14:15]
	v_cmp_eq_u32_e64 s[14:15], 2, v29
	s_and_b64 s[18:19], s[14:15], s[90:91]
	s_barrier
	s_and_saveexec_b64 s[14:15], s[18:19]
; %bb.237:
	ds_write_b128 v31, v[10:13]
; %bb.238:
	s_or_b64 exec, exec, s[14:15]
	v_cmp_lt_u32_e64 s[14:15], 2, v29
	s_and_b64 s[18:19], s[14:15], s[90:91]
	s_waitcnt lgkmcnt(0)
	s_barrier
	s_and_saveexec_b64 s[14:15], s[18:19]
	s_cbranch_execz .LBB81_240
; %bb.239:
	ds_read_b128 v[32:35], v31
	ds_read_b128 v[36:39], v30 offset:9472
	s_waitcnt lgkmcnt(0)
	v_mul_f64 v[40:41], v[34:35], v[38:39]
	v_mul_f64 v[38:39], v[32:33], v[38:39]
	v_fma_f64 v[32:33], v[32:33], v[36:37], -v[40:41]
	v_fma_f64 v[34:35], v[34:35], v[36:37], v[38:39]
	v_add_f64 v[10:11], v[10:11], v[32:33]
	v_add_f64 v[12:13], v[12:13], v[34:35]
.LBB81_240:
	s_or_b64 exec, exec, s[14:15]
	v_cmp_eq_u32_e64 s[14:15], 3, v29
	s_and_b64 s[18:19], s[14:15], s[90:91]
	s_barrier
	s_and_saveexec_b64 s[14:15], s[18:19]
; %bb.241:
	ds_write_b128 v31, v[10:13]
; %bb.242:
	s_or_b64 exec, exec, s[14:15]
	v_cmp_lt_u32_e64 s[14:15], 3, v29
	s_and_b64 s[18:19], s[14:15], s[90:91]
	s_waitcnt lgkmcnt(0)
	s_barrier
	s_and_saveexec_b64 s[14:15], s[18:19]
	s_cbranch_execz .LBB81_244
; %bb.243:
	ds_read_b128 v[32:35], v31
	ds_read_b128 v[36:39], v30 offset:9984
	s_waitcnt lgkmcnt(0)
	v_mul_f64 v[40:41], v[34:35], v[38:39]
	v_mul_f64 v[38:39], v[32:33], v[38:39]
	v_fma_f64 v[32:33], v[32:33], v[36:37], -v[40:41]
	v_fma_f64 v[34:35], v[34:35], v[36:37], v[38:39]
	v_add_f64 v[10:11], v[10:11], v[32:33]
	v_add_f64 v[12:13], v[12:13], v[34:35]
.LBB81_244:
	s_or_b64 exec, exec, s[14:15]
	v_cmp_eq_u32_e64 s[14:15], 4, v29
	s_and_b64 s[18:19], s[14:15], s[90:91]
	s_barrier
	s_and_saveexec_b64 s[14:15], s[18:19]
; %bb.245:
	ds_write_b128 v31, v[10:13]
; %bb.246:
	s_or_b64 exec, exec, s[14:15]
	v_cmp_lt_u32_e64 s[14:15], 4, v29
	s_and_b64 s[18:19], s[14:15], s[90:91]
	s_waitcnt lgkmcnt(0)
	s_barrier
	s_and_saveexec_b64 s[14:15], s[18:19]
	s_cbranch_execz .LBB81_248
; %bb.247:
	ds_read_b128 v[32:35], v31
	ds_read_b128 v[36:39], v30 offset:10496
	s_waitcnt lgkmcnt(0)
	v_mul_f64 v[40:41], v[34:35], v[38:39]
	v_mul_f64 v[38:39], v[32:33], v[38:39]
	v_fma_f64 v[32:33], v[32:33], v[36:37], -v[40:41]
	v_fma_f64 v[34:35], v[34:35], v[36:37], v[38:39]
	v_add_f64 v[10:11], v[10:11], v[32:33]
	v_add_f64 v[12:13], v[12:13], v[34:35]
.LBB81_248:
	s_or_b64 exec, exec, s[14:15]
	v_cmp_eq_u32_e64 s[14:15], 5, v29
	s_and_b64 s[18:19], s[14:15], s[90:91]
	s_barrier
	s_and_saveexec_b64 s[14:15], s[18:19]
; %bb.249:
	ds_write_b128 v31, v[10:13]
; %bb.250:
	s_or_b64 exec, exec, s[14:15]
	v_cmp_lt_u32_e64 s[14:15], 5, v29
	s_and_b64 s[18:19], s[14:15], s[90:91]
	s_waitcnt lgkmcnt(0)
	s_barrier
	s_and_saveexec_b64 s[14:15], s[18:19]
	s_cbranch_execz .LBB81_252
; %bb.251:
	ds_read_b128 v[32:35], v31
	ds_read_b128 v[36:39], v30 offset:11008
	s_waitcnt lgkmcnt(0)
	v_mul_f64 v[40:41], v[34:35], v[38:39]
	v_mul_f64 v[38:39], v[32:33], v[38:39]
	v_fma_f64 v[32:33], v[32:33], v[36:37], -v[40:41]
	v_fma_f64 v[34:35], v[34:35], v[36:37], v[38:39]
	v_add_f64 v[10:11], v[10:11], v[32:33]
	v_add_f64 v[12:13], v[12:13], v[34:35]
.LBB81_252:
	s_or_b64 exec, exec, s[14:15]
	v_cmp_eq_u32_e64 s[14:15], 6, v29
	s_and_b64 s[18:19], s[14:15], s[90:91]
	s_barrier
	s_and_saveexec_b64 s[14:15], s[18:19]
; %bb.253:
	ds_write_b128 v31, v[10:13]
; %bb.254:
	s_or_b64 exec, exec, s[14:15]
	v_cmp_lt_u32_e64 s[14:15], 6, v29
	s_and_b64 s[18:19], s[14:15], s[90:91]
	s_waitcnt lgkmcnt(0)
	s_barrier
	s_and_saveexec_b64 s[14:15], s[18:19]
	s_cbranch_execz .LBB81_256
; %bb.255:
	ds_read_b128 v[32:35], v31
	ds_read_b128 v[36:39], v30 offset:11520
	s_waitcnt lgkmcnt(0)
	v_mul_f64 v[40:41], v[34:35], v[38:39]
	v_mul_f64 v[38:39], v[32:33], v[38:39]
	v_fma_f64 v[32:33], v[32:33], v[36:37], -v[40:41]
	v_fma_f64 v[34:35], v[34:35], v[36:37], v[38:39]
	v_add_f64 v[10:11], v[10:11], v[32:33]
	v_add_f64 v[12:13], v[12:13], v[34:35]
.LBB81_256:
	s_or_b64 exec, exec, s[14:15]
	v_cmp_eq_u32_e64 s[14:15], 7, v29
	s_and_b64 s[18:19], s[14:15], s[90:91]
	s_barrier
	s_and_saveexec_b64 s[14:15], s[18:19]
; %bb.257:
	ds_write_b128 v31, v[10:13]
; %bb.258:
	s_or_b64 exec, exec, s[14:15]
	v_cmp_lt_u32_e64 s[14:15], 7, v29
	s_and_b64 s[18:19], s[14:15], s[90:91]
	s_waitcnt lgkmcnt(0)
	s_barrier
	s_and_saveexec_b64 s[14:15], s[18:19]
	s_cbranch_execz .LBB81_260
; %bb.259:
	ds_read_b128 v[32:35], v31
	ds_read_b128 v[36:39], v30 offset:12032
	s_waitcnt lgkmcnt(0)
	v_mul_f64 v[40:41], v[34:35], v[38:39]
	v_mul_f64 v[38:39], v[32:33], v[38:39]
	v_fma_f64 v[32:33], v[32:33], v[36:37], -v[40:41]
	v_fma_f64 v[34:35], v[34:35], v[36:37], v[38:39]
	v_add_f64 v[10:11], v[10:11], v[32:33]
	v_add_f64 v[12:13], v[12:13], v[34:35]
.LBB81_260:
	s_or_b64 exec, exec, s[14:15]
	v_cmp_eq_u32_e64 s[14:15], 8, v29
	s_and_b64 s[18:19], s[14:15], s[90:91]
	s_barrier
	s_and_saveexec_b64 s[14:15], s[18:19]
; %bb.261:
	ds_write_b128 v31, v[10:13]
; %bb.262:
	s_or_b64 exec, exec, s[14:15]
	v_cmp_lt_u32_e64 s[14:15], 8, v29
	s_and_b64 s[18:19], s[14:15], s[90:91]
	s_waitcnt lgkmcnt(0)
	s_barrier
	s_and_saveexec_b64 s[14:15], s[18:19]
	s_cbranch_execz .LBB81_264
; %bb.263:
	ds_read_b128 v[32:35], v31
	ds_read_b128 v[36:39], v30 offset:12544
	s_waitcnt lgkmcnt(0)
	v_mul_f64 v[40:41], v[34:35], v[38:39]
	v_mul_f64 v[38:39], v[32:33], v[38:39]
	v_fma_f64 v[32:33], v[32:33], v[36:37], -v[40:41]
	v_fma_f64 v[34:35], v[34:35], v[36:37], v[38:39]
	v_add_f64 v[10:11], v[10:11], v[32:33]
	v_add_f64 v[12:13], v[12:13], v[34:35]
.LBB81_264:
	s_or_b64 exec, exec, s[14:15]
	v_cmp_eq_u32_e64 s[14:15], 9, v29
	s_and_b64 s[18:19], s[14:15], s[90:91]
	s_barrier
	s_and_saveexec_b64 s[14:15], s[18:19]
; %bb.265:
	ds_write_b128 v31, v[10:13]
; %bb.266:
	s_or_b64 exec, exec, s[14:15]
	v_cmp_lt_u32_e64 s[14:15], 9, v29
	s_and_b64 s[18:19], s[14:15], s[90:91]
	s_waitcnt lgkmcnt(0)
	s_barrier
	s_and_saveexec_b64 s[14:15], s[18:19]
	s_cbranch_execz .LBB81_268
; %bb.267:
	ds_read_b128 v[32:35], v31
	ds_read_b128 v[36:39], v30 offset:13056
	s_waitcnt lgkmcnt(0)
	v_mul_f64 v[40:41], v[34:35], v[38:39]
	v_mul_f64 v[38:39], v[32:33], v[38:39]
	v_fma_f64 v[32:33], v[32:33], v[36:37], -v[40:41]
	v_fma_f64 v[34:35], v[34:35], v[36:37], v[38:39]
	v_add_f64 v[10:11], v[10:11], v[32:33]
	v_add_f64 v[12:13], v[12:13], v[34:35]
.LBB81_268:
	s_or_b64 exec, exec, s[14:15]
	v_cmp_eq_u32_e64 s[14:15], 10, v29
	s_and_b64 s[18:19], s[14:15], s[90:91]
	s_barrier
	s_and_saveexec_b64 s[14:15], s[18:19]
; %bb.269:
	ds_write_b128 v31, v[10:13]
; %bb.270:
	s_or_b64 exec, exec, s[14:15]
	v_cmp_lt_u32_e64 s[14:15], 10, v29
	s_and_b64 s[18:19], s[14:15], s[90:91]
	s_waitcnt lgkmcnt(0)
	s_barrier
	s_and_saveexec_b64 s[14:15], s[18:19]
	s_cbranch_execz .LBB81_272
; %bb.271:
	ds_read_b128 v[32:35], v31
	ds_read_b128 v[36:39], v30 offset:13568
	s_waitcnt lgkmcnt(0)
	v_mul_f64 v[40:41], v[34:35], v[38:39]
	v_mul_f64 v[38:39], v[32:33], v[38:39]
	v_fma_f64 v[32:33], v[32:33], v[36:37], -v[40:41]
	v_fma_f64 v[34:35], v[34:35], v[36:37], v[38:39]
	v_add_f64 v[10:11], v[10:11], v[32:33]
	v_add_f64 v[12:13], v[12:13], v[34:35]
.LBB81_272:
	s_or_b64 exec, exec, s[14:15]
	v_cmp_eq_u32_e64 s[14:15], 11, v29
	s_and_b64 s[18:19], s[14:15], s[90:91]
	s_barrier
	s_and_saveexec_b64 s[14:15], s[18:19]
; %bb.273:
	ds_write_b128 v31, v[10:13]
; %bb.274:
	s_or_b64 exec, exec, s[14:15]
	v_cmp_lt_u32_e64 s[14:15], 11, v29
	s_and_b64 s[18:19], s[14:15], s[90:91]
	s_waitcnt lgkmcnt(0)
	s_barrier
	s_and_saveexec_b64 s[14:15], s[18:19]
	s_cbranch_execz .LBB81_276
; %bb.275:
	ds_read_b128 v[32:35], v31
	ds_read_b128 v[36:39], v30 offset:14080
	s_waitcnt lgkmcnt(0)
	v_mul_f64 v[40:41], v[34:35], v[38:39]
	v_mul_f64 v[38:39], v[32:33], v[38:39]
	v_fma_f64 v[32:33], v[32:33], v[36:37], -v[40:41]
	v_fma_f64 v[34:35], v[34:35], v[36:37], v[38:39]
	v_add_f64 v[10:11], v[10:11], v[32:33]
	v_add_f64 v[12:13], v[12:13], v[34:35]
.LBB81_276:
	s_or_b64 exec, exec, s[14:15]
	v_cmp_eq_u32_e64 s[14:15], 12, v29
	s_and_b64 s[18:19], s[14:15], s[90:91]
	s_barrier
	s_and_saveexec_b64 s[14:15], s[18:19]
; %bb.277:
	ds_write_b128 v31, v[10:13]
; %bb.278:
	s_or_b64 exec, exec, s[14:15]
	v_cmp_lt_u32_e64 s[14:15], 12, v29
	s_and_b64 s[18:19], s[14:15], s[90:91]
	s_waitcnt lgkmcnt(0)
	s_barrier
	s_and_saveexec_b64 s[14:15], s[18:19]
	s_cbranch_execz .LBB81_280
; %bb.279:
	ds_read_b128 v[32:35], v31
	ds_read_b128 v[36:39], v30 offset:14592
	s_waitcnt lgkmcnt(0)
	v_mul_f64 v[40:41], v[34:35], v[38:39]
	v_mul_f64 v[38:39], v[32:33], v[38:39]
	v_fma_f64 v[32:33], v[32:33], v[36:37], -v[40:41]
	v_fma_f64 v[34:35], v[34:35], v[36:37], v[38:39]
	v_add_f64 v[10:11], v[10:11], v[32:33]
	v_add_f64 v[12:13], v[12:13], v[34:35]
.LBB81_280:
	s_or_b64 exec, exec, s[14:15]
	v_cmp_eq_u32_e64 s[14:15], 13, v29
	s_and_b64 s[18:19], s[14:15], s[90:91]
	s_barrier
	s_and_saveexec_b64 s[14:15], s[18:19]
; %bb.281:
	ds_write_b128 v31, v[10:13]
; %bb.282:
	s_or_b64 exec, exec, s[14:15]
	v_cmp_lt_u32_e64 s[14:15], 13, v29
	s_and_b64 s[18:19], s[14:15], s[90:91]
	s_waitcnt lgkmcnt(0)
	s_barrier
	s_and_saveexec_b64 s[14:15], s[18:19]
	s_cbranch_execz .LBB81_284
; %bb.283:
	ds_read_b128 v[32:35], v31
	ds_read_b128 v[36:39], v30 offset:15104
	s_waitcnt lgkmcnt(0)
	v_mul_f64 v[40:41], v[34:35], v[38:39]
	v_mul_f64 v[38:39], v[32:33], v[38:39]
	v_fma_f64 v[32:33], v[32:33], v[36:37], -v[40:41]
	v_fma_f64 v[34:35], v[34:35], v[36:37], v[38:39]
	v_add_f64 v[10:11], v[10:11], v[32:33]
	v_add_f64 v[12:13], v[12:13], v[34:35]
.LBB81_284:
	s_or_b64 exec, exec, s[14:15]
	v_cmp_eq_u32_e64 s[14:15], 14, v29
	s_and_b64 s[18:19], s[14:15], s[90:91]
	s_barrier
	s_and_saveexec_b64 s[14:15], s[18:19]
; %bb.285:
	ds_write_b128 v31, v[10:13]
; %bb.286:
	s_or_b64 exec, exec, s[14:15]
	v_cmp_eq_u32_e64 s[14:15], 15, v29
	s_and_b64 s[14:15], s[14:15], s[90:91]
	s_waitcnt lgkmcnt(0)
	s_barrier
	s_and_saveexec_b64 s[18:19], s[14:15]
	s_cbranch_execz .LBB81_288
; %bb.287:
	v_mov_b32_e32 v29, 0
	ds_read_b128 v[32:35], v31
	ds_read_b128 v[36:39], v29 offset:15856
	s_waitcnt lgkmcnt(0)
	v_mul_f64 v[29:30], v[34:35], v[38:39]
	v_mul_f64 v[38:39], v[32:33], v[38:39]
	v_fma_f64 v[29:30], v[32:33], v[36:37], -v[29:30]
	v_fma_f64 v[32:33], v[34:35], v[36:37], v[38:39]
	v_add_f64 v[10:11], v[10:11], v[29:30]
	v_add_f64 v[12:13], v[12:13], v[32:33]
.LBB81_288:
	s_or_b64 exec, exec, s[18:19]
	s_barrier
	s_and_saveexec_b64 s[18:19], s[14:15]
; %bb.289:
	ds_write_b128 v31, v[10:13]
; %bb.290:
	s_or_b64 exec, exec, s[18:19]
	s_waitcnt lgkmcnt(0)
	s_barrier
	s_barrier
	s_and_saveexec_b64 s[14:15], s[12:13]
; %bb.291:
	v_xor_b32_e32 v13, 0x80000000, v13
	v_xor_b32_e32 v11, 0x80000000, v11
	ds_write_b128 v28, v[10:13] offset:256
; %bb.292:
	s_or_b64 exec, exec, s[14:15]
	v_cmp_gt_u32_e64 s[12:13], 16, v0
	s_and_b64 s[12:13], s[10:11], s[12:13]
	s_waitcnt lgkmcnt(0)
	s_barrier
	s_barrier
	s_and_saveexec_b64 s[10:11], s[12:13]
	s_cbranch_execz .LBB81_294
; %bb.293:
	v_lshlrev_b32_e32 v28, 9, v0
	ds_read_b128 v[10:13], v28 offset:256
	s_movk_i32 s12, 0xfe10
	v_mad_i32_i24 v29, v0, s12, v28
	s_waitcnt lgkmcnt(0)
	ds_write_b128 v29, v[10:13] offset:8192
	ds_read_b128 v[10:13], v28 offset:272
	s_waitcnt lgkmcnt(0)
	ds_write_b128 v29, v[10:13] offset:8704
	ds_read_b128 v[10:13], v28 offset:288
	;; [unrolled: 3-line block ×15, first 2 shown]
	s_waitcnt lgkmcnt(0)
	ds_write_b128 v29, v[10:13] offset:15872
.LBB81_294:
	s_or_b64 exec, exec, s[10:11]
	s_waitcnt lgkmcnt(0)
	s_barrier
	s_and_saveexec_b64 s[10:11], vcc
	s_cbranch_execz .LBB81_296
; %bb.295:
	s_mov_b32 s12, 0
	v_mov_b32_e32 v32, 0
	ds_read_b128 v[10:13], v32 offset:8464
	s_mov_b32 s15, s12
	s_mov_b32 s13, 0x3ff00000
	;; [unrolled: 1-line block ×3, first 2 shown]
	v_mov_b32_e32 v31, s15
	v_mov_b32_e32 v30, s14
	;; [unrolled: 1-line block ×4, first 2 shown]
	ds_write_b128 v32, v[28:31] offset:8448
	ds_write_b128 v32, v[28:31] offset:8976
	s_waitcnt lgkmcnt(2)
	ds_write_b128 v32, v[10:13] offset:8960
.LBB81_296:
	s_or_b64 exec, exec, s[10:11]
	v_mov_b32_e32 v12, 0
	v_mov_b32_e32 v10, 0
	;; [unrolled: 1-line block ×4, first 2 shown]
	s_waitcnt lgkmcnt(0)
	s_barrier
	s_and_saveexec_b64 s[12:13], s[2:3]
	s_cbranch_execz .LBB81_300
; %bb.297:
	v_mul_u32_u24_e32 v10, 0x210, v16
	ds_read_b128 v[10:13], v10 offset:8448
	ds_read_b128 v[28:31], v14 offset:8480
	v_cmp_gt_u32_e64 s[10:11], 2, v22
	s_waitcnt lgkmcnt(0)
	v_mul_f64 v[32:33], v[12:13], v[30:31]
	v_mul_f64 v[30:31], v[10:11], v[30:31]
	v_fma_f64 v[10:11], v[10:11], v[28:29], -v[32:33]
	v_fma_f64 v[12:13], v[12:13], v[28:29], v[30:31]
	v_add_f64 v[10:11], v[10:11], 0
	v_add_f64 v[12:13], v[12:13], 0
	s_and_saveexec_b64 s[14:15], s[10:11]
	s_cbranch_execz .LBB81_299
; %bb.298:
	v_lshlrev_b32_e32 v32, 4, v0
	v_mov_b32_e32 v28, 0
	ds_read_b128 v[28:31], v28 offset:8464
	ds_read_b128 v[32:35], v32 offset:8992
	s_waitcnt lgkmcnt(0)
	v_mul_f64 v[36:37], v[30:31], v[34:35]
	v_mul_f64 v[34:35], v[28:29], v[34:35]
	v_fma_f64 v[28:29], v[28:29], v[32:33], -v[36:37]
	v_fma_f64 v[30:31], v[30:31], v[32:33], v[34:35]
	v_add_f64 v[10:11], v[10:11], v[28:29]
	v_add_f64 v[12:13], v[12:13], v[30:31]
.LBB81_299:
	s_or_b64 exec, exec, s[14:15]
	v_xor_b32_e32 v11, 0x80000000, v11
	v_xor_b32_e32 v13, 0x80000000, v13
.LBB81_300:
	s_or_b64 exec, exec, s[12:13]
	s_and_saveexec_b64 s[10:11], s[42:43]
; %bb.301:
	ds_write_b128 v15, v[10:13]
; %bb.302:
	s_or_b64 exec, exec, s[10:11]
	s_waitcnt lgkmcnt(0)
	s_barrier
	s_and_saveexec_b64 s[10:11], s[24:25]
	s_cbranch_execz .LBB81_304
; %bb.303:
	v_mov_b32_e32 v32, 0
	ds_read_b128 v[28:31], v15
	ds_read_b128 v[32:35], v32 offset:9520
	s_waitcnt lgkmcnt(0)
	v_mul_f64 v[36:37], v[30:31], v[34:35]
	v_mul_f64 v[34:35], v[28:29], v[34:35]
	v_fma_f64 v[28:29], v[28:29], v[32:33], -v[36:37]
	v_fma_f64 v[30:31], v[30:31], v[32:33], v[34:35]
	v_add_f64 v[10:11], v[10:11], v[28:29]
	v_add_f64 v[12:13], v[12:13], v[30:31]
.LBB81_304:
	s_or_b64 exec, exec, s[10:11]
	s_barrier
	s_and_saveexec_b64 s[10:11], s[24:25]
; %bb.305:
	ds_write_b128 v15, v[10:13]
; %bb.306:
	s_or_b64 exec, exec, s[10:11]
	s_waitcnt lgkmcnt(0)
	s_barrier
	s_barrier
	s_and_saveexec_b64 s[10:11], s[2:3]
; %bb.307:
	v_xor_b32_e32 v11, 0x80000000, v11
	v_xor_b32_e32 v13, 0x80000000, v13
	ds_write_b128 v14, v[10:13] offset:8480
; %bb.308:
	s_or_b64 exec, exec, s[10:11]
	s_waitcnt lgkmcnt(0)
	s_barrier
	s_barrier
	s_and_saveexec_b64 s[10:11], s[44:45]
	s_cbranch_execz .LBB81_310
; %bb.309:
	v_lshlrev_b32_e32 v28, 9, v0
	ds_read_b128 v[10:13], v28 offset:8480
	s_movk_i32 s12, 0xfe10
	v_mad_i32_i24 v29, v0, s12, v28
	s_waitcnt lgkmcnt(0)
	ds_write_b128 v29, v[10:13] offset:9472
	ds_read_b128 v[10:13], v28 offset:8496
	s_waitcnt lgkmcnt(0)
	ds_write_b128 v29, v[10:13] offset:9984
.LBB81_310:
	s_or_b64 exec, exec, s[10:11]
	s_waitcnt lgkmcnt(0)
	s_barrier
	s_and_saveexec_b64 s[10:11], vcc
	s_cbranch_execz .LBB81_312
; %bb.311:
	s_mov_b32 s12, 0
	v_mov_b32_e32 v32, 0
	ds_read_b128 v[10:13], v32 offset:9520
	s_mov_b32 s15, s12
	s_mov_b32 s13, 0x3ff00000
	;; [unrolled: 1-line block ×3, first 2 shown]
	v_mov_b32_e32 v31, s15
	v_mov_b32_e32 v30, s14
	;; [unrolled: 1-line block ×4, first 2 shown]
	ds_write_b128 v32, v[28:31] offset:9504
	ds_write_b128 v32, v[28:31] offset:10032
	s_waitcnt lgkmcnt(2)
	ds_write_b128 v32, v[10:13] offset:10016
.LBB81_312:
	s_or_b64 exec, exec, s[10:11]
	v_mov_b32_e32 v12, 0
	v_mov_b32_e32 v10, 0
	;; [unrolled: 1-line block ×4, first 2 shown]
	s_waitcnt lgkmcnt(0)
	s_barrier
	s_and_saveexec_b64 s[12:13], s[16:17]
	s_cbranch_execz .LBB81_318
; %bb.313:
	v_mul_u32_u24_e32 v28, 0x210, v21
	ds_read_b128 v[10:13], v28 offset:8448
	ds_read_b128 v[29:32], v17 offset:8512
	v_cmp_gt_u32_e64 s[10:11], 12, v22
	s_waitcnt lgkmcnt(0)
	v_mul_f64 v[33:34], v[12:13], v[31:32]
	v_mul_f64 v[31:32], v[10:11], v[31:32]
	v_fma_f64 v[10:11], v[10:11], v[29:30], -v[33:34]
	v_fma_f64 v[12:13], v[12:13], v[29:30], v[31:32]
	v_add_f64 v[10:11], v[10:11], 0
	v_add_f64 v[12:13], v[12:13], 0
	s_and_saveexec_b64 s[14:15], s[10:11]
	s_cbranch_execnz .LBB81_531
; %bb.314:
	s_or_b64 exec, exec, s[14:15]
	v_cmp_gt_u32_e64 s[10:11], 8, v22
	s_and_saveexec_b64 s[14:15], s[10:11]
	s_cbranch_execnz .LBB81_532
.LBB81_315:
	s_or_b64 exec, exec, s[14:15]
	v_cmp_gt_u32_e64 s[10:11], 4, v22
	s_and_saveexec_b64 s[14:15], s[10:11]
	s_cbranch_execz .LBB81_317
.LBB81_316:
	v_lshlrev_b32_e32 v32, 4, v0
	v_mov_b32_e32 v28, 0
	ds_read_b128 v[28:31], v28 offset:8496
	ds_read_b128 v[32:35], v32 offset:10048
	s_waitcnt lgkmcnt(0)
	v_mul_f64 v[36:37], v[30:31], v[34:35]
	v_mul_f64 v[34:35], v[28:29], v[34:35]
	v_fma_f64 v[28:29], v[28:29], v[32:33], -v[36:37]
	v_fma_f64 v[30:31], v[30:31], v[32:33], v[34:35]
	v_add_f64 v[10:11], v[10:11], v[28:29]
	v_add_f64 v[12:13], v[12:13], v[30:31]
.LBB81_317:
	s_or_b64 exec, exec, s[14:15]
	v_xor_b32_e32 v11, 0x80000000, v11
	v_xor_b32_e32 v13, 0x80000000, v13
.LBB81_318:
	s_or_b64 exec, exec, s[12:13]
	s_and_saveexec_b64 s[10:11], s[48:49]
; %bb.319:
	ds_write_b128 v19, v[10:13]
; %bb.320:
	s_or_b64 exec, exec, s[10:11]
	s_waitcnt lgkmcnt(0)
	s_barrier
	s_and_saveexec_b64 s[10:11], s[50:51]
	s_cbranch_execz .LBB81_322
; %bb.321:
	ds_read_b128 v[28:31], v19
	ds_read_b128 v[32:35], v18 offset:10560
	s_waitcnt lgkmcnt(0)
	v_mul_f64 v[36:37], v[30:31], v[34:35]
	v_mul_f64 v[34:35], v[28:29], v[34:35]
	v_fma_f64 v[28:29], v[28:29], v[32:33], -v[36:37]
	v_fma_f64 v[30:31], v[30:31], v[32:33], v[34:35]
	v_add_f64 v[10:11], v[10:11], v[28:29]
	v_add_f64 v[12:13], v[12:13], v[30:31]
.LBB81_322:
	s_or_b64 exec, exec, s[10:11]
	s_barrier
	s_and_saveexec_b64 s[10:11], s[52:53]
; %bb.323:
	ds_write_b128 v19, v[10:13]
; %bb.324:
	s_or_b64 exec, exec, s[10:11]
	s_waitcnt lgkmcnt(0)
	s_barrier
	s_and_saveexec_b64 s[10:11], s[54:55]
	s_cbranch_execz .LBB81_326
; %bb.325:
	ds_read_b128 v[28:31], v19
	ds_read_b128 v[32:35], v18 offset:11072
	s_waitcnt lgkmcnt(0)
	v_mul_f64 v[36:37], v[30:31], v[34:35]
	v_mul_f64 v[34:35], v[28:29], v[34:35]
	v_fma_f64 v[28:29], v[28:29], v[32:33], -v[36:37]
	v_fma_f64 v[30:31], v[30:31], v[32:33], v[34:35]
	v_add_f64 v[10:11], v[10:11], v[28:29]
	v_add_f64 v[12:13], v[12:13], v[30:31]
.LBB81_326:
	s_or_b64 exec, exec, s[10:11]
	s_barrier
	s_and_saveexec_b64 s[10:11], s[56:57]
; %bb.327:
	ds_write_b128 v19, v[10:13]
; %bb.328:
	s_or_b64 exec, exec, s[10:11]
	s_waitcnt lgkmcnt(0)
	s_barrier
	s_and_saveexec_b64 s[10:11], s[46:47]
	s_cbranch_execz .LBB81_330
; %bb.329:
	v_mov_b32_e32 v32, 0
	ds_read_b128 v[28:31], v19
	ds_read_b128 v[32:35], v32 offset:11632
	s_waitcnt lgkmcnt(0)
	v_mul_f64 v[36:37], v[30:31], v[34:35]
	v_mul_f64 v[34:35], v[28:29], v[34:35]
	v_fma_f64 v[28:29], v[28:29], v[32:33], -v[36:37]
	v_fma_f64 v[30:31], v[30:31], v[32:33], v[34:35]
	v_add_f64 v[10:11], v[10:11], v[28:29]
	v_add_f64 v[12:13], v[12:13], v[30:31]
.LBB81_330:
	s_or_b64 exec, exec, s[10:11]
	s_barrier
	s_and_saveexec_b64 s[10:11], s[46:47]
; %bb.331:
	ds_write_b128 v19, v[10:13]
; %bb.332:
	s_or_b64 exec, exec, s[10:11]
	s_waitcnt lgkmcnt(0)
	s_barrier
	s_barrier
	s_and_saveexec_b64 s[10:11], s[16:17]
; %bb.333:
	v_xor_b32_e32 v13, 0x80000000, v13
	v_xor_b32_e32 v11, 0x80000000, v11
	ds_write_b128 v17, v[10:13] offset:8512
; %bb.334:
	s_or_b64 exec, exec, s[10:11]
	s_waitcnt lgkmcnt(0)
	s_barrier
	s_barrier
	s_and_saveexec_b64 s[10:11], s[58:59]
	s_cbranch_execz .LBB81_336
; %bb.335:
	v_lshlrev_b32_e32 v28, 4, v0
	s_movk_i32 s12, 0x1f0
	v_mad_u32_u24 v29, v0, s12, v28
	ds_read_b128 v[10:13], v29 offset:8512
	s_waitcnt lgkmcnt(0)
	ds_write_b128 v28, v[10:13] offset:10496
	ds_read_b128 v[10:13], v29 offset:8528
	s_waitcnt lgkmcnt(0)
	ds_write_b128 v28, v[10:13] offset:11008
	;; [unrolled: 3-line block ×4, first 2 shown]
.LBB81_336:
	s_or_b64 exec, exec, s[10:11]
	s_waitcnt lgkmcnt(0)
	s_barrier
	s_and_saveexec_b64 s[10:11], vcc
	s_cbranch_execz .LBB81_338
; %bb.337:
	s_mov_b32 s12, 0
	v_mov_b32_e32 v32, 0
	ds_read_b128 v[10:13], v32 offset:10576
	s_mov_b32 s15, s12
	s_mov_b32 s13, 0x3ff00000
	;; [unrolled: 1-line block ×3, first 2 shown]
	v_mov_b32_e32 v31, s15
	v_mov_b32_e32 v30, s14
	;; [unrolled: 1-line block ×4, first 2 shown]
	ds_write_b128 v32, v[28:31] offset:10560
	ds_write_b128 v32, v[28:31] offset:11088
	s_waitcnt lgkmcnt(2)
	ds_write_b128 v32, v[10:13] offset:11072
.LBB81_338:
	s_or_b64 exec, exec, s[10:11]
	v_mov_b32_e32 v12, 0
	v_mov_b32_e32 v10, 0
	;; [unrolled: 1-line block ×4, first 2 shown]
	s_waitcnt lgkmcnt(0)
	s_barrier
	s_and_saveexec_b64 s[12:13], s[2:3]
	s_cbranch_execz .LBB81_342
; %bb.339:
	v_mul_u32_u24_e32 v10, 0x210, v16
	ds_read_b128 v[10:13], v10 offset:10560
	ds_read_b128 v[28:31], v14 offset:10592
	v_cmp_gt_u32_e64 s[10:11], 2, v22
	s_waitcnt lgkmcnt(0)
	v_mul_f64 v[32:33], v[12:13], v[30:31]
	v_mul_f64 v[30:31], v[10:11], v[30:31]
	v_fma_f64 v[10:11], v[10:11], v[28:29], -v[32:33]
	v_fma_f64 v[12:13], v[12:13], v[28:29], v[30:31]
	v_add_f64 v[10:11], v[10:11], 0
	v_add_f64 v[12:13], v[12:13], 0
	s_and_saveexec_b64 s[14:15], s[10:11]
	s_cbranch_execz .LBB81_341
; %bb.340:
	v_lshlrev_b32_e32 v32, 4, v0
	v_mov_b32_e32 v28, 0
	ds_read_b128 v[28:31], v28 offset:10576
	ds_read_b128 v[32:35], v32 offset:11104
	s_waitcnt lgkmcnt(0)
	v_mul_f64 v[36:37], v[30:31], v[34:35]
	v_mul_f64 v[34:35], v[28:29], v[34:35]
	v_fma_f64 v[28:29], v[28:29], v[32:33], -v[36:37]
	v_fma_f64 v[30:31], v[30:31], v[32:33], v[34:35]
	v_add_f64 v[10:11], v[10:11], v[28:29]
	v_add_f64 v[12:13], v[12:13], v[30:31]
.LBB81_341:
	s_or_b64 exec, exec, s[14:15]
	v_xor_b32_e32 v11, 0x80000000, v11
	v_xor_b32_e32 v13, 0x80000000, v13
.LBB81_342:
	s_or_b64 exec, exec, s[12:13]
	s_and_saveexec_b64 s[10:11], s[42:43]
; %bb.343:
	ds_write_b128 v15, v[10:13]
; %bb.344:
	s_or_b64 exec, exec, s[10:11]
	s_waitcnt lgkmcnt(0)
	s_barrier
	s_and_saveexec_b64 s[10:11], s[24:25]
	s_cbranch_execz .LBB81_346
; %bb.345:
	v_mov_b32_e32 v32, 0
	ds_read_b128 v[28:31], v15
	ds_read_b128 v[32:35], v32 offset:11632
	s_waitcnt lgkmcnt(0)
	v_mul_f64 v[36:37], v[30:31], v[34:35]
	v_mul_f64 v[34:35], v[28:29], v[34:35]
	v_fma_f64 v[28:29], v[28:29], v[32:33], -v[36:37]
	v_fma_f64 v[30:31], v[30:31], v[32:33], v[34:35]
	v_add_f64 v[10:11], v[10:11], v[28:29]
	v_add_f64 v[12:13], v[12:13], v[30:31]
.LBB81_346:
	s_or_b64 exec, exec, s[10:11]
	s_barrier
	s_and_saveexec_b64 s[10:11], s[24:25]
; %bb.347:
	ds_write_b128 v15, v[10:13]
; %bb.348:
	s_or_b64 exec, exec, s[10:11]
	s_waitcnt lgkmcnt(0)
	s_barrier
	s_barrier
	s_and_saveexec_b64 s[10:11], s[2:3]
; %bb.349:
	v_xor_b32_e32 v11, 0x80000000, v11
	v_xor_b32_e32 v13, 0x80000000, v13
	ds_write_b128 v14, v[10:13] offset:10592
; %bb.350:
	s_or_b64 exec, exec, s[10:11]
	s_waitcnt lgkmcnt(0)
	s_barrier
	s_barrier
	s_and_saveexec_b64 s[10:11], s[44:45]
	s_cbranch_execz .LBB81_352
; %bb.351:
	v_lshlrev_b32_e32 v28, 9, v0
	ds_read_b128 v[10:13], v28 offset:10592
	s_movk_i32 s12, 0xfe10
	v_mad_i32_i24 v29, v0, s12, v28
	s_waitcnt lgkmcnt(0)
	ds_write_b128 v29, v[10:13] offset:11584
	ds_read_b128 v[10:13], v28 offset:10608
	s_waitcnt lgkmcnt(0)
	ds_write_b128 v29, v[10:13] offset:12096
.LBB81_352:
	s_or_b64 exec, exec, s[10:11]
	s_waitcnt lgkmcnt(0)
	s_barrier
	s_and_saveexec_b64 s[10:11], vcc
	s_cbranch_execz .LBB81_354
; %bb.353:
	s_mov_b32 s12, 0
	v_mov_b32_e32 v32, 0
	ds_read_b128 v[10:13], v32 offset:11632
	s_mov_b32 s15, s12
	s_mov_b32 s13, 0x3ff00000
	;; [unrolled: 1-line block ×3, first 2 shown]
	v_mov_b32_e32 v31, s15
	v_mov_b32_e32 v30, s14
	;; [unrolled: 1-line block ×4, first 2 shown]
	ds_write_b128 v32, v[28:31] offset:11616
	ds_write_b128 v32, v[28:31] offset:12144
	s_waitcnt lgkmcnt(2)
	ds_write_b128 v32, v[10:13] offset:12128
.LBB81_354:
	s_or_b64 exec, exec, s[10:11]
	v_mov_b32_e32 v12, 0
	v_mov_b32_e32 v10, 0
	;; [unrolled: 1-line block ×4, first 2 shown]
	s_waitcnt lgkmcnt(0)
	s_barrier
	s_and_saveexec_b64 s[12:13], s[8:9]
	s_cbranch_execz .LBB81_364
; %bb.355:
	v_mul_u32_u24_e32 v28, 0x210, v27
	ds_read_b128 v[10:13], v28 offset:8448
	ds_read_b128 v[29:32], v23 offset:8576
	v_cmp_gt_u32_e64 s[10:11], 56, v22
	s_waitcnt lgkmcnt(0)
	v_mul_f64 v[33:34], v[12:13], v[31:32]
	v_mul_f64 v[31:32], v[10:11], v[31:32]
	v_fma_f64 v[10:11], v[10:11], v[29:30], -v[33:34]
	v_fma_f64 v[12:13], v[12:13], v[29:30], v[31:32]
	v_add_f64 v[10:11], v[10:11], 0
	v_add_f64 v[12:13], v[12:13], 0
	s_and_saveexec_b64 s[14:15], s[10:11]
	s_cbranch_execnz .LBB81_533
; %bb.356:
	s_or_b64 exec, exec, s[14:15]
	v_cmp_gt_u32_e64 s[10:11], 48, v22
	s_and_saveexec_b64 s[14:15], s[10:11]
	s_cbranch_execnz .LBB81_534
.LBB81_357:
	s_or_b64 exec, exec, s[14:15]
	v_cmp_gt_u32_e64 s[10:11], 40, v22
	s_and_saveexec_b64 s[14:15], s[10:11]
	s_cbranch_execnz .LBB81_535
.LBB81_358:
	s_or_b64 exec, exec, s[14:15]
	v_cmp_gt_u32_e64 s[10:11], 32, v22
	s_and_saveexec_b64 s[14:15], s[10:11]
	s_cbranch_execnz .LBB81_536
.LBB81_359:
	s_or_b64 exec, exec, s[14:15]
	v_cmp_gt_u32_e64 s[10:11], 24, v22
	s_and_saveexec_b64 s[14:15], s[10:11]
	s_cbranch_execnz .LBB81_537
.LBB81_360:
	s_or_b64 exec, exec, s[14:15]
	v_cmp_gt_u32_e64 s[10:11], 16, v22
	s_and_saveexec_b64 s[14:15], s[10:11]
	s_cbranch_execnz .LBB81_538
.LBB81_361:
	s_or_b64 exec, exec, s[14:15]
	v_cmp_gt_u32_e64 s[10:11], 8, v22
	s_and_saveexec_b64 s[14:15], s[10:11]
	s_cbranch_execz .LBB81_363
.LBB81_362:
	v_lshlrev_b32_e32 v30, 4, v0
	v_mov_b32_e32 v26, 0
	ds_read_b128 v[26:29], v26 offset:8560
	ds_read_b128 v[30:33], v30 offset:12160
	s_waitcnt lgkmcnt(0)
	v_mul_f64 v[34:35], v[28:29], v[32:33]
	v_mul_f64 v[32:33], v[26:27], v[32:33]
	v_fma_f64 v[26:27], v[26:27], v[30:31], -v[34:35]
	v_fma_f64 v[28:29], v[28:29], v[30:31], v[32:33]
	v_add_f64 v[10:11], v[10:11], v[26:27]
	v_add_f64 v[12:13], v[12:13], v[28:29]
.LBB81_363:
	s_or_b64 exec, exec, s[14:15]
	v_xor_b32_e32 v11, 0x80000000, v11
	v_xor_b32_e32 v13, 0x80000000, v13
.LBB81_364:
	s_or_b64 exec, exec, s[12:13]
	s_mov_b64 s[10:11], exec
	v_readlane_b32 s12, v43, 2
	v_readlane_b32 s13, v43, 3
	s_and_b64 s[12:13], s[10:11], s[12:13]
	s_mov_b64 exec, s[12:13]
; %bb.365:
	ds_write_b128 v25, v[10:13]
; %bb.366:
	s_or_b64 exec, exec, s[10:11]
	s_waitcnt lgkmcnt(0)
	s_barrier
	s_mov_b64 s[10:11], exec
	v_readlane_b32 s12, v43, 4
	v_readlane_b32 s13, v43, 5
	s_and_b64 s[12:13], s[10:11], s[12:13]
	s_mov_b64 exec, s[12:13]
	s_cbranch_execz .LBB81_368
; %bb.367:
	ds_read_b128 v[26:29], v25
	ds_read_b128 v[30:33], v24 offset:12672
	s_waitcnt lgkmcnt(0)
	v_mul_f64 v[34:35], v[28:29], v[32:33]
	v_mul_f64 v[32:33], v[26:27], v[32:33]
	v_fma_f64 v[26:27], v[26:27], v[30:31], -v[34:35]
	v_fma_f64 v[28:29], v[28:29], v[30:31], v[32:33]
	v_add_f64 v[10:11], v[10:11], v[26:27]
	v_add_f64 v[12:13], v[12:13], v[28:29]
.LBB81_368:
	s_or_b64 exec, exec, s[10:11]
	s_barrier
	s_and_saveexec_b64 s[10:11], s[0:1]
; %bb.369:
	ds_write_b128 v25, v[10:13]
; %bb.370:
	s_or_b64 exec, exec, s[10:11]
	s_waitcnt lgkmcnt(0)
	s_barrier
	s_and_saveexec_b64 s[10:11], s[68:69]
	s_cbranch_execz .LBB81_372
; %bb.371:
	ds_read_b128 v[26:29], v25
	ds_read_b128 v[30:33], v24 offset:13184
	s_waitcnt lgkmcnt(0)
	v_mul_f64 v[34:35], v[28:29], v[32:33]
	v_mul_f64 v[32:33], v[26:27], v[32:33]
	v_fma_f64 v[26:27], v[26:27], v[30:31], -v[34:35]
	v_fma_f64 v[28:29], v[28:29], v[30:31], v[32:33]
	v_add_f64 v[10:11], v[10:11], v[26:27]
	v_add_f64 v[12:13], v[12:13], v[28:29]
.LBB81_372:
	s_or_b64 exec, exec, s[10:11]
	s_barrier
	s_and_saveexec_b64 s[10:11], s[70:71]
; %bb.373:
	ds_write_b128 v25, v[10:13]
; %bb.374:
	s_or_b64 exec, exec, s[10:11]
	s_waitcnt lgkmcnt(0)
	s_barrier
	s_and_saveexec_b64 s[10:11], s[72:73]
	;; [unrolled: 22-line block ×6, first 2 shown]
	s_cbranch_execz .LBB81_392
; %bb.391:
	v_mov_b32_e32 v24, 0
	ds_read_b128 v[26:29], v25
	ds_read_b128 v[30:33], v24 offset:15856
	s_waitcnt lgkmcnt(0)
	v_mul_f64 v[34:35], v[28:29], v[32:33]
	v_mul_f64 v[32:33], v[26:27], v[32:33]
	v_fma_f64 v[26:27], v[26:27], v[30:31], -v[34:35]
	v_fma_f64 v[28:29], v[28:29], v[30:31], v[32:33]
	v_add_f64 v[10:11], v[10:11], v[26:27]
	v_add_f64 v[12:13], v[12:13], v[28:29]
.LBB81_392:
	s_or_b64 exec, exec, s[10:11]
	s_barrier
	s_and_saveexec_b64 s[10:11], s[60:61]
; %bb.393:
	ds_write_b128 v25, v[10:13]
; %bb.394:
	s_or_b64 exec, exec, s[10:11]
	s_waitcnt lgkmcnt(0)
	s_barrier
	s_barrier
	s_and_saveexec_b64 s[10:11], s[8:9]
; %bb.395:
	v_xor_b32_e32 v11, 0x80000000, v11
	v_xor_b32_e32 v13, 0x80000000, v13
	ds_write_b128 v23, v[10:13] offset:8576
; %bb.396:
	s_or_b64 exec, exec, s[10:11]
	s_waitcnt lgkmcnt(0)
	s_barrier
	s_barrier
	s_and_saveexec_b64 s[8:9], s[88:89]
	s_cbranch_execz .LBB81_398
; %bb.397:
	v_lshlrev_b32_e32 v23, 9, v0
	ds_read_b128 v[10:13], v23 offset:8576
	s_movk_i32 s0, 0xfe10
	v_mad_i32_i24 v24, v0, s0, v23
	s_waitcnt lgkmcnt(0)
	ds_write_b128 v24, v[10:13] offset:12544
	ds_read_b128 v[10:13], v23 offset:8592
	s_waitcnt lgkmcnt(0)
	ds_write_b128 v24, v[10:13] offset:13056
	ds_read_b128 v[10:13], v23 offset:8608
	;; [unrolled: 3-line block ×7, first 2 shown]
	s_waitcnt lgkmcnt(0)
	ds_write_b128 v24, v[10:13] offset:16128
.LBB81_398:
	s_or_b64 exec, exec, s[8:9]
	s_waitcnt lgkmcnt(0)
	s_barrier
	s_and_saveexec_b64 s[8:9], vcc
	s_cbranch_execz .LBB81_400
; %bb.399:
	s_mov_b32 s12, 0
	v_mov_b32_e32 v27, 0
	ds_read_b128 v[10:13], v27 offset:12688
	s_mov_b32 s15, s12
	s_mov_b32 s13, 0x3ff00000
	;; [unrolled: 1-line block ×3, first 2 shown]
	v_mov_b32_e32 v26, s15
	v_mov_b32_e32 v25, s14
	;; [unrolled: 1-line block ×4, first 2 shown]
	ds_write_b128 v27, v[23:26] offset:12672
	ds_write_b128 v27, v[23:26] offset:13200
	s_waitcnt lgkmcnt(2)
	ds_write_b128 v27, v[10:13] offset:13184
.LBB81_400:
	s_or_b64 exec, exec, s[8:9]
	v_mov_b32_e32 v12, 0
	v_mov_b32_e32 v10, 0
	;; [unrolled: 1-line block ×4, first 2 shown]
	s_waitcnt lgkmcnt(0)
	s_barrier
	s_and_saveexec_b64 s[10:11], s[2:3]
	s_cbranch_execz .LBB81_404
; %bb.401:
	v_mul_u32_u24_e32 v10, 0x210, v16
	ds_read_b128 v[10:13], v10 offset:12672
	ds_read_b128 v[23:26], v14 offset:12704
	v_cmp_gt_u32_e64 s[8:9], 2, v22
	s_waitcnt lgkmcnt(0)
	v_mul_f64 v[27:28], v[12:13], v[25:26]
	v_mul_f64 v[25:26], v[10:11], v[25:26]
	v_fma_f64 v[10:11], v[10:11], v[23:24], -v[27:28]
	v_fma_f64 v[12:13], v[12:13], v[23:24], v[25:26]
	v_add_f64 v[10:11], v[10:11], 0
	v_add_f64 v[12:13], v[12:13], 0
	s_and_saveexec_b64 s[12:13], s[8:9]
	s_cbranch_execz .LBB81_403
; %bb.402:
	v_lshlrev_b32_e32 v27, 4, v0
	v_mov_b32_e32 v23, 0
	ds_read_b128 v[23:26], v23 offset:12688
	ds_read_b128 v[27:30], v27 offset:13216
	s_waitcnt lgkmcnt(0)
	v_mul_f64 v[31:32], v[25:26], v[29:30]
	v_mul_f64 v[29:30], v[23:24], v[29:30]
	v_fma_f64 v[23:24], v[23:24], v[27:28], -v[31:32]
	v_fma_f64 v[25:26], v[25:26], v[27:28], v[29:30]
	v_add_f64 v[10:11], v[10:11], v[23:24]
	v_add_f64 v[12:13], v[12:13], v[25:26]
.LBB81_403:
	s_or_b64 exec, exec, s[12:13]
	v_xor_b32_e32 v11, 0x80000000, v11
	v_xor_b32_e32 v13, 0x80000000, v13
.LBB81_404:
	s_or_b64 exec, exec, s[10:11]
	s_and_saveexec_b64 s[8:9], s[42:43]
; %bb.405:
	ds_write_b128 v15, v[10:13]
; %bb.406:
	s_or_b64 exec, exec, s[8:9]
	s_waitcnt lgkmcnt(0)
	s_barrier
	s_and_saveexec_b64 s[8:9], s[24:25]
	s_cbranch_execz .LBB81_408
; %bb.407:
	v_mov_b32_e32 v27, 0
	ds_read_b128 v[23:26], v15
	ds_read_b128 v[27:30], v27 offset:13744
	s_waitcnt lgkmcnt(0)
	v_mul_f64 v[31:32], v[25:26], v[29:30]
	v_mul_f64 v[29:30], v[23:24], v[29:30]
	v_fma_f64 v[23:24], v[23:24], v[27:28], -v[31:32]
	v_fma_f64 v[25:26], v[25:26], v[27:28], v[29:30]
	v_add_f64 v[10:11], v[10:11], v[23:24]
	v_add_f64 v[12:13], v[12:13], v[25:26]
.LBB81_408:
	s_or_b64 exec, exec, s[8:9]
	s_barrier
	s_and_saveexec_b64 s[8:9], s[24:25]
; %bb.409:
	ds_write_b128 v15, v[10:13]
; %bb.410:
	s_or_b64 exec, exec, s[8:9]
	s_waitcnt lgkmcnt(0)
	s_barrier
	s_barrier
	s_and_saveexec_b64 s[8:9], s[2:3]
; %bb.411:
	v_xor_b32_e32 v11, 0x80000000, v11
	v_xor_b32_e32 v13, 0x80000000, v13
	ds_write_b128 v14, v[10:13] offset:12704
; %bb.412:
	s_or_b64 exec, exec, s[8:9]
	s_waitcnt lgkmcnt(0)
	s_barrier
	s_barrier
	s_and_saveexec_b64 s[8:9], s[44:45]
	s_cbranch_execz .LBB81_414
; %bb.413:
	v_lshlrev_b32_e32 v23, 9, v0
	ds_read_b128 v[10:13], v23 offset:12704
	s_movk_i32 s0, 0xfe10
	v_mad_i32_i24 v24, v0, s0, v23
	s_waitcnt lgkmcnt(0)
	ds_write_b128 v24, v[10:13] offset:13696
	ds_read_b128 v[10:13], v23 offset:12720
	s_waitcnt lgkmcnt(0)
	ds_write_b128 v24, v[10:13] offset:14208
.LBB81_414:
	s_or_b64 exec, exec, s[8:9]
	s_waitcnt lgkmcnt(0)
	s_barrier
	s_and_saveexec_b64 s[8:9], vcc
	s_cbranch_execz .LBB81_416
; %bb.415:
	s_mov_b32 s12, 0
	v_mov_b32_e32 v27, 0
	ds_read_b128 v[10:13], v27 offset:13744
	s_mov_b32 s15, s12
	s_mov_b32 s13, 0x3ff00000
	;; [unrolled: 1-line block ×3, first 2 shown]
	v_mov_b32_e32 v26, s15
	v_mov_b32_e32 v25, s14
	;; [unrolled: 1-line block ×4, first 2 shown]
	ds_write_b128 v27, v[23:26] offset:13728
	ds_write_b128 v27, v[23:26] offset:14256
	s_waitcnt lgkmcnt(2)
	ds_write_b128 v27, v[10:13] offset:14240
.LBB81_416:
	s_or_b64 exec, exec, s[8:9]
	v_mov_b32_e32 v12, 0
	v_mov_b32_e32 v10, 0
	;; [unrolled: 1-line block ×4, first 2 shown]
	s_waitcnt lgkmcnt(0)
	s_barrier
	s_and_saveexec_b64 s[10:11], s[16:17]
	s_cbranch_execz .LBB81_422
; %bb.417:
	v_mul_u32_u24_e32 v23, 0x210, v21
	ds_read_b128 v[10:13], v23 offset:12672
	ds_read_b128 v[24:27], v17 offset:12736
	v_cmp_gt_u32_e64 s[8:9], 12, v22
	s_waitcnt lgkmcnt(0)
	v_mul_f64 v[28:29], v[12:13], v[26:27]
	v_mul_f64 v[26:27], v[10:11], v[26:27]
	v_fma_f64 v[10:11], v[10:11], v[24:25], -v[28:29]
	v_fma_f64 v[12:13], v[12:13], v[24:25], v[26:27]
	v_add_f64 v[10:11], v[10:11], 0
	v_add_f64 v[12:13], v[12:13], 0
	s_and_saveexec_b64 s[12:13], s[8:9]
	s_cbranch_execnz .LBB81_539
; %bb.418:
	s_or_b64 exec, exec, s[12:13]
	v_cmp_gt_u32_e64 s[8:9], 8, v22
	s_and_saveexec_b64 s[12:13], s[8:9]
	s_cbranch_execnz .LBB81_540
.LBB81_419:
	s_or_b64 exec, exec, s[12:13]
	v_cmp_gt_u32_e64 s[8:9], 4, v22
	s_and_saveexec_b64 s[12:13], s[8:9]
	s_cbranch_execz .LBB81_421
.LBB81_420:
	v_mov_b32_e32 v21, 0
	v_lshlrev_b32_e32 v20, 4, v0
	ds_read_b128 v[23:26], v21 offset:12720
	ds_read_b128 v[27:30], v20 offset:14272
	s_waitcnt lgkmcnt(0)
	v_mul_f64 v[20:21], v[25:26], v[29:30]
	v_mul_f64 v[29:30], v[23:24], v[29:30]
	v_fma_f64 v[20:21], v[23:24], v[27:28], -v[20:21]
	v_fma_f64 v[23:24], v[25:26], v[27:28], v[29:30]
	v_add_f64 v[10:11], v[10:11], v[20:21]
	v_add_f64 v[12:13], v[12:13], v[23:24]
.LBB81_421:
	s_or_b64 exec, exec, s[12:13]
	v_xor_b32_e32 v11, 0x80000000, v11
	v_xor_b32_e32 v13, 0x80000000, v13
.LBB81_422:
	s_or_b64 exec, exec, s[10:11]
	s_and_saveexec_b64 s[8:9], s[48:49]
; %bb.423:
	ds_write_b128 v19, v[10:13]
; %bb.424:
	s_or_b64 exec, exec, s[8:9]
	s_waitcnt lgkmcnt(0)
	s_barrier
	s_and_saveexec_b64 s[8:9], s[50:51]
	s_cbranch_execz .LBB81_426
; %bb.425:
	ds_read_b128 v[23:26], v19
	ds_read_b128 v[27:30], v18 offset:14784
	s_waitcnt lgkmcnt(0)
	v_mul_f64 v[20:21], v[25:26], v[29:30]
	v_mul_f64 v[29:30], v[23:24], v[29:30]
	v_fma_f64 v[20:21], v[23:24], v[27:28], -v[20:21]
	v_fma_f64 v[23:24], v[25:26], v[27:28], v[29:30]
	v_add_f64 v[10:11], v[10:11], v[20:21]
	v_add_f64 v[12:13], v[12:13], v[23:24]
.LBB81_426:
	s_or_b64 exec, exec, s[8:9]
	s_barrier
	s_and_saveexec_b64 s[8:9], s[52:53]
; %bb.427:
	ds_write_b128 v19, v[10:13]
; %bb.428:
	s_or_b64 exec, exec, s[8:9]
	s_waitcnt lgkmcnt(0)
	s_barrier
	s_and_saveexec_b64 s[8:9], s[54:55]
	s_cbranch_execz .LBB81_430
; %bb.429:
	ds_read_b128 v[23:26], v19
	ds_read_b128 v[27:30], v18 offset:15296
	s_waitcnt lgkmcnt(0)
	v_mul_f64 v[20:21], v[25:26], v[29:30]
	v_mul_f64 v[29:30], v[23:24], v[29:30]
	v_fma_f64 v[20:21], v[23:24], v[27:28], -v[20:21]
	v_fma_f64 v[23:24], v[25:26], v[27:28], v[29:30]
	v_add_f64 v[10:11], v[10:11], v[20:21]
	v_add_f64 v[12:13], v[12:13], v[23:24]
.LBB81_430:
	s_or_b64 exec, exec, s[8:9]
	s_barrier
	s_and_saveexec_b64 s[8:9], s[56:57]
; %bb.431:
	ds_write_b128 v19, v[10:13]
; %bb.432:
	s_or_b64 exec, exec, s[8:9]
	s_waitcnt lgkmcnt(0)
	s_barrier
	s_and_saveexec_b64 s[8:9], s[46:47]
	s_cbranch_execz .LBB81_434
; %bb.433:
	v_mov_b32_e32 v18, 0
	ds_read_b128 v[23:26], v19
	ds_read_b128 v[27:30], v18 offset:15856
	s_waitcnt lgkmcnt(0)
	v_mul_f64 v[20:21], v[25:26], v[29:30]
	v_mul_f64 v[29:30], v[23:24], v[29:30]
	v_fma_f64 v[20:21], v[23:24], v[27:28], -v[20:21]
	v_fma_f64 v[23:24], v[25:26], v[27:28], v[29:30]
	v_add_f64 v[10:11], v[10:11], v[20:21]
	v_add_f64 v[12:13], v[12:13], v[23:24]
.LBB81_434:
	s_or_b64 exec, exec, s[8:9]
	s_barrier
	s_and_saveexec_b64 s[8:9], s[46:47]
; %bb.435:
	ds_write_b128 v19, v[10:13]
; %bb.436:
	s_or_b64 exec, exec, s[8:9]
	s_waitcnt lgkmcnt(0)
	s_barrier
	s_barrier
	s_and_saveexec_b64 s[8:9], s[16:17]
; %bb.437:
	v_xor_b32_e32 v13, 0x80000000, v13
	v_xor_b32_e32 v11, 0x80000000, v11
	ds_write_b128 v17, v[10:13] offset:12736
; %bb.438:
	s_or_b64 exec, exec, s[8:9]
	s_waitcnt lgkmcnt(0)
	s_barrier
	s_barrier
	s_and_saveexec_b64 s[8:9], s[58:59]
	s_cbranch_execz .LBB81_440
; %bb.439:
	v_lshlrev_b32_e32 v17, 4, v0
	s_movk_i32 s0, 0x1f0
	v_mad_u32_u24 v18, v0, s0, v17
	ds_read_b128 v[10:13], v18 offset:12736
	s_waitcnt lgkmcnt(0)
	ds_write_b128 v17, v[10:13] offset:14720
	ds_read_b128 v[10:13], v18 offset:12752
	s_waitcnt lgkmcnt(0)
	ds_write_b128 v17, v[10:13] offset:15232
	;; [unrolled: 3-line block ×4, first 2 shown]
.LBB81_440:
	s_or_b64 exec, exec, s[8:9]
	s_waitcnt lgkmcnt(0)
	s_barrier
	s_and_saveexec_b64 s[8:9], vcc
	s_cbranch_execz .LBB81_442
; %bb.441:
	s_mov_b32 s12, 0
	v_mov_b32_e32 v21, 0
	ds_read_b128 v[10:13], v21 offset:14800
	s_mov_b32 s15, s12
	s_mov_b32 s13, 0x3ff00000
	s_mov_b32 s14, s12
	v_mov_b32_e32 v20, s15
	v_mov_b32_e32 v19, s14
	;; [unrolled: 1-line block ×4, first 2 shown]
	ds_write_b128 v21, v[17:20] offset:14784
	ds_write_b128 v21, v[17:20] offset:15312
	s_waitcnt lgkmcnt(2)
	ds_write_b128 v21, v[10:13] offset:15296
.LBB81_442:
	s_or_b64 exec, exec, s[8:9]
	v_mov_b32_e32 v12, 0
	v_mov_b32_e32 v10, 0
	;; [unrolled: 1-line block ×4, first 2 shown]
	s_waitcnt lgkmcnt(0)
	s_barrier
	s_and_saveexec_b64 s[10:11], s[2:3]
	s_cbranch_execz .LBB81_446
; %bb.443:
	v_mul_u32_u24_e32 v10, 0x210, v16
	ds_read_b128 v[10:13], v10 offset:14784
	ds_read_b128 v[16:19], v14 offset:14816
	v_cmp_gt_u32_e64 s[8:9], 2, v22
	s_waitcnt lgkmcnt(0)
	v_mul_f64 v[20:21], v[12:13], v[18:19]
	v_mul_f64 v[18:19], v[10:11], v[18:19]
	v_fma_f64 v[10:11], v[10:11], v[16:17], -v[20:21]
	v_fma_f64 v[12:13], v[12:13], v[16:17], v[18:19]
	v_add_f64 v[10:11], v[10:11], 0
	v_add_f64 v[12:13], v[12:13], 0
	s_and_saveexec_b64 s[12:13], s[8:9]
	s_cbranch_execz .LBB81_445
; %bb.444:
	v_mov_b32_e32 v16, 0
	v_lshlrev_b32_e32 v20, 4, v0
	ds_read_b128 v[16:19], v16 offset:14800
	ds_read_b128 v[23:26], v20 offset:15328
	s_waitcnt lgkmcnt(0)
	v_mul_f64 v[20:21], v[18:19], v[25:26]
	v_mul_f64 v[25:26], v[16:17], v[25:26]
	v_fma_f64 v[16:17], v[16:17], v[23:24], -v[20:21]
	v_fma_f64 v[18:19], v[18:19], v[23:24], v[25:26]
	v_add_f64 v[10:11], v[10:11], v[16:17]
	v_add_f64 v[12:13], v[12:13], v[18:19]
.LBB81_445:
	s_or_b64 exec, exec, s[12:13]
	v_xor_b32_e32 v11, 0x80000000, v11
	v_xor_b32_e32 v13, 0x80000000, v13
.LBB81_446:
	s_or_b64 exec, exec, s[10:11]
	s_and_saveexec_b64 s[8:9], s[42:43]
; %bb.447:
	ds_write_b128 v15, v[10:13]
; %bb.448:
	s_or_b64 exec, exec, s[8:9]
	s_waitcnt lgkmcnt(0)
	s_barrier
	s_and_saveexec_b64 s[8:9], s[24:25]
	v_readlane_b32 s42, v43, 0
	v_readlane_b32 s43, v43, 1
	s_cbranch_execz .LBB81_450
; %bb.449:
	v_mov_b32_e32 v20, 0
	ds_read_b128 v[16:19], v15
	ds_read_b128 v[23:26], v20 offset:15856
	s_waitcnt lgkmcnt(0)
	v_mul_f64 v[20:21], v[18:19], v[25:26]
	v_mul_f64 v[25:26], v[16:17], v[25:26]
	v_fma_f64 v[16:17], v[16:17], v[23:24], -v[20:21]
	v_fma_f64 v[18:19], v[18:19], v[23:24], v[25:26]
	v_add_f64 v[10:11], v[10:11], v[16:17]
	v_add_f64 v[12:13], v[12:13], v[18:19]
.LBB81_450:
	s_or_b64 exec, exec, s[8:9]
	s_barrier
	s_and_saveexec_b64 s[8:9], s[24:25]
; %bb.451:
	ds_write_b128 v15, v[10:13]
; %bb.452:
	s_or_b64 exec, exec, s[8:9]
	s_waitcnt lgkmcnt(0)
	s_barrier
	s_barrier
	s_and_saveexec_b64 s[8:9], s[2:3]
; %bb.453:
	v_xor_b32_e32 v11, 0x80000000, v11
	v_xor_b32_e32 v13, 0x80000000, v13
	ds_write_b128 v14, v[10:13] offset:14816
; %bb.454:
	s_or_b64 exec, exec, s[8:9]
	s_waitcnt lgkmcnt(0)
	s_barrier
	s_barrier
	s_and_saveexec_b64 s[2:3], s[44:45]
	s_cbranch_execz .LBB81_456
; %bb.455:
	v_lshlrev_b32_e32 v14, 9, v0
	ds_read_b128 v[10:13], v14 offset:14816
	s_movk_i32 s0, 0xfe10
	v_mad_i32_i24 v15, v0, s0, v14
	s_waitcnt lgkmcnt(0)
	ds_write_b128 v15, v[10:13] offset:15808
	ds_read_b128 v[10:13], v14 offset:14832
	s_waitcnt lgkmcnt(0)
	ds_write_b128 v15, v[10:13] offset:16320
.LBB81_456:
	s_or_b64 exec, exec, s[2:3]
	s_waitcnt lgkmcnt(0)
	s_barrier
	s_and_saveexec_b64 s[2:3], vcc
	s_cbranch_execz .LBB81_458
; %bb.457:
	s_mov_b32 s8, 0
	v_mov_b32_e32 v18, 0
	ds_read_b128 v[10:13], v18 offset:15856
	s_mov_b32 s11, s8
	s_mov_b32 s9, 0x3ff00000
	;; [unrolled: 1-line block ×3, first 2 shown]
	v_mov_b32_e32 v17, s11
	v_mov_b32_e32 v16, s10
	v_mov_b32_e32 v15, s9
	v_mov_b32_e32 v14, s8
	ds_write_b128 v18, v[14:17] offset:15840
	ds_write_b128 v18, v[14:17] offset:16368
	s_waitcnt lgkmcnt(2)
	ds_write_b128 v18, v[10:13] offset:16352
.LBB81_458:
	s_or_b64 exec, exec, s[2:3]
.LBB81_459:
	s_load_dwordx4 s[12:15], s[4:5], 0x48
	v_cmp_le_i32_e32 vcc, s94, v0
	v_mov_b32_e32 v10, 0
	v_mov_b32_e32 v11, 0
	;; [unrolled: 1-line block ×3, first 2 shown]
	s_waitcnt lgkmcnt(0)
	s_mul_i32 s1, s13, s34
	s_mul_hi_u32 s2, s12, s34
	s_mul_i32 s0, s12, s34
	s_add_i32 s1, s2, s1
	s_lshl_b64 s[0:1], s[0:1], 4
	s_add_u32 s2, s26, s0
	s_addc_u32 s3, s27, s1
	s_lshl_b64 s[0:1], s[28:29], 4
	s_add_u32 s24, s2, s0
	s_addc_u32 s25, s3, s1
	s_and_b64 s[16:17], vcc, s[22:23]
	v_cmp_eq_u32_e64 s[2:3], 0, v1
	s_xor_b64 s[0:1], s[16:17], -1
	s_and_b64 s[0:1], s[2:3], s[0:1]
	v_lshl_add_u32 v15, s33, 5, v0
	v_mov_b32_e32 v12, v10
	s_barrier
	s_and_saveexec_b64 s[4:5], s[0:1]
	s_cbranch_execz .LBB81_461
; %bb.460:
	v_ashrrev_i32_e32 v12, 31, v15
	v_mul_lo_u32 v13, s31, v15
	v_mad_u64_u32 v[10:11], s[0:1], s30, v15, 0
	v_mul_lo_u32 v12, s30, v12
	v_add3_u32 v11, v11, v12, v13
	v_lshlrev_b64 v[10:11], 4, v[10:11]
	v_mov_b32_e32 v12, s25
	v_add_co_u32_e32 v10, vcc, s24, v10
	v_addc_co_u32_e32 v11, vcc, v12, v11, vcc
	global_load_dwordx4 v[16:19], v[10:11], off
	s_waitcnt vmcnt(0)
	v_mul_f64 v[10:11], s[36:37], v[16:17]
	v_mul_f64 v[12:13], s[36:37], v[18:19]
	v_fma_f64 v[10:11], s[38:39], v[18:19], -v[10:11]
	v_fma_f64 v[12:13], v[16:17], -s[38:39], -v[12:13]
.LBB81_461:
	s_or_b64 exec, exec, s[4:5]
	s_and_b32 s0, 0xffff, s63
	v_mad_u32_u24 v23, v1, s0, v0
	v_mov_b32_e32 v14, 0
	s_cmp_lt_i32 s6, 1
	v_cmp_eq_u32_e64 s[4:5], 0, v23
	s_cbranch_scc1 .LBB81_484
; %bb.462:
	v_ashrrev_i32_e32 v18, 31, v15
	v_mul_lo_u32 v19, s21, v15
	v_mad_u64_u32 v[16:17], s[0:1], s20, v15, 0
	v_mul_lo_u32 v18, s20, v18
	s_lshl_b64 s[8:9], s[34:35], 2
	s_add_u32 s18, s14, s8
	s_addc_u32 s19, s15, s9
	v_add3_u32 v17, v17, v18, v19
	v_cmp_gt_i32_e64 s[8:9], s40, v15
	v_lshlrev_b64 v[15:16], 4, v[16:17]
	v_mov_b32_e32 v18, 0x6000
	v_mov_b32_e32 v17, s62
	v_add_co_u32_e32 v26, vcc, s95, v15
	s_mov_b32 s0, 0
	v_cmp_gt_u32_e64 s[12:13], 32, v23
	v_lshl_add_u32 v24, v23, 4, v18
	v_lshl_or_b32 v25, v1, 4, v18
	s_add_i32 s1, s33, 1
	v_addc_co_u32_e32 v27, vcc, v17, v16, vcc
	v_mov_b32_e32 v28, -1
	s_branch .LBB81_465
.LBB81_463:                             ;   in Loop: Header=BB81_465 Depth=1
	ds_read_b128 v[29:32], v25 offset:256
	s_waitcnt vmcnt(0) lgkmcnt(0)
	v_mul_f64 v[15:16], v[19:20], v[31:32]
	v_mul_f64 v[19:20], v[19:20], v[29:30]
	v_fma_f64 v[15:16], v[17:18], v[29:30], v[15:16]
	v_fma_f64 v[17:18], v[17:18], v[31:32], -v[19:20]
	v_add_f64 v[10:11], v[10:11], v[15:16]
	v_add_f64 v[12:13], v[12:13], v[17:18]
.LBB81_464:                             ;   in Loop: Header=BB81_465 Depth=1
	s_or_b64 exec, exec, s[20:21]
	s_add_i32 s0, s0, 1
	s_cmp_eq_u32 s0, s6
	s_cbranch_scc1 .LBB81_484
.LBB81_465:                             ; =>This Loop Header: Depth=1
                                        ;     Child Loop BB81_467 Depth 2
	v_cmp_gt_i32_e32 vcc, s0, v28
	s_and_b64 s[20:21], s[4:5], vcc
	s_and_saveexec_b64 s[10:11], s[20:21]
	s_cbranch_execz .LBB81_468
; %bb.466:                              ;   in Loop: Header=BB81_465 Depth=1
	global_load_dword v28, v14, s[18:19]
	s_waitcnt vmcnt(0)
	v_cmp_le_i32_e32 vcc, s0, v28
	s_cbranch_vccnz .LBB81_468
.LBB81_467:                             ;   Parent Loop BB81_465 Depth=1
                                        ; =>  This Inner Loop Header: Depth=2
	buffer_wbinvl1_vol
	global_load_dword v28, v14, s[18:19]
	s_waitcnt vmcnt(0)
	v_cmp_gt_i32_e32 vcc, s0, v28
	s_cbranch_vccnz .LBB81_467
.LBB81_468:                             ;   in Loop: Header=BB81_465 Depth=1
	s_or_b64 exec, exec, s[10:11]
	s_sub_i32 s26, s7, s0
	s_lshl_b32 s27, s26, 5
	buffer_wbinvl1_vol
	s_barrier
	s_and_saveexec_b64 s[10:11], s[12:13]
	s_cbranch_execz .LBB81_473
; %bb.469:                              ;   in Loop: Header=BB81_465 Depth=1
	s_ashr_i32 s20, s27, 31
	v_mov_b32_e32 v16, s20
	v_or_b32_e32 v15, s27, v23
	v_cmp_le_i64_e32 vcc, s[40:41], v[15:16]
	s_and_saveexec_b64 s[20:21], vcc
	s_xor_b64 s[20:21], exec, s[20:21]
; %bb.470:                              ;   in Loop: Header=BB81_465 Depth=1
	v_mov_b32_e32 v15, v14
	v_mov_b32_e32 v16, v14
	;; [unrolled: 1-line block ×3, first 2 shown]
	ds_write_b128 v24, v[14:17]
                                        ; implicit-def: $vgpr15_vgpr16
; %bb.471:                              ;   in Loop: Header=BB81_465 Depth=1
	s_andn2_saveexec_b64 s[20:21], s[20:21]
	s_cbranch_execz .LBB81_473
; %bb.472:                              ;   in Loop: Header=BB81_465 Depth=1
	v_mul_lo_u32 v17, v16, s30
	v_mul_lo_u32 v18, v15, s31
	v_mad_u64_u32 v[15:16], s[20:21], v15, s30, 0
	v_add3_u32 v16, v16, v18, v17
	v_lshlrev_b64 v[15:16], 4, v[15:16]
	v_mov_b32_e32 v17, s25
	v_add_co_u32_e32 v15, vcc, s24, v15
	v_addc_co_u32_e32 v16, vcc, v17, v16, vcc
	global_load_dwordx4 v[15:18], v[15:16], off
	s_waitcnt vmcnt(0)
	ds_write2_b64 v24, v[15:16], v[17:18] offset1:1
.LBB81_473:                             ;   in Loop: Header=BB81_465 Depth=1
	s_or_b64 exec, exec, s[10:11]
	v_add_u32_e32 v17, s27, v1
	v_ashrrev_i32_e32 v18, 31, v17
	v_lshlrev_b64 v[15:16], 4, v[17:18]
	s_cmp_lg_u32 s26, s1
	v_add_co_u32_e32 v15, vcc, v26, v15
	s_cselect_b64 s[10:11], -1, 0
	v_addc_co_u32_e32 v16, vcc, v27, v16, vcc
	v_cmp_gt_i32_e32 vcc, s40, v17
	v_cndmask_b32_e64 v18, 0, 1, s[10:11]
	s_and_b64 s[26:27], vcc, s[8:9]
	v_cmp_ne_u32_e64 s[10:11], 1, v18
	s_waitcnt lgkmcnt(0)
	s_barrier
	s_and_saveexec_b64 s[20:21], s[26:27]
	s_cbranch_execz .LBB81_479
; %bb.474:                              ;   in Loop: Header=BB81_465 Depth=1
	v_mov_b32_e32 v19, v7
	s_and_b64 vcc, exec, s[10:11]
	v_mov_b32_e32 v18, v6
	s_cbranch_vccnz .LBB81_476
; %bb.475:                              ;   in Loop: Header=BB81_465 Depth=1
	global_load_dwordx2 v[18:19], v[15:16], off
.LBB81_476:                             ;   in Loop: Header=BB81_465 Depth=1
	v_mov_b32_e32 v21, v9
	s_and_b64 vcc, exec, s[10:11]
	v_mov_b32_e32 v20, v8
	s_cbranch_vccnz .LBB81_478
; %bb.477:                              ;   in Loop: Header=BB81_465 Depth=1
	global_load_dwordx2 v[20:21], v[15:16], off offset:8
.LBB81_478:                             ;   in Loop: Header=BB81_465 Depth=1
	ds_read_b128 v[29:32], v25
	s_waitcnt vmcnt(0) lgkmcnt(0)
	v_mul_f64 v[33:34], v[20:21], v[31:32]
	v_mul_f64 v[20:21], v[20:21], v[29:30]
	v_fma_f64 v[29:30], v[18:19], v[29:30], v[33:34]
	v_fma_f64 v[18:19], v[18:19], v[31:32], -v[20:21]
	v_add_f64 v[10:11], v[10:11], v[29:30]
	v_add_f64 v[12:13], v[12:13], v[18:19]
.LBB81_479:                             ;   in Loop: Header=BB81_465 Depth=1
	s_or_b64 exec, exec, s[20:21]
	v_add_u32_e32 v17, 16, v17
	v_cmp_gt_i32_e32 vcc, s40, v17
	s_and_b64 s[26:27], vcc, s[8:9]
	s_and_saveexec_b64 s[20:21], s[26:27]
	s_cbranch_execz .LBB81_464
; %bb.480:                              ;   in Loop: Header=BB81_465 Depth=1
	v_mov_b32_e32 v18, v3
	s_and_b64 vcc, exec, s[10:11]
	v_mov_b32_e32 v17, v2
	s_cbranch_vccnz .LBB81_482
; %bb.481:                              ;   in Loop: Header=BB81_465 Depth=1
	global_load_dwordx2 v[17:18], v[15:16], off offset:256
.LBB81_482:                             ;   in Loop: Header=BB81_465 Depth=1
	v_mov_b32_e32 v20, v5
	s_and_b64 vcc, exec, s[10:11]
	v_mov_b32_e32 v19, v4
	s_cbranch_vccnz .LBB81_463
; %bb.483:                              ;   in Loop: Header=BB81_465 Depth=1
	global_load_dwordx2 v[19:20], v[15:16], off offset:264
	s_branch .LBB81_463
.LBB81_484:
	s_xor_b64 s[4:5], s[22:23], -1
	v_lshlrev_b32_e32 v6, 4, v22
	ds_write_b128 v6, v[10:13] offset:16384
	s_waitcnt lgkmcnt(0)
	s_barrier
	s_and_saveexec_b64 s[6:7], s[2:3]
	s_cbranch_execz .LBB81_486
; %bb.485:
	v_lshlrev_b32_e32 v18, 4, v0
	ds_read_b128 v[2:5], v18 offset:16896
	ds_read_b128 v[14:17], v18 offset:17408
	s_waitcnt lgkmcnt(1)
	v_add_f64 v[2:3], v[10:11], v[2:3]
	v_add_f64 v[4:5], v[12:13], v[4:5]
	s_waitcnt lgkmcnt(0)
	v_add_f64 v[11:12], v[2:3], v[14:15]
	v_add_f64 v[13:14], v[4:5], v[16:17]
	ds_read_b128 v[2:5], v18 offset:17920
	ds_read_b128 v[7:10], v18 offset:18432
	s_waitcnt lgkmcnt(1)
	v_add_f64 v[2:3], v[11:12], v[2:3]
	v_add_f64 v[4:5], v[13:14], v[4:5]
	s_waitcnt lgkmcnt(0)
	v_add_f64 v[11:12], v[2:3], v[7:8]
	v_add_f64 v[13:14], v[4:5], v[9:10]
	;; [unrolled: 8-line block ×7, first 2 shown]
	ds_read_b128 v[2:5], v18 offset:24064
	s_waitcnt lgkmcnt(0)
	v_add_f64 v[2:3], v[7:8], v[2:3]
	v_add_f64 v[4:5], v[9:10], v[4:5]
	v_xor_b32_e32 v3, 0x80000000, v3
	v_xor_b32_e32 v5, 0x80000000, v5
	v_cndmask_b32_e64 v10, v2, 0, s[16:17]
	v_cndmask_b32_e64 v11, v3, 0, s[16:17]
	;; [unrolled: 1-line block ×4, first 2 shown]
.LBB81_486:
	s_or_b64 exec, exec, s[6:7]
	s_and_b64 vcc, exec, s[42:43]
	s_cbranch_vccnz .LBB81_495
; %bb.487:
	v_mov_b32_e32 v2, 0x6000
	v_lshl_or_b32 v7, v1, 4, v2
	s_and_saveexec_b64 s[0:1], s[2:3]
; %bb.488:
	v_lshl_add_u32 v2, v0, 4, v7
	ds_write_b128 v2, v[10:13]
; %bb.489:
	s_or_b64 exec, exec, s[0:1]
	v_mov_b32_e32 v2, 0
	v_mov_b32_e32 v4, 0
	;; [unrolled: 1-line block ×4, first 2 shown]
	v_cmp_le_u32_e32 vcc, v0, v1
	s_waitcnt lgkmcnt(0)
	s_barrier
	s_and_saveexec_b64 s[0:1], vcc
	s_cbranch_execz .LBB81_491
; %bb.490:
	ds_read_b128 v[2:5], v7
	ds_read_b128 v[14:17], v6
	s_waitcnt lgkmcnt(0)
	v_mul_f64 v[8:9], v[4:5], v[16:17]
	v_mul_f64 v[16:17], v[2:3], v[16:17]
	v_fma_f64 v[2:3], v[2:3], v[14:15], -v[8:9]
	v_fma_f64 v[4:5], v[4:5], v[14:15], v[16:17]
	v_add_f64 v[2:3], v[2:3], 0
	v_add_f64 v[4:5], v[4:5], 0
.LBB81_491:
	s_or_b64 exec, exec, s[0:1]
	v_add_u32_e32 v1, 16, v1
	v_add_u32_e32 v8, 0x4000, v6
	v_cmp_le_u32_e32 vcc, v0, v1
	s_and_saveexec_b64 s[0:1], vcc
	s_cbranch_execz .LBB81_493
; %bb.492:
	ds_read_b128 v[14:17], v7 offset:256
	ds_read_b128 v[18:21], v6 offset:8192
	s_waitcnt lgkmcnt(0)
	v_mul_f64 v[6:7], v[16:17], v[20:21]
	v_mul_f64 v[20:21], v[14:15], v[20:21]
	v_fma_f64 v[6:7], v[14:15], v[18:19], -v[6:7]
	v_fma_f64 v[14:15], v[16:17], v[18:19], v[20:21]
	v_add_f64 v[2:3], v[2:3], v[6:7]
	v_add_f64 v[4:5], v[4:5], v[14:15]
.LBB81_493:
	s_or_b64 exec, exec, s[0:1]
	s_mov_b64 s[6:7], 0
	s_mov_b64 s[0:1], 0
	ds_write_b128 v8, v[2:5]
	s_waitcnt lgkmcnt(0)
	s_barrier
                                        ; implicit-def: $vgpr6_vgpr7
                                        ; implicit-def: $vgpr8_vgpr9
	s_and_saveexec_b64 s[8:9], s[2:3]
	s_cbranch_execz .LBB81_513
; %bb.494:
	v_lshlrev_b32_e32 v18, 4, v0
	ds_read_b128 v[6:9], v18 offset:16896
	ds_read_b128 v[14:17], v18 offset:17408
	s_mov_b64 s[0:1], exec
	s_waitcnt lgkmcnt(1)
	v_add_f64 v[1:2], v[2:3], v[6:7]
	v_add_f64 v[3:4], v[4:5], v[8:9]
	s_waitcnt lgkmcnt(0)
	v_add_f64 v[14:15], v[1:2], v[14:15]
	v_add_f64 v[16:17], v[3:4], v[16:17]
	ds_read_b128 v[1:4], v18 offset:17920
	ds_read_b128 v[5:8], v18 offset:18432
	s_waitcnt lgkmcnt(1)
	v_add_f64 v[1:2], v[14:15], v[1:2]
	v_add_f64 v[3:4], v[16:17], v[3:4]
	s_waitcnt lgkmcnt(0)
	v_add_f64 v[14:15], v[1:2], v[5:6]
	v_add_f64 v[16:17], v[3:4], v[7:8]
	ds_read_b128 v[1:4], v18 offset:18944
	ds_read_b128 v[5:8], v18 offset:19456
	;; [unrolled: 8-line block ×6, first 2 shown]
	s_waitcnt lgkmcnt(1)
	v_add_f64 v[1:2], v[14:15], v[1:2]
	v_add_f64 v[3:4], v[16:17], v[3:4]
	s_waitcnt lgkmcnt(0)
	v_add_f64 v[5:6], v[1:2], v[5:6]
	v_add_f64 v[14:15], v[3:4], v[7:8]
	ds_read_b128 v[1:4], v18 offset:24064
	s_waitcnt lgkmcnt(0)
	v_add_f64 v[8:9], v[5:6], v[1:2]
	v_add_f64 v[6:7], v[14:15], v[3:4]
	s_or_b64 exec, exec, s[8:9]
	s_and_b64 vcc, exec, s[6:7]
	s_cbranch_vccnz .LBB81_496
	s_branch .LBB81_514
.LBB81_495:
	s_mov_b64 s[0:1], 0
                                        ; implicit-def: $vgpr6_vgpr7
                                        ; implicit-def: $vgpr8_vgpr9
	s_cbranch_execz .LBB81_514
.LBB81_496:
	v_mov_b32_e32 v1, 0x3c00
	v_lshl_add_u32 v1, v0, 4, v1
	v_mov_b32_e32 v3, 31
	v_mov_b32_e32 v2, 0
	s_branch .LBB81_498
.LBB81_497:                             ;   in Loop: Header=BB81_498 Depth=1
	s_or_b64 exec, exec, s[6:7]
	v_subrev_co_u32_e32 v3, vcc, 1, v3
	s_andn2_b64 vcc, exec, vcc
	v_add_u32_e32 v1, 0xfffffc00, v1
	s_barrier
	s_cbranch_vccz .LBB81_506
.LBB81_498:                             ; =>This Inner Loop Header: Depth=1
	v_cmp_eq_u32_e32 vcc, v0, v3
	s_and_b64 s[8:9], s[2:3], vcc
	s_and_saveexec_b64 s[6:7], s[8:9]
; %bb.499:                              ;   in Loop: Header=BB81_498 Depth=1
	ds_write_b128 v2, v[10:13] offset:25088
; %bb.500:                              ;   in Loop: Header=BB81_498 Depth=1
	s_or_b64 exec, exec, s[6:7]
	v_cmp_lt_u32_e32 vcc, v0, v3
	s_and_b64 s[8:9], s[2:3], vcc
	s_waitcnt lgkmcnt(0)
	s_barrier
	s_and_saveexec_b64 s[6:7], s[8:9]
	s_cbranch_execz .LBB81_502
; %bb.501:                              ;   in Loop: Header=BB81_498 Depth=1
	ds_read_b128 v[4:7], v2 offset:25088
	ds_read_b128 v[14:17], v1 offset:512
	s_waitcnt lgkmcnt(0)
	v_mul_f64 v[8:9], v[6:7], v[16:17]
	v_mul_f64 v[16:17], v[4:5], v[16:17]
	v_fma_f64 v[4:5], v[4:5], v[14:15], -v[8:9]
	v_fma_f64 v[6:7], v[6:7], v[14:15], v[16:17]
	v_add_f64 v[10:11], v[10:11], v[4:5]
	v_add_f64 v[12:13], v[12:13], v[6:7]
.LBB81_502:                             ;   in Loop: Header=BB81_498 Depth=1
	s_or_b64 exec, exec, s[6:7]
	v_add_u32_e32 v3, -1, v3
	v_cmp_eq_u32_e32 vcc, v0, v3
	s_and_b64 s[8:9], s[2:3], vcc
	s_barrier
	s_and_saveexec_b64 s[6:7], s[8:9]
; %bb.503:                              ;   in Loop: Header=BB81_498 Depth=1
	ds_write_b128 v2, v[10:13] offset:25088
; %bb.504:                              ;   in Loop: Header=BB81_498 Depth=1
	s_or_b64 exec, exec, s[6:7]
	v_cmp_lt_u32_e32 vcc, v0, v3
	s_and_b64 s[8:9], s[2:3], vcc
	s_waitcnt lgkmcnt(0)
	s_barrier
	s_and_saveexec_b64 s[6:7], s[8:9]
	s_cbranch_execz .LBB81_497
; %bb.505:                              ;   in Loop: Header=BB81_498 Depth=1
	ds_read_b128 v[4:7], v2 offset:25088
	ds_read_b128 v[14:17], v1
	s_waitcnt lgkmcnt(0)
	v_mul_f64 v[8:9], v[6:7], v[16:17]
	v_mul_f64 v[16:17], v[4:5], v[16:17]
	v_fma_f64 v[4:5], v[4:5], v[14:15], -v[8:9]
	v_fma_f64 v[6:7], v[6:7], v[14:15], v[16:17]
	v_add_f64 v[10:11], v[10:11], v[4:5]
	v_add_f64 v[12:13], v[12:13], v[6:7]
	s_branch .LBB81_497
.LBB81_506:
	s_mov_b64 s[6:7], -1
	s_and_b64 vcc, exec, s[4:5]
	s_cbranch_vccnz .LBB81_515
; %bb.507:
	s_andn2_b64 vcc, exec, s[6:7]
	s_cbranch_vccz .LBB81_516
.LBB81_508:
	s_and_saveexec_b64 s[2:3], s[0:1]
	s_cbranch_execz .LBB81_510
.LBB81_509:
	s_lshl_b32 s0, s33, 5
	s_ashr_i32 s1, s0, 31
	v_mov_b32_e32 v0, s1
	v_add_co_u32_e32 v1, vcc, s0, v23
	v_addc_co_u32_e32 v0, vcc, 0, v0, vcc
	v_mul_lo_u32 v2, v0, s30
	v_mul_lo_u32 v3, v1, s31
	v_mad_u64_u32 v[0:1], s[0:1], v1, s30, 0
	v_add3_u32 v1, v1, v3, v2
	v_lshlrev_b64 v[0:1], 4, v[0:1]
	v_mov_b32_e32 v2, s25
	v_add_co_u32_e32 v0, vcc, s24, v0
	v_addc_co_u32_e32 v1, vcc, v2, v1, vcc
	global_store_dwordx4 v[0:1], v[10:13], off
.LBB81_510:
	s_or_b64 exec, exec, s[2:3]
	v_cmp_eq_u32_e32 vcc, 0, v23
	s_waitcnt vmcnt(0)
	buffer_wbinvl1_vol
	s_barrier
	s_and_saveexec_b64 s[0:1], vcc
	s_cbranch_execz .LBB81_512
; %bb.511:
	s_lshl_b64 s[2:3], s[34:35], 2
	s_add_u32 s2, s14, s2
	s_addc_u32 s3, s15, s3
	v_mov_b32_e32 v0, 0
	global_load_dword v1, v0, s[2:3]
	s_waitcnt vmcnt(0)
	v_add_u32_e32 v1, 1, v1
	global_store_dword v0, v1, s[2:3]
.LBB81_512:
	s_or_b64 exec, exec, s[0:1]
	s_waitcnt vmcnt(0)
	buffer_wbinvl1_vol
	s_endpgm
.LBB81_513:
	s_or_b64 exec, exec, s[8:9]
	s_and_b64 vcc, exec, s[6:7]
	s_cbranch_vccnz .LBB81_496
.LBB81_514:
	v_mov_b32_e32 v13, v7
	v_mov_b32_e32 v11, v9
	;; [unrolled: 1-line block ×4, first 2 shown]
	s_and_saveexec_b64 s[2:3], s[0:1]
	s_cbranch_execnz .LBB81_509
	s_branch .LBB81_510
.LBB81_515:
	s_andn2_b64 s[0:1], s[0:1], exec
	s_and_b64 s[4:5], s[2:3], exec
	s_or_b64 s[0:1], s[0:1], s[4:5]
	s_cbranch_execnz .LBB81_508
.LBB81_516:
	v_cmp_gt_i32_e32 vcc, s94, v0
	s_and_b64 s[2:3], s[2:3], vcc
	s_andn2_b64 s[0:1], s[0:1], exec
	s_and_b64 s[2:3], s[2:3], exec
	s_or_b64 s[0:1], s[0:1], s[2:3]
	s_and_saveexec_b64 s[2:3], s[0:1]
	s_cbranch_execnz .LBB81_509
	s_branch .LBB81_510
.LBB81_517:
	v_lshlrev_b32_e32 v23, 4, v21
	v_sub_u32_e32 v23, v19, v23
	v_lshl_add_u32 v27, v20, 4, v23
	ds_read_b128 v[23:26], v19 offset:16
	ds_read_b128 v[27:30], v27 offset:576
	s_waitcnt lgkmcnt(0)
	v_mul_f64 v[31:32], v[25:26], v[29:30]
	v_mul_f64 v[29:30], v[23:24], v[29:30]
	v_fma_f64 v[23:24], v[23:24], v[27:28], -v[31:32]
	v_fma_f64 v[25:26], v[25:26], v[27:28], v[29:30]
	v_add_f64 v[10:11], v[10:11], v[23:24]
	v_add_f64 v[12:13], v[12:13], v[25:26]
	s_or_b64 exec, exec, s[18:19]
	v_cmp_gt_u32_e64 s[12:13], 8, v22
	s_and_saveexec_b64 s[18:19], s[12:13]
	s_cbranch_execz .LBB81_57
.LBB81_518:
	ds_read_b128 v[23:26], v19 offset:32
	ds_read_b128 v[27:30], v17 offset:1088
	s_waitcnt lgkmcnt(0)
	v_mul_f64 v[31:32], v[25:26], v[29:30]
	v_mul_f64 v[29:30], v[23:24], v[29:30]
	v_fma_f64 v[23:24], v[23:24], v[27:28], -v[31:32]
	v_fma_f64 v[25:26], v[25:26], v[27:28], v[29:30]
	v_add_f64 v[10:11], v[10:11], v[23:24]
	v_add_f64 v[12:13], v[12:13], v[25:26]
	s_or_b64 exec, exec, s[18:19]
	v_cmp_gt_u32_e64 s[12:13], 4, v22
	s_and_saveexec_b64 s[18:19], s[12:13]
	s_cbranch_execnz .LBB81_58
	s_branch .LBB81_59
.LBB81_519:
	v_lshlrev_b32_e32 v28, 4, v27
	v_sub_u32_e32 v28, v25, v28
	v_lshl_add_u32 v32, v26, 4, v28
	ds_read_b128 v[28:31], v25 offset:16
	ds_read_b128 v[32:35], v32 offset:640
	s_waitcnt lgkmcnt(0)
	v_mul_f64 v[36:37], v[30:31], v[34:35]
	v_mul_f64 v[34:35], v[28:29], v[34:35]
	v_fma_f64 v[28:29], v[28:29], v[32:33], -v[36:37]
	v_fma_f64 v[30:31], v[30:31], v[32:33], v[34:35]
	v_add_f64 v[10:11], v[10:11], v[28:29]
	v_add_f64 v[12:13], v[12:13], v[30:31]
	s_or_b64 exec, exec, s[60:61]
	v_cmp_gt_u32_e64 s[14:15], 48, v22
	s_and_saveexec_b64 s[60:61], s[14:15]
	s_cbranch_execz .LBB81_99
.LBB81_520:
	v_lshlrev_b32_e32 v28, 4, v27
	v_sub_u32_e32 v28, v25, v28
	v_lshl_add_u32 v32, v26, 4, v28
	ds_read_b128 v[28:31], v25 offset:32
	ds_read_b128 v[32:35], v32 offset:1152
	s_waitcnt lgkmcnt(0)
	v_mul_f64 v[36:37], v[30:31], v[34:35]
	v_mul_f64 v[34:35], v[28:29], v[34:35]
	v_fma_f64 v[28:29], v[28:29], v[32:33], -v[36:37]
	v_fma_f64 v[30:31], v[30:31], v[32:33], v[34:35]
	v_add_f64 v[10:11], v[10:11], v[28:29]
	v_add_f64 v[12:13], v[12:13], v[30:31]
	s_or_b64 exec, exec, s[60:61]
	v_cmp_gt_u32_e64 s[14:15], 40, v22
	s_and_saveexec_b64 s[60:61], s[14:15]
	s_cbranch_execz .LBB81_100
.LBB81_521:
	v_lshlrev_b32_e32 v28, 4, v27
	v_sub_u32_e32 v28, v25, v28
	v_lshl_add_u32 v32, v26, 4, v28
	ds_read_b128 v[28:31], v25 offset:48
	ds_read_b128 v[32:35], v32 offset:1664
	s_waitcnt lgkmcnt(0)
	v_mul_f64 v[36:37], v[30:31], v[34:35]
	v_mul_f64 v[34:35], v[28:29], v[34:35]
	v_fma_f64 v[28:29], v[28:29], v[32:33], -v[36:37]
	v_fma_f64 v[30:31], v[30:31], v[32:33], v[34:35]
	v_add_f64 v[10:11], v[10:11], v[28:29]
	v_add_f64 v[12:13], v[12:13], v[30:31]
	s_or_b64 exec, exec, s[60:61]
	v_cmp_gt_u32_e64 s[14:15], 32, v22
	s_and_saveexec_b64 s[60:61], s[14:15]
	s_cbranch_execz .LBB81_101
.LBB81_522:
	ds_read_b128 v[28:31], v25 offset:64
	ds_read_b128 v[32:35], v23 offset:2176
	s_waitcnt lgkmcnt(0)
	v_mul_f64 v[36:37], v[30:31], v[34:35]
	v_mul_f64 v[34:35], v[28:29], v[34:35]
	v_fma_f64 v[28:29], v[28:29], v[32:33], -v[36:37]
	v_fma_f64 v[30:31], v[30:31], v[32:33], v[34:35]
	v_add_f64 v[10:11], v[10:11], v[28:29]
	v_add_f64 v[12:13], v[12:13], v[30:31]
	s_or_b64 exec, exec, s[60:61]
	v_cmp_gt_u32_e64 s[14:15], 24, v22
	s_and_saveexec_b64 s[60:61], s[14:15]
	s_cbranch_execz .LBB81_102
.LBB81_523:
	v_lshlrev_b32_e32 v28, 4, v27
	v_sub_u32_e32 v28, v25, v28
	v_lshl_add_u32 v32, v26, 4, v28
	ds_read_b128 v[28:31], v25 offset:80
	ds_read_b128 v[32:35], v32 offset:2688
	s_waitcnt lgkmcnt(0)
	v_mul_f64 v[36:37], v[30:31], v[34:35]
	v_mul_f64 v[34:35], v[28:29], v[34:35]
	v_fma_f64 v[28:29], v[28:29], v[32:33], -v[36:37]
	v_fma_f64 v[30:31], v[30:31], v[32:33], v[34:35]
	v_add_f64 v[10:11], v[10:11], v[28:29]
	v_add_f64 v[12:13], v[12:13], v[30:31]
	s_or_b64 exec, exec, s[60:61]
	v_cmp_gt_u32_e64 s[14:15], 16, v22
	s_and_saveexec_b64 s[60:61], s[14:15]
	s_cbranch_execz .LBB81_103
.LBB81_524:
	ds_read_b128 v[28:31], v25 offset:96
	ds_read_b128 v[32:35], v23 offset:3200
	s_waitcnt lgkmcnt(0)
	v_mul_f64 v[36:37], v[30:31], v[34:35]
	v_mul_f64 v[34:35], v[28:29], v[34:35]
	v_fma_f64 v[28:29], v[28:29], v[32:33], -v[36:37]
	v_fma_f64 v[30:31], v[30:31], v[32:33], v[34:35]
	v_add_f64 v[10:11], v[10:11], v[28:29]
	v_add_f64 v[12:13], v[12:13], v[30:31]
	s_or_b64 exec, exec, s[60:61]
	v_cmp_gt_u32_e64 s[14:15], 8, v22
	s_and_saveexec_b64 s[60:61], s[14:15]
	s_cbranch_execnz .LBB81_104
	s_branch .LBB81_105
.LBB81_525:
	v_lshlrev_b32_e32 v29, 4, v21
	v_sub_u32_e32 v29, v28, v29
	v_lshl_add_u32 v33, v20, 4, v29
	ds_read_b128 v[29:32], v28 offset:4240
	ds_read_b128 v[33:36], v33 offset:4800
	s_waitcnt lgkmcnt(0)
	v_mul_f64 v[37:38], v[31:32], v[35:36]
	v_mul_f64 v[35:36], v[29:30], v[35:36]
	v_fma_f64 v[29:30], v[29:30], v[33:34], -v[37:38]
	v_fma_f64 v[31:32], v[31:32], v[33:34], v[35:36]
	v_add_f64 v[10:11], v[10:11], v[29:30]
	v_add_f64 v[12:13], v[12:13], v[31:32]
	s_or_b64 exec, exec, s[18:19]
	v_cmp_gt_u32_e64 s[12:13], 8, v22
	s_and_saveexec_b64 s[18:19], s[12:13]
	s_cbranch_execz .LBB81_161
.LBB81_526:
	ds_read_b128 v[28:31], v28 offset:4256
	ds_read_b128 v[32:35], v17 offset:5312
	s_waitcnt lgkmcnt(0)
	v_mul_f64 v[36:37], v[30:31], v[34:35]
	v_mul_f64 v[34:35], v[28:29], v[34:35]
	v_fma_f64 v[28:29], v[28:29], v[32:33], -v[36:37]
	v_fma_f64 v[30:31], v[30:31], v[32:33], v[34:35]
	v_add_f64 v[10:11], v[10:11], v[28:29]
	v_add_f64 v[12:13], v[12:13], v[30:31]
	s_or_b64 exec, exec, s[18:19]
	v_cmp_gt_u32_e64 s[12:13], 4, v22
	s_and_saveexec_b64 s[18:19], s[12:13]
	s_cbranch_execnz .LBB81_162
	s_branch .LBB81_163
.LBB81_527:
	ds_read_b128 v[33:36], v32 offset:176
	ds_read_b128 v[37:40], v28 offset:5888
	s_waitcnt lgkmcnt(0)
	v_mul_f64 v[41:42], v[35:36], v[39:40]
	v_mul_f64 v[39:40], v[33:34], v[39:40]
	v_fma_f64 v[33:34], v[33:34], v[37:38], -v[41:42]
	v_fma_f64 v[35:36], v[35:36], v[37:38], v[39:40]
	v_add_f64 v[10:11], v[10:11], v[33:34]
	v_add_f64 v[12:13], v[12:13], v[35:36]
	s_or_b64 exec, exec, s[92:93]
	v_cmp_gt_u32_e64 s[18:19], 64, v22
	s_and_saveexec_b64 s[92:93], s[18:19]
	s_cbranch_execz .LBB81_223
.LBB81_528:
	ds_read_b128 v[33:36], v32 offset:192
	ds_read_b128 v[37:40], v28 offset:6400
	s_waitcnt lgkmcnt(0)
	v_mul_f64 v[41:42], v[35:36], v[39:40]
	v_mul_f64 v[39:40], v[33:34], v[39:40]
	v_fma_f64 v[33:34], v[33:34], v[37:38], -v[41:42]
	v_fma_f64 v[35:36], v[35:36], v[37:38], v[39:40]
	v_add_f64 v[10:11], v[10:11], v[33:34]
	v_add_f64 v[12:13], v[12:13], v[35:36]
	s_or_b64 exec, exec, s[92:93]
	v_cmp_gt_u32_e64 s[18:19], 48, v22
	s_and_saveexec_b64 s[92:93], s[18:19]
	s_cbranch_execz .LBB81_224
.LBB81_529:
	ds_read_b128 v[33:36], v32 offset:208
	ds_read_b128 v[37:40], v28 offset:6912
	s_waitcnt lgkmcnt(0)
	v_mul_f64 v[41:42], v[35:36], v[39:40]
	v_mul_f64 v[39:40], v[33:34], v[39:40]
	v_fma_f64 v[33:34], v[33:34], v[37:38], -v[41:42]
	v_fma_f64 v[35:36], v[35:36], v[37:38], v[39:40]
	v_add_f64 v[10:11], v[10:11], v[33:34]
	v_add_f64 v[12:13], v[12:13], v[35:36]
	s_or_b64 exec, exec, s[92:93]
	v_cmp_gt_u32_e64 s[18:19], 32, v22
	s_and_saveexec_b64 s[92:93], s[18:19]
	s_cbranch_execz .LBB81_225
.LBB81_530:
	ds_read_b128 v[32:35], v32 offset:224
	ds_read_b128 v[36:39], v28 offset:7424
	s_waitcnt lgkmcnt(0)
	v_mul_f64 v[40:41], v[34:35], v[38:39]
	v_mul_f64 v[38:39], v[32:33], v[38:39]
	v_fma_f64 v[32:33], v[32:33], v[36:37], -v[40:41]
	v_fma_f64 v[34:35], v[34:35], v[36:37], v[38:39]
	v_add_f64 v[10:11], v[10:11], v[32:33]
	v_add_f64 v[12:13], v[12:13], v[34:35]
	s_or_b64 exec, exec, s[92:93]
	v_cmp_gt_u32_e64 s[18:19], 16, v22
	s_and_saveexec_b64 s[92:93], s[18:19]
	s_cbranch_execnz .LBB81_226
	s_branch .LBB81_227
.LBB81_531:
	v_lshlrev_b32_e32 v29, 4, v21
	v_sub_u32_e32 v29, v28, v29
	v_lshl_add_u32 v33, v20, 4, v29
	ds_read_b128 v[29:32], v28 offset:8464
	ds_read_b128 v[33:36], v33 offset:9024
	s_waitcnt lgkmcnt(0)
	v_mul_f64 v[37:38], v[31:32], v[35:36]
	v_mul_f64 v[35:36], v[29:30], v[35:36]
	v_fma_f64 v[29:30], v[29:30], v[33:34], -v[37:38]
	v_fma_f64 v[31:32], v[31:32], v[33:34], v[35:36]
	v_add_f64 v[10:11], v[10:11], v[29:30]
	v_add_f64 v[12:13], v[12:13], v[31:32]
	s_or_b64 exec, exec, s[14:15]
	v_cmp_gt_u32_e64 s[10:11], 8, v22
	s_and_saveexec_b64 s[14:15], s[10:11]
	s_cbranch_execz .LBB81_315
.LBB81_532:
	ds_read_b128 v[28:31], v28 offset:8480
	ds_read_b128 v[32:35], v17 offset:9536
	s_waitcnt lgkmcnt(0)
	v_mul_f64 v[36:37], v[30:31], v[34:35]
	v_mul_f64 v[34:35], v[28:29], v[34:35]
	v_fma_f64 v[28:29], v[28:29], v[32:33], -v[36:37]
	v_fma_f64 v[30:31], v[30:31], v[32:33], v[34:35]
	v_add_f64 v[10:11], v[10:11], v[28:29]
	v_add_f64 v[12:13], v[12:13], v[30:31]
	s_or_b64 exec, exec, s[14:15]
	v_cmp_gt_u32_e64 s[10:11], 4, v22
	s_and_saveexec_b64 s[14:15], s[10:11]
	s_cbranch_execnz .LBB81_316
	s_branch .LBB81_317
.LBB81_533:
	v_lshlrev_b32_e32 v29, 4, v27
	v_sub_u32_e32 v29, v28, v29
	v_lshl_add_u32 v33, v26, 4, v29
	ds_read_b128 v[29:32], v28 offset:8464
	ds_read_b128 v[33:36], v33 offset:9088
	s_waitcnt lgkmcnt(0)
	v_mul_f64 v[37:38], v[31:32], v[35:36]
	v_mul_f64 v[35:36], v[29:30], v[35:36]
	v_fma_f64 v[29:30], v[29:30], v[33:34], -v[37:38]
	v_fma_f64 v[31:32], v[31:32], v[33:34], v[35:36]
	v_add_f64 v[10:11], v[10:11], v[29:30]
	v_add_f64 v[12:13], v[12:13], v[31:32]
	s_or_b64 exec, exec, s[14:15]
	v_cmp_gt_u32_e64 s[10:11], 48, v22
	s_and_saveexec_b64 s[14:15], s[10:11]
	s_cbranch_execz .LBB81_357
.LBB81_534:
	v_lshlrev_b32_e32 v29, 4, v27
	v_sub_u32_e32 v29, v28, v29
	v_lshl_add_u32 v33, v26, 4, v29
	ds_read_b128 v[29:32], v28 offset:8480
	ds_read_b128 v[33:36], v33 offset:9600
	s_waitcnt lgkmcnt(0)
	v_mul_f64 v[37:38], v[31:32], v[35:36]
	v_mul_f64 v[35:36], v[29:30], v[35:36]
	v_fma_f64 v[29:30], v[29:30], v[33:34], -v[37:38]
	v_fma_f64 v[31:32], v[31:32], v[33:34], v[35:36]
	v_add_f64 v[10:11], v[10:11], v[29:30]
	v_add_f64 v[12:13], v[12:13], v[31:32]
	s_or_b64 exec, exec, s[14:15]
	v_cmp_gt_u32_e64 s[10:11], 40, v22
	s_and_saveexec_b64 s[14:15], s[10:11]
	s_cbranch_execz .LBB81_358
.LBB81_535:
	v_lshlrev_b32_e32 v29, 4, v27
	v_sub_u32_e32 v29, v28, v29
	v_lshl_add_u32 v33, v26, 4, v29
	ds_read_b128 v[29:32], v28 offset:8496
	ds_read_b128 v[33:36], v33 offset:10112
	s_waitcnt lgkmcnt(0)
	v_mul_f64 v[37:38], v[31:32], v[35:36]
	v_mul_f64 v[35:36], v[29:30], v[35:36]
	v_fma_f64 v[29:30], v[29:30], v[33:34], -v[37:38]
	v_fma_f64 v[31:32], v[31:32], v[33:34], v[35:36]
	v_add_f64 v[10:11], v[10:11], v[29:30]
	v_add_f64 v[12:13], v[12:13], v[31:32]
	s_or_b64 exec, exec, s[14:15]
	v_cmp_gt_u32_e64 s[10:11], 32, v22
	s_and_saveexec_b64 s[14:15], s[10:11]
	s_cbranch_execz .LBB81_359
.LBB81_536:
	ds_read_b128 v[29:32], v28 offset:8512
	ds_read_b128 v[33:36], v23 offset:10624
	s_waitcnt lgkmcnt(0)
	v_mul_f64 v[37:38], v[31:32], v[35:36]
	v_mul_f64 v[35:36], v[29:30], v[35:36]
	v_fma_f64 v[29:30], v[29:30], v[33:34], -v[37:38]
	v_fma_f64 v[31:32], v[31:32], v[33:34], v[35:36]
	v_add_f64 v[10:11], v[10:11], v[29:30]
	v_add_f64 v[12:13], v[12:13], v[31:32]
	s_or_b64 exec, exec, s[14:15]
	v_cmp_gt_u32_e64 s[10:11], 24, v22
	s_and_saveexec_b64 s[14:15], s[10:11]
	s_cbranch_execz .LBB81_360
.LBB81_537:
	v_lshlrev_b32_e32 v27, 4, v27
	v_sub_u32_e32 v27, v28, v27
	v_lshl_add_u32 v26, v26, 4, v27
	ds_read_b128 v[29:32], v28 offset:8528
	ds_read_b128 v[33:36], v26 offset:11136
	s_waitcnt lgkmcnt(0)
	v_mul_f64 v[26:27], v[31:32], v[35:36]
	v_mul_f64 v[35:36], v[29:30], v[35:36]
	v_fma_f64 v[26:27], v[29:30], v[33:34], -v[26:27]
	v_fma_f64 v[29:30], v[31:32], v[33:34], v[35:36]
	v_add_f64 v[10:11], v[10:11], v[26:27]
	v_add_f64 v[12:13], v[12:13], v[29:30]
	s_or_b64 exec, exec, s[14:15]
	v_cmp_gt_u32_e64 s[10:11], 16, v22
	s_and_saveexec_b64 s[14:15], s[10:11]
	s_cbranch_execz .LBB81_361
.LBB81_538:
	ds_read_b128 v[26:29], v28 offset:8544
	ds_read_b128 v[30:33], v23 offset:11648
	s_waitcnt lgkmcnt(0)
	v_mul_f64 v[34:35], v[28:29], v[32:33]
	v_mul_f64 v[32:33], v[26:27], v[32:33]
	v_fma_f64 v[26:27], v[26:27], v[30:31], -v[34:35]
	v_fma_f64 v[28:29], v[28:29], v[30:31], v[32:33]
	v_add_f64 v[10:11], v[10:11], v[26:27]
	v_add_f64 v[12:13], v[12:13], v[28:29]
	s_or_b64 exec, exec, s[14:15]
	v_cmp_gt_u32_e64 s[10:11], 8, v22
	s_and_saveexec_b64 s[14:15], s[10:11]
	s_cbranch_execnz .LBB81_362
	s_branch .LBB81_363
.LBB81_539:
	v_lshlrev_b32_e32 v21, 4, v21
	v_sub_u32_e32 v21, v23, v21
	v_lshl_add_u32 v20, v20, 4, v21
	ds_read_b128 v[24:27], v23 offset:12688
	ds_read_b128 v[28:31], v20 offset:13248
	s_waitcnt lgkmcnt(0)
	v_mul_f64 v[20:21], v[26:27], v[30:31]
	v_mul_f64 v[30:31], v[24:25], v[30:31]
	v_fma_f64 v[20:21], v[24:25], v[28:29], -v[20:21]
	v_fma_f64 v[24:25], v[26:27], v[28:29], v[30:31]
	v_add_f64 v[10:11], v[10:11], v[20:21]
	v_add_f64 v[12:13], v[12:13], v[24:25]
	s_or_b64 exec, exec, s[12:13]
	v_cmp_gt_u32_e64 s[8:9], 8, v22
	s_and_saveexec_b64 s[12:13], s[8:9]
	s_cbranch_execz .LBB81_419
.LBB81_540:
	ds_read_b128 v[23:26], v23 offset:12704
	ds_read_b128 v[27:30], v17 offset:13760
	s_waitcnt lgkmcnt(0)
	v_mul_f64 v[20:21], v[25:26], v[29:30]
	v_mul_f64 v[29:30], v[23:24], v[29:30]
	v_fma_f64 v[20:21], v[23:24], v[27:28], -v[20:21]
	v_fma_f64 v[23:24], v[25:26], v[27:28], v[29:30]
	v_add_f64 v[10:11], v[10:11], v[20:21]
	v_add_f64 v[12:13], v[12:13], v[23:24]
	s_or_b64 exec, exec, s[12:13]
	v_cmp_gt_u32_e64 s[8:9], 4, v22
	s_and_saveexec_b64 s[12:13], s[8:9]
	s_cbranch_execnz .LBB81_420
	s_branch .LBB81_421
	.section	.rodata,"a",@progbits
	.p2align	6, 0x0
	.amdhsa_kernel _ZL19rocblas_trsv_deviceILi32ELi16ELb1ELb1ELb1ELb1E19rocblas_complex_numIdEPKS1_S3_PS1_EviT7_lllT6_T8_lllPii
		.amdhsa_group_segment_fixed_size 25104
		.amdhsa_private_segment_fixed_size 0
		.amdhsa_kernarg_size 352
		.amdhsa_user_sgpr_count 6
		.amdhsa_user_sgpr_private_segment_buffer 1
		.amdhsa_user_sgpr_dispatch_ptr 0
		.amdhsa_user_sgpr_queue_ptr 0
		.amdhsa_user_sgpr_kernarg_segment_ptr 1
		.amdhsa_user_sgpr_dispatch_id 0
		.amdhsa_user_sgpr_flat_scratch_init 0
		.amdhsa_user_sgpr_private_segment_size 0
		.amdhsa_uses_dynamic_stack 0
		.amdhsa_system_sgpr_private_segment_wavefront_offset 0
		.amdhsa_system_sgpr_workgroup_id_x 1
		.amdhsa_system_sgpr_workgroup_id_y 0
		.amdhsa_system_sgpr_workgroup_id_z 1
		.amdhsa_system_sgpr_workgroup_info 0
		.amdhsa_system_vgpr_workitem_id 1
		.amdhsa_next_free_vgpr 49
		.amdhsa_next_free_sgpr 98
		.amdhsa_reserve_vcc 1
		.amdhsa_reserve_flat_scratch 0
		.amdhsa_float_round_mode_32 0
		.amdhsa_float_round_mode_16_64 0
		.amdhsa_float_denorm_mode_32 3
		.amdhsa_float_denorm_mode_16_64 3
		.amdhsa_dx10_clamp 1
		.amdhsa_ieee_mode 1
		.amdhsa_fp16_overflow 0
		.amdhsa_exception_fp_ieee_invalid_op 0
		.amdhsa_exception_fp_denorm_src 0
		.amdhsa_exception_fp_ieee_div_zero 0
		.amdhsa_exception_fp_ieee_overflow 0
		.amdhsa_exception_fp_ieee_underflow 0
		.amdhsa_exception_fp_ieee_inexact 0
		.amdhsa_exception_int_div_zero 0
	.end_amdhsa_kernel
	.section	.text._ZL19rocblas_trsv_deviceILi32ELi16ELb1ELb1ELb1ELb1E19rocblas_complex_numIdEPKS1_S3_PS1_EviT7_lllT6_T8_lllPii,"axG",@progbits,_ZL19rocblas_trsv_deviceILi32ELi16ELb1ELb1ELb1ELb1E19rocblas_complex_numIdEPKS1_S3_PS1_EviT7_lllT6_T8_lllPii,comdat
.Lfunc_end81:
	.size	_ZL19rocblas_trsv_deviceILi32ELi16ELb1ELb1ELb1ELb1E19rocblas_complex_numIdEPKS1_S3_PS1_EviT7_lllT6_T8_lllPii, .Lfunc_end81-_ZL19rocblas_trsv_deviceILi32ELi16ELb1ELb1ELb1ELb1E19rocblas_complex_numIdEPKS1_S3_PS1_EviT7_lllT6_T8_lllPii
                                        ; -- End function
	.set _ZL19rocblas_trsv_deviceILi32ELi16ELb1ELb1ELb1ELb1E19rocblas_complex_numIdEPKS1_S3_PS1_EviT7_lllT6_T8_lllPii.num_vgpr, 44
	.set _ZL19rocblas_trsv_deviceILi32ELi16ELb1ELb1ELb1ELb1E19rocblas_complex_numIdEPKS1_S3_PS1_EviT7_lllT6_T8_lllPii.num_agpr, 0
	.set _ZL19rocblas_trsv_deviceILi32ELi16ELb1ELb1ELb1ELb1E19rocblas_complex_numIdEPKS1_S3_PS1_EviT7_lllT6_T8_lllPii.numbered_sgpr, 96
	.set _ZL19rocblas_trsv_deviceILi32ELi16ELb1ELb1ELb1ELb1E19rocblas_complex_numIdEPKS1_S3_PS1_EviT7_lllT6_T8_lllPii.num_named_barrier, 0
	.set _ZL19rocblas_trsv_deviceILi32ELi16ELb1ELb1ELb1ELb1E19rocblas_complex_numIdEPKS1_S3_PS1_EviT7_lllT6_T8_lllPii.private_seg_size, 0
	.set _ZL19rocblas_trsv_deviceILi32ELi16ELb1ELb1ELb1ELb1E19rocblas_complex_numIdEPKS1_S3_PS1_EviT7_lllT6_T8_lllPii.uses_vcc, 1
	.set _ZL19rocblas_trsv_deviceILi32ELi16ELb1ELb1ELb1ELb1E19rocblas_complex_numIdEPKS1_S3_PS1_EviT7_lllT6_T8_lllPii.uses_flat_scratch, 0
	.set _ZL19rocblas_trsv_deviceILi32ELi16ELb1ELb1ELb1ELb1E19rocblas_complex_numIdEPKS1_S3_PS1_EviT7_lllT6_T8_lllPii.has_dyn_sized_stack, 0
	.set _ZL19rocblas_trsv_deviceILi32ELi16ELb1ELb1ELb1ELb1E19rocblas_complex_numIdEPKS1_S3_PS1_EviT7_lllT6_T8_lllPii.has_recursion, 0
	.set _ZL19rocblas_trsv_deviceILi32ELi16ELb1ELb1ELb1ELb1E19rocblas_complex_numIdEPKS1_S3_PS1_EviT7_lllT6_T8_lllPii.has_indirect_call, 0
	.section	.AMDGPU.csdata,"",@progbits
; Kernel info:
; codeLenInByte = 21884
; TotalNumSgprs: 100
; NumVgprs: 44
; ScratchSize: 0
; MemoryBound: 1
; FloatMode: 240
; IeeeMode: 1
; LDSByteSize: 25104 bytes/workgroup (compile time only)
; SGPRBlocks: 12
; VGPRBlocks: 12
; NumSGPRsForWavesPerEU: 102
; NumVGPRsForWavesPerEU: 49
; Occupancy: 4
; WaveLimiterHint : 0
; COMPUTE_PGM_RSRC2:SCRATCH_EN: 0
; COMPUTE_PGM_RSRC2:USER_SGPR: 6
; COMPUTE_PGM_RSRC2:TRAP_HANDLER: 0
; COMPUTE_PGM_RSRC2:TGID_X_EN: 1
; COMPUTE_PGM_RSRC2:TGID_Y_EN: 0
; COMPUTE_PGM_RSRC2:TGID_Z_EN: 1
; COMPUTE_PGM_RSRC2:TIDIG_COMP_CNT: 1
	.section	.text._ZL19rocblas_trsv_deviceILi32ELi16ELb1ELb0ELb0ELb0E19rocblas_complex_numIdEPKS1_S3_PS1_EviT7_lllT6_T8_lllPii,"axG",@progbits,_ZL19rocblas_trsv_deviceILi32ELi16ELb1ELb0ELb0ELb0E19rocblas_complex_numIdEPKS1_S3_PS1_EviT7_lllT6_T8_lllPii,comdat
	.globl	_ZL19rocblas_trsv_deviceILi32ELi16ELb1ELb0ELb0ELb0E19rocblas_complex_numIdEPKS1_S3_PS1_EviT7_lllT6_T8_lllPii ; -- Begin function _ZL19rocblas_trsv_deviceILi32ELi16ELb1ELb0ELb0ELb0E19rocblas_complex_numIdEPKS1_S3_PS1_EviT7_lllT6_T8_lllPii
	.p2align	8
	.type	_ZL19rocblas_trsv_deviceILi32ELi16ELb1ELb0ELb0ELb0E19rocblas_complex_numIdEPKS1_S3_PS1_EviT7_lllT6_T8_lllPii,@function
_ZL19rocblas_trsv_deviceILi32ELi16ELb1ELb0ELb0ELb0E19rocblas_complex_numIdEPKS1_S3_PS1_EviT7_lllT6_T8_lllPii: ; @_ZL19rocblas_trsv_deviceILi32ELi16ELb1ELb0ELb0ELb0E19rocblas_complex_numIdEPKS1_S3_PS1_EviT7_lllT6_T8_lllPii
; %bb.0:
	s_mov_b32 s34, s7
	s_load_dwordx16 s[12:27], s[4:5], 0x8
	s_load_dword s7, s[4:5], 0x0
	v_mov_b32_e32 v2, v1
	s_mov_b32 s35, 0
	s_waitcnt lgkmcnt(0)
	s_load_dwordx4 s[28:31], s[20:21], 0x0
	s_load_dword s88, s[4:5], 0x6c
	s_mul_i32 s0, s19, s34
	s_mul_hi_u32 s1, s18, s34
	s_add_i32 s1, s1, s0
	s_mul_i32 s0, s18, s34
	s_lshl_b64 s[0:1], s[0:1], 4
	s_add_u32 s2, s12, s0
	s_addc_u32 s3, s13, s1
	s_lshl_b64 s[0:1], s[14:15], 4
	s_add_u32 s86, s2, s0
	s_addc_u32 s87, s3, s1
	s_cmp_eq_u32 s6, 0
	s_cbranch_scc1 .LBB82_6
; %bb.1:
	s_lshl_b32 s33, s6, 5
	v_add_u32_e32 v1, s33, v2
	v_subrev_u32_e32 v1, 32, v1
	v_ashrrev_i32_e32 v3, 31, v1
	v_mul_lo_u32 v7, s16, v3
	v_mul_lo_u32 v8, s17, v1
	v_mad_u64_u32 v[3:4], s[0:1], s16, v1, 0
	v_add_u32_e32 v5, s33, v0
	v_ashrrev_i32_e32 v6, 31, v5
	v_add3_u32 v4, v4, v7, v8
	v_lshlrev_b64 v[3:4], 4, v[3:4]
	v_mov_b32_e32 v7, s87
	v_add_co_u32_e64 v8, s[0:1], s86, v3
	v_addc_co_u32_e64 v7, s[0:1], v7, v4, s[0:1]
	v_lshlrev_b64 v[3:4], 4, v[5:6]
	v_cmp_gt_i32_e32 vcc, s7, v5
	v_add_co_u32_e64 v11, s[0:1], v8, v3
	v_addc_co_u32_e64 v12, s[0:1], v7, v4, s[0:1]
	v_cmp_gt_i32_e64 s[0:1], s7, v1
	v_mov_b32_e32 v9, 0
	v_mov_b32_e32 v3, 0
	;; [unrolled: 1-line block ×6, first 2 shown]
	s_and_b64 s[2:3], vcc, s[0:1]
	s_waitcnt lgkmcnt(0)
	s_barrier
	s_and_saveexec_b64 s[0:1], s[2:3]
	s_cbranch_execz .LBB82_3
; %bb.2:
	global_load_dwordx4 v[3:6], v[11:12], off
.LBB82_3:
	s_or_b64 exec, exec, s[0:1]
	v_add_u32_e32 v1, 16, v1
	v_cmp_gt_i32_e64 s[0:1], s7, v1
	v_mov_b32_e32 v7, 0
	v_mov_b32_e32 v8, 0
	s_and_b64 s[2:3], vcc, s[0:1]
	s_waitcnt vmcnt(0)
	s_barrier
	s_and_saveexec_b64 s[0:1], s[2:3]
	s_cbranch_execz .LBB82_5
; %bb.4:
	s_lshl_b64 s[2:3], s[16:17], 8
	v_mov_b32_e32 v1, s3
	v_add_co_u32_e32 v7, vcc, s2, v11
	v_addc_co_u32_e32 v8, vcc, v12, v1, vcc
	global_load_dwordx4 v[7:10], v[7:8], off
.LBB82_5:
	s_or_b64 exec, exec, s[0:1]
	s_branch .LBB82_7
.LBB82_6:
                                        ; implicit-def: $vgpr9_vgpr10
                                        ; implicit-def: $vgpr5_vgpr6
	s_mov_b32 s33, s35
.LBB82_7:
	s_ashr_i32 s0, s7, 31
	s_lshr_b32 s0, s0, 27
	s_add_i32 s0, s7, s0
	s_andn2_b32 s0, s0, 31
	s_sub_i32 s85, s7, s0
	s_add_i32 s0, s7, -1
	s_ashr_i32 s1, s0, 31
	s_lshr_b32 s1, s1, 27
	s_add_i32 s0, s0, s1
	s_ashr_i32 s0, s0, 5
	s_cmp_eq_u32 s0, s6
	s_cselect_b64 s[0:1], -1, 0
	s_cmp_lg_u32 s85, 0
	s_cselect_b64 s[2:3], -1, 0
	s_and_b64 s[18:19], s[2:3], s[0:1]
	s_ashr_i32 s84, s33, 31
	s_add_u32 s8, s16, 1
	v_mov_b32_e32 v1, 0
	v_mov_b32_e32 v11, s33
	v_mad_u64_u32 v[19:20], s[0:1], s8, v11, v[0:1]
	s_addc_u32 s9, s17, 0
	s_mul_i32 s0, s8, s84
	s_mul_i32 s9, s9, s33
	s_add_i32 s0, s0, s9
	s_mov_b64 s[2:3], -1
	v_add_u32_e32 v20, s0, v20
	s_and_b64 vcc, exec, s[18:19]
	v_cmp_le_u32_e64 s[0:1], v0, v2
	v_lshl_add_u32 v1, v2, 5, v0
	s_cbranch_vccnz .LBB82_37
; %bb.8:
	v_mad_u64_u32 v[11:12], s[2:3], s16, v2, v[19:20]
	v_mad_u64_u32 v[12:13], s[2:3], s17, v2, v[12:13]
	s_and_saveexec_b64 s[2:3], s[0:1]
	s_xor_b64 s[0:1], exec, s[2:3]
	s_cbranch_execz .LBB82_20
; %bb.9:
	v_cmp_ne_u32_e32 vcc, v0, v2
	s_and_saveexec_b64 s[2:3], vcc
	s_xor_b64 s[2:3], exec, s[2:3]
	s_cbranch_execz .LBB82_13
; %bb.10:
	v_or_b32_e32 v11, v2, v0
	v_cmp_gt_u32_e32 vcc, 32, v11
	s_and_saveexec_b64 s[8:9], vcc
	s_cbranch_execz .LBB82_12
; %bb.11:
	v_mov_b32_e32 v11, 0
	v_lshlrev_b32_e32 v15, 4, v1
	v_mov_b32_e32 v12, v11
	v_mov_b32_e32 v13, v11
	;; [unrolled: 1-line block ×3, first 2 shown]
	ds_write_b128 v15, v[11:14]
.LBB82_12:
	s_or_b64 exec, exec, s[8:9]
                                        ; implicit-def: $vgpr11_vgpr12
.LBB82_13:
	s_andn2_saveexec_b64 s[2:3], s[2:3]
	s_cbranch_execz .LBB82_19
; %bb.14:
	v_lshlrev_b64 v[11:12], 4, v[11:12]
	v_mov_b32_e32 v13, s87
	v_add_co_u32_e32 v11, vcc, s86, v11
	v_addc_co_u32_e32 v12, vcc, v13, v12, vcc
	global_load_dwordx4 v[11:14], v[11:12], off
                                        ; implicit-def: $vgpr15_vgpr16
	s_waitcnt vmcnt(0)
	v_cmp_ngt_f64_e64 s[8:9], |v[11:12]|, |v[13:14]|
	s_and_saveexec_b64 s[10:11], s[8:9]
	s_xor_b64 s[8:9], exec, s[10:11]
	s_cbranch_execz .LBB82_16
; %bb.15:
	v_div_scale_f64 v[15:16], s[10:11], v[13:14], v[13:14], v[11:12]
	v_rcp_f64_e32 v[17:18], v[15:16]
	v_fma_f64 v[21:22], -v[15:16], v[17:18], 1.0
	v_fma_f64 v[17:18], v[17:18], v[21:22], v[17:18]
	v_div_scale_f64 v[21:22], vcc, v[11:12], v[13:14], v[11:12]
	v_fma_f64 v[23:24], -v[15:16], v[17:18], 1.0
	v_fma_f64 v[17:18], v[17:18], v[23:24], v[17:18]
	v_mul_f64 v[23:24], v[21:22], v[17:18]
	v_fma_f64 v[15:16], -v[15:16], v[23:24], v[21:22]
	v_div_fmas_f64 v[15:16], v[15:16], v[17:18], v[23:24]
	v_div_fixup_f64 v[15:16], v[15:16], v[13:14], v[11:12]
	v_fma_f64 v[11:12], v[11:12], v[15:16], v[13:14]
	v_div_scale_f64 v[13:14], s[10:11], v[11:12], v[11:12], 1.0
	v_div_scale_f64 v[23:24], vcc, 1.0, v[11:12], 1.0
	v_rcp_f64_e32 v[17:18], v[13:14]
	v_fma_f64 v[21:22], -v[13:14], v[17:18], 1.0
	v_fma_f64 v[17:18], v[17:18], v[21:22], v[17:18]
	v_fma_f64 v[21:22], -v[13:14], v[17:18], 1.0
	v_fma_f64 v[17:18], v[17:18], v[21:22], v[17:18]
	v_mul_f64 v[21:22], v[23:24], v[17:18]
	v_fma_f64 v[13:14], -v[13:14], v[21:22], v[23:24]
	v_div_fmas_f64 v[13:14], v[13:14], v[17:18], v[21:22]
	v_div_fixup_f64 v[17:18], v[13:14], v[11:12], 1.0
                                        ; implicit-def: $vgpr11_vgpr12
	v_mul_f64 v[15:16], v[15:16], v[17:18]
	v_xor_b32_e32 v18, 0x80000000, v18
.LBB82_16:
	s_andn2_saveexec_b64 s[8:9], s[8:9]
	s_cbranch_execz .LBB82_18
; %bb.17:
	v_div_scale_f64 v[15:16], s[10:11], v[11:12], v[11:12], v[13:14]
	v_rcp_f64_e32 v[17:18], v[15:16]
	v_fma_f64 v[21:22], -v[15:16], v[17:18], 1.0
	v_fma_f64 v[17:18], v[17:18], v[21:22], v[17:18]
	v_div_scale_f64 v[21:22], vcc, v[13:14], v[11:12], v[13:14]
	v_fma_f64 v[23:24], -v[15:16], v[17:18], 1.0
	v_fma_f64 v[17:18], v[17:18], v[23:24], v[17:18]
	v_mul_f64 v[23:24], v[21:22], v[17:18]
	v_fma_f64 v[15:16], -v[15:16], v[23:24], v[21:22]
	v_div_fmas_f64 v[15:16], v[15:16], v[17:18], v[23:24]
	v_div_fixup_f64 v[17:18], v[15:16], v[11:12], v[13:14]
	v_fma_f64 v[11:12], v[13:14], v[17:18], v[11:12]
	v_div_scale_f64 v[13:14], s[10:11], v[11:12], v[11:12], 1.0
	v_div_scale_f64 v[23:24], vcc, 1.0, v[11:12], 1.0
	v_rcp_f64_e32 v[15:16], v[13:14]
	v_fma_f64 v[21:22], -v[13:14], v[15:16], 1.0
	v_fma_f64 v[15:16], v[15:16], v[21:22], v[15:16]
	v_fma_f64 v[21:22], -v[13:14], v[15:16], 1.0
	v_fma_f64 v[15:16], v[15:16], v[21:22], v[15:16]
	v_mul_f64 v[21:22], v[23:24], v[15:16]
	v_fma_f64 v[13:14], -v[13:14], v[21:22], v[23:24]
	v_div_fmas_f64 v[13:14], v[13:14], v[15:16], v[21:22]
	v_div_fixup_f64 v[15:16], v[13:14], v[11:12], 1.0
	v_mul_f64 v[17:18], v[17:18], -v[15:16]
.LBB82_18:
	s_or_b64 exec, exec, s[8:9]
	v_lshlrev_b32_e32 v11, 4, v1
	ds_write_b128 v11, v[15:18]
.LBB82_19:
	s_or_b64 exec, exec, s[2:3]
                                        ; implicit-def: $vgpr11_vgpr12
.LBB82_20:
	s_andn2_saveexec_b64 s[0:1], s[0:1]
	s_cbranch_execz .LBB82_22
; %bb.21:
	v_lshlrev_b64 v[11:12], 4, v[11:12]
	v_mov_b32_e32 v13, s87
	v_add_co_u32_e32 v11, vcc, s86, v11
	v_addc_co_u32_e32 v12, vcc, v13, v12, vcc
	global_load_dwordx4 v[11:14], v[11:12], off
	v_lshlrev_b32_e32 v15, 4, v1
	s_waitcnt vmcnt(0)
	v_xor_b32_e32 v12, 0x80000000, v12
	v_xor_b32_e32 v14, 0x80000000, v14
	ds_write_b128 v15, v[11:14]
.LBB82_22:
	s_or_b64 exec, exec, s[0:1]
	v_add_u32_e32 v13, 16, v2
	v_mad_u64_u32 v[11:12], s[0:1], s16, v13, v[19:20]
	v_lshl_add_u32 v21, v13, 5, v0
	v_cmp_le_u32_e32 vcc, v0, v13
	v_mad_u64_u32 v[14:15], s[0:1], s17, v13, v[12:13]
	v_mov_b32_e32 v12, v14
	s_and_saveexec_b64 s[0:1], vcc
	s_xor_b64 s[0:1], exec, s[0:1]
	s_cbranch_execz .LBB82_34
; %bb.23:
	v_cmp_ne_u32_e32 vcc, v0, v13
	s_and_saveexec_b64 s[2:3], vcc
	s_xor_b64 s[2:3], exec, s[2:3]
	s_cbranch_execz .LBB82_27
; %bb.24:
	v_or_b32_e32 v11, v13, v0
	v_cmp_gt_u32_e32 vcc, 32, v11
	s_and_saveexec_b64 s[8:9], vcc
	s_cbranch_execz .LBB82_26
; %bb.25:
	v_mov_b32_e32 v11, 0
	v_lshlrev_b32_e32 v15, 4, v21
	v_mov_b32_e32 v12, v11
	v_mov_b32_e32 v13, v11
	;; [unrolled: 1-line block ×3, first 2 shown]
	ds_write_b128 v15, v[11:14]
.LBB82_26:
	s_or_b64 exec, exec, s[8:9]
                                        ; implicit-def: $vgpr21
                                        ; implicit-def: $vgpr11_vgpr12
.LBB82_27:
	s_andn2_saveexec_b64 s[2:3], s[2:3]
	s_cbranch_execz .LBB82_33
; %bb.28:
	v_lshlrev_b64 v[11:12], 4, v[11:12]
	v_mov_b32_e32 v13, s87
	v_add_co_u32_e32 v11, vcc, s86, v11
	v_addc_co_u32_e32 v12, vcc, v13, v12, vcc
	global_load_dwordx4 v[11:14], v[11:12], off
                                        ; implicit-def: $vgpr15_vgpr16
	s_waitcnt vmcnt(0)
	v_cmp_ngt_f64_e64 s[8:9], |v[11:12]|, |v[13:14]|
	s_and_saveexec_b64 s[10:11], s[8:9]
	s_xor_b64 s[8:9], exec, s[10:11]
	s_cbranch_execz .LBB82_30
; %bb.29:
	v_div_scale_f64 v[15:16], s[10:11], v[13:14], v[13:14], v[11:12]
	v_rcp_f64_e32 v[17:18], v[15:16]
	v_fma_f64 v[22:23], -v[15:16], v[17:18], 1.0
	v_fma_f64 v[17:18], v[17:18], v[22:23], v[17:18]
	v_div_scale_f64 v[22:23], vcc, v[11:12], v[13:14], v[11:12]
	v_fma_f64 v[24:25], -v[15:16], v[17:18], 1.0
	v_fma_f64 v[17:18], v[17:18], v[24:25], v[17:18]
	v_mul_f64 v[24:25], v[22:23], v[17:18]
	v_fma_f64 v[15:16], -v[15:16], v[24:25], v[22:23]
	v_div_fmas_f64 v[15:16], v[15:16], v[17:18], v[24:25]
	v_div_fixup_f64 v[15:16], v[15:16], v[13:14], v[11:12]
	v_fma_f64 v[11:12], v[11:12], v[15:16], v[13:14]
	v_div_scale_f64 v[13:14], s[10:11], v[11:12], v[11:12], 1.0
	v_div_scale_f64 v[24:25], vcc, 1.0, v[11:12], 1.0
	v_rcp_f64_e32 v[17:18], v[13:14]
	v_fma_f64 v[22:23], -v[13:14], v[17:18], 1.0
	v_fma_f64 v[17:18], v[17:18], v[22:23], v[17:18]
	v_fma_f64 v[22:23], -v[13:14], v[17:18], 1.0
	v_fma_f64 v[17:18], v[17:18], v[22:23], v[17:18]
	v_mul_f64 v[22:23], v[24:25], v[17:18]
	v_fma_f64 v[13:14], -v[13:14], v[22:23], v[24:25]
	v_div_fmas_f64 v[13:14], v[13:14], v[17:18], v[22:23]
	v_div_fixup_f64 v[17:18], v[13:14], v[11:12], 1.0
                                        ; implicit-def: $vgpr11_vgpr12
	v_mul_f64 v[15:16], v[15:16], v[17:18]
	v_xor_b32_e32 v18, 0x80000000, v18
.LBB82_30:
	s_andn2_saveexec_b64 s[8:9], s[8:9]
	s_cbranch_execz .LBB82_32
; %bb.31:
	v_div_scale_f64 v[15:16], s[10:11], v[11:12], v[11:12], v[13:14]
	v_rcp_f64_e32 v[17:18], v[15:16]
	v_fma_f64 v[22:23], -v[15:16], v[17:18], 1.0
	v_fma_f64 v[17:18], v[17:18], v[22:23], v[17:18]
	v_div_scale_f64 v[22:23], vcc, v[13:14], v[11:12], v[13:14]
	v_fma_f64 v[24:25], -v[15:16], v[17:18], 1.0
	v_fma_f64 v[17:18], v[17:18], v[24:25], v[17:18]
	v_mul_f64 v[24:25], v[22:23], v[17:18]
	v_fma_f64 v[15:16], -v[15:16], v[24:25], v[22:23]
	v_div_fmas_f64 v[15:16], v[15:16], v[17:18], v[24:25]
	v_div_fixup_f64 v[17:18], v[15:16], v[11:12], v[13:14]
	v_fma_f64 v[11:12], v[13:14], v[17:18], v[11:12]
	v_div_scale_f64 v[13:14], s[10:11], v[11:12], v[11:12], 1.0
	v_div_scale_f64 v[24:25], vcc, 1.0, v[11:12], 1.0
	v_rcp_f64_e32 v[15:16], v[13:14]
	v_fma_f64 v[22:23], -v[13:14], v[15:16], 1.0
	v_fma_f64 v[15:16], v[15:16], v[22:23], v[15:16]
	v_fma_f64 v[22:23], -v[13:14], v[15:16], 1.0
	v_fma_f64 v[15:16], v[15:16], v[22:23], v[15:16]
	v_mul_f64 v[22:23], v[24:25], v[15:16]
	v_fma_f64 v[13:14], -v[13:14], v[22:23], v[24:25]
	v_div_fmas_f64 v[13:14], v[13:14], v[15:16], v[22:23]
	v_div_fixup_f64 v[15:16], v[13:14], v[11:12], 1.0
	v_mul_f64 v[17:18], v[17:18], -v[15:16]
.LBB82_32:
	s_or_b64 exec, exec, s[8:9]
	v_lshlrev_b32_e32 v11, 4, v21
	ds_write_b128 v11, v[15:18]
.LBB82_33:
	s_or_b64 exec, exec, s[2:3]
                                        ; implicit-def: $vgpr11_vgpr12
                                        ; implicit-def: $vgpr21
.LBB82_34:
	s_andn2_saveexec_b64 s[0:1], s[0:1]
	s_cbranch_execz .LBB82_36
; %bb.35:
	v_lshlrev_b64 v[11:12], 4, v[11:12]
	v_mov_b32_e32 v13, s87
	v_add_co_u32_e32 v11, vcc, s86, v11
	v_addc_co_u32_e32 v12, vcc, v13, v12, vcc
	global_load_dwordx4 v[11:14], v[11:12], off
	v_lshlrev_b32_e32 v15, 4, v21
	s_waitcnt vmcnt(0)
	v_xor_b32_e32 v12, 0x80000000, v12
	v_xor_b32_e32 v14, 0x80000000, v14
	ds_write_b128 v15, v[11:14]
.LBB82_36:
	s_or_b64 exec, exec, s[0:1]
	s_mov_b64 s[2:3], 0
.LBB82_37:
	s_and_b64 vcc, exec, s[2:3]
	s_cbranch_vccz .LBB82_67
; %bb.38:
	v_mad_u64_u32 v[11:12], s[0:1], s16, v2, v[19:20]
	v_cmp_le_u32_e32 vcc, v0, v2
	v_cmp_gt_i32_e64 s[0:1], s85, v0
	v_mad_u64_u32 v[12:13], s[2:3], s17, v2, v[12:13]
	v_max_i32_e32 v13, v2, v0
	v_cmp_le_i32_e64 s[2:3], s85, v13
	s_or_b64 s[2:3], s[2:3], vcc
	s_and_saveexec_b64 s[8:9], s[2:3]
	s_xor_b64 s[2:3], exec, s[8:9]
	s_cbranch_execz .LBB82_50
; %bb.39:
	v_cmp_ne_u32_e32 vcc, v0, v2
	s_xor_b64 s[8:9], s[0:1], -1
	s_or_b64 s[8:9], s[8:9], vcc
	s_and_saveexec_b64 s[10:11], s[8:9]
	s_xor_b64 s[8:9], exec, s[10:11]
	s_cbranch_execz .LBB82_43
; %bb.40:
	v_or_b32_e32 v11, v2, v0
	v_cmp_gt_u32_e32 vcc, 32, v11
	s_and_saveexec_b64 s[10:11], vcc
	s_cbranch_execz .LBB82_42
; %bb.41:
	v_mov_b32_e32 v11, 0
	v_lshlrev_b32_e32 v15, 4, v1
	v_mov_b32_e32 v12, v11
	v_mov_b32_e32 v13, v11
	;; [unrolled: 1-line block ×3, first 2 shown]
	ds_write_b128 v15, v[11:14]
.LBB82_42:
	s_or_b64 exec, exec, s[10:11]
                                        ; implicit-def: $vgpr11_vgpr12
.LBB82_43:
	s_andn2_saveexec_b64 s[8:9], s[8:9]
	s_cbranch_execz .LBB82_49
; %bb.44:
	v_lshlrev_b64 v[11:12], 4, v[11:12]
	v_mov_b32_e32 v13, s87
	v_add_co_u32_e32 v11, vcc, s86, v11
	v_addc_co_u32_e32 v12, vcc, v13, v12, vcc
	global_load_dwordx4 v[11:14], v[11:12], off
                                        ; implicit-def: $vgpr15_vgpr16
	s_waitcnt vmcnt(0)
	v_cmp_ngt_f64_e64 s[10:11], |v[11:12]|, |v[13:14]|
	s_and_saveexec_b64 s[12:13], s[10:11]
	s_xor_b64 s[10:11], exec, s[12:13]
	s_cbranch_execz .LBB82_46
; %bb.45:
	v_div_scale_f64 v[15:16], s[12:13], v[13:14], v[13:14], v[11:12]
	v_rcp_f64_e32 v[17:18], v[15:16]
	v_fma_f64 v[21:22], -v[15:16], v[17:18], 1.0
	v_fma_f64 v[17:18], v[17:18], v[21:22], v[17:18]
	v_div_scale_f64 v[21:22], vcc, v[11:12], v[13:14], v[11:12]
	v_fma_f64 v[23:24], -v[15:16], v[17:18], 1.0
	v_fma_f64 v[17:18], v[17:18], v[23:24], v[17:18]
	v_mul_f64 v[23:24], v[21:22], v[17:18]
	v_fma_f64 v[15:16], -v[15:16], v[23:24], v[21:22]
	v_div_fmas_f64 v[15:16], v[15:16], v[17:18], v[23:24]
	v_div_fixup_f64 v[15:16], v[15:16], v[13:14], v[11:12]
	v_fma_f64 v[11:12], v[11:12], v[15:16], v[13:14]
	v_div_scale_f64 v[13:14], s[12:13], v[11:12], v[11:12], 1.0
	v_div_scale_f64 v[23:24], vcc, 1.0, v[11:12], 1.0
	v_rcp_f64_e32 v[17:18], v[13:14]
	v_fma_f64 v[21:22], -v[13:14], v[17:18], 1.0
	v_fma_f64 v[17:18], v[17:18], v[21:22], v[17:18]
	v_fma_f64 v[21:22], -v[13:14], v[17:18], 1.0
	v_fma_f64 v[17:18], v[17:18], v[21:22], v[17:18]
	v_mul_f64 v[21:22], v[23:24], v[17:18]
	v_fma_f64 v[13:14], -v[13:14], v[21:22], v[23:24]
	v_div_fmas_f64 v[13:14], v[13:14], v[17:18], v[21:22]
	v_div_fixup_f64 v[17:18], v[13:14], v[11:12], 1.0
                                        ; implicit-def: $vgpr11_vgpr12
	v_mul_f64 v[15:16], v[15:16], v[17:18]
	v_xor_b32_e32 v18, 0x80000000, v18
.LBB82_46:
	s_andn2_saveexec_b64 s[10:11], s[10:11]
	s_cbranch_execz .LBB82_48
; %bb.47:
	v_div_scale_f64 v[15:16], s[12:13], v[11:12], v[11:12], v[13:14]
	v_rcp_f64_e32 v[17:18], v[15:16]
	v_fma_f64 v[21:22], -v[15:16], v[17:18], 1.0
	v_fma_f64 v[17:18], v[17:18], v[21:22], v[17:18]
	v_div_scale_f64 v[21:22], vcc, v[13:14], v[11:12], v[13:14]
	v_fma_f64 v[23:24], -v[15:16], v[17:18], 1.0
	v_fma_f64 v[17:18], v[17:18], v[23:24], v[17:18]
	v_mul_f64 v[23:24], v[21:22], v[17:18]
	v_fma_f64 v[15:16], -v[15:16], v[23:24], v[21:22]
	v_div_fmas_f64 v[15:16], v[15:16], v[17:18], v[23:24]
	v_div_fixup_f64 v[17:18], v[15:16], v[11:12], v[13:14]
	v_fma_f64 v[11:12], v[13:14], v[17:18], v[11:12]
	v_div_scale_f64 v[13:14], s[12:13], v[11:12], v[11:12], 1.0
	v_div_scale_f64 v[23:24], vcc, 1.0, v[11:12], 1.0
	v_rcp_f64_e32 v[15:16], v[13:14]
	v_fma_f64 v[21:22], -v[13:14], v[15:16], 1.0
	v_fma_f64 v[15:16], v[15:16], v[21:22], v[15:16]
	v_fma_f64 v[21:22], -v[13:14], v[15:16], 1.0
	v_fma_f64 v[15:16], v[15:16], v[21:22], v[15:16]
	v_mul_f64 v[21:22], v[23:24], v[15:16]
	v_fma_f64 v[13:14], -v[13:14], v[21:22], v[23:24]
	v_div_fmas_f64 v[13:14], v[13:14], v[15:16], v[21:22]
	v_div_fixup_f64 v[15:16], v[13:14], v[11:12], 1.0
	v_mul_f64 v[17:18], v[17:18], -v[15:16]
.LBB82_48:
	s_or_b64 exec, exec, s[10:11]
	v_lshlrev_b32_e32 v11, 4, v1
	ds_write_b128 v11, v[15:18]
.LBB82_49:
	s_or_b64 exec, exec, s[8:9]
                                        ; implicit-def: $vgpr11_vgpr12
.LBB82_50:
	s_andn2_saveexec_b64 s[2:3], s[2:3]
	s_cbranch_execz .LBB82_52
; %bb.51:
	v_lshlrev_b64 v[11:12], 4, v[11:12]
	v_mov_b32_e32 v13, s87
	v_add_co_u32_e32 v11, vcc, s86, v11
	v_addc_co_u32_e32 v12, vcc, v13, v12, vcc
	global_load_dwordx4 v[11:14], v[11:12], off
	v_lshlrev_b32_e32 v15, 4, v1
	s_waitcnt vmcnt(0)
	v_xor_b32_e32 v12, 0x80000000, v12
	v_xor_b32_e32 v14, 0x80000000, v14
	ds_write_b128 v15, v[11:14]
.LBB82_52:
	s_or_b64 exec, exec, s[2:3]
	v_add_u32_e32 v13, 16, v2
	v_mad_u64_u32 v[11:12], s[2:3], s16, v13, v[19:20]
	v_cmp_gt_u32_e32 vcc, v0, v13
	v_lshl_add_u32 v19, v13, 5, v0
	v_mad_u64_u32 v[14:15], s[2:3], s17, v13, v[12:13]
	v_cmp_gt_i32_e64 s[2:3], s85, v13
	s_and_b64 s[2:3], vcc, s[2:3]
	s_and_b64 s[2:3], s[0:1], s[2:3]
	v_mov_b32_e32 v12, v14
	s_xor_b64 s[2:3], s[2:3], -1
	s_and_saveexec_b64 s[8:9], s[2:3]
	s_xor_b64 s[2:3], exec, s[8:9]
	s_cbranch_execz .LBB82_64
; %bb.53:
	v_cmp_ne_u32_e32 vcc, v0, v13
	s_xor_b64 s[0:1], s[0:1], -1
	s_or_b64 s[0:1], s[0:1], vcc
	s_and_saveexec_b64 s[8:9], s[0:1]
	s_xor_b64 s[0:1], exec, s[8:9]
	s_cbranch_execz .LBB82_57
; %bb.54:
	v_or_b32_e32 v11, v13, v0
	v_cmp_gt_u32_e32 vcc, 32, v11
	s_and_saveexec_b64 s[8:9], vcc
	s_cbranch_execz .LBB82_56
; %bb.55:
	v_mov_b32_e32 v11, 0
	v_lshlrev_b32_e32 v15, 4, v19
	v_mov_b32_e32 v12, v11
	v_mov_b32_e32 v13, v11
	;; [unrolled: 1-line block ×3, first 2 shown]
	ds_write_b128 v15, v[11:14]
.LBB82_56:
	s_or_b64 exec, exec, s[8:9]
                                        ; implicit-def: $vgpr19
                                        ; implicit-def: $vgpr11_vgpr12
.LBB82_57:
	s_andn2_saveexec_b64 s[0:1], s[0:1]
	s_cbranch_execz .LBB82_63
; %bb.58:
	v_lshlrev_b64 v[11:12], 4, v[11:12]
	v_mov_b32_e32 v13, s87
	v_add_co_u32_e32 v11, vcc, s86, v11
	v_addc_co_u32_e32 v12, vcc, v13, v12, vcc
	global_load_dwordx4 v[11:14], v[11:12], off
                                        ; implicit-def: $vgpr15_vgpr16
	s_waitcnt vmcnt(0)
	v_cmp_ngt_f64_e64 s[8:9], |v[11:12]|, |v[13:14]|
	s_and_saveexec_b64 s[10:11], s[8:9]
	s_xor_b64 s[8:9], exec, s[10:11]
	s_cbranch_execz .LBB82_60
; %bb.59:
	v_div_scale_f64 v[15:16], s[10:11], v[13:14], v[13:14], v[11:12]
	v_rcp_f64_e32 v[17:18], v[15:16]
	v_fma_f64 v[20:21], -v[15:16], v[17:18], 1.0
	v_fma_f64 v[17:18], v[17:18], v[20:21], v[17:18]
	v_div_scale_f64 v[20:21], vcc, v[11:12], v[13:14], v[11:12]
	v_fma_f64 v[22:23], -v[15:16], v[17:18], 1.0
	v_fma_f64 v[17:18], v[17:18], v[22:23], v[17:18]
	v_mul_f64 v[22:23], v[20:21], v[17:18]
	v_fma_f64 v[15:16], -v[15:16], v[22:23], v[20:21]
	v_div_fmas_f64 v[15:16], v[15:16], v[17:18], v[22:23]
	v_div_fixup_f64 v[15:16], v[15:16], v[13:14], v[11:12]
	v_fma_f64 v[11:12], v[11:12], v[15:16], v[13:14]
	v_div_scale_f64 v[13:14], s[10:11], v[11:12], v[11:12], 1.0
	v_div_scale_f64 v[22:23], vcc, 1.0, v[11:12], 1.0
	v_rcp_f64_e32 v[17:18], v[13:14]
	v_fma_f64 v[20:21], -v[13:14], v[17:18], 1.0
	v_fma_f64 v[17:18], v[17:18], v[20:21], v[17:18]
	v_fma_f64 v[20:21], -v[13:14], v[17:18], 1.0
	v_fma_f64 v[17:18], v[17:18], v[20:21], v[17:18]
	v_mul_f64 v[20:21], v[22:23], v[17:18]
	v_fma_f64 v[13:14], -v[13:14], v[20:21], v[22:23]
	v_div_fmas_f64 v[13:14], v[13:14], v[17:18], v[20:21]
	v_div_fixup_f64 v[17:18], v[13:14], v[11:12], 1.0
                                        ; implicit-def: $vgpr11_vgpr12
	v_mul_f64 v[15:16], v[15:16], v[17:18]
	v_xor_b32_e32 v18, 0x80000000, v18
.LBB82_60:
	s_andn2_saveexec_b64 s[8:9], s[8:9]
	s_cbranch_execz .LBB82_62
; %bb.61:
	v_div_scale_f64 v[15:16], s[10:11], v[11:12], v[11:12], v[13:14]
	v_rcp_f64_e32 v[17:18], v[15:16]
	v_fma_f64 v[20:21], -v[15:16], v[17:18], 1.0
	v_fma_f64 v[17:18], v[17:18], v[20:21], v[17:18]
	v_div_scale_f64 v[20:21], vcc, v[13:14], v[11:12], v[13:14]
	v_fma_f64 v[22:23], -v[15:16], v[17:18], 1.0
	v_fma_f64 v[17:18], v[17:18], v[22:23], v[17:18]
	v_mul_f64 v[22:23], v[20:21], v[17:18]
	v_fma_f64 v[15:16], -v[15:16], v[22:23], v[20:21]
	v_div_fmas_f64 v[15:16], v[15:16], v[17:18], v[22:23]
	v_div_fixup_f64 v[17:18], v[15:16], v[11:12], v[13:14]
	v_fma_f64 v[11:12], v[13:14], v[17:18], v[11:12]
	v_div_scale_f64 v[13:14], s[10:11], v[11:12], v[11:12], 1.0
	v_div_scale_f64 v[22:23], vcc, 1.0, v[11:12], 1.0
	v_rcp_f64_e32 v[15:16], v[13:14]
	v_fma_f64 v[20:21], -v[13:14], v[15:16], 1.0
	v_fma_f64 v[15:16], v[15:16], v[20:21], v[15:16]
	v_fma_f64 v[20:21], -v[13:14], v[15:16], 1.0
	v_fma_f64 v[15:16], v[15:16], v[20:21], v[15:16]
	v_mul_f64 v[20:21], v[22:23], v[15:16]
	v_fma_f64 v[13:14], -v[13:14], v[20:21], v[22:23]
	v_div_fmas_f64 v[13:14], v[13:14], v[15:16], v[20:21]
	v_div_fixup_f64 v[15:16], v[13:14], v[11:12], 1.0
	v_mul_f64 v[17:18], v[17:18], -v[15:16]
.LBB82_62:
	s_or_b64 exec, exec, s[8:9]
	v_lshlrev_b32_e32 v11, 4, v19
	ds_write_b128 v11, v[15:18]
.LBB82_63:
	s_or_b64 exec, exec, s[0:1]
                                        ; implicit-def: $vgpr11_vgpr12
                                        ; implicit-def: $vgpr19
.LBB82_64:
	s_andn2_saveexec_b64 s[0:1], s[2:3]
	s_cbranch_execz .LBB82_66
; %bb.65:
	v_lshlrev_b64 v[11:12], 4, v[11:12]
	v_mov_b32_e32 v13, s87
	v_add_co_u32_e32 v11, vcc, s86, v11
	v_addc_co_u32_e32 v12, vcc, v13, v12, vcc
	global_load_dwordx4 v[11:14], v[11:12], off
	v_lshlrev_b32_e32 v15, 4, v19
	s_waitcnt vmcnt(0)
	v_xor_b32_e32 v12, 0x80000000, v12
	v_xor_b32_e32 v14, 0x80000000, v14
	ds_write_b128 v15, v[11:14]
.LBB82_66:
	s_or_b64 exec, exec, s[0:1]
.LBB82_67:
	s_cmp_lt_i32 s6, 5
	s_cselect_b64 s[0:1], -1, 0
	s_or_b64 s[20:21], s[0:1], s[18:19]
	s_and_b64 vcc, exec, s[20:21]
	s_waitcnt vmcnt(0) lgkmcnt(0)
	s_barrier
	s_cbranch_vccnz .LBB82_461
; %bb.68:
	v_or_b32_e32 v11, v0, v2
	v_cmp_eq_u32_e32 vcc, 0, v11
	s_and_saveexec_b64 s[0:1], vcc
	s_cbranch_execz .LBB82_70
; %bb.69:
	v_mov_b32_e32 v25, 0
	ds_read_b128 v[11:14], v25 offset:528
	ds_read_b128 v[15:18], v25
	ds_read_b128 v[19:22], v25 offset:16
	s_waitcnt lgkmcnt(1)
	v_mul_f64 v[23:24], v[11:12], v[17:18]
	v_mul_f64 v[17:18], v[13:14], v[17:18]
	v_fma_f64 v[13:14], v[13:14], v[15:16], v[23:24]
	v_fma_f64 v[11:12], v[11:12], v[15:16], -v[17:18]
	s_waitcnt lgkmcnt(0)
	v_mul_f64 v[15:16], v[13:14], v[21:22]
	v_mul_f64 v[17:18], v[11:12], v[21:22]
	v_fma_f64 v[11:12], v[19:20], v[11:12], -v[15:16]
	v_fma_f64 v[13:14], v[19:20], v[13:14], v[17:18]
	ds_write_b128 v25, v[11:14] offset:16
.LBB82_70:
	s_or_b64 exec, exec, s[0:1]
	v_and_b32_e32 v18, 1, v0
	v_lshrrev_b32_e32 v17, 1, v1
	v_lshlrev_b32_e32 v15, 4, v18
	v_mov_b32_e32 v13, 0
	v_mov_b32_e32 v11, 0
	v_cmp_lt_u32_e64 s[2:3], 3, v1
	v_cmp_gt_u32_e64 s[0:1], 4, v1
	v_mov_b32_e32 v14, 0
	v_mov_b32_e32 v12, 0
	v_lshl_or_b32 v15, v17, 9, v15
	s_waitcnt lgkmcnt(0)
	s_barrier
	s_and_saveexec_b64 s[10:11], s[0:1]
	s_cbranch_execz .LBB82_74
; %bb.71:
	v_mul_u32_u24_e32 v11, 0x210, v17
	ds_read_b128 v[11:14], v11
	ds_read_b128 v[19:22], v15 offset:32
	v_cmp_gt_u32_e64 s[8:9], 2, v1
	s_waitcnt lgkmcnt(0)
	v_mul_f64 v[23:24], v[13:14], v[21:22]
	v_mul_f64 v[21:22], v[11:12], v[21:22]
	v_fma_f64 v[11:12], v[11:12], v[19:20], -v[23:24]
	v_fma_f64 v[13:14], v[13:14], v[19:20], v[21:22]
	v_add_f64 v[11:12], v[11:12], 0
	v_add_f64 v[13:14], v[13:14], 0
	s_and_saveexec_b64 s[12:13], s[8:9]
	s_cbranch_execz .LBB82_73
; %bb.72:
	v_mov_b32_e32 v19, 0
	v_lshlrev_b32_e32 v16, 4, v0
	ds_read_b128 v[19:22], v19 offset:16
	ds_read_b128 v[23:26], v16 offset:544
	s_waitcnt lgkmcnt(0)
	v_mul_f64 v[27:28], v[21:22], v[25:26]
	v_mul_f64 v[25:26], v[19:20], v[25:26]
	v_fma_f64 v[19:20], v[19:20], v[23:24], -v[27:28]
	v_fma_f64 v[21:22], v[21:22], v[23:24], v[25:26]
	v_add_f64 v[11:12], v[11:12], v[19:20]
	v_add_f64 v[13:14], v[13:14], v[21:22]
.LBB82_73:
	s_or_b64 exec, exec, s[12:13]
	v_xor_b32_e32 v12, 0x80000000, v12
	v_xor_b32_e32 v14, 0x80000000, v14
.LBB82_74:
	s_or_b64 exec, exec, s[10:11]
	v_mov_b32_e32 v16, 0x4000
	v_cmp_eq_u32_e64 s[8:9], 0, v18
	s_xor_b64 s[10:11], s[2:3], -1
	v_lshl_add_u32 v16, v17, 4, v16
	s_and_b64 s[38:39], s[8:9], s[10:11]
	s_and_saveexec_b64 s[2:3], s[38:39]
	s_cbranch_execz .LBB82_76
; %bb.75:
	v_mov_b32_e32 v19, 0
	ds_read_b128 v[19:22], v19 offset:1056
	s_waitcnt lgkmcnt(0)
	v_mul_f64 v[23:24], v[13:14], v[21:22]
	v_mul_f64 v[21:22], v[11:12], v[21:22]
	v_fma_f64 v[11:12], v[11:12], v[19:20], -v[23:24]
	v_fma_f64 v[13:14], v[13:14], v[19:20], v[21:22]
	ds_write_b128 v16, v[11:14]
.LBB82_76:
	s_or_b64 exec, exec, s[2:3]
	v_cmp_ne_u32_e64 s[2:3], 0, v18
	s_and_b64 s[36:37], s[2:3], s[10:11]
	s_waitcnt lgkmcnt(0)
	s_barrier
	s_and_saveexec_b64 s[2:3], s[36:37]
	s_cbranch_execz .LBB82_78
; %bb.77:
	v_mov_b32_e32 v22, 0
	ds_read_b128 v[18:21], v16
	ds_read_b128 v[22:25], v22 offset:1072
	s_waitcnt lgkmcnt(0)
	v_mul_f64 v[26:27], v[20:21], v[24:25]
	v_mul_f64 v[24:25], v[18:19], v[24:25]
	v_fma_f64 v[18:19], v[18:19], v[22:23], -v[26:27]
	v_fma_f64 v[20:21], v[20:21], v[22:23], v[24:25]
	v_add_f64 v[11:12], v[11:12], v[18:19]
	v_add_f64 v[13:14], v[13:14], v[20:21]
.LBB82_78:
	s_or_b64 exec, exec, s[2:3]
	s_barrier
	s_and_saveexec_b64 s[2:3], s[36:37]
	s_cbranch_execz .LBB82_80
; %bb.79:
	v_mov_b32_e32 v18, 0
	ds_read_b128 v[18:21], v18 offset:1584
	s_waitcnt lgkmcnt(0)
	v_mul_f64 v[22:23], v[13:14], v[20:21]
	v_mul_f64 v[20:21], v[11:12], v[20:21]
	v_fma_f64 v[11:12], v[11:12], v[18:19], -v[22:23]
	v_fma_f64 v[13:14], v[13:14], v[18:19], v[20:21]
	ds_write_b128 v16, v[11:14]
.LBB82_80:
	s_or_b64 exec, exec, s[2:3]
	s_waitcnt lgkmcnt(0)
	s_barrier
	s_barrier
	s_and_saveexec_b64 s[2:3], s[0:1]
; %bb.81:
	v_xor_b32_e32 v12, 0x80000000, v12
	v_xor_b32_e32 v14, 0x80000000, v14
	ds_write_b128 v15, v[11:14] offset:32
; %bb.82:
	s_or_b64 exec, exec, s[2:3]
	s_waitcnt lgkmcnt(0)
	s_barrier
	s_barrier
	s_and_saveexec_b64 s[2:3], vcc
	s_cbranch_execz .LBB82_84
; %bb.83:
	v_mov_b32_e32 v28, 0
	ds_read_b128 v[11:14], v28 offset:1584
	ds_read_b128 v[18:21], v28 offset:1056
	;; [unrolled: 1-line block ×3, first 2 shown]
	s_waitcnt lgkmcnt(1)
	v_mul_f64 v[26:27], v[11:12], v[20:21]
	v_mul_f64 v[20:21], v[13:14], v[20:21]
	v_fma_f64 v[13:14], v[13:14], v[18:19], v[26:27]
	v_fma_f64 v[11:12], v[11:12], v[18:19], -v[20:21]
	s_waitcnt lgkmcnt(0)
	v_mul_f64 v[18:19], v[13:14], v[24:25]
	v_mul_f64 v[20:21], v[11:12], v[24:25]
	v_fma_f64 v[11:12], v[22:23], v[11:12], -v[18:19]
	v_fma_f64 v[13:14], v[22:23], v[13:14], v[20:21]
	ds_write_b128 v28, v[11:14] offset:1072
.LBB82_84:
	s_or_b64 exec, exec, s[2:3]
	v_and_b32_e32 v21, 3, v0
	v_lshrrev_b32_e32 v22, 2, v1
	v_lshlrev_b32_e32 v19, 4, v21
	v_mov_b32_e32 v13, 0
	v_mov_b32_e32 v11, 0
	v_cmp_lt_u32_e64 s[8:9], 15, v1
	v_cmp_gt_u32_e64 s[2:3], 16, v1
	v_mov_b32_e32 v14, 0
	v_mov_b32_e32 v12, 0
	v_lshl_or_b32 v18, v22, 9, v19
	s_waitcnt lgkmcnt(0)
	s_barrier
	s_and_saveexec_b64 s[12:13], s[2:3]
	s_cbranch_execz .LBB82_90
; %bb.85:
	v_mul_u32_u24_e32 v20, 0x210, v22
	ds_read_b128 v[11:14], v20
	ds_read_b128 v[23:26], v18 offset:64
	v_cmp_gt_u32_e64 s[10:11], 12, v1
	s_waitcnt lgkmcnt(0)
	v_mul_f64 v[27:28], v[13:14], v[25:26]
	v_mul_f64 v[25:26], v[11:12], v[25:26]
	v_fma_f64 v[11:12], v[11:12], v[23:24], -v[27:28]
	v_fma_f64 v[13:14], v[13:14], v[23:24], v[25:26]
	v_add_f64 v[11:12], v[11:12], 0
	v_add_f64 v[13:14], v[13:14], 0
	s_and_saveexec_b64 s[14:15], s[10:11]
	s_cbranch_execnz .LBB82_521
; %bb.86:
	s_or_b64 exec, exec, s[14:15]
	v_cmp_gt_u32_e64 s[10:11], 8, v1
	s_and_saveexec_b64 s[14:15], s[10:11]
	s_cbranch_execnz .LBB82_522
.LBB82_87:
	s_or_b64 exec, exec, s[14:15]
	v_cmp_gt_u32_e64 s[10:11], 4, v1
	s_and_saveexec_b64 s[14:15], s[10:11]
	s_cbranch_execz .LBB82_89
.LBB82_88:
	v_mov_b32_e32 v23, 0
	v_lshlrev_b32_e32 v20, 4, v0
	ds_read_b128 v[23:26], v23 offset:48
	ds_read_b128 v[27:30], v20 offset:1600
	s_waitcnt lgkmcnt(0)
	v_mul_f64 v[31:32], v[25:26], v[29:30]
	v_mul_f64 v[29:30], v[23:24], v[29:30]
	v_fma_f64 v[23:24], v[23:24], v[27:28], -v[31:32]
	v_fma_f64 v[25:26], v[25:26], v[27:28], v[29:30]
	v_add_f64 v[11:12], v[11:12], v[23:24]
	v_add_f64 v[13:14], v[13:14], v[25:26]
.LBB82_89:
	s_or_b64 exec, exec, s[14:15]
	v_xor_b32_e32 v12, 0x80000000, v12
	v_xor_b32_e32 v14, 0x80000000, v14
.LBB82_90:
	s_or_b64 exec, exec, s[12:13]
	v_mov_b32_e32 v20, 0x4000
	v_cmp_eq_u32_e64 s[10:11], 0, v21
	s_xor_b64 s[12:13], s[8:9], -1
	v_lshl_add_u32 v20, v22, 4, v20
	s_and_b64 s[42:43], s[10:11], s[12:13]
	s_and_saveexec_b64 s[8:9], s[42:43]
	s_cbranch_execz .LBB82_92
; %bb.91:
	v_mov_b32_e32 v23, 0
	ds_read_b128 v[23:26], v23 offset:2112
	s_waitcnt lgkmcnt(0)
	v_mul_f64 v[27:28], v[13:14], v[25:26]
	v_mul_f64 v[25:26], v[11:12], v[25:26]
	v_fma_f64 v[11:12], v[11:12], v[23:24], -v[27:28]
	v_fma_f64 v[13:14], v[13:14], v[23:24], v[25:26]
	ds_write_b128 v20, v[11:14]
.LBB82_92:
	s_or_b64 exec, exec, s[8:9]
	v_cmp_ne_u32_e64 s[8:9], 0, v21
	s_and_b64 s[44:45], s[8:9], s[12:13]
	s_waitcnt lgkmcnt(0)
	s_barrier
	s_and_saveexec_b64 s[8:9], s[44:45]
	s_cbranch_execz .LBB82_94
; %bb.93:
	ds_read_b128 v[23:26], v20
	ds_read_b128 v[27:30], v19 offset:2112
	s_waitcnt lgkmcnt(0)
	v_mul_f64 v[31:32], v[25:26], v[29:30]
	v_mul_f64 v[29:30], v[23:24], v[29:30]
	v_fma_f64 v[23:24], v[23:24], v[27:28], -v[31:32]
	v_fma_f64 v[25:26], v[25:26], v[27:28], v[29:30]
	v_add_f64 v[11:12], v[11:12], v[23:24]
	v_add_f64 v[13:14], v[13:14], v[25:26]
.LBB82_94:
	s_or_b64 exec, exec, s[8:9]
	v_cmp_eq_u32_e64 s[8:9], 1, v21
	s_and_b64 s[46:47], s[8:9], s[12:13]
	s_barrier
	s_and_saveexec_b64 s[8:9], s[46:47]
	s_cbranch_execz .LBB82_96
; %bb.95:
	v_mov_b32_e32 v23, 0
	ds_read_b128 v[23:26], v23 offset:2640
	s_waitcnt lgkmcnt(0)
	v_mul_f64 v[27:28], v[13:14], v[25:26]
	v_mul_f64 v[25:26], v[11:12], v[25:26]
	v_fma_f64 v[11:12], v[11:12], v[23:24], -v[27:28]
	v_fma_f64 v[13:14], v[13:14], v[23:24], v[25:26]
	ds_write_b128 v20, v[11:14]
.LBB82_96:
	s_or_b64 exec, exec, s[8:9]
	v_cmp_lt_u32_e64 s[8:9], 1, v21
	s_and_b64 s[48:49], s[8:9], s[12:13]
	s_waitcnt lgkmcnt(0)
	s_barrier
	s_and_saveexec_b64 s[8:9], s[48:49]
	s_cbranch_execz .LBB82_98
; %bb.97:
	ds_read_b128 v[23:26], v20
	ds_read_b128 v[27:30], v19 offset:2624
	s_waitcnt lgkmcnt(0)
	v_mul_f64 v[31:32], v[25:26], v[29:30]
	v_mul_f64 v[29:30], v[23:24], v[29:30]
	v_fma_f64 v[23:24], v[23:24], v[27:28], -v[31:32]
	v_fma_f64 v[25:26], v[25:26], v[27:28], v[29:30]
	v_add_f64 v[11:12], v[11:12], v[23:24]
	v_add_f64 v[13:14], v[13:14], v[25:26]
.LBB82_98:
	s_or_b64 exec, exec, s[8:9]
	v_cmp_eq_u32_e64 s[8:9], 2, v21
	s_and_b64 s[50:51], s[8:9], s[12:13]
	s_barrier
	s_and_saveexec_b64 s[8:9], s[50:51]
	s_cbranch_execz .LBB82_100
; %bb.99:
	v_mov_b32_e32 v23, 0
	ds_read_b128 v[23:26], v23 offset:3168
	s_waitcnt lgkmcnt(0)
	v_mul_f64 v[27:28], v[13:14], v[25:26]
	v_mul_f64 v[25:26], v[11:12], v[25:26]
	v_fma_f64 v[11:12], v[11:12], v[23:24], -v[27:28]
	v_fma_f64 v[13:14], v[13:14], v[23:24], v[25:26]
	ds_write_b128 v20, v[11:14]
.LBB82_100:
	s_or_b64 exec, exec, s[8:9]
	v_cmp_eq_u32_e64 s[8:9], 3, v21
	s_and_b64 s[40:41], s[8:9], s[12:13]
	s_waitcnt lgkmcnt(0)
	s_barrier
	s_and_saveexec_b64 s[8:9], s[40:41]
	s_cbranch_execz .LBB82_102
; %bb.101:
	v_mov_b32_e32 v27, 0
	ds_read_b128 v[23:26], v20
	ds_read_b128 v[27:30], v27 offset:3184
	s_waitcnt lgkmcnt(0)
	v_mul_f64 v[31:32], v[25:26], v[29:30]
	v_mul_f64 v[29:30], v[23:24], v[29:30]
	v_fma_f64 v[23:24], v[23:24], v[27:28], -v[31:32]
	v_fma_f64 v[25:26], v[25:26], v[27:28], v[29:30]
	v_add_f64 v[11:12], v[11:12], v[23:24]
	v_add_f64 v[13:14], v[13:14], v[25:26]
.LBB82_102:
	s_or_b64 exec, exec, s[8:9]
	s_barrier
	s_and_saveexec_b64 s[8:9], s[40:41]
	s_cbranch_execz .LBB82_104
; %bb.103:
	v_mov_b32_e32 v23, 0
	ds_read_b128 v[23:26], v23 offset:3696
	s_waitcnt lgkmcnt(0)
	v_mul_f64 v[27:28], v[13:14], v[25:26]
	v_mul_f64 v[25:26], v[11:12], v[25:26]
	v_fma_f64 v[11:12], v[11:12], v[23:24], -v[27:28]
	v_fma_f64 v[13:14], v[13:14], v[23:24], v[25:26]
	ds_write_b128 v20, v[11:14]
.LBB82_104:
	s_or_b64 exec, exec, s[8:9]
	s_waitcnt lgkmcnt(0)
	s_barrier
	s_barrier
	s_and_saveexec_b64 s[8:9], s[2:3]
; %bb.105:
	v_xor_b32_e32 v14, 0x80000000, v14
	v_xor_b32_e32 v12, 0x80000000, v12
	ds_write_b128 v18, v[11:14] offset:64
; %bb.106:
	s_or_b64 exec, exec, s[8:9]
	s_waitcnt lgkmcnt(0)
	s_barrier
	s_barrier
	s_and_saveexec_b64 s[8:9], vcc
	s_cbranch_execz .LBB82_108
; %bb.107:
	v_mov_b32_e32 v33, 0
	ds_read_b128 v[11:14], v33 offset:2640
	ds_read_b128 v[23:26], v33 offset:2112
	;; [unrolled: 1-line block ×3, first 2 shown]
	s_waitcnt lgkmcnt(1)
	v_mul_f64 v[31:32], v[11:12], v[25:26]
	v_mul_f64 v[25:26], v[13:14], v[25:26]
	v_fma_f64 v[13:14], v[13:14], v[23:24], v[31:32]
	v_fma_f64 v[11:12], v[11:12], v[23:24], -v[25:26]
	s_waitcnt lgkmcnt(0)
	v_mul_f64 v[23:24], v[13:14], v[29:30]
	v_mul_f64 v[25:26], v[11:12], v[29:30]
	v_fma_f64 v[11:12], v[27:28], v[11:12], -v[23:24]
	v_fma_f64 v[13:14], v[27:28], v[13:14], v[25:26]
	ds_write_b128 v33, v[11:14] offset:2128
.LBB82_108:
	s_or_b64 exec, exec, s[8:9]
	v_mov_b32_e32 v13, 0
	v_mov_b32_e32 v11, 0
	;; [unrolled: 1-line block ×4, first 2 shown]
	s_waitcnt lgkmcnt(0)
	s_barrier
	s_and_saveexec_b64 s[10:11], s[0:1]
	s_cbranch_execz .LBB82_112
; %bb.109:
	v_mul_u32_u24_e32 v11, 0x210, v17
	ds_read_b128 v[11:14], v11 offset:2112
	ds_read_b128 v[23:26], v15 offset:2144
	v_cmp_gt_u32_e64 s[8:9], 2, v1
	s_waitcnt lgkmcnt(0)
	v_mul_f64 v[27:28], v[13:14], v[25:26]
	v_mul_f64 v[25:26], v[11:12], v[25:26]
	v_fma_f64 v[11:12], v[11:12], v[23:24], -v[27:28]
	v_fma_f64 v[13:14], v[13:14], v[23:24], v[25:26]
	v_add_f64 v[11:12], v[11:12], 0
	v_add_f64 v[13:14], v[13:14], 0
	s_and_saveexec_b64 s[12:13], s[8:9]
	s_cbranch_execz .LBB82_111
; %bb.110:
	v_lshlrev_b32_e32 v27, 4, v0
	v_mov_b32_e32 v23, 0
	ds_read_b128 v[23:26], v23 offset:2128
	ds_read_b128 v[27:30], v27 offset:2656
	s_waitcnt lgkmcnt(0)
	v_mul_f64 v[31:32], v[25:26], v[29:30]
	v_mul_f64 v[29:30], v[23:24], v[29:30]
	v_fma_f64 v[23:24], v[23:24], v[27:28], -v[31:32]
	v_fma_f64 v[25:26], v[25:26], v[27:28], v[29:30]
	v_add_f64 v[11:12], v[11:12], v[23:24]
	v_add_f64 v[13:14], v[13:14], v[25:26]
.LBB82_111:
	s_or_b64 exec, exec, s[12:13]
	v_xor_b32_e32 v12, 0x80000000, v12
	v_xor_b32_e32 v14, 0x80000000, v14
.LBB82_112:
	s_or_b64 exec, exec, s[10:11]
	s_and_saveexec_b64 s[8:9], s[38:39]
	s_cbranch_execz .LBB82_114
; %bb.113:
	v_mov_b32_e32 v23, 0
	ds_read_b128 v[23:26], v23 offset:3168
	s_waitcnt lgkmcnt(0)
	v_mul_f64 v[27:28], v[13:14], v[25:26]
	v_mul_f64 v[25:26], v[11:12], v[25:26]
	v_fma_f64 v[11:12], v[11:12], v[23:24], -v[27:28]
	v_fma_f64 v[13:14], v[13:14], v[23:24], v[25:26]
	ds_write_b128 v16, v[11:14]
.LBB82_114:
	s_or_b64 exec, exec, s[8:9]
	s_waitcnt lgkmcnt(0)
	s_barrier
	s_and_saveexec_b64 s[8:9], s[36:37]
	s_cbranch_execz .LBB82_116
; %bb.115:
	v_mov_b32_e32 v27, 0
	ds_read_b128 v[23:26], v16
	ds_read_b128 v[27:30], v27 offset:3184
	s_waitcnt lgkmcnt(0)
	v_mul_f64 v[31:32], v[25:26], v[29:30]
	v_mul_f64 v[29:30], v[23:24], v[29:30]
	v_fma_f64 v[23:24], v[23:24], v[27:28], -v[31:32]
	v_fma_f64 v[25:26], v[25:26], v[27:28], v[29:30]
	v_add_f64 v[11:12], v[11:12], v[23:24]
	v_add_f64 v[13:14], v[13:14], v[25:26]
.LBB82_116:
	s_or_b64 exec, exec, s[8:9]
	s_barrier
	s_and_saveexec_b64 s[8:9], s[36:37]
	s_cbranch_execz .LBB82_118
; %bb.117:
	v_mov_b32_e32 v23, 0
	ds_read_b128 v[23:26], v23 offset:3696
	s_waitcnt lgkmcnt(0)
	v_mul_f64 v[27:28], v[13:14], v[25:26]
	v_mul_f64 v[25:26], v[11:12], v[25:26]
	v_fma_f64 v[11:12], v[11:12], v[23:24], -v[27:28]
	v_fma_f64 v[13:14], v[13:14], v[23:24], v[25:26]
	ds_write_b128 v16, v[11:14]
.LBB82_118:
	s_or_b64 exec, exec, s[8:9]
	s_waitcnt lgkmcnt(0)
	s_barrier
	s_barrier
	s_and_saveexec_b64 s[8:9], s[0:1]
; %bb.119:
	v_xor_b32_e32 v12, 0x80000000, v12
	v_xor_b32_e32 v14, 0x80000000, v14
	ds_write_b128 v15, v[11:14] offset:2144
; %bb.120:
	s_or_b64 exec, exec, s[8:9]
	s_waitcnt lgkmcnt(0)
	s_barrier
	s_barrier
	s_and_saveexec_b64 s[8:9], vcc
	s_cbranch_execz .LBB82_122
; %bb.121:
	v_mov_b32_e32 v33, 0
	ds_read_b128 v[11:14], v33 offset:3696
	ds_read_b128 v[23:26], v33 offset:3168
	ds_read_b128 v[27:30], v33 offset:3184
	s_waitcnt lgkmcnt(1)
	v_mul_f64 v[31:32], v[11:12], v[25:26]
	v_mul_f64 v[25:26], v[13:14], v[25:26]
	v_fma_f64 v[13:14], v[13:14], v[23:24], v[31:32]
	v_fma_f64 v[11:12], v[11:12], v[23:24], -v[25:26]
	s_waitcnt lgkmcnt(0)
	v_mul_f64 v[23:24], v[13:14], v[29:30]
	v_mul_f64 v[25:26], v[11:12], v[29:30]
	v_fma_f64 v[11:12], v[27:28], v[11:12], -v[23:24]
	v_fma_f64 v[13:14], v[27:28], v[13:14], v[25:26]
	ds_write_b128 v33, v[11:14] offset:3184
.LBB82_122:
	s_or_b64 exec, exec, s[8:9]
	v_and_b32_e32 v26, 7, v0
	v_lshrrev_b32_e32 v27, 3, v1
	v_lshlrev_b32_e32 v24, 4, v26
	v_mov_b32_e32 v13, 0
	v_mov_b32_e32 v11, 0
	v_cmp_lt_u32_e64 s[8:9], 63, v1
	v_cmp_gt_u32_e64 s[12:13], 64, v1
	v_mov_b32_e32 v14, 0
	v_mov_b32_e32 v12, 0
	v_lshl_or_b32 v23, v27, 9, v24
	s_waitcnt lgkmcnt(0)
	s_barrier
	s_and_saveexec_b64 s[14:15], s[12:13]
	s_cbranch_execz .LBB82_132
; %bb.123:
	v_mul_u32_u24_e32 v25, 0x210, v27
	ds_read_b128 v[11:14], v25
	ds_read_b128 v[28:31], v23 offset:128
	v_cmp_gt_u32_e64 s[10:11], 56, v1
	s_waitcnt lgkmcnt(0)
	v_mul_f64 v[32:33], v[13:14], v[30:31]
	v_mul_f64 v[30:31], v[11:12], v[30:31]
	v_fma_f64 v[11:12], v[11:12], v[28:29], -v[32:33]
	v_fma_f64 v[13:14], v[13:14], v[28:29], v[30:31]
	v_add_f64 v[11:12], v[11:12], 0
	v_add_f64 v[13:14], v[13:14], 0
	s_and_saveexec_b64 s[52:53], s[10:11]
	s_cbranch_execnz .LBB82_523
; %bb.124:
	s_or_b64 exec, exec, s[52:53]
	v_cmp_gt_u32_e64 s[10:11], 48, v1
	s_and_saveexec_b64 s[52:53], s[10:11]
	s_cbranch_execnz .LBB82_524
.LBB82_125:
	s_or_b64 exec, exec, s[52:53]
	v_cmp_gt_u32_e64 s[10:11], 40, v1
	s_and_saveexec_b64 s[52:53], s[10:11]
	s_cbranch_execnz .LBB82_525
.LBB82_126:
	s_or_b64 exec, exec, s[52:53]
	v_cmp_gt_u32_e64 s[10:11], 32, v1
	s_and_saveexec_b64 s[52:53], s[10:11]
	s_cbranch_execnz .LBB82_526
.LBB82_127:
	s_or_b64 exec, exec, s[52:53]
	v_cmp_gt_u32_e64 s[10:11], 24, v1
	s_and_saveexec_b64 s[52:53], s[10:11]
	s_cbranch_execnz .LBB82_527
.LBB82_128:
	s_or_b64 exec, exec, s[52:53]
	v_cmp_gt_u32_e64 s[10:11], 16, v1
	s_and_saveexec_b64 s[52:53], s[10:11]
	s_cbranch_execnz .LBB82_528
.LBB82_129:
	s_or_b64 exec, exec, s[52:53]
	v_cmp_gt_u32_e64 s[10:11], 8, v1
	s_and_saveexec_b64 s[52:53], s[10:11]
	s_cbranch_execz .LBB82_131
.LBB82_130:
	v_mov_b32_e32 v28, 0
	v_lshlrev_b32_e32 v25, 4, v0
	ds_read_b128 v[28:31], v28 offset:112
	ds_read_b128 v[32:35], v25 offset:3712
	s_waitcnt lgkmcnt(0)
	v_mul_f64 v[36:37], v[30:31], v[34:35]
	v_mul_f64 v[34:35], v[28:29], v[34:35]
	v_fma_f64 v[28:29], v[28:29], v[32:33], -v[36:37]
	v_fma_f64 v[30:31], v[30:31], v[32:33], v[34:35]
	v_add_f64 v[11:12], v[11:12], v[28:29]
	v_add_f64 v[13:14], v[13:14], v[30:31]
.LBB82_131:
	s_or_b64 exec, exec, s[52:53]
	v_xor_b32_e32 v12, 0x80000000, v12
	v_xor_b32_e32 v14, 0x80000000, v14
.LBB82_132:
	s_or_b64 exec, exec, s[14:15]
	v_mov_b32_e32 v25, 0x4000
	v_cmp_eq_u32_e64 s[10:11], 0, v26
	s_xor_b64 s[14:15], s[8:9], -1
	v_lshl_add_u32 v25, v27, 4, v25
	s_and_b64 s[54:55], s[10:11], s[14:15]
	s_and_saveexec_b64 s[8:9], s[54:55]
	s_cbranch_execz .LBB82_134
; %bb.133:
	v_mov_b32_e32 v28, 0
	ds_read_b128 v[28:31], v28 offset:4224
	s_waitcnt lgkmcnt(0)
	v_mul_f64 v[32:33], v[13:14], v[30:31]
	v_mul_f64 v[30:31], v[11:12], v[30:31]
	v_fma_f64 v[11:12], v[11:12], v[28:29], -v[32:33]
	v_fma_f64 v[13:14], v[13:14], v[28:29], v[30:31]
	ds_write_b128 v25, v[11:14]
.LBB82_134:
	s_or_b64 exec, exec, s[8:9]
	v_cmp_ne_u32_e64 s[8:9], 0, v26
	s_and_b64 s[56:57], s[8:9], s[14:15]
	s_waitcnt lgkmcnt(0)
	s_barrier
	s_and_saveexec_b64 s[8:9], s[56:57]
	s_cbranch_execz .LBB82_136
; %bb.135:
	ds_read_b128 v[28:31], v25
	ds_read_b128 v[32:35], v24 offset:4224
	s_waitcnt lgkmcnt(0)
	v_mul_f64 v[36:37], v[30:31], v[34:35]
	v_mul_f64 v[34:35], v[28:29], v[34:35]
	v_fma_f64 v[28:29], v[28:29], v[32:33], -v[36:37]
	v_fma_f64 v[30:31], v[30:31], v[32:33], v[34:35]
	v_add_f64 v[11:12], v[11:12], v[28:29]
	v_add_f64 v[13:14], v[13:14], v[30:31]
.LBB82_136:
	s_or_b64 exec, exec, s[8:9]
	v_cmp_eq_u32_e64 s[8:9], 1, v26
	s_and_b64 s[58:59], s[8:9], s[14:15]
	s_barrier
	s_and_saveexec_b64 s[8:9], s[58:59]
	s_cbranch_execz .LBB82_138
; %bb.137:
	v_mov_b32_e32 v28, 0
	ds_read_b128 v[28:31], v28 offset:4752
	s_waitcnt lgkmcnt(0)
	v_mul_f64 v[32:33], v[13:14], v[30:31]
	v_mul_f64 v[30:31], v[11:12], v[30:31]
	v_fma_f64 v[11:12], v[11:12], v[28:29], -v[32:33]
	v_fma_f64 v[13:14], v[13:14], v[28:29], v[30:31]
	ds_write_b128 v25, v[11:14]
.LBB82_138:
	s_or_b64 exec, exec, s[8:9]
	v_cmp_lt_u32_e64 s[8:9], 1, v26
	s_and_b64 s[60:61], s[8:9], s[14:15]
	s_waitcnt lgkmcnt(0)
	s_barrier
	s_and_saveexec_b64 s[8:9], s[60:61]
	s_cbranch_execz .LBB82_140
; %bb.139:
	ds_read_b128 v[28:31], v25
	ds_read_b128 v[32:35], v24 offset:4736
	s_waitcnt lgkmcnt(0)
	v_mul_f64 v[36:37], v[30:31], v[34:35]
	v_mul_f64 v[34:35], v[28:29], v[34:35]
	v_fma_f64 v[28:29], v[28:29], v[32:33], -v[36:37]
	v_fma_f64 v[30:31], v[30:31], v[32:33], v[34:35]
	v_add_f64 v[11:12], v[11:12], v[28:29]
	v_add_f64 v[13:14], v[13:14], v[30:31]
.LBB82_140:
	s_or_b64 exec, exec, s[8:9]
	v_cmp_eq_u32_e64 s[8:9], 2, v26
	s_and_b64 s[62:63], s[8:9], s[14:15]
	s_barrier
	s_and_saveexec_b64 s[8:9], s[62:63]
	s_cbranch_execz .LBB82_142
; %bb.141:
	v_mov_b32_e32 v28, 0
	ds_read_b128 v[28:31], v28 offset:5280
	s_waitcnt lgkmcnt(0)
	v_mul_f64 v[32:33], v[13:14], v[30:31]
	v_mul_f64 v[30:31], v[11:12], v[30:31]
	v_fma_f64 v[11:12], v[11:12], v[28:29], -v[32:33]
	v_fma_f64 v[13:14], v[13:14], v[28:29], v[30:31]
	ds_write_b128 v25, v[11:14]
.LBB82_142:
	s_or_b64 exec, exec, s[8:9]
	v_cmp_lt_u32_e64 s[8:9], 2, v26
	;; [unrolled: 34-line block ×5, first 2 shown]
	s_and_b64 s[76:77], s[8:9], s[14:15]
	s_waitcnt lgkmcnt(0)
	s_barrier
	s_and_saveexec_b64 s[8:9], s[76:77]
	s_cbranch_execz .LBB82_156
; %bb.155:
	ds_read_b128 v[28:31], v25
	ds_read_b128 v[32:35], v24 offset:6784
	s_waitcnt lgkmcnt(0)
	v_mul_f64 v[36:37], v[30:31], v[34:35]
	v_mul_f64 v[34:35], v[28:29], v[34:35]
	v_fma_f64 v[28:29], v[28:29], v[32:33], -v[36:37]
	v_fma_f64 v[30:31], v[30:31], v[32:33], v[34:35]
	v_add_f64 v[11:12], v[11:12], v[28:29]
	v_add_f64 v[13:14], v[13:14], v[30:31]
.LBB82_156:
	s_or_b64 exec, exec, s[8:9]
	v_cmp_eq_u32_e64 s[8:9], 6, v26
	s_and_b64 s[78:79], s[8:9], s[14:15]
	s_barrier
	s_and_saveexec_b64 s[8:9], s[78:79]
	s_cbranch_execz .LBB82_158
; %bb.157:
	v_mov_b32_e32 v28, 0
	ds_read_b128 v[28:31], v28 offset:7392
	s_waitcnt lgkmcnt(0)
	v_mul_f64 v[32:33], v[13:14], v[30:31]
	v_mul_f64 v[30:31], v[11:12], v[30:31]
	v_fma_f64 v[11:12], v[11:12], v[28:29], -v[32:33]
	v_fma_f64 v[13:14], v[13:14], v[28:29], v[30:31]
	ds_write_b128 v25, v[11:14]
.LBB82_158:
	s_or_b64 exec, exec, s[8:9]
	v_cmp_eq_u32_e64 s[8:9], 7, v26
	s_and_b64 s[52:53], s[8:9], s[14:15]
	s_waitcnt lgkmcnt(0)
	s_barrier
	s_and_saveexec_b64 s[8:9], s[52:53]
	s_cbranch_execz .LBB82_160
; %bb.159:
	v_mov_b32_e32 v32, 0
	ds_read_b128 v[28:31], v25
	ds_read_b128 v[32:35], v32 offset:7408
	s_waitcnt lgkmcnt(0)
	v_mul_f64 v[36:37], v[30:31], v[34:35]
	v_mul_f64 v[34:35], v[28:29], v[34:35]
	v_fma_f64 v[28:29], v[28:29], v[32:33], -v[36:37]
	v_fma_f64 v[30:31], v[30:31], v[32:33], v[34:35]
	v_add_f64 v[11:12], v[11:12], v[28:29]
	v_add_f64 v[13:14], v[13:14], v[30:31]
.LBB82_160:
	s_or_b64 exec, exec, s[8:9]
	s_barrier
	s_and_saveexec_b64 s[8:9], s[52:53]
	s_cbranch_execz .LBB82_162
; %bb.161:
	v_mov_b32_e32 v28, 0
	ds_read_b128 v[28:31], v28 offset:7920
	s_waitcnt lgkmcnt(0)
	v_mul_f64 v[32:33], v[13:14], v[30:31]
	v_mul_f64 v[30:31], v[11:12], v[30:31]
	v_fma_f64 v[11:12], v[11:12], v[28:29], -v[32:33]
	v_fma_f64 v[13:14], v[13:14], v[28:29], v[30:31]
	ds_write_b128 v25, v[11:14]
.LBB82_162:
	s_or_b64 exec, exec, s[8:9]
	s_waitcnt lgkmcnt(0)
	s_barrier
	s_barrier
	s_and_saveexec_b64 s[8:9], s[12:13]
; %bb.163:
	v_xor_b32_e32 v12, 0x80000000, v12
	v_xor_b32_e32 v14, 0x80000000, v14
	ds_write_b128 v23, v[11:14] offset:128
; %bb.164:
	s_or_b64 exec, exec, s[8:9]
	s_waitcnt lgkmcnt(0)
	s_barrier
	s_barrier
	s_and_saveexec_b64 s[8:9], vcc
	s_cbranch_execz .LBB82_166
; %bb.165:
	v_mov_b32_e32 v38, 0
	ds_read_b128 v[11:14], v38 offset:4752
	ds_read_b128 v[28:31], v38 offset:4224
	;; [unrolled: 1-line block ×3, first 2 shown]
	s_waitcnt lgkmcnt(1)
	v_mul_f64 v[36:37], v[11:12], v[30:31]
	v_mul_f64 v[30:31], v[13:14], v[30:31]
	v_fma_f64 v[13:14], v[13:14], v[28:29], v[36:37]
	v_fma_f64 v[11:12], v[11:12], v[28:29], -v[30:31]
	s_waitcnt lgkmcnt(0)
	v_mul_f64 v[28:29], v[13:14], v[34:35]
	v_mul_f64 v[30:31], v[11:12], v[34:35]
	v_fma_f64 v[11:12], v[32:33], v[11:12], -v[28:29]
	v_fma_f64 v[13:14], v[32:33], v[13:14], v[30:31]
	ds_write_b128 v38, v[11:14] offset:4240
.LBB82_166:
	s_or_b64 exec, exec, s[8:9]
	v_mov_b32_e32 v13, 0
	v_mov_b32_e32 v11, 0
	;; [unrolled: 1-line block ×4, first 2 shown]
	s_waitcnt lgkmcnt(0)
	s_barrier
	s_and_saveexec_b64 s[10:11], s[0:1]
	s_cbranch_execz .LBB82_170
; %bb.167:
	v_mul_u32_u24_e32 v11, 0x210, v17
	ds_read_b128 v[11:14], v11 offset:4224
	ds_read_b128 v[28:31], v15 offset:4256
	v_cmp_gt_u32_e64 s[8:9], 2, v1
	s_waitcnt lgkmcnt(0)
	v_mul_f64 v[32:33], v[13:14], v[30:31]
	v_mul_f64 v[30:31], v[11:12], v[30:31]
	v_fma_f64 v[11:12], v[11:12], v[28:29], -v[32:33]
	v_fma_f64 v[13:14], v[13:14], v[28:29], v[30:31]
	v_add_f64 v[11:12], v[11:12], 0
	v_add_f64 v[13:14], v[13:14], 0
	s_and_saveexec_b64 s[14:15], s[8:9]
	s_cbranch_execz .LBB82_169
; %bb.168:
	v_lshlrev_b32_e32 v32, 4, v0
	v_mov_b32_e32 v28, 0
	ds_read_b128 v[28:31], v28 offset:4240
	ds_read_b128 v[32:35], v32 offset:4768
	s_waitcnt lgkmcnt(0)
	v_mul_f64 v[36:37], v[30:31], v[34:35]
	v_mul_f64 v[34:35], v[28:29], v[34:35]
	v_fma_f64 v[28:29], v[28:29], v[32:33], -v[36:37]
	v_fma_f64 v[30:31], v[30:31], v[32:33], v[34:35]
	v_add_f64 v[11:12], v[11:12], v[28:29]
	v_add_f64 v[13:14], v[13:14], v[30:31]
.LBB82_169:
	s_or_b64 exec, exec, s[14:15]
	v_xor_b32_e32 v12, 0x80000000, v12
	v_xor_b32_e32 v14, 0x80000000, v14
.LBB82_170:
	s_or_b64 exec, exec, s[10:11]
	s_and_saveexec_b64 s[8:9], s[38:39]
	s_cbranch_execz .LBB82_172
; %bb.171:
	v_mov_b32_e32 v28, 0
	ds_read_b128 v[28:31], v28 offset:5280
	s_waitcnt lgkmcnt(0)
	v_mul_f64 v[32:33], v[13:14], v[30:31]
	v_mul_f64 v[30:31], v[11:12], v[30:31]
	v_fma_f64 v[11:12], v[11:12], v[28:29], -v[32:33]
	v_fma_f64 v[13:14], v[13:14], v[28:29], v[30:31]
	ds_write_b128 v16, v[11:14]
.LBB82_172:
	s_or_b64 exec, exec, s[8:9]
	s_waitcnt lgkmcnt(0)
	s_barrier
	s_and_saveexec_b64 s[8:9], s[36:37]
	s_cbranch_execz .LBB82_174
; %bb.173:
	v_mov_b32_e32 v32, 0
	ds_read_b128 v[28:31], v16
	ds_read_b128 v[32:35], v32 offset:5296
	s_waitcnt lgkmcnt(0)
	v_mul_f64 v[36:37], v[30:31], v[34:35]
	v_mul_f64 v[34:35], v[28:29], v[34:35]
	v_fma_f64 v[28:29], v[28:29], v[32:33], -v[36:37]
	v_fma_f64 v[30:31], v[30:31], v[32:33], v[34:35]
	v_add_f64 v[11:12], v[11:12], v[28:29]
	v_add_f64 v[13:14], v[13:14], v[30:31]
.LBB82_174:
	s_or_b64 exec, exec, s[8:9]
	s_barrier
	s_and_saveexec_b64 s[8:9], s[36:37]
	s_cbranch_execz .LBB82_176
; %bb.175:
	v_mov_b32_e32 v28, 0
	ds_read_b128 v[28:31], v28 offset:5808
	s_waitcnt lgkmcnt(0)
	v_mul_f64 v[32:33], v[13:14], v[30:31]
	v_mul_f64 v[30:31], v[11:12], v[30:31]
	v_fma_f64 v[11:12], v[11:12], v[28:29], -v[32:33]
	v_fma_f64 v[13:14], v[13:14], v[28:29], v[30:31]
	ds_write_b128 v16, v[11:14]
.LBB82_176:
	s_or_b64 exec, exec, s[8:9]
	s_waitcnt lgkmcnt(0)
	s_barrier
	s_barrier
	s_and_saveexec_b64 s[8:9], s[0:1]
; %bb.177:
	v_xor_b32_e32 v12, 0x80000000, v12
	v_xor_b32_e32 v14, 0x80000000, v14
	ds_write_b128 v15, v[11:14] offset:4256
; %bb.178:
	s_or_b64 exec, exec, s[8:9]
	s_waitcnt lgkmcnt(0)
	s_barrier
	s_barrier
	s_and_saveexec_b64 s[8:9], vcc
	s_cbranch_execz .LBB82_180
; %bb.179:
	v_mov_b32_e32 v38, 0
	ds_read_b128 v[11:14], v38 offset:5808
	ds_read_b128 v[28:31], v38 offset:5280
	;; [unrolled: 1-line block ×3, first 2 shown]
	s_waitcnt lgkmcnt(1)
	v_mul_f64 v[36:37], v[11:12], v[30:31]
	v_mul_f64 v[30:31], v[13:14], v[30:31]
	v_fma_f64 v[13:14], v[13:14], v[28:29], v[36:37]
	v_fma_f64 v[11:12], v[11:12], v[28:29], -v[30:31]
	s_waitcnt lgkmcnt(0)
	v_mul_f64 v[28:29], v[13:14], v[34:35]
	v_mul_f64 v[30:31], v[11:12], v[34:35]
	v_fma_f64 v[11:12], v[32:33], v[11:12], -v[28:29]
	v_fma_f64 v[13:14], v[32:33], v[13:14], v[30:31]
	ds_write_b128 v38, v[11:14] offset:5296
.LBB82_180:
	s_or_b64 exec, exec, s[8:9]
	v_mov_b32_e32 v13, 0
	v_mov_b32_e32 v11, 0
	;; [unrolled: 1-line block ×4, first 2 shown]
	s_waitcnt lgkmcnt(0)
	s_barrier
	s_and_saveexec_b64 s[10:11], s[2:3]
	s_cbranch_execz .LBB82_186
; %bb.181:
	v_mul_u32_u24_e32 v28, 0x210, v22
	ds_read_b128 v[11:14], v28 offset:4224
	ds_read_b128 v[29:32], v18 offset:4288
	v_cmp_gt_u32_e64 s[8:9], 12, v1
	s_waitcnt lgkmcnt(0)
	v_mul_f64 v[33:34], v[13:14], v[31:32]
	v_mul_f64 v[31:32], v[11:12], v[31:32]
	v_fma_f64 v[11:12], v[11:12], v[29:30], -v[33:34]
	v_fma_f64 v[13:14], v[13:14], v[29:30], v[31:32]
	v_add_f64 v[11:12], v[11:12], 0
	v_add_f64 v[13:14], v[13:14], 0
	s_and_saveexec_b64 s[14:15], s[8:9]
	s_cbranch_execnz .LBB82_529
; %bb.182:
	s_or_b64 exec, exec, s[14:15]
	v_cmp_gt_u32_e64 s[8:9], 8, v1
	s_and_saveexec_b64 s[14:15], s[8:9]
	s_cbranch_execnz .LBB82_530
.LBB82_183:
	s_or_b64 exec, exec, s[14:15]
	v_cmp_gt_u32_e64 s[8:9], 4, v1
	s_and_saveexec_b64 s[14:15], s[8:9]
	s_cbranch_execz .LBB82_185
.LBB82_184:
	v_lshlrev_b32_e32 v32, 4, v0
	v_mov_b32_e32 v28, 0
	ds_read_b128 v[28:31], v28 offset:4272
	ds_read_b128 v[32:35], v32 offset:5824
	s_waitcnt lgkmcnt(0)
	v_mul_f64 v[36:37], v[30:31], v[34:35]
	v_mul_f64 v[34:35], v[28:29], v[34:35]
	v_fma_f64 v[28:29], v[28:29], v[32:33], -v[36:37]
	v_fma_f64 v[30:31], v[30:31], v[32:33], v[34:35]
	v_add_f64 v[11:12], v[11:12], v[28:29]
	v_add_f64 v[13:14], v[13:14], v[30:31]
.LBB82_185:
	s_or_b64 exec, exec, s[14:15]
	v_xor_b32_e32 v12, 0x80000000, v12
	v_xor_b32_e32 v14, 0x80000000, v14
.LBB82_186:
	s_or_b64 exec, exec, s[10:11]
	s_and_saveexec_b64 s[8:9], s[42:43]
	s_cbranch_execz .LBB82_188
; %bb.187:
	v_mov_b32_e32 v28, 0
	ds_read_b128 v[28:31], v28 offset:6336
	s_waitcnt lgkmcnt(0)
	v_mul_f64 v[32:33], v[13:14], v[30:31]
	v_mul_f64 v[30:31], v[11:12], v[30:31]
	v_fma_f64 v[11:12], v[11:12], v[28:29], -v[32:33]
	v_fma_f64 v[13:14], v[13:14], v[28:29], v[30:31]
	ds_write_b128 v20, v[11:14]
.LBB82_188:
	s_or_b64 exec, exec, s[8:9]
	s_waitcnt lgkmcnt(0)
	s_barrier
	s_and_saveexec_b64 s[8:9], s[44:45]
	s_cbranch_execz .LBB82_190
; %bb.189:
	ds_read_b128 v[28:31], v20
	ds_read_b128 v[32:35], v19 offset:6336
	s_waitcnt lgkmcnt(0)
	v_mul_f64 v[36:37], v[30:31], v[34:35]
	v_mul_f64 v[34:35], v[28:29], v[34:35]
	v_fma_f64 v[28:29], v[28:29], v[32:33], -v[36:37]
	v_fma_f64 v[30:31], v[30:31], v[32:33], v[34:35]
	v_add_f64 v[11:12], v[11:12], v[28:29]
	v_add_f64 v[13:14], v[13:14], v[30:31]
.LBB82_190:
	s_or_b64 exec, exec, s[8:9]
	s_barrier
	s_and_saveexec_b64 s[8:9], s[46:47]
	s_cbranch_execz .LBB82_192
; %bb.191:
	v_mov_b32_e32 v28, 0
	ds_read_b128 v[28:31], v28 offset:6864
	s_waitcnt lgkmcnt(0)
	v_mul_f64 v[32:33], v[13:14], v[30:31]
	v_mul_f64 v[30:31], v[11:12], v[30:31]
	v_fma_f64 v[11:12], v[11:12], v[28:29], -v[32:33]
	v_fma_f64 v[13:14], v[13:14], v[28:29], v[30:31]
	ds_write_b128 v20, v[11:14]
.LBB82_192:
	s_or_b64 exec, exec, s[8:9]
	s_waitcnt lgkmcnt(0)
	s_barrier
	s_and_saveexec_b64 s[8:9], s[48:49]
	s_cbranch_execz .LBB82_194
; %bb.193:
	ds_read_b128 v[28:31], v20
	ds_read_b128 v[32:35], v19 offset:6848
	s_waitcnt lgkmcnt(0)
	v_mul_f64 v[36:37], v[30:31], v[34:35]
	v_mul_f64 v[34:35], v[28:29], v[34:35]
	v_fma_f64 v[28:29], v[28:29], v[32:33], -v[36:37]
	v_fma_f64 v[30:31], v[30:31], v[32:33], v[34:35]
	v_add_f64 v[11:12], v[11:12], v[28:29]
	v_add_f64 v[13:14], v[13:14], v[30:31]
.LBB82_194:
	s_or_b64 exec, exec, s[8:9]
	s_barrier
	s_and_saveexec_b64 s[8:9], s[50:51]
	s_cbranch_execz .LBB82_196
; %bb.195:
	v_mov_b32_e32 v28, 0
	ds_read_b128 v[28:31], v28 offset:7392
	s_waitcnt lgkmcnt(0)
	v_mul_f64 v[32:33], v[13:14], v[30:31]
	v_mul_f64 v[30:31], v[11:12], v[30:31]
	v_fma_f64 v[11:12], v[11:12], v[28:29], -v[32:33]
	v_fma_f64 v[13:14], v[13:14], v[28:29], v[30:31]
	ds_write_b128 v20, v[11:14]
.LBB82_196:
	s_or_b64 exec, exec, s[8:9]
	s_waitcnt lgkmcnt(0)
	s_barrier
	s_and_saveexec_b64 s[8:9], s[40:41]
	s_cbranch_execz .LBB82_198
; %bb.197:
	v_mov_b32_e32 v32, 0
	ds_read_b128 v[28:31], v20
	ds_read_b128 v[32:35], v32 offset:7408
	s_waitcnt lgkmcnt(0)
	v_mul_f64 v[36:37], v[30:31], v[34:35]
	v_mul_f64 v[34:35], v[28:29], v[34:35]
	v_fma_f64 v[28:29], v[28:29], v[32:33], -v[36:37]
	v_fma_f64 v[30:31], v[30:31], v[32:33], v[34:35]
	v_add_f64 v[11:12], v[11:12], v[28:29]
	v_add_f64 v[13:14], v[13:14], v[30:31]
.LBB82_198:
	s_or_b64 exec, exec, s[8:9]
	s_barrier
	s_and_saveexec_b64 s[8:9], s[40:41]
	s_cbranch_execz .LBB82_200
; %bb.199:
	v_mov_b32_e32 v28, 0
	ds_read_b128 v[28:31], v28 offset:7920
	s_waitcnt lgkmcnt(0)
	v_mul_f64 v[32:33], v[13:14], v[30:31]
	v_mul_f64 v[30:31], v[11:12], v[30:31]
	v_fma_f64 v[11:12], v[11:12], v[28:29], -v[32:33]
	v_fma_f64 v[13:14], v[13:14], v[28:29], v[30:31]
	ds_write_b128 v20, v[11:14]
.LBB82_200:
	s_or_b64 exec, exec, s[8:9]
	s_waitcnt lgkmcnt(0)
	s_barrier
	s_barrier
	s_and_saveexec_b64 s[8:9], s[2:3]
; %bb.201:
	v_xor_b32_e32 v14, 0x80000000, v14
	v_xor_b32_e32 v12, 0x80000000, v12
	ds_write_b128 v18, v[11:14] offset:4288
; %bb.202:
	s_or_b64 exec, exec, s[8:9]
	s_waitcnt lgkmcnt(0)
	s_barrier
	s_barrier
	s_and_saveexec_b64 s[8:9], vcc
	s_cbranch_execz .LBB82_204
; %bb.203:
	v_mov_b32_e32 v38, 0
	ds_read_b128 v[11:14], v38 offset:6864
	ds_read_b128 v[28:31], v38 offset:6336
	;; [unrolled: 1-line block ×3, first 2 shown]
	s_waitcnt lgkmcnt(1)
	v_mul_f64 v[36:37], v[11:12], v[30:31]
	v_mul_f64 v[30:31], v[13:14], v[30:31]
	v_fma_f64 v[13:14], v[13:14], v[28:29], v[36:37]
	v_fma_f64 v[11:12], v[11:12], v[28:29], -v[30:31]
	s_waitcnt lgkmcnt(0)
	v_mul_f64 v[28:29], v[13:14], v[34:35]
	v_mul_f64 v[30:31], v[11:12], v[34:35]
	v_fma_f64 v[11:12], v[32:33], v[11:12], -v[28:29]
	v_fma_f64 v[13:14], v[32:33], v[13:14], v[30:31]
	ds_write_b128 v38, v[11:14] offset:6352
.LBB82_204:
	s_or_b64 exec, exec, s[8:9]
	v_mov_b32_e32 v13, 0
	v_mov_b32_e32 v11, 0
	;; [unrolled: 1-line block ×4, first 2 shown]
	s_waitcnt lgkmcnt(0)
	s_barrier
	s_and_saveexec_b64 s[10:11], s[0:1]
	s_cbranch_execz .LBB82_208
; %bb.205:
	v_mul_u32_u24_e32 v11, 0x210, v17
	ds_read_b128 v[11:14], v11 offset:6336
	ds_read_b128 v[28:31], v15 offset:6368
	v_cmp_gt_u32_e64 s[8:9], 2, v1
	s_waitcnt lgkmcnt(0)
	v_mul_f64 v[32:33], v[13:14], v[30:31]
	v_mul_f64 v[30:31], v[11:12], v[30:31]
	v_fma_f64 v[11:12], v[11:12], v[28:29], -v[32:33]
	v_fma_f64 v[13:14], v[13:14], v[28:29], v[30:31]
	v_add_f64 v[11:12], v[11:12], 0
	v_add_f64 v[13:14], v[13:14], 0
	s_and_saveexec_b64 s[14:15], s[8:9]
	s_cbranch_execz .LBB82_207
; %bb.206:
	v_lshlrev_b32_e32 v32, 4, v0
	v_mov_b32_e32 v28, 0
	ds_read_b128 v[28:31], v28 offset:6352
	ds_read_b128 v[32:35], v32 offset:6880
	s_waitcnt lgkmcnt(0)
	v_mul_f64 v[36:37], v[30:31], v[34:35]
	v_mul_f64 v[34:35], v[28:29], v[34:35]
	v_fma_f64 v[28:29], v[28:29], v[32:33], -v[36:37]
	v_fma_f64 v[30:31], v[30:31], v[32:33], v[34:35]
	v_add_f64 v[11:12], v[11:12], v[28:29]
	v_add_f64 v[13:14], v[13:14], v[30:31]
.LBB82_207:
	s_or_b64 exec, exec, s[14:15]
	v_xor_b32_e32 v12, 0x80000000, v12
	v_xor_b32_e32 v14, 0x80000000, v14
.LBB82_208:
	s_or_b64 exec, exec, s[10:11]
	s_and_saveexec_b64 s[8:9], s[38:39]
	s_cbranch_execz .LBB82_210
; %bb.209:
	v_mov_b32_e32 v28, 0
	ds_read_b128 v[28:31], v28 offset:7392
	s_waitcnt lgkmcnt(0)
	v_mul_f64 v[32:33], v[13:14], v[30:31]
	v_mul_f64 v[30:31], v[11:12], v[30:31]
	v_fma_f64 v[11:12], v[11:12], v[28:29], -v[32:33]
	v_fma_f64 v[13:14], v[13:14], v[28:29], v[30:31]
	ds_write_b128 v16, v[11:14]
.LBB82_210:
	s_or_b64 exec, exec, s[8:9]
	s_waitcnt lgkmcnt(0)
	s_barrier
	s_and_saveexec_b64 s[8:9], s[36:37]
	s_cbranch_execz .LBB82_212
; %bb.211:
	v_mov_b32_e32 v32, 0
	ds_read_b128 v[28:31], v16
	ds_read_b128 v[32:35], v32 offset:7408
	s_waitcnt lgkmcnt(0)
	v_mul_f64 v[36:37], v[30:31], v[34:35]
	v_mul_f64 v[34:35], v[28:29], v[34:35]
	v_fma_f64 v[28:29], v[28:29], v[32:33], -v[36:37]
	v_fma_f64 v[30:31], v[30:31], v[32:33], v[34:35]
	v_add_f64 v[11:12], v[11:12], v[28:29]
	v_add_f64 v[13:14], v[13:14], v[30:31]
.LBB82_212:
	s_or_b64 exec, exec, s[8:9]
	s_barrier
	s_and_saveexec_b64 s[8:9], s[36:37]
	s_cbranch_execz .LBB82_214
; %bb.213:
	v_mov_b32_e32 v28, 0
	ds_read_b128 v[28:31], v28 offset:7920
	s_waitcnt lgkmcnt(0)
	v_mul_f64 v[32:33], v[13:14], v[30:31]
	v_mul_f64 v[30:31], v[11:12], v[30:31]
	v_fma_f64 v[11:12], v[11:12], v[28:29], -v[32:33]
	v_fma_f64 v[13:14], v[13:14], v[28:29], v[30:31]
	ds_write_b128 v16, v[11:14]
.LBB82_214:
	s_or_b64 exec, exec, s[8:9]
	s_waitcnt lgkmcnt(0)
	s_barrier
	s_barrier
	s_and_saveexec_b64 s[8:9], s[0:1]
; %bb.215:
	v_xor_b32_e32 v12, 0x80000000, v12
	v_xor_b32_e32 v14, 0x80000000, v14
	ds_write_b128 v15, v[11:14] offset:6368
; %bb.216:
	s_or_b64 exec, exec, s[8:9]
	s_waitcnt lgkmcnt(0)
	s_barrier
	s_barrier
	s_and_saveexec_b64 s[8:9], vcc
	s_cbranch_execz .LBB82_218
; %bb.217:
	v_mov_b32_e32 v38, 0
	ds_read_b128 v[11:14], v38 offset:7920
	ds_read_b128 v[28:31], v38 offset:7392
	;; [unrolled: 1-line block ×3, first 2 shown]
	s_waitcnt lgkmcnt(1)
	v_mul_f64 v[36:37], v[11:12], v[30:31]
	v_mul_f64 v[30:31], v[13:14], v[30:31]
	v_fma_f64 v[13:14], v[13:14], v[28:29], v[36:37]
	v_fma_f64 v[11:12], v[11:12], v[28:29], -v[30:31]
	s_waitcnt lgkmcnt(0)
	v_mul_f64 v[28:29], v[13:14], v[34:35]
	v_mul_f64 v[30:31], v[11:12], v[34:35]
	v_fma_f64 v[11:12], v[32:33], v[11:12], -v[28:29]
	v_fma_f64 v[13:14], v[32:33], v[13:14], v[30:31]
	ds_write_b128 v38, v[11:14] offset:7408
.LBB82_218:
	s_or_b64 exec, exec, s[8:9]
	v_and_b32_e32 v29, 15, v0
	s_movk_i32 s8, 0xff
	v_lshrrev_b32_e32 v31, 4, v1
	v_cmp_lt_u32_e64 s[10:11], s8, v1
	s_movk_i32 s8, 0x100
	v_lshlrev_b32_e32 v30, 4, v29
	v_mov_b32_e32 v13, 0
	v_mov_b32_e32 v11, 0
	v_cmp_gt_u32_e64 s[8:9], s8, v1
	v_mov_b32_e32 v14, 0
	v_mov_b32_e32 v12, 0
	v_lshl_or_b32 v28, v31, 9, v30
	s_waitcnt lgkmcnt(0)
	s_barrier
	s_and_saveexec_b64 s[80:81], s[8:9]
	s_cbranch_execz .LBB82_246
; %bb.219:
	v_mul_u32_u24_e32 v32, 0x210, v31
	ds_read_b128 v[11:14], v32
	ds_read_b128 v[33:36], v28 offset:256
	s_movk_i32 s14, 0xf0
	v_cmp_gt_u32_e64 s[14:15], s14, v1
	s_waitcnt lgkmcnt(0)
	v_mul_f64 v[37:38], v[13:14], v[35:36]
	v_mul_f64 v[35:36], v[11:12], v[35:36]
	v_fma_f64 v[11:12], v[11:12], v[33:34], -v[37:38]
	v_fma_f64 v[13:14], v[13:14], v[33:34], v[35:36]
	v_add_f64 v[11:12], v[11:12], 0
	v_add_f64 v[13:14], v[13:14], 0
	s_and_saveexec_b64 s[82:83], s[14:15]
	s_cbranch_execz .LBB82_221
; %bb.220:
	ds_read_b128 v[33:36], v32 offset:16
	ds_read_b128 v[37:40], v28 offset:768
	s_waitcnt lgkmcnt(0)
	v_mul_f64 v[41:42], v[35:36], v[39:40]
	v_mul_f64 v[39:40], v[33:34], v[39:40]
	v_fma_f64 v[33:34], v[33:34], v[37:38], -v[41:42]
	v_fma_f64 v[35:36], v[35:36], v[37:38], v[39:40]
	v_add_f64 v[11:12], v[11:12], v[33:34]
	v_add_f64 v[13:14], v[13:14], v[35:36]
.LBB82_221:
	s_or_b64 exec, exec, s[82:83]
	s_movk_i32 s14, 0xe0
	v_cmp_gt_u32_e64 s[14:15], s14, v1
	s_and_saveexec_b64 s[82:83], s[14:15]
	s_cbranch_execz .LBB82_223
; %bb.222:
	ds_read_b128 v[33:36], v32 offset:32
	ds_read_b128 v[37:40], v28 offset:1280
	s_waitcnt lgkmcnt(0)
	v_mul_f64 v[41:42], v[35:36], v[39:40]
	v_mul_f64 v[39:40], v[33:34], v[39:40]
	v_fma_f64 v[33:34], v[33:34], v[37:38], -v[41:42]
	v_fma_f64 v[35:36], v[35:36], v[37:38], v[39:40]
	v_add_f64 v[11:12], v[11:12], v[33:34]
	v_add_f64 v[13:14], v[13:14], v[35:36]
.LBB82_223:
	s_or_b64 exec, exec, s[82:83]
	s_movk_i32 s14, 0xd0
	v_cmp_gt_u32_e64 s[14:15], s14, v1
	;; [unrolled: 16-line block ×10, first 2 shown]
	s_and_saveexec_b64 s[82:83], s[14:15]
	s_cbranch_execnz .LBB82_531
; %bb.240:
	s_or_b64 exec, exec, s[82:83]
	v_cmp_gt_u32_e64 s[14:15], 64, v1
	s_and_saveexec_b64 s[82:83], s[14:15]
	s_cbranch_execnz .LBB82_532
.LBB82_241:
	s_or_b64 exec, exec, s[82:83]
	v_cmp_gt_u32_e64 s[14:15], 48, v1
	s_and_saveexec_b64 s[82:83], s[14:15]
	s_cbranch_execnz .LBB82_533
.LBB82_242:
	s_or_b64 exec, exec, s[82:83]
	v_cmp_gt_u32_e64 s[14:15], 32, v1
	s_and_saveexec_b64 s[82:83], s[14:15]
	s_cbranch_execnz .LBB82_534
.LBB82_243:
	s_or_b64 exec, exec, s[82:83]
	v_cmp_gt_u32_e64 s[14:15], 16, v1
	s_and_saveexec_b64 s[82:83], s[14:15]
	s_cbranch_execz .LBB82_245
.LBB82_244:
	v_lshlrev_b32_e32 v36, 4, v0
	v_mov_b32_e32 v32, 0
	ds_read_b128 v[32:35], v32 offset:240
	ds_read_b128 v[36:39], v36 offset:7936
	s_waitcnt lgkmcnt(0)
	v_mul_f64 v[40:41], v[34:35], v[38:39]
	v_mul_f64 v[38:39], v[32:33], v[38:39]
	v_fma_f64 v[32:33], v[32:33], v[36:37], -v[40:41]
	v_fma_f64 v[34:35], v[34:35], v[36:37], v[38:39]
	v_add_f64 v[11:12], v[11:12], v[32:33]
	v_add_f64 v[13:14], v[13:14], v[34:35]
.LBB82_245:
	s_or_b64 exec, exec, s[82:83]
	v_xor_b32_e32 v12, 0x80000000, v12
	v_xor_b32_e32 v14, 0x80000000, v14
.LBB82_246:
	s_or_b64 exec, exec, s[80:81]
	v_mov_b32_e32 v32, 0x4000
	v_cmp_eq_u32_e64 s[14:15], 0, v29
	s_xor_b64 s[80:81], s[10:11], -1
	v_lshl_add_u32 v31, v31, 4, v32
	s_and_b64 s[14:15], s[14:15], s[80:81]
	s_and_saveexec_b64 s[10:11], s[14:15]
	s_cbranch_execz .LBB82_248
; %bb.247:
	v_mov_b32_e32 v32, 0
	ds_read_b128 v[32:35], v32 offset:8448
	s_waitcnt lgkmcnt(0)
	v_mul_f64 v[36:37], v[13:14], v[34:35]
	v_mul_f64 v[34:35], v[11:12], v[34:35]
	v_fma_f64 v[11:12], v[11:12], v[32:33], -v[36:37]
	v_fma_f64 v[13:14], v[13:14], v[32:33], v[34:35]
	ds_write_b128 v31, v[11:14]
.LBB82_248:
	s_or_b64 exec, exec, s[10:11]
	v_cmp_ne_u32_e64 s[10:11], 0, v29
	s_and_b64 s[14:15], s[10:11], s[80:81]
	s_waitcnt lgkmcnt(0)
	s_barrier
	s_and_saveexec_b64 s[10:11], s[14:15]
	s_cbranch_execz .LBB82_250
; %bb.249:
	ds_read_b128 v[32:35], v31
	ds_read_b128 v[36:39], v30 offset:8448
	s_waitcnt lgkmcnt(0)
	v_mul_f64 v[40:41], v[34:35], v[38:39]
	v_mul_f64 v[38:39], v[32:33], v[38:39]
	v_fma_f64 v[32:33], v[32:33], v[36:37], -v[40:41]
	v_fma_f64 v[34:35], v[34:35], v[36:37], v[38:39]
	v_add_f64 v[11:12], v[11:12], v[32:33]
	v_add_f64 v[13:14], v[13:14], v[34:35]
.LBB82_250:
	s_or_b64 exec, exec, s[10:11]
	v_cmp_eq_u32_e64 s[10:11], 1, v29
	s_and_b64 s[14:15], s[10:11], s[80:81]
	s_barrier
	s_and_saveexec_b64 s[10:11], s[14:15]
	s_cbranch_execz .LBB82_252
; %bb.251:
	v_mov_b32_e32 v32, 0
	ds_read_b128 v[32:35], v32 offset:8976
	s_waitcnt lgkmcnt(0)
	v_mul_f64 v[36:37], v[13:14], v[34:35]
	v_mul_f64 v[34:35], v[11:12], v[34:35]
	v_fma_f64 v[11:12], v[11:12], v[32:33], -v[36:37]
	v_fma_f64 v[13:14], v[13:14], v[32:33], v[34:35]
	ds_write_b128 v31, v[11:14]
.LBB82_252:
	s_or_b64 exec, exec, s[10:11]
	v_cmp_lt_u32_e64 s[10:11], 1, v29
	s_and_b64 s[14:15], s[10:11], s[80:81]
	s_waitcnt lgkmcnt(0)
	s_barrier
	s_and_saveexec_b64 s[10:11], s[14:15]
	s_cbranch_execz .LBB82_254
; %bb.253:
	ds_read_b128 v[32:35], v31
	ds_read_b128 v[36:39], v30 offset:8960
	s_waitcnt lgkmcnt(0)
	v_mul_f64 v[40:41], v[34:35], v[38:39]
	v_mul_f64 v[38:39], v[32:33], v[38:39]
	v_fma_f64 v[32:33], v[32:33], v[36:37], -v[40:41]
	v_fma_f64 v[34:35], v[34:35], v[36:37], v[38:39]
	v_add_f64 v[11:12], v[11:12], v[32:33]
	v_add_f64 v[13:14], v[13:14], v[34:35]
.LBB82_254:
	s_or_b64 exec, exec, s[10:11]
	v_cmp_eq_u32_e64 s[10:11], 2, v29
	s_and_b64 s[14:15], s[10:11], s[80:81]
	s_barrier
	s_and_saveexec_b64 s[10:11], s[14:15]
	s_cbranch_execz .LBB82_256
; %bb.255:
	v_mov_b32_e32 v32, 0
	ds_read_b128 v[32:35], v32 offset:9504
	s_waitcnt lgkmcnt(0)
	v_mul_f64 v[36:37], v[13:14], v[34:35]
	v_mul_f64 v[34:35], v[11:12], v[34:35]
	v_fma_f64 v[11:12], v[11:12], v[32:33], -v[36:37]
	v_fma_f64 v[13:14], v[13:14], v[32:33], v[34:35]
	ds_write_b128 v31, v[11:14]
.LBB82_256:
	s_or_b64 exec, exec, s[10:11]
	v_cmp_lt_u32_e64 s[10:11], 2, v29
	;; [unrolled: 34-line block ×13, first 2 shown]
	s_and_b64 s[14:15], s[10:11], s[80:81]
	s_waitcnt lgkmcnt(0)
	s_barrier
	s_and_saveexec_b64 s[10:11], s[14:15]
	s_cbranch_execz .LBB82_302
; %bb.301:
	ds_read_b128 v[32:35], v31
	ds_read_b128 v[36:39], v30 offset:15104
	s_waitcnt lgkmcnt(0)
	v_mul_f64 v[40:41], v[34:35], v[38:39]
	v_mul_f64 v[38:39], v[32:33], v[38:39]
	v_fma_f64 v[32:33], v[32:33], v[36:37], -v[40:41]
	v_fma_f64 v[34:35], v[34:35], v[36:37], v[38:39]
	v_add_f64 v[11:12], v[11:12], v[32:33]
	v_add_f64 v[13:14], v[13:14], v[34:35]
.LBB82_302:
	s_or_b64 exec, exec, s[10:11]
	v_cmp_eq_u32_e64 s[10:11], 14, v29
	s_and_b64 s[14:15], s[10:11], s[80:81]
	s_barrier
	s_and_saveexec_b64 s[10:11], s[14:15]
	s_cbranch_execz .LBB82_304
; %bb.303:
	v_mov_b32_e32 v30, 0
	ds_read_b128 v[32:35], v30 offset:15840
	s_waitcnt lgkmcnt(0)
	v_mul_f64 v[36:37], v[13:14], v[34:35]
	v_mul_f64 v[34:35], v[11:12], v[34:35]
	v_fma_f64 v[11:12], v[11:12], v[32:33], -v[36:37]
	v_fma_f64 v[13:14], v[13:14], v[32:33], v[34:35]
	ds_write_b128 v31, v[11:14]
.LBB82_304:
	s_or_b64 exec, exec, s[10:11]
	v_cmp_eq_u32_e64 s[10:11], 15, v29
	s_and_b64 s[10:11], s[10:11], s[80:81]
	s_waitcnt lgkmcnt(0)
	s_barrier
	s_and_saveexec_b64 s[14:15], s[10:11]
	s_cbranch_execz .LBB82_306
; %bb.305:
	v_mov_b32_e32 v29, 0
	ds_read_b128 v[32:35], v31
	ds_read_b128 v[36:39], v29 offset:15856
	s_waitcnt lgkmcnt(0)
	v_mul_f64 v[29:30], v[34:35], v[38:39]
	v_mul_f64 v[38:39], v[32:33], v[38:39]
	v_fma_f64 v[29:30], v[32:33], v[36:37], -v[29:30]
	v_fma_f64 v[32:33], v[34:35], v[36:37], v[38:39]
	v_add_f64 v[11:12], v[11:12], v[29:30]
	v_add_f64 v[13:14], v[13:14], v[32:33]
.LBB82_306:
	s_or_b64 exec, exec, s[14:15]
	s_barrier
	s_and_saveexec_b64 s[14:15], s[10:11]
	s_cbranch_execz .LBB82_308
; %bb.307:
	v_mov_b32_e32 v29, 0
	ds_read_b128 v[32:35], v29 offset:16368
	s_waitcnt lgkmcnt(0)
	v_mul_f64 v[29:30], v[13:14], v[34:35]
	v_mul_f64 v[34:35], v[11:12], v[34:35]
	v_fma_f64 v[11:12], v[11:12], v[32:33], -v[29:30]
	v_fma_f64 v[13:14], v[13:14], v[32:33], v[34:35]
	ds_write_b128 v31, v[11:14]
.LBB82_308:
	s_or_b64 exec, exec, s[14:15]
	s_waitcnt lgkmcnt(0)
	s_barrier
	s_barrier
	s_and_saveexec_b64 s[10:11], s[8:9]
; %bb.309:
	v_xor_b32_e32 v14, 0x80000000, v14
	v_xor_b32_e32 v12, 0x80000000, v12
	ds_write_b128 v28, v[11:14] offset:256
; %bb.310:
	s_or_b64 exec, exec, s[10:11]
	s_waitcnt lgkmcnt(0)
	s_barrier
	s_barrier
	s_and_saveexec_b64 s[8:9], vcc
	s_cbranch_execz .LBB82_312
; %bb.311:
	v_mov_b32_e32 v38, 0
	ds_read_b128 v[11:14], v38 offset:8976
	ds_read_b128 v[28:31], v38 offset:8448
	;; [unrolled: 1-line block ×3, first 2 shown]
	s_waitcnt lgkmcnt(1)
	v_mul_f64 v[36:37], v[11:12], v[30:31]
	v_mul_f64 v[30:31], v[13:14], v[30:31]
	v_fma_f64 v[13:14], v[13:14], v[28:29], v[36:37]
	v_fma_f64 v[11:12], v[11:12], v[28:29], -v[30:31]
	s_waitcnt lgkmcnt(0)
	v_mul_f64 v[28:29], v[13:14], v[34:35]
	v_mul_f64 v[30:31], v[11:12], v[34:35]
	v_fma_f64 v[11:12], v[32:33], v[11:12], -v[28:29]
	v_fma_f64 v[13:14], v[32:33], v[13:14], v[30:31]
	ds_write_b128 v38, v[11:14] offset:8464
.LBB82_312:
	s_or_b64 exec, exec, s[8:9]
	v_mov_b32_e32 v13, 0
	v_mov_b32_e32 v11, 0
	;; [unrolled: 1-line block ×4, first 2 shown]
	s_waitcnt lgkmcnt(0)
	s_barrier
	s_and_saveexec_b64 s[10:11], s[0:1]
	s_cbranch_execz .LBB82_316
; %bb.313:
	v_mul_u32_u24_e32 v11, 0x210, v17
	ds_read_b128 v[11:14], v11 offset:8448
	ds_read_b128 v[28:31], v15 offset:8480
	v_cmp_gt_u32_e64 s[8:9], 2, v1
	s_waitcnt lgkmcnt(0)
	v_mul_f64 v[32:33], v[13:14], v[30:31]
	v_mul_f64 v[30:31], v[11:12], v[30:31]
	v_fma_f64 v[11:12], v[11:12], v[28:29], -v[32:33]
	v_fma_f64 v[13:14], v[13:14], v[28:29], v[30:31]
	v_add_f64 v[11:12], v[11:12], 0
	v_add_f64 v[13:14], v[13:14], 0
	s_and_saveexec_b64 s[14:15], s[8:9]
	s_cbranch_execz .LBB82_315
; %bb.314:
	v_lshlrev_b32_e32 v32, 4, v0
	v_mov_b32_e32 v28, 0
	ds_read_b128 v[28:31], v28 offset:8464
	ds_read_b128 v[32:35], v32 offset:8992
	s_waitcnt lgkmcnt(0)
	v_mul_f64 v[36:37], v[30:31], v[34:35]
	v_mul_f64 v[34:35], v[28:29], v[34:35]
	v_fma_f64 v[28:29], v[28:29], v[32:33], -v[36:37]
	v_fma_f64 v[30:31], v[30:31], v[32:33], v[34:35]
	v_add_f64 v[11:12], v[11:12], v[28:29]
	v_add_f64 v[13:14], v[13:14], v[30:31]
.LBB82_315:
	s_or_b64 exec, exec, s[14:15]
	v_xor_b32_e32 v12, 0x80000000, v12
	v_xor_b32_e32 v14, 0x80000000, v14
.LBB82_316:
	s_or_b64 exec, exec, s[10:11]
	s_and_saveexec_b64 s[8:9], s[38:39]
	s_cbranch_execz .LBB82_318
; %bb.317:
	v_mov_b32_e32 v28, 0
	ds_read_b128 v[28:31], v28 offset:9504
	s_waitcnt lgkmcnt(0)
	v_mul_f64 v[32:33], v[13:14], v[30:31]
	v_mul_f64 v[30:31], v[11:12], v[30:31]
	v_fma_f64 v[11:12], v[11:12], v[28:29], -v[32:33]
	v_fma_f64 v[13:14], v[13:14], v[28:29], v[30:31]
	ds_write_b128 v16, v[11:14]
.LBB82_318:
	s_or_b64 exec, exec, s[8:9]
	s_waitcnt lgkmcnt(0)
	s_barrier
	s_and_saveexec_b64 s[8:9], s[36:37]
	s_cbranch_execz .LBB82_320
; %bb.319:
	v_mov_b32_e32 v32, 0
	ds_read_b128 v[28:31], v16
	ds_read_b128 v[32:35], v32 offset:9520
	s_waitcnt lgkmcnt(0)
	v_mul_f64 v[36:37], v[30:31], v[34:35]
	v_mul_f64 v[34:35], v[28:29], v[34:35]
	v_fma_f64 v[28:29], v[28:29], v[32:33], -v[36:37]
	v_fma_f64 v[30:31], v[30:31], v[32:33], v[34:35]
	v_add_f64 v[11:12], v[11:12], v[28:29]
	v_add_f64 v[13:14], v[13:14], v[30:31]
.LBB82_320:
	s_or_b64 exec, exec, s[8:9]
	s_barrier
	s_and_saveexec_b64 s[8:9], s[36:37]
	s_cbranch_execz .LBB82_322
; %bb.321:
	v_mov_b32_e32 v28, 0
	ds_read_b128 v[28:31], v28 offset:10032
	s_waitcnt lgkmcnt(0)
	v_mul_f64 v[32:33], v[13:14], v[30:31]
	v_mul_f64 v[30:31], v[11:12], v[30:31]
	v_fma_f64 v[11:12], v[11:12], v[28:29], -v[32:33]
	v_fma_f64 v[13:14], v[13:14], v[28:29], v[30:31]
	ds_write_b128 v16, v[11:14]
.LBB82_322:
	s_or_b64 exec, exec, s[8:9]
	s_waitcnt lgkmcnt(0)
	s_barrier
	s_barrier
	s_and_saveexec_b64 s[8:9], s[0:1]
; %bb.323:
	v_xor_b32_e32 v12, 0x80000000, v12
	v_xor_b32_e32 v14, 0x80000000, v14
	ds_write_b128 v15, v[11:14] offset:8480
; %bb.324:
	s_or_b64 exec, exec, s[8:9]
	s_waitcnt lgkmcnt(0)
	s_barrier
	s_barrier
	s_and_saveexec_b64 s[8:9], vcc
	s_cbranch_execz .LBB82_326
; %bb.325:
	v_mov_b32_e32 v38, 0
	ds_read_b128 v[11:14], v38 offset:10032
	ds_read_b128 v[28:31], v38 offset:9504
	ds_read_b128 v[32:35], v38 offset:9520
	s_waitcnt lgkmcnt(1)
	v_mul_f64 v[36:37], v[11:12], v[30:31]
	v_mul_f64 v[30:31], v[13:14], v[30:31]
	v_fma_f64 v[13:14], v[13:14], v[28:29], v[36:37]
	v_fma_f64 v[11:12], v[11:12], v[28:29], -v[30:31]
	s_waitcnt lgkmcnt(0)
	v_mul_f64 v[28:29], v[13:14], v[34:35]
	v_mul_f64 v[30:31], v[11:12], v[34:35]
	v_fma_f64 v[11:12], v[32:33], v[11:12], -v[28:29]
	v_fma_f64 v[13:14], v[32:33], v[13:14], v[30:31]
	ds_write_b128 v38, v[11:14] offset:9520
.LBB82_326:
	s_or_b64 exec, exec, s[8:9]
	v_mov_b32_e32 v13, 0
	v_mov_b32_e32 v11, 0
	;; [unrolled: 1-line block ×4, first 2 shown]
	s_waitcnt lgkmcnt(0)
	s_barrier
	s_and_saveexec_b64 s[10:11], s[2:3]
	s_cbranch_execz .LBB82_332
; %bb.327:
	v_mul_u32_u24_e32 v28, 0x210, v22
	ds_read_b128 v[11:14], v28 offset:8448
	ds_read_b128 v[29:32], v18 offset:8512
	v_cmp_gt_u32_e64 s[8:9], 12, v1
	s_waitcnt lgkmcnt(0)
	v_mul_f64 v[33:34], v[13:14], v[31:32]
	v_mul_f64 v[31:32], v[11:12], v[31:32]
	v_fma_f64 v[11:12], v[11:12], v[29:30], -v[33:34]
	v_fma_f64 v[13:14], v[13:14], v[29:30], v[31:32]
	v_add_f64 v[11:12], v[11:12], 0
	v_add_f64 v[13:14], v[13:14], 0
	s_and_saveexec_b64 s[14:15], s[8:9]
	s_cbranch_execnz .LBB82_535
; %bb.328:
	s_or_b64 exec, exec, s[14:15]
	v_cmp_gt_u32_e64 s[8:9], 8, v1
	s_and_saveexec_b64 s[14:15], s[8:9]
	s_cbranch_execnz .LBB82_536
.LBB82_329:
	s_or_b64 exec, exec, s[14:15]
	v_cmp_gt_u32_e64 s[8:9], 4, v1
	s_and_saveexec_b64 s[14:15], s[8:9]
	s_cbranch_execz .LBB82_331
.LBB82_330:
	v_lshlrev_b32_e32 v32, 4, v0
	v_mov_b32_e32 v28, 0
	ds_read_b128 v[28:31], v28 offset:8496
	ds_read_b128 v[32:35], v32 offset:10048
	s_waitcnt lgkmcnt(0)
	v_mul_f64 v[36:37], v[30:31], v[34:35]
	v_mul_f64 v[34:35], v[28:29], v[34:35]
	v_fma_f64 v[28:29], v[28:29], v[32:33], -v[36:37]
	v_fma_f64 v[30:31], v[30:31], v[32:33], v[34:35]
	v_add_f64 v[11:12], v[11:12], v[28:29]
	v_add_f64 v[13:14], v[13:14], v[30:31]
.LBB82_331:
	s_or_b64 exec, exec, s[14:15]
	v_xor_b32_e32 v12, 0x80000000, v12
	v_xor_b32_e32 v14, 0x80000000, v14
.LBB82_332:
	s_or_b64 exec, exec, s[10:11]
	s_and_saveexec_b64 s[8:9], s[42:43]
	s_cbranch_execz .LBB82_334
; %bb.333:
	v_mov_b32_e32 v28, 0
	ds_read_b128 v[28:31], v28 offset:10560
	s_waitcnt lgkmcnt(0)
	v_mul_f64 v[32:33], v[13:14], v[30:31]
	v_mul_f64 v[30:31], v[11:12], v[30:31]
	v_fma_f64 v[11:12], v[11:12], v[28:29], -v[32:33]
	v_fma_f64 v[13:14], v[13:14], v[28:29], v[30:31]
	ds_write_b128 v20, v[11:14]
.LBB82_334:
	s_or_b64 exec, exec, s[8:9]
	s_waitcnt lgkmcnt(0)
	s_barrier
	s_and_saveexec_b64 s[8:9], s[44:45]
	s_cbranch_execz .LBB82_336
; %bb.335:
	ds_read_b128 v[28:31], v20
	ds_read_b128 v[32:35], v19 offset:10560
	s_waitcnt lgkmcnt(0)
	v_mul_f64 v[36:37], v[30:31], v[34:35]
	v_mul_f64 v[34:35], v[28:29], v[34:35]
	v_fma_f64 v[28:29], v[28:29], v[32:33], -v[36:37]
	v_fma_f64 v[30:31], v[30:31], v[32:33], v[34:35]
	v_add_f64 v[11:12], v[11:12], v[28:29]
	v_add_f64 v[13:14], v[13:14], v[30:31]
.LBB82_336:
	s_or_b64 exec, exec, s[8:9]
	s_barrier
	s_and_saveexec_b64 s[8:9], s[46:47]
	s_cbranch_execz .LBB82_338
; %bb.337:
	v_mov_b32_e32 v28, 0
	ds_read_b128 v[28:31], v28 offset:11088
	s_waitcnt lgkmcnt(0)
	v_mul_f64 v[32:33], v[13:14], v[30:31]
	v_mul_f64 v[30:31], v[11:12], v[30:31]
	v_fma_f64 v[11:12], v[11:12], v[28:29], -v[32:33]
	v_fma_f64 v[13:14], v[13:14], v[28:29], v[30:31]
	ds_write_b128 v20, v[11:14]
.LBB82_338:
	s_or_b64 exec, exec, s[8:9]
	s_waitcnt lgkmcnt(0)
	s_barrier
	s_and_saveexec_b64 s[8:9], s[48:49]
	s_cbranch_execz .LBB82_340
; %bb.339:
	ds_read_b128 v[28:31], v20
	ds_read_b128 v[32:35], v19 offset:11072
	s_waitcnt lgkmcnt(0)
	v_mul_f64 v[36:37], v[30:31], v[34:35]
	v_mul_f64 v[34:35], v[28:29], v[34:35]
	v_fma_f64 v[28:29], v[28:29], v[32:33], -v[36:37]
	v_fma_f64 v[30:31], v[30:31], v[32:33], v[34:35]
	v_add_f64 v[11:12], v[11:12], v[28:29]
	v_add_f64 v[13:14], v[13:14], v[30:31]
.LBB82_340:
	s_or_b64 exec, exec, s[8:9]
	s_barrier
	s_and_saveexec_b64 s[8:9], s[50:51]
	s_cbranch_execz .LBB82_342
; %bb.341:
	v_mov_b32_e32 v28, 0
	ds_read_b128 v[28:31], v28 offset:11616
	s_waitcnt lgkmcnt(0)
	v_mul_f64 v[32:33], v[13:14], v[30:31]
	v_mul_f64 v[30:31], v[11:12], v[30:31]
	v_fma_f64 v[11:12], v[11:12], v[28:29], -v[32:33]
	v_fma_f64 v[13:14], v[13:14], v[28:29], v[30:31]
	ds_write_b128 v20, v[11:14]
.LBB82_342:
	s_or_b64 exec, exec, s[8:9]
	s_waitcnt lgkmcnt(0)
	s_barrier
	s_and_saveexec_b64 s[8:9], s[40:41]
	s_cbranch_execz .LBB82_344
; %bb.343:
	v_mov_b32_e32 v32, 0
	ds_read_b128 v[28:31], v20
	ds_read_b128 v[32:35], v32 offset:11632
	s_waitcnt lgkmcnt(0)
	v_mul_f64 v[36:37], v[30:31], v[34:35]
	v_mul_f64 v[34:35], v[28:29], v[34:35]
	v_fma_f64 v[28:29], v[28:29], v[32:33], -v[36:37]
	v_fma_f64 v[30:31], v[30:31], v[32:33], v[34:35]
	v_add_f64 v[11:12], v[11:12], v[28:29]
	v_add_f64 v[13:14], v[13:14], v[30:31]
.LBB82_344:
	s_or_b64 exec, exec, s[8:9]
	s_barrier
	s_and_saveexec_b64 s[8:9], s[40:41]
	s_cbranch_execz .LBB82_346
; %bb.345:
	v_mov_b32_e32 v28, 0
	ds_read_b128 v[28:31], v28 offset:12144
	s_waitcnt lgkmcnt(0)
	v_mul_f64 v[32:33], v[13:14], v[30:31]
	v_mul_f64 v[30:31], v[11:12], v[30:31]
	v_fma_f64 v[11:12], v[11:12], v[28:29], -v[32:33]
	v_fma_f64 v[13:14], v[13:14], v[28:29], v[30:31]
	ds_write_b128 v20, v[11:14]
.LBB82_346:
	s_or_b64 exec, exec, s[8:9]
	s_waitcnt lgkmcnt(0)
	s_barrier
	s_barrier
	s_and_saveexec_b64 s[8:9], s[2:3]
; %bb.347:
	v_xor_b32_e32 v14, 0x80000000, v14
	v_xor_b32_e32 v12, 0x80000000, v12
	ds_write_b128 v18, v[11:14] offset:8512
; %bb.348:
	s_or_b64 exec, exec, s[8:9]
	s_waitcnt lgkmcnt(0)
	s_barrier
	s_barrier
	s_and_saveexec_b64 s[8:9], vcc
	s_cbranch_execz .LBB82_350
; %bb.349:
	v_mov_b32_e32 v38, 0
	ds_read_b128 v[11:14], v38 offset:11088
	ds_read_b128 v[28:31], v38 offset:10560
	;; [unrolled: 1-line block ×3, first 2 shown]
	s_waitcnt lgkmcnt(1)
	v_mul_f64 v[36:37], v[11:12], v[30:31]
	v_mul_f64 v[30:31], v[13:14], v[30:31]
	v_fma_f64 v[13:14], v[13:14], v[28:29], v[36:37]
	v_fma_f64 v[11:12], v[11:12], v[28:29], -v[30:31]
	s_waitcnt lgkmcnt(0)
	v_mul_f64 v[28:29], v[13:14], v[34:35]
	v_mul_f64 v[30:31], v[11:12], v[34:35]
	v_fma_f64 v[11:12], v[32:33], v[11:12], -v[28:29]
	v_fma_f64 v[13:14], v[32:33], v[13:14], v[30:31]
	ds_write_b128 v38, v[11:14] offset:10576
.LBB82_350:
	s_or_b64 exec, exec, s[8:9]
	v_mov_b32_e32 v13, 0
	v_mov_b32_e32 v11, 0
	;; [unrolled: 1-line block ×4, first 2 shown]
	s_waitcnt lgkmcnt(0)
	s_barrier
	s_and_saveexec_b64 s[10:11], s[0:1]
	s_cbranch_execz .LBB82_354
; %bb.351:
	v_mul_u32_u24_e32 v11, 0x210, v17
	ds_read_b128 v[11:14], v11 offset:10560
	ds_read_b128 v[28:31], v15 offset:10592
	v_cmp_gt_u32_e64 s[8:9], 2, v1
	s_waitcnt lgkmcnt(0)
	v_mul_f64 v[32:33], v[13:14], v[30:31]
	v_mul_f64 v[30:31], v[11:12], v[30:31]
	v_fma_f64 v[11:12], v[11:12], v[28:29], -v[32:33]
	v_fma_f64 v[13:14], v[13:14], v[28:29], v[30:31]
	v_add_f64 v[11:12], v[11:12], 0
	v_add_f64 v[13:14], v[13:14], 0
	s_and_saveexec_b64 s[14:15], s[8:9]
	s_cbranch_execz .LBB82_353
; %bb.352:
	v_lshlrev_b32_e32 v32, 4, v0
	v_mov_b32_e32 v28, 0
	ds_read_b128 v[28:31], v28 offset:10576
	ds_read_b128 v[32:35], v32 offset:11104
	s_waitcnt lgkmcnt(0)
	v_mul_f64 v[36:37], v[30:31], v[34:35]
	v_mul_f64 v[34:35], v[28:29], v[34:35]
	v_fma_f64 v[28:29], v[28:29], v[32:33], -v[36:37]
	v_fma_f64 v[30:31], v[30:31], v[32:33], v[34:35]
	v_add_f64 v[11:12], v[11:12], v[28:29]
	v_add_f64 v[13:14], v[13:14], v[30:31]
.LBB82_353:
	s_or_b64 exec, exec, s[14:15]
	v_xor_b32_e32 v12, 0x80000000, v12
	v_xor_b32_e32 v14, 0x80000000, v14
.LBB82_354:
	s_or_b64 exec, exec, s[10:11]
	s_and_saveexec_b64 s[8:9], s[38:39]
	s_cbranch_execz .LBB82_356
; %bb.355:
	v_mov_b32_e32 v28, 0
	ds_read_b128 v[28:31], v28 offset:11616
	s_waitcnt lgkmcnt(0)
	v_mul_f64 v[32:33], v[13:14], v[30:31]
	v_mul_f64 v[30:31], v[11:12], v[30:31]
	v_fma_f64 v[11:12], v[11:12], v[28:29], -v[32:33]
	v_fma_f64 v[13:14], v[13:14], v[28:29], v[30:31]
	ds_write_b128 v16, v[11:14]
.LBB82_356:
	s_or_b64 exec, exec, s[8:9]
	s_waitcnt lgkmcnt(0)
	s_barrier
	s_and_saveexec_b64 s[8:9], s[36:37]
	s_cbranch_execz .LBB82_358
; %bb.357:
	v_mov_b32_e32 v32, 0
	ds_read_b128 v[28:31], v16
	ds_read_b128 v[32:35], v32 offset:11632
	s_waitcnt lgkmcnt(0)
	v_mul_f64 v[36:37], v[30:31], v[34:35]
	v_mul_f64 v[34:35], v[28:29], v[34:35]
	v_fma_f64 v[28:29], v[28:29], v[32:33], -v[36:37]
	v_fma_f64 v[30:31], v[30:31], v[32:33], v[34:35]
	v_add_f64 v[11:12], v[11:12], v[28:29]
	v_add_f64 v[13:14], v[13:14], v[30:31]
.LBB82_358:
	s_or_b64 exec, exec, s[8:9]
	s_barrier
	s_and_saveexec_b64 s[8:9], s[36:37]
	s_cbranch_execz .LBB82_360
; %bb.359:
	v_mov_b32_e32 v28, 0
	ds_read_b128 v[28:31], v28 offset:12144
	s_waitcnt lgkmcnt(0)
	v_mul_f64 v[32:33], v[13:14], v[30:31]
	v_mul_f64 v[30:31], v[11:12], v[30:31]
	v_fma_f64 v[11:12], v[11:12], v[28:29], -v[32:33]
	v_fma_f64 v[13:14], v[13:14], v[28:29], v[30:31]
	ds_write_b128 v16, v[11:14]
.LBB82_360:
	s_or_b64 exec, exec, s[8:9]
	s_waitcnt lgkmcnt(0)
	s_barrier
	s_barrier
	s_and_saveexec_b64 s[8:9], s[0:1]
; %bb.361:
	v_xor_b32_e32 v12, 0x80000000, v12
	v_xor_b32_e32 v14, 0x80000000, v14
	ds_write_b128 v15, v[11:14] offset:10592
; %bb.362:
	s_or_b64 exec, exec, s[8:9]
	s_waitcnt lgkmcnt(0)
	s_barrier
	s_barrier
	s_and_saveexec_b64 s[8:9], vcc
	s_cbranch_execz .LBB82_364
; %bb.363:
	v_mov_b32_e32 v38, 0
	ds_read_b128 v[11:14], v38 offset:12144
	ds_read_b128 v[28:31], v38 offset:11616
	;; [unrolled: 1-line block ×3, first 2 shown]
	s_waitcnt lgkmcnt(1)
	v_mul_f64 v[36:37], v[11:12], v[30:31]
	v_mul_f64 v[30:31], v[13:14], v[30:31]
	v_fma_f64 v[13:14], v[13:14], v[28:29], v[36:37]
	v_fma_f64 v[11:12], v[11:12], v[28:29], -v[30:31]
	s_waitcnt lgkmcnt(0)
	v_mul_f64 v[28:29], v[13:14], v[34:35]
	v_mul_f64 v[30:31], v[11:12], v[34:35]
	v_fma_f64 v[11:12], v[32:33], v[11:12], -v[28:29]
	v_fma_f64 v[13:14], v[32:33], v[13:14], v[30:31]
	ds_write_b128 v38, v[11:14] offset:11632
.LBB82_364:
	s_or_b64 exec, exec, s[8:9]
	v_mov_b32_e32 v13, 0
	v_mov_b32_e32 v11, 0
	v_mov_b32_e32 v14, 0
	v_mov_b32_e32 v12, 0
	s_waitcnt lgkmcnt(0)
	s_barrier
	s_and_saveexec_b64 s[10:11], s[12:13]
	s_cbranch_execz .LBB82_374
; %bb.365:
	v_mul_u32_u24_e32 v28, 0x210, v27
	ds_read_b128 v[11:14], v28 offset:8448
	ds_read_b128 v[29:32], v23 offset:8576
	v_cmp_gt_u32_e64 s[8:9], 56, v1
	s_waitcnt lgkmcnt(0)
	v_mul_f64 v[33:34], v[13:14], v[31:32]
	v_mul_f64 v[31:32], v[11:12], v[31:32]
	v_fma_f64 v[11:12], v[11:12], v[29:30], -v[33:34]
	v_fma_f64 v[13:14], v[13:14], v[29:30], v[31:32]
	v_add_f64 v[11:12], v[11:12], 0
	v_add_f64 v[13:14], v[13:14], 0
	s_and_saveexec_b64 s[14:15], s[8:9]
	s_cbranch_execnz .LBB82_537
; %bb.366:
	s_or_b64 exec, exec, s[14:15]
	v_cmp_gt_u32_e64 s[8:9], 48, v1
	s_and_saveexec_b64 s[14:15], s[8:9]
	s_cbranch_execnz .LBB82_538
.LBB82_367:
	s_or_b64 exec, exec, s[14:15]
	v_cmp_gt_u32_e64 s[8:9], 40, v1
	s_and_saveexec_b64 s[14:15], s[8:9]
	s_cbranch_execnz .LBB82_539
.LBB82_368:
	s_or_b64 exec, exec, s[14:15]
	v_cmp_gt_u32_e64 s[8:9], 32, v1
	s_and_saveexec_b64 s[14:15], s[8:9]
	s_cbranch_execnz .LBB82_540
.LBB82_369:
	s_or_b64 exec, exec, s[14:15]
	v_cmp_gt_u32_e64 s[8:9], 24, v1
	s_and_saveexec_b64 s[14:15], s[8:9]
	s_cbranch_execnz .LBB82_541
.LBB82_370:
	s_or_b64 exec, exec, s[14:15]
	v_cmp_gt_u32_e64 s[8:9], 16, v1
	s_and_saveexec_b64 s[14:15], s[8:9]
	s_cbranch_execnz .LBB82_542
.LBB82_371:
	s_or_b64 exec, exec, s[14:15]
	v_cmp_gt_u32_e64 s[8:9], 8, v1
	s_and_saveexec_b64 s[14:15], s[8:9]
	s_cbranch_execz .LBB82_373
.LBB82_372:
	v_lshlrev_b32_e32 v30, 4, v0
	v_mov_b32_e32 v26, 0
	ds_read_b128 v[26:29], v26 offset:8560
	ds_read_b128 v[30:33], v30 offset:12160
	s_waitcnt lgkmcnt(0)
	v_mul_f64 v[34:35], v[28:29], v[32:33]
	v_mul_f64 v[32:33], v[26:27], v[32:33]
	v_fma_f64 v[26:27], v[26:27], v[30:31], -v[34:35]
	v_fma_f64 v[28:29], v[28:29], v[30:31], v[32:33]
	v_add_f64 v[11:12], v[11:12], v[26:27]
	v_add_f64 v[13:14], v[13:14], v[28:29]
.LBB82_373:
	s_or_b64 exec, exec, s[14:15]
	v_xor_b32_e32 v12, 0x80000000, v12
	v_xor_b32_e32 v14, 0x80000000, v14
.LBB82_374:
	s_or_b64 exec, exec, s[10:11]
	s_and_saveexec_b64 s[8:9], s[54:55]
	s_cbranch_execz .LBB82_376
; %bb.375:
	v_mov_b32_e32 v26, 0
	ds_read_b128 v[26:29], v26 offset:12672
	s_waitcnt lgkmcnt(0)
	v_mul_f64 v[30:31], v[13:14], v[28:29]
	v_mul_f64 v[28:29], v[11:12], v[28:29]
	v_fma_f64 v[11:12], v[11:12], v[26:27], -v[30:31]
	v_fma_f64 v[13:14], v[13:14], v[26:27], v[28:29]
	ds_write_b128 v25, v[11:14]
.LBB82_376:
	s_or_b64 exec, exec, s[8:9]
	s_waitcnt lgkmcnt(0)
	s_barrier
	s_and_saveexec_b64 s[8:9], s[56:57]
	s_cbranch_execz .LBB82_378
; %bb.377:
	ds_read_b128 v[26:29], v25
	ds_read_b128 v[30:33], v24 offset:12672
	s_waitcnt lgkmcnt(0)
	v_mul_f64 v[34:35], v[28:29], v[32:33]
	v_mul_f64 v[32:33], v[26:27], v[32:33]
	v_fma_f64 v[26:27], v[26:27], v[30:31], -v[34:35]
	v_fma_f64 v[28:29], v[28:29], v[30:31], v[32:33]
	v_add_f64 v[11:12], v[11:12], v[26:27]
	v_add_f64 v[13:14], v[13:14], v[28:29]
.LBB82_378:
	s_or_b64 exec, exec, s[8:9]
	s_barrier
	s_and_saveexec_b64 s[8:9], s[58:59]
	s_cbranch_execz .LBB82_380
; %bb.379:
	v_mov_b32_e32 v26, 0
	ds_read_b128 v[26:29], v26 offset:13200
	s_waitcnt lgkmcnt(0)
	v_mul_f64 v[30:31], v[13:14], v[28:29]
	v_mul_f64 v[28:29], v[11:12], v[28:29]
	v_fma_f64 v[11:12], v[11:12], v[26:27], -v[30:31]
	v_fma_f64 v[13:14], v[13:14], v[26:27], v[28:29]
	ds_write_b128 v25, v[11:14]
.LBB82_380:
	s_or_b64 exec, exec, s[8:9]
	s_waitcnt lgkmcnt(0)
	s_barrier
	s_and_saveexec_b64 s[8:9], s[60:61]
	s_cbranch_execz .LBB82_382
; %bb.381:
	ds_read_b128 v[26:29], v25
	ds_read_b128 v[30:33], v24 offset:13184
	s_waitcnt lgkmcnt(0)
	v_mul_f64 v[34:35], v[28:29], v[32:33]
	v_mul_f64 v[32:33], v[26:27], v[32:33]
	v_fma_f64 v[26:27], v[26:27], v[30:31], -v[34:35]
	v_fma_f64 v[28:29], v[28:29], v[30:31], v[32:33]
	v_add_f64 v[11:12], v[11:12], v[26:27]
	v_add_f64 v[13:14], v[13:14], v[28:29]
.LBB82_382:
	s_or_b64 exec, exec, s[8:9]
	s_barrier
	;; [unrolled: 30-line block ×6, first 2 shown]
	s_and_saveexec_b64 s[8:9], s[78:79]
	s_cbranch_execz .LBB82_400
; %bb.399:
	v_mov_b32_e32 v24, 0
	ds_read_b128 v[26:29], v24 offset:15840
	s_waitcnt lgkmcnt(0)
	v_mul_f64 v[30:31], v[13:14], v[28:29]
	v_mul_f64 v[28:29], v[11:12], v[28:29]
	v_fma_f64 v[11:12], v[11:12], v[26:27], -v[30:31]
	v_fma_f64 v[13:14], v[13:14], v[26:27], v[28:29]
	ds_write_b128 v25, v[11:14]
.LBB82_400:
	s_or_b64 exec, exec, s[8:9]
	s_waitcnt lgkmcnt(0)
	s_barrier
	s_and_saveexec_b64 s[8:9], s[52:53]
	s_cbranch_execz .LBB82_402
; %bb.401:
	v_mov_b32_e32 v24, 0
	ds_read_b128 v[26:29], v25
	ds_read_b128 v[30:33], v24 offset:15856
	s_waitcnt lgkmcnt(0)
	v_mul_f64 v[34:35], v[28:29], v[32:33]
	v_mul_f64 v[32:33], v[26:27], v[32:33]
	v_fma_f64 v[26:27], v[26:27], v[30:31], -v[34:35]
	v_fma_f64 v[28:29], v[28:29], v[30:31], v[32:33]
	v_add_f64 v[11:12], v[11:12], v[26:27]
	v_add_f64 v[13:14], v[13:14], v[28:29]
.LBB82_402:
	s_or_b64 exec, exec, s[8:9]
	s_barrier
	s_and_saveexec_b64 s[8:9], s[52:53]
	s_cbranch_execz .LBB82_404
; %bb.403:
	v_mov_b32_e32 v24, 0
	ds_read_b128 v[26:29], v24 offset:16368
	s_waitcnt lgkmcnt(0)
	v_mul_f64 v[30:31], v[13:14], v[28:29]
	v_mul_f64 v[28:29], v[11:12], v[28:29]
	v_fma_f64 v[11:12], v[11:12], v[26:27], -v[30:31]
	v_fma_f64 v[13:14], v[13:14], v[26:27], v[28:29]
	ds_write_b128 v25, v[11:14]
.LBB82_404:
	s_or_b64 exec, exec, s[8:9]
	s_waitcnt lgkmcnt(0)
	s_barrier
	s_barrier
	s_and_saveexec_b64 s[8:9], s[12:13]
; %bb.405:
	v_xor_b32_e32 v12, 0x80000000, v12
	v_xor_b32_e32 v14, 0x80000000, v14
	ds_write_b128 v23, v[11:14] offset:8576
; %bb.406:
	s_or_b64 exec, exec, s[8:9]
	s_waitcnt lgkmcnt(0)
	s_barrier
	s_barrier
	s_and_saveexec_b64 s[8:9], vcc
	s_cbranch_execz .LBB82_408
; %bb.407:
	v_mov_b32_e32 v33, 0
	ds_read_b128 v[11:14], v33 offset:13200
	ds_read_b128 v[23:26], v33 offset:12672
	ds_read_b128 v[27:30], v33 offset:12688
	s_waitcnt lgkmcnt(1)
	v_mul_f64 v[31:32], v[11:12], v[25:26]
	v_mul_f64 v[25:26], v[13:14], v[25:26]
	v_fma_f64 v[13:14], v[13:14], v[23:24], v[31:32]
	v_fma_f64 v[11:12], v[11:12], v[23:24], -v[25:26]
	s_waitcnt lgkmcnt(0)
	v_mul_f64 v[23:24], v[13:14], v[29:30]
	v_mul_f64 v[25:26], v[11:12], v[29:30]
	v_fma_f64 v[11:12], v[27:28], v[11:12], -v[23:24]
	v_fma_f64 v[13:14], v[27:28], v[13:14], v[25:26]
	ds_write_b128 v33, v[11:14] offset:12688
.LBB82_408:
	s_or_b64 exec, exec, s[8:9]
	v_mov_b32_e32 v13, 0
	v_mov_b32_e32 v11, 0
	;; [unrolled: 1-line block ×4, first 2 shown]
	s_waitcnt lgkmcnt(0)
	s_barrier
	s_and_saveexec_b64 s[10:11], s[0:1]
	s_cbranch_execz .LBB82_412
; %bb.409:
	v_mul_u32_u24_e32 v11, 0x210, v17
	ds_read_b128 v[11:14], v11 offset:12672
	ds_read_b128 v[23:26], v15 offset:12704
	v_cmp_gt_u32_e64 s[8:9], 2, v1
	s_waitcnt lgkmcnt(0)
	v_mul_f64 v[27:28], v[13:14], v[25:26]
	v_mul_f64 v[25:26], v[11:12], v[25:26]
	v_fma_f64 v[11:12], v[11:12], v[23:24], -v[27:28]
	v_fma_f64 v[13:14], v[13:14], v[23:24], v[25:26]
	v_add_f64 v[11:12], v[11:12], 0
	v_add_f64 v[13:14], v[13:14], 0
	s_and_saveexec_b64 s[12:13], s[8:9]
	s_cbranch_execz .LBB82_411
; %bb.410:
	v_lshlrev_b32_e32 v27, 4, v0
	v_mov_b32_e32 v23, 0
	ds_read_b128 v[23:26], v23 offset:12688
	ds_read_b128 v[27:30], v27 offset:13216
	s_waitcnt lgkmcnt(0)
	v_mul_f64 v[31:32], v[25:26], v[29:30]
	v_mul_f64 v[29:30], v[23:24], v[29:30]
	v_fma_f64 v[23:24], v[23:24], v[27:28], -v[31:32]
	v_fma_f64 v[25:26], v[25:26], v[27:28], v[29:30]
	v_add_f64 v[11:12], v[11:12], v[23:24]
	v_add_f64 v[13:14], v[13:14], v[25:26]
.LBB82_411:
	s_or_b64 exec, exec, s[12:13]
	v_xor_b32_e32 v12, 0x80000000, v12
	v_xor_b32_e32 v14, 0x80000000, v14
.LBB82_412:
	s_or_b64 exec, exec, s[10:11]
	s_and_saveexec_b64 s[8:9], s[38:39]
	s_cbranch_execz .LBB82_414
; %bb.413:
	v_mov_b32_e32 v23, 0
	ds_read_b128 v[23:26], v23 offset:13728
	s_waitcnt lgkmcnt(0)
	v_mul_f64 v[27:28], v[13:14], v[25:26]
	v_mul_f64 v[25:26], v[11:12], v[25:26]
	v_fma_f64 v[11:12], v[11:12], v[23:24], -v[27:28]
	v_fma_f64 v[13:14], v[13:14], v[23:24], v[25:26]
	ds_write_b128 v16, v[11:14]
.LBB82_414:
	s_or_b64 exec, exec, s[8:9]
	s_waitcnt lgkmcnt(0)
	s_barrier
	s_and_saveexec_b64 s[8:9], s[36:37]
	s_cbranch_execz .LBB82_416
; %bb.415:
	v_mov_b32_e32 v27, 0
	ds_read_b128 v[23:26], v16
	ds_read_b128 v[27:30], v27 offset:13744
	s_waitcnt lgkmcnt(0)
	v_mul_f64 v[31:32], v[25:26], v[29:30]
	v_mul_f64 v[29:30], v[23:24], v[29:30]
	v_fma_f64 v[23:24], v[23:24], v[27:28], -v[31:32]
	v_fma_f64 v[25:26], v[25:26], v[27:28], v[29:30]
	v_add_f64 v[11:12], v[11:12], v[23:24]
	v_add_f64 v[13:14], v[13:14], v[25:26]
.LBB82_416:
	s_or_b64 exec, exec, s[8:9]
	s_barrier
	s_and_saveexec_b64 s[8:9], s[36:37]
	s_cbranch_execz .LBB82_418
; %bb.417:
	v_mov_b32_e32 v23, 0
	ds_read_b128 v[23:26], v23 offset:14256
	s_waitcnt lgkmcnt(0)
	v_mul_f64 v[27:28], v[13:14], v[25:26]
	v_mul_f64 v[25:26], v[11:12], v[25:26]
	v_fma_f64 v[11:12], v[11:12], v[23:24], -v[27:28]
	v_fma_f64 v[13:14], v[13:14], v[23:24], v[25:26]
	ds_write_b128 v16, v[11:14]
.LBB82_418:
	s_or_b64 exec, exec, s[8:9]
	s_waitcnt lgkmcnt(0)
	s_barrier
	s_barrier
	s_and_saveexec_b64 s[8:9], s[0:1]
; %bb.419:
	v_xor_b32_e32 v12, 0x80000000, v12
	v_xor_b32_e32 v14, 0x80000000, v14
	ds_write_b128 v15, v[11:14] offset:12704
; %bb.420:
	s_or_b64 exec, exec, s[8:9]
	s_waitcnt lgkmcnt(0)
	s_barrier
	s_barrier
	s_and_saveexec_b64 s[8:9], vcc
	s_cbranch_execz .LBB82_422
; %bb.421:
	v_mov_b32_e32 v33, 0
	ds_read_b128 v[11:14], v33 offset:14256
	ds_read_b128 v[23:26], v33 offset:13728
	;; [unrolled: 1-line block ×3, first 2 shown]
	s_waitcnt lgkmcnt(1)
	v_mul_f64 v[31:32], v[11:12], v[25:26]
	v_mul_f64 v[25:26], v[13:14], v[25:26]
	v_fma_f64 v[13:14], v[13:14], v[23:24], v[31:32]
	v_fma_f64 v[11:12], v[11:12], v[23:24], -v[25:26]
	s_waitcnt lgkmcnt(0)
	v_mul_f64 v[23:24], v[13:14], v[29:30]
	v_mul_f64 v[25:26], v[11:12], v[29:30]
	v_fma_f64 v[11:12], v[27:28], v[11:12], -v[23:24]
	v_fma_f64 v[13:14], v[27:28], v[13:14], v[25:26]
	ds_write_b128 v33, v[11:14] offset:13744
.LBB82_422:
	s_or_b64 exec, exec, s[8:9]
	v_mov_b32_e32 v13, 0
	v_mov_b32_e32 v11, 0
	;; [unrolled: 1-line block ×4, first 2 shown]
	s_waitcnt lgkmcnt(0)
	s_barrier
	s_and_saveexec_b64 s[10:11], s[2:3]
	s_cbranch_execz .LBB82_428
; %bb.423:
	v_mul_u32_u24_e32 v23, 0x210, v22
	ds_read_b128 v[11:14], v23 offset:12672
	ds_read_b128 v[24:27], v18 offset:12736
	v_cmp_gt_u32_e64 s[8:9], 12, v1
	s_waitcnt lgkmcnt(0)
	v_mul_f64 v[28:29], v[13:14], v[26:27]
	v_mul_f64 v[26:27], v[11:12], v[26:27]
	v_fma_f64 v[11:12], v[11:12], v[24:25], -v[28:29]
	v_fma_f64 v[13:14], v[13:14], v[24:25], v[26:27]
	v_add_f64 v[11:12], v[11:12], 0
	v_add_f64 v[13:14], v[13:14], 0
	s_and_saveexec_b64 s[12:13], s[8:9]
	s_cbranch_execnz .LBB82_543
; %bb.424:
	s_or_b64 exec, exec, s[12:13]
	v_cmp_gt_u32_e64 s[8:9], 8, v1
	s_and_saveexec_b64 s[12:13], s[8:9]
	s_cbranch_execnz .LBB82_544
.LBB82_425:
	s_or_b64 exec, exec, s[12:13]
	v_cmp_gt_u32_e64 s[8:9], 4, v1
	s_and_saveexec_b64 s[12:13], s[8:9]
	s_cbranch_execz .LBB82_427
.LBB82_426:
	v_lshlrev_b32_e32 v25, 4, v0
	v_mov_b32_e32 v21, 0
	ds_read_b128 v[21:24], v21 offset:12720
	ds_read_b128 v[25:28], v25 offset:14272
	s_waitcnt lgkmcnt(0)
	v_mul_f64 v[29:30], v[23:24], v[27:28]
	v_mul_f64 v[27:28], v[21:22], v[27:28]
	v_fma_f64 v[21:22], v[21:22], v[25:26], -v[29:30]
	v_fma_f64 v[23:24], v[23:24], v[25:26], v[27:28]
	v_add_f64 v[11:12], v[11:12], v[21:22]
	v_add_f64 v[13:14], v[13:14], v[23:24]
.LBB82_427:
	s_or_b64 exec, exec, s[12:13]
	v_xor_b32_e32 v12, 0x80000000, v12
	v_xor_b32_e32 v14, 0x80000000, v14
.LBB82_428:
	s_or_b64 exec, exec, s[10:11]
	s_and_saveexec_b64 s[8:9], s[42:43]
	s_cbranch_execz .LBB82_430
; %bb.429:
	v_mov_b32_e32 v21, 0
	ds_read_b128 v[21:24], v21 offset:14784
	s_waitcnt lgkmcnt(0)
	v_mul_f64 v[25:26], v[13:14], v[23:24]
	v_mul_f64 v[23:24], v[11:12], v[23:24]
	v_fma_f64 v[11:12], v[11:12], v[21:22], -v[25:26]
	v_fma_f64 v[13:14], v[13:14], v[21:22], v[23:24]
	ds_write_b128 v20, v[11:14]
.LBB82_430:
	s_or_b64 exec, exec, s[8:9]
	s_waitcnt lgkmcnt(0)
	s_barrier
	s_and_saveexec_b64 s[8:9], s[44:45]
	s_cbranch_execz .LBB82_432
; %bb.431:
	ds_read_b128 v[21:24], v20
	ds_read_b128 v[25:28], v19 offset:14784
	s_waitcnt lgkmcnt(0)
	v_mul_f64 v[29:30], v[23:24], v[27:28]
	v_mul_f64 v[27:28], v[21:22], v[27:28]
	v_fma_f64 v[21:22], v[21:22], v[25:26], -v[29:30]
	v_fma_f64 v[23:24], v[23:24], v[25:26], v[27:28]
	v_add_f64 v[11:12], v[11:12], v[21:22]
	v_add_f64 v[13:14], v[13:14], v[23:24]
.LBB82_432:
	s_or_b64 exec, exec, s[8:9]
	s_barrier
	s_and_saveexec_b64 s[8:9], s[46:47]
	s_cbranch_execz .LBB82_434
; %bb.433:
	v_mov_b32_e32 v21, 0
	ds_read_b128 v[21:24], v21 offset:15312
	s_waitcnt lgkmcnt(0)
	v_mul_f64 v[25:26], v[13:14], v[23:24]
	v_mul_f64 v[23:24], v[11:12], v[23:24]
	v_fma_f64 v[11:12], v[11:12], v[21:22], -v[25:26]
	v_fma_f64 v[13:14], v[13:14], v[21:22], v[23:24]
	ds_write_b128 v20, v[11:14]
.LBB82_434:
	s_or_b64 exec, exec, s[8:9]
	s_waitcnt lgkmcnt(0)
	s_barrier
	s_and_saveexec_b64 s[8:9], s[48:49]
	s_cbranch_execz .LBB82_436
; %bb.435:
	ds_read_b128 v[21:24], v20
	ds_read_b128 v[25:28], v19 offset:15296
	s_waitcnt lgkmcnt(0)
	v_mul_f64 v[29:30], v[23:24], v[27:28]
	v_mul_f64 v[27:28], v[21:22], v[27:28]
	v_fma_f64 v[21:22], v[21:22], v[25:26], -v[29:30]
	v_fma_f64 v[23:24], v[23:24], v[25:26], v[27:28]
	v_add_f64 v[11:12], v[11:12], v[21:22]
	v_add_f64 v[13:14], v[13:14], v[23:24]
.LBB82_436:
	s_or_b64 exec, exec, s[8:9]
	s_barrier
	s_and_saveexec_b64 s[8:9], s[50:51]
	s_cbranch_execz .LBB82_438
; %bb.437:
	v_mov_b32_e32 v19, 0
	ds_read_b128 v[21:24], v19 offset:15840
	s_waitcnt lgkmcnt(0)
	v_mul_f64 v[25:26], v[13:14], v[23:24]
	v_mul_f64 v[23:24], v[11:12], v[23:24]
	v_fma_f64 v[11:12], v[11:12], v[21:22], -v[25:26]
	v_fma_f64 v[13:14], v[13:14], v[21:22], v[23:24]
	ds_write_b128 v20, v[11:14]
.LBB82_438:
	s_or_b64 exec, exec, s[8:9]
	s_waitcnt lgkmcnt(0)
	s_barrier
	s_and_saveexec_b64 s[8:9], s[40:41]
	s_cbranch_execz .LBB82_440
; %bb.439:
	v_mov_b32_e32 v19, 0
	ds_read_b128 v[21:24], v20
	ds_read_b128 v[25:28], v19 offset:15856
	s_waitcnt lgkmcnt(0)
	v_mul_f64 v[29:30], v[23:24], v[27:28]
	v_mul_f64 v[27:28], v[21:22], v[27:28]
	v_fma_f64 v[21:22], v[21:22], v[25:26], -v[29:30]
	v_fma_f64 v[23:24], v[23:24], v[25:26], v[27:28]
	v_add_f64 v[11:12], v[11:12], v[21:22]
	v_add_f64 v[13:14], v[13:14], v[23:24]
.LBB82_440:
	s_or_b64 exec, exec, s[8:9]
	s_barrier
	s_and_saveexec_b64 s[8:9], s[40:41]
	s_cbranch_execz .LBB82_442
; %bb.441:
	v_mov_b32_e32 v19, 0
	ds_read_b128 v[21:24], v19 offset:16368
	s_waitcnt lgkmcnt(0)
	v_mul_f64 v[25:26], v[13:14], v[23:24]
	v_mul_f64 v[23:24], v[11:12], v[23:24]
	v_fma_f64 v[11:12], v[11:12], v[21:22], -v[25:26]
	v_fma_f64 v[13:14], v[13:14], v[21:22], v[23:24]
	ds_write_b128 v20, v[11:14]
.LBB82_442:
	s_or_b64 exec, exec, s[8:9]
	s_waitcnt lgkmcnt(0)
	s_barrier
	s_barrier
	s_and_saveexec_b64 s[8:9], s[2:3]
; %bb.443:
	v_xor_b32_e32 v14, 0x80000000, v14
	v_xor_b32_e32 v12, 0x80000000, v12
	ds_write_b128 v18, v[11:14] offset:12736
; %bb.444:
	s_or_b64 exec, exec, s[8:9]
	s_waitcnt lgkmcnt(0)
	s_barrier
	s_barrier
	s_and_saveexec_b64 s[2:3], vcc
	s_cbranch_execz .LBB82_446
; %bb.445:
	v_mov_b32_e32 v28, 0
	ds_read_b128 v[11:14], v28 offset:15312
	ds_read_b128 v[18:21], v28 offset:14784
	;; [unrolled: 1-line block ×3, first 2 shown]
	s_waitcnt lgkmcnt(1)
	v_mul_f64 v[26:27], v[11:12], v[20:21]
	v_mul_f64 v[20:21], v[13:14], v[20:21]
	v_fma_f64 v[13:14], v[13:14], v[18:19], v[26:27]
	v_fma_f64 v[11:12], v[11:12], v[18:19], -v[20:21]
	s_waitcnt lgkmcnt(0)
	v_mul_f64 v[18:19], v[13:14], v[24:25]
	v_mul_f64 v[20:21], v[11:12], v[24:25]
	v_fma_f64 v[11:12], v[22:23], v[11:12], -v[18:19]
	v_fma_f64 v[13:14], v[22:23], v[13:14], v[20:21]
	ds_write_b128 v28, v[11:14] offset:14800
.LBB82_446:
	s_or_b64 exec, exec, s[2:3]
	v_mov_b32_e32 v13, 0
	v_mov_b32_e32 v11, 0
	;; [unrolled: 1-line block ×4, first 2 shown]
	s_waitcnt lgkmcnt(0)
	s_barrier
	s_and_saveexec_b64 s[8:9], s[0:1]
	s_cbranch_execz .LBB82_450
; %bb.447:
	v_mul_u32_u24_e32 v11, 0x210, v17
	ds_read_b128 v[11:14], v11 offset:14784
	ds_read_b128 v[17:20], v15 offset:14816
	v_cmp_gt_u32_e64 s[2:3], 2, v1
	s_waitcnt lgkmcnt(0)
	v_mul_f64 v[21:22], v[13:14], v[19:20]
	v_mul_f64 v[19:20], v[11:12], v[19:20]
	v_fma_f64 v[11:12], v[11:12], v[17:18], -v[21:22]
	v_fma_f64 v[13:14], v[13:14], v[17:18], v[19:20]
	v_add_f64 v[11:12], v[11:12], 0
	v_add_f64 v[13:14], v[13:14], 0
	s_and_saveexec_b64 s[10:11], s[2:3]
	s_cbranch_execz .LBB82_449
; %bb.448:
	v_lshlrev_b32_e32 v21, 4, v0
	v_mov_b32_e32 v17, 0
	ds_read_b128 v[17:20], v17 offset:14800
	ds_read_b128 v[21:24], v21 offset:15328
	s_waitcnt lgkmcnt(0)
	v_mul_f64 v[25:26], v[19:20], v[23:24]
	v_mul_f64 v[23:24], v[17:18], v[23:24]
	v_fma_f64 v[17:18], v[17:18], v[21:22], -v[25:26]
	v_fma_f64 v[19:20], v[19:20], v[21:22], v[23:24]
	v_add_f64 v[11:12], v[11:12], v[17:18]
	v_add_f64 v[13:14], v[13:14], v[19:20]
.LBB82_449:
	s_or_b64 exec, exec, s[10:11]
	v_xor_b32_e32 v12, 0x80000000, v12
	v_xor_b32_e32 v14, 0x80000000, v14
.LBB82_450:
	s_or_b64 exec, exec, s[8:9]
	s_and_saveexec_b64 s[2:3], s[38:39]
	s_cbranch_execz .LBB82_452
; %bb.451:
	v_mov_b32_e32 v17, 0
	ds_read_b128 v[17:20], v17 offset:15840
	s_waitcnt lgkmcnt(0)
	v_mul_f64 v[21:22], v[13:14], v[19:20]
	v_mul_f64 v[19:20], v[11:12], v[19:20]
	v_fma_f64 v[11:12], v[11:12], v[17:18], -v[21:22]
	v_fma_f64 v[13:14], v[13:14], v[17:18], v[19:20]
	ds_write_b128 v16, v[11:14]
.LBB82_452:
	s_or_b64 exec, exec, s[2:3]
	s_waitcnt lgkmcnt(0)
	s_barrier
	s_and_saveexec_b64 s[2:3], s[36:37]
	s_cbranch_execz .LBB82_454
; %bb.453:
	v_mov_b32_e32 v21, 0
	ds_read_b128 v[17:20], v16
	ds_read_b128 v[21:24], v21 offset:15856
	s_waitcnt lgkmcnt(0)
	v_mul_f64 v[25:26], v[19:20], v[23:24]
	v_mul_f64 v[23:24], v[17:18], v[23:24]
	v_fma_f64 v[17:18], v[17:18], v[21:22], -v[25:26]
	v_fma_f64 v[19:20], v[19:20], v[21:22], v[23:24]
	v_add_f64 v[11:12], v[11:12], v[17:18]
	v_add_f64 v[13:14], v[13:14], v[19:20]
.LBB82_454:
	s_or_b64 exec, exec, s[2:3]
	s_barrier
	s_and_saveexec_b64 s[2:3], s[36:37]
	s_cbranch_execz .LBB82_456
; %bb.455:
	v_mov_b32_e32 v17, 0
	ds_read_b128 v[17:20], v17 offset:16368
	s_waitcnt lgkmcnt(0)
	v_mul_f64 v[21:22], v[13:14], v[19:20]
	v_mul_f64 v[19:20], v[11:12], v[19:20]
	v_fma_f64 v[11:12], v[11:12], v[17:18], -v[21:22]
	v_fma_f64 v[13:14], v[13:14], v[17:18], v[19:20]
	ds_write_b128 v16, v[11:14]
.LBB82_456:
	s_or_b64 exec, exec, s[2:3]
	s_waitcnt lgkmcnt(0)
	s_barrier
	s_barrier
	s_and_saveexec_b64 s[2:3], s[0:1]
; %bb.457:
	v_xor_b32_e32 v12, 0x80000000, v12
	v_xor_b32_e32 v14, 0x80000000, v14
	ds_write_b128 v15, v[11:14] offset:14816
; %bb.458:
	s_or_b64 exec, exec, s[2:3]
	s_waitcnt lgkmcnt(0)
	s_barrier
	s_barrier
	s_and_saveexec_b64 s[0:1], vcc
	s_cbranch_execz .LBB82_460
; %bb.459:
	v_mov_b32_e32 v25, 0
	ds_read_b128 v[11:14], v25 offset:16368
	ds_read_b128 v[15:18], v25 offset:15840
	;; [unrolled: 1-line block ×3, first 2 shown]
	s_waitcnt lgkmcnt(1)
	v_mul_f64 v[23:24], v[11:12], v[17:18]
	v_mul_f64 v[17:18], v[13:14], v[17:18]
	v_fma_f64 v[13:14], v[13:14], v[15:16], v[23:24]
	v_fma_f64 v[11:12], v[11:12], v[15:16], -v[17:18]
	s_waitcnt lgkmcnt(0)
	v_mul_f64 v[15:16], v[13:14], v[21:22]
	v_mul_f64 v[17:18], v[11:12], v[21:22]
	v_fma_f64 v[11:12], v[19:20], v[11:12], -v[15:16]
	v_fma_f64 v[13:14], v[19:20], v[13:14], v[17:18]
	ds_write_b128 v25, v[11:14] offset:15856
.LBB82_460:
	s_or_b64 exec, exec, s[0:1]
.LBB82_461:
	s_load_dwordx4 s[12:15], s[4:5], 0x48
	v_cmp_le_i32_e32 vcc, s85, v0
	v_mov_b32_e32 v13, 0
	v_mov_b32_e32 v11, 0
	;; [unrolled: 1-line block ×3, first 2 shown]
	s_waitcnt lgkmcnt(0)
	s_mul_i32 s1, s13, s34
	s_mul_hi_u32 s2, s12, s34
	s_mul_i32 s0, s12, s34
	s_add_i32 s1, s2, s1
	s_lshl_b64 s[0:1], s[0:1], 4
	s_add_u32 s2, s22, s0
	s_addc_u32 s3, s23, s1
	s_lshl_b64 s[0:1], s[24:25], 4
	s_add_u32 s36, s2, s0
	s_addc_u32 s37, s3, s1
	s_and_b64 s[12:13], vcc, s[18:19]
	v_cmp_eq_u32_e64 s[0:1], 0, v2
	s_xor_b64 s[2:3], s[12:13], -1
	s_and_b64 s[4:5], s[0:1], s[2:3]
	v_mov_b32_e32 v12, 0
	v_add_u32_e32 v16, s33, v0
	s_barrier
	s_and_saveexec_b64 s[2:3], s[4:5]
	s_cbranch_execz .LBB82_463
; %bb.462:
	v_ashrrev_i32_e32 v13, 31, v16
	v_mul_lo_u32 v14, s27, v16
	v_mad_u64_u32 v[11:12], s[4:5], s26, v16, 0
	v_mul_lo_u32 v13, s26, v13
	v_add3_u32 v12, v12, v13, v14
	v_lshlrev_b64 v[11:12], 4, v[11:12]
	v_mov_b32_e32 v13, s37
	v_add_co_u32_e32 v11, vcc, s36, v11
	v_addc_co_u32_e32 v12, vcc, v13, v12, vcc
	global_load_dwordx4 v[11:14], v[11:12], off
	s_waitcnt vmcnt(0)
	v_mul_f64 v[17:18], s[28:29], v[11:12]
	v_mul_f64 v[19:20], s[28:29], v[13:14]
	v_fma_f64 v[13:14], s[30:31], v[13:14], -v[17:18]
	v_fma_f64 v[11:12], v[11:12], -s[30:31], -v[19:20]
.LBB82_463:
	s_or_b64 exec, exec, s[2:3]
	s_and_b32 s2, 0xffff, s88
	v_mad_u32_u24 v22, v2, s2, v0
	v_mov_b32_e32 v15, 0
	s_cmp_lt_i32 s6, 1
	v_cmp_eq_u32_e64 s[2:3], 0, v22
	s_cbranch_scc1 .LBB82_486
; %bb.464:
	v_mov_b32_e32 v17, v15
	v_cmp_gt_i32_e64 s[10:11], s7, v16
	v_lshlrev_b64 v[16:17], 4, v[16:17]
	s_lshl_b64 s[4:5], s[34:35], 2
	v_mov_b32_e32 v18, 0x6000
	s_add_u32 s22, s14, s4
	v_lshl_add_u32 v23, v22, 4, v18
	v_lshl_or_b32 v24, v2, 4, v18
	v_mov_b32_e32 v18, s87
	v_add_co_u32_e32 v25, vcc, s86, v16
	s_mov_b32 s30, 0
	s_addc_u32 s23, s15, s5
	v_cmp_gt_u32_e64 s[4:5], 32, v22
	s_add_i32 s31, s6, -1
	v_addc_co_u32_e32 v26, vcc, v18, v17, vcc
	s_lshl_b64 s[24:25], s[16:17], 8
	v_mov_b32_e32 v27, -1
	s_branch .LBB82_467
.LBB82_465:                             ;   in Loop: Header=BB82_467 Depth=1
	ds_read_b128 v[28:31], v24 offset:256
	s_waitcnt vmcnt(0) lgkmcnt(0)
	v_mul_f64 v[18:19], v[20:21], v[30:31]
	v_mul_f64 v[30:31], v[16:17], v[30:31]
	v_fma_f64 v[16:17], v[16:17], v[28:29], -v[18:19]
	v_fma_f64 v[18:19], v[20:21], v[28:29], v[30:31]
	v_add_f64 v[13:14], v[13:14], v[16:17]
	v_add_f64 v[11:12], v[11:12], v[18:19]
.LBB82_466:                             ;   in Loop: Header=BB82_467 Depth=1
	s_or_b64 exec, exec, s[28:29]
	s_add_i32 s30, s30, 1
	s_cmp_eq_u32 s30, s6
	s_cbranch_scc1 .LBB82_486
.LBB82_467:                             ; =>This Loop Header: Depth=1
                                        ;     Child Loop BB82_469 Depth 2
	v_cmp_gt_i32_e32 vcc, s30, v27
	s_and_b64 s[28:29], s[2:3], vcc
	s_and_saveexec_b64 s[8:9], s[28:29]
	s_cbranch_execz .LBB82_470
; %bb.468:                              ;   in Loop: Header=BB82_467 Depth=1
	global_load_dword v27, v15, s[22:23]
	s_waitcnt vmcnt(0)
	v_cmp_le_i32_e32 vcc, s30, v27
	s_cbranch_vccnz .LBB82_470
.LBB82_469:                             ;   Parent Loop BB82_467 Depth=1
                                        ; =>  This Inner Loop Header: Depth=2
	buffer_wbinvl1_vol
	global_load_dword v27, v15, s[22:23]
	s_waitcnt vmcnt(0)
	v_cmp_gt_i32_e32 vcc, s30, v27
	s_cbranch_vccnz .LBB82_469
.LBB82_470:                             ;   in Loop: Header=BB82_467 Depth=1
	s_or_b64 exec, exec, s[8:9]
	s_lshl_b32 s38, s30, 5
	buffer_wbinvl1_vol
	s_barrier
	s_and_saveexec_b64 s[8:9], s[4:5]
	s_cbranch_execz .LBB82_475
; %bb.471:                              ;   in Loop: Header=BB82_467 Depth=1
	v_or_b32_e32 v16, s38, v22
	v_cmp_le_i32_e32 vcc, s7, v16
	s_and_saveexec_b64 s[28:29], vcc
	s_xor_b64 s[28:29], exec, s[28:29]
; %bb.472:                              ;   in Loop: Header=BB82_467 Depth=1
	v_mov_b32_e32 v16, v15
	v_mov_b32_e32 v17, v15
	;; [unrolled: 1-line block ×3, first 2 shown]
	ds_write_b128 v23, v[15:18]
                                        ; implicit-def: $vgpr16
; %bb.473:                              ;   in Loop: Header=BB82_467 Depth=1
	s_andn2_saveexec_b64 s[28:29], s[28:29]
	s_cbranch_execz .LBB82_475
; %bb.474:                              ;   in Loop: Header=BB82_467 Depth=1
	v_mad_u64_u32 v[17:18], s[28:29], s26, v16, 0
	v_mad_u64_u32 v[18:19], s[28:29], s27, v16, v[18:19]
	v_mov_b32_e32 v19, s37
	v_lshlrev_b64 v[16:17], 4, v[17:18]
	v_add_co_u32_e32 v16, vcc, s36, v16
	v_addc_co_u32_e32 v17, vcc, v19, v17, vcc
	global_load_dwordx4 v[16:19], v[16:17], off
	s_waitcnt vmcnt(0)
	ds_write2_b64 v23, v[16:17], v[18:19] offset1:1
.LBB82_475:                             ;   in Loop: Header=BB82_467 Depth=1
	s_or_b64 exec, exec, s[8:9]
	v_add_u32_e32 v28, s38, v2
	v_mad_u64_u32 v[16:17], s[8:9], s16, v28, 0
	s_cmp_lg_u32 s30, s31
	s_waitcnt lgkmcnt(0)
	v_mad_u64_u32 v[17:18], s[8:9], s17, v28, v[17:18]
	s_cselect_b64 s[8:9], -1, 0
	v_cndmask_b32_e64 v18, 0, 1, s[8:9]
	v_lshlrev_b64 v[16:17], 4, v[16:17]
	v_cmp_ne_u32_e64 s[8:9], 1, v18
	v_add_co_u32_e32 v16, vcc, v25, v16
	v_addc_co_u32_e32 v17, vcc, v26, v17, vcc
	v_cmp_gt_i32_e32 vcc, s7, v28
	s_and_b64 s[38:39], s[10:11], vcc
	s_barrier
	s_and_saveexec_b64 s[28:29], s[38:39]
	s_cbranch_execz .LBB82_481
; %bb.476:                              ;   in Loop: Header=BB82_467 Depth=1
	v_mov_b32_e32 v19, v4
	s_and_b64 vcc, exec, s[8:9]
	v_mov_b32_e32 v18, v3
	s_cbranch_vccnz .LBB82_478
; %bb.477:                              ;   in Loop: Header=BB82_467 Depth=1
	global_load_dwordx2 v[18:19], v[16:17], off
.LBB82_478:                             ;   in Loop: Header=BB82_467 Depth=1
	v_mov_b32_e32 v21, v6
	s_and_b64 vcc, exec, s[8:9]
	v_mov_b32_e32 v20, v5
	s_cbranch_vccnz .LBB82_480
; %bb.479:                              ;   in Loop: Header=BB82_467 Depth=1
	global_load_dwordx2 v[20:21], v[16:17], off offset:8
.LBB82_480:                             ;   in Loop: Header=BB82_467 Depth=1
	ds_read_b128 v[29:32], v24
	s_waitcnt vmcnt(0) lgkmcnt(0)
	v_mul_f64 v[33:34], v[20:21], v[31:32]
	v_mul_f64 v[31:32], v[18:19], v[31:32]
	v_fma_f64 v[18:19], v[18:19], v[29:30], -v[33:34]
	v_fma_f64 v[20:21], v[20:21], v[29:30], v[31:32]
	v_add_f64 v[13:14], v[13:14], v[18:19]
	v_add_f64 v[11:12], v[11:12], v[20:21]
.LBB82_481:                             ;   in Loop: Header=BB82_467 Depth=1
	s_or_b64 exec, exec, s[28:29]
	v_add_u32_e32 v18, 16, v28
	v_cmp_gt_i32_e32 vcc, s7, v18
	s_and_b64 s[38:39], s[10:11], vcc
	s_and_saveexec_b64 s[28:29], s[38:39]
	s_cbranch_execz .LBB82_466
; %bb.482:                              ;   in Loop: Header=BB82_467 Depth=1
	v_mov_b32_e32 v19, s25
	v_add_co_u32_e32 v18, vcc, s24, v16
	v_addc_co_u32_e32 v19, vcc, v17, v19, vcc
	v_mov_b32_e32 v17, v8
	s_and_b64 vcc, exec, s[8:9]
	v_mov_b32_e32 v16, v7
	s_cbranch_vccnz .LBB82_484
; %bb.483:                              ;   in Loop: Header=BB82_467 Depth=1
	global_load_dwordx2 v[16:17], v[18:19], off
.LBB82_484:                             ;   in Loop: Header=BB82_467 Depth=1
	v_mov_b32_e32 v21, v10
	s_and_b64 vcc, exec, s[8:9]
	v_mov_b32_e32 v20, v9
	s_cbranch_vccnz .LBB82_465
; %bb.485:                              ;   in Loop: Header=BB82_467 Depth=1
	global_load_dwordx2 v[20:21], v[18:19], off offset:8
	s_branch .LBB82_465
.LBB82_486:
	s_xor_b64 s[2:3], s[18:19], -1
	s_xor_b64 s[4:5], s[20:21], -1
	v_lshlrev_b32_e32 v1, 4, v1
	v_mov_b32_e32 v15, v11
	v_mov_b32_e32 v16, v12
	ds_write_b128 v1, v[13:16] offset:16384
	s_waitcnt lgkmcnt(0)
	s_barrier
	s_and_saveexec_b64 s[6:7], s[0:1]
	s_cbranch_execz .LBB82_488
; %bb.487:
	v_lshlrev_b32_e32 v15, 4, v0
	ds_read_b128 v[3:6], v15 offset:16896
	ds_read_b128 v[7:10], v15 offset:17408
	s_waitcnt lgkmcnt(1)
	v_add_f64 v[3:4], v[13:14], v[3:4]
	v_add_f64 v[5:6], v[11:12], v[5:6]
	s_waitcnt lgkmcnt(0)
	v_add_f64 v[11:12], v[3:4], v[7:8]
	v_add_f64 v[13:14], v[5:6], v[9:10]
	ds_read_b128 v[3:6], v15 offset:17920
	ds_read_b128 v[7:10], v15 offset:18432
	s_waitcnt lgkmcnt(1)
	v_add_f64 v[3:4], v[11:12], v[3:4]
	v_add_f64 v[5:6], v[13:14], v[5:6]
	s_waitcnt lgkmcnt(0)
	v_add_f64 v[11:12], v[3:4], v[7:8]
	v_add_f64 v[13:14], v[5:6], v[9:10]
	;; [unrolled: 8-line block ×7, first 2 shown]
	ds_read_b128 v[3:6], v15 offset:24064
	s_waitcnt lgkmcnt(0)
	v_add_f64 v[3:4], v[7:8], v[3:4]
	v_add_f64 v[5:6], v[9:10], v[5:6]
	v_xor_b32_e32 v4, 0x80000000, v4
	v_xor_b32_e32 v6, 0x80000000, v6
	v_cndmask_b32_e64 v13, v3, 0, s[12:13]
	v_cndmask_b32_e64 v14, v4, 0, s[12:13]
	;; [unrolled: 1-line block ×4, first 2 shown]
.LBB82_488:
	s_or_b64 exec, exec, s[6:7]
	s_andn2_b64 vcc, exec, s[4:5]
	s_cbranch_vccnz .LBB82_497
; %bb.489:
	v_mov_b32_e32 v3, 0x6000
	v_lshl_or_b32 v7, v2, 4, v3
	s_and_saveexec_b64 s[4:5], s[0:1]
; %bb.490:
	v_lshl_add_u32 v3, v0, 4, v7
	v_mov_b32_e32 v15, v11
	v_mov_b32_e32 v16, v12
	ds_write_b128 v3, v[13:16]
; %bb.491:
	s_or_b64 exec, exec, s[4:5]
	v_mov_b32_e32 v3, 0
	v_mov_b32_e32 v5, 0
	;; [unrolled: 1-line block ×4, first 2 shown]
	v_cmp_ge_u32_e32 vcc, v0, v2
	s_waitcnt lgkmcnt(0)
	s_barrier
	s_and_saveexec_b64 s[4:5], vcc
	s_cbranch_execz .LBB82_493
; %bb.492:
	ds_read_b128 v[3:6], v7
	ds_read_b128 v[15:18], v1
	s_waitcnt lgkmcnt(0)
	v_mul_f64 v[8:9], v[5:6], v[17:18]
	v_mul_f64 v[17:18], v[3:4], v[17:18]
	v_fma_f64 v[3:4], v[3:4], v[15:16], -v[8:9]
	v_fma_f64 v[5:6], v[5:6], v[15:16], v[17:18]
	v_add_f64 v[3:4], v[3:4], 0
	v_add_f64 v[5:6], v[5:6], 0
.LBB82_493:
	s_or_b64 exec, exec, s[4:5]
	v_add_u32_e32 v2, 16, v2
	v_add_u32_e32 v8, 0x4000, v1
	v_cmp_ge_u32_e32 vcc, v0, v2
	s_and_saveexec_b64 s[4:5], vcc
	s_cbranch_execz .LBB82_495
; %bb.494:
	ds_read_b128 v[15:18], v7 offset:256
	ds_read_b128 v[23:26], v1 offset:8192
	s_waitcnt lgkmcnt(0)
	v_mul_f64 v[1:2], v[17:18], v[25:26]
	v_mul_f64 v[9:10], v[15:16], v[25:26]
	v_fma_f64 v[1:2], v[15:16], v[23:24], -v[1:2]
	v_fma_f64 v[9:10], v[17:18], v[23:24], v[9:10]
	v_add_f64 v[3:4], v[3:4], v[1:2]
	v_add_f64 v[5:6], v[5:6], v[9:10]
.LBB82_495:
	s_or_b64 exec, exec, s[4:5]
	s_mov_b64 s[6:7], 0
	s_mov_b64 s[4:5], 0
	ds_write_b128 v8, v[3:6]
	s_waitcnt lgkmcnt(0)
	s_barrier
                                        ; implicit-def: $vgpr7_vgpr8
                                        ; implicit-def: $vgpr9_vgpr10
                                        ; implicit-def: $vgpr1_vgpr2
	s_and_saveexec_b64 s[8:9], s[0:1]
	s_cbranch_execz .LBB82_510
; %bb.496:
	v_lshlrev_b32_e32 v19, 4, v0
	ds_read_b128 v[7:10], v19 offset:16896
	ds_read_b128 v[15:18], v19 offset:17408
	s_mov_b64 s[4:5], exec
	s_waitcnt lgkmcnt(1)
	v_add_f64 v[1:2], v[3:4], v[7:8]
	v_add_f64 v[3:4], v[5:6], v[9:10]
	s_waitcnt lgkmcnt(0)
	v_add_f64 v[9:10], v[1:2], v[15:16]
	v_add_f64 v[15:16], v[3:4], v[17:18]
	ds_read_b128 v[1:4], v19 offset:17920
	ds_read_b128 v[5:8], v19 offset:18432
	s_waitcnt lgkmcnt(1)
	v_add_f64 v[1:2], v[9:10], v[1:2]
	v_add_f64 v[3:4], v[15:16], v[3:4]
	s_waitcnt lgkmcnt(0)
	v_add_f64 v[9:10], v[1:2], v[5:6]
	v_add_f64 v[15:16], v[3:4], v[7:8]
	ds_read_b128 v[1:4], v19 offset:18944
	ds_read_b128 v[5:8], v19 offset:19456
	s_waitcnt lgkmcnt(1)
	v_add_f64 v[1:2], v[9:10], v[1:2]
	v_add_f64 v[3:4], v[15:16], v[3:4]
	s_waitcnt lgkmcnt(0)
	v_add_f64 v[9:10], v[1:2], v[5:6]
	v_add_f64 v[15:16], v[3:4], v[7:8]
	ds_read_b128 v[1:4], v19 offset:19968
	ds_read_b128 v[5:8], v19 offset:20480
	s_waitcnt lgkmcnt(1)
	v_add_f64 v[1:2], v[9:10], v[1:2]
	v_add_f64 v[3:4], v[15:16], v[3:4]
	s_waitcnt lgkmcnt(0)
	v_add_f64 v[9:10], v[1:2], v[5:6]
	v_add_f64 v[15:16], v[3:4], v[7:8]
	ds_read_b128 v[1:4], v19 offset:20992
	ds_read_b128 v[5:8], v19 offset:21504
	s_waitcnt lgkmcnt(1)
	v_add_f64 v[1:2], v[9:10], v[1:2]
	v_add_f64 v[3:4], v[15:16], v[3:4]
	s_waitcnt lgkmcnt(0)
	v_add_f64 v[9:10], v[1:2], v[5:6]
	v_add_f64 v[15:16], v[3:4], v[7:8]
	ds_read_b128 v[1:4], v19 offset:22016
	ds_read_b128 v[5:8], v19 offset:22528
	s_waitcnt lgkmcnt(1)
	v_add_f64 v[1:2], v[9:10], v[1:2]
	v_add_f64 v[3:4], v[15:16], v[3:4]
	s_waitcnt lgkmcnt(0)
	v_add_f64 v[9:10], v[1:2], v[5:6]
	v_add_f64 v[15:16], v[3:4], v[7:8]
	ds_read_b128 v[1:4], v19 offset:23040
	ds_read_b128 v[5:8], v19 offset:23552
	s_waitcnt lgkmcnt(1)
	v_add_f64 v[1:2], v[9:10], v[1:2]
	v_add_f64 v[3:4], v[15:16], v[3:4]
	v_add_u32_e32 v15, s33, v22
	s_waitcnt lgkmcnt(0)
	v_add_f64 v[9:10], v[1:2], v[5:6]
	v_add_f64 v[7:8], v[3:4], v[7:8]
	ds_read_b128 v[3:6], v19 offset:24064
	v_mad_u64_u32 v[1:2], s[10:11], s26, v15, 0
	s_waitcnt lgkmcnt(0)
	v_add_f64 v[9:10], v[9:10], v[3:4]
	v_add_f64 v[7:8], v[7:8], v[5:6]
	v_mad_u64_u32 v[2:3], s[10:11], s27, v15, v[2:3]
	s_or_b64 exec, exec, s[8:9]
	s_and_b64 vcc, exec, s[6:7]
	s_cbranch_vccnz .LBB82_498
	s_branch .LBB82_511
.LBB82_497:
	s_mov_b64 s[4:5], 0
                                        ; implicit-def: $vgpr7_vgpr8
                                        ; implicit-def: $vgpr9_vgpr10
                                        ; implicit-def: $vgpr1_vgpr2
	s_cbranch_execz .LBB82_511
.LBB82_498:
	v_mul_u32_u24_e32 v1, 0x210, v0
	v_lshlrev_b32_e32 v2, 9, v0
	v_sub_u32_e32 v2, v1, v2
	s_mov_b32 s8, 0
	v_mov_b32_e32 v3, 0
	v_mov_b32_e32 v4, v0
	s_branch .LBB82_500
.LBB82_499:                             ;   in Loop: Header=BB82_500 Depth=1
	s_or_b64 exec, exec, s[6:7]
	s_add_i32 s8, s8, 2
	v_add_u32_e32 v2, 0x400, v2
	s_cmp_lg_u32 s8, 32
	v_add_u32_e32 v4, -2, v4
	s_barrier
	s_cbranch_scc0 .LBB82_508
.LBB82_500:                             ; =>This Inner Loop Header: Depth=1
	v_cmp_eq_u32_e32 vcc, 0, v4
	s_and_b64 s[10:11], s[0:1], vcc
	s_and_saveexec_b64 s[6:7], s[10:11]
	s_cbranch_execz .LBB82_502
; %bb.501:                              ;   in Loop: Header=BB82_500 Depth=1
	ds_read_b128 v[5:8], v1
	s_waitcnt lgkmcnt(0)
	v_mul_f64 v[9:10], v[11:12], v[7:8]
	v_mul_f64 v[7:8], v[13:14], v[7:8]
	v_fma_f64 v[9:10], v[13:14], v[5:6], -v[9:10]
	v_fma_f64 v[11:12], v[11:12], v[5:6], v[7:8]
	v_mov_b32_e32 v14, v10
	v_mov_b32_e32 v13, v9
	ds_write_b128 v3, v[9:12] offset:25088
.LBB82_502:                             ;   in Loop: Header=BB82_500 Depth=1
	s_or_b64 exec, exec, s[6:7]
	v_cmp_lt_u32_e32 vcc, s8, v0
	s_and_b64 s[10:11], s[0:1], vcc
	s_waitcnt lgkmcnt(0)
	s_barrier
	s_and_saveexec_b64 s[6:7], s[10:11]
	s_cbranch_execz .LBB82_504
; %bb.503:                              ;   in Loop: Header=BB82_500 Depth=1
	ds_read_b128 v[5:8], v3 offset:25088
	ds_read_b128 v[15:18], v2
	s_waitcnt lgkmcnt(0)
	v_mul_f64 v[9:10], v[7:8], v[17:18]
	v_mul_f64 v[17:18], v[5:6], v[17:18]
	v_fma_f64 v[5:6], v[5:6], v[15:16], -v[9:10]
	v_fma_f64 v[7:8], v[7:8], v[15:16], v[17:18]
	v_add_f64 v[13:14], v[13:14], v[5:6]
	v_add_f64 v[11:12], v[11:12], v[7:8]
.LBB82_504:                             ;   in Loop: Header=BB82_500 Depth=1
	s_or_b64 exec, exec, s[6:7]
	s_or_b32 s9, s8, 1
	v_cmp_eq_u32_e32 vcc, s9, v0
	s_and_b64 s[10:11], s[0:1], vcc
	s_barrier
	s_and_saveexec_b64 s[6:7], s[10:11]
	s_cbranch_execz .LBB82_506
; %bb.505:                              ;   in Loop: Header=BB82_500 Depth=1
	ds_read_b128 v[5:8], v1
	s_waitcnt lgkmcnt(0)
	v_mul_f64 v[9:10], v[11:12], v[7:8]
	v_mul_f64 v[7:8], v[13:14], v[7:8]
	v_fma_f64 v[9:10], v[13:14], v[5:6], -v[9:10]
	v_fma_f64 v[11:12], v[11:12], v[5:6], v[7:8]
	v_mov_b32_e32 v14, v10
	v_mov_b32_e32 v13, v9
	ds_write_b128 v3, v[9:12] offset:25088
.LBB82_506:                             ;   in Loop: Header=BB82_500 Depth=1
	s_or_b64 exec, exec, s[6:7]
	v_cmp_lt_u32_e32 vcc, s9, v0
	s_and_b64 s[10:11], s[0:1], vcc
	s_waitcnt lgkmcnt(0)
	s_barrier
	s_and_saveexec_b64 s[6:7], s[10:11]
	s_cbranch_execz .LBB82_499
; %bb.507:                              ;   in Loop: Header=BB82_500 Depth=1
	ds_read_b128 v[5:8], v3 offset:25088
	ds_read_b128 v[15:18], v2 offset:512
	s_waitcnt lgkmcnt(0)
	v_mul_f64 v[9:10], v[7:8], v[17:18]
	v_mul_f64 v[17:18], v[5:6], v[17:18]
	v_fma_f64 v[5:6], v[5:6], v[15:16], -v[9:10]
	v_fma_f64 v[7:8], v[7:8], v[15:16], v[17:18]
	v_add_f64 v[13:14], v[13:14], v[5:6]
	v_add_f64 v[11:12], v[11:12], v[7:8]
	s_branch .LBB82_499
.LBB82_508:
	s_and_b64 vcc, exec, s[2:3]
	s_cbranch_vccz .LBB82_512
; %bb.509:
	s_and_b64 s[2:3], s[0:1], exec
	s_cbranch_execz .LBB82_513
	s_branch .LBB82_514
.LBB82_510:
	s_or_b64 exec, exec, s[8:9]
	s_and_b64 vcc, exec, s[6:7]
	s_cbranch_vccnz .LBB82_498
.LBB82_511:
	v_mov_b32_e32 v12, v8
	v_mov_b32_e32 v14, v10
	;; [unrolled: 1-line block ×4, first 2 shown]
	s_and_saveexec_b64 s[0:1], s[4:5]
	s_cbranch_execnz .LBB82_517
	s_branch .LBB82_518
.LBB82_512:
	s_mov_b64 s[2:3], 0
.LBB82_513:
	v_cmp_gt_i32_e32 vcc, s85, v0
	s_and_b64 s[0:1], s[0:1], vcc
	s_andn2_b64 s[2:3], s[2:3], exec
	s_and_b64 s[0:1], s[0:1], exec
	s_or_b64 s[2:3], s[2:3], s[0:1]
.LBB82_514:
                                        ; implicit-def: $vgpr1_vgpr2
	s_and_saveexec_b64 s[0:1], s[2:3]
	s_cbranch_execz .LBB82_516
; %bb.515:
	v_mov_b32_e32 v0, s84
	v_add_co_u32_e32 v1, vcc, s33, v22
	v_addc_co_u32_e32 v0, vcc, 0, v0, vcc
	v_mul_lo_u32 v0, v0, s26
	v_mul_lo_u32 v3, v1, s27
	v_mad_u64_u32 v[1:2], s[2:3], v1, s26, 0
	s_or_b64 s[4:5], s[4:5], exec
	v_add3_u32 v2, v2, v3, v0
.LBB82_516:
	s_or_b64 exec, exec, s[0:1]
	s_and_saveexec_b64 s[0:1], s[4:5]
	s_cbranch_execz .LBB82_518
.LBB82_517:
	v_lshlrev_b64 v[0:1], 4, v[1:2]
	v_mov_b32_e32 v2, s37
	v_add_co_u32_e32 v0, vcc, s36, v0
	v_addc_co_u32_e32 v1, vcc, v2, v1, vcc
	v_mov_b32_e32 v15, v11
	v_mov_b32_e32 v16, v12
	global_store_dwordx4 v[0:1], v[13:16], off
.LBB82_518:
	s_or_b64 exec, exec, s[0:1]
	v_cmp_eq_u32_e32 vcc, 0, v22
	s_waitcnt vmcnt(0)
	buffer_wbinvl1_vol
	s_barrier
	s_and_saveexec_b64 s[0:1], vcc
	s_cbranch_execz .LBB82_520
; %bb.519:
	s_lshl_b64 s[2:3], s[34:35], 2
	s_add_u32 s2, s14, s2
	s_addc_u32 s3, s15, s3
	v_mov_b32_e32 v0, 0
	global_load_dword v1, v0, s[2:3]
	s_waitcnt vmcnt(0)
	v_add_u32_e32 v1, 1, v1
	global_store_dword v0, v1, s[2:3]
.LBB82_520:
	s_or_b64 exec, exec, s[0:1]
	s_waitcnt vmcnt(0)
	buffer_wbinvl1_vol
	s_endpgm
.LBB82_521:
	v_lshlrev_b32_e32 v23, 4, v22
	v_sub_u32_e32 v23, v20, v23
	v_lshl_add_u32 v27, v21, 4, v23
	ds_read_b128 v[23:26], v20 offset:16
	ds_read_b128 v[27:30], v27 offset:576
	s_waitcnt lgkmcnt(0)
	v_mul_f64 v[31:32], v[25:26], v[29:30]
	v_mul_f64 v[29:30], v[23:24], v[29:30]
	v_fma_f64 v[23:24], v[23:24], v[27:28], -v[31:32]
	v_fma_f64 v[25:26], v[25:26], v[27:28], v[29:30]
	v_add_f64 v[11:12], v[11:12], v[23:24]
	v_add_f64 v[13:14], v[13:14], v[25:26]
	s_or_b64 exec, exec, s[14:15]
	v_cmp_gt_u32_e64 s[10:11], 8, v1
	s_and_saveexec_b64 s[14:15], s[10:11]
	s_cbranch_execz .LBB82_87
.LBB82_522:
	ds_read_b128 v[23:26], v20 offset:32
	ds_read_b128 v[27:30], v18 offset:1088
	s_waitcnt lgkmcnt(0)
	v_mul_f64 v[31:32], v[25:26], v[29:30]
	v_mul_f64 v[29:30], v[23:24], v[29:30]
	v_fma_f64 v[23:24], v[23:24], v[27:28], -v[31:32]
	v_fma_f64 v[25:26], v[25:26], v[27:28], v[29:30]
	v_add_f64 v[11:12], v[11:12], v[23:24]
	v_add_f64 v[13:14], v[13:14], v[25:26]
	s_or_b64 exec, exec, s[14:15]
	v_cmp_gt_u32_e64 s[10:11], 4, v1
	s_and_saveexec_b64 s[14:15], s[10:11]
	s_cbranch_execnz .LBB82_88
	s_branch .LBB82_89
.LBB82_523:
	v_lshlrev_b32_e32 v28, 4, v27
	v_sub_u32_e32 v28, v25, v28
	v_lshl_add_u32 v32, v26, 4, v28
	ds_read_b128 v[28:31], v25 offset:16
	ds_read_b128 v[32:35], v32 offset:640
	s_waitcnt lgkmcnt(0)
	v_mul_f64 v[36:37], v[30:31], v[34:35]
	v_mul_f64 v[34:35], v[28:29], v[34:35]
	v_fma_f64 v[28:29], v[28:29], v[32:33], -v[36:37]
	v_fma_f64 v[30:31], v[30:31], v[32:33], v[34:35]
	v_add_f64 v[11:12], v[11:12], v[28:29]
	v_add_f64 v[13:14], v[13:14], v[30:31]
	s_or_b64 exec, exec, s[52:53]
	v_cmp_gt_u32_e64 s[10:11], 48, v1
	s_and_saveexec_b64 s[52:53], s[10:11]
	s_cbranch_execz .LBB82_125
.LBB82_524:
	v_lshlrev_b32_e32 v28, 4, v27
	v_sub_u32_e32 v28, v25, v28
	v_lshl_add_u32 v32, v26, 4, v28
	ds_read_b128 v[28:31], v25 offset:32
	ds_read_b128 v[32:35], v32 offset:1152
	s_waitcnt lgkmcnt(0)
	v_mul_f64 v[36:37], v[30:31], v[34:35]
	v_mul_f64 v[34:35], v[28:29], v[34:35]
	v_fma_f64 v[28:29], v[28:29], v[32:33], -v[36:37]
	v_fma_f64 v[30:31], v[30:31], v[32:33], v[34:35]
	v_add_f64 v[11:12], v[11:12], v[28:29]
	v_add_f64 v[13:14], v[13:14], v[30:31]
	s_or_b64 exec, exec, s[52:53]
	v_cmp_gt_u32_e64 s[10:11], 40, v1
	s_and_saveexec_b64 s[52:53], s[10:11]
	s_cbranch_execz .LBB82_126
.LBB82_525:
	v_lshlrev_b32_e32 v28, 4, v27
	v_sub_u32_e32 v28, v25, v28
	v_lshl_add_u32 v32, v26, 4, v28
	ds_read_b128 v[28:31], v25 offset:48
	ds_read_b128 v[32:35], v32 offset:1664
	s_waitcnt lgkmcnt(0)
	v_mul_f64 v[36:37], v[30:31], v[34:35]
	v_mul_f64 v[34:35], v[28:29], v[34:35]
	v_fma_f64 v[28:29], v[28:29], v[32:33], -v[36:37]
	v_fma_f64 v[30:31], v[30:31], v[32:33], v[34:35]
	v_add_f64 v[11:12], v[11:12], v[28:29]
	v_add_f64 v[13:14], v[13:14], v[30:31]
	s_or_b64 exec, exec, s[52:53]
	v_cmp_gt_u32_e64 s[10:11], 32, v1
	s_and_saveexec_b64 s[52:53], s[10:11]
	s_cbranch_execz .LBB82_127
.LBB82_526:
	ds_read_b128 v[28:31], v25 offset:64
	ds_read_b128 v[32:35], v23 offset:2176
	s_waitcnt lgkmcnt(0)
	v_mul_f64 v[36:37], v[30:31], v[34:35]
	v_mul_f64 v[34:35], v[28:29], v[34:35]
	v_fma_f64 v[28:29], v[28:29], v[32:33], -v[36:37]
	v_fma_f64 v[30:31], v[30:31], v[32:33], v[34:35]
	v_add_f64 v[11:12], v[11:12], v[28:29]
	v_add_f64 v[13:14], v[13:14], v[30:31]
	s_or_b64 exec, exec, s[52:53]
	v_cmp_gt_u32_e64 s[10:11], 24, v1
	s_and_saveexec_b64 s[52:53], s[10:11]
	s_cbranch_execz .LBB82_128
.LBB82_527:
	v_lshlrev_b32_e32 v28, 4, v27
	v_sub_u32_e32 v28, v25, v28
	v_lshl_add_u32 v32, v26, 4, v28
	ds_read_b128 v[28:31], v25 offset:80
	ds_read_b128 v[32:35], v32 offset:2688
	s_waitcnt lgkmcnt(0)
	v_mul_f64 v[36:37], v[30:31], v[34:35]
	v_mul_f64 v[34:35], v[28:29], v[34:35]
	v_fma_f64 v[28:29], v[28:29], v[32:33], -v[36:37]
	v_fma_f64 v[30:31], v[30:31], v[32:33], v[34:35]
	v_add_f64 v[11:12], v[11:12], v[28:29]
	v_add_f64 v[13:14], v[13:14], v[30:31]
	s_or_b64 exec, exec, s[52:53]
	v_cmp_gt_u32_e64 s[10:11], 16, v1
	s_and_saveexec_b64 s[52:53], s[10:11]
	s_cbranch_execz .LBB82_129
.LBB82_528:
	ds_read_b128 v[28:31], v25 offset:96
	ds_read_b128 v[32:35], v23 offset:3200
	s_waitcnt lgkmcnt(0)
	v_mul_f64 v[36:37], v[30:31], v[34:35]
	v_mul_f64 v[34:35], v[28:29], v[34:35]
	v_fma_f64 v[28:29], v[28:29], v[32:33], -v[36:37]
	v_fma_f64 v[30:31], v[30:31], v[32:33], v[34:35]
	v_add_f64 v[11:12], v[11:12], v[28:29]
	v_add_f64 v[13:14], v[13:14], v[30:31]
	s_or_b64 exec, exec, s[52:53]
	v_cmp_gt_u32_e64 s[10:11], 8, v1
	s_and_saveexec_b64 s[52:53], s[10:11]
	s_cbranch_execnz .LBB82_130
	s_branch .LBB82_131
.LBB82_529:
	v_lshlrev_b32_e32 v29, 4, v22
	v_sub_u32_e32 v29, v28, v29
	v_lshl_add_u32 v33, v21, 4, v29
	ds_read_b128 v[29:32], v28 offset:4240
	ds_read_b128 v[33:36], v33 offset:4800
	s_waitcnt lgkmcnt(0)
	v_mul_f64 v[37:38], v[31:32], v[35:36]
	v_mul_f64 v[35:36], v[29:30], v[35:36]
	v_fma_f64 v[29:30], v[29:30], v[33:34], -v[37:38]
	v_fma_f64 v[31:32], v[31:32], v[33:34], v[35:36]
	v_add_f64 v[11:12], v[11:12], v[29:30]
	v_add_f64 v[13:14], v[13:14], v[31:32]
	s_or_b64 exec, exec, s[14:15]
	v_cmp_gt_u32_e64 s[8:9], 8, v1
	s_and_saveexec_b64 s[14:15], s[8:9]
	s_cbranch_execz .LBB82_183
.LBB82_530:
	ds_read_b128 v[28:31], v28 offset:4256
	ds_read_b128 v[32:35], v18 offset:5312
	s_waitcnt lgkmcnt(0)
	v_mul_f64 v[36:37], v[30:31], v[34:35]
	v_mul_f64 v[34:35], v[28:29], v[34:35]
	v_fma_f64 v[28:29], v[28:29], v[32:33], -v[36:37]
	v_fma_f64 v[30:31], v[30:31], v[32:33], v[34:35]
	v_add_f64 v[11:12], v[11:12], v[28:29]
	v_add_f64 v[13:14], v[13:14], v[30:31]
	s_or_b64 exec, exec, s[14:15]
	v_cmp_gt_u32_e64 s[8:9], 4, v1
	s_and_saveexec_b64 s[14:15], s[8:9]
	s_cbranch_execnz .LBB82_184
	s_branch .LBB82_185
.LBB82_531:
	ds_read_b128 v[33:36], v32 offset:176
	ds_read_b128 v[37:40], v28 offset:5888
	s_waitcnt lgkmcnt(0)
	v_mul_f64 v[41:42], v[35:36], v[39:40]
	v_mul_f64 v[39:40], v[33:34], v[39:40]
	v_fma_f64 v[33:34], v[33:34], v[37:38], -v[41:42]
	v_fma_f64 v[35:36], v[35:36], v[37:38], v[39:40]
	v_add_f64 v[11:12], v[11:12], v[33:34]
	v_add_f64 v[13:14], v[13:14], v[35:36]
	s_or_b64 exec, exec, s[82:83]
	v_cmp_gt_u32_e64 s[14:15], 64, v1
	s_and_saveexec_b64 s[82:83], s[14:15]
	s_cbranch_execz .LBB82_241
.LBB82_532:
	ds_read_b128 v[33:36], v32 offset:192
	ds_read_b128 v[37:40], v28 offset:6400
	s_waitcnt lgkmcnt(0)
	v_mul_f64 v[41:42], v[35:36], v[39:40]
	v_mul_f64 v[39:40], v[33:34], v[39:40]
	v_fma_f64 v[33:34], v[33:34], v[37:38], -v[41:42]
	v_fma_f64 v[35:36], v[35:36], v[37:38], v[39:40]
	v_add_f64 v[11:12], v[11:12], v[33:34]
	v_add_f64 v[13:14], v[13:14], v[35:36]
	s_or_b64 exec, exec, s[82:83]
	v_cmp_gt_u32_e64 s[14:15], 48, v1
	s_and_saveexec_b64 s[82:83], s[14:15]
	s_cbranch_execz .LBB82_242
.LBB82_533:
	ds_read_b128 v[33:36], v32 offset:208
	ds_read_b128 v[37:40], v28 offset:6912
	s_waitcnt lgkmcnt(0)
	v_mul_f64 v[41:42], v[35:36], v[39:40]
	v_mul_f64 v[39:40], v[33:34], v[39:40]
	v_fma_f64 v[33:34], v[33:34], v[37:38], -v[41:42]
	v_fma_f64 v[35:36], v[35:36], v[37:38], v[39:40]
	v_add_f64 v[11:12], v[11:12], v[33:34]
	v_add_f64 v[13:14], v[13:14], v[35:36]
	s_or_b64 exec, exec, s[82:83]
	v_cmp_gt_u32_e64 s[14:15], 32, v1
	s_and_saveexec_b64 s[82:83], s[14:15]
	s_cbranch_execz .LBB82_243
.LBB82_534:
	ds_read_b128 v[32:35], v32 offset:224
	ds_read_b128 v[36:39], v28 offset:7424
	s_waitcnt lgkmcnt(0)
	v_mul_f64 v[40:41], v[34:35], v[38:39]
	v_mul_f64 v[38:39], v[32:33], v[38:39]
	v_fma_f64 v[32:33], v[32:33], v[36:37], -v[40:41]
	v_fma_f64 v[34:35], v[34:35], v[36:37], v[38:39]
	v_add_f64 v[11:12], v[11:12], v[32:33]
	v_add_f64 v[13:14], v[13:14], v[34:35]
	s_or_b64 exec, exec, s[82:83]
	v_cmp_gt_u32_e64 s[14:15], 16, v1
	s_and_saveexec_b64 s[82:83], s[14:15]
	s_cbranch_execnz .LBB82_244
	s_branch .LBB82_245
.LBB82_535:
	v_lshlrev_b32_e32 v29, 4, v22
	v_sub_u32_e32 v29, v28, v29
	v_lshl_add_u32 v33, v21, 4, v29
	ds_read_b128 v[29:32], v28 offset:8464
	ds_read_b128 v[33:36], v33 offset:9024
	s_waitcnt lgkmcnt(0)
	v_mul_f64 v[37:38], v[31:32], v[35:36]
	v_mul_f64 v[35:36], v[29:30], v[35:36]
	v_fma_f64 v[29:30], v[29:30], v[33:34], -v[37:38]
	v_fma_f64 v[31:32], v[31:32], v[33:34], v[35:36]
	v_add_f64 v[11:12], v[11:12], v[29:30]
	v_add_f64 v[13:14], v[13:14], v[31:32]
	s_or_b64 exec, exec, s[14:15]
	v_cmp_gt_u32_e64 s[8:9], 8, v1
	s_and_saveexec_b64 s[14:15], s[8:9]
	s_cbranch_execz .LBB82_329
.LBB82_536:
	ds_read_b128 v[28:31], v28 offset:8480
	ds_read_b128 v[32:35], v18 offset:9536
	s_waitcnt lgkmcnt(0)
	v_mul_f64 v[36:37], v[30:31], v[34:35]
	v_mul_f64 v[34:35], v[28:29], v[34:35]
	v_fma_f64 v[28:29], v[28:29], v[32:33], -v[36:37]
	v_fma_f64 v[30:31], v[30:31], v[32:33], v[34:35]
	v_add_f64 v[11:12], v[11:12], v[28:29]
	v_add_f64 v[13:14], v[13:14], v[30:31]
	s_or_b64 exec, exec, s[14:15]
	v_cmp_gt_u32_e64 s[8:9], 4, v1
	s_and_saveexec_b64 s[14:15], s[8:9]
	s_cbranch_execnz .LBB82_330
	s_branch .LBB82_331
.LBB82_537:
	v_lshlrev_b32_e32 v29, 4, v27
	v_sub_u32_e32 v29, v28, v29
	v_lshl_add_u32 v33, v26, 4, v29
	ds_read_b128 v[29:32], v28 offset:8464
	ds_read_b128 v[33:36], v33 offset:9088
	s_waitcnt lgkmcnt(0)
	v_mul_f64 v[37:38], v[31:32], v[35:36]
	v_mul_f64 v[35:36], v[29:30], v[35:36]
	v_fma_f64 v[29:30], v[29:30], v[33:34], -v[37:38]
	v_fma_f64 v[31:32], v[31:32], v[33:34], v[35:36]
	v_add_f64 v[11:12], v[11:12], v[29:30]
	v_add_f64 v[13:14], v[13:14], v[31:32]
	s_or_b64 exec, exec, s[14:15]
	v_cmp_gt_u32_e64 s[8:9], 48, v1
	s_and_saveexec_b64 s[14:15], s[8:9]
	s_cbranch_execz .LBB82_367
.LBB82_538:
	v_lshlrev_b32_e32 v29, 4, v27
	v_sub_u32_e32 v29, v28, v29
	v_lshl_add_u32 v33, v26, 4, v29
	ds_read_b128 v[29:32], v28 offset:8480
	ds_read_b128 v[33:36], v33 offset:9600
	s_waitcnt lgkmcnt(0)
	v_mul_f64 v[37:38], v[31:32], v[35:36]
	v_mul_f64 v[35:36], v[29:30], v[35:36]
	v_fma_f64 v[29:30], v[29:30], v[33:34], -v[37:38]
	v_fma_f64 v[31:32], v[31:32], v[33:34], v[35:36]
	v_add_f64 v[11:12], v[11:12], v[29:30]
	v_add_f64 v[13:14], v[13:14], v[31:32]
	s_or_b64 exec, exec, s[14:15]
	v_cmp_gt_u32_e64 s[8:9], 40, v1
	s_and_saveexec_b64 s[14:15], s[8:9]
	s_cbranch_execz .LBB82_368
.LBB82_539:
	v_lshlrev_b32_e32 v29, 4, v27
	v_sub_u32_e32 v29, v28, v29
	v_lshl_add_u32 v33, v26, 4, v29
	ds_read_b128 v[29:32], v28 offset:8496
	ds_read_b128 v[33:36], v33 offset:10112
	s_waitcnt lgkmcnt(0)
	v_mul_f64 v[37:38], v[31:32], v[35:36]
	v_mul_f64 v[35:36], v[29:30], v[35:36]
	v_fma_f64 v[29:30], v[29:30], v[33:34], -v[37:38]
	v_fma_f64 v[31:32], v[31:32], v[33:34], v[35:36]
	v_add_f64 v[11:12], v[11:12], v[29:30]
	v_add_f64 v[13:14], v[13:14], v[31:32]
	s_or_b64 exec, exec, s[14:15]
	v_cmp_gt_u32_e64 s[8:9], 32, v1
	s_and_saveexec_b64 s[14:15], s[8:9]
	s_cbranch_execz .LBB82_369
.LBB82_540:
	ds_read_b128 v[29:32], v28 offset:8512
	ds_read_b128 v[33:36], v23 offset:10624
	s_waitcnt lgkmcnt(0)
	v_mul_f64 v[37:38], v[31:32], v[35:36]
	v_mul_f64 v[35:36], v[29:30], v[35:36]
	v_fma_f64 v[29:30], v[29:30], v[33:34], -v[37:38]
	v_fma_f64 v[31:32], v[31:32], v[33:34], v[35:36]
	v_add_f64 v[11:12], v[11:12], v[29:30]
	v_add_f64 v[13:14], v[13:14], v[31:32]
	s_or_b64 exec, exec, s[14:15]
	v_cmp_gt_u32_e64 s[8:9], 24, v1
	s_and_saveexec_b64 s[14:15], s[8:9]
	s_cbranch_execz .LBB82_370
.LBB82_541:
	v_lshlrev_b32_e32 v27, 4, v27
	v_sub_u32_e32 v27, v28, v27
	v_lshl_add_u32 v26, v26, 4, v27
	ds_read_b128 v[29:32], v28 offset:8528
	ds_read_b128 v[33:36], v26 offset:11136
	s_waitcnt lgkmcnt(0)
	v_mul_f64 v[26:27], v[31:32], v[35:36]
	v_mul_f64 v[35:36], v[29:30], v[35:36]
	v_fma_f64 v[26:27], v[29:30], v[33:34], -v[26:27]
	v_fma_f64 v[29:30], v[31:32], v[33:34], v[35:36]
	v_add_f64 v[11:12], v[11:12], v[26:27]
	v_add_f64 v[13:14], v[13:14], v[29:30]
	s_or_b64 exec, exec, s[14:15]
	v_cmp_gt_u32_e64 s[8:9], 16, v1
	s_and_saveexec_b64 s[14:15], s[8:9]
	s_cbranch_execz .LBB82_371
.LBB82_542:
	ds_read_b128 v[26:29], v28 offset:8544
	ds_read_b128 v[30:33], v23 offset:11648
	s_waitcnt lgkmcnt(0)
	v_mul_f64 v[34:35], v[28:29], v[32:33]
	v_mul_f64 v[32:33], v[26:27], v[32:33]
	v_fma_f64 v[26:27], v[26:27], v[30:31], -v[34:35]
	v_fma_f64 v[28:29], v[28:29], v[30:31], v[32:33]
	v_add_f64 v[11:12], v[11:12], v[26:27]
	v_add_f64 v[13:14], v[13:14], v[28:29]
	s_or_b64 exec, exec, s[14:15]
	v_cmp_gt_u32_e64 s[8:9], 8, v1
	s_and_saveexec_b64 s[14:15], s[8:9]
	s_cbranch_execnz .LBB82_372
	s_branch .LBB82_373
.LBB82_543:
	v_lshlrev_b32_e32 v22, 4, v22
	v_sub_u32_e32 v22, v23, v22
	v_lshl_add_u32 v21, v21, 4, v22
	ds_read_b128 v[24:27], v23 offset:12688
	ds_read_b128 v[28:31], v21 offset:13248
	s_waitcnt lgkmcnt(0)
	v_mul_f64 v[21:22], v[26:27], v[30:31]
	v_mul_f64 v[30:31], v[24:25], v[30:31]
	v_fma_f64 v[21:22], v[24:25], v[28:29], -v[21:22]
	v_fma_f64 v[24:25], v[26:27], v[28:29], v[30:31]
	v_add_f64 v[11:12], v[11:12], v[21:22]
	v_add_f64 v[13:14], v[13:14], v[24:25]
	s_or_b64 exec, exec, s[12:13]
	v_cmp_gt_u32_e64 s[8:9], 8, v1
	s_and_saveexec_b64 s[12:13], s[8:9]
	s_cbranch_execz .LBB82_425
.LBB82_544:
	ds_read_b128 v[21:24], v23 offset:12704
	ds_read_b128 v[25:28], v18 offset:13760
	s_waitcnt lgkmcnt(0)
	v_mul_f64 v[29:30], v[23:24], v[27:28]
	v_mul_f64 v[27:28], v[21:22], v[27:28]
	v_fma_f64 v[21:22], v[21:22], v[25:26], -v[29:30]
	v_fma_f64 v[23:24], v[23:24], v[25:26], v[27:28]
	v_add_f64 v[11:12], v[11:12], v[21:22]
	v_add_f64 v[13:14], v[13:14], v[23:24]
	s_or_b64 exec, exec, s[12:13]
	v_cmp_gt_u32_e64 s[8:9], 4, v1
	s_and_saveexec_b64 s[12:13], s[8:9]
	s_cbranch_execnz .LBB82_426
	s_branch .LBB82_427
	.section	.rodata,"a",@progbits
	.p2align	6, 0x0
	.amdhsa_kernel _ZL19rocblas_trsv_deviceILi32ELi16ELb1ELb0ELb0ELb0E19rocblas_complex_numIdEPKS1_S3_PS1_EviT7_lllT6_T8_lllPii
		.amdhsa_group_segment_fixed_size 25104
		.amdhsa_private_segment_fixed_size 0
		.amdhsa_kernarg_size 352
		.amdhsa_user_sgpr_count 6
		.amdhsa_user_sgpr_private_segment_buffer 1
		.amdhsa_user_sgpr_dispatch_ptr 0
		.amdhsa_user_sgpr_queue_ptr 0
		.amdhsa_user_sgpr_kernarg_segment_ptr 1
		.amdhsa_user_sgpr_dispatch_id 0
		.amdhsa_user_sgpr_flat_scratch_init 0
		.amdhsa_user_sgpr_private_segment_size 0
		.amdhsa_uses_dynamic_stack 0
		.amdhsa_system_sgpr_private_segment_wavefront_offset 0
		.amdhsa_system_sgpr_workgroup_id_x 1
		.amdhsa_system_sgpr_workgroup_id_y 0
		.amdhsa_system_sgpr_workgroup_id_z 1
		.amdhsa_system_sgpr_workgroup_info 0
		.amdhsa_system_vgpr_workitem_id 1
		.amdhsa_next_free_vgpr 49
		.amdhsa_next_free_sgpr 98
		.amdhsa_reserve_vcc 1
		.amdhsa_reserve_flat_scratch 0
		.amdhsa_float_round_mode_32 0
		.amdhsa_float_round_mode_16_64 0
		.amdhsa_float_denorm_mode_32 3
		.amdhsa_float_denorm_mode_16_64 3
		.amdhsa_dx10_clamp 1
		.amdhsa_ieee_mode 1
		.amdhsa_fp16_overflow 0
		.amdhsa_exception_fp_ieee_invalid_op 0
		.amdhsa_exception_fp_denorm_src 0
		.amdhsa_exception_fp_ieee_div_zero 0
		.amdhsa_exception_fp_ieee_overflow 0
		.amdhsa_exception_fp_ieee_underflow 0
		.amdhsa_exception_fp_ieee_inexact 0
		.amdhsa_exception_int_div_zero 0
	.end_amdhsa_kernel
	.section	.text._ZL19rocblas_trsv_deviceILi32ELi16ELb1ELb0ELb0ELb0E19rocblas_complex_numIdEPKS1_S3_PS1_EviT7_lllT6_T8_lllPii,"axG",@progbits,_ZL19rocblas_trsv_deviceILi32ELi16ELb1ELb0ELb0ELb0E19rocblas_complex_numIdEPKS1_S3_PS1_EviT7_lllT6_T8_lllPii,comdat
.Lfunc_end82:
	.size	_ZL19rocblas_trsv_deviceILi32ELi16ELb1ELb0ELb0ELb0E19rocblas_complex_numIdEPKS1_S3_PS1_EviT7_lllT6_T8_lllPii, .Lfunc_end82-_ZL19rocblas_trsv_deviceILi32ELi16ELb1ELb0ELb0ELb0E19rocblas_complex_numIdEPKS1_S3_PS1_EviT7_lllT6_T8_lllPii
                                        ; -- End function
	.set _ZL19rocblas_trsv_deviceILi32ELi16ELb1ELb0ELb0ELb0E19rocblas_complex_numIdEPKS1_S3_PS1_EviT7_lllT6_T8_lllPii.num_vgpr, 43
	.set _ZL19rocblas_trsv_deviceILi32ELi16ELb1ELb0ELb0ELb0E19rocblas_complex_numIdEPKS1_S3_PS1_EviT7_lllT6_T8_lllPii.num_agpr, 0
	.set _ZL19rocblas_trsv_deviceILi32ELi16ELb1ELb0ELb0ELb0E19rocblas_complex_numIdEPKS1_S3_PS1_EviT7_lllT6_T8_lllPii.numbered_sgpr, 89
	.set _ZL19rocblas_trsv_deviceILi32ELi16ELb1ELb0ELb0ELb0E19rocblas_complex_numIdEPKS1_S3_PS1_EviT7_lllT6_T8_lllPii.num_named_barrier, 0
	.set _ZL19rocblas_trsv_deviceILi32ELi16ELb1ELb0ELb0ELb0E19rocblas_complex_numIdEPKS1_S3_PS1_EviT7_lllT6_T8_lllPii.private_seg_size, 0
	.set _ZL19rocblas_trsv_deviceILi32ELi16ELb1ELb0ELb0ELb0E19rocblas_complex_numIdEPKS1_S3_PS1_EviT7_lllT6_T8_lllPii.uses_vcc, 1
	.set _ZL19rocblas_trsv_deviceILi32ELi16ELb1ELb0ELb0ELb0E19rocblas_complex_numIdEPKS1_S3_PS1_EviT7_lllT6_T8_lllPii.uses_flat_scratch, 0
	.set _ZL19rocblas_trsv_deviceILi32ELi16ELb1ELb0ELb0ELb0E19rocblas_complex_numIdEPKS1_S3_PS1_EviT7_lllT6_T8_lllPii.has_dyn_sized_stack, 0
	.set _ZL19rocblas_trsv_deviceILi32ELi16ELb1ELb0ELb0ELb0E19rocblas_complex_numIdEPKS1_S3_PS1_EviT7_lllT6_T8_lllPii.has_recursion, 0
	.set _ZL19rocblas_trsv_deviceILi32ELi16ELb1ELb0ELb0ELb0E19rocblas_complex_numIdEPKS1_S3_PS1_EviT7_lllT6_T8_lllPii.has_indirect_call, 0
	.section	.AMDGPU.csdata,"",@progbits
; Kernel info:
; codeLenInByte = 25660
; TotalNumSgprs: 93
; NumVgprs: 43
; ScratchSize: 0
; MemoryBound: 1
; FloatMode: 240
; IeeeMode: 1
; LDSByteSize: 25104 bytes/workgroup (compile time only)
; SGPRBlocks: 12
; VGPRBlocks: 12
; NumSGPRsForWavesPerEU: 102
; NumVGPRsForWavesPerEU: 49
; Occupancy: 4
; WaveLimiterHint : 0
; COMPUTE_PGM_RSRC2:SCRATCH_EN: 0
; COMPUTE_PGM_RSRC2:USER_SGPR: 6
; COMPUTE_PGM_RSRC2:TRAP_HANDLER: 0
; COMPUTE_PGM_RSRC2:TGID_X_EN: 1
; COMPUTE_PGM_RSRC2:TGID_Y_EN: 0
; COMPUTE_PGM_RSRC2:TGID_Z_EN: 1
; COMPUTE_PGM_RSRC2:TIDIG_COMP_CNT: 1
	.section	.text._ZL19rocblas_trsv_deviceILi32ELi16ELb1ELb1ELb0ELb0E19rocblas_complex_numIdEPKS1_S3_PS1_EviT7_lllT6_T8_lllPii,"axG",@progbits,_ZL19rocblas_trsv_deviceILi32ELi16ELb1ELb1ELb0ELb0E19rocblas_complex_numIdEPKS1_S3_PS1_EviT7_lllT6_T8_lllPii,comdat
	.globl	_ZL19rocblas_trsv_deviceILi32ELi16ELb1ELb1ELb0ELb0E19rocblas_complex_numIdEPKS1_S3_PS1_EviT7_lllT6_T8_lllPii ; -- Begin function _ZL19rocblas_trsv_deviceILi32ELi16ELb1ELb1ELb0ELb0E19rocblas_complex_numIdEPKS1_S3_PS1_EviT7_lllT6_T8_lllPii
	.p2align	8
	.type	_ZL19rocblas_trsv_deviceILi32ELi16ELb1ELb1ELb0ELb0E19rocblas_complex_numIdEPKS1_S3_PS1_EviT7_lllT6_T8_lllPii,@function
_ZL19rocblas_trsv_deviceILi32ELi16ELb1ELb1ELb0ELb0E19rocblas_complex_numIdEPKS1_S3_PS1_EviT7_lllT6_T8_lllPii: ; @_ZL19rocblas_trsv_deviceILi32ELi16ELb1ELb1ELb0ELb0E19rocblas_complex_numIdEPKS1_S3_PS1_EviT7_lllT6_T8_lllPii
; %bb.0:
	s_load_dwordx16 s[16:31], s[4:5], 0x8
	s_load_dword s40, s[4:5], 0x0
	s_mov_b32 s34, s7
	v_mov_b32_e32 v2, v1
	s_mov_b32 s35, 0
	s_waitcnt lgkmcnt(0)
	s_mul_i32 s0, s23, s7
	s_mul_hi_u32 s1, s22, s7
	s_add_i32 s1, s1, s0
	s_mul_i32 s0, s22, s7
	s_load_dword s7, s[4:5], 0x60
	s_lshl_b64 s[0:1], s[0:1], 4
	s_add_u32 s2, s16, s0
	s_addc_u32 s3, s17, s1
	s_lshl_b64 s[0:1], s[18:19], 4
	s_load_dwordx4 s[36:39], s[24:25], 0x0
	s_load_dword s43, s[4:5], 0x6c
	s_add_u32 s94, s2, s0
	s_addc_u32 s62, s3, s1
	s_waitcnt lgkmcnt(0)
	s_add_i32 s7, s7, -1
	s_sub_i32 s63, s7, s6
	s_cmp_lg_u32 s6, 0
	s_cbranch_scc0 .LBB83_545
; %bb.1:
	s_lshl_b32 s33, s63, 5
	v_add_u32_e32 v1, s33, v0
	v_ashrrev_i32_e32 v3, 31, v1
	v_mul_lo_u32 v7, s20, v3
	v_mul_lo_u32 v8, s21, v1
	v_mad_u64_u32 v[5:6], s[0:1], s20, v1, 0
	v_add3_u32 v3, v2, s33, 32
	v_ashrrev_i32_e32 v4, 31, v3
	v_add3_u32 v6, v6, v7, v8
	v_lshlrev_b64 v[5:6], 4, v[5:6]
	v_cmp_gt_i32_e32 vcc, s40, v1
	v_mov_b32_e32 v1, s62
	v_add_co_u32_e64 v7, s[0:1], s94, v5
	v_lshlrev_b64 v[4:5], 4, v[3:4]
	v_addc_co_u32_e64 v1, s[0:1], v1, v6, s[0:1]
	v_add_co_u32_e64 v11, s[0:1], v7, v4
	v_addc_co_u32_e64 v12, s[0:1], v1, v5, s[0:1]
	v_cmp_gt_i32_e64 s[0:1], s40, v3
	v_mov_b32_e32 v5, 0
	v_mov_b32_e32 v7, 0
	;; [unrolled: 1-line block ×6, first 2 shown]
	s_and_b64 s[2:3], s[0:1], vcc
	s_barrier
	s_and_saveexec_b64 s[0:1], s[2:3]
	s_cbranch_execz .LBB83_3
; %bb.2:
	global_load_dwordx4 v[7:10], v[11:12], off
.LBB83_3:
	s_or_b64 exec, exec, s[0:1]
	v_add_u32_e32 v1, 16, v3
	v_cmp_gt_i32_e64 s[0:1], s40, v1
	v_mov_b32_e32 v3, 0
	v_mov_b32_e32 v4, 0
	s_and_b64 s[2:3], s[0:1], vcc
	s_waitcnt vmcnt(0)
	s_barrier
	s_and_saveexec_b64 s[0:1], s[2:3]
	s_cbranch_execz .LBB83_5
; %bb.4:
	global_load_dwordx4 v[3:6], v[11:12], off offset:256
.LBB83_5:
	s_or_b64 exec, exec, s[0:1]
	s_branch .LBB83_7
.LBB83_6:
	s_lshl_b32 s33, s63, 5
                                        ; implicit-def: $vgpr7_vgpr8
                                        ; implicit-def: $vgpr3_vgpr4
.LBB83_7:
	s_ashr_i32 s41, s40, 31
	s_lshr_b32 s0, s41, 27
	s_add_i32 s0, s40, s0
	s_andn2_b32 s0, s0, 31
	s_sub_i32 s95, s40, s0
	s_add_i32 s0, s40, -1
	s_ashr_i32 s1, s0, 31
	s_lshr_b32 s1, s1, 27
	s_add_i32 s0, s0, s1
	s_ashr_i32 s0, s0, 5
	s_cmp_eq_u32 s0, s63
	s_cselect_b64 s[0:1], -1, 0
	s_cmp_lg_u32 s95, 0
	s_cselect_b64 s[2:3], -1, 0
	s_and_b64 s[22:23], s[2:3], s[0:1]
	s_cmp_lt_i32 s6, 5
	s_cselect_b64 s[2:3], -1, 0
	s_or_b64 s[0:1], s[2:3], s[22:23]
	s_ashr_i32 s42, s33, 31
	s_add_u32 s10, s20, 1
	v_mov_b32_e32 v1, 0
	v_mov_b32_e32 v11, s33
	v_mad_u64_u32 v[19:20], s[8:9], s10, v11, v[0:1]
	s_addc_u32 s11, s21, 0
	s_mul_i32 s8, s10, s42
	s_mul_i32 s11, s11, s33
	v_lshlrev_b32_e32 v21, 5, v0
	s_add_i32 s8, s8, s11
	s_mov_b64 s[12:13], -1
	v_add_u32_e32 v20, s8, v20
	s_and_b64 vcc, exec, s[22:23]
	v_add_u32_e32 v22, v2, v21
	v_cmp_le_u32_e64 s[8:9], v0, v2
	v_lshl_add_u32 v1, v2, 5, v0
	s_cbranch_vccnz .LBB83_37
; %bb.8:
	v_mad_u64_u32 v[11:12], s[10:11], s20, v2, v[19:20]
	v_cndmask_b32_e64 v23, v1, v22, s[2:3]
	v_mad_u64_u32 v[12:13], s[10:11], s21, v2, v[12:13]
	s_and_saveexec_b64 s[2:3], s[8:9]
	s_xor_b64 s[2:3], exec, s[2:3]
	s_cbranch_execz .LBB83_20
; %bb.9:
	v_cmp_ne_u32_e32 vcc, v0, v2
	s_and_saveexec_b64 s[8:9], vcc
	s_xor_b64 s[8:9], exec, s[8:9]
	s_cbranch_execz .LBB83_13
; %bb.10:
	v_or_b32_e32 v11, v2, v0
	v_cmp_gt_u32_e32 vcc, 32, v11
	s_and_saveexec_b64 s[10:11], vcc
	s_cbranch_execz .LBB83_12
; %bb.11:
	v_mov_b32_e32 v11, 0
	v_lshlrev_b32_e32 v15, 4, v23
	v_mov_b32_e32 v12, v11
	v_mov_b32_e32 v13, v11
	;; [unrolled: 1-line block ×3, first 2 shown]
	ds_write_b128 v15, v[11:14]
.LBB83_12:
	s_or_b64 exec, exec, s[10:11]
                                        ; implicit-def: $vgpr23
                                        ; implicit-def: $vgpr11_vgpr12
.LBB83_13:
	s_andn2_saveexec_b64 s[8:9], s[8:9]
	s_cbranch_execz .LBB83_19
; %bb.14:
	v_lshlrev_b64 v[11:12], 4, v[11:12]
	v_mov_b32_e32 v13, s62
	v_add_co_u32_e32 v11, vcc, s94, v11
	v_addc_co_u32_e32 v12, vcc, v13, v12, vcc
	global_load_dwordx4 v[11:14], v[11:12], off
                                        ; implicit-def: $vgpr15_vgpr16
	s_waitcnt vmcnt(0)
	v_cmp_ngt_f64_e64 s[10:11], |v[11:12]|, |v[13:14]|
	s_and_saveexec_b64 s[12:13], s[10:11]
	s_xor_b64 s[10:11], exec, s[12:13]
	s_cbranch_execz .LBB83_16
; %bb.15:
	v_div_scale_f64 v[15:16], s[12:13], v[13:14], v[13:14], v[11:12]
	v_rcp_f64_e32 v[17:18], v[15:16]
	v_fma_f64 v[24:25], -v[15:16], v[17:18], 1.0
	v_fma_f64 v[17:18], v[17:18], v[24:25], v[17:18]
	v_div_scale_f64 v[24:25], vcc, v[11:12], v[13:14], v[11:12]
	v_fma_f64 v[26:27], -v[15:16], v[17:18], 1.0
	v_fma_f64 v[17:18], v[17:18], v[26:27], v[17:18]
	v_mul_f64 v[26:27], v[24:25], v[17:18]
	v_fma_f64 v[15:16], -v[15:16], v[26:27], v[24:25]
	v_div_fmas_f64 v[15:16], v[15:16], v[17:18], v[26:27]
	v_div_fixup_f64 v[15:16], v[15:16], v[13:14], v[11:12]
	v_fma_f64 v[11:12], v[11:12], v[15:16], v[13:14]
	v_div_scale_f64 v[13:14], s[12:13], v[11:12], v[11:12], 1.0
	v_div_scale_f64 v[26:27], vcc, 1.0, v[11:12], 1.0
	v_rcp_f64_e32 v[17:18], v[13:14]
	v_fma_f64 v[24:25], -v[13:14], v[17:18], 1.0
	v_fma_f64 v[17:18], v[17:18], v[24:25], v[17:18]
	v_fma_f64 v[24:25], -v[13:14], v[17:18], 1.0
	v_fma_f64 v[17:18], v[17:18], v[24:25], v[17:18]
	v_mul_f64 v[24:25], v[26:27], v[17:18]
	v_fma_f64 v[13:14], -v[13:14], v[24:25], v[26:27]
	v_div_fmas_f64 v[13:14], v[13:14], v[17:18], v[24:25]
	v_div_fixup_f64 v[17:18], v[13:14], v[11:12], 1.0
                                        ; implicit-def: $vgpr11_vgpr12
	v_mul_f64 v[15:16], v[15:16], v[17:18]
	v_xor_b32_e32 v18, 0x80000000, v18
.LBB83_16:
	s_andn2_saveexec_b64 s[10:11], s[10:11]
	s_cbranch_execz .LBB83_18
; %bb.17:
	v_div_scale_f64 v[15:16], s[12:13], v[11:12], v[11:12], v[13:14]
	v_rcp_f64_e32 v[17:18], v[15:16]
	v_fma_f64 v[24:25], -v[15:16], v[17:18], 1.0
	v_fma_f64 v[17:18], v[17:18], v[24:25], v[17:18]
	v_div_scale_f64 v[24:25], vcc, v[13:14], v[11:12], v[13:14]
	v_fma_f64 v[26:27], -v[15:16], v[17:18], 1.0
	v_fma_f64 v[17:18], v[17:18], v[26:27], v[17:18]
	v_mul_f64 v[26:27], v[24:25], v[17:18]
	v_fma_f64 v[15:16], -v[15:16], v[26:27], v[24:25]
	v_div_fmas_f64 v[15:16], v[15:16], v[17:18], v[26:27]
	v_div_fixup_f64 v[17:18], v[15:16], v[11:12], v[13:14]
	v_fma_f64 v[11:12], v[13:14], v[17:18], v[11:12]
	v_div_scale_f64 v[13:14], s[12:13], v[11:12], v[11:12], 1.0
	v_div_scale_f64 v[26:27], vcc, 1.0, v[11:12], 1.0
	v_rcp_f64_e32 v[15:16], v[13:14]
	v_fma_f64 v[24:25], -v[13:14], v[15:16], 1.0
	v_fma_f64 v[15:16], v[15:16], v[24:25], v[15:16]
	v_fma_f64 v[24:25], -v[13:14], v[15:16], 1.0
	v_fma_f64 v[15:16], v[15:16], v[24:25], v[15:16]
	v_mul_f64 v[24:25], v[26:27], v[15:16]
	v_fma_f64 v[13:14], -v[13:14], v[24:25], v[26:27]
	v_div_fmas_f64 v[13:14], v[13:14], v[15:16], v[24:25]
	v_div_fixup_f64 v[15:16], v[13:14], v[11:12], 1.0
	v_mul_f64 v[17:18], v[17:18], -v[15:16]
.LBB83_18:
	s_or_b64 exec, exec, s[10:11]
	v_lshlrev_b32_e32 v11, 4, v23
	ds_write_b128 v11, v[15:18]
.LBB83_19:
	s_or_b64 exec, exec, s[8:9]
                                        ; implicit-def: $vgpr11_vgpr12
                                        ; implicit-def: $vgpr23
.LBB83_20:
	s_andn2_saveexec_b64 s[2:3], s[2:3]
	s_cbranch_execz .LBB83_22
; %bb.21:
	v_lshlrev_b64 v[11:12], 4, v[11:12]
	v_mov_b32_e32 v13, s62
	v_add_co_u32_e32 v11, vcc, s94, v11
	v_addc_co_u32_e32 v12, vcc, v13, v12, vcc
	global_load_dwordx4 v[11:14], v[11:12], off
	v_lshlrev_b32_e32 v15, 4, v23
	s_waitcnt vmcnt(0)
	v_xor_b32_e32 v12, 0x80000000, v12
	v_xor_b32_e32 v14, 0x80000000, v14
	ds_write_b128 v15, v[11:14]
.LBB83_22:
	s_or_b64 exec, exec, s[2:3]
	v_add_u32_e32 v13, 16, v2
	v_mad_u64_u32 v[11:12], s[2:3], s20, v13, v[19:20]
	v_cmp_le_u32_e32 vcc, v0, v13
	v_mad_u64_u32 v[14:15], s[2:3], s21, v13, v[12:13]
	v_add_u32_e32 v12, v13, v21
	v_lshl_add_u32 v15, v13, 5, v0
	v_cndmask_b32_e64 v23, v15, v12, s[0:1]
	v_mov_b32_e32 v12, v14
	s_and_saveexec_b64 s[2:3], vcc
	s_xor_b64 s[2:3], exec, s[2:3]
	s_cbranch_execz .LBB83_34
; %bb.23:
	v_cmp_ne_u32_e32 vcc, v0, v13
	s_and_saveexec_b64 s[8:9], vcc
	s_xor_b64 s[8:9], exec, s[8:9]
	s_cbranch_execz .LBB83_27
; %bb.24:
	v_or_b32_e32 v11, v13, v0
	v_cmp_gt_u32_e32 vcc, 32, v11
	s_and_saveexec_b64 s[10:11], vcc
	s_cbranch_execz .LBB83_26
; %bb.25:
	v_mov_b32_e32 v11, 0
	v_lshlrev_b32_e32 v15, 4, v23
	v_mov_b32_e32 v12, v11
	v_mov_b32_e32 v13, v11
	;; [unrolled: 1-line block ×3, first 2 shown]
	ds_write_b128 v15, v[11:14]
.LBB83_26:
	s_or_b64 exec, exec, s[10:11]
                                        ; implicit-def: $vgpr23
                                        ; implicit-def: $vgpr11_vgpr12
.LBB83_27:
	s_andn2_saveexec_b64 s[8:9], s[8:9]
	s_cbranch_execz .LBB83_33
; %bb.28:
	v_lshlrev_b64 v[11:12], 4, v[11:12]
	v_mov_b32_e32 v13, s62
	v_add_co_u32_e32 v11, vcc, s94, v11
	v_addc_co_u32_e32 v12, vcc, v13, v12, vcc
	global_load_dwordx4 v[11:14], v[11:12], off
                                        ; implicit-def: $vgpr15_vgpr16
	s_waitcnt vmcnt(0)
	v_cmp_ngt_f64_e64 s[10:11], |v[11:12]|, |v[13:14]|
	s_and_saveexec_b64 s[12:13], s[10:11]
	s_xor_b64 s[10:11], exec, s[12:13]
	s_cbranch_execz .LBB83_30
; %bb.29:
	v_div_scale_f64 v[15:16], s[12:13], v[13:14], v[13:14], v[11:12]
	v_rcp_f64_e32 v[17:18], v[15:16]
	v_fma_f64 v[24:25], -v[15:16], v[17:18], 1.0
	v_fma_f64 v[17:18], v[17:18], v[24:25], v[17:18]
	v_div_scale_f64 v[24:25], vcc, v[11:12], v[13:14], v[11:12]
	v_fma_f64 v[26:27], -v[15:16], v[17:18], 1.0
	v_fma_f64 v[17:18], v[17:18], v[26:27], v[17:18]
	v_mul_f64 v[26:27], v[24:25], v[17:18]
	v_fma_f64 v[15:16], -v[15:16], v[26:27], v[24:25]
	v_div_fmas_f64 v[15:16], v[15:16], v[17:18], v[26:27]
	v_div_fixup_f64 v[15:16], v[15:16], v[13:14], v[11:12]
	v_fma_f64 v[11:12], v[11:12], v[15:16], v[13:14]
	v_div_scale_f64 v[13:14], s[12:13], v[11:12], v[11:12], 1.0
	v_div_scale_f64 v[26:27], vcc, 1.0, v[11:12], 1.0
	v_rcp_f64_e32 v[17:18], v[13:14]
	v_fma_f64 v[24:25], -v[13:14], v[17:18], 1.0
	v_fma_f64 v[17:18], v[17:18], v[24:25], v[17:18]
	v_fma_f64 v[24:25], -v[13:14], v[17:18], 1.0
	v_fma_f64 v[17:18], v[17:18], v[24:25], v[17:18]
	v_mul_f64 v[24:25], v[26:27], v[17:18]
	v_fma_f64 v[13:14], -v[13:14], v[24:25], v[26:27]
	v_div_fmas_f64 v[13:14], v[13:14], v[17:18], v[24:25]
	v_div_fixup_f64 v[17:18], v[13:14], v[11:12], 1.0
                                        ; implicit-def: $vgpr11_vgpr12
	v_mul_f64 v[15:16], v[15:16], v[17:18]
	v_xor_b32_e32 v18, 0x80000000, v18
.LBB83_30:
	s_andn2_saveexec_b64 s[10:11], s[10:11]
	s_cbranch_execz .LBB83_32
; %bb.31:
	v_div_scale_f64 v[15:16], s[12:13], v[11:12], v[11:12], v[13:14]
	v_rcp_f64_e32 v[17:18], v[15:16]
	v_fma_f64 v[24:25], -v[15:16], v[17:18], 1.0
	v_fma_f64 v[17:18], v[17:18], v[24:25], v[17:18]
	v_div_scale_f64 v[24:25], vcc, v[13:14], v[11:12], v[13:14]
	v_fma_f64 v[26:27], -v[15:16], v[17:18], 1.0
	v_fma_f64 v[17:18], v[17:18], v[26:27], v[17:18]
	v_mul_f64 v[26:27], v[24:25], v[17:18]
	v_fma_f64 v[15:16], -v[15:16], v[26:27], v[24:25]
	v_div_fmas_f64 v[15:16], v[15:16], v[17:18], v[26:27]
	v_div_fixup_f64 v[17:18], v[15:16], v[11:12], v[13:14]
	v_fma_f64 v[11:12], v[13:14], v[17:18], v[11:12]
	v_div_scale_f64 v[13:14], s[12:13], v[11:12], v[11:12], 1.0
	v_div_scale_f64 v[26:27], vcc, 1.0, v[11:12], 1.0
	v_rcp_f64_e32 v[15:16], v[13:14]
	v_fma_f64 v[24:25], -v[13:14], v[15:16], 1.0
	v_fma_f64 v[15:16], v[15:16], v[24:25], v[15:16]
	v_fma_f64 v[24:25], -v[13:14], v[15:16], 1.0
	v_fma_f64 v[15:16], v[15:16], v[24:25], v[15:16]
	v_mul_f64 v[24:25], v[26:27], v[15:16]
	v_fma_f64 v[13:14], -v[13:14], v[24:25], v[26:27]
	v_div_fmas_f64 v[13:14], v[13:14], v[15:16], v[24:25]
	v_div_fixup_f64 v[15:16], v[13:14], v[11:12], 1.0
	v_mul_f64 v[17:18], v[17:18], -v[15:16]
.LBB83_32:
	s_or_b64 exec, exec, s[10:11]
	v_lshlrev_b32_e32 v11, 4, v23
	ds_write_b128 v11, v[15:18]
.LBB83_33:
	s_or_b64 exec, exec, s[8:9]
                                        ; implicit-def: $vgpr11_vgpr12
                                        ; implicit-def: $vgpr23
.LBB83_34:
	s_andn2_saveexec_b64 s[2:3], s[2:3]
	s_cbranch_execz .LBB83_36
; %bb.35:
	v_lshlrev_b64 v[11:12], 4, v[11:12]
	v_mov_b32_e32 v13, s62
	v_add_co_u32_e32 v11, vcc, s94, v11
	v_addc_co_u32_e32 v12, vcc, v13, v12, vcc
	global_load_dwordx4 v[11:14], v[11:12], off
	v_lshlrev_b32_e32 v15, 4, v23
	s_waitcnt vmcnt(0)
	v_xor_b32_e32 v12, 0x80000000, v12
	v_xor_b32_e32 v14, 0x80000000, v14
	ds_write_b128 v15, v[11:14]
.LBB83_36:
	s_or_b64 exec, exec, s[2:3]
	s_mov_b64 s[12:13], 0
.LBB83_37:
	s_xor_b64 s[10:11], s[0:1], -1
	s_and_b64 vcc, exec, s[12:13]
	s_cbranch_vccz .LBB83_67
; %bb.38:
	v_mad_u64_u32 v[11:12], s[2:3], s20, v2, v[19:20]
	v_cmp_le_u32_e32 vcc, v0, v2
	v_cmp_gt_i32_e64 s[2:3], s95, v0
	v_mad_u64_u32 v[12:13], s[8:9], s21, v2, v[12:13]
	v_max_i32_e32 v13, v2, v0
	v_cmp_le_i32_e64 s[8:9], s95, v13
	s_or_b64 s[8:9], s[8:9], vcc
	s_and_saveexec_b64 s[12:13], s[8:9]
	s_xor_b64 s[8:9], exec, s[12:13]
	s_cbranch_execz .LBB83_50
; %bb.39:
	v_cmp_ne_u32_e32 vcc, v0, v2
	s_xor_b64 s[12:13], s[2:3], -1
	s_or_b64 s[12:13], s[12:13], vcc
	s_and_saveexec_b64 s[14:15], s[12:13]
	s_xor_b64 s[12:13], exec, s[14:15]
	s_cbranch_execz .LBB83_43
; %bb.40:
	v_or_b32_e32 v11, v2, v0
	v_cmp_gt_u32_e32 vcc, 32, v11
	s_and_saveexec_b64 s[14:15], vcc
	s_cbranch_execz .LBB83_42
; %bb.41:
	v_mov_b32_e32 v11, 0
	v_lshlrev_b32_e32 v15, 4, v22
	v_mov_b32_e32 v12, v11
	v_mov_b32_e32 v13, v11
	;; [unrolled: 1-line block ×3, first 2 shown]
	ds_write_b128 v15, v[11:14]
.LBB83_42:
	s_or_b64 exec, exec, s[14:15]
                                        ; implicit-def: $vgpr22
                                        ; implicit-def: $vgpr11_vgpr12
.LBB83_43:
	s_andn2_saveexec_b64 s[12:13], s[12:13]
	s_cbranch_execz .LBB83_49
; %bb.44:
	v_lshlrev_b64 v[11:12], 4, v[11:12]
	v_mov_b32_e32 v13, s62
	v_add_co_u32_e32 v11, vcc, s94, v11
	v_addc_co_u32_e32 v12, vcc, v13, v12, vcc
	global_load_dwordx4 v[11:14], v[11:12], off
                                        ; implicit-def: $vgpr15_vgpr16
	s_waitcnt vmcnt(0)
	v_cmp_ngt_f64_e64 s[14:15], |v[11:12]|, |v[13:14]|
	s_and_saveexec_b64 s[16:17], s[14:15]
	s_xor_b64 s[14:15], exec, s[16:17]
	s_cbranch_execz .LBB83_46
; %bb.45:
	v_div_scale_f64 v[15:16], s[16:17], v[13:14], v[13:14], v[11:12]
	v_rcp_f64_e32 v[17:18], v[15:16]
	v_fma_f64 v[23:24], -v[15:16], v[17:18], 1.0
	v_fma_f64 v[17:18], v[17:18], v[23:24], v[17:18]
	v_div_scale_f64 v[23:24], vcc, v[11:12], v[13:14], v[11:12]
	v_fma_f64 v[25:26], -v[15:16], v[17:18], 1.0
	v_fma_f64 v[17:18], v[17:18], v[25:26], v[17:18]
	v_mul_f64 v[25:26], v[23:24], v[17:18]
	v_fma_f64 v[15:16], -v[15:16], v[25:26], v[23:24]
	v_div_fmas_f64 v[15:16], v[15:16], v[17:18], v[25:26]
	v_div_fixup_f64 v[15:16], v[15:16], v[13:14], v[11:12]
	v_fma_f64 v[11:12], v[11:12], v[15:16], v[13:14]
	v_div_scale_f64 v[13:14], s[16:17], v[11:12], v[11:12], 1.0
	v_div_scale_f64 v[25:26], vcc, 1.0, v[11:12], 1.0
	v_rcp_f64_e32 v[17:18], v[13:14]
	v_fma_f64 v[23:24], -v[13:14], v[17:18], 1.0
	v_fma_f64 v[17:18], v[17:18], v[23:24], v[17:18]
	v_fma_f64 v[23:24], -v[13:14], v[17:18], 1.0
	v_fma_f64 v[17:18], v[17:18], v[23:24], v[17:18]
	v_mul_f64 v[23:24], v[25:26], v[17:18]
	v_fma_f64 v[13:14], -v[13:14], v[23:24], v[25:26]
	v_div_fmas_f64 v[13:14], v[13:14], v[17:18], v[23:24]
	v_div_fixup_f64 v[17:18], v[13:14], v[11:12], 1.0
                                        ; implicit-def: $vgpr11_vgpr12
	v_mul_f64 v[15:16], v[15:16], v[17:18]
	v_xor_b32_e32 v18, 0x80000000, v18
.LBB83_46:
	s_andn2_saveexec_b64 s[14:15], s[14:15]
	s_cbranch_execz .LBB83_48
; %bb.47:
	v_div_scale_f64 v[15:16], s[16:17], v[11:12], v[11:12], v[13:14]
	v_rcp_f64_e32 v[17:18], v[15:16]
	v_fma_f64 v[23:24], -v[15:16], v[17:18], 1.0
	v_fma_f64 v[17:18], v[17:18], v[23:24], v[17:18]
	v_div_scale_f64 v[23:24], vcc, v[13:14], v[11:12], v[13:14]
	v_fma_f64 v[25:26], -v[15:16], v[17:18], 1.0
	v_fma_f64 v[17:18], v[17:18], v[25:26], v[17:18]
	v_mul_f64 v[25:26], v[23:24], v[17:18]
	v_fma_f64 v[15:16], -v[15:16], v[25:26], v[23:24]
	v_div_fmas_f64 v[15:16], v[15:16], v[17:18], v[25:26]
	v_div_fixup_f64 v[17:18], v[15:16], v[11:12], v[13:14]
	v_fma_f64 v[11:12], v[13:14], v[17:18], v[11:12]
	v_div_scale_f64 v[13:14], s[16:17], v[11:12], v[11:12], 1.0
	v_div_scale_f64 v[25:26], vcc, 1.0, v[11:12], 1.0
	v_rcp_f64_e32 v[15:16], v[13:14]
	v_fma_f64 v[23:24], -v[13:14], v[15:16], 1.0
	v_fma_f64 v[15:16], v[15:16], v[23:24], v[15:16]
	v_fma_f64 v[23:24], -v[13:14], v[15:16], 1.0
	v_fma_f64 v[15:16], v[15:16], v[23:24], v[15:16]
	v_mul_f64 v[23:24], v[25:26], v[15:16]
	v_fma_f64 v[13:14], -v[13:14], v[23:24], v[25:26]
	v_div_fmas_f64 v[13:14], v[13:14], v[15:16], v[23:24]
	v_div_fixup_f64 v[15:16], v[13:14], v[11:12], 1.0
	v_mul_f64 v[17:18], v[17:18], -v[15:16]
.LBB83_48:
	s_or_b64 exec, exec, s[14:15]
	v_lshlrev_b32_e32 v11, 4, v22
	ds_write_b128 v11, v[15:18]
.LBB83_49:
	s_or_b64 exec, exec, s[12:13]
                                        ; implicit-def: $vgpr11_vgpr12
                                        ; implicit-def: $vgpr22
.LBB83_50:
	s_andn2_saveexec_b64 s[8:9], s[8:9]
	s_cbranch_execz .LBB83_52
; %bb.51:
	v_lshlrev_b64 v[11:12], 4, v[11:12]
	v_mov_b32_e32 v13, s62
	v_add_co_u32_e32 v11, vcc, s94, v11
	v_addc_co_u32_e32 v12, vcc, v13, v12, vcc
	global_load_dwordx4 v[11:14], v[11:12], off
	v_lshlrev_b32_e32 v15, 4, v22
	s_waitcnt vmcnt(0)
	v_xor_b32_e32 v12, 0x80000000, v12
	v_xor_b32_e32 v14, 0x80000000, v14
	ds_write_b128 v15, v[11:14]
.LBB83_52:
	s_or_b64 exec, exec, s[8:9]
	v_add_u32_e32 v13, 16, v2
	v_mad_u64_u32 v[11:12], s[8:9], s20, v13, v[19:20]
	v_add_u32_e32 v16, v13, v21
	v_cmp_gt_u32_e32 vcc, v0, v13
	v_mad_u64_u32 v[14:15], s[8:9], s21, v13, v[12:13]
	v_lshl_add_u32 v12, v13, 5, v0
	v_cndmask_b32_e64 v19, v12, v16, s[0:1]
	v_cmp_gt_i32_e64 s[0:1], s95, v13
	s_and_b64 s[0:1], vcc, s[0:1]
	s_and_b64 s[0:1], s[2:3], s[0:1]
	v_mov_b32_e32 v12, v14
	s_xor_b64 s[0:1], s[0:1], -1
	s_and_saveexec_b64 s[8:9], s[0:1]
	s_xor_b64 s[0:1], exec, s[8:9]
	s_cbranch_execz .LBB83_64
; %bb.53:
	v_cmp_ne_u32_e32 vcc, v0, v13
	s_xor_b64 s[2:3], s[2:3], -1
	s_or_b64 s[2:3], s[2:3], vcc
	s_and_saveexec_b64 s[8:9], s[2:3]
	s_xor_b64 s[2:3], exec, s[8:9]
	s_cbranch_execz .LBB83_57
; %bb.54:
	v_or_b32_e32 v11, v13, v0
	v_cmp_gt_u32_e32 vcc, 32, v11
	s_and_saveexec_b64 s[8:9], vcc
	s_cbranch_execz .LBB83_56
; %bb.55:
	v_mov_b32_e32 v11, 0
	v_lshlrev_b32_e32 v15, 4, v19
	v_mov_b32_e32 v12, v11
	v_mov_b32_e32 v13, v11
	;; [unrolled: 1-line block ×3, first 2 shown]
	ds_write_b128 v15, v[11:14]
.LBB83_56:
	s_or_b64 exec, exec, s[8:9]
                                        ; implicit-def: $vgpr19
                                        ; implicit-def: $vgpr11_vgpr12
.LBB83_57:
	s_andn2_saveexec_b64 s[2:3], s[2:3]
	s_cbranch_execz .LBB83_63
; %bb.58:
	v_lshlrev_b64 v[11:12], 4, v[11:12]
	v_mov_b32_e32 v13, s62
	v_add_co_u32_e32 v11, vcc, s94, v11
	v_addc_co_u32_e32 v12, vcc, v13, v12, vcc
	global_load_dwordx4 v[11:14], v[11:12], off
                                        ; implicit-def: $vgpr15_vgpr16
	s_waitcnt vmcnt(0)
	v_cmp_ngt_f64_e64 s[8:9], |v[11:12]|, |v[13:14]|
	s_and_saveexec_b64 s[12:13], s[8:9]
	s_xor_b64 s[8:9], exec, s[12:13]
	s_cbranch_execz .LBB83_60
; %bb.59:
	v_div_scale_f64 v[15:16], s[12:13], v[13:14], v[13:14], v[11:12]
	v_rcp_f64_e32 v[17:18], v[15:16]
	v_fma_f64 v[20:21], -v[15:16], v[17:18], 1.0
	v_fma_f64 v[17:18], v[17:18], v[20:21], v[17:18]
	v_div_scale_f64 v[20:21], vcc, v[11:12], v[13:14], v[11:12]
	v_fma_f64 v[22:23], -v[15:16], v[17:18], 1.0
	v_fma_f64 v[17:18], v[17:18], v[22:23], v[17:18]
	v_mul_f64 v[22:23], v[20:21], v[17:18]
	v_fma_f64 v[15:16], -v[15:16], v[22:23], v[20:21]
	v_div_fmas_f64 v[15:16], v[15:16], v[17:18], v[22:23]
	v_div_fixup_f64 v[15:16], v[15:16], v[13:14], v[11:12]
	v_fma_f64 v[11:12], v[11:12], v[15:16], v[13:14]
	v_div_scale_f64 v[13:14], s[12:13], v[11:12], v[11:12], 1.0
	v_div_scale_f64 v[22:23], vcc, 1.0, v[11:12], 1.0
	v_rcp_f64_e32 v[17:18], v[13:14]
	v_fma_f64 v[20:21], -v[13:14], v[17:18], 1.0
	v_fma_f64 v[17:18], v[17:18], v[20:21], v[17:18]
	v_fma_f64 v[20:21], -v[13:14], v[17:18], 1.0
	v_fma_f64 v[17:18], v[17:18], v[20:21], v[17:18]
	v_mul_f64 v[20:21], v[22:23], v[17:18]
	v_fma_f64 v[13:14], -v[13:14], v[20:21], v[22:23]
	v_div_fmas_f64 v[13:14], v[13:14], v[17:18], v[20:21]
	v_div_fixup_f64 v[17:18], v[13:14], v[11:12], 1.0
                                        ; implicit-def: $vgpr11_vgpr12
	v_mul_f64 v[15:16], v[15:16], v[17:18]
	v_xor_b32_e32 v18, 0x80000000, v18
.LBB83_60:
	s_andn2_saveexec_b64 s[8:9], s[8:9]
	s_cbranch_execz .LBB83_62
; %bb.61:
	v_div_scale_f64 v[15:16], s[12:13], v[11:12], v[11:12], v[13:14]
	v_rcp_f64_e32 v[17:18], v[15:16]
	v_fma_f64 v[20:21], -v[15:16], v[17:18], 1.0
	v_fma_f64 v[17:18], v[17:18], v[20:21], v[17:18]
	v_div_scale_f64 v[20:21], vcc, v[13:14], v[11:12], v[13:14]
	v_fma_f64 v[22:23], -v[15:16], v[17:18], 1.0
	v_fma_f64 v[17:18], v[17:18], v[22:23], v[17:18]
	v_mul_f64 v[22:23], v[20:21], v[17:18]
	v_fma_f64 v[15:16], -v[15:16], v[22:23], v[20:21]
	v_div_fmas_f64 v[15:16], v[15:16], v[17:18], v[22:23]
	v_div_fixup_f64 v[17:18], v[15:16], v[11:12], v[13:14]
	v_fma_f64 v[11:12], v[13:14], v[17:18], v[11:12]
	v_div_scale_f64 v[13:14], s[12:13], v[11:12], v[11:12], 1.0
	v_div_scale_f64 v[22:23], vcc, 1.0, v[11:12], 1.0
	v_rcp_f64_e32 v[15:16], v[13:14]
	v_fma_f64 v[20:21], -v[13:14], v[15:16], 1.0
	v_fma_f64 v[15:16], v[15:16], v[20:21], v[15:16]
	v_fma_f64 v[20:21], -v[13:14], v[15:16], 1.0
	v_fma_f64 v[15:16], v[15:16], v[20:21], v[15:16]
	v_mul_f64 v[20:21], v[22:23], v[15:16]
	v_fma_f64 v[13:14], -v[13:14], v[20:21], v[22:23]
	v_div_fmas_f64 v[13:14], v[13:14], v[15:16], v[20:21]
	v_div_fixup_f64 v[15:16], v[13:14], v[11:12], 1.0
	v_mul_f64 v[17:18], v[17:18], -v[15:16]
.LBB83_62:
	s_or_b64 exec, exec, s[8:9]
	v_lshlrev_b32_e32 v11, 4, v19
	ds_write_b128 v11, v[15:18]
.LBB83_63:
	s_or_b64 exec, exec, s[2:3]
                                        ; implicit-def: $vgpr11_vgpr12
                                        ; implicit-def: $vgpr19
.LBB83_64:
	s_andn2_saveexec_b64 s[0:1], s[0:1]
	s_cbranch_execz .LBB83_66
; %bb.65:
	v_lshlrev_b64 v[11:12], 4, v[11:12]
	v_mov_b32_e32 v13, s62
	v_add_co_u32_e32 v11, vcc, s94, v11
	v_addc_co_u32_e32 v12, vcc, v13, v12, vcc
	global_load_dwordx4 v[11:14], v[11:12], off
	v_lshlrev_b32_e32 v15, 4, v19
	s_waitcnt vmcnt(0)
	v_xor_b32_e32 v12, 0x80000000, v12
	v_xor_b32_e32 v14, 0x80000000, v14
	ds_write_b128 v15, v[11:14]
.LBB83_66:
	s_or_b64 exec, exec, s[0:1]
.LBB83_67:
	v_cndmask_b32_e64 v11, 0, 1, s[10:11]
	v_cmp_ne_u32_e64 s[48:49], 1, v11
	s_andn2_b64 vcc, exec, s[10:11]
	s_waitcnt vmcnt(0) lgkmcnt(0)
	s_barrier
	s_cbranch_vccnz .LBB83_491
; %bb.68:
	v_or_b32_e32 v11, v0, v2
	v_cmp_eq_u32_e32 vcc, 0, v11
	s_and_saveexec_b64 s[2:3], vcc
	s_cbranch_execz .LBB83_70
; %bb.69:
	v_mov_b32_e32 v25, 0
	ds_read_b128 v[11:14], v25 offset:528
	ds_read_b128 v[15:18], v25
	ds_read_b128 v[19:22], v25 offset:16
	s_waitcnt lgkmcnt(1)
	v_mul_f64 v[23:24], v[11:12], v[17:18]
	v_mul_f64 v[17:18], v[13:14], v[17:18]
	v_fma_f64 v[13:14], v[13:14], v[15:16], v[23:24]
	v_fma_f64 v[11:12], v[11:12], v[15:16], -v[17:18]
	s_waitcnt lgkmcnt(0)
	v_mul_f64 v[15:16], v[13:14], v[21:22]
	v_mul_f64 v[17:18], v[11:12], v[21:22]
	v_fma_f64 v[11:12], v[19:20], v[11:12], -v[15:16]
	v_fma_f64 v[13:14], v[19:20], v[13:14], v[17:18]
	ds_write_b128 v25, v[11:14] offset:16
	ds_write_b128 v25, v[11:14] offset:512
.LBB83_70:
	s_or_b64 exec, exec, s[2:3]
	v_and_b32_e32 v18, 1, v0
	v_lshrrev_b32_e32 v17, 1, v1
	v_lshlrev_b32_e32 v15, 4, v18
	v_mov_b32_e32 v13, 0
	v_mov_b32_e32 v11, 0
	v_cmp_lt_u32_e64 s[8:9], 3, v1
	v_cmp_gt_u32_e64 s[2:3], 4, v1
	v_mov_b32_e32 v14, 0
	v_mov_b32_e32 v12, 0
	v_lshl_or_b32 v15, v17, 9, v15
	s_waitcnt lgkmcnt(0)
	s_barrier
	s_and_saveexec_b64 s[12:13], s[2:3]
	s_cbranch_execz .LBB83_74
; %bb.71:
	v_mul_u32_u24_e32 v11, 0x210, v17
	ds_read_b128 v[11:14], v11
	ds_read_b128 v[19:22], v15 offset:32
	v_cmp_gt_u32_e64 s[10:11], 2, v1
	s_waitcnt lgkmcnt(0)
	v_mul_f64 v[23:24], v[13:14], v[21:22]
	v_mul_f64 v[21:22], v[11:12], v[21:22]
	v_fma_f64 v[11:12], v[11:12], v[19:20], -v[23:24]
	v_fma_f64 v[13:14], v[13:14], v[19:20], v[21:22]
	v_add_f64 v[11:12], v[11:12], 0
	v_add_f64 v[13:14], v[13:14], 0
	s_and_saveexec_b64 s[14:15], s[10:11]
	s_cbranch_execz .LBB83_73
; %bb.72:
	v_mov_b32_e32 v19, 0
	v_lshlrev_b32_e32 v16, 4, v0
	ds_read_b128 v[19:22], v19 offset:16
	ds_read_b128 v[23:26], v16 offset:544
	s_waitcnt lgkmcnt(0)
	v_mul_f64 v[27:28], v[21:22], v[25:26]
	v_mul_f64 v[25:26], v[19:20], v[25:26]
	v_fma_f64 v[19:20], v[19:20], v[23:24], -v[27:28]
	v_fma_f64 v[21:22], v[21:22], v[23:24], v[25:26]
	v_add_f64 v[11:12], v[11:12], v[19:20]
	v_add_f64 v[13:14], v[13:14], v[21:22]
.LBB83_73:
	s_or_b64 exec, exec, s[14:15]
	v_xor_b32_e32 v12, 0x80000000, v12
	v_xor_b32_e32 v14, 0x80000000, v14
.LBB83_74:
                                        ; implicit-def: $vgpr43 : SGPR spill to VGPR lane
	v_writelane_b32 v43, s42, 0
	s_or_b64 exec, exec, s[12:13]
	v_mov_b32_e32 v16, 0x4000
	v_cmp_eq_u32_e64 s[10:11], 0, v18
	s_xor_b64 s[12:13], s[8:9], -1
	v_lshl_add_u32 v16, v17, 4, v16
	s_and_b64 s[42:43], s[10:11], s[12:13]
	s_and_saveexec_b64 s[8:9], s[42:43]
	s_cbranch_execz .LBB83_76
; %bb.75:
	v_mov_b32_e32 v19, 0
	ds_read_b128 v[19:22], v19 offset:1056
	s_waitcnt lgkmcnt(0)
	v_mul_f64 v[23:24], v[13:14], v[21:22]
	v_mul_f64 v[21:22], v[11:12], v[21:22]
	v_fma_f64 v[11:12], v[11:12], v[19:20], -v[23:24]
	v_fma_f64 v[13:14], v[13:14], v[19:20], v[21:22]
	ds_write_b128 v16, v[11:14]
.LBB83_76:
	s_or_b64 exec, exec, s[8:9]
	v_cmp_ne_u32_e64 s[8:9], 0, v18
	s_and_b64 s[24:25], s[8:9], s[12:13]
	s_waitcnt lgkmcnt(0)
	s_barrier
	s_and_saveexec_b64 s[8:9], s[24:25]
	s_cbranch_execz .LBB83_78
; %bb.77:
	v_mov_b32_e32 v22, 0
	ds_read_b128 v[18:21], v16
	ds_read_b128 v[22:25], v22 offset:1072
	s_waitcnt lgkmcnt(0)
	v_mul_f64 v[26:27], v[20:21], v[24:25]
	v_mul_f64 v[24:25], v[18:19], v[24:25]
	v_fma_f64 v[18:19], v[18:19], v[22:23], -v[26:27]
	v_fma_f64 v[20:21], v[20:21], v[22:23], v[24:25]
	v_add_f64 v[11:12], v[11:12], v[18:19]
	v_add_f64 v[13:14], v[13:14], v[20:21]
.LBB83_78:
	s_or_b64 exec, exec, s[8:9]
	s_barrier
	s_and_saveexec_b64 s[8:9], s[24:25]
	s_cbranch_execz .LBB83_80
; %bb.79:
	v_mov_b32_e32 v18, 0
	ds_read_b128 v[18:21], v18 offset:1584
	s_waitcnt lgkmcnt(0)
	v_mul_f64 v[22:23], v[13:14], v[20:21]
	v_mul_f64 v[20:21], v[11:12], v[20:21]
	v_fma_f64 v[11:12], v[11:12], v[18:19], -v[22:23]
	v_fma_f64 v[13:14], v[13:14], v[18:19], v[20:21]
	ds_write_b128 v16, v[11:14]
.LBB83_80:
	s_or_b64 exec, exec, s[8:9]
	s_waitcnt lgkmcnt(0)
	s_barrier
	s_barrier
	s_and_saveexec_b64 s[8:9], s[2:3]
; %bb.81:
	v_xor_b32_e32 v12, 0x80000000, v12
	v_xor_b32_e32 v14, 0x80000000, v14
	ds_write_b128 v15, v[11:14] offset:32
; %bb.82:
	s_or_b64 exec, exec, s[8:9]
	v_cmp_eq_u32_e64 s[10:11], 0, v2
	v_cmp_gt_u32_e64 s[8:9], 2, v0
	s_and_b64 s[44:45], s[10:11], s[8:9]
	s_waitcnt lgkmcnt(0)
	s_barrier
	s_barrier
	s_and_saveexec_b64 s[8:9], s[44:45]
	s_cbranch_execz .LBB83_84
; %bb.83:
	v_lshlrev_b32_e32 v18, 9, v0
	ds_read_b128 v[11:14], v18 offset:32
	s_movk_i32 s0, 0xfe10
	v_mad_i32_i24 v19, v0, s0, v18
	s_waitcnt lgkmcnt(0)
	ds_write_b128 v19, v[11:14] offset:1024
	ds_read_b128 v[11:14], v18 offset:48
	s_waitcnt lgkmcnt(0)
	ds_write_b128 v19, v[11:14] offset:1536
.LBB83_84:
	s_or_b64 exec, exec, s[8:9]
	s_waitcnt lgkmcnt(0)
	s_barrier
	s_and_saveexec_b64 s[8:9], vcc
	s_cbranch_execz .LBB83_86
; %bb.85:
	v_mov_b32_e32 v28, 0
	ds_read_b128 v[11:14], v28 offset:1584
	ds_read_b128 v[18:21], v28 offset:1056
	;; [unrolled: 1-line block ×3, first 2 shown]
	s_waitcnt lgkmcnt(1)
	v_mul_f64 v[26:27], v[11:12], v[20:21]
	v_mul_f64 v[20:21], v[13:14], v[20:21]
	v_fma_f64 v[13:14], v[13:14], v[18:19], v[26:27]
	v_fma_f64 v[11:12], v[11:12], v[18:19], -v[20:21]
	s_waitcnt lgkmcnt(0)
	v_mul_f64 v[18:19], v[13:14], v[24:25]
	v_mul_f64 v[20:21], v[11:12], v[24:25]
	v_fma_f64 v[11:12], v[22:23], v[11:12], -v[18:19]
	v_fma_f64 v[13:14], v[22:23], v[13:14], v[20:21]
	ds_write_b128 v28, v[11:14] offset:1072
	ds_write_b128 v28, v[11:14] offset:1568
.LBB83_86:
	s_or_b64 exec, exec, s[8:9]
	v_and_b32_e32 v21, 3, v0
	v_lshrrev_b32_e32 v22, 2, v1
	v_lshlrev_b32_e32 v19, 4, v21
	v_mov_b32_e32 v13, 0
	v_mov_b32_e32 v11, 0
	v_cmp_lt_u32_e64 s[8:9], 15, v1
	v_cmp_gt_u32_e64 s[16:17], 16, v1
	v_mov_b32_e32 v14, 0
	v_mov_b32_e32 v12, 0
	v_lshl_or_b32 v18, v22, 9, v19
	s_waitcnt lgkmcnt(0)
	s_barrier
	s_and_saveexec_b64 s[14:15], s[16:17]
	s_cbranch_execz .LBB83_92
; %bb.87:
	v_mul_u32_u24_e32 v20, 0x210, v22
	ds_read_b128 v[11:14], v20
	ds_read_b128 v[23:26], v18 offset:64
	v_cmp_gt_u32_e64 s[12:13], 12, v1
	s_waitcnt lgkmcnt(0)
	v_mul_f64 v[27:28], v[13:14], v[25:26]
	v_mul_f64 v[25:26], v[11:12], v[25:26]
	v_fma_f64 v[11:12], v[11:12], v[23:24], -v[27:28]
	v_fma_f64 v[13:14], v[13:14], v[23:24], v[25:26]
	v_add_f64 v[11:12], v[11:12], 0
	v_add_f64 v[13:14], v[13:14], 0
	s_and_saveexec_b64 s[18:19], s[12:13]
	s_cbranch_execnz .LBB83_550
; %bb.88:
	s_or_b64 exec, exec, s[18:19]
	v_cmp_gt_u32_e64 s[12:13], 8, v1
	s_and_saveexec_b64 s[18:19], s[12:13]
	s_cbranch_execnz .LBB83_551
.LBB83_89:
	s_or_b64 exec, exec, s[18:19]
	v_cmp_gt_u32_e64 s[12:13], 4, v1
	s_and_saveexec_b64 s[18:19], s[12:13]
	s_cbranch_execz .LBB83_91
.LBB83_90:
	v_mov_b32_e32 v23, 0
	v_lshlrev_b32_e32 v20, 4, v0
	ds_read_b128 v[23:26], v23 offset:48
	ds_read_b128 v[27:30], v20 offset:1600
	s_waitcnt lgkmcnt(0)
	v_mul_f64 v[31:32], v[25:26], v[29:30]
	v_mul_f64 v[29:30], v[23:24], v[29:30]
	v_fma_f64 v[23:24], v[23:24], v[27:28], -v[31:32]
	v_fma_f64 v[25:26], v[25:26], v[27:28], v[29:30]
	v_add_f64 v[11:12], v[11:12], v[23:24]
	v_add_f64 v[13:14], v[13:14], v[25:26]
.LBB83_91:
	s_or_b64 exec, exec, s[18:19]
	v_xor_b32_e32 v12, 0x80000000, v12
	v_xor_b32_e32 v14, 0x80000000, v14
.LBB83_92:
	v_writelane_b32 v43, s48, 1
	v_writelane_b32 v43, s49, 2
	s_or_b64 exec, exec, s[14:15]
	v_mov_b32_e32 v20, 0x4000
	v_cmp_eq_u32_e64 s[12:13], 0, v21
	s_xor_b64 s[14:15], s[8:9], -1
	v_lshl_add_u32 v20, v22, 4, v20
	s_and_b64 s[48:49], s[12:13], s[14:15]
	s_and_saveexec_b64 s[8:9], s[48:49]
	s_cbranch_execz .LBB83_94
; %bb.93:
	v_mov_b32_e32 v23, 0
	ds_read_b128 v[23:26], v23 offset:2112
	s_waitcnt lgkmcnt(0)
	v_mul_f64 v[27:28], v[13:14], v[25:26]
	v_mul_f64 v[25:26], v[11:12], v[25:26]
	v_fma_f64 v[11:12], v[11:12], v[23:24], -v[27:28]
	v_fma_f64 v[13:14], v[13:14], v[23:24], v[25:26]
	ds_write_b128 v20, v[11:14]
.LBB83_94:
	s_or_b64 exec, exec, s[8:9]
	v_cmp_ne_u32_e64 s[8:9], 0, v21
	s_and_b64 s[50:51], s[8:9], s[14:15]
	s_waitcnt lgkmcnt(0)
	s_barrier
	s_and_saveexec_b64 s[8:9], s[50:51]
	s_cbranch_execz .LBB83_96
; %bb.95:
	ds_read_b128 v[23:26], v20
	ds_read_b128 v[27:30], v19 offset:2112
	s_waitcnt lgkmcnt(0)
	v_mul_f64 v[31:32], v[25:26], v[29:30]
	v_mul_f64 v[29:30], v[23:24], v[29:30]
	v_fma_f64 v[23:24], v[23:24], v[27:28], -v[31:32]
	v_fma_f64 v[25:26], v[25:26], v[27:28], v[29:30]
	v_add_f64 v[11:12], v[11:12], v[23:24]
	v_add_f64 v[13:14], v[13:14], v[25:26]
.LBB83_96:
	s_or_b64 exec, exec, s[8:9]
	v_cmp_eq_u32_e64 s[8:9], 1, v21
	s_and_b64 s[52:53], s[8:9], s[14:15]
	s_barrier
	s_and_saveexec_b64 s[8:9], s[52:53]
	s_cbranch_execz .LBB83_98
; %bb.97:
	v_mov_b32_e32 v23, 0
	ds_read_b128 v[23:26], v23 offset:2640
	s_waitcnt lgkmcnt(0)
	v_mul_f64 v[27:28], v[13:14], v[25:26]
	v_mul_f64 v[25:26], v[11:12], v[25:26]
	v_fma_f64 v[11:12], v[11:12], v[23:24], -v[27:28]
	v_fma_f64 v[13:14], v[13:14], v[23:24], v[25:26]
	ds_write_b128 v20, v[11:14]
.LBB83_98:
	s_or_b64 exec, exec, s[8:9]
	v_cmp_lt_u32_e64 s[8:9], 1, v21
	s_and_b64 s[54:55], s[8:9], s[14:15]
	s_waitcnt lgkmcnt(0)
	s_barrier
	s_and_saveexec_b64 s[8:9], s[54:55]
	s_cbranch_execz .LBB83_100
; %bb.99:
	ds_read_b128 v[23:26], v20
	ds_read_b128 v[27:30], v19 offset:2624
	s_waitcnt lgkmcnt(0)
	v_mul_f64 v[31:32], v[25:26], v[29:30]
	v_mul_f64 v[29:30], v[23:24], v[29:30]
	v_fma_f64 v[23:24], v[23:24], v[27:28], -v[31:32]
	v_fma_f64 v[25:26], v[25:26], v[27:28], v[29:30]
	v_add_f64 v[11:12], v[11:12], v[23:24]
	v_add_f64 v[13:14], v[13:14], v[25:26]
.LBB83_100:
	s_or_b64 exec, exec, s[8:9]
	v_cmp_eq_u32_e64 s[8:9], 2, v21
	s_and_b64 s[56:57], s[8:9], s[14:15]
	s_barrier
	s_and_saveexec_b64 s[8:9], s[56:57]
	s_cbranch_execz .LBB83_102
; %bb.101:
	v_mov_b32_e32 v23, 0
	ds_read_b128 v[23:26], v23 offset:3168
	s_waitcnt lgkmcnt(0)
	v_mul_f64 v[27:28], v[13:14], v[25:26]
	v_mul_f64 v[25:26], v[11:12], v[25:26]
	v_fma_f64 v[11:12], v[11:12], v[23:24], -v[27:28]
	v_fma_f64 v[13:14], v[13:14], v[23:24], v[25:26]
	ds_write_b128 v20, v[11:14]
.LBB83_102:
	s_or_b64 exec, exec, s[8:9]
	v_cmp_eq_u32_e64 s[8:9], 3, v21
	s_and_b64 s[46:47], s[8:9], s[14:15]
	s_waitcnt lgkmcnt(0)
	s_barrier
	s_and_saveexec_b64 s[8:9], s[46:47]
	s_cbranch_execz .LBB83_104
; %bb.103:
	v_mov_b32_e32 v27, 0
	ds_read_b128 v[23:26], v20
	ds_read_b128 v[27:30], v27 offset:3184
	s_waitcnt lgkmcnt(0)
	v_mul_f64 v[31:32], v[25:26], v[29:30]
	v_mul_f64 v[29:30], v[23:24], v[29:30]
	v_fma_f64 v[23:24], v[23:24], v[27:28], -v[31:32]
	v_fma_f64 v[25:26], v[25:26], v[27:28], v[29:30]
	v_add_f64 v[11:12], v[11:12], v[23:24]
	v_add_f64 v[13:14], v[13:14], v[25:26]
.LBB83_104:
	s_or_b64 exec, exec, s[8:9]
	s_barrier
	s_and_saveexec_b64 s[8:9], s[46:47]
	s_cbranch_execz .LBB83_106
; %bb.105:
	v_mov_b32_e32 v23, 0
	ds_read_b128 v[23:26], v23 offset:3696
	s_waitcnt lgkmcnt(0)
	v_mul_f64 v[27:28], v[13:14], v[25:26]
	v_mul_f64 v[25:26], v[11:12], v[25:26]
	v_fma_f64 v[11:12], v[11:12], v[23:24], -v[27:28]
	v_fma_f64 v[13:14], v[13:14], v[23:24], v[25:26]
	ds_write_b128 v20, v[11:14]
.LBB83_106:
	s_or_b64 exec, exec, s[8:9]
	s_waitcnt lgkmcnt(0)
	s_barrier
	s_barrier
	s_and_saveexec_b64 s[8:9], s[16:17]
; %bb.107:
	v_xor_b32_e32 v14, 0x80000000, v14
	v_xor_b32_e32 v12, 0x80000000, v12
	ds_write_b128 v18, v[11:14] offset:64
; %bb.108:
	s_or_b64 exec, exec, s[8:9]
	v_cmp_gt_u32_e64 s[8:9], 4, v0
	s_and_b64 s[58:59], s[10:11], s[8:9]
	s_waitcnt lgkmcnt(0)
	s_barrier
	s_barrier
	s_and_saveexec_b64 s[8:9], s[58:59]
	s_cbranch_execz .LBB83_110
; %bb.109:
	v_lshlrev_b32_e32 v23, 4, v0
	s_movk_i32 s0, 0x1f0
	v_mad_u32_u24 v24, v0, s0, v23
	ds_read_b128 v[11:14], v24 offset:64
	s_waitcnt lgkmcnt(0)
	ds_write_b128 v23, v[11:14] offset:2048
	ds_read_b128 v[11:14], v24 offset:80
	s_waitcnt lgkmcnt(0)
	ds_write_b128 v23, v[11:14] offset:2560
	;; [unrolled: 3-line block ×4, first 2 shown]
.LBB83_110:
	s_or_b64 exec, exec, s[8:9]
	s_waitcnt lgkmcnt(0)
	s_barrier
	s_and_saveexec_b64 s[8:9], vcc
	s_cbranch_execz .LBB83_112
; %bb.111:
	v_mov_b32_e32 v33, 0
	ds_read_b128 v[11:14], v33 offset:2640
	ds_read_b128 v[23:26], v33 offset:2112
	;; [unrolled: 1-line block ×3, first 2 shown]
	s_waitcnt lgkmcnt(1)
	v_mul_f64 v[31:32], v[11:12], v[25:26]
	v_mul_f64 v[25:26], v[13:14], v[25:26]
	v_fma_f64 v[13:14], v[13:14], v[23:24], v[31:32]
	v_fma_f64 v[11:12], v[11:12], v[23:24], -v[25:26]
	s_waitcnt lgkmcnt(0)
	v_mul_f64 v[23:24], v[13:14], v[29:30]
	v_mul_f64 v[25:26], v[11:12], v[29:30]
	v_fma_f64 v[11:12], v[27:28], v[11:12], -v[23:24]
	v_fma_f64 v[13:14], v[27:28], v[13:14], v[25:26]
	ds_write_b128 v33, v[11:14] offset:2128
	ds_write_b128 v33, v[11:14] offset:2624
.LBB83_112:
	s_or_b64 exec, exec, s[8:9]
	v_mov_b32_e32 v13, 0
	v_mov_b32_e32 v11, 0
	;; [unrolled: 1-line block ×4, first 2 shown]
	s_waitcnt lgkmcnt(0)
	s_barrier
	s_and_saveexec_b64 s[12:13], s[2:3]
	s_cbranch_execz .LBB83_116
; %bb.113:
	v_mul_u32_u24_e32 v11, 0x210, v17
	ds_read_b128 v[11:14], v11 offset:2112
	ds_read_b128 v[23:26], v15 offset:2144
	v_cmp_gt_u32_e64 s[8:9], 2, v1
	s_waitcnt lgkmcnt(0)
	v_mul_f64 v[27:28], v[13:14], v[25:26]
	v_mul_f64 v[25:26], v[11:12], v[25:26]
	v_fma_f64 v[11:12], v[11:12], v[23:24], -v[27:28]
	v_fma_f64 v[13:14], v[13:14], v[23:24], v[25:26]
	v_add_f64 v[11:12], v[11:12], 0
	v_add_f64 v[13:14], v[13:14], 0
	s_and_saveexec_b64 s[14:15], s[8:9]
	s_cbranch_execz .LBB83_115
; %bb.114:
	v_lshlrev_b32_e32 v27, 4, v0
	v_mov_b32_e32 v23, 0
	ds_read_b128 v[23:26], v23 offset:2128
	ds_read_b128 v[27:30], v27 offset:2656
	s_waitcnt lgkmcnt(0)
	v_mul_f64 v[31:32], v[25:26], v[29:30]
	v_mul_f64 v[29:30], v[23:24], v[29:30]
	v_fma_f64 v[23:24], v[23:24], v[27:28], -v[31:32]
	v_fma_f64 v[25:26], v[25:26], v[27:28], v[29:30]
	v_add_f64 v[11:12], v[11:12], v[23:24]
	v_add_f64 v[13:14], v[13:14], v[25:26]
.LBB83_115:
	s_or_b64 exec, exec, s[14:15]
	v_xor_b32_e32 v12, 0x80000000, v12
	v_xor_b32_e32 v14, 0x80000000, v14
.LBB83_116:
	s_or_b64 exec, exec, s[12:13]
	s_and_saveexec_b64 s[8:9], s[42:43]
	s_cbranch_execz .LBB83_118
; %bb.117:
	v_mov_b32_e32 v23, 0
	ds_read_b128 v[23:26], v23 offset:3168
	s_waitcnt lgkmcnt(0)
	v_mul_f64 v[27:28], v[13:14], v[25:26]
	v_mul_f64 v[25:26], v[11:12], v[25:26]
	v_fma_f64 v[11:12], v[11:12], v[23:24], -v[27:28]
	v_fma_f64 v[13:14], v[13:14], v[23:24], v[25:26]
	ds_write_b128 v16, v[11:14]
.LBB83_118:
	s_or_b64 exec, exec, s[8:9]
	s_waitcnt lgkmcnt(0)
	s_barrier
	s_and_saveexec_b64 s[8:9], s[24:25]
	s_cbranch_execz .LBB83_120
; %bb.119:
	v_mov_b32_e32 v27, 0
	ds_read_b128 v[23:26], v16
	ds_read_b128 v[27:30], v27 offset:3184
	s_waitcnt lgkmcnt(0)
	v_mul_f64 v[31:32], v[25:26], v[29:30]
	v_mul_f64 v[29:30], v[23:24], v[29:30]
	v_fma_f64 v[23:24], v[23:24], v[27:28], -v[31:32]
	v_fma_f64 v[25:26], v[25:26], v[27:28], v[29:30]
	v_add_f64 v[11:12], v[11:12], v[23:24]
	v_add_f64 v[13:14], v[13:14], v[25:26]
.LBB83_120:
	s_or_b64 exec, exec, s[8:9]
	s_barrier
	s_and_saveexec_b64 s[8:9], s[24:25]
	s_cbranch_execz .LBB83_122
; %bb.121:
	v_mov_b32_e32 v23, 0
	ds_read_b128 v[23:26], v23 offset:3696
	s_waitcnt lgkmcnt(0)
	v_mul_f64 v[27:28], v[13:14], v[25:26]
	v_mul_f64 v[25:26], v[11:12], v[25:26]
	v_fma_f64 v[11:12], v[11:12], v[23:24], -v[27:28]
	v_fma_f64 v[13:14], v[13:14], v[23:24], v[25:26]
	ds_write_b128 v16, v[11:14]
.LBB83_122:
	s_or_b64 exec, exec, s[8:9]
	s_waitcnt lgkmcnt(0)
	s_barrier
	s_barrier
	s_and_saveexec_b64 s[8:9], s[2:3]
; %bb.123:
	v_xor_b32_e32 v12, 0x80000000, v12
	v_xor_b32_e32 v14, 0x80000000, v14
	ds_write_b128 v15, v[11:14] offset:2144
; %bb.124:
	s_or_b64 exec, exec, s[8:9]
	s_waitcnt lgkmcnt(0)
	s_barrier
	s_barrier
	s_and_saveexec_b64 s[8:9], s[44:45]
	s_cbranch_execz .LBB83_126
; %bb.125:
	v_lshlrev_b32_e32 v23, 9, v0
	ds_read_b128 v[11:14], v23 offset:2144
	s_movk_i32 s0, 0xfe10
	v_mad_i32_i24 v24, v0, s0, v23
	s_waitcnt lgkmcnt(0)
	ds_write_b128 v24, v[11:14] offset:3136
	ds_read_b128 v[11:14], v23 offset:2160
	s_waitcnt lgkmcnt(0)
	ds_write_b128 v24, v[11:14] offset:3648
.LBB83_126:
	s_or_b64 exec, exec, s[8:9]
	s_waitcnt lgkmcnt(0)
	s_barrier
	s_and_saveexec_b64 s[8:9], vcc
	s_cbranch_execz .LBB83_128
; %bb.127:
	v_mov_b32_e32 v33, 0
	ds_read_b128 v[11:14], v33 offset:3696
	ds_read_b128 v[23:26], v33 offset:3168
	;; [unrolled: 1-line block ×3, first 2 shown]
	s_waitcnt lgkmcnt(1)
	v_mul_f64 v[31:32], v[11:12], v[25:26]
	v_mul_f64 v[25:26], v[13:14], v[25:26]
	v_fma_f64 v[13:14], v[13:14], v[23:24], v[31:32]
	v_fma_f64 v[11:12], v[11:12], v[23:24], -v[25:26]
	s_waitcnt lgkmcnt(0)
	v_mul_f64 v[23:24], v[13:14], v[29:30]
	v_mul_f64 v[25:26], v[11:12], v[29:30]
	v_fma_f64 v[11:12], v[27:28], v[11:12], -v[23:24]
	v_fma_f64 v[13:14], v[27:28], v[13:14], v[25:26]
	ds_write_b128 v33, v[11:14] offset:3184
	ds_write_b128 v33, v[11:14] offset:3680
.LBB83_128:
	s_or_b64 exec, exec, s[8:9]
	v_and_b32_e32 v26, 7, v0
	v_lshrrev_b32_e32 v27, 3, v1
	v_lshlrev_b32_e32 v24, 4, v26
	v_mov_b32_e32 v13, 0
	v_mov_b32_e32 v11, 0
	v_cmp_lt_u32_e64 s[12:13], 63, v1
	v_cmp_gt_u32_e64 s[8:9], 64, v1
	v_mov_b32_e32 v14, 0
	v_mov_b32_e32 v12, 0
	v_lshl_or_b32 v23, v27, 9, v24
	s_waitcnt lgkmcnt(0)
	s_barrier
	s_and_saveexec_b64 s[18:19], s[8:9]
	s_cbranch_execz .LBB83_138
; %bb.129:
	v_mul_u32_u24_e32 v25, 0x210, v27
	ds_read_b128 v[11:14], v25
	ds_read_b128 v[28:31], v23 offset:128
	v_cmp_gt_u32_e64 s[14:15], 56, v1
	s_waitcnt lgkmcnt(0)
	v_mul_f64 v[32:33], v[13:14], v[30:31]
	v_mul_f64 v[30:31], v[11:12], v[30:31]
	v_fma_f64 v[11:12], v[11:12], v[28:29], -v[32:33]
	v_fma_f64 v[13:14], v[13:14], v[28:29], v[30:31]
	v_add_f64 v[11:12], v[11:12], 0
	v_add_f64 v[13:14], v[13:14], 0
	s_and_saveexec_b64 s[60:61], s[14:15]
	s_cbranch_execnz .LBB83_552
; %bb.130:
	s_or_b64 exec, exec, s[60:61]
	v_cmp_gt_u32_e64 s[14:15], 48, v1
	s_and_saveexec_b64 s[60:61], s[14:15]
	s_cbranch_execnz .LBB83_553
.LBB83_131:
	s_or_b64 exec, exec, s[60:61]
	v_cmp_gt_u32_e64 s[14:15], 40, v1
	s_and_saveexec_b64 s[60:61], s[14:15]
	s_cbranch_execnz .LBB83_554
.LBB83_132:
	s_or_b64 exec, exec, s[60:61]
	v_cmp_gt_u32_e64 s[14:15], 32, v1
	s_and_saveexec_b64 s[60:61], s[14:15]
	s_cbranch_execnz .LBB83_555
.LBB83_133:
	s_or_b64 exec, exec, s[60:61]
	v_cmp_gt_u32_e64 s[14:15], 24, v1
	s_and_saveexec_b64 s[60:61], s[14:15]
	s_cbranch_execnz .LBB83_556
.LBB83_134:
	s_or_b64 exec, exec, s[60:61]
	v_cmp_gt_u32_e64 s[14:15], 16, v1
	s_and_saveexec_b64 s[60:61], s[14:15]
	s_cbranch_execnz .LBB83_557
.LBB83_135:
	s_or_b64 exec, exec, s[60:61]
	v_cmp_gt_u32_e64 s[14:15], 8, v1
	s_and_saveexec_b64 s[60:61], s[14:15]
	s_cbranch_execz .LBB83_137
.LBB83_136:
	v_mov_b32_e32 v28, 0
	v_lshlrev_b32_e32 v25, 4, v0
	ds_read_b128 v[28:31], v28 offset:112
	ds_read_b128 v[32:35], v25 offset:3712
	s_waitcnt lgkmcnt(0)
	v_mul_f64 v[36:37], v[30:31], v[34:35]
	v_mul_f64 v[34:35], v[28:29], v[34:35]
	v_fma_f64 v[28:29], v[28:29], v[32:33], -v[36:37]
	v_fma_f64 v[30:31], v[30:31], v[32:33], v[34:35]
	v_add_f64 v[11:12], v[11:12], v[28:29]
	v_add_f64 v[13:14], v[13:14], v[30:31]
.LBB83_137:
	s_or_b64 exec, exec, s[60:61]
	v_xor_b32_e32 v12, 0x80000000, v12
	v_xor_b32_e32 v14, 0x80000000, v14
.LBB83_138:
	s_or_b64 exec, exec, s[18:19]
	v_mov_b32_e32 v25, 0x4000
	v_cmp_eq_u32_e64 s[14:15], 0, v26
	s_xor_b64 s[18:19], s[12:13], -1
	v_lshl_add_u32 v25, v27, 4, v25
	s_and_b64 s[0:1], s[14:15], s[18:19]
	s_and_saveexec_b64 s[12:13], s[0:1]
	s_cbranch_execz .LBB83_140
; %bb.139:
	v_mov_b32_e32 v28, 0
	ds_read_b128 v[28:31], v28 offset:4224
	s_waitcnt lgkmcnt(0)
	v_mul_f64 v[32:33], v[13:14], v[30:31]
	v_mul_f64 v[30:31], v[11:12], v[30:31]
	v_fma_f64 v[11:12], v[11:12], v[28:29], -v[32:33]
	v_fma_f64 v[13:14], v[13:14], v[28:29], v[30:31]
	ds_write_b128 v25, v[11:14]
.LBB83_140:
	s_or_b64 exec, exec, s[12:13]
	v_cmp_ne_u32_e64 s[12:13], 0, v26
	s_and_b64 s[64:65], s[12:13], s[18:19]
	s_waitcnt lgkmcnt(0)
	s_barrier
	s_and_saveexec_b64 s[12:13], s[64:65]
	s_cbranch_execz .LBB83_142
; %bb.141:
	ds_read_b128 v[28:31], v25
	ds_read_b128 v[32:35], v24 offset:4224
	s_waitcnt lgkmcnt(0)
	v_mul_f64 v[36:37], v[30:31], v[34:35]
	v_mul_f64 v[34:35], v[28:29], v[34:35]
	v_fma_f64 v[28:29], v[28:29], v[32:33], -v[36:37]
	v_fma_f64 v[30:31], v[30:31], v[32:33], v[34:35]
	v_add_f64 v[11:12], v[11:12], v[28:29]
	v_add_f64 v[13:14], v[13:14], v[30:31]
.LBB83_142:
	s_or_b64 exec, exec, s[12:13]
	v_cmp_eq_u32_e64 s[12:13], 1, v26
	s_and_b64 s[66:67], s[12:13], s[18:19]
	s_barrier
	s_and_saveexec_b64 s[12:13], s[66:67]
	s_cbranch_execz .LBB83_144
; %bb.143:
	v_mov_b32_e32 v28, 0
	ds_read_b128 v[28:31], v28 offset:4752
	s_waitcnt lgkmcnt(0)
	v_mul_f64 v[32:33], v[13:14], v[30:31]
	v_mul_f64 v[30:31], v[11:12], v[30:31]
	v_fma_f64 v[11:12], v[11:12], v[28:29], -v[32:33]
	v_fma_f64 v[13:14], v[13:14], v[28:29], v[30:31]
	ds_write_b128 v25, v[11:14]
.LBB83_144:
	s_or_b64 exec, exec, s[12:13]
	v_cmp_lt_u32_e64 s[12:13], 1, v26
	s_and_b64 s[68:69], s[12:13], s[18:19]
	s_waitcnt lgkmcnt(0)
	s_barrier
	s_and_saveexec_b64 s[12:13], s[68:69]
	s_cbranch_execz .LBB83_146
; %bb.145:
	ds_read_b128 v[28:31], v25
	ds_read_b128 v[32:35], v24 offset:4736
	s_waitcnt lgkmcnt(0)
	v_mul_f64 v[36:37], v[30:31], v[34:35]
	v_mul_f64 v[34:35], v[28:29], v[34:35]
	v_fma_f64 v[28:29], v[28:29], v[32:33], -v[36:37]
	v_fma_f64 v[30:31], v[30:31], v[32:33], v[34:35]
	v_add_f64 v[11:12], v[11:12], v[28:29]
	v_add_f64 v[13:14], v[13:14], v[30:31]
.LBB83_146:
	s_or_b64 exec, exec, s[12:13]
	v_cmp_eq_u32_e64 s[12:13], 2, v26
	s_and_b64 s[70:71], s[12:13], s[18:19]
	s_barrier
	s_and_saveexec_b64 s[12:13], s[70:71]
	s_cbranch_execz .LBB83_148
; %bb.147:
	v_mov_b32_e32 v28, 0
	ds_read_b128 v[28:31], v28 offset:5280
	s_waitcnt lgkmcnt(0)
	v_mul_f64 v[32:33], v[13:14], v[30:31]
	v_mul_f64 v[30:31], v[11:12], v[30:31]
	v_fma_f64 v[11:12], v[11:12], v[28:29], -v[32:33]
	v_fma_f64 v[13:14], v[13:14], v[28:29], v[30:31]
	ds_write_b128 v25, v[11:14]
.LBB83_148:
	s_or_b64 exec, exec, s[12:13]
	v_cmp_lt_u32_e64 s[12:13], 2, v26
	;; [unrolled: 34-line block ×5, first 2 shown]
	s_and_b64 s[84:85], s[12:13], s[18:19]
	s_waitcnt lgkmcnt(0)
	s_barrier
	s_and_saveexec_b64 s[12:13], s[84:85]
	s_cbranch_execz .LBB83_162
; %bb.161:
	ds_read_b128 v[28:31], v25
	ds_read_b128 v[32:35], v24 offset:6784
	s_waitcnt lgkmcnt(0)
	v_mul_f64 v[36:37], v[30:31], v[34:35]
	v_mul_f64 v[34:35], v[28:29], v[34:35]
	v_fma_f64 v[28:29], v[28:29], v[32:33], -v[36:37]
	v_fma_f64 v[30:31], v[30:31], v[32:33], v[34:35]
	v_add_f64 v[11:12], v[11:12], v[28:29]
	v_add_f64 v[13:14], v[13:14], v[30:31]
.LBB83_162:
	s_or_b64 exec, exec, s[12:13]
	v_cmp_eq_u32_e64 s[12:13], 6, v26
	s_and_b64 s[86:87], s[12:13], s[18:19]
	s_barrier
	s_and_saveexec_b64 s[12:13], s[86:87]
	s_cbranch_execz .LBB83_164
; %bb.163:
	v_mov_b32_e32 v28, 0
	ds_read_b128 v[28:31], v28 offset:7392
	s_waitcnt lgkmcnt(0)
	v_mul_f64 v[32:33], v[13:14], v[30:31]
	v_mul_f64 v[30:31], v[11:12], v[30:31]
	v_fma_f64 v[11:12], v[11:12], v[28:29], -v[32:33]
	v_fma_f64 v[13:14], v[13:14], v[28:29], v[30:31]
	ds_write_b128 v25, v[11:14]
.LBB83_164:
	s_or_b64 exec, exec, s[12:13]
	v_cmp_eq_u32_e64 s[12:13], 7, v26
	s_and_b64 s[60:61], s[12:13], s[18:19]
	s_waitcnt lgkmcnt(0)
	s_barrier
	s_and_saveexec_b64 s[12:13], s[60:61]
	s_cbranch_execz .LBB83_166
; %bb.165:
	v_mov_b32_e32 v32, 0
	ds_read_b128 v[28:31], v25
	ds_read_b128 v[32:35], v32 offset:7408
	s_waitcnt lgkmcnt(0)
	v_mul_f64 v[36:37], v[30:31], v[34:35]
	v_mul_f64 v[34:35], v[28:29], v[34:35]
	v_fma_f64 v[28:29], v[28:29], v[32:33], -v[36:37]
	v_fma_f64 v[30:31], v[30:31], v[32:33], v[34:35]
	v_add_f64 v[11:12], v[11:12], v[28:29]
	v_add_f64 v[13:14], v[13:14], v[30:31]
.LBB83_166:
	s_or_b64 exec, exec, s[12:13]
	s_barrier
	s_and_saveexec_b64 s[12:13], s[60:61]
	s_cbranch_execz .LBB83_168
; %bb.167:
	v_mov_b32_e32 v28, 0
	ds_read_b128 v[28:31], v28 offset:7920
	s_waitcnt lgkmcnt(0)
	v_mul_f64 v[32:33], v[13:14], v[30:31]
	v_mul_f64 v[30:31], v[11:12], v[30:31]
	v_fma_f64 v[11:12], v[11:12], v[28:29], -v[32:33]
	v_fma_f64 v[13:14], v[13:14], v[28:29], v[30:31]
	ds_write_b128 v25, v[11:14]
.LBB83_168:
	s_or_b64 exec, exec, s[12:13]
	s_waitcnt lgkmcnt(0)
	s_barrier
	s_barrier
	s_and_saveexec_b64 s[12:13], s[8:9]
; %bb.169:
	v_xor_b32_e32 v12, 0x80000000, v12
	v_xor_b32_e32 v14, 0x80000000, v14
	ds_write_b128 v23, v[11:14] offset:128
; %bb.170:
	s_or_b64 exec, exec, s[12:13]
	v_cmp_gt_u32_e64 s[12:13], 8, v0
	s_and_b64 s[88:89], s[10:11], s[12:13]
	s_waitcnt lgkmcnt(0)
	s_barrier
	s_barrier
	s_and_saveexec_b64 s[12:13], s[88:89]
	s_cbranch_execz .LBB83_172
; %bb.171:
	v_lshlrev_b32_e32 v28, 9, v0
	ds_read_b128 v[11:14], v28 offset:128
	s_movk_i32 s14, 0xfe10
	v_mad_i32_i24 v29, v0, s14, v28
	s_waitcnt lgkmcnt(0)
	ds_write_b128 v29, v[11:14] offset:4096
	ds_read_b128 v[11:14], v28 offset:144
	s_waitcnt lgkmcnt(0)
	ds_write_b128 v29, v[11:14] offset:4608
	ds_read_b128 v[11:14], v28 offset:160
	;; [unrolled: 3-line block ×7, first 2 shown]
	s_waitcnt lgkmcnt(0)
	ds_write_b128 v29, v[11:14] offset:7680
.LBB83_172:
	s_or_b64 exec, exec, s[12:13]
	s_waitcnt lgkmcnt(0)
	s_barrier
	s_and_saveexec_b64 s[12:13], vcc
	s_cbranch_execz .LBB83_174
; %bb.173:
	v_mov_b32_e32 v38, 0
	ds_read_b128 v[11:14], v38 offset:4752
	ds_read_b128 v[28:31], v38 offset:4224
	ds_read_b128 v[32:35], v38 offset:4240
	s_waitcnt lgkmcnt(1)
	v_mul_f64 v[36:37], v[11:12], v[30:31]
	v_mul_f64 v[30:31], v[13:14], v[30:31]
	v_fma_f64 v[13:14], v[13:14], v[28:29], v[36:37]
	v_fma_f64 v[11:12], v[11:12], v[28:29], -v[30:31]
	s_waitcnt lgkmcnt(0)
	v_mul_f64 v[28:29], v[13:14], v[34:35]
	v_mul_f64 v[30:31], v[11:12], v[34:35]
	v_fma_f64 v[11:12], v[32:33], v[11:12], -v[28:29]
	v_fma_f64 v[13:14], v[32:33], v[13:14], v[30:31]
	ds_write_b128 v38, v[11:14] offset:4240
	ds_write_b128 v38, v[11:14] offset:4736
.LBB83_174:
	s_or_b64 exec, exec, s[12:13]
	v_mov_b32_e32 v13, 0
	v_mov_b32_e32 v11, 0
	;; [unrolled: 1-line block ×4, first 2 shown]
	s_waitcnt lgkmcnt(0)
	s_barrier
	s_and_saveexec_b64 s[14:15], s[2:3]
	s_cbranch_execz .LBB83_178
; %bb.175:
	v_mul_u32_u24_e32 v11, 0x210, v17
	ds_read_b128 v[11:14], v11 offset:4224
	ds_read_b128 v[28:31], v15 offset:4256
	v_cmp_gt_u32_e64 s[12:13], 2, v1
	s_waitcnt lgkmcnt(0)
	v_mul_f64 v[32:33], v[13:14], v[30:31]
	v_mul_f64 v[30:31], v[11:12], v[30:31]
	v_fma_f64 v[11:12], v[11:12], v[28:29], -v[32:33]
	v_fma_f64 v[13:14], v[13:14], v[28:29], v[30:31]
	v_add_f64 v[11:12], v[11:12], 0
	v_add_f64 v[13:14], v[13:14], 0
	s_and_saveexec_b64 s[18:19], s[12:13]
	s_cbranch_execz .LBB83_177
; %bb.176:
	v_lshlrev_b32_e32 v32, 4, v0
	v_mov_b32_e32 v28, 0
	ds_read_b128 v[28:31], v28 offset:4240
	ds_read_b128 v[32:35], v32 offset:4768
	s_waitcnt lgkmcnt(0)
	v_mul_f64 v[36:37], v[30:31], v[34:35]
	v_mul_f64 v[34:35], v[28:29], v[34:35]
	v_fma_f64 v[28:29], v[28:29], v[32:33], -v[36:37]
	v_fma_f64 v[30:31], v[30:31], v[32:33], v[34:35]
	v_add_f64 v[11:12], v[11:12], v[28:29]
	v_add_f64 v[13:14], v[13:14], v[30:31]
.LBB83_177:
	s_or_b64 exec, exec, s[18:19]
	v_xor_b32_e32 v12, 0x80000000, v12
	v_xor_b32_e32 v14, 0x80000000, v14
.LBB83_178:
	s_or_b64 exec, exec, s[14:15]
	s_and_saveexec_b64 s[12:13], s[42:43]
	s_cbranch_execz .LBB83_180
; %bb.179:
	v_mov_b32_e32 v28, 0
	ds_read_b128 v[28:31], v28 offset:5280
	s_waitcnt lgkmcnt(0)
	v_mul_f64 v[32:33], v[13:14], v[30:31]
	v_mul_f64 v[30:31], v[11:12], v[30:31]
	v_fma_f64 v[11:12], v[11:12], v[28:29], -v[32:33]
	v_fma_f64 v[13:14], v[13:14], v[28:29], v[30:31]
	ds_write_b128 v16, v[11:14]
.LBB83_180:
	s_or_b64 exec, exec, s[12:13]
	s_waitcnt lgkmcnt(0)
	s_barrier
	s_and_saveexec_b64 s[12:13], s[24:25]
	s_cbranch_execz .LBB83_182
; %bb.181:
	v_mov_b32_e32 v32, 0
	ds_read_b128 v[28:31], v16
	ds_read_b128 v[32:35], v32 offset:5296
	s_waitcnt lgkmcnt(0)
	v_mul_f64 v[36:37], v[30:31], v[34:35]
	v_mul_f64 v[34:35], v[28:29], v[34:35]
	v_fma_f64 v[28:29], v[28:29], v[32:33], -v[36:37]
	v_fma_f64 v[30:31], v[30:31], v[32:33], v[34:35]
	v_add_f64 v[11:12], v[11:12], v[28:29]
	v_add_f64 v[13:14], v[13:14], v[30:31]
.LBB83_182:
	s_or_b64 exec, exec, s[12:13]
	s_barrier
	s_and_saveexec_b64 s[12:13], s[24:25]
	s_cbranch_execz .LBB83_184
; %bb.183:
	v_mov_b32_e32 v28, 0
	ds_read_b128 v[28:31], v28 offset:5808
	s_waitcnt lgkmcnt(0)
	v_mul_f64 v[32:33], v[13:14], v[30:31]
	v_mul_f64 v[30:31], v[11:12], v[30:31]
	v_fma_f64 v[11:12], v[11:12], v[28:29], -v[32:33]
	v_fma_f64 v[13:14], v[13:14], v[28:29], v[30:31]
	ds_write_b128 v16, v[11:14]
.LBB83_184:
	s_or_b64 exec, exec, s[12:13]
	s_waitcnt lgkmcnt(0)
	s_barrier
	s_barrier
	s_and_saveexec_b64 s[12:13], s[2:3]
; %bb.185:
	v_xor_b32_e32 v12, 0x80000000, v12
	v_xor_b32_e32 v14, 0x80000000, v14
	ds_write_b128 v15, v[11:14] offset:4256
; %bb.186:
	s_or_b64 exec, exec, s[12:13]
	s_waitcnt lgkmcnt(0)
	s_barrier
	s_barrier
	s_and_saveexec_b64 s[12:13], s[44:45]
	s_cbranch_execz .LBB83_188
; %bb.187:
	v_lshlrev_b32_e32 v28, 9, v0
	ds_read_b128 v[11:14], v28 offset:4256
	s_movk_i32 s14, 0xfe10
	v_mad_i32_i24 v29, v0, s14, v28
	s_waitcnt lgkmcnt(0)
	ds_write_b128 v29, v[11:14] offset:5248
	ds_read_b128 v[11:14], v28 offset:4272
	s_waitcnt lgkmcnt(0)
	ds_write_b128 v29, v[11:14] offset:5760
.LBB83_188:
	s_or_b64 exec, exec, s[12:13]
	s_waitcnt lgkmcnt(0)
	s_barrier
	s_and_saveexec_b64 s[12:13], vcc
	s_cbranch_execz .LBB83_190
; %bb.189:
	v_mov_b32_e32 v38, 0
	ds_read_b128 v[11:14], v38 offset:5808
	ds_read_b128 v[28:31], v38 offset:5280
	;; [unrolled: 1-line block ×3, first 2 shown]
	s_waitcnt lgkmcnt(1)
	v_mul_f64 v[36:37], v[11:12], v[30:31]
	v_mul_f64 v[30:31], v[13:14], v[30:31]
	v_fma_f64 v[13:14], v[13:14], v[28:29], v[36:37]
	v_fma_f64 v[11:12], v[11:12], v[28:29], -v[30:31]
	s_waitcnt lgkmcnt(0)
	v_mul_f64 v[28:29], v[13:14], v[34:35]
	v_mul_f64 v[30:31], v[11:12], v[34:35]
	v_fma_f64 v[11:12], v[32:33], v[11:12], -v[28:29]
	v_fma_f64 v[13:14], v[32:33], v[13:14], v[30:31]
	ds_write_b128 v38, v[11:14] offset:5296
	ds_write_b128 v38, v[11:14] offset:5792
.LBB83_190:
	s_or_b64 exec, exec, s[12:13]
	v_mov_b32_e32 v13, 0
	v_mov_b32_e32 v11, 0
	v_mov_b32_e32 v14, 0
	v_mov_b32_e32 v12, 0
	s_waitcnt lgkmcnt(0)
	s_barrier
	s_and_saveexec_b64 s[14:15], s[16:17]
	s_cbranch_execz .LBB83_196
; %bb.191:
	v_mul_u32_u24_e32 v28, 0x210, v22
	ds_read_b128 v[11:14], v28 offset:4224
	ds_read_b128 v[29:32], v18 offset:4288
	v_cmp_gt_u32_e64 s[12:13], 12, v1
	s_waitcnt lgkmcnt(0)
	v_mul_f64 v[33:34], v[13:14], v[31:32]
	v_mul_f64 v[31:32], v[11:12], v[31:32]
	v_fma_f64 v[11:12], v[11:12], v[29:30], -v[33:34]
	v_fma_f64 v[13:14], v[13:14], v[29:30], v[31:32]
	v_add_f64 v[11:12], v[11:12], 0
	v_add_f64 v[13:14], v[13:14], 0
	s_and_saveexec_b64 s[18:19], s[12:13]
	s_cbranch_execnz .LBB83_558
; %bb.192:
	s_or_b64 exec, exec, s[18:19]
	v_cmp_gt_u32_e64 s[12:13], 8, v1
	s_and_saveexec_b64 s[18:19], s[12:13]
	s_cbranch_execnz .LBB83_559
.LBB83_193:
	s_or_b64 exec, exec, s[18:19]
	v_cmp_gt_u32_e64 s[12:13], 4, v1
	s_and_saveexec_b64 s[18:19], s[12:13]
	s_cbranch_execz .LBB83_195
.LBB83_194:
	v_lshlrev_b32_e32 v32, 4, v0
	v_mov_b32_e32 v28, 0
	ds_read_b128 v[28:31], v28 offset:4272
	ds_read_b128 v[32:35], v32 offset:5824
	s_waitcnt lgkmcnt(0)
	v_mul_f64 v[36:37], v[30:31], v[34:35]
	v_mul_f64 v[34:35], v[28:29], v[34:35]
	v_fma_f64 v[28:29], v[28:29], v[32:33], -v[36:37]
	v_fma_f64 v[30:31], v[30:31], v[32:33], v[34:35]
	v_add_f64 v[11:12], v[11:12], v[28:29]
	v_add_f64 v[13:14], v[13:14], v[30:31]
.LBB83_195:
	s_or_b64 exec, exec, s[18:19]
	v_xor_b32_e32 v12, 0x80000000, v12
	v_xor_b32_e32 v14, 0x80000000, v14
.LBB83_196:
	s_or_b64 exec, exec, s[14:15]
	s_and_saveexec_b64 s[12:13], s[48:49]
	s_cbranch_execz .LBB83_198
; %bb.197:
	v_mov_b32_e32 v28, 0
	ds_read_b128 v[28:31], v28 offset:6336
	s_waitcnt lgkmcnt(0)
	v_mul_f64 v[32:33], v[13:14], v[30:31]
	v_mul_f64 v[30:31], v[11:12], v[30:31]
	v_fma_f64 v[11:12], v[11:12], v[28:29], -v[32:33]
	v_fma_f64 v[13:14], v[13:14], v[28:29], v[30:31]
	ds_write_b128 v20, v[11:14]
.LBB83_198:
	s_or_b64 exec, exec, s[12:13]
	s_waitcnt lgkmcnt(0)
	s_barrier
	s_and_saveexec_b64 s[12:13], s[50:51]
	s_cbranch_execz .LBB83_200
; %bb.199:
	ds_read_b128 v[28:31], v20
	ds_read_b128 v[32:35], v19 offset:6336
	s_waitcnt lgkmcnt(0)
	v_mul_f64 v[36:37], v[30:31], v[34:35]
	v_mul_f64 v[34:35], v[28:29], v[34:35]
	v_fma_f64 v[28:29], v[28:29], v[32:33], -v[36:37]
	v_fma_f64 v[30:31], v[30:31], v[32:33], v[34:35]
	v_add_f64 v[11:12], v[11:12], v[28:29]
	v_add_f64 v[13:14], v[13:14], v[30:31]
.LBB83_200:
	s_or_b64 exec, exec, s[12:13]
	s_barrier
	s_and_saveexec_b64 s[12:13], s[52:53]
	s_cbranch_execz .LBB83_202
; %bb.201:
	v_mov_b32_e32 v28, 0
	ds_read_b128 v[28:31], v28 offset:6864
	s_waitcnt lgkmcnt(0)
	v_mul_f64 v[32:33], v[13:14], v[30:31]
	v_mul_f64 v[30:31], v[11:12], v[30:31]
	v_fma_f64 v[11:12], v[11:12], v[28:29], -v[32:33]
	v_fma_f64 v[13:14], v[13:14], v[28:29], v[30:31]
	ds_write_b128 v20, v[11:14]
.LBB83_202:
	s_or_b64 exec, exec, s[12:13]
	s_waitcnt lgkmcnt(0)
	s_barrier
	s_and_saveexec_b64 s[12:13], s[54:55]
	s_cbranch_execz .LBB83_204
; %bb.203:
	ds_read_b128 v[28:31], v20
	ds_read_b128 v[32:35], v19 offset:6848
	s_waitcnt lgkmcnt(0)
	v_mul_f64 v[36:37], v[30:31], v[34:35]
	v_mul_f64 v[34:35], v[28:29], v[34:35]
	v_fma_f64 v[28:29], v[28:29], v[32:33], -v[36:37]
	v_fma_f64 v[30:31], v[30:31], v[32:33], v[34:35]
	v_add_f64 v[11:12], v[11:12], v[28:29]
	v_add_f64 v[13:14], v[13:14], v[30:31]
.LBB83_204:
	s_or_b64 exec, exec, s[12:13]
	s_barrier
	s_and_saveexec_b64 s[12:13], s[56:57]
	s_cbranch_execz .LBB83_206
; %bb.205:
	v_mov_b32_e32 v28, 0
	ds_read_b128 v[28:31], v28 offset:7392
	s_waitcnt lgkmcnt(0)
	v_mul_f64 v[32:33], v[13:14], v[30:31]
	v_mul_f64 v[30:31], v[11:12], v[30:31]
	v_fma_f64 v[11:12], v[11:12], v[28:29], -v[32:33]
	v_fma_f64 v[13:14], v[13:14], v[28:29], v[30:31]
	ds_write_b128 v20, v[11:14]
.LBB83_206:
	s_or_b64 exec, exec, s[12:13]
	s_waitcnt lgkmcnt(0)
	s_barrier
	s_and_saveexec_b64 s[12:13], s[46:47]
	s_cbranch_execz .LBB83_208
; %bb.207:
	v_mov_b32_e32 v32, 0
	ds_read_b128 v[28:31], v20
	ds_read_b128 v[32:35], v32 offset:7408
	s_waitcnt lgkmcnt(0)
	v_mul_f64 v[36:37], v[30:31], v[34:35]
	v_mul_f64 v[34:35], v[28:29], v[34:35]
	v_fma_f64 v[28:29], v[28:29], v[32:33], -v[36:37]
	v_fma_f64 v[30:31], v[30:31], v[32:33], v[34:35]
	v_add_f64 v[11:12], v[11:12], v[28:29]
	v_add_f64 v[13:14], v[13:14], v[30:31]
.LBB83_208:
	s_or_b64 exec, exec, s[12:13]
	s_barrier
	s_and_saveexec_b64 s[12:13], s[46:47]
	s_cbranch_execz .LBB83_210
; %bb.209:
	v_mov_b32_e32 v28, 0
	ds_read_b128 v[28:31], v28 offset:7920
	s_waitcnt lgkmcnt(0)
	v_mul_f64 v[32:33], v[13:14], v[30:31]
	v_mul_f64 v[30:31], v[11:12], v[30:31]
	v_fma_f64 v[11:12], v[11:12], v[28:29], -v[32:33]
	v_fma_f64 v[13:14], v[13:14], v[28:29], v[30:31]
	ds_write_b128 v20, v[11:14]
.LBB83_210:
	s_or_b64 exec, exec, s[12:13]
	s_waitcnt lgkmcnt(0)
	s_barrier
	s_barrier
	s_and_saveexec_b64 s[12:13], s[16:17]
; %bb.211:
	v_xor_b32_e32 v14, 0x80000000, v14
	v_xor_b32_e32 v12, 0x80000000, v12
	ds_write_b128 v18, v[11:14] offset:4288
; %bb.212:
	s_or_b64 exec, exec, s[12:13]
	s_waitcnt lgkmcnt(0)
	s_barrier
	s_barrier
	s_and_saveexec_b64 s[12:13], s[58:59]
	s_cbranch_execz .LBB83_214
; %bb.213:
	v_lshlrev_b32_e32 v28, 4, v0
	s_movk_i32 s14, 0x1f0
	v_mad_u32_u24 v29, v0, s14, v28
	ds_read_b128 v[11:14], v29 offset:4288
	s_waitcnt lgkmcnt(0)
	ds_write_b128 v28, v[11:14] offset:6272
	ds_read_b128 v[11:14], v29 offset:4304
	s_waitcnt lgkmcnt(0)
	ds_write_b128 v28, v[11:14] offset:6784
	;; [unrolled: 3-line block ×4, first 2 shown]
.LBB83_214:
	s_or_b64 exec, exec, s[12:13]
	s_waitcnt lgkmcnt(0)
	s_barrier
	s_and_saveexec_b64 s[12:13], vcc
	s_cbranch_execz .LBB83_216
; %bb.215:
	v_mov_b32_e32 v38, 0
	ds_read_b128 v[11:14], v38 offset:6864
	ds_read_b128 v[28:31], v38 offset:6336
	;; [unrolled: 1-line block ×3, first 2 shown]
	s_waitcnt lgkmcnt(1)
	v_mul_f64 v[36:37], v[11:12], v[30:31]
	v_mul_f64 v[30:31], v[13:14], v[30:31]
	v_fma_f64 v[13:14], v[13:14], v[28:29], v[36:37]
	v_fma_f64 v[11:12], v[11:12], v[28:29], -v[30:31]
	s_waitcnt lgkmcnt(0)
	v_mul_f64 v[28:29], v[13:14], v[34:35]
	v_mul_f64 v[30:31], v[11:12], v[34:35]
	v_fma_f64 v[11:12], v[32:33], v[11:12], -v[28:29]
	v_fma_f64 v[13:14], v[32:33], v[13:14], v[30:31]
	ds_write_b128 v38, v[11:14] offset:6352
	ds_write_b128 v38, v[11:14] offset:6848
.LBB83_216:
	s_or_b64 exec, exec, s[12:13]
	v_mov_b32_e32 v13, 0
	v_mov_b32_e32 v11, 0
	;; [unrolled: 1-line block ×4, first 2 shown]
	s_waitcnt lgkmcnt(0)
	s_barrier
	s_and_saveexec_b64 s[14:15], s[2:3]
	s_cbranch_execz .LBB83_220
; %bb.217:
	v_mul_u32_u24_e32 v11, 0x210, v17
	ds_read_b128 v[11:14], v11 offset:6336
	ds_read_b128 v[28:31], v15 offset:6368
	v_cmp_gt_u32_e64 s[12:13], 2, v1
	s_waitcnt lgkmcnt(0)
	v_mul_f64 v[32:33], v[13:14], v[30:31]
	v_mul_f64 v[30:31], v[11:12], v[30:31]
	v_fma_f64 v[11:12], v[11:12], v[28:29], -v[32:33]
	v_fma_f64 v[13:14], v[13:14], v[28:29], v[30:31]
	v_add_f64 v[11:12], v[11:12], 0
	v_add_f64 v[13:14], v[13:14], 0
	s_and_saveexec_b64 s[18:19], s[12:13]
	s_cbranch_execz .LBB83_219
; %bb.218:
	v_lshlrev_b32_e32 v32, 4, v0
	v_mov_b32_e32 v28, 0
	ds_read_b128 v[28:31], v28 offset:6352
	ds_read_b128 v[32:35], v32 offset:6880
	s_waitcnt lgkmcnt(0)
	v_mul_f64 v[36:37], v[30:31], v[34:35]
	v_mul_f64 v[34:35], v[28:29], v[34:35]
	v_fma_f64 v[28:29], v[28:29], v[32:33], -v[36:37]
	v_fma_f64 v[30:31], v[30:31], v[32:33], v[34:35]
	v_add_f64 v[11:12], v[11:12], v[28:29]
	v_add_f64 v[13:14], v[13:14], v[30:31]
.LBB83_219:
	s_or_b64 exec, exec, s[18:19]
	v_xor_b32_e32 v12, 0x80000000, v12
	v_xor_b32_e32 v14, 0x80000000, v14
.LBB83_220:
	s_or_b64 exec, exec, s[14:15]
	s_and_saveexec_b64 s[12:13], s[42:43]
	s_cbranch_execz .LBB83_222
; %bb.221:
	v_mov_b32_e32 v28, 0
	ds_read_b128 v[28:31], v28 offset:7392
	s_waitcnt lgkmcnt(0)
	v_mul_f64 v[32:33], v[13:14], v[30:31]
	v_mul_f64 v[30:31], v[11:12], v[30:31]
	v_fma_f64 v[11:12], v[11:12], v[28:29], -v[32:33]
	v_fma_f64 v[13:14], v[13:14], v[28:29], v[30:31]
	ds_write_b128 v16, v[11:14]
.LBB83_222:
	s_or_b64 exec, exec, s[12:13]
	s_waitcnt lgkmcnt(0)
	s_barrier
	s_and_saveexec_b64 s[12:13], s[24:25]
	s_cbranch_execz .LBB83_224
; %bb.223:
	v_mov_b32_e32 v32, 0
	ds_read_b128 v[28:31], v16
	ds_read_b128 v[32:35], v32 offset:7408
	s_waitcnt lgkmcnt(0)
	v_mul_f64 v[36:37], v[30:31], v[34:35]
	v_mul_f64 v[34:35], v[28:29], v[34:35]
	v_fma_f64 v[28:29], v[28:29], v[32:33], -v[36:37]
	v_fma_f64 v[30:31], v[30:31], v[32:33], v[34:35]
	v_add_f64 v[11:12], v[11:12], v[28:29]
	v_add_f64 v[13:14], v[13:14], v[30:31]
.LBB83_224:
	s_or_b64 exec, exec, s[12:13]
	s_barrier
	s_and_saveexec_b64 s[12:13], s[24:25]
	s_cbranch_execz .LBB83_226
; %bb.225:
	v_mov_b32_e32 v28, 0
	ds_read_b128 v[28:31], v28 offset:7920
	s_waitcnt lgkmcnt(0)
	v_mul_f64 v[32:33], v[13:14], v[30:31]
	v_mul_f64 v[30:31], v[11:12], v[30:31]
	v_fma_f64 v[11:12], v[11:12], v[28:29], -v[32:33]
	v_fma_f64 v[13:14], v[13:14], v[28:29], v[30:31]
	ds_write_b128 v16, v[11:14]
.LBB83_226:
	s_or_b64 exec, exec, s[12:13]
	s_waitcnt lgkmcnt(0)
	s_barrier
	s_barrier
	s_and_saveexec_b64 s[12:13], s[2:3]
; %bb.227:
	v_xor_b32_e32 v12, 0x80000000, v12
	v_xor_b32_e32 v14, 0x80000000, v14
	ds_write_b128 v15, v[11:14] offset:6368
; %bb.228:
	s_or_b64 exec, exec, s[12:13]
	s_waitcnt lgkmcnt(0)
	s_barrier
	s_barrier
	s_and_saveexec_b64 s[12:13], s[44:45]
	s_cbranch_execz .LBB83_230
; %bb.229:
	v_lshlrev_b32_e32 v28, 9, v0
	ds_read_b128 v[11:14], v28 offset:6368
	s_movk_i32 s14, 0xfe10
	v_mad_i32_i24 v29, v0, s14, v28
	s_waitcnt lgkmcnt(0)
	ds_write_b128 v29, v[11:14] offset:7360
	ds_read_b128 v[11:14], v28 offset:6384
	s_waitcnt lgkmcnt(0)
	ds_write_b128 v29, v[11:14] offset:7872
.LBB83_230:
	s_or_b64 exec, exec, s[12:13]
	s_waitcnt lgkmcnt(0)
	s_barrier
	s_and_saveexec_b64 s[12:13], vcc
	s_cbranch_execz .LBB83_232
; %bb.231:
	v_mov_b32_e32 v38, 0
	ds_read_b128 v[11:14], v38 offset:7920
	ds_read_b128 v[28:31], v38 offset:7392
	;; [unrolled: 1-line block ×3, first 2 shown]
	s_waitcnt lgkmcnt(1)
	v_mul_f64 v[36:37], v[11:12], v[30:31]
	v_mul_f64 v[30:31], v[13:14], v[30:31]
	v_fma_f64 v[13:14], v[13:14], v[28:29], v[36:37]
	v_fma_f64 v[11:12], v[11:12], v[28:29], -v[30:31]
	s_waitcnt lgkmcnt(0)
	v_mul_f64 v[28:29], v[13:14], v[34:35]
	v_mul_f64 v[30:31], v[11:12], v[34:35]
	v_fma_f64 v[11:12], v[32:33], v[11:12], -v[28:29]
	v_fma_f64 v[13:14], v[32:33], v[13:14], v[30:31]
	ds_write_b128 v38, v[11:14] offset:7408
	ds_write_b128 v38, v[11:14] offset:7904
.LBB83_232:
	s_or_b64 exec, exec, s[12:13]
	v_and_b32_e32 v29, 15, v0
	s_movk_i32 s12, 0xff
	v_lshrrev_b32_e32 v31, 4, v1
	v_cmp_lt_u32_e64 s[14:15], s12, v1
	s_movk_i32 s12, 0x100
	v_lshlrev_b32_e32 v30, 4, v29
	v_mov_b32_e32 v13, 0
	v_mov_b32_e32 v11, 0
	v_cmp_gt_u32_e64 s[12:13], s12, v1
	v_mov_b32_e32 v14, 0
	v_mov_b32_e32 v12, 0
	v_lshl_or_b32 v28, v31, 9, v30
	s_waitcnt lgkmcnt(0)
	s_barrier
	s_and_saveexec_b64 s[90:91], s[12:13]
	s_cbranch_execz .LBB83_260
; %bb.233:
	v_mul_u32_u24_e32 v32, 0x210, v31
	ds_read_b128 v[11:14], v32
	ds_read_b128 v[33:36], v28 offset:256
	s_movk_i32 s18, 0xf0
	v_cmp_gt_u32_e64 s[18:19], s18, v1
	s_waitcnt lgkmcnt(0)
	v_mul_f64 v[37:38], v[13:14], v[35:36]
	v_mul_f64 v[35:36], v[11:12], v[35:36]
	v_fma_f64 v[11:12], v[11:12], v[33:34], -v[37:38]
	v_fma_f64 v[13:14], v[13:14], v[33:34], v[35:36]
	v_add_f64 v[11:12], v[11:12], 0
	v_add_f64 v[13:14], v[13:14], 0
	s_and_saveexec_b64 s[92:93], s[18:19]
	s_cbranch_execz .LBB83_235
; %bb.234:
	ds_read_b128 v[33:36], v32 offset:16
	ds_read_b128 v[37:40], v28 offset:768
	s_waitcnt lgkmcnt(0)
	v_mul_f64 v[41:42], v[35:36], v[39:40]
	v_mul_f64 v[39:40], v[33:34], v[39:40]
	v_fma_f64 v[33:34], v[33:34], v[37:38], -v[41:42]
	v_fma_f64 v[35:36], v[35:36], v[37:38], v[39:40]
	v_add_f64 v[11:12], v[11:12], v[33:34]
	v_add_f64 v[13:14], v[13:14], v[35:36]
.LBB83_235:
	s_or_b64 exec, exec, s[92:93]
	s_movk_i32 s18, 0xe0
	v_cmp_gt_u32_e64 s[18:19], s18, v1
	s_and_saveexec_b64 s[92:93], s[18:19]
	s_cbranch_execz .LBB83_237
; %bb.236:
	ds_read_b128 v[33:36], v32 offset:32
	ds_read_b128 v[37:40], v28 offset:1280
	s_waitcnt lgkmcnt(0)
	v_mul_f64 v[41:42], v[35:36], v[39:40]
	v_mul_f64 v[39:40], v[33:34], v[39:40]
	v_fma_f64 v[33:34], v[33:34], v[37:38], -v[41:42]
	v_fma_f64 v[35:36], v[35:36], v[37:38], v[39:40]
	v_add_f64 v[11:12], v[11:12], v[33:34]
	v_add_f64 v[13:14], v[13:14], v[35:36]
.LBB83_237:
	s_or_b64 exec, exec, s[92:93]
	s_movk_i32 s18, 0xd0
	v_cmp_gt_u32_e64 s[18:19], s18, v1
	;; [unrolled: 16-line block ×10, first 2 shown]
	s_and_saveexec_b64 s[92:93], s[18:19]
	s_cbranch_execnz .LBB83_560
; %bb.254:
	s_or_b64 exec, exec, s[92:93]
	v_cmp_gt_u32_e64 s[18:19], 64, v1
	s_and_saveexec_b64 s[92:93], s[18:19]
	s_cbranch_execnz .LBB83_561
.LBB83_255:
	s_or_b64 exec, exec, s[92:93]
	v_cmp_gt_u32_e64 s[18:19], 48, v1
	s_and_saveexec_b64 s[92:93], s[18:19]
	s_cbranch_execnz .LBB83_562
.LBB83_256:
	s_or_b64 exec, exec, s[92:93]
	v_cmp_gt_u32_e64 s[18:19], 32, v1
	s_and_saveexec_b64 s[92:93], s[18:19]
	s_cbranch_execnz .LBB83_563
.LBB83_257:
	s_or_b64 exec, exec, s[92:93]
	v_cmp_gt_u32_e64 s[18:19], 16, v1
	s_and_saveexec_b64 s[92:93], s[18:19]
	s_cbranch_execz .LBB83_259
.LBB83_258:
	v_lshlrev_b32_e32 v36, 4, v0
	v_mov_b32_e32 v32, 0
	ds_read_b128 v[32:35], v32 offset:240
	ds_read_b128 v[36:39], v36 offset:7936
	s_waitcnt lgkmcnt(0)
	v_mul_f64 v[40:41], v[34:35], v[38:39]
	v_mul_f64 v[38:39], v[32:33], v[38:39]
	v_fma_f64 v[32:33], v[32:33], v[36:37], -v[40:41]
	v_fma_f64 v[34:35], v[34:35], v[36:37], v[38:39]
	v_add_f64 v[11:12], v[11:12], v[32:33]
	v_add_f64 v[13:14], v[13:14], v[34:35]
.LBB83_259:
	s_or_b64 exec, exec, s[92:93]
	v_xor_b32_e32 v12, 0x80000000, v12
	v_xor_b32_e32 v14, 0x80000000, v14
.LBB83_260:
	s_or_b64 exec, exec, s[90:91]
	v_mov_b32_e32 v32, 0x4000
	v_cmp_eq_u32_e64 s[18:19], 0, v29
	s_xor_b64 s[90:91], s[14:15], -1
	v_lshl_add_u32 v31, v31, 4, v32
	s_and_b64 s[18:19], s[18:19], s[90:91]
	s_and_saveexec_b64 s[14:15], s[18:19]
	s_cbranch_execz .LBB83_262
; %bb.261:
	v_mov_b32_e32 v32, 0
	ds_read_b128 v[32:35], v32 offset:8448
	s_waitcnt lgkmcnt(0)
	v_mul_f64 v[36:37], v[13:14], v[34:35]
	v_mul_f64 v[34:35], v[11:12], v[34:35]
	v_fma_f64 v[11:12], v[11:12], v[32:33], -v[36:37]
	v_fma_f64 v[13:14], v[13:14], v[32:33], v[34:35]
	ds_write_b128 v31, v[11:14]
.LBB83_262:
	s_or_b64 exec, exec, s[14:15]
	v_cmp_ne_u32_e64 s[14:15], 0, v29
	s_and_b64 s[18:19], s[14:15], s[90:91]
	s_waitcnt lgkmcnt(0)
	s_barrier
	s_and_saveexec_b64 s[14:15], s[18:19]
	s_cbranch_execz .LBB83_264
; %bb.263:
	ds_read_b128 v[32:35], v31
	ds_read_b128 v[36:39], v30 offset:8448
	s_waitcnt lgkmcnt(0)
	v_mul_f64 v[40:41], v[34:35], v[38:39]
	v_mul_f64 v[38:39], v[32:33], v[38:39]
	v_fma_f64 v[32:33], v[32:33], v[36:37], -v[40:41]
	v_fma_f64 v[34:35], v[34:35], v[36:37], v[38:39]
	v_add_f64 v[11:12], v[11:12], v[32:33]
	v_add_f64 v[13:14], v[13:14], v[34:35]
.LBB83_264:
	s_or_b64 exec, exec, s[14:15]
	v_cmp_eq_u32_e64 s[14:15], 1, v29
	s_and_b64 s[18:19], s[14:15], s[90:91]
	s_barrier
	s_and_saveexec_b64 s[14:15], s[18:19]
	s_cbranch_execz .LBB83_266
; %bb.265:
	v_mov_b32_e32 v32, 0
	ds_read_b128 v[32:35], v32 offset:8976
	s_waitcnt lgkmcnt(0)
	v_mul_f64 v[36:37], v[13:14], v[34:35]
	v_mul_f64 v[34:35], v[11:12], v[34:35]
	v_fma_f64 v[11:12], v[11:12], v[32:33], -v[36:37]
	v_fma_f64 v[13:14], v[13:14], v[32:33], v[34:35]
	ds_write_b128 v31, v[11:14]
.LBB83_266:
	s_or_b64 exec, exec, s[14:15]
	v_cmp_lt_u32_e64 s[14:15], 1, v29
	s_and_b64 s[18:19], s[14:15], s[90:91]
	s_waitcnt lgkmcnt(0)
	s_barrier
	s_and_saveexec_b64 s[14:15], s[18:19]
	s_cbranch_execz .LBB83_268
; %bb.267:
	ds_read_b128 v[32:35], v31
	ds_read_b128 v[36:39], v30 offset:8960
	s_waitcnt lgkmcnt(0)
	v_mul_f64 v[40:41], v[34:35], v[38:39]
	v_mul_f64 v[38:39], v[32:33], v[38:39]
	v_fma_f64 v[32:33], v[32:33], v[36:37], -v[40:41]
	v_fma_f64 v[34:35], v[34:35], v[36:37], v[38:39]
	v_add_f64 v[11:12], v[11:12], v[32:33]
	v_add_f64 v[13:14], v[13:14], v[34:35]
.LBB83_268:
	s_or_b64 exec, exec, s[14:15]
	v_cmp_eq_u32_e64 s[14:15], 2, v29
	s_and_b64 s[18:19], s[14:15], s[90:91]
	s_barrier
	s_and_saveexec_b64 s[14:15], s[18:19]
	s_cbranch_execz .LBB83_270
; %bb.269:
	v_mov_b32_e32 v32, 0
	ds_read_b128 v[32:35], v32 offset:9504
	s_waitcnt lgkmcnt(0)
	v_mul_f64 v[36:37], v[13:14], v[34:35]
	v_mul_f64 v[34:35], v[11:12], v[34:35]
	v_fma_f64 v[11:12], v[11:12], v[32:33], -v[36:37]
	v_fma_f64 v[13:14], v[13:14], v[32:33], v[34:35]
	ds_write_b128 v31, v[11:14]
.LBB83_270:
	s_or_b64 exec, exec, s[14:15]
	v_cmp_lt_u32_e64 s[14:15], 2, v29
	;; [unrolled: 34-line block ×13, first 2 shown]
	s_and_b64 s[18:19], s[14:15], s[90:91]
	s_waitcnt lgkmcnt(0)
	s_barrier
	s_and_saveexec_b64 s[14:15], s[18:19]
	s_cbranch_execz .LBB83_316
; %bb.315:
	ds_read_b128 v[32:35], v31
	ds_read_b128 v[36:39], v30 offset:15104
	s_waitcnt lgkmcnt(0)
	v_mul_f64 v[40:41], v[34:35], v[38:39]
	v_mul_f64 v[38:39], v[32:33], v[38:39]
	v_fma_f64 v[32:33], v[32:33], v[36:37], -v[40:41]
	v_fma_f64 v[34:35], v[34:35], v[36:37], v[38:39]
	v_add_f64 v[11:12], v[11:12], v[32:33]
	v_add_f64 v[13:14], v[13:14], v[34:35]
.LBB83_316:
	s_or_b64 exec, exec, s[14:15]
	v_cmp_eq_u32_e64 s[14:15], 14, v29
	s_and_b64 s[18:19], s[14:15], s[90:91]
	s_barrier
	s_and_saveexec_b64 s[14:15], s[18:19]
	s_cbranch_execz .LBB83_318
; %bb.317:
	v_mov_b32_e32 v30, 0
	ds_read_b128 v[32:35], v30 offset:15840
	s_waitcnt lgkmcnt(0)
	v_mul_f64 v[36:37], v[13:14], v[34:35]
	v_mul_f64 v[34:35], v[11:12], v[34:35]
	v_fma_f64 v[11:12], v[11:12], v[32:33], -v[36:37]
	v_fma_f64 v[13:14], v[13:14], v[32:33], v[34:35]
	ds_write_b128 v31, v[11:14]
.LBB83_318:
	s_or_b64 exec, exec, s[14:15]
	v_cmp_eq_u32_e64 s[14:15], 15, v29
	s_and_b64 s[14:15], s[14:15], s[90:91]
	s_waitcnt lgkmcnt(0)
	s_barrier
	s_and_saveexec_b64 s[18:19], s[14:15]
	s_cbranch_execz .LBB83_320
; %bb.319:
	v_mov_b32_e32 v29, 0
	ds_read_b128 v[32:35], v31
	ds_read_b128 v[36:39], v29 offset:15856
	s_waitcnt lgkmcnt(0)
	v_mul_f64 v[29:30], v[34:35], v[38:39]
	v_mul_f64 v[38:39], v[32:33], v[38:39]
	v_fma_f64 v[29:30], v[32:33], v[36:37], -v[29:30]
	v_fma_f64 v[32:33], v[34:35], v[36:37], v[38:39]
	v_add_f64 v[11:12], v[11:12], v[29:30]
	v_add_f64 v[13:14], v[13:14], v[32:33]
.LBB83_320:
	s_or_b64 exec, exec, s[18:19]
	s_barrier
	s_and_saveexec_b64 s[18:19], s[14:15]
	s_cbranch_execz .LBB83_322
; %bb.321:
	v_mov_b32_e32 v29, 0
	ds_read_b128 v[32:35], v29 offset:16368
	s_waitcnt lgkmcnt(0)
	v_mul_f64 v[29:30], v[13:14], v[34:35]
	v_mul_f64 v[34:35], v[11:12], v[34:35]
	v_fma_f64 v[11:12], v[11:12], v[32:33], -v[29:30]
	v_fma_f64 v[13:14], v[13:14], v[32:33], v[34:35]
	ds_write_b128 v31, v[11:14]
.LBB83_322:
	s_or_b64 exec, exec, s[18:19]
	s_waitcnt lgkmcnt(0)
	s_barrier
	s_barrier
	s_and_saveexec_b64 s[14:15], s[12:13]
; %bb.323:
	v_xor_b32_e32 v14, 0x80000000, v14
	v_xor_b32_e32 v12, 0x80000000, v12
	ds_write_b128 v28, v[11:14] offset:256
; %bb.324:
	s_or_b64 exec, exec, s[14:15]
	v_cmp_gt_u32_e64 s[12:13], 16, v0
	s_and_b64 s[12:13], s[10:11], s[12:13]
	s_waitcnt lgkmcnt(0)
	s_barrier
	s_barrier
	s_and_saveexec_b64 s[10:11], s[12:13]
	s_cbranch_execz .LBB83_326
; %bb.325:
	v_lshlrev_b32_e32 v28, 9, v0
	ds_read_b128 v[11:14], v28 offset:256
	s_movk_i32 s12, 0xfe10
	v_mad_i32_i24 v29, v0, s12, v28
	s_waitcnt lgkmcnt(0)
	ds_write_b128 v29, v[11:14] offset:8192
	ds_read_b128 v[11:14], v28 offset:272
	s_waitcnt lgkmcnt(0)
	ds_write_b128 v29, v[11:14] offset:8704
	ds_read_b128 v[11:14], v28 offset:288
	;; [unrolled: 3-line block ×15, first 2 shown]
	s_waitcnt lgkmcnt(0)
	ds_write_b128 v29, v[11:14] offset:15872
.LBB83_326:
	s_or_b64 exec, exec, s[10:11]
	s_waitcnt lgkmcnt(0)
	s_barrier
	s_and_saveexec_b64 s[10:11], vcc
	s_cbranch_execz .LBB83_328
; %bb.327:
	v_mov_b32_e32 v38, 0
	ds_read_b128 v[11:14], v38 offset:8976
	ds_read_b128 v[28:31], v38 offset:8448
	;; [unrolled: 1-line block ×3, first 2 shown]
	s_waitcnt lgkmcnt(1)
	v_mul_f64 v[36:37], v[11:12], v[30:31]
	v_mul_f64 v[30:31], v[13:14], v[30:31]
	v_fma_f64 v[13:14], v[13:14], v[28:29], v[36:37]
	v_fma_f64 v[11:12], v[11:12], v[28:29], -v[30:31]
	s_waitcnt lgkmcnt(0)
	v_mul_f64 v[28:29], v[13:14], v[34:35]
	v_mul_f64 v[30:31], v[11:12], v[34:35]
	v_fma_f64 v[11:12], v[32:33], v[11:12], -v[28:29]
	v_fma_f64 v[13:14], v[32:33], v[13:14], v[30:31]
	ds_write_b128 v38, v[11:14] offset:8464
	ds_write_b128 v38, v[11:14] offset:8960
.LBB83_328:
	s_or_b64 exec, exec, s[10:11]
	v_mov_b32_e32 v13, 0
	v_mov_b32_e32 v11, 0
	;; [unrolled: 1-line block ×4, first 2 shown]
	s_waitcnt lgkmcnt(0)
	s_barrier
	s_and_saveexec_b64 s[12:13], s[2:3]
	s_cbranch_execz .LBB83_332
; %bb.329:
	v_mul_u32_u24_e32 v11, 0x210, v17
	ds_read_b128 v[11:14], v11 offset:8448
	ds_read_b128 v[28:31], v15 offset:8480
	v_cmp_gt_u32_e64 s[10:11], 2, v1
	s_waitcnt lgkmcnt(0)
	v_mul_f64 v[32:33], v[13:14], v[30:31]
	v_mul_f64 v[30:31], v[11:12], v[30:31]
	v_fma_f64 v[11:12], v[11:12], v[28:29], -v[32:33]
	v_fma_f64 v[13:14], v[13:14], v[28:29], v[30:31]
	v_add_f64 v[11:12], v[11:12], 0
	v_add_f64 v[13:14], v[13:14], 0
	s_and_saveexec_b64 s[14:15], s[10:11]
	s_cbranch_execz .LBB83_331
; %bb.330:
	v_lshlrev_b32_e32 v32, 4, v0
	v_mov_b32_e32 v28, 0
	ds_read_b128 v[28:31], v28 offset:8464
	ds_read_b128 v[32:35], v32 offset:8992
	s_waitcnt lgkmcnt(0)
	v_mul_f64 v[36:37], v[30:31], v[34:35]
	v_mul_f64 v[34:35], v[28:29], v[34:35]
	v_fma_f64 v[28:29], v[28:29], v[32:33], -v[36:37]
	v_fma_f64 v[30:31], v[30:31], v[32:33], v[34:35]
	v_add_f64 v[11:12], v[11:12], v[28:29]
	v_add_f64 v[13:14], v[13:14], v[30:31]
.LBB83_331:
	s_or_b64 exec, exec, s[14:15]
	v_xor_b32_e32 v12, 0x80000000, v12
	v_xor_b32_e32 v14, 0x80000000, v14
.LBB83_332:
	s_or_b64 exec, exec, s[12:13]
	s_and_saveexec_b64 s[10:11], s[42:43]
	s_cbranch_execz .LBB83_334
; %bb.333:
	v_mov_b32_e32 v28, 0
	ds_read_b128 v[28:31], v28 offset:9504
	s_waitcnt lgkmcnt(0)
	v_mul_f64 v[32:33], v[13:14], v[30:31]
	v_mul_f64 v[30:31], v[11:12], v[30:31]
	v_fma_f64 v[11:12], v[11:12], v[28:29], -v[32:33]
	v_fma_f64 v[13:14], v[13:14], v[28:29], v[30:31]
	ds_write_b128 v16, v[11:14]
.LBB83_334:
	s_or_b64 exec, exec, s[10:11]
	s_waitcnt lgkmcnt(0)
	s_barrier
	s_and_saveexec_b64 s[10:11], s[24:25]
	s_cbranch_execz .LBB83_336
; %bb.335:
	v_mov_b32_e32 v32, 0
	ds_read_b128 v[28:31], v16
	ds_read_b128 v[32:35], v32 offset:9520
	s_waitcnt lgkmcnt(0)
	v_mul_f64 v[36:37], v[30:31], v[34:35]
	v_mul_f64 v[34:35], v[28:29], v[34:35]
	v_fma_f64 v[28:29], v[28:29], v[32:33], -v[36:37]
	v_fma_f64 v[30:31], v[30:31], v[32:33], v[34:35]
	v_add_f64 v[11:12], v[11:12], v[28:29]
	v_add_f64 v[13:14], v[13:14], v[30:31]
.LBB83_336:
	s_or_b64 exec, exec, s[10:11]
	s_barrier
	s_and_saveexec_b64 s[10:11], s[24:25]
	s_cbranch_execz .LBB83_338
; %bb.337:
	v_mov_b32_e32 v28, 0
	ds_read_b128 v[28:31], v28 offset:10032
	s_waitcnt lgkmcnt(0)
	v_mul_f64 v[32:33], v[13:14], v[30:31]
	v_mul_f64 v[30:31], v[11:12], v[30:31]
	v_fma_f64 v[11:12], v[11:12], v[28:29], -v[32:33]
	v_fma_f64 v[13:14], v[13:14], v[28:29], v[30:31]
	ds_write_b128 v16, v[11:14]
.LBB83_338:
	s_or_b64 exec, exec, s[10:11]
	s_waitcnt lgkmcnt(0)
	s_barrier
	s_barrier
	s_and_saveexec_b64 s[10:11], s[2:3]
; %bb.339:
	v_xor_b32_e32 v12, 0x80000000, v12
	v_xor_b32_e32 v14, 0x80000000, v14
	ds_write_b128 v15, v[11:14] offset:8480
; %bb.340:
	s_or_b64 exec, exec, s[10:11]
	s_waitcnt lgkmcnt(0)
	s_barrier
	s_barrier
	s_and_saveexec_b64 s[10:11], s[44:45]
	s_cbranch_execz .LBB83_342
; %bb.341:
	v_lshlrev_b32_e32 v28, 9, v0
	ds_read_b128 v[11:14], v28 offset:8480
	s_movk_i32 s12, 0xfe10
	v_mad_i32_i24 v29, v0, s12, v28
	s_waitcnt lgkmcnt(0)
	ds_write_b128 v29, v[11:14] offset:9472
	ds_read_b128 v[11:14], v28 offset:8496
	s_waitcnt lgkmcnt(0)
	ds_write_b128 v29, v[11:14] offset:9984
.LBB83_342:
	s_or_b64 exec, exec, s[10:11]
	s_waitcnt lgkmcnt(0)
	s_barrier
	s_and_saveexec_b64 s[10:11], vcc
	s_cbranch_execz .LBB83_344
; %bb.343:
	v_mov_b32_e32 v38, 0
	ds_read_b128 v[11:14], v38 offset:10032
	ds_read_b128 v[28:31], v38 offset:9504
	;; [unrolled: 1-line block ×3, first 2 shown]
	s_waitcnt lgkmcnt(1)
	v_mul_f64 v[36:37], v[11:12], v[30:31]
	v_mul_f64 v[30:31], v[13:14], v[30:31]
	v_fma_f64 v[13:14], v[13:14], v[28:29], v[36:37]
	v_fma_f64 v[11:12], v[11:12], v[28:29], -v[30:31]
	s_waitcnt lgkmcnt(0)
	v_mul_f64 v[28:29], v[13:14], v[34:35]
	v_mul_f64 v[30:31], v[11:12], v[34:35]
	v_fma_f64 v[11:12], v[32:33], v[11:12], -v[28:29]
	v_fma_f64 v[13:14], v[32:33], v[13:14], v[30:31]
	ds_write_b128 v38, v[11:14] offset:9520
	ds_write_b128 v38, v[11:14] offset:10016
.LBB83_344:
	s_or_b64 exec, exec, s[10:11]
	v_mov_b32_e32 v13, 0
	v_mov_b32_e32 v11, 0
	;; [unrolled: 1-line block ×4, first 2 shown]
	s_waitcnt lgkmcnt(0)
	s_barrier
	s_and_saveexec_b64 s[12:13], s[16:17]
	s_cbranch_execz .LBB83_350
; %bb.345:
	v_mul_u32_u24_e32 v28, 0x210, v22
	ds_read_b128 v[11:14], v28 offset:8448
	ds_read_b128 v[29:32], v18 offset:8512
	v_cmp_gt_u32_e64 s[10:11], 12, v1
	s_waitcnt lgkmcnt(0)
	v_mul_f64 v[33:34], v[13:14], v[31:32]
	v_mul_f64 v[31:32], v[11:12], v[31:32]
	v_fma_f64 v[11:12], v[11:12], v[29:30], -v[33:34]
	v_fma_f64 v[13:14], v[13:14], v[29:30], v[31:32]
	v_add_f64 v[11:12], v[11:12], 0
	v_add_f64 v[13:14], v[13:14], 0
	s_and_saveexec_b64 s[14:15], s[10:11]
	s_cbranch_execnz .LBB83_564
; %bb.346:
	s_or_b64 exec, exec, s[14:15]
	v_cmp_gt_u32_e64 s[10:11], 8, v1
	s_and_saveexec_b64 s[14:15], s[10:11]
	s_cbranch_execnz .LBB83_565
.LBB83_347:
	s_or_b64 exec, exec, s[14:15]
	v_cmp_gt_u32_e64 s[10:11], 4, v1
	s_and_saveexec_b64 s[14:15], s[10:11]
	s_cbranch_execz .LBB83_349
.LBB83_348:
	v_lshlrev_b32_e32 v32, 4, v0
	v_mov_b32_e32 v28, 0
	ds_read_b128 v[28:31], v28 offset:8496
	ds_read_b128 v[32:35], v32 offset:10048
	s_waitcnt lgkmcnt(0)
	v_mul_f64 v[36:37], v[30:31], v[34:35]
	v_mul_f64 v[34:35], v[28:29], v[34:35]
	v_fma_f64 v[28:29], v[28:29], v[32:33], -v[36:37]
	v_fma_f64 v[30:31], v[30:31], v[32:33], v[34:35]
	v_add_f64 v[11:12], v[11:12], v[28:29]
	v_add_f64 v[13:14], v[13:14], v[30:31]
.LBB83_349:
	s_or_b64 exec, exec, s[14:15]
	v_xor_b32_e32 v12, 0x80000000, v12
	v_xor_b32_e32 v14, 0x80000000, v14
.LBB83_350:
	s_or_b64 exec, exec, s[12:13]
	s_and_saveexec_b64 s[10:11], s[48:49]
	s_cbranch_execz .LBB83_352
; %bb.351:
	v_mov_b32_e32 v28, 0
	ds_read_b128 v[28:31], v28 offset:10560
	s_waitcnt lgkmcnt(0)
	v_mul_f64 v[32:33], v[13:14], v[30:31]
	v_mul_f64 v[30:31], v[11:12], v[30:31]
	v_fma_f64 v[11:12], v[11:12], v[28:29], -v[32:33]
	v_fma_f64 v[13:14], v[13:14], v[28:29], v[30:31]
	ds_write_b128 v20, v[11:14]
.LBB83_352:
	s_or_b64 exec, exec, s[10:11]
	s_waitcnt lgkmcnt(0)
	s_barrier
	s_and_saveexec_b64 s[10:11], s[50:51]
	s_cbranch_execz .LBB83_354
; %bb.353:
	ds_read_b128 v[28:31], v20
	ds_read_b128 v[32:35], v19 offset:10560
	s_waitcnt lgkmcnt(0)
	v_mul_f64 v[36:37], v[30:31], v[34:35]
	v_mul_f64 v[34:35], v[28:29], v[34:35]
	v_fma_f64 v[28:29], v[28:29], v[32:33], -v[36:37]
	v_fma_f64 v[30:31], v[30:31], v[32:33], v[34:35]
	v_add_f64 v[11:12], v[11:12], v[28:29]
	v_add_f64 v[13:14], v[13:14], v[30:31]
.LBB83_354:
	s_or_b64 exec, exec, s[10:11]
	s_barrier
	s_and_saveexec_b64 s[10:11], s[52:53]
	s_cbranch_execz .LBB83_356
; %bb.355:
	v_mov_b32_e32 v28, 0
	ds_read_b128 v[28:31], v28 offset:11088
	s_waitcnt lgkmcnt(0)
	v_mul_f64 v[32:33], v[13:14], v[30:31]
	v_mul_f64 v[30:31], v[11:12], v[30:31]
	v_fma_f64 v[11:12], v[11:12], v[28:29], -v[32:33]
	v_fma_f64 v[13:14], v[13:14], v[28:29], v[30:31]
	ds_write_b128 v20, v[11:14]
.LBB83_356:
	s_or_b64 exec, exec, s[10:11]
	s_waitcnt lgkmcnt(0)
	s_barrier
	s_and_saveexec_b64 s[10:11], s[54:55]
	s_cbranch_execz .LBB83_358
; %bb.357:
	ds_read_b128 v[28:31], v20
	ds_read_b128 v[32:35], v19 offset:11072
	s_waitcnt lgkmcnt(0)
	v_mul_f64 v[36:37], v[30:31], v[34:35]
	v_mul_f64 v[34:35], v[28:29], v[34:35]
	v_fma_f64 v[28:29], v[28:29], v[32:33], -v[36:37]
	v_fma_f64 v[30:31], v[30:31], v[32:33], v[34:35]
	v_add_f64 v[11:12], v[11:12], v[28:29]
	v_add_f64 v[13:14], v[13:14], v[30:31]
.LBB83_358:
	s_or_b64 exec, exec, s[10:11]
	s_barrier
	s_and_saveexec_b64 s[10:11], s[56:57]
	s_cbranch_execz .LBB83_360
; %bb.359:
	v_mov_b32_e32 v28, 0
	ds_read_b128 v[28:31], v28 offset:11616
	s_waitcnt lgkmcnt(0)
	v_mul_f64 v[32:33], v[13:14], v[30:31]
	v_mul_f64 v[30:31], v[11:12], v[30:31]
	v_fma_f64 v[11:12], v[11:12], v[28:29], -v[32:33]
	v_fma_f64 v[13:14], v[13:14], v[28:29], v[30:31]
	ds_write_b128 v20, v[11:14]
.LBB83_360:
	s_or_b64 exec, exec, s[10:11]
	s_waitcnt lgkmcnt(0)
	s_barrier
	s_and_saveexec_b64 s[10:11], s[46:47]
	s_cbranch_execz .LBB83_362
; %bb.361:
	v_mov_b32_e32 v32, 0
	ds_read_b128 v[28:31], v20
	ds_read_b128 v[32:35], v32 offset:11632
	s_waitcnt lgkmcnt(0)
	v_mul_f64 v[36:37], v[30:31], v[34:35]
	v_mul_f64 v[34:35], v[28:29], v[34:35]
	v_fma_f64 v[28:29], v[28:29], v[32:33], -v[36:37]
	v_fma_f64 v[30:31], v[30:31], v[32:33], v[34:35]
	v_add_f64 v[11:12], v[11:12], v[28:29]
	v_add_f64 v[13:14], v[13:14], v[30:31]
.LBB83_362:
	s_or_b64 exec, exec, s[10:11]
	s_barrier
	s_and_saveexec_b64 s[10:11], s[46:47]
	s_cbranch_execz .LBB83_364
; %bb.363:
	v_mov_b32_e32 v28, 0
	ds_read_b128 v[28:31], v28 offset:12144
	s_waitcnt lgkmcnt(0)
	v_mul_f64 v[32:33], v[13:14], v[30:31]
	v_mul_f64 v[30:31], v[11:12], v[30:31]
	v_fma_f64 v[11:12], v[11:12], v[28:29], -v[32:33]
	v_fma_f64 v[13:14], v[13:14], v[28:29], v[30:31]
	ds_write_b128 v20, v[11:14]
.LBB83_364:
	s_or_b64 exec, exec, s[10:11]
	s_waitcnt lgkmcnt(0)
	s_barrier
	s_barrier
	s_and_saveexec_b64 s[10:11], s[16:17]
; %bb.365:
	v_xor_b32_e32 v14, 0x80000000, v14
	v_xor_b32_e32 v12, 0x80000000, v12
	ds_write_b128 v18, v[11:14] offset:8512
; %bb.366:
	s_or_b64 exec, exec, s[10:11]
	s_waitcnt lgkmcnt(0)
	s_barrier
	s_barrier
	s_and_saveexec_b64 s[10:11], s[58:59]
	s_cbranch_execz .LBB83_368
; %bb.367:
	v_lshlrev_b32_e32 v28, 4, v0
	s_movk_i32 s12, 0x1f0
	v_mad_u32_u24 v29, v0, s12, v28
	ds_read_b128 v[11:14], v29 offset:8512
	s_waitcnt lgkmcnt(0)
	ds_write_b128 v28, v[11:14] offset:10496
	ds_read_b128 v[11:14], v29 offset:8528
	s_waitcnt lgkmcnt(0)
	ds_write_b128 v28, v[11:14] offset:11008
	;; [unrolled: 3-line block ×4, first 2 shown]
.LBB83_368:
	s_or_b64 exec, exec, s[10:11]
	s_waitcnt lgkmcnt(0)
	s_barrier
	s_and_saveexec_b64 s[10:11], vcc
	s_cbranch_execz .LBB83_370
; %bb.369:
	v_mov_b32_e32 v38, 0
	ds_read_b128 v[11:14], v38 offset:11088
	ds_read_b128 v[28:31], v38 offset:10560
	ds_read_b128 v[32:35], v38 offset:10576
	s_waitcnt lgkmcnt(1)
	v_mul_f64 v[36:37], v[11:12], v[30:31]
	v_mul_f64 v[30:31], v[13:14], v[30:31]
	v_fma_f64 v[13:14], v[13:14], v[28:29], v[36:37]
	v_fma_f64 v[11:12], v[11:12], v[28:29], -v[30:31]
	s_waitcnt lgkmcnt(0)
	v_mul_f64 v[28:29], v[13:14], v[34:35]
	v_mul_f64 v[30:31], v[11:12], v[34:35]
	v_fma_f64 v[11:12], v[32:33], v[11:12], -v[28:29]
	v_fma_f64 v[13:14], v[32:33], v[13:14], v[30:31]
	ds_write_b128 v38, v[11:14] offset:10576
	ds_write_b128 v38, v[11:14] offset:11072
.LBB83_370:
	s_or_b64 exec, exec, s[10:11]
	v_mov_b32_e32 v13, 0
	v_mov_b32_e32 v11, 0
	v_mov_b32_e32 v14, 0
	v_mov_b32_e32 v12, 0
	s_waitcnt lgkmcnt(0)
	s_barrier
	s_and_saveexec_b64 s[12:13], s[2:3]
	s_cbranch_execz .LBB83_374
; %bb.371:
	v_mul_u32_u24_e32 v11, 0x210, v17
	ds_read_b128 v[11:14], v11 offset:10560
	ds_read_b128 v[28:31], v15 offset:10592
	v_cmp_gt_u32_e64 s[10:11], 2, v1
	s_waitcnt lgkmcnt(0)
	v_mul_f64 v[32:33], v[13:14], v[30:31]
	v_mul_f64 v[30:31], v[11:12], v[30:31]
	v_fma_f64 v[11:12], v[11:12], v[28:29], -v[32:33]
	v_fma_f64 v[13:14], v[13:14], v[28:29], v[30:31]
	v_add_f64 v[11:12], v[11:12], 0
	v_add_f64 v[13:14], v[13:14], 0
	s_and_saveexec_b64 s[14:15], s[10:11]
	s_cbranch_execz .LBB83_373
; %bb.372:
	v_lshlrev_b32_e32 v32, 4, v0
	v_mov_b32_e32 v28, 0
	ds_read_b128 v[28:31], v28 offset:10576
	ds_read_b128 v[32:35], v32 offset:11104
	s_waitcnt lgkmcnt(0)
	v_mul_f64 v[36:37], v[30:31], v[34:35]
	v_mul_f64 v[34:35], v[28:29], v[34:35]
	v_fma_f64 v[28:29], v[28:29], v[32:33], -v[36:37]
	v_fma_f64 v[30:31], v[30:31], v[32:33], v[34:35]
	v_add_f64 v[11:12], v[11:12], v[28:29]
	v_add_f64 v[13:14], v[13:14], v[30:31]
.LBB83_373:
	s_or_b64 exec, exec, s[14:15]
	v_xor_b32_e32 v12, 0x80000000, v12
	v_xor_b32_e32 v14, 0x80000000, v14
.LBB83_374:
	s_or_b64 exec, exec, s[12:13]
	s_and_saveexec_b64 s[10:11], s[42:43]
	s_cbranch_execz .LBB83_376
; %bb.375:
	v_mov_b32_e32 v28, 0
	ds_read_b128 v[28:31], v28 offset:11616
	s_waitcnt lgkmcnt(0)
	v_mul_f64 v[32:33], v[13:14], v[30:31]
	v_mul_f64 v[30:31], v[11:12], v[30:31]
	v_fma_f64 v[11:12], v[11:12], v[28:29], -v[32:33]
	v_fma_f64 v[13:14], v[13:14], v[28:29], v[30:31]
	ds_write_b128 v16, v[11:14]
.LBB83_376:
	s_or_b64 exec, exec, s[10:11]
	s_waitcnt lgkmcnt(0)
	s_barrier
	s_and_saveexec_b64 s[10:11], s[24:25]
	s_cbranch_execz .LBB83_378
; %bb.377:
	v_mov_b32_e32 v32, 0
	ds_read_b128 v[28:31], v16
	ds_read_b128 v[32:35], v32 offset:11632
	s_waitcnt lgkmcnt(0)
	v_mul_f64 v[36:37], v[30:31], v[34:35]
	v_mul_f64 v[34:35], v[28:29], v[34:35]
	v_fma_f64 v[28:29], v[28:29], v[32:33], -v[36:37]
	v_fma_f64 v[30:31], v[30:31], v[32:33], v[34:35]
	v_add_f64 v[11:12], v[11:12], v[28:29]
	v_add_f64 v[13:14], v[13:14], v[30:31]
.LBB83_378:
	s_or_b64 exec, exec, s[10:11]
	s_barrier
	s_and_saveexec_b64 s[10:11], s[24:25]
	s_cbranch_execz .LBB83_380
; %bb.379:
	v_mov_b32_e32 v28, 0
	ds_read_b128 v[28:31], v28 offset:12144
	s_waitcnt lgkmcnt(0)
	v_mul_f64 v[32:33], v[13:14], v[30:31]
	v_mul_f64 v[30:31], v[11:12], v[30:31]
	v_fma_f64 v[11:12], v[11:12], v[28:29], -v[32:33]
	v_fma_f64 v[13:14], v[13:14], v[28:29], v[30:31]
	ds_write_b128 v16, v[11:14]
.LBB83_380:
	s_or_b64 exec, exec, s[10:11]
	s_waitcnt lgkmcnt(0)
	s_barrier
	s_barrier
	s_and_saveexec_b64 s[10:11], s[2:3]
; %bb.381:
	v_xor_b32_e32 v12, 0x80000000, v12
	v_xor_b32_e32 v14, 0x80000000, v14
	ds_write_b128 v15, v[11:14] offset:10592
; %bb.382:
	s_or_b64 exec, exec, s[10:11]
	s_waitcnt lgkmcnt(0)
	s_barrier
	s_barrier
	s_and_saveexec_b64 s[10:11], s[44:45]
	s_cbranch_execz .LBB83_384
; %bb.383:
	v_lshlrev_b32_e32 v28, 9, v0
	ds_read_b128 v[11:14], v28 offset:10592
	s_movk_i32 s12, 0xfe10
	v_mad_i32_i24 v29, v0, s12, v28
	s_waitcnt lgkmcnt(0)
	ds_write_b128 v29, v[11:14] offset:11584
	ds_read_b128 v[11:14], v28 offset:10608
	s_waitcnt lgkmcnt(0)
	ds_write_b128 v29, v[11:14] offset:12096
.LBB83_384:
	s_or_b64 exec, exec, s[10:11]
	s_waitcnt lgkmcnt(0)
	s_barrier
	s_and_saveexec_b64 s[10:11], vcc
	s_cbranch_execz .LBB83_386
; %bb.385:
	v_mov_b32_e32 v38, 0
	ds_read_b128 v[11:14], v38 offset:12144
	ds_read_b128 v[28:31], v38 offset:11616
	;; [unrolled: 1-line block ×3, first 2 shown]
	s_waitcnt lgkmcnt(1)
	v_mul_f64 v[36:37], v[11:12], v[30:31]
	v_mul_f64 v[30:31], v[13:14], v[30:31]
	v_fma_f64 v[13:14], v[13:14], v[28:29], v[36:37]
	v_fma_f64 v[11:12], v[11:12], v[28:29], -v[30:31]
	s_waitcnt lgkmcnt(0)
	v_mul_f64 v[28:29], v[13:14], v[34:35]
	v_mul_f64 v[30:31], v[11:12], v[34:35]
	v_fma_f64 v[11:12], v[32:33], v[11:12], -v[28:29]
	v_fma_f64 v[13:14], v[32:33], v[13:14], v[30:31]
	ds_write_b128 v38, v[11:14] offset:11632
	ds_write_b128 v38, v[11:14] offset:12128
.LBB83_386:
	s_or_b64 exec, exec, s[10:11]
	v_mov_b32_e32 v13, 0
	v_mov_b32_e32 v11, 0
	;; [unrolled: 1-line block ×4, first 2 shown]
	s_waitcnt lgkmcnt(0)
	s_barrier
	s_and_saveexec_b64 s[12:13], s[8:9]
	s_cbranch_execz .LBB83_396
; %bb.387:
	v_mul_u32_u24_e32 v28, 0x210, v27
	ds_read_b128 v[11:14], v28 offset:8448
	ds_read_b128 v[29:32], v23 offset:8576
	v_cmp_gt_u32_e64 s[10:11], 56, v1
	s_waitcnt lgkmcnt(0)
	v_mul_f64 v[33:34], v[13:14], v[31:32]
	v_mul_f64 v[31:32], v[11:12], v[31:32]
	v_fma_f64 v[11:12], v[11:12], v[29:30], -v[33:34]
	v_fma_f64 v[13:14], v[13:14], v[29:30], v[31:32]
	v_add_f64 v[11:12], v[11:12], 0
	v_add_f64 v[13:14], v[13:14], 0
	s_and_saveexec_b64 s[14:15], s[10:11]
	s_cbranch_execnz .LBB83_566
; %bb.388:
	s_or_b64 exec, exec, s[14:15]
	v_cmp_gt_u32_e64 s[10:11], 48, v1
	s_and_saveexec_b64 s[14:15], s[10:11]
	s_cbranch_execnz .LBB83_567
.LBB83_389:
	s_or_b64 exec, exec, s[14:15]
	v_cmp_gt_u32_e64 s[10:11], 40, v1
	s_and_saveexec_b64 s[14:15], s[10:11]
	s_cbranch_execnz .LBB83_568
.LBB83_390:
	s_or_b64 exec, exec, s[14:15]
	v_cmp_gt_u32_e64 s[10:11], 32, v1
	s_and_saveexec_b64 s[14:15], s[10:11]
	s_cbranch_execnz .LBB83_569
.LBB83_391:
	s_or_b64 exec, exec, s[14:15]
	v_cmp_gt_u32_e64 s[10:11], 24, v1
	s_and_saveexec_b64 s[14:15], s[10:11]
	s_cbranch_execnz .LBB83_570
.LBB83_392:
	s_or_b64 exec, exec, s[14:15]
	v_cmp_gt_u32_e64 s[10:11], 16, v1
	s_and_saveexec_b64 s[14:15], s[10:11]
	s_cbranch_execnz .LBB83_571
.LBB83_393:
	s_or_b64 exec, exec, s[14:15]
	v_cmp_gt_u32_e64 s[10:11], 8, v1
	s_and_saveexec_b64 s[14:15], s[10:11]
	s_cbranch_execz .LBB83_395
.LBB83_394:
	v_lshlrev_b32_e32 v30, 4, v0
	v_mov_b32_e32 v26, 0
	ds_read_b128 v[26:29], v26 offset:8560
	ds_read_b128 v[30:33], v30 offset:12160
	s_waitcnt lgkmcnt(0)
	v_mul_f64 v[34:35], v[28:29], v[32:33]
	v_mul_f64 v[32:33], v[26:27], v[32:33]
	v_fma_f64 v[26:27], v[26:27], v[30:31], -v[34:35]
	v_fma_f64 v[28:29], v[28:29], v[30:31], v[32:33]
	v_add_f64 v[11:12], v[11:12], v[26:27]
	v_add_f64 v[13:14], v[13:14], v[28:29]
.LBB83_395:
	s_or_b64 exec, exec, s[14:15]
	v_xor_b32_e32 v12, 0x80000000, v12
	v_xor_b32_e32 v14, 0x80000000, v14
.LBB83_396:
	s_or_b64 exec, exec, s[12:13]
	s_and_saveexec_b64 s[10:11], s[0:1]
	s_cbranch_execz .LBB83_398
; %bb.397:
	v_mov_b32_e32 v26, 0
	ds_read_b128 v[26:29], v26 offset:12672
	s_waitcnt lgkmcnt(0)
	v_mul_f64 v[30:31], v[13:14], v[28:29]
	v_mul_f64 v[28:29], v[11:12], v[28:29]
	v_fma_f64 v[11:12], v[11:12], v[26:27], -v[30:31]
	v_fma_f64 v[13:14], v[13:14], v[26:27], v[28:29]
	ds_write_b128 v25, v[11:14]
.LBB83_398:
	s_or_b64 exec, exec, s[10:11]
	s_waitcnt lgkmcnt(0)
	s_barrier
	s_and_saveexec_b64 s[10:11], s[64:65]
	s_cbranch_execz .LBB83_400
; %bb.399:
	ds_read_b128 v[26:29], v25
	ds_read_b128 v[30:33], v24 offset:12672
	s_waitcnt lgkmcnt(0)
	v_mul_f64 v[34:35], v[28:29], v[32:33]
	v_mul_f64 v[32:33], v[26:27], v[32:33]
	v_fma_f64 v[26:27], v[26:27], v[30:31], -v[34:35]
	v_fma_f64 v[28:29], v[28:29], v[30:31], v[32:33]
	v_add_f64 v[11:12], v[11:12], v[26:27]
	v_add_f64 v[13:14], v[13:14], v[28:29]
.LBB83_400:
	s_or_b64 exec, exec, s[10:11]
	s_barrier
	s_and_saveexec_b64 s[10:11], s[66:67]
	s_cbranch_execz .LBB83_402
; %bb.401:
	v_mov_b32_e32 v26, 0
	ds_read_b128 v[26:29], v26 offset:13200
	s_waitcnt lgkmcnt(0)
	v_mul_f64 v[30:31], v[13:14], v[28:29]
	v_mul_f64 v[28:29], v[11:12], v[28:29]
	v_fma_f64 v[11:12], v[11:12], v[26:27], -v[30:31]
	v_fma_f64 v[13:14], v[13:14], v[26:27], v[28:29]
	ds_write_b128 v25, v[11:14]
.LBB83_402:
	s_or_b64 exec, exec, s[10:11]
	s_waitcnt lgkmcnt(0)
	s_barrier
	s_and_saveexec_b64 s[10:11], s[68:69]
	s_cbranch_execz .LBB83_404
; %bb.403:
	ds_read_b128 v[26:29], v25
	ds_read_b128 v[30:33], v24 offset:13184
	s_waitcnt lgkmcnt(0)
	v_mul_f64 v[34:35], v[28:29], v[32:33]
	v_mul_f64 v[32:33], v[26:27], v[32:33]
	v_fma_f64 v[26:27], v[26:27], v[30:31], -v[34:35]
	v_fma_f64 v[28:29], v[28:29], v[30:31], v[32:33]
	v_add_f64 v[11:12], v[11:12], v[26:27]
	v_add_f64 v[13:14], v[13:14], v[28:29]
.LBB83_404:
	s_or_b64 exec, exec, s[10:11]
	s_barrier
	;; [unrolled: 30-line block ×6, first 2 shown]
	s_and_saveexec_b64 s[10:11], s[86:87]
	s_cbranch_execz .LBB83_422
; %bb.421:
	v_mov_b32_e32 v24, 0
	ds_read_b128 v[26:29], v24 offset:15840
	s_waitcnt lgkmcnt(0)
	v_mul_f64 v[30:31], v[13:14], v[28:29]
	v_mul_f64 v[28:29], v[11:12], v[28:29]
	v_fma_f64 v[11:12], v[11:12], v[26:27], -v[30:31]
	v_fma_f64 v[13:14], v[13:14], v[26:27], v[28:29]
	ds_write_b128 v25, v[11:14]
.LBB83_422:
	s_or_b64 exec, exec, s[10:11]
	s_waitcnt lgkmcnt(0)
	s_barrier
	s_and_saveexec_b64 s[10:11], s[60:61]
	s_cbranch_execz .LBB83_424
; %bb.423:
	v_mov_b32_e32 v24, 0
	ds_read_b128 v[26:29], v25
	ds_read_b128 v[30:33], v24 offset:15856
	s_waitcnt lgkmcnt(0)
	v_mul_f64 v[34:35], v[28:29], v[32:33]
	v_mul_f64 v[32:33], v[26:27], v[32:33]
	v_fma_f64 v[26:27], v[26:27], v[30:31], -v[34:35]
	v_fma_f64 v[28:29], v[28:29], v[30:31], v[32:33]
	v_add_f64 v[11:12], v[11:12], v[26:27]
	v_add_f64 v[13:14], v[13:14], v[28:29]
.LBB83_424:
	s_or_b64 exec, exec, s[10:11]
	s_barrier
	s_and_saveexec_b64 s[10:11], s[60:61]
	s_cbranch_execz .LBB83_426
; %bb.425:
	v_mov_b32_e32 v24, 0
	ds_read_b128 v[26:29], v24 offset:16368
	s_waitcnt lgkmcnt(0)
	v_mul_f64 v[30:31], v[13:14], v[28:29]
	v_mul_f64 v[28:29], v[11:12], v[28:29]
	v_fma_f64 v[11:12], v[11:12], v[26:27], -v[30:31]
	v_fma_f64 v[13:14], v[13:14], v[26:27], v[28:29]
	ds_write_b128 v25, v[11:14]
.LBB83_426:
	s_or_b64 exec, exec, s[10:11]
	s_waitcnt lgkmcnt(0)
	s_barrier
	s_barrier
	s_and_saveexec_b64 s[10:11], s[8:9]
; %bb.427:
	v_xor_b32_e32 v12, 0x80000000, v12
	v_xor_b32_e32 v14, 0x80000000, v14
	ds_write_b128 v23, v[11:14] offset:8576
; %bb.428:
	s_or_b64 exec, exec, s[10:11]
	s_waitcnt lgkmcnt(0)
	s_barrier
	s_barrier
	s_and_saveexec_b64 s[8:9], s[88:89]
	s_cbranch_execz .LBB83_430
; %bb.429:
	v_lshlrev_b32_e32 v23, 9, v0
	ds_read_b128 v[11:14], v23 offset:8576
	s_movk_i32 s0, 0xfe10
	v_mad_i32_i24 v24, v0, s0, v23
	s_waitcnt lgkmcnt(0)
	ds_write_b128 v24, v[11:14] offset:12544
	ds_read_b128 v[11:14], v23 offset:8592
	s_waitcnt lgkmcnt(0)
	ds_write_b128 v24, v[11:14] offset:13056
	ds_read_b128 v[11:14], v23 offset:8608
	;; [unrolled: 3-line block ×7, first 2 shown]
	s_waitcnt lgkmcnt(0)
	ds_write_b128 v24, v[11:14] offset:16128
.LBB83_430:
	s_or_b64 exec, exec, s[8:9]
	s_waitcnt lgkmcnt(0)
	s_barrier
	s_and_saveexec_b64 s[8:9], vcc
	s_cbranch_execz .LBB83_432
; %bb.431:
	v_mov_b32_e32 v33, 0
	ds_read_b128 v[11:14], v33 offset:13200
	ds_read_b128 v[23:26], v33 offset:12672
	ds_read_b128 v[27:30], v33 offset:12688
	s_waitcnt lgkmcnt(1)
	v_mul_f64 v[31:32], v[11:12], v[25:26]
	v_mul_f64 v[25:26], v[13:14], v[25:26]
	v_fma_f64 v[13:14], v[13:14], v[23:24], v[31:32]
	v_fma_f64 v[11:12], v[11:12], v[23:24], -v[25:26]
	s_waitcnt lgkmcnt(0)
	v_mul_f64 v[23:24], v[13:14], v[29:30]
	v_mul_f64 v[25:26], v[11:12], v[29:30]
	v_fma_f64 v[11:12], v[27:28], v[11:12], -v[23:24]
	v_fma_f64 v[13:14], v[27:28], v[13:14], v[25:26]
	ds_write_b128 v33, v[11:14] offset:12688
	ds_write_b128 v33, v[11:14] offset:13184
.LBB83_432:
	s_or_b64 exec, exec, s[8:9]
	v_mov_b32_e32 v13, 0
	v_mov_b32_e32 v11, 0
	;; [unrolled: 1-line block ×4, first 2 shown]
	s_waitcnt lgkmcnt(0)
	s_barrier
	s_and_saveexec_b64 s[10:11], s[2:3]
	s_cbranch_execz .LBB83_436
; %bb.433:
	v_mul_u32_u24_e32 v11, 0x210, v17
	ds_read_b128 v[11:14], v11 offset:12672
	ds_read_b128 v[23:26], v15 offset:12704
	v_cmp_gt_u32_e64 s[8:9], 2, v1
	s_waitcnt lgkmcnt(0)
	v_mul_f64 v[27:28], v[13:14], v[25:26]
	v_mul_f64 v[25:26], v[11:12], v[25:26]
	v_fma_f64 v[11:12], v[11:12], v[23:24], -v[27:28]
	v_fma_f64 v[13:14], v[13:14], v[23:24], v[25:26]
	v_add_f64 v[11:12], v[11:12], 0
	v_add_f64 v[13:14], v[13:14], 0
	s_and_saveexec_b64 s[12:13], s[8:9]
	s_cbranch_execz .LBB83_435
; %bb.434:
	v_lshlrev_b32_e32 v27, 4, v0
	v_mov_b32_e32 v23, 0
	ds_read_b128 v[23:26], v23 offset:12688
	ds_read_b128 v[27:30], v27 offset:13216
	s_waitcnt lgkmcnt(0)
	v_mul_f64 v[31:32], v[25:26], v[29:30]
	v_mul_f64 v[29:30], v[23:24], v[29:30]
	v_fma_f64 v[23:24], v[23:24], v[27:28], -v[31:32]
	v_fma_f64 v[25:26], v[25:26], v[27:28], v[29:30]
	v_add_f64 v[11:12], v[11:12], v[23:24]
	v_add_f64 v[13:14], v[13:14], v[25:26]
.LBB83_435:
	s_or_b64 exec, exec, s[12:13]
	v_xor_b32_e32 v12, 0x80000000, v12
	v_xor_b32_e32 v14, 0x80000000, v14
.LBB83_436:
	s_or_b64 exec, exec, s[10:11]
	s_and_saveexec_b64 s[8:9], s[42:43]
	s_cbranch_execz .LBB83_438
; %bb.437:
	v_mov_b32_e32 v23, 0
	ds_read_b128 v[23:26], v23 offset:13728
	s_waitcnt lgkmcnt(0)
	v_mul_f64 v[27:28], v[13:14], v[25:26]
	v_mul_f64 v[25:26], v[11:12], v[25:26]
	v_fma_f64 v[11:12], v[11:12], v[23:24], -v[27:28]
	v_fma_f64 v[13:14], v[13:14], v[23:24], v[25:26]
	ds_write_b128 v16, v[11:14]
.LBB83_438:
	s_or_b64 exec, exec, s[8:9]
	s_waitcnt lgkmcnt(0)
	s_barrier
	s_and_saveexec_b64 s[8:9], s[24:25]
	s_cbranch_execz .LBB83_440
; %bb.439:
	v_mov_b32_e32 v27, 0
	ds_read_b128 v[23:26], v16
	ds_read_b128 v[27:30], v27 offset:13744
	s_waitcnt lgkmcnt(0)
	v_mul_f64 v[31:32], v[25:26], v[29:30]
	v_mul_f64 v[29:30], v[23:24], v[29:30]
	v_fma_f64 v[23:24], v[23:24], v[27:28], -v[31:32]
	v_fma_f64 v[25:26], v[25:26], v[27:28], v[29:30]
	v_add_f64 v[11:12], v[11:12], v[23:24]
	v_add_f64 v[13:14], v[13:14], v[25:26]
.LBB83_440:
	s_or_b64 exec, exec, s[8:9]
	s_barrier
	s_and_saveexec_b64 s[8:9], s[24:25]
	s_cbranch_execz .LBB83_442
; %bb.441:
	v_mov_b32_e32 v23, 0
	ds_read_b128 v[23:26], v23 offset:14256
	s_waitcnt lgkmcnt(0)
	v_mul_f64 v[27:28], v[13:14], v[25:26]
	v_mul_f64 v[25:26], v[11:12], v[25:26]
	v_fma_f64 v[11:12], v[11:12], v[23:24], -v[27:28]
	v_fma_f64 v[13:14], v[13:14], v[23:24], v[25:26]
	ds_write_b128 v16, v[11:14]
.LBB83_442:
	s_or_b64 exec, exec, s[8:9]
	s_waitcnt lgkmcnt(0)
	s_barrier
	s_barrier
	s_and_saveexec_b64 s[8:9], s[2:3]
; %bb.443:
	v_xor_b32_e32 v12, 0x80000000, v12
	v_xor_b32_e32 v14, 0x80000000, v14
	ds_write_b128 v15, v[11:14] offset:12704
; %bb.444:
	s_or_b64 exec, exec, s[8:9]
	s_waitcnt lgkmcnt(0)
	s_barrier
	s_barrier
	s_and_saveexec_b64 s[8:9], s[44:45]
	s_cbranch_execz .LBB83_446
; %bb.445:
	v_lshlrev_b32_e32 v23, 9, v0
	ds_read_b128 v[11:14], v23 offset:12704
	s_movk_i32 s0, 0xfe10
	v_mad_i32_i24 v24, v0, s0, v23
	s_waitcnt lgkmcnt(0)
	ds_write_b128 v24, v[11:14] offset:13696
	ds_read_b128 v[11:14], v23 offset:12720
	s_waitcnt lgkmcnt(0)
	ds_write_b128 v24, v[11:14] offset:14208
.LBB83_446:
	s_or_b64 exec, exec, s[8:9]
	s_waitcnt lgkmcnt(0)
	s_barrier
	s_and_saveexec_b64 s[8:9], vcc
	s_cbranch_execz .LBB83_448
; %bb.447:
	v_mov_b32_e32 v33, 0
	ds_read_b128 v[11:14], v33 offset:14256
	ds_read_b128 v[23:26], v33 offset:13728
	ds_read_b128 v[27:30], v33 offset:13744
	s_waitcnt lgkmcnt(1)
	v_mul_f64 v[31:32], v[11:12], v[25:26]
	v_mul_f64 v[25:26], v[13:14], v[25:26]
	v_fma_f64 v[13:14], v[13:14], v[23:24], v[31:32]
	v_fma_f64 v[11:12], v[11:12], v[23:24], -v[25:26]
	s_waitcnt lgkmcnt(0)
	v_mul_f64 v[23:24], v[13:14], v[29:30]
	v_mul_f64 v[25:26], v[11:12], v[29:30]
	v_fma_f64 v[11:12], v[27:28], v[11:12], -v[23:24]
	v_fma_f64 v[13:14], v[27:28], v[13:14], v[25:26]
	ds_write_b128 v33, v[11:14] offset:13744
	ds_write_b128 v33, v[11:14] offset:14240
.LBB83_448:
	s_or_b64 exec, exec, s[8:9]
	v_mov_b32_e32 v13, 0
	v_mov_b32_e32 v11, 0
	v_mov_b32_e32 v14, 0
	v_mov_b32_e32 v12, 0
	s_waitcnt lgkmcnt(0)
	s_barrier
	s_and_saveexec_b64 s[10:11], s[16:17]
	s_cbranch_execz .LBB83_454
; %bb.449:
	v_mul_u32_u24_e32 v23, 0x210, v22
	ds_read_b128 v[11:14], v23 offset:12672
	ds_read_b128 v[24:27], v18 offset:12736
	v_cmp_gt_u32_e64 s[8:9], 12, v1
	s_waitcnt lgkmcnt(0)
	v_mul_f64 v[28:29], v[13:14], v[26:27]
	v_mul_f64 v[26:27], v[11:12], v[26:27]
	v_fma_f64 v[11:12], v[11:12], v[24:25], -v[28:29]
	v_fma_f64 v[13:14], v[13:14], v[24:25], v[26:27]
	v_add_f64 v[11:12], v[11:12], 0
	v_add_f64 v[13:14], v[13:14], 0
	s_and_saveexec_b64 s[12:13], s[8:9]
	s_cbranch_execnz .LBB83_572
; %bb.450:
	s_or_b64 exec, exec, s[12:13]
	v_cmp_gt_u32_e64 s[8:9], 8, v1
	s_and_saveexec_b64 s[12:13], s[8:9]
	s_cbranch_execnz .LBB83_573
.LBB83_451:
	s_or_b64 exec, exec, s[12:13]
	v_cmp_gt_u32_e64 s[8:9], 4, v1
	s_and_saveexec_b64 s[12:13], s[8:9]
	s_cbranch_execz .LBB83_453
.LBB83_452:
	v_lshlrev_b32_e32 v25, 4, v0
	v_mov_b32_e32 v21, 0
	ds_read_b128 v[21:24], v21 offset:12720
	ds_read_b128 v[25:28], v25 offset:14272
	s_waitcnt lgkmcnt(0)
	v_mul_f64 v[29:30], v[23:24], v[27:28]
	v_mul_f64 v[27:28], v[21:22], v[27:28]
	v_fma_f64 v[21:22], v[21:22], v[25:26], -v[29:30]
	v_fma_f64 v[23:24], v[23:24], v[25:26], v[27:28]
	v_add_f64 v[11:12], v[11:12], v[21:22]
	v_add_f64 v[13:14], v[13:14], v[23:24]
.LBB83_453:
	s_or_b64 exec, exec, s[12:13]
	v_xor_b32_e32 v12, 0x80000000, v12
	v_xor_b32_e32 v14, 0x80000000, v14
.LBB83_454:
	s_or_b64 exec, exec, s[10:11]
	s_and_saveexec_b64 s[8:9], s[48:49]
	s_cbranch_execz .LBB83_456
; %bb.455:
	v_mov_b32_e32 v21, 0
	ds_read_b128 v[21:24], v21 offset:14784
	s_waitcnt lgkmcnt(0)
	v_mul_f64 v[25:26], v[13:14], v[23:24]
	v_mul_f64 v[23:24], v[11:12], v[23:24]
	v_fma_f64 v[11:12], v[11:12], v[21:22], -v[25:26]
	v_fma_f64 v[13:14], v[13:14], v[21:22], v[23:24]
	ds_write_b128 v20, v[11:14]
.LBB83_456:
	s_or_b64 exec, exec, s[8:9]
	s_waitcnt lgkmcnt(0)
	s_barrier
	s_and_saveexec_b64 s[8:9], s[50:51]
	v_readlane_b32 s48, v43, 1
	v_readlane_b32 s49, v43, 2
	s_cbranch_execz .LBB83_458
; %bb.457:
	ds_read_b128 v[21:24], v20
	ds_read_b128 v[25:28], v19 offset:14784
	s_waitcnt lgkmcnt(0)
	v_mul_f64 v[29:30], v[23:24], v[27:28]
	v_mul_f64 v[27:28], v[21:22], v[27:28]
	v_fma_f64 v[21:22], v[21:22], v[25:26], -v[29:30]
	v_fma_f64 v[23:24], v[23:24], v[25:26], v[27:28]
	v_add_f64 v[11:12], v[11:12], v[21:22]
	v_add_f64 v[13:14], v[13:14], v[23:24]
.LBB83_458:
	s_or_b64 exec, exec, s[8:9]
	s_barrier
	s_and_saveexec_b64 s[8:9], s[52:53]
	s_cbranch_execz .LBB83_460
; %bb.459:
	v_mov_b32_e32 v21, 0
	ds_read_b128 v[21:24], v21 offset:15312
	s_waitcnt lgkmcnt(0)
	v_mul_f64 v[25:26], v[13:14], v[23:24]
	v_mul_f64 v[23:24], v[11:12], v[23:24]
	v_fma_f64 v[11:12], v[11:12], v[21:22], -v[25:26]
	v_fma_f64 v[13:14], v[13:14], v[21:22], v[23:24]
	ds_write_b128 v20, v[11:14]
.LBB83_460:
	s_or_b64 exec, exec, s[8:9]
	s_waitcnt lgkmcnt(0)
	s_barrier
	s_and_saveexec_b64 s[8:9], s[54:55]
	s_cbranch_execz .LBB83_462
; %bb.461:
	ds_read_b128 v[21:24], v20
	ds_read_b128 v[25:28], v19 offset:15296
	s_waitcnt lgkmcnt(0)
	v_mul_f64 v[29:30], v[23:24], v[27:28]
	v_mul_f64 v[27:28], v[21:22], v[27:28]
	v_fma_f64 v[21:22], v[21:22], v[25:26], -v[29:30]
	v_fma_f64 v[23:24], v[23:24], v[25:26], v[27:28]
	v_add_f64 v[11:12], v[11:12], v[21:22]
	v_add_f64 v[13:14], v[13:14], v[23:24]
.LBB83_462:
	s_or_b64 exec, exec, s[8:9]
	s_barrier
	s_and_saveexec_b64 s[8:9], s[56:57]
	s_cbranch_execz .LBB83_464
; %bb.463:
	v_mov_b32_e32 v19, 0
	ds_read_b128 v[21:24], v19 offset:15840
	s_waitcnt lgkmcnt(0)
	v_mul_f64 v[25:26], v[13:14], v[23:24]
	v_mul_f64 v[23:24], v[11:12], v[23:24]
	v_fma_f64 v[11:12], v[11:12], v[21:22], -v[25:26]
	v_fma_f64 v[13:14], v[13:14], v[21:22], v[23:24]
	ds_write_b128 v20, v[11:14]
.LBB83_464:
	s_or_b64 exec, exec, s[8:9]
	s_waitcnt lgkmcnt(0)
	s_barrier
	s_and_saveexec_b64 s[8:9], s[46:47]
	s_cbranch_execz .LBB83_466
; %bb.465:
	v_mov_b32_e32 v19, 0
	ds_read_b128 v[21:24], v20
	ds_read_b128 v[25:28], v19 offset:15856
	s_waitcnt lgkmcnt(0)
	v_mul_f64 v[29:30], v[23:24], v[27:28]
	v_mul_f64 v[27:28], v[21:22], v[27:28]
	v_fma_f64 v[21:22], v[21:22], v[25:26], -v[29:30]
	v_fma_f64 v[23:24], v[23:24], v[25:26], v[27:28]
	v_add_f64 v[11:12], v[11:12], v[21:22]
	v_add_f64 v[13:14], v[13:14], v[23:24]
.LBB83_466:
	s_or_b64 exec, exec, s[8:9]
	s_barrier
	s_and_saveexec_b64 s[8:9], s[46:47]
	s_cbranch_execz .LBB83_468
; %bb.467:
	v_mov_b32_e32 v19, 0
	ds_read_b128 v[21:24], v19 offset:16368
	s_waitcnt lgkmcnt(0)
	v_mul_f64 v[25:26], v[13:14], v[23:24]
	v_mul_f64 v[23:24], v[11:12], v[23:24]
	v_fma_f64 v[11:12], v[11:12], v[21:22], -v[25:26]
	v_fma_f64 v[13:14], v[13:14], v[21:22], v[23:24]
	ds_write_b128 v20, v[11:14]
.LBB83_468:
	s_or_b64 exec, exec, s[8:9]
	s_waitcnt lgkmcnt(0)
	s_barrier
	s_barrier
	s_and_saveexec_b64 s[8:9], s[16:17]
; %bb.469:
	v_xor_b32_e32 v14, 0x80000000, v14
	v_xor_b32_e32 v12, 0x80000000, v12
	ds_write_b128 v18, v[11:14] offset:12736
; %bb.470:
	s_or_b64 exec, exec, s[8:9]
	s_waitcnt lgkmcnt(0)
	s_barrier
	s_barrier
	s_and_saveexec_b64 s[8:9], s[58:59]
	s_cbranch_execz .LBB83_472
; %bb.471:
	v_lshlrev_b32_e32 v18, 4, v0
	s_movk_i32 s0, 0x1f0
	v_mad_u32_u24 v19, v0, s0, v18
	ds_read_b128 v[11:14], v19 offset:12736
	s_waitcnt lgkmcnt(0)
	ds_write_b128 v18, v[11:14] offset:14720
	ds_read_b128 v[11:14], v19 offset:12752
	s_waitcnt lgkmcnt(0)
	ds_write_b128 v18, v[11:14] offset:15232
	;; [unrolled: 3-line block ×4, first 2 shown]
.LBB83_472:
	s_or_b64 exec, exec, s[8:9]
	s_waitcnt lgkmcnt(0)
	s_barrier
	s_and_saveexec_b64 s[8:9], vcc
	s_cbranch_execz .LBB83_474
; %bb.473:
	v_mov_b32_e32 v28, 0
	ds_read_b128 v[11:14], v28 offset:15312
	ds_read_b128 v[18:21], v28 offset:14784
	;; [unrolled: 1-line block ×3, first 2 shown]
	s_waitcnt lgkmcnt(1)
	v_mul_f64 v[26:27], v[11:12], v[20:21]
	v_mul_f64 v[20:21], v[13:14], v[20:21]
	v_fma_f64 v[13:14], v[13:14], v[18:19], v[26:27]
	v_fma_f64 v[11:12], v[11:12], v[18:19], -v[20:21]
	s_waitcnt lgkmcnt(0)
	v_mul_f64 v[18:19], v[13:14], v[24:25]
	v_mul_f64 v[20:21], v[11:12], v[24:25]
	v_fma_f64 v[11:12], v[22:23], v[11:12], -v[18:19]
	v_fma_f64 v[13:14], v[22:23], v[13:14], v[20:21]
	ds_write_b128 v28, v[11:14] offset:14800
	ds_write_b128 v28, v[11:14] offset:15296
.LBB83_474:
	s_or_b64 exec, exec, s[8:9]
	v_mov_b32_e32 v13, 0
	v_mov_b32_e32 v11, 0
	;; [unrolled: 1-line block ×4, first 2 shown]
	s_waitcnt lgkmcnt(0)
	s_barrier
	s_and_saveexec_b64 s[10:11], s[2:3]
	s_cbranch_execz .LBB83_478
; %bb.475:
	v_mul_u32_u24_e32 v11, 0x210, v17
	ds_read_b128 v[11:14], v11 offset:14784
	ds_read_b128 v[17:20], v15 offset:14816
	v_cmp_gt_u32_e64 s[8:9], 2, v1
	s_waitcnt lgkmcnt(0)
	v_mul_f64 v[21:22], v[13:14], v[19:20]
	v_mul_f64 v[19:20], v[11:12], v[19:20]
	v_fma_f64 v[11:12], v[11:12], v[17:18], -v[21:22]
	v_fma_f64 v[13:14], v[13:14], v[17:18], v[19:20]
	v_add_f64 v[11:12], v[11:12], 0
	v_add_f64 v[13:14], v[13:14], 0
	s_and_saveexec_b64 s[12:13], s[8:9]
	s_cbranch_execz .LBB83_477
; %bb.476:
	v_lshlrev_b32_e32 v21, 4, v0
	v_mov_b32_e32 v17, 0
	ds_read_b128 v[17:20], v17 offset:14800
	ds_read_b128 v[21:24], v21 offset:15328
	s_waitcnt lgkmcnt(0)
	v_mul_f64 v[25:26], v[19:20], v[23:24]
	v_mul_f64 v[23:24], v[17:18], v[23:24]
	v_fma_f64 v[17:18], v[17:18], v[21:22], -v[25:26]
	v_fma_f64 v[19:20], v[19:20], v[21:22], v[23:24]
	v_add_f64 v[11:12], v[11:12], v[17:18]
	v_add_f64 v[13:14], v[13:14], v[19:20]
.LBB83_477:
	s_or_b64 exec, exec, s[12:13]
	v_xor_b32_e32 v12, 0x80000000, v12
	v_xor_b32_e32 v14, 0x80000000, v14
.LBB83_478:
	s_or_b64 exec, exec, s[10:11]
	s_and_saveexec_b64 s[8:9], s[42:43]
	s_cbranch_execz .LBB83_480
; %bb.479:
	v_mov_b32_e32 v17, 0
	ds_read_b128 v[17:20], v17 offset:15840
	s_waitcnt lgkmcnt(0)
	v_mul_f64 v[21:22], v[13:14], v[19:20]
	v_mul_f64 v[19:20], v[11:12], v[19:20]
	v_fma_f64 v[11:12], v[11:12], v[17:18], -v[21:22]
	v_fma_f64 v[13:14], v[13:14], v[17:18], v[19:20]
	ds_write_b128 v16, v[11:14]
.LBB83_480:
	s_or_b64 exec, exec, s[8:9]
	s_waitcnt lgkmcnt(0)
	s_barrier
	s_and_saveexec_b64 s[8:9], s[24:25]
	s_load_dword s43, s[4:5], 0x6c
	v_readlane_b32 s42, v43, 0
	s_cbranch_execz .LBB83_482
; %bb.481:
	v_mov_b32_e32 v21, 0
	ds_read_b128 v[17:20], v16
	ds_read_b128 v[21:24], v21 offset:15856
	s_waitcnt lgkmcnt(0)
	v_mul_f64 v[25:26], v[19:20], v[23:24]
	v_mul_f64 v[23:24], v[17:18], v[23:24]
	v_fma_f64 v[17:18], v[17:18], v[21:22], -v[25:26]
	v_fma_f64 v[19:20], v[19:20], v[21:22], v[23:24]
	v_add_f64 v[11:12], v[11:12], v[17:18]
	v_add_f64 v[13:14], v[13:14], v[19:20]
.LBB83_482:
	s_or_b64 exec, exec, s[8:9]
	s_waitcnt lgkmcnt(0)
	s_barrier
	s_and_saveexec_b64 s[8:9], s[24:25]
	s_cbranch_execz .LBB83_484
; %bb.483:
	v_mov_b32_e32 v17, 0
	ds_read_b128 v[17:20], v17 offset:16368
	s_waitcnt lgkmcnt(0)
	v_mul_f64 v[21:22], v[13:14], v[19:20]
	v_mul_f64 v[19:20], v[11:12], v[19:20]
	v_fma_f64 v[11:12], v[11:12], v[17:18], -v[21:22]
	v_fma_f64 v[13:14], v[13:14], v[17:18], v[19:20]
	ds_write_b128 v16, v[11:14]
.LBB83_484:
	s_or_b64 exec, exec, s[8:9]
	s_waitcnt lgkmcnt(0)
	s_barrier
	s_barrier
	s_and_saveexec_b64 s[8:9], s[2:3]
; %bb.485:
	v_xor_b32_e32 v12, 0x80000000, v12
	v_xor_b32_e32 v14, 0x80000000, v14
	ds_write_b128 v15, v[11:14] offset:14816
; %bb.486:
	s_or_b64 exec, exec, s[8:9]
	s_waitcnt lgkmcnt(0)
	s_barrier
	s_barrier
	s_and_saveexec_b64 s[2:3], s[44:45]
	s_cbranch_execz .LBB83_488
; %bb.487:
	v_lshlrev_b32_e32 v15, 9, v0
	ds_read_b128 v[11:14], v15 offset:14816
	s_movk_i32 s0, 0xfe10
	v_mad_i32_i24 v16, v0, s0, v15
	s_waitcnt lgkmcnt(0)
	ds_write_b128 v16, v[11:14] offset:15808
	ds_read_b128 v[11:14], v15 offset:14832
	s_waitcnt lgkmcnt(0)
	ds_write_b128 v16, v[11:14] offset:16320
.LBB83_488:
	s_or_b64 exec, exec, s[2:3]
	s_waitcnt lgkmcnt(0)
	s_barrier
	s_and_saveexec_b64 s[2:3], vcc
	s_cbranch_execz .LBB83_490
; %bb.489:
	v_mov_b32_e32 v25, 0
	ds_read_b128 v[11:14], v25 offset:16368
	ds_read_b128 v[15:18], v25 offset:15840
	;; [unrolled: 1-line block ×3, first 2 shown]
	s_waitcnt lgkmcnt(1)
	v_mul_f64 v[23:24], v[11:12], v[17:18]
	v_mul_f64 v[17:18], v[13:14], v[17:18]
	v_fma_f64 v[13:14], v[13:14], v[15:16], v[23:24]
	v_fma_f64 v[11:12], v[11:12], v[15:16], -v[17:18]
	s_waitcnt lgkmcnt(0)
	v_mul_f64 v[15:16], v[13:14], v[21:22]
	v_mul_f64 v[17:18], v[11:12], v[21:22]
	v_fma_f64 v[11:12], v[19:20], v[11:12], -v[15:16]
	v_fma_f64 v[13:14], v[19:20], v[13:14], v[17:18]
	ds_write_b128 v25, v[11:14] offset:15856
	ds_write_b128 v25, v[11:14] offset:16352
.LBB83_490:
	s_or_b64 exec, exec, s[2:3]
.LBB83_491:
	s_load_dwordx4 s[12:15], s[4:5], 0x48
	v_cmp_le_i32_e32 vcc, s95, v0
	v_mov_b32_e32 v13, 0
	v_mov_b32_e32 v11, 0
	;; [unrolled: 1-line block ×3, first 2 shown]
	s_waitcnt lgkmcnt(0)
	s_mul_i32 s1, s13, s34
	s_mul_hi_u32 s2, s12, s34
	s_mul_i32 s0, s12, s34
	s_add_i32 s1, s2, s1
	s_lshl_b64 s[0:1], s[0:1], 4
	s_add_u32 s2, s26, s0
	s_addc_u32 s3, s27, s1
	s_lshl_b64 s[0:1], s[28:29], 4
	s_add_u32 s24, s2, s0
	s_addc_u32 s25, s3, s1
	s_and_b64 s[16:17], vcc, s[22:23]
	v_cmp_eq_u32_e64 s[2:3], 0, v2
	s_xor_b64 s[0:1], s[16:17], -1
	s_and_b64 s[0:1], s[2:3], s[0:1]
	v_mov_b32_e32 v12, 0
	v_add_u32_e32 v16, s33, v0
	s_barrier
	s_and_saveexec_b64 s[4:5], s[0:1]
	s_cbranch_execz .LBB83_493
; %bb.492:
	v_ashrrev_i32_e32 v13, 31, v16
	v_mul_lo_u32 v14, s31, v16
	v_mad_u64_u32 v[11:12], s[0:1], s30, v16, 0
	v_mul_lo_u32 v13, s30, v13
	v_add3_u32 v12, v12, v13, v14
	v_lshlrev_b64 v[11:12], 4, v[11:12]
	v_mov_b32_e32 v13, s25
	v_add_co_u32_e32 v11, vcc, s24, v11
	v_addc_co_u32_e32 v12, vcc, v13, v12, vcc
	global_load_dwordx4 v[11:14], v[11:12], off
	s_waitcnt vmcnt(0)
	v_mul_f64 v[17:18], s[36:37], v[11:12]
	v_mul_f64 v[19:20], s[36:37], v[13:14]
	v_fma_f64 v[13:14], s[38:39], v[13:14], -v[17:18]
	v_fma_f64 v[11:12], v[11:12], -s[38:39], -v[19:20]
.LBB83_493:
	s_or_b64 exec, exec, s[4:5]
	s_and_b32 s0, 0xffff, s43
	v_mad_u32_u24 v23, v2, s0, v0
	v_mov_b32_e32 v15, 0
	s_cmp_lt_i32 s6, 1
	v_cmp_eq_u32_e64 s[4:5], 0, v23
	s_cbranch_scc1 .LBB83_516
; %bb.494:
	v_ashrrev_i32_e32 v19, 31, v16
	v_mul_lo_u32 v20, s21, v16
	v_mad_u64_u32 v[17:18], s[0:1], s20, v16, 0
	v_mul_lo_u32 v19, s20, v19
	s_lshl_b64 s[8:9], s[34:35], 2
	s_add_u32 s18, s14, s8
	s_addc_u32 s19, s15, s9
	v_add3_u32 v18, v18, v19, v20
	v_cmp_gt_i32_e64 s[8:9], s40, v16
	v_lshlrev_b64 v[16:17], 4, v[17:18]
	v_mov_b32_e32 v19, 0x6000
	v_mov_b32_e32 v18, s62
	v_add_co_u32_e32 v26, vcc, s94, v16
	s_mov_b32 s0, 0
	v_cmp_gt_u32_e64 s[12:13], 32, v23
	v_lshl_add_u32 v24, v23, 4, v19
	v_lshl_or_b32 v25, v2, 4, v19
	s_add_i32 s63, s63, 1
	v_addc_co_u32_e32 v27, vcc, v18, v17, vcc
	v_mov_b32_e32 v28, -1
	s_branch .LBB83_497
.LBB83_495:                             ;   in Loop: Header=BB83_497 Depth=1
	ds_read_b128 v[29:32], v25 offset:256
	s_waitcnt vmcnt(0) lgkmcnt(0)
	v_mul_f64 v[16:17], v[20:21], v[31:32]
	v_mul_f64 v[31:32], v[18:19], v[31:32]
	v_fma_f64 v[16:17], v[18:19], v[29:30], -v[16:17]
	v_fma_f64 v[18:19], v[20:21], v[29:30], v[31:32]
	v_add_f64 v[13:14], v[13:14], v[16:17]
	v_add_f64 v[11:12], v[11:12], v[18:19]
.LBB83_496:                             ;   in Loop: Header=BB83_497 Depth=1
	s_or_b64 exec, exec, s[20:21]
	s_add_i32 s0, s0, 1
	s_cmp_eq_u32 s0, s6
	s_cbranch_scc1 .LBB83_516
.LBB83_497:                             ; =>This Loop Header: Depth=1
                                        ;     Child Loop BB83_499 Depth 2
	v_cmp_gt_i32_e32 vcc, s0, v28
	s_and_b64 s[20:21], s[4:5], vcc
	s_and_saveexec_b64 s[10:11], s[20:21]
	s_cbranch_execz .LBB83_500
; %bb.498:                              ;   in Loop: Header=BB83_497 Depth=1
	global_load_dword v28, v15, s[18:19]
	s_waitcnt vmcnt(0)
	v_cmp_le_i32_e32 vcc, s0, v28
	s_cbranch_vccnz .LBB83_500
.LBB83_499:                             ;   Parent Loop BB83_497 Depth=1
                                        ; =>  This Inner Loop Header: Depth=2
	buffer_wbinvl1_vol
	global_load_dword v28, v15, s[18:19]
	s_waitcnt vmcnt(0)
	v_cmp_gt_i32_e32 vcc, s0, v28
	s_cbranch_vccnz .LBB83_499
.LBB83_500:                             ;   in Loop: Header=BB83_497 Depth=1
	s_or_b64 exec, exec, s[10:11]
	s_sub_i32 s1, s7, s0
	s_lshl_b32 s26, s1, 5
	buffer_wbinvl1_vol
	s_barrier
	s_and_saveexec_b64 s[10:11], s[12:13]
	s_cbranch_execz .LBB83_505
; %bb.501:                              ;   in Loop: Header=BB83_497 Depth=1
	s_ashr_i32 s20, s26, 31
	v_mov_b32_e32 v17, s20
	v_or_b32_e32 v16, s26, v23
	v_cmp_le_i64_e32 vcc, s[40:41], v[16:17]
	s_and_saveexec_b64 s[20:21], vcc
	s_xor_b64 s[20:21], exec, s[20:21]
; %bb.502:                              ;   in Loop: Header=BB83_497 Depth=1
	v_mov_b32_e32 v16, v15
	v_mov_b32_e32 v17, v15
	;; [unrolled: 1-line block ×3, first 2 shown]
	ds_write_b128 v24, v[15:18]
                                        ; implicit-def: $vgpr16_vgpr17
; %bb.503:                              ;   in Loop: Header=BB83_497 Depth=1
	s_andn2_saveexec_b64 s[20:21], s[20:21]
	s_cbranch_execz .LBB83_505
; %bb.504:                              ;   in Loop: Header=BB83_497 Depth=1
	v_mul_lo_u32 v18, v17, s30
	v_mul_lo_u32 v19, v16, s31
	v_mad_u64_u32 v[16:17], s[20:21], v16, s30, 0
	v_add3_u32 v17, v17, v19, v18
	v_lshlrev_b64 v[16:17], 4, v[16:17]
	v_mov_b32_e32 v18, s25
	v_add_co_u32_e32 v16, vcc, s24, v16
	v_addc_co_u32_e32 v17, vcc, v18, v17, vcc
	global_load_dwordx4 v[16:19], v[16:17], off
	s_waitcnt vmcnt(0)
	ds_write2_b64 v24, v[16:17], v[18:19] offset1:1
.LBB83_505:                             ;   in Loop: Header=BB83_497 Depth=1
	s_or_b64 exec, exec, s[10:11]
	v_add_u32_e32 v18, s26, v2
	v_ashrrev_i32_e32 v19, 31, v18
	v_lshlrev_b64 v[16:17], 4, v[18:19]
	s_cmp_lg_u32 s1, s63
	v_add_co_u32_e32 v16, vcc, v26, v16
	s_cselect_b64 s[10:11], -1, 0
	v_addc_co_u32_e32 v17, vcc, v27, v17, vcc
	v_cmp_gt_i32_e32 vcc, s40, v18
	v_cndmask_b32_e64 v19, 0, 1, s[10:11]
	s_and_b64 s[26:27], vcc, s[8:9]
	v_cmp_ne_u32_e64 s[10:11], 1, v19
	s_waitcnt lgkmcnt(0)
	s_barrier
	s_and_saveexec_b64 s[20:21], s[26:27]
	s_cbranch_execz .LBB83_511
; %bb.506:                              ;   in Loop: Header=BB83_497 Depth=1
	v_mov_b32_e32 v20, v8
	s_and_b64 vcc, exec, s[10:11]
	v_mov_b32_e32 v19, v7
	s_cbranch_vccnz .LBB83_508
; %bb.507:                              ;   in Loop: Header=BB83_497 Depth=1
	global_load_dwordx2 v[19:20], v[16:17], off
.LBB83_508:                             ;   in Loop: Header=BB83_497 Depth=1
	v_mov_b32_e32 v22, v10
	s_and_b64 vcc, exec, s[10:11]
	v_mov_b32_e32 v21, v9
	s_cbranch_vccnz .LBB83_510
; %bb.509:                              ;   in Loop: Header=BB83_497 Depth=1
	global_load_dwordx2 v[21:22], v[16:17], off offset:8
.LBB83_510:                             ;   in Loop: Header=BB83_497 Depth=1
	ds_read_b128 v[29:32], v25
	s_waitcnt vmcnt(0) lgkmcnt(0)
	v_mul_f64 v[33:34], v[21:22], v[31:32]
	v_mul_f64 v[31:32], v[19:20], v[31:32]
	v_fma_f64 v[19:20], v[19:20], v[29:30], -v[33:34]
	v_fma_f64 v[21:22], v[21:22], v[29:30], v[31:32]
	v_add_f64 v[13:14], v[13:14], v[19:20]
	v_add_f64 v[11:12], v[11:12], v[21:22]
.LBB83_511:                             ;   in Loop: Header=BB83_497 Depth=1
	s_or_b64 exec, exec, s[20:21]
	v_add_u32_e32 v18, 16, v18
	v_cmp_gt_i32_e32 vcc, s40, v18
	s_and_b64 s[26:27], vcc, s[8:9]
	s_and_saveexec_b64 s[20:21], s[26:27]
	s_cbranch_execz .LBB83_496
; %bb.512:                              ;   in Loop: Header=BB83_497 Depth=1
	v_mov_b32_e32 v19, v4
	s_and_b64 vcc, exec, s[10:11]
	v_mov_b32_e32 v18, v3
	s_cbranch_vccnz .LBB83_514
; %bb.513:                              ;   in Loop: Header=BB83_497 Depth=1
	global_load_dwordx2 v[18:19], v[16:17], off offset:256
.LBB83_514:                             ;   in Loop: Header=BB83_497 Depth=1
	v_mov_b32_e32 v21, v6
	s_and_b64 vcc, exec, s[10:11]
	v_mov_b32_e32 v20, v5
	s_cbranch_vccnz .LBB83_495
; %bb.515:                              ;   in Loop: Header=BB83_497 Depth=1
	global_load_dwordx2 v[20:21], v[16:17], off offset:264
	s_branch .LBB83_495
.LBB83_516:
	s_xor_b64 s[4:5], s[22:23], -1
	v_lshlrev_b32_e32 v1, 4, v1
	v_mov_b32_e32 v15, v11
	v_mov_b32_e32 v16, v12
	ds_write_b128 v1, v[13:16] offset:16384
	s_waitcnt lgkmcnt(0)
	s_barrier
	s_and_saveexec_b64 s[6:7], s[2:3]
	s_cbranch_execz .LBB83_518
; %bb.517:
	v_lshlrev_b32_e32 v15, 4, v0
	ds_read_b128 v[3:6], v15 offset:16896
	ds_read_b128 v[7:10], v15 offset:17408
	s_waitcnt lgkmcnt(1)
	v_add_f64 v[3:4], v[13:14], v[3:4]
	v_add_f64 v[5:6], v[11:12], v[5:6]
	s_waitcnt lgkmcnt(0)
	v_add_f64 v[11:12], v[3:4], v[7:8]
	v_add_f64 v[13:14], v[5:6], v[9:10]
	ds_read_b128 v[3:6], v15 offset:17920
	ds_read_b128 v[7:10], v15 offset:18432
	s_waitcnt lgkmcnt(1)
	v_add_f64 v[3:4], v[11:12], v[3:4]
	v_add_f64 v[5:6], v[13:14], v[5:6]
	s_waitcnt lgkmcnt(0)
	v_add_f64 v[11:12], v[3:4], v[7:8]
	v_add_f64 v[13:14], v[5:6], v[9:10]
	;; [unrolled: 8-line block ×7, first 2 shown]
	ds_read_b128 v[3:6], v15 offset:24064
	s_waitcnt lgkmcnt(0)
	v_add_f64 v[3:4], v[7:8], v[3:4]
	v_add_f64 v[5:6], v[9:10], v[5:6]
	v_xor_b32_e32 v4, 0x80000000, v4
	v_xor_b32_e32 v6, 0x80000000, v6
	v_cndmask_b32_e64 v13, v3, 0, s[16:17]
	v_cndmask_b32_e64 v14, v4, 0, s[16:17]
	;; [unrolled: 1-line block ×4, first 2 shown]
.LBB83_518:
	s_or_b64 exec, exec, s[6:7]
	s_and_b64 vcc, exec, s[48:49]
	s_cbranch_vccnz .LBB83_527
; %bb.519:
	v_mov_b32_e32 v3, 0x6000
	v_lshl_or_b32 v7, v2, 4, v3
	s_and_saveexec_b64 s[0:1], s[2:3]
; %bb.520:
	v_lshl_add_u32 v3, v0, 4, v7
	v_mov_b32_e32 v15, v11
	v_mov_b32_e32 v16, v12
	ds_write_b128 v3, v[13:16]
; %bb.521:
	s_or_b64 exec, exec, s[0:1]
	v_mov_b32_e32 v3, 0
	v_mov_b32_e32 v5, 0
	;; [unrolled: 1-line block ×4, first 2 shown]
	v_cmp_le_u32_e32 vcc, v0, v2
	s_waitcnt lgkmcnt(0)
	s_barrier
	s_and_saveexec_b64 s[0:1], vcc
	s_cbranch_execz .LBB83_523
; %bb.522:
	ds_read_b128 v[3:6], v7
	ds_read_b128 v[15:18], v1
	s_waitcnt lgkmcnt(0)
	v_mul_f64 v[8:9], v[5:6], v[17:18]
	v_mul_f64 v[17:18], v[3:4], v[17:18]
	v_fma_f64 v[3:4], v[3:4], v[15:16], -v[8:9]
	v_fma_f64 v[5:6], v[5:6], v[15:16], v[17:18]
	v_add_f64 v[3:4], v[3:4], 0
	v_add_f64 v[5:6], v[5:6], 0
.LBB83_523:
	s_or_b64 exec, exec, s[0:1]
	v_add_u32_e32 v2, 16, v2
	v_add_u32_e32 v8, 0x4000, v1
	v_cmp_le_u32_e32 vcc, v0, v2
	s_and_saveexec_b64 s[0:1], vcc
	s_cbranch_execz .LBB83_525
; %bb.524:
	ds_read_b128 v[15:18], v7 offset:256
	ds_read_b128 v[19:22], v1 offset:8192
	s_waitcnt lgkmcnt(0)
	v_mul_f64 v[1:2], v[17:18], v[21:22]
	v_mul_f64 v[9:10], v[15:16], v[21:22]
	v_fma_f64 v[1:2], v[15:16], v[19:20], -v[1:2]
	v_fma_f64 v[9:10], v[17:18], v[19:20], v[9:10]
	v_add_f64 v[3:4], v[3:4], v[1:2]
	v_add_f64 v[5:6], v[5:6], v[9:10]
.LBB83_525:
	s_or_b64 exec, exec, s[0:1]
	s_mov_b64 s[6:7], 0
	s_mov_b64 s[0:1], 0
	ds_write_b128 v8, v[3:6]
	s_waitcnt lgkmcnt(0)
	s_barrier
                                        ; implicit-def: $vgpr1_vgpr2
                                        ; implicit-def: $vgpr7_vgpr8
	s_and_saveexec_b64 s[8:9], s[2:3]
	s_cbranch_execz .LBB83_546
; %bb.526:
	v_lshlrev_b32_e32 v19, 4, v0
	ds_read_b128 v[7:10], v19 offset:16896
	ds_read_b128 v[15:18], v19 offset:17408
	s_mov_b64 s[0:1], exec
	s_waitcnt lgkmcnt(1)
	v_add_f64 v[1:2], v[3:4], v[7:8]
	v_add_f64 v[3:4], v[5:6], v[9:10]
	s_waitcnt lgkmcnt(0)
	v_add_f64 v[9:10], v[1:2], v[15:16]
	v_add_f64 v[15:16], v[3:4], v[17:18]
	ds_read_b128 v[1:4], v19 offset:17920
	ds_read_b128 v[5:8], v19 offset:18432
	s_waitcnt lgkmcnt(1)
	v_add_f64 v[1:2], v[9:10], v[1:2]
	v_add_f64 v[3:4], v[15:16], v[3:4]
	s_waitcnt lgkmcnt(0)
	v_add_f64 v[9:10], v[1:2], v[5:6]
	v_add_f64 v[15:16], v[3:4], v[7:8]
	ds_read_b128 v[1:4], v19 offset:18944
	ds_read_b128 v[5:8], v19 offset:19456
	;; [unrolled: 8-line block ×6, first 2 shown]
	s_waitcnt lgkmcnt(1)
	v_add_f64 v[1:2], v[9:10], v[1:2]
	v_add_f64 v[3:4], v[15:16], v[3:4]
	s_waitcnt lgkmcnt(0)
	v_add_f64 v[5:6], v[1:2], v[5:6]
	v_add_f64 v[9:10], v[3:4], v[7:8]
	ds_read_b128 v[1:4], v19 offset:24064
	s_waitcnt lgkmcnt(0)
	v_add_f64 v[7:8], v[5:6], v[1:2]
	v_add_f64 v[1:2], v[9:10], v[3:4]
	s_or_b64 exec, exec, s[8:9]
	s_and_b64 vcc, exec, s[6:7]
	s_cbranch_vccnz .LBB83_528
	s_branch .LBB83_547
.LBB83_527:
	s_mov_b64 s[0:1], 0
                                        ; implicit-def: $vgpr1_vgpr2
                                        ; implicit-def: $vgpr7_vgpr8
	s_cbranch_execz .LBB83_547
.LBB83_528:
	s_movk_i32 s6, 0x210
	v_lshlrev_b32_e32 v2, 9, v0
	v_mov_b32_e32 v3, 0x3c00
	v_mul_u32_u24_e32 v1, 0x210, v0
	v_sub_u32_e32 v2, 0, v2
	v_mad_u32_u24 v3, v0, s6, v3
	s_mov_b32 s8, 31
	s_movk_i32 s9, 0xc200
	v_mov_b32_e32 v4, 0
	s_branch .LBB83_530
.LBB83_529:                             ;   in Loop: Header=BB83_530 Depth=1
	s_or_b64 exec, exec, s[6:7]
	s_add_i32 s8, s8, -2
	s_cmp_lg_u32 s10, 0
	v_add_u32_e32 v2, 0xfffffc00, v2
	s_barrier
	s_cbranch_scc0 .LBB83_538
.LBB83_530:                             ; =>This Inner Loop Header: Depth=1
	v_cmp_eq_u32_e32 vcc, s9, v2
	s_and_b64 s[10:11], s[2:3], vcc
	s_and_saveexec_b64 s[6:7], s[10:11]
	s_cbranch_execz .LBB83_532
; %bb.531:                              ;   in Loop: Header=BB83_530 Depth=1
	ds_read_b128 v[5:8], v1
	s_waitcnt lgkmcnt(0)
	v_mul_f64 v[9:10], v[11:12], v[7:8]
	v_mul_f64 v[7:8], v[13:14], v[7:8]
	v_fma_f64 v[9:10], v[13:14], v[5:6], -v[9:10]
	v_fma_f64 v[11:12], v[11:12], v[5:6], v[7:8]
	v_mov_b32_e32 v14, v10
	v_mov_b32_e32 v13, v9
	ds_write_b128 v4, v[9:12] offset:25088
.LBB83_532:                             ;   in Loop: Header=BB83_530 Depth=1
	s_or_b64 exec, exec, s[6:7]
	v_cmp_gt_u32_e32 vcc, s8, v0
	s_and_b64 s[10:11], s[2:3], vcc
	v_add_u32_e32 v5, v3, v2
	s_waitcnt lgkmcnt(0)
	s_barrier
	s_and_saveexec_b64 s[6:7], s[10:11]
	s_cbranch_execz .LBB83_534
; %bb.533:                              ;   in Loop: Header=BB83_530 Depth=1
	ds_read_b128 v[6:9], v4 offset:25088
	ds_read_b128 v[15:18], v5 offset:512
	s_waitcnt lgkmcnt(0)
	v_mul_f64 v[19:20], v[8:9], v[17:18]
	v_mul_f64 v[17:18], v[6:7], v[17:18]
	v_fma_f64 v[6:7], v[6:7], v[15:16], -v[19:20]
	v_fma_f64 v[8:9], v[8:9], v[15:16], v[17:18]
	v_add_f64 v[13:14], v[13:14], v[6:7]
	v_add_f64 v[11:12], v[11:12], v[8:9]
.LBB83_534:                             ;   in Loop: Header=BB83_530 Depth=1
	s_or_b64 exec, exec, s[6:7]
	s_add_i32 s10, s8, -1
	v_cmp_eq_u32_e32 vcc, s10, v0
	s_and_b64 s[12:13], s[2:3], vcc
	s_barrier
	s_and_saveexec_b64 s[6:7], s[12:13]
	s_cbranch_execz .LBB83_536
; %bb.535:                              ;   in Loop: Header=BB83_530 Depth=1
	ds_read_b128 v[6:9], v1
	s_waitcnt lgkmcnt(0)
	v_mul_f64 v[15:16], v[11:12], v[8:9]
	v_mul_f64 v[17:18], v[13:14], v[8:9]
	v_fma_f64 v[9:10], v[13:14], v[6:7], -v[15:16]
	v_fma_f64 v[11:12], v[11:12], v[6:7], v[17:18]
	v_mov_b32_e32 v14, v10
	v_mov_b32_e32 v13, v9
	ds_write_b128 v4, v[9:12] offset:25088
.LBB83_536:                             ;   in Loop: Header=BB83_530 Depth=1
	s_or_b64 exec, exec, s[6:7]
	v_cmp_gt_u32_e32 vcc, s10, v0
	s_and_b64 s[12:13], s[2:3], vcc
	s_waitcnt lgkmcnt(0)
	s_barrier
	s_and_saveexec_b64 s[6:7], s[12:13]
	s_cbranch_execz .LBB83_529
; %bb.537:                              ;   in Loop: Header=BB83_530 Depth=1
	ds_read_b128 v[6:9], v4 offset:25088
	ds_read_b128 v[15:18], v5
	s_waitcnt lgkmcnt(0)
	v_mul_f64 v[19:20], v[8:9], v[17:18]
	v_mul_f64 v[17:18], v[6:7], v[17:18]
	v_fma_f64 v[5:6], v[6:7], v[15:16], -v[19:20]
	v_fma_f64 v[7:8], v[8:9], v[15:16], v[17:18]
	v_add_f64 v[13:14], v[13:14], v[5:6]
	v_add_f64 v[11:12], v[11:12], v[7:8]
	s_branch .LBB83_529
.LBB83_538:
	s_mov_b64 s[6:7], -1
	s_and_b64 vcc, exec, s[4:5]
	s_cbranch_vccnz .LBB83_548
; %bb.539:
	s_andn2_b64 vcc, exec, s[6:7]
	s_cbranch_vccz .LBB83_549
.LBB83_540:
	s_and_saveexec_b64 s[2:3], s[0:1]
	s_cbranch_execz .LBB83_542
.LBB83_541:
	v_mov_b32_e32 v0, s42
	v_add_co_u32_e32 v1, vcc, s33, v23
	v_addc_co_u32_e32 v0, vcc, 0, v0, vcc
	v_mul_lo_u32 v2, v0, s30
	v_mul_lo_u32 v3, v1, s31
	v_mad_u64_u32 v[0:1], s[0:1], v1, s30, 0
	v_mov_b32_e32 v15, v11
	v_mov_b32_e32 v16, v12
	v_add3_u32 v1, v1, v3, v2
	v_lshlrev_b64 v[0:1], 4, v[0:1]
	v_mov_b32_e32 v2, s25
	v_add_co_u32_e32 v0, vcc, s24, v0
	v_addc_co_u32_e32 v1, vcc, v2, v1, vcc
	global_store_dwordx4 v[0:1], v[13:16], off
.LBB83_542:
	s_or_b64 exec, exec, s[2:3]
	v_cmp_eq_u32_e32 vcc, 0, v23
	s_waitcnt vmcnt(0)
	buffer_wbinvl1_vol
	s_barrier
	s_and_saveexec_b64 s[0:1], vcc
	s_cbranch_execz .LBB83_544
; %bb.543:
	s_lshl_b64 s[2:3], s[34:35], 2
	s_add_u32 s2, s14, s2
	s_addc_u32 s3, s15, s3
	v_mov_b32_e32 v0, 0
	global_load_dword v1, v0, s[2:3]
	s_waitcnt vmcnt(0)
	v_add_u32_e32 v1, 1, v1
	global_store_dword v0, v1, s[2:3]
.LBB83_544:
	s_or_b64 exec, exec, s[0:1]
	s_waitcnt vmcnt(0)
	buffer_wbinvl1_vol
	s_endpgm
.LBB83_545:
                                        ; implicit-def: $vgpr5_vgpr6
                                        ; implicit-def: $vgpr9_vgpr10
                                        ; implicit-def: $sgpr33
	s_cbranch_execnz .LBB83_6
	s_branch .LBB83_7
.LBB83_546:
	s_or_b64 exec, exec, s[8:9]
	s_and_b64 vcc, exec, s[6:7]
	s_cbranch_vccnz .LBB83_528
.LBB83_547:
	v_mov_b32_e32 v12, v2
	v_mov_b32_e32 v14, v8
	;; [unrolled: 1-line block ×4, first 2 shown]
	s_and_saveexec_b64 s[2:3], s[0:1]
	s_cbranch_execnz .LBB83_541
	s_branch .LBB83_542
.LBB83_548:
	s_andn2_b64 s[0:1], s[0:1], exec
	s_and_b64 s[4:5], s[2:3], exec
	s_or_b64 s[0:1], s[0:1], s[4:5]
	s_cbranch_execnz .LBB83_540
.LBB83_549:
	v_cmp_gt_i32_e32 vcc, s95, v0
	s_and_b64 s[2:3], s[2:3], vcc
	s_andn2_b64 s[0:1], s[0:1], exec
	s_and_b64 s[2:3], s[2:3], exec
	s_or_b64 s[0:1], s[0:1], s[2:3]
	s_and_saveexec_b64 s[2:3], s[0:1]
	s_cbranch_execnz .LBB83_541
	s_branch .LBB83_542
.LBB83_550:
	v_lshlrev_b32_e32 v23, 4, v22
	v_sub_u32_e32 v23, v20, v23
	v_lshl_add_u32 v27, v21, 4, v23
	ds_read_b128 v[23:26], v20 offset:16
	ds_read_b128 v[27:30], v27 offset:576
	s_waitcnt lgkmcnt(0)
	v_mul_f64 v[31:32], v[25:26], v[29:30]
	v_mul_f64 v[29:30], v[23:24], v[29:30]
	v_fma_f64 v[23:24], v[23:24], v[27:28], -v[31:32]
	v_fma_f64 v[25:26], v[25:26], v[27:28], v[29:30]
	v_add_f64 v[11:12], v[11:12], v[23:24]
	v_add_f64 v[13:14], v[13:14], v[25:26]
	s_or_b64 exec, exec, s[18:19]
	v_cmp_gt_u32_e64 s[12:13], 8, v1
	s_and_saveexec_b64 s[18:19], s[12:13]
	s_cbranch_execz .LBB83_89
.LBB83_551:
	ds_read_b128 v[23:26], v20 offset:32
	ds_read_b128 v[27:30], v18 offset:1088
	s_waitcnt lgkmcnt(0)
	v_mul_f64 v[31:32], v[25:26], v[29:30]
	v_mul_f64 v[29:30], v[23:24], v[29:30]
	v_fma_f64 v[23:24], v[23:24], v[27:28], -v[31:32]
	v_fma_f64 v[25:26], v[25:26], v[27:28], v[29:30]
	v_add_f64 v[11:12], v[11:12], v[23:24]
	v_add_f64 v[13:14], v[13:14], v[25:26]
	s_or_b64 exec, exec, s[18:19]
	v_cmp_gt_u32_e64 s[12:13], 4, v1
	s_and_saveexec_b64 s[18:19], s[12:13]
	s_cbranch_execnz .LBB83_90
	s_branch .LBB83_91
.LBB83_552:
	v_lshlrev_b32_e32 v28, 4, v27
	v_sub_u32_e32 v28, v25, v28
	v_lshl_add_u32 v32, v26, 4, v28
	ds_read_b128 v[28:31], v25 offset:16
	ds_read_b128 v[32:35], v32 offset:640
	s_waitcnt lgkmcnt(0)
	v_mul_f64 v[36:37], v[30:31], v[34:35]
	v_mul_f64 v[34:35], v[28:29], v[34:35]
	v_fma_f64 v[28:29], v[28:29], v[32:33], -v[36:37]
	v_fma_f64 v[30:31], v[30:31], v[32:33], v[34:35]
	v_add_f64 v[11:12], v[11:12], v[28:29]
	v_add_f64 v[13:14], v[13:14], v[30:31]
	s_or_b64 exec, exec, s[60:61]
	v_cmp_gt_u32_e64 s[14:15], 48, v1
	s_and_saveexec_b64 s[60:61], s[14:15]
	s_cbranch_execz .LBB83_131
.LBB83_553:
	v_lshlrev_b32_e32 v28, 4, v27
	v_sub_u32_e32 v28, v25, v28
	v_lshl_add_u32 v32, v26, 4, v28
	ds_read_b128 v[28:31], v25 offset:32
	ds_read_b128 v[32:35], v32 offset:1152
	s_waitcnt lgkmcnt(0)
	v_mul_f64 v[36:37], v[30:31], v[34:35]
	v_mul_f64 v[34:35], v[28:29], v[34:35]
	v_fma_f64 v[28:29], v[28:29], v[32:33], -v[36:37]
	v_fma_f64 v[30:31], v[30:31], v[32:33], v[34:35]
	v_add_f64 v[11:12], v[11:12], v[28:29]
	v_add_f64 v[13:14], v[13:14], v[30:31]
	s_or_b64 exec, exec, s[60:61]
	v_cmp_gt_u32_e64 s[14:15], 40, v1
	s_and_saveexec_b64 s[60:61], s[14:15]
	s_cbranch_execz .LBB83_132
.LBB83_554:
	v_lshlrev_b32_e32 v28, 4, v27
	v_sub_u32_e32 v28, v25, v28
	v_lshl_add_u32 v32, v26, 4, v28
	ds_read_b128 v[28:31], v25 offset:48
	ds_read_b128 v[32:35], v32 offset:1664
	s_waitcnt lgkmcnt(0)
	v_mul_f64 v[36:37], v[30:31], v[34:35]
	v_mul_f64 v[34:35], v[28:29], v[34:35]
	v_fma_f64 v[28:29], v[28:29], v[32:33], -v[36:37]
	v_fma_f64 v[30:31], v[30:31], v[32:33], v[34:35]
	v_add_f64 v[11:12], v[11:12], v[28:29]
	v_add_f64 v[13:14], v[13:14], v[30:31]
	s_or_b64 exec, exec, s[60:61]
	v_cmp_gt_u32_e64 s[14:15], 32, v1
	s_and_saveexec_b64 s[60:61], s[14:15]
	s_cbranch_execz .LBB83_133
.LBB83_555:
	ds_read_b128 v[28:31], v25 offset:64
	ds_read_b128 v[32:35], v23 offset:2176
	s_waitcnt lgkmcnt(0)
	v_mul_f64 v[36:37], v[30:31], v[34:35]
	v_mul_f64 v[34:35], v[28:29], v[34:35]
	v_fma_f64 v[28:29], v[28:29], v[32:33], -v[36:37]
	v_fma_f64 v[30:31], v[30:31], v[32:33], v[34:35]
	v_add_f64 v[11:12], v[11:12], v[28:29]
	v_add_f64 v[13:14], v[13:14], v[30:31]
	s_or_b64 exec, exec, s[60:61]
	v_cmp_gt_u32_e64 s[14:15], 24, v1
	s_and_saveexec_b64 s[60:61], s[14:15]
	s_cbranch_execz .LBB83_134
.LBB83_556:
	v_lshlrev_b32_e32 v28, 4, v27
	v_sub_u32_e32 v28, v25, v28
	v_lshl_add_u32 v32, v26, 4, v28
	ds_read_b128 v[28:31], v25 offset:80
	ds_read_b128 v[32:35], v32 offset:2688
	s_waitcnt lgkmcnt(0)
	v_mul_f64 v[36:37], v[30:31], v[34:35]
	v_mul_f64 v[34:35], v[28:29], v[34:35]
	v_fma_f64 v[28:29], v[28:29], v[32:33], -v[36:37]
	v_fma_f64 v[30:31], v[30:31], v[32:33], v[34:35]
	v_add_f64 v[11:12], v[11:12], v[28:29]
	v_add_f64 v[13:14], v[13:14], v[30:31]
	s_or_b64 exec, exec, s[60:61]
	v_cmp_gt_u32_e64 s[14:15], 16, v1
	s_and_saveexec_b64 s[60:61], s[14:15]
	s_cbranch_execz .LBB83_135
.LBB83_557:
	ds_read_b128 v[28:31], v25 offset:96
	ds_read_b128 v[32:35], v23 offset:3200
	s_waitcnt lgkmcnt(0)
	v_mul_f64 v[36:37], v[30:31], v[34:35]
	v_mul_f64 v[34:35], v[28:29], v[34:35]
	v_fma_f64 v[28:29], v[28:29], v[32:33], -v[36:37]
	v_fma_f64 v[30:31], v[30:31], v[32:33], v[34:35]
	v_add_f64 v[11:12], v[11:12], v[28:29]
	v_add_f64 v[13:14], v[13:14], v[30:31]
	s_or_b64 exec, exec, s[60:61]
	v_cmp_gt_u32_e64 s[14:15], 8, v1
	s_and_saveexec_b64 s[60:61], s[14:15]
	s_cbranch_execnz .LBB83_136
	s_branch .LBB83_137
.LBB83_558:
	v_lshlrev_b32_e32 v29, 4, v22
	v_sub_u32_e32 v29, v28, v29
	v_lshl_add_u32 v33, v21, 4, v29
	ds_read_b128 v[29:32], v28 offset:4240
	ds_read_b128 v[33:36], v33 offset:4800
	s_waitcnt lgkmcnt(0)
	v_mul_f64 v[37:38], v[31:32], v[35:36]
	v_mul_f64 v[35:36], v[29:30], v[35:36]
	v_fma_f64 v[29:30], v[29:30], v[33:34], -v[37:38]
	v_fma_f64 v[31:32], v[31:32], v[33:34], v[35:36]
	v_add_f64 v[11:12], v[11:12], v[29:30]
	v_add_f64 v[13:14], v[13:14], v[31:32]
	s_or_b64 exec, exec, s[18:19]
	v_cmp_gt_u32_e64 s[12:13], 8, v1
	s_and_saveexec_b64 s[18:19], s[12:13]
	s_cbranch_execz .LBB83_193
.LBB83_559:
	ds_read_b128 v[28:31], v28 offset:4256
	ds_read_b128 v[32:35], v18 offset:5312
	s_waitcnt lgkmcnt(0)
	v_mul_f64 v[36:37], v[30:31], v[34:35]
	v_mul_f64 v[34:35], v[28:29], v[34:35]
	v_fma_f64 v[28:29], v[28:29], v[32:33], -v[36:37]
	v_fma_f64 v[30:31], v[30:31], v[32:33], v[34:35]
	v_add_f64 v[11:12], v[11:12], v[28:29]
	v_add_f64 v[13:14], v[13:14], v[30:31]
	s_or_b64 exec, exec, s[18:19]
	v_cmp_gt_u32_e64 s[12:13], 4, v1
	s_and_saveexec_b64 s[18:19], s[12:13]
	s_cbranch_execnz .LBB83_194
	s_branch .LBB83_195
.LBB83_560:
	ds_read_b128 v[33:36], v32 offset:176
	ds_read_b128 v[37:40], v28 offset:5888
	s_waitcnt lgkmcnt(0)
	v_mul_f64 v[41:42], v[35:36], v[39:40]
	v_mul_f64 v[39:40], v[33:34], v[39:40]
	v_fma_f64 v[33:34], v[33:34], v[37:38], -v[41:42]
	v_fma_f64 v[35:36], v[35:36], v[37:38], v[39:40]
	v_add_f64 v[11:12], v[11:12], v[33:34]
	v_add_f64 v[13:14], v[13:14], v[35:36]
	s_or_b64 exec, exec, s[92:93]
	v_cmp_gt_u32_e64 s[18:19], 64, v1
	s_and_saveexec_b64 s[92:93], s[18:19]
	s_cbranch_execz .LBB83_255
.LBB83_561:
	ds_read_b128 v[33:36], v32 offset:192
	ds_read_b128 v[37:40], v28 offset:6400
	s_waitcnt lgkmcnt(0)
	v_mul_f64 v[41:42], v[35:36], v[39:40]
	v_mul_f64 v[39:40], v[33:34], v[39:40]
	v_fma_f64 v[33:34], v[33:34], v[37:38], -v[41:42]
	v_fma_f64 v[35:36], v[35:36], v[37:38], v[39:40]
	v_add_f64 v[11:12], v[11:12], v[33:34]
	v_add_f64 v[13:14], v[13:14], v[35:36]
	s_or_b64 exec, exec, s[92:93]
	v_cmp_gt_u32_e64 s[18:19], 48, v1
	s_and_saveexec_b64 s[92:93], s[18:19]
	s_cbranch_execz .LBB83_256
.LBB83_562:
	ds_read_b128 v[33:36], v32 offset:208
	ds_read_b128 v[37:40], v28 offset:6912
	s_waitcnt lgkmcnt(0)
	v_mul_f64 v[41:42], v[35:36], v[39:40]
	v_mul_f64 v[39:40], v[33:34], v[39:40]
	v_fma_f64 v[33:34], v[33:34], v[37:38], -v[41:42]
	v_fma_f64 v[35:36], v[35:36], v[37:38], v[39:40]
	v_add_f64 v[11:12], v[11:12], v[33:34]
	v_add_f64 v[13:14], v[13:14], v[35:36]
	s_or_b64 exec, exec, s[92:93]
	v_cmp_gt_u32_e64 s[18:19], 32, v1
	s_and_saveexec_b64 s[92:93], s[18:19]
	s_cbranch_execz .LBB83_257
.LBB83_563:
	ds_read_b128 v[32:35], v32 offset:224
	ds_read_b128 v[36:39], v28 offset:7424
	s_waitcnt lgkmcnt(0)
	v_mul_f64 v[40:41], v[34:35], v[38:39]
	v_mul_f64 v[38:39], v[32:33], v[38:39]
	v_fma_f64 v[32:33], v[32:33], v[36:37], -v[40:41]
	v_fma_f64 v[34:35], v[34:35], v[36:37], v[38:39]
	v_add_f64 v[11:12], v[11:12], v[32:33]
	v_add_f64 v[13:14], v[13:14], v[34:35]
	s_or_b64 exec, exec, s[92:93]
	v_cmp_gt_u32_e64 s[18:19], 16, v1
	s_and_saveexec_b64 s[92:93], s[18:19]
	s_cbranch_execnz .LBB83_258
	s_branch .LBB83_259
.LBB83_564:
	v_lshlrev_b32_e32 v29, 4, v22
	v_sub_u32_e32 v29, v28, v29
	v_lshl_add_u32 v33, v21, 4, v29
	ds_read_b128 v[29:32], v28 offset:8464
	ds_read_b128 v[33:36], v33 offset:9024
	s_waitcnt lgkmcnt(0)
	v_mul_f64 v[37:38], v[31:32], v[35:36]
	v_mul_f64 v[35:36], v[29:30], v[35:36]
	v_fma_f64 v[29:30], v[29:30], v[33:34], -v[37:38]
	v_fma_f64 v[31:32], v[31:32], v[33:34], v[35:36]
	v_add_f64 v[11:12], v[11:12], v[29:30]
	v_add_f64 v[13:14], v[13:14], v[31:32]
	s_or_b64 exec, exec, s[14:15]
	v_cmp_gt_u32_e64 s[10:11], 8, v1
	s_and_saveexec_b64 s[14:15], s[10:11]
	s_cbranch_execz .LBB83_347
.LBB83_565:
	ds_read_b128 v[28:31], v28 offset:8480
	ds_read_b128 v[32:35], v18 offset:9536
	s_waitcnt lgkmcnt(0)
	v_mul_f64 v[36:37], v[30:31], v[34:35]
	v_mul_f64 v[34:35], v[28:29], v[34:35]
	v_fma_f64 v[28:29], v[28:29], v[32:33], -v[36:37]
	v_fma_f64 v[30:31], v[30:31], v[32:33], v[34:35]
	v_add_f64 v[11:12], v[11:12], v[28:29]
	v_add_f64 v[13:14], v[13:14], v[30:31]
	s_or_b64 exec, exec, s[14:15]
	v_cmp_gt_u32_e64 s[10:11], 4, v1
	s_and_saveexec_b64 s[14:15], s[10:11]
	s_cbranch_execnz .LBB83_348
	s_branch .LBB83_349
.LBB83_566:
	v_lshlrev_b32_e32 v29, 4, v27
	v_sub_u32_e32 v29, v28, v29
	v_lshl_add_u32 v33, v26, 4, v29
	ds_read_b128 v[29:32], v28 offset:8464
	ds_read_b128 v[33:36], v33 offset:9088
	s_waitcnt lgkmcnt(0)
	v_mul_f64 v[37:38], v[31:32], v[35:36]
	v_mul_f64 v[35:36], v[29:30], v[35:36]
	v_fma_f64 v[29:30], v[29:30], v[33:34], -v[37:38]
	v_fma_f64 v[31:32], v[31:32], v[33:34], v[35:36]
	v_add_f64 v[11:12], v[11:12], v[29:30]
	v_add_f64 v[13:14], v[13:14], v[31:32]
	s_or_b64 exec, exec, s[14:15]
	v_cmp_gt_u32_e64 s[10:11], 48, v1
	s_and_saveexec_b64 s[14:15], s[10:11]
	s_cbranch_execz .LBB83_389
.LBB83_567:
	v_lshlrev_b32_e32 v29, 4, v27
	v_sub_u32_e32 v29, v28, v29
	v_lshl_add_u32 v33, v26, 4, v29
	ds_read_b128 v[29:32], v28 offset:8480
	ds_read_b128 v[33:36], v33 offset:9600
	s_waitcnt lgkmcnt(0)
	v_mul_f64 v[37:38], v[31:32], v[35:36]
	v_mul_f64 v[35:36], v[29:30], v[35:36]
	v_fma_f64 v[29:30], v[29:30], v[33:34], -v[37:38]
	v_fma_f64 v[31:32], v[31:32], v[33:34], v[35:36]
	v_add_f64 v[11:12], v[11:12], v[29:30]
	v_add_f64 v[13:14], v[13:14], v[31:32]
	s_or_b64 exec, exec, s[14:15]
	v_cmp_gt_u32_e64 s[10:11], 40, v1
	s_and_saveexec_b64 s[14:15], s[10:11]
	s_cbranch_execz .LBB83_390
.LBB83_568:
	v_lshlrev_b32_e32 v29, 4, v27
	v_sub_u32_e32 v29, v28, v29
	v_lshl_add_u32 v33, v26, 4, v29
	ds_read_b128 v[29:32], v28 offset:8496
	ds_read_b128 v[33:36], v33 offset:10112
	s_waitcnt lgkmcnt(0)
	v_mul_f64 v[37:38], v[31:32], v[35:36]
	v_mul_f64 v[35:36], v[29:30], v[35:36]
	v_fma_f64 v[29:30], v[29:30], v[33:34], -v[37:38]
	v_fma_f64 v[31:32], v[31:32], v[33:34], v[35:36]
	v_add_f64 v[11:12], v[11:12], v[29:30]
	v_add_f64 v[13:14], v[13:14], v[31:32]
	s_or_b64 exec, exec, s[14:15]
	v_cmp_gt_u32_e64 s[10:11], 32, v1
	s_and_saveexec_b64 s[14:15], s[10:11]
	s_cbranch_execz .LBB83_391
.LBB83_569:
	ds_read_b128 v[29:32], v28 offset:8512
	ds_read_b128 v[33:36], v23 offset:10624
	s_waitcnt lgkmcnt(0)
	v_mul_f64 v[37:38], v[31:32], v[35:36]
	v_mul_f64 v[35:36], v[29:30], v[35:36]
	v_fma_f64 v[29:30], v[29:30], v[33:34], -v[37:38]
	v_fma_f64 v[31:32], v[31:32], v[33:34], v[35:36]
	v_add_f64 v[11:12], v[11:12], v[29:30]
	v_add_f64 v[13:14], v[13:14], v[31:32]
	s_or_b64 exec, exec, s[14:15]
	v_cmp_gt_u32_e64 s[10:11], 24, v1
	s_and_saveexec_b64 s[14:15], s[10:11]
	s_cbranch_execz .LBB83_392
.LBB83_570:
	v_lshlrev_b32_e32 v27, 4, v27
	v_sub_u32_e32 v27, v28, v27
	v_lshl_add_u32 v26, v26, 4, v27
	ds_read_b128 v[29:32], v28 offset:8528
	ds_read_b128 v[33:36], v26 offset:11136
	s_waitcnt lgkmcnt(0)
	v_mul_f64 v[26:27], v[31:32], v[35:36]
	v_mul_f64 v[35:36], v[29:30], v[35:36]
	v_fma_f64 v[26:27], v[29:30], v[33:34], -v[26:27]
	v_fma_f64 v[29:30], v[31:32], v[33:34], v[35:36]
	v_add_f64 v[11:12], v[11:12], v[26:27]
	v_add_f64 v[13:14], v[13:14], v[29:30]
	s_or_b64 exec, exec, s[14:15]
	v_cmp_gt_u32_e64 s[10:11], 16, v1
	s_and_saveexec_b64 s[14:15], s[10:11]
	s_cbranch_execz .LBB83_393
.LBB83_571:
	ds_read_b128 v[26:29], v28 offset:8544
	ds_read_b128 v[30:33], v23 offset:11648
	s_waitcnt lgkmcnt(0)
	v_mul_f64 v[34:35], v[28:29], v[32:33]
	v_mul_f64 v[32:33], v[26:27], v[32:33]
	v_fma_f64 v[26:27], v[26:27], v[30:31], -v[34:35]
	v_fma_f64 v[28:29], v[28:29], v[30:31], v[32:33]
	v_add_f64 v[11:12], v[11:12], v[26:27]
	v_add_f64 v[13:14], v[13:14], v[28:29]
	s_or_b64 exec, exec, s[14:15]
	v_cmp_gt_u32_e64 s[10:11], 8, v1
	s_and_saveexec_b64 s[14:15], s[10:11]
	s_cbranch_execnz .LBB83_394
	s_branch .LBB83_395
.LBB83_572:
	v_lshlrev_b32_e32 v22, 4, v22
	v_sub_u32_e32 v22, v23, v22
	v_lshl_add_u32 v21, v21, 4, v22
	ds_read_b128 v[24:27], v23 offset:12688
	ds_read_b128 v[28:31], v21 offset:13248
	s_waitcnt lgkmcnt(0)
	v_mul_f64 v[21:22], v[26:27], v[30:31]
	v_mul_f64 v[30:31], v[24:25], v[30:31]
	v_fma_f64 v[21:22], v[24:25], v[28:29], -v[21:22]
	v_fma_f64 v[24:25], v[26:27], v[28:29], v[30:31]
	v_add_f64 v[11:12], v[11:12], v[21:22]
	v_add_f64 v[13:14], v[13:14], v[24:25]
	s_or_b64 exec, exec, s[12:13]
	v_cmp_gt_u32_e64 s[8:9], 8, v1
	s_and_saveexec_b64 s[12:13], s[8:9]
	s_cbranch_execz .LBB83_451
.LBB83_573:
	ds_read_b128 v[21:24], v23 offset:12704
	ds_read_b128 v[25:28], v18 offset:13760
	s_waitcnt lgkmcnt(0)
	v_mul_f64 v[29:30], v[23:24], v[27:28]
	v_mul_f64 v[27:28], v[21:22], v[27:28]
	v_fma_f64 v[21:22], v[21:22], v[25:26], -v[29:30]
	v_fma_f64 v[23:24], v[23:24], v[25:26], v[27:28]
	v_add_f64 v[11:12], v[11:12], v[21:22]
	v_add_f64 v[13:14], v[13:14], v[23:24]
	s_or_b64 exec, exec, s[12:13]
	v_cmp_gt_u32_e64 s[8:9], 4, v1
	s_and_saveexec_b64 s[12:13], s[8:9]
	s_cbranch_execnz .LBB83_452
	s_branch .LBB83_453
	.section	.rodata,"a",@progbits
	.p2align	6, 0x0
	.amdhsa_kernel _ZL19rocblas_trsv_deviceILi32ELi16ELb1ELb1ELb0ELb0E19rocblas_complex_numIdEPKS1_S3_PS1_EviT7_lllT6_T8_lllPii
		.amdhsa_group_segment_fixed_size 25104
		.amdhsa_private_segment_fixed_size 0
		.amdhsa_kernarg_size 352
		.amdhsa_user_sgpr_count 6
		.amdhsa_user_sgpr_private_segment_buffer 1
		.amdhsa_user_sgpr_dispatch_ptr 0
		.amdhsa_user_sgpr_queue_ptr 0
		.amdhsa_user_sgpr_kernarg_segment_ptr 1
		.amdhsa_user_sgpr_dispatch_id 0
		.amdhsa_user_sgpr_flat_scratch_init 0
		.amdhsa_user_sgpr_private_segment_size 0
		.amdhsa_uses_dynamic_stack 0
		.amdhsa_system_sgpr_private_segment_wavefront_offset 0
		.amdhsa_system_sgpr_workgroup_id_x 1
		.amdhsa_system_sgpr_workgroup_id_y 0
		.amdhsa_system_sgpr_workgroup_id_z 1
		.amdhsa_system_sgpr_workgroup_info 0
		.amdhsa_system_vgpr_workitem_id 1
		.amdhsa_next_free_vgpr 49
		.amdhsa_next_free_sgpr 98
		.amdhsa_reserve_vcc 1
		.amdhsa_reserve_flat_scratch 0
		.amdhsa_float_round_mode_32 0
		.amdhsa_float_round_mode_16_64 0
		.amdhsa_float_denorm_mode_32 3
		.amdhsa_float_denorm_mode_16_64 3
		.amdhsa_dx10_clamp 1
		.amdhsa_ieee_mode 1
		.amdhsa_fp16_overflow 0
		.amdhsa_exception_fp_ieee_invalid_op 0
		.amdhsa_exception_fp_denorm_src 0
		.amdhsa_exception_fp_ieee_div_zero 0
		.amdhsa_exception_fp_ieee_overflow 0
		.amdhsa_exception_fp_ieee_underflow 0
		.amdhsa_exception_fp_ieee_inexact 0
		.amdhsa_exception_int_div_zero 0
	.end_amdhsa_kernel
	.section	.text._ZL19rocblas_trsv_deviceILi32ELi16ELb1ELb1ELb0ELb0E19rocblas_complex_numIdEPKS1_S3_PS1_EviT7_lllT6_T8_lllPii,"axG",@progbits,_ZL19rocblas_trsv_deviceILi32ELi16ELb1ELb1ELb0ELb0E19rocblas_complex_numIdEPKS1_S3_PS1_EviT7_lllT6_T8_lllPii,comdat
.Lfunc_end83:
	.size	_ZL19rocblas_trsv_deviceILi32ELi16ELb1ELb1ELb0ELb0E19rocblas_complex_numIdEPKS1_S3_PS1_EviT7_lllT6_T8_lllPii, .Lfunc_end83-_ZL19rocblas_trsv_deviceILi32ELi16ELb1ELb1ELb0ELb0E19rocblas_complex_numIdEPKS1_S3_PS1_EviT7_lllT6_T8_lllPii
                                        ; -- End function
	.set _ZL19rocblas_trsv_deviceILi32ELi16ELb1ELb1ELb0ELb0E19rocblas_complex_numIdEPKS1_S3_PS1_EviT7_lllT6_T8_lllPii.num_vgpr, 44
	.set _ZL19rocblas_trsv_deviceILi32ELi16ELb1ELb1ELb0ELb0E19rocblas_complex_numIdEPKS1_S3_PS1_EviT7_lllT6_T8_lllPii.num_agpr, 0
	.set _ZL19rocblas_trsv_deviceILi32ELi16ELb1ELb1ELb0ELb0E19rocblas_complex_numIdEPKS1_S3_PS1_EviT7_lllT6_T8_lllPii.numbered_sgpr, 96
	.set _ZL19rocblas_trsv_deviceILi32ELi16ELb1ELb1ELb0ELb0E19rocblas_complex_numIdEPKS1_S3_PS1_EviT7_lllT6_T8_lllPii.num_named_barrier, 0
	.set _ZL19rocblas_trsv_deviceILi32ELi16ELb1ELb1ELb0ELb0E19rocblas_complex_numIdEPKS1_S3_PS1_EviT7_lllT6_T8_lllPii.private_seg_size, 0
	.set _ZL19rocblas_trsv_deviceILi32ELi16ELb1ELb1ELb0ELb0E19rocblas_complex_numIdEPKS1_S3_PS1_EviT7_lllT6_T8_lllPii.uses_vcc, 1
	.set _ZL19rocblas_trsv_deviceILi32ELi16ELb1ELb1ELb0ELb0E19rocblas_complex_numIdEPKS1_S3_PS1_EviT7_lllT6_T8_lllPii.uses_flat_scratch, 0
	.set _ZL19rocblas_trsv_deviceILi32ELi16ELb1ELb1ELb0ELb0E19rocblas_complex_numIdEPKS1_S3_PS1_EviT7_lllT6_T8_lllPii.has_dyn_sized_stack, 0
	.set _ZL19rocblas_trsv_deviceILi32ELi16ELb1ELb1ELb0ELb0E19rocblas_complex_numIdEPKS1_S3_PS1_EviT7_lllT6_T8_lllPii.has_recursion, 0
	.set _ZL19rocblas_trsv_deviceILi32ELi16ELb1ELb1ELb0ELb0E19rocblas_complex_numIdEPKS1_S3_PS1_EviT7_lllT6_T8_lllPii.has_indirect_call, 0
	.section	.AMDGPU.csdata,"",@progbits
; Kernel info:
; codeLenInByte = 27828
; TotalNumSgprs: 100
; NumVgprs: 44
; ScratchSize: 0
; MemoryBound: 1
; FloatMode: 240
; IeeeMode: 1
; LDSByteSize: 25104 bytes/workgroup (compile time only)
; SGPRBlocks: 12
; VGPRBlocks: 12
; NumSGPRsForWavesPerEU: 102
; NumVGPRsForWavesPerEU: 49
; Occupancy: 4
; WaveLimiterHint : 0
; COMPUTE_PGM_RSRC2:SCRATCH_EN: 0
; COMPUTE_PGM_RSRC2:USER_SGPR: 6
; COMPUTE_PGM_RSRC2:TRAP_HANDLER: 0
; COMPUTE_PGM_RSRC2:TGID_X_EN: 1
; COMPUTE_PGM_RSRC2:TGID_Y_EN: 0
; COMPUTE_PGM_RSRC2:TGID_Z_EN: 1
; COMPUTE_PGM_RSRC2:TIDIG_COMP_CNT: 1
	.section	.text._ZL19rocblas_trsv_deviceILi32ELi16ELb1ELb1ELb1ELb0E19rocblas_complex_numIdEPKS1_S3_PS1_EviT7_lllT6_T8_lllPii,"axG",@progbits,_ZL19rocblas_trsv_deviceILi32ELi16ELb1ELb1ELb1ELb0E19rocblas_complex_numIdEPKS1_S3_PS1_EviT7_lllT6_T8_lllPii,comdat
	.globl	_ZL19rocblas_trsv_deviceILi32ELi16ELb1ELb1ELb1ELb0E19rocblas_complex_numIdEPKS1_S3_PS1_EviT7_lllT6_T8_lllPii ; -- Begin function _ZL19rocblas_trsv_deviceILi32ELi16ELb1ELb1ELb1ELb0E19rocblas_complex_numIdEPKS1_S3_PS1_EviT7_lllT6_T8_lllPii
	.p2align	8
	.type	_ZL19rocblas_trsv_deviceILi32ELi16ELb1ELb1ELb1ELb0E19rocblas_complex_numIdEPKS1_S3_PS1_EviT7_lllT6_T8_lllPii,@function
_ZL19rocblas_trsv_deviceILi32ELi16ELb1ELb1ELb1ELb0E19rocblas_complex_numIdEPKS1_S3_PS1_EviT7_lllT6_T8_lllPii: ; @_ZL19rocblas_trsv_deviceILi32ELi16ELb1ELb1ELb1ELb0E19rocblas_complex_numIdEPKS1_S3_PS1_EviT7_lllT6_T8_lllPii
; %bb.0:
	s_load_dwordx16 s[16:31], s[4:5], 0x8
	s_load_dword s40, s[4:5], 0x0
	s_mov_b32 s34, s7
	v_mov_b32_e32 v2, v1
	s_mov_b32 s35, 0
	s_waitcnt lgkmcnt(0)
	s_mul_i32 s0, s23, s7
	s_mul_hi_u32 s1, s22, s7
	s_add_i32 s1, s1, s0
	s_mul_i32 s0, s22, s7
	s_load_dword s7, s[4:5], 0x60
	s_lshl_b64 s[0:1], s[0:1], 4
	s_add_u32 s2, s16, s0
	s_addc_u32 s3, s17, s1
	s_lshl_b64 s[0:1], s[18:19], 4
	s_load_dwordx4 s[36:39], s[24:25], 0x0
	s_load_dword s43, s[4:5], 0x6c
	s_add_u32 s94, s2, s0
	s_addc_u32 s62, s3, s1
	s_waitcnt lgkmcnt(0)
	s_add_i32 s7, s7, -1
	s_sub_i32 s63, s7, s6
	s_cmp_lg_u32 s6, 0
	s_cbranch_scc0 .LBB84_545
; %bb.1:
	s_lshl_b32 s33, s63, 5
	v_add_u32_e32 v1, s33, v0
	v_ashrrev_i32_e32 v3, 31, v1
	v_mul_lo_u32 v7, s20, v3
	v_mul_lo_u32 v8, s21, v1
	v_mad_u64_u32 v[5:6], s[0:1], s20, v1, 0
	v_add3_u32 v3, v2, s33, 32
	v_ashrrev_i32_e32 v4, 31, v3
	v_add3_u32 v6, v6, v7, v8
	v_lshlrev_b64 v[5:6], 4, v[5:6]
	v_cmp_gt_i32_e32 vcc, s40, v1
	v_mov_b32_e32 v1, s62
	v_add_co_u32_e64 v7, s[0:1], s94, v5
	v_lshlrev_b64 v[4:5], 4, v[3:4]
	v_addc_co_u32_e64 v1, s[0:1], v1, v6, s[0:1]
	v_add_co_u32_e64 v11, s[0:1], v7, v4
	v_addc_co_u32_e64 v12, s[0:1], v1, v5, s[0:1]
	v_cmp_gt_i32_e64 s[0:1], s40, v3
	v_mov_b32_e32 v5, 0
	v_mov_b32_e32 v7, 0
	;; [unrolled: 1-line block ×6, first 2 shown]
	s_and_b64 s[2:3], s[0:1], vcc
	s_barrier
	s_and_saveexec_b64 s[0:1], s[2:3]
	s_cbranch_execz .LBB84_3
; %bb.2:
	global_load_dwordx4 v[7:10], v[11:12], off
.LBB84_3:
	s_or_b64 exec, exec, s[0:1]
	v_add_u32_e32 v1, 16, v3
	v_cmp_gt_i32_e64 s[0:1], s40, v1
	v_mov_b32_e32 v3, 0
	v_mov_b32_e32 v4, 0
	s_and_b64 s[2:3], s[0:1], vcc
	s_waitcnt vmcnt(0)
	s_barrier
	s_and_saveexec_b64 s[0:1], s[2:3]
	s_cbranch_execz .LBB84_5
; %bb.4:
	global_load_dwordx4 v[3:6], v[11:12], off offset:256
.LBB84_5:
	s_or_b64 exec, exec, s[0:1]
	s_branch .LBB84_7
.LBB84_6:
	s_lshl_b32 s33, s63, 5
                                        ; implicit-def: $vgpr7_vgpr8
                                        ; implicit-def: $vgpr3_vgpr4
.LBB84_7:
	s_ashr_i32 s41, s40, 31
	s_lshr_b32 s0, s41, 27
	s_add_i32 s0, s40, s0
	s_andn2_b32 s0, s0, 31
	s_sub_i32 s95, s40, s0
	s_add_i32 s0, s40, -1
	s_ashr_i32 s1, s0, 31
	s_lshr_b32 s1, s1, 27
	s_add_i32 s0, s0, s1
	s_ashr_i32 s0, s0, 5
	s_cmp_eq_u32 s0, s63
	s_cselect_b64 s[0:1], -1, 0
	s_cmp_lg_u32 s95, 0
	s_cselect_b64 s[2:3], -1, 0
	s_and_b64 s[22:23], s[2:3], s[0:1]
	s_cmp_lt_i32 s6, 5
	s_cselect_b64 s[2:3], -1, 0
	s_or_b64 s[0:1], s[2:3], s[22:23]
	s_ashr_i32 s42, s33, 31
	s_add_u32 s10, s20, 1
	v_mov_b32_e32 v1, 0
	v_mov_b32_e32 v11, s33
	v_mad_u64_u32 v[19:20], s[8:9], s10, v11, v[0:1]
	s_addc_u32 s11, s21, 0
	s_mul_i32 s8, s10, s42
	s_mul_i32 s11, s11, s33
	v_lshlrev_b32_e32 v21, 5, v0
	s_add_i32 s8, s8, s11
	s_mov_b64 s[12:13], -1
	v_add_u32_e32 v20, s8, v20
	s_and_b64 vcc, exec, s[22:23]
	v_add_u32_e32 v22, v2, v21
	v_cmp_le_u32_e64 s[8:9], v0, v2
	v_lshl_add_u32 v1, v2, 5, v0
	s_cbranch_vccnz .LBB84_37
; %bb.8:
	v_mad_u64_u32 v[11:12], s[10:11], s20, v2, v[19:20]
	v_cndmask_b32_e64 v23, v1, v22, s[2:3]
	v_mad_u64_u32 v[12:13], s[10:11], s21, v2, v[12:13]
	s_and_saveexec_b64 s[2:3], s[8:9]
	s_xor_b64 s[2:3], exec, s[2:3]
	s_cbranch_execz .LBB84_20
; %bb.9:
	v_cmp_ne_u32_e32 vcc, v0, v2
	s_and_saveexec_b64 s[8:9], vcc
	s_xor_b64 s[8:9], exec, s[8:9]
	s_cbranch_execz .LBB84_13
; %bb.10:
	v_or_b32_e32 v11, v2, v0
	v_cmp_gt_u32_e32 vcc, 32, v11
	s_and_saveexec_b64 s[10:11], vcc
	s_cbranch_execz .LBB84_12
; %bb.11:
	v_mov_b32_e32 v11, 0
	v_lshlrev_b32_e32 v15, 4, v23
	v_mov_b32_e32 v12, v11
	v_mov_b32_e32 v13, v11
	v_mov_b32_e32 v14, v11
	ds_write_b128 v15, v[11:14]
.LBB84_12:
	s_or_b64 exec, exec, s[10:11]
                                        ; implicit-def: $vgpr23
                                        ; implicit-def: $vgpr11_vgpr12
.LBB84_13:
	s_andn2_saveexec_b64 s[8:9], s[8:9]
	s_cbranch_execz .LBB84_19
; %bb.14:
	v_lshlrev_b64 v[11:12], 4, v[11:12]
	v_mov_b32_e32 v13, s62
	v_add_co_u32_e32 v11, vcc, s94, v11
	v_addc_co_u32_e32 v12, vcc, v13, v12, vcc
	global_load_dwordx4 v[11:14], v[11:12], off
                                        ; implicit-def: $vgpr15_vgpr16
	s_waitcnt vmcnt(0)
	v_cmp_ngt_f64_e64 s[10:11], |v[11:12]|, |v[13:14]|
	s_and_saveexec_b64 s[12:13], s[10:11]
	s_xor_b64 s[10:11], exec, s[12:13]
	s_cbranch_execz .LBB84_16
; %bb.15:
	v_div_scale_f64 v[15:16], s[12:13], -v[13:14], -v[13:14], v[11:12]
	v_rcp_f64_e32 v[17:18], v[15:16]
	v_fma_f64 v[24:25], -v[15:16], v[17:18], 1.0
	v_fma_f64 v[17:18], v[17:18], v[24:25], v[17:18]
	v_div_scale_f64 v[24:25], vcc, v[11:12], -v[13:14], v[11:12]
	v_fma_f64 v[26:27], -v[15:16], v[17:18], 1.0
	v_fma_f64 v[17:18], v[17:18], v[26:27], v[17:18]
	v_mul_f64 v[26:27], v[24:25], v[17:18]
	v_fma_f64 v[15:16], -v[15:16], v[26:27], v[24:25]
	v_div_fmas_f64 v[15:16], v[15:16], v[17:18], v[26:27]
	v_div_fixup_f64 v[15:16], v[15:16], -v[13:14], v[11:12]
	v_fma_f64 v[11:12], v[11:12], v[15:16], -v[13:14]
	v_div_scale_f64 v[13:14], s[12:13], v[11:12], v[11:12], 1.0
	v_div_scale_f64 v[26:27], vcc, 1.0, v[11:12], 1.0
	v_rcp_f64_e32 v[17:18], v[13:14]
	v_fma_f64 v[24:25], -v[13:14], v[17:18], 1.0
	v_fma_f64 v[17:18], v[17:18], v[24:25], v[17:18]
	v_fma_f64 v[24:25], -v[13:14], v[17:18], 1.0
	v_fma_f64 v[17:18], v[17:18], v[24:25], v[17:18]
	v_mul_f64 v[24:25], v[26:27], v[17:18]
	v_fma_f64 v[13:14], -v[13:14], v[24:25], v[26:27]
	v_div_fmas_f64 v[13:14], v[13:14], v[17:18], v[24:25]
	v_div_fixup_f64 v[17:18], v[13:14], v[11:12], 1.0
                                        ; implicit-def: $vgpr11_vgpr12
	v_mul_f64 v[15:16], v[15:16], v[17:18]
	v_xor_b32_e32 v18, 0x80000000, v18
.LBB84_16:
	s_andn2_saveexec_b64 s[10:11], s[10:11]
	s_cbranch_execz .LBB84_18
; %bb.17:
	v_div_scale_f64 v[15:16], s[12:13], v[11:12], v[11:12], -v[13:14]
	v_rcp_f64_e32 v[17:18], v[15:16]
	v_fma_f64 v[24:25], -v[15:16], v[17:18], 1.0
	v_fma_f64 v[17:18], v[17:18], v[24:25], v[17:18]
	v_div_scale_f64 v[24:25], vcc, -v[13:14], v[11:12], -v[13:14]
	v_fma_f64 v[26:27], -v[15:16], v[17:18], 1.0
	v_fma_f64 v[17:18], v[17:18], v[26:27], v[17:18]
	v_mul_f64 v[26:27], v[24:25], v[17:18]
	v_fma_f64 v[15:16], -v[15:16], v[26:27], v[24:25]
	v_div_fmas_f64 v[15:16], v[15:16], v[17:18], v[26:27]
	v_div_fixup_f64 v[17:18], v[15:16], v[11:12], -v[13:14]
	v_fma_f64 v[11:12], -v[13:14], v[17:18], v[11:12]
	v_div_scale_f64 v[13:14], s[12:13], v[11:12], v[11:12], 1.0
	v_div_scale_f64 v[26:27], vcc, 1.0, v[11:12], 1.0
	v_rcp_f64_e32 v[15:16], v[13:14]
	v_fma_f64 v[24:25], -v[13:14], v[15:16], 1.0
	v_fma_f64 v[15:16], v[15:16], v[24:25], v[15:16]
	v_fma_f64 v[24:25], -v[13:14], v[15:16], 1.0
	v_fma_f64 v[15:16], v[15:16], v[24:25], v[15:16]
	v_mul_f64 v[24:25], v[26:27], v[15:16]
	v_fma_f64 v[13:14], -v[13:14], v[24:25], v[26:27]
	v_div_fmas_f64 v[13:14], v[13:14], v[15:16], v[24:25]
	v_div_fixup_f64 v[15:16], v[13:14], v[11:12], 1.0
	v_mul_f64 v[17:18], v[17:18], -v[15:16]
.LBB84_18:
	s_or_b64 exec, exec, s[10:11]
	v_lshlrev_b32_e32 v11, 4, v23
	ds_write_b128 v11, v[15:18]
.LBB84_19:
	s_or_b64 exec, exec, s[8:9]
                                        ; implicit-def: $vgpr11_vgpr12
                                        ; implicit-def: $vgpr23
.LBB84_20:
	s_andn2_saveexec_b64 s[2:3], s[2:3]
	s_cbranch_execz .LBB84_22
; %bb.21:
	v_lshlrev_b64 v[11:12], 4, v[11:12]
	v_mov_b32_e32 v13, s62
	v_add_co_u32_e32 v11, vcc, s94, v11
	v_addc_co_u32_e32 v12, vcc, v13, v12, vcc
	global_load_dwordx4 v[11:14], v[11:12], off
	v_lshlrev_b32_e32 v15, 4, v23
	s_waitcnt vmcnt(0)
	v_xor_b32_e32 v12, 0x80000000, v12
	ds_write_b128 v15, v[11:14]
.LBB84_22:
	s_or_b64 exec, exec, s[2:3]
	v_add_u32_e32 v13, 16, v2
	v_mad_u64_u32 v[11:12], s[2:3], s20, v13, v[19:20]
	v_cmp_le_u32_e32 vcc, v0, v13
	v_mad_u64_u32 v[14:15], s[2:3], s21, v13, v[12:13]
	v_add_u32_e32 v12, v13, v21
	v_lshl_add_u32 v15, v13, 5, v0
	v_cndmask_b32_e64 v23, v15, v12, s[0:1]
	v_mov_b32_e32 v12, v14
	s_and_saveexec_b64 s[2:3], vcc
	s_xor_b64 s[2:3], exec, s[2:3]
	s_cbranch_execz .LBB84_34
; %bb.23:
	v_cmp_ne_u32_e32 vcc, v0, v13
	s_and_saveexec_b64 s[8:9], vcc
	s_xor_b64 s[8:9], exec, s[8:9]
	s_cbranch_execz .LBB84_27
; %bb.24:
	v_or_b32_e32 v11, v13, v0
	v_cmp_gt_u32_e32 vcc, 32, v11
	s_and_saveexec_b64 s[10:11], vcc
	s_cbranch_execz .LBB84_26
; %bb.25:
	v_mov_b32_e32 v11, 0
	v_lshlrev_b32_e32 v15, 4, v23
	v_mov_b32_e32 v12, v11
	v_mov_b32_e32 v13, v11
	v_mov_b32_e32 v14, v11
	ds_write_b128 v15, v[11:14]
.LBB84_26:
	s_or_b64 exec, exec, s[10:11]
                                        ; implicit-def: $vgpr23
                                        ; implicit-def: $vgpr11_vgpr12
.LBB84_27:
	s_andn2_saveexec_b64 s[8:9], s[8:9]
	s_cbranch_execz .LBB84_33
; %bb.28:
	v_lshlrev_b64 v[11:12], 4, v[11:12]
	v_mov_b32_e32 v13, s62
	v_add_co_u32_e32 v11, vcc, s94, v11
	v_addc_co_u32_e32 v12, vcc, v13, v12, vcc
	global_load_dwordx4 v[11:14], v[11:12], off
                                        ; implicit-def: $vgpr15_vgpr16
	s_waitcnt vmcnt(0)
	v_cmp_ngt_f64_e64 s[10:11], |v[11:12]|, |v[13:14]|
	s_and_saveexec_b64 s[12:13], s[10:11]
	s_xor_b64 s[10:11], exec, s[12:13]
	s_cbranch_execz .LBB84_30
; %bb.29:
	v_div_scale_f64 v[15:16], s[12:13], -v[13:14], -v[13:14], v[11:12]
	v_rcp_f64_e32 v[17:18], v[15:16]
	v_fma_f64 v[24:25], -v[15:16], v[17:18], 1.0
	v_fma_f64 v[17:18], v[17:18], v[24:25], v[17:18]
	v_div_scale_f64 v[24:25], vcc, v[11:12], -v[13:14], v[11:12]
	v_fma_f64 v[26:27], -v[15:16], v[17:18], 1.0
	v_fma_f64 v[17:18], v[17:18], v[26:27], v[17:18]
	v_mul_f64 v[26:27], v[24:25], v[17:18]
	v_fma_f64 v[15:16], -v[15:16], v[26:27], v[24:25]
	v_div_fmas_f64 v[15:16], v[15:16], v[17:18], v[26:27]
	v_div_fixup_f64 v[15:16], v[15:16], -v[13:14], v[11:12]
	v_fma_f64 v[11:12], v[11:12], v[15:16], -v[13:14]
	v_div_scale_f64 v[13:14], s[12:13], v[11:12], v[11:12], 1.0
	v_div_scale_f64 v[26:27], vcc, 1.0, v[11:12], 1.0
	v_rcp_f64_e32 v[17:18], v[13:14]
	v_fma_f64 v[24:25], -v[13:14], v[17:18], 1.0
	v_fma_f64 v[17:18], v[17:18], v[24:25], v[17:18]
	v_fma_f64 v[24:25], -v[13:14], v[17:18], 1.0
	v_fma_f64 v[17:18], v[17:18], v[24:25], v[17:18]
	v_mul_f64 v[24:25], v[26:27], v[17:18]
	v_fma_f64 v[13:14], -v[13:14], v[24:25], v[26:27]
	v_div_fmas_f64 v[13:14], v[13:14], v[17:18], v[24:25]
	v_div_fixup_f64 v[17:18], v[13:14], v[11:12], 1.0
                                        ; implicit-def: $vgpr11_vgpr12
	v_mul_f64 v[15:16], v[15:16], v[17:18]
	v_xor_b32_e32 v18, 0x80000000, v18
.LBB84_30:
	s_andn2_saveexec_b64 s[10:11], s[10:11]
	s_cbranch_execz .LBB84_32
; %bb.31:
	v_div_scale_f64 v[15:16], s[12:13], v[11:12], v[11:12], -v[13:14]
	v_rcp_f64_e32 v[17:18], v[15:16]
	v_fma_f64 v[24:25], -v[15:16], v[17:18], 1.0
	v_fma_f64 v[17:18], v[17:18], v[24:25], v[17:18]
	v_div_scale_f64 v[24:25], vcc, -v[13:14], v[11:12], -v[13:14]
	v_fma_f64 v[26:27], -v[15:16], v[17:18], 1.0
	v_fma_f64 v[17:18], v[17:18], v[26:27], v[17:18]
	v_mul_f64 v[26:27], v[24:25], v[17:18]
	v_fma_f64 v[15:16], -v[15:16], v[26:27], v[24:25]
	v_div_fmas_f64 v[15:16], v[15:16], v[17:18], v[26:27]
	v_div_fixup_f64 v[17:18], v[15:16], v[11:12], -v[13:14]
	v_fma_f64 v[11:12], -v[13:14], v[17:18], v[11:12]
	v_div_scale_f64 v[13:14], s[12:13], v[11:12], v[11:12], 1.0
	v_div_scale_f64 v[26:27], vcc, 1.0, v[11:12], 1.0
	v_rcp_f64_e32 v[15:16], v[13:14]
	v_fma_f64 v[24:25], -v[13:14], v[15:16], 1.0
	v_fma_f64 v[15:16], v[15:16], v[24:25], v[15:16]
	v_fma_f64 v[24:25], -v[13:14], v[15:16], 1.0
	v_fma_f64 v[15:16], v[15:16], v[24:25], v[15:16]
	v_mul_f64 v[24:25], v[26:27], v[15:16]
	v_fma_f64 v[13:14], -v[13:14], v[24:25], v[26:27]
	v_div_fmas_f64 v[13:14], v[13:14], v[15:16], v[24:25]
	v_div_fixup_f64 v[15:16], v[13:14], v[11:12], 1.0
	v_mul_f64 v[17:18], v[17:18], -v[15:16]
.LBB84_32:
	s_or_b64 exec, exec, s[10:11]
	v_lshlrev_b32_e32 v11, 4, v23
	ds_write_b128 v11, v[15:18]
.LBB84_33:
	s_or_b64 exec, exec, s[8:9]
                                        ; implicit-def: $vgpr11_vgpr12
                                        ; implicit-def: $vgpr23
.LBB84_34:
	s_andn2_saveexec_b64 s[2:3], s[2:3]
	s_cbranch_execz .LBB84_36
; %bb.35:
	v_lshlrev_b64 v[11:12], 4, v[11:12]
	v_mov_b32_e32 v13, s62
	v_add_co_u32_e32 v11, vcc, s94, v11
	v_addc_co_u32_e32 v12, vcc, v13, v12, vcc
	global_load_dwordx4 v[11:14], v[11:12], off
	v_lshlrev_b32_e32 v15, 4, v23
	s_waitcnt vmcnt(0)
	v_xor_b32_e32 v12, 0x80000000, v12
	ds_write_b128 v15, v[11:14]
.LBB84_36:
	s_or_b64 exec, exec, s[2:3]
	s_mov_b64 s[12:13], 0
.LBB84_37:
	s_xor_b64 s[10:11], s[0:1], -1
	s_and_b64 vcc, exec, s[12:13]
	s_cbranch_vccz .LBB84_67
; %bb.38:
	v_mad_u64_u32 v[11:12], s[2:3], s20, v2, v[19:20]
	v_cmp_le_u32_e32 vcc, v0, v2
	v_cmp_gt_i32_e64 s[2:3], s95, v0
	v_mad_u64_u32 v[12:13], s[8:9], s21, v2, v[12:13]
	v_max_i32_e32 v13, v2, v0
	v_cmp_le_i32_e64 s[8:9], s95, v13
	s_or_b64 s[8:9], s[8:9], vcc
	s_and_saveexec_b64 s[12:13], s[8:9]
	s_xor_b64 s[8:9], exec, s[12:13]
	s_cbranch_execz .LBB84_50
; %bb.39:
	v_cmp_ne_u32_e32 vcc, v0, v2
	s_xor_b64 s[12:13], s[2:3], -1
	s_or_b64 s[12:13], s[12:13], vcc
	s_and_saveexec_b64 s[14:15], s[12:13]
	s_xor_b64 s[12:13], exec, s[14:15]
	s_cbranch_execz .LBB84_43
; %bb.40:
	v_or_b32_e32 v11, v2, v0
	v_cmp_gt_u32_e32 vcc, 32, v11
	s_and_saveexec_b64 s[14:15], vcc
	s_cbranch_execz .LBB84_42
; %bb.41:
	v_mov_b32_e32 v11, 0
	v_lshlrev_b32_e32 v15, 4, v22
	v_mov_b32_e32 v12, v11
	v_mov_b32_e32 v13, v11
	;; [unrolled: 1-line block ×3, first 2 shown]
	ds_write_b128 v15, v[11:14]
.LBB84_42:
	s_or_b64 exec, exec, s[14:15]
                                        ; implicit-def: $vgpr22
                                        ; implicit-def: $vgpr11_vgpr12
.LBB84_43:
	s_andn2_saveexec_b64 s[12:13], s[12:13]
	s_cbranch_execz .LBB84_49
; %bb.44:
	v_lshlrev_b64 v[11:12], 4, v[11:12]
	v_mov_b32_e32 v13, s62
	v_add_co_u32_e32 v11, vcc, s94, v11
	v_addc_co_u32_e32 v12, vcc, v13, v12, vcc
	global_load_dwordx4 v[11:14], v[11:12], off
                                        ; implicit-def: $vgpr15_vgpr16
	s_waitcnt vmcnt(0)
	v_cmp_ngt_f64_e64 s[14:15], |v[11:12]|, |v[13:14]|
	s_and_saveexec_b64 s[16:17], s[14:15]
	s_xor_b64 s[14:15], exec, s[16:17]
	s_cbranch_execz .LBB84_46
; %bb.45:
	v_div_scale_f64 v[15:16], s[16:17], -v[13:14], -v[13:14], v[11:12]
	v_rcp_f64_e32 v[17:18], v[15:16]
	v_fma_f64 v[23:24], -v[15:16], v[17:18], 1.0
	v_fma_f64 v[17:18], v[17:18], v[23:24], v[17:18]
	v_div_scale_f64 v[23:24], vcc, v[11:12], -v[13:14], v[11:12]
	v_fma_f64 v[25:26], -v[15:16], v[17:18], 1.0
	v_fma_f64 v[17:18], v[17:18], v[25:26], v[17:18]
	v_mul_f64 v[25:26], v[23:24], v[17:18]
	v_fma_f64 v[15:16], -v[15:16], v[25:26], v[23:24]
	v_div_fmas_f64 v[15:16], v[15:16], v[17:18], v[25:26]
	v_div_fixup_f64 v[15:16], v[15:16], -v[13:14], v[11:12]
	v_fma_f64 v[11:12], v[11:12], v[15:16], -v[13:14]
	v_div_scale_f64 v[13:14], s[16:17], v[11:12], v[11:12], 1.0
	v_div_scale_f64 v[25:26], vcc, 1.0, v[11:12], 1.0
	v_rcp_f64_e32 v[17:18], v[13:14]
	v_fma_f64 v[23:24], -v[13:14], v[17:18], 1.0
	v_fma_f64 v[17:18], v[17:18], v[23:24], v[17:18]
	v_fma_f64 v[23:24], -v[13:14], v[17:18], 1.0
	v_fma_f64 v[17:18], v[17:18], v[23:24], v[17:18]
	v_mul_f64 v[23:24], v[25:26], v[17:18]
	v_fma_f64 v[13:14], -v[13:14], v[23:24], v[25:26]
	v_div_fmas_f64 v[13:14], v[13:14], v[17:18], v[23:24]
	v_div_fixup_f64 v[17:18], v[13:14], v[11:12], 1.0
                                        ; implicit-def: $vgpr11_vgpr12
	v_mul_f64 v[15:16], v[15:16], v[17:18]
	v_xor_b32_e32 v18, 0x80000000, v18
.LBB84_46:
	s_andn2_saveexec_b64 s[14:15], s[14:15]
	s_cbranch_execz .LBB84_48
; %bb.47:
	v_div_scale_f64 v[15:16], s[16:17], v[11:12], v[11:12], -v[13:14]
	v_rcp_f64_e32 v[17:18], v[15:16]
	v_fma_f64 v[23:24], -v[15:16], v[17:18], 1.0
	v_fma_f64 v[17:18], v[17:18], v[23:24], v[17:18]
	v_div_scale_f64 v[23:24], vcc, -v[13:14], v[11:12], -v[13:14]
	v_fma_f64 v[25:26], -v[15:16], v[17:18], 1.0
	v_fma_f64 v[17:18], v[17:18], v[25:26], v[17:18]
	v_mul_f64 v[25:26], v[23:24], v[17:18]
	v_fma_f64 v[15:16], -v[15:16], v[25:26], v[23:24]
	v_div_fmas_f64 v[15:16], v[15:16], v[17:18], v[25:26]
	v_div_fixup_f64 v[17:18], v[15:16], v[11:12], -v[13:14]
	v_fma_f64 v[11:12], -v[13:14], v[17:18], v[11:12]
	v_div_scale_f64 v[13:14], s[16:17], v[11:12], v[11:12], 1.0
	v_div_scale_f64 v[25:26], vcc, 1.0, v[11:12], 1.0
	v_rcp_f64_e32 v[15:16], v[13:14]
	v_fma_f64 v[23:24], -v[13:14], v[15:16], 1.0
	v_fma_f64 v[15:16], v[15:16], v[23:24], v[15:16]
	v_fma_f64 v[23:24], -v[13:14], v[15:16], 1.0
	v_fma_f64 v[15:16], v[15:16], v[23:24], v[15:16]
	v_mul_f64 v[23:24], v[25:26], v[15:16]
	v_fma_f64 v[13:14], -v[13:14], v[23:24], v[25:26]
	v_div_fmas_f64 v[13:14], v[13:14], v[15:16], v[23:24]
	v_div_fixup_f64 v[15:16], v[13:14], v[11:12], 1.0
	v_mul_f64 v[17:18], v[17:18], -v[15:16]
.LBB84_48:
	s_or_b64 exec, exec, s[14:15]
	v_lshlrev_b32_e32 v11, 4, v22
	ds_write_b128 v11, v[15:18]
.LBB84_49:
	s_or_b64 exec, exec, s[12:13]
                                        ; implicit-def: $vgpr11_vgpr12
                                        ; implicit-def: $vgpr22
.LBB84_50:
	s_andn2_saveexec_b64 s[8:9], s[8:9]
	s_cbranch_execz .LBB84_52
; %bb.51:
	v_lshlrev_b64 v[11:12], 4, v[11:12]
	v_mov_b32_e32 v13, s62
	v_add_co_u32_e32 v11, vcc, s94, v11
	v_addc_co_u32_e32 v12, vcc, v13, v12, vcc
	global_load_dwordx4 v[11:14], v[11:12], off
	v_lshlrev_b32_e32 v15, 4, v22
	s_waitcnt vmcnt(0)
	v_xor_b32_e32 v12, 0x80000000, v12
	ds_write_b128 v15, v[11:14]
.LBB84_52:
	s_or_b64 exec, exec, s[8:9]
	v_add_u32_e32 v13, 16, v2
	v_mad_u64_u32 v[11:12], s[8:9], s20, v13, v[19:20]
	v_add_u32_e32 v16, v13, v21
	v_cmp_gt_u32_e32 vcc, v0, v13
	v_mad_u64_u32 v[14:15], s[8:9], s21, v13, v[12:13]
	v_lshl_add_u32 v12, v13, 5, v0
	v_cndmask_b32_e64 v19, v12, v16, s[0:1]
	v_cmp_gt_i32_e64 s[0:1], s95, v13
	s_and_b64 s[0:1], vcc, s[0:1]
	s_and_b64 s[0:1], s[2:3], s[0:1]
	v_mov_b32_e32 v12, v14
	s_xor_b64 s[0:1], s[0:1], -1
	s_and_saveexec_b64 s[8:9], s[0:1]
	s_xor_b64 s[0:1], exec, s[8:9]
	s_cbranch_execz .LBB84_64
; %bb.53:
	v_cmp_ne_u32_e32 vcc, v0, v13
	s_xor_b64 s[2:3], s[2:3], -1
	s_or_b64 s[2:3], s[2:3], vcc
	s_and_saveexec_b64 s[8:9], s[2:3]
	s_xor_b64 s[2:3], exec, s[8:9]
	s_cbranch_execz .LBB84_57
; %bb.54:
	v_or_b32_e32 v11, v13, v0
	v_cmp_gt_u32_e32 vcc, 32, v11
	s_and_saveexec_b64 s[8:9], vcc
	s_cbranch_execz .LBB84_56
; %bb.55:
	v_mov_b32_e32 v11, 0
	v_lshlrev_b32_e32 v15, 4, v19
	v_mov_b32_e32 v12, v11
	v_mov_b32_e32 v13, v11
	;; [unrolled: 1-line block ×3, first 2 shown]
	ds_write_b128 v15, v[11:14]
.LBB84_56:
	s_or_b64 exec, exec, s[8:9]
                                        ; implicit-def: $vgpr19
                                        ; implicit-def: $vgpr11_vgpr12
.LBB84_57:
	s_andn2_saveexec_b64 s[2:3], s[2:3]
	s_cbranch_execz .LBB84_63
; %bb.58:
	v_lshlrev_b64 v[11:12], 4, v[11:12]
	v_mov_b32_e32 v13, s62
	v_add_co_u32_e32 v11, vcc, s94, v11
	v_addc_co_u32_e32 v12, vcc, v13, v12, vcc
	global_load_dwordx4 v[11:14], v[11:12], off
                                        ; implicit-def: $vgpr15_vgpr16
	s_waitcnt vmcnt(0)
	v_cmp_ngt_f64_e64 s[8:9], |v[11:12]|, |v[13:14]|
	s_and_saveexec_b64 s[12:13], s[8:9]
	s_xor_b64 s[8:9], exec, s[12:13]
	s_cbranch_execz .LBB84_60
; %bb.59:
	v_div_scale_f64 v[15:16], s[12:13], -v[13:14], -v[13:14], v[11:12]
	v_rcp_f64_e32 v[17:18], v[15:16]
	v_fma_f64 v[20:21], -v[15:16], v[17:18], 1.0
	v_fma_f64 v[17:18], v[17:18], v[20:21], v[17:18]
	v_div_scale_f64 v[20:21], vcc, v[11:12], -v[13:14], v[11:12]
	v_fma_f64 v[22:23], -v[15:16], v[17:18], 1.0
	v_fma_f64 v[17:18], v[17:18], v[22:23], v[17:18]
	v_mul_f64 v[22:23], v[20:21], v[17:18]
	v_fma_f64 v[15:16], -v[15:16], v[22:23], v[20:21]
	v_div_fmas_f64 v[15:16], v[15:16], v[17:18], v[22:23]
	v_div_fixup_f64 v[15:16], v[15:16], -v[13:14], v[11:12]
	v_fma_f64 v[11:12], v[11:12], v[15:16], -v[13:14]
	v_div_scale_f64 v[13:14], s[12:13], v[11:12], v[11:12], 1.0
	v_div_scale_f64 v[22:23], vcc, 1.0, v[11:12], 1.0
	v_rcp_f64_e32 v[17:18], v[13:14]
	v_fma_f64 v[20:21], -v[13:14], v[17:18], 1.0
	v_fma_f64 v[17:18], v[17:18], v[20:21], v[17:18]
	v_fma_f64 v[20:21], -v[13:14], v[17:18], 1.0
	v_fma_f64 v[17:18], v[17:18], v[20:21], v[17:18]
	v_mul_f64 v[20:21], v[22:23], v[17:18]
	v_fma_f64 v[13:14], -v[13:14], v[20:21], v[22:23]
	v_div_fmas_f64 v[13:14], v[13:14], v[17:18], v[20:21]
	v_div_fixup_f64 v[17:18], v[13:14], v[11:12], 1.0
                                        ; implicit-def: $vgpr11_vgpr12
	v_mul_f64 v[15:16], v[15:16], v[17:18]
	v_xor_b32_e32 v18, 0x80000000, v18
.LBB84_60:
	s_andn2_saveexec_b64 s[8:9], s[8:9]
	s_cbranch_execz .LBB84_62
; %bb.61:
	v_div_scale_f64 v[15:16], s[12:13], v[11:12], v[11:12], -v[13:14]
	v_rcp_f64_e32 v[17:18], v[15:16]
	v_fma_f64 v[20:21], -v[15:16], v[17:18], 1.0
	v_fma_f64 v[17:18], v[17:18], v[20:21], v[17:18]
	v_div_scale_f64 v[20:21], vcc, -v[13:14], v[11:12], -v[13:14]
	v_fma_f64 v[22:23], -v[15:16], v[17:18], 1.0
	v_fma_f64 v[17:18], v[17:18], v[22:23], v[17:18]
	v_mul_f64 v[22:23], v[20:21], v[17:18]
	v_fma_f64 v[15:16], -v[15:16], v[22:23], v[20:21]
	v_div_fmas_f64 v[15:16], v[15:16], v[17:18], v[22:23]
	v_div_fixup_f64 v[17:18], v[15:16], v[11:12], -v[13:14]
	v_fma_f64 v[11:12], -v[13:14], v[17:18], v[11:12]
	v_div_scale_f64 v[13:14], s[12:13], v[11:12], v[11:12], 1.0
	v_div_scale_f64 v[22:23], vcc, 1.0, v[11:12], 1.0
	v_rcp_f64_e32 v[15:16], v[13:14]
	v_fma_f64 v[20:21], -v[13:14], v[15:16], 1.0
	v_fma_f64 v[15:16], v[15:16], v[20:21], v[15:16]
	v_fma_f64 v[20:21], -v[13:14], v[15:16], 1.0
	v_fma_f64 v[15:16], v[15:16], v[20:21], v[15:16]
	v_mul_f64 v[20:21], v[22:23], v[15:16]
	v_fma_f64 v[13:14], -v[13:14], v[20:21], v[22:23]
	v_div_fmas_f64 v[13:14], v[13:14], v[15:16], v[20:21]
	v_div_fixup_f64 v[15:16], v[13:14], v[11:12], 1.0
	v_mul_f64 v[17:18], v[17:18], -v[15:16]
.LBB84_62:
	s_or_b64 exec, exec, s[8:9]
	v_lshlrev_b32_e32 v11, 4, v19
	ds_write_b128 v11, v[15:18]
.LBB84_63:
	s_or_b64 exec, exec, s[2:3]
                                        ; implicit-def: $vgpr11_vgpr12
                                        ; implicit-def: $vgpr19
.LBB84_64:
	s_andn2_saveexec_b64 s[0:1], s[0:1]
	s_cbranch_execz .LBB84_66
; %bb.65:
	v_lshlrev_b64 v[11:12], 4, v[11:12]
	v_mov_b32_e32 v13, s62
	v_add_co_u32_e32 v11, vcc, s94, v11
	v_addc_co_u32_e32 v12, vcc, v13, v12, vcc
	global_load_dwordx4 v[11:14], v[11:12], off
	v_lshlrev_b32_e32 v15, 4, v19
	s_waitcnt vmcnt(0)
	v_xor_b32_e32 v12, 0x80000000, v12
	ds_write_b128 v15, v[11:14]
.LBB84_66:
	s_or_b64 exec, exec, s[0:1]
.LBB84_67:
	v_cndmask_b32_e64 v11, 0, 1, s[10:11]
	v_cmp_ne_u32_e64 s[48:49], 1, v11
	s_andn2_b64 vcc, exec, s[10:11]
	s_waitcnt vmcnt(0) lgkmcnt(0)
	s_barrier
	s_cbranch_vccnz .LBB84_491
; %bb.68:
	v_or_b32_e32 v11, v0, v2
	v_cmp_eq_u32_e32 vcc, 0, v11
	s_and_saveexec_b64 s[2:3], vcc
	s_cbranch_execz .LBB84_70
; %bb.69:
	v_mov_b32_e32 v25, 0
	ds_read_b128 v[11:14], v25 offset:528
	ds_read_b128 v[15:18], v25
	ds_read_b128 v[19:22], v25 offset:16
	s_waitcnt lgkmcnt(1)
	v_mul_f64 v[23:24], v[11:12], v[17:18]
	v_mul_f64 v[17:18], v[13:14], v[17:18]
	v_fma_f64 v[13:14], v[13:14], v[15:16], v[23:24]
	v_fma_f64 v[11:12], v[11:12], v[15:16], -v[17:18]
	s_waitcnt lgkmcnt(0)
	v_mul_f64 v[15:16], v[13:14], v[21:22]
	v_mul_f64 v[17:18], v[11:12], v[21:22]
	v_fma_f64 v[11:12], v[19:20], v[11:12], -v[15:16]
	v_fma_f64 v[13:14], v[19:20], v[13:14], v[17:18]
	ds_write_b128 v25, v[11:14] offset:16
	ds_write_b128 v25, v[11:14] offset:512
.LBB84_70:
	s_or_b64 exec, exec, s[2:3]
	v_and_b32_e32 v18, 1, v0
	v_lshrrev_b32_e32 v17, 1, v1
	v_lshlrev_b32_e32 v15, 4, v18
	v_mov_b32_e32 v13, 0
	v_mov_b32_e32 v11, 0
	v_cmp_lt_u32_e64 s[8:9], 3, v1
	v_cmp_gt_u32_e64 s[2:3], 4, v1
	v_mov_b32_e32 v14, 0
	v_mov_b32_e32 v12, 0
	v_lshl_or_b32 v15, v17, 9, v15
	s_waitcnt lgkmcnt(0)
	s_barrier
	s_and_saveexec_b64 s[12:13], s[2:3]
	s_cbranch_execz .LBB84_74
; %bb.71:
	v_mul_u32_u24_e32 v11, 0x210, v17
	ds_read_b128 v[11:14], v11
	ds_read_b128 v[19:22], v15 offset:32
	v_cmp_gt_u32_e64 s[10:11], 2, v1
	s_waitcnt lgkmcnt(0)
	v_mul_f64 v[23:24], v[13:14], v[21:22]
	v_mul_f64 v[21:22], v[11:12], v[21:22]
	v_fma_f64 v[11:12], v[11:12], v[19:20], -v[23:24]
	v_fma_f64 v[13:14], v[13:14], v[19:20], v[21:22]
	v_add_f64 v[11:12], v[11:12], 0
	v_add_f64 v[13:14], v[13:14], 0
	s_and_saveexec_b64 s[14:15], s[10:11]
	s_cbranch_execz .LBB84_73
; %bb.72:
	v_mov_b32_e32 v19, 0
	v_lshlrev_b32_e32 v16, 4, v0
	ds_read_b128 v[19:22], v19 offset:16
	ds_read_b128 v[23:26], v16 offset:544
	s_waitcnt lgkmcnt(0)
	v_mul_f64 v[27:28], v[21:22], v[25:26]
	v_mul_f64 v[25:26], v[19:20], v[25:26]
	v_fma_f64 v[19:20], v[19:20], v[23:24], -v[27:28]
	v_fma_f64 v[21:22], v[21:22], v[23:24], v[25:26]
	v_add_f64 v[11:12], v[11:12], v[19:20]
	v_add_f64 v[13:14], v[13:14], v[21:22]
.LBB84_73:
	s_or_b64 exec, exec, s[14:15]
	v_xor_b32_e32 v12, 0x80000000, v12
	v_xor_b32_e32 v14, 0x80000000, v14
.LBB84_74:
                                        ; implicit-def: $vgpr43 : SGPR spill to VGPR lane
	v_writelane_b32 v43, s42, 0
	s_or_b64 exec, exec, s[12:13]
	v_mov_b32_e32 v16, 0x4000
	v_cmp_eq_u32_e64 s[10:11], 0, v18
	s_xor_b64 s[12:13], s[8:9], -1
	v_lshl_add_u32 v16, v17, 4, v16
	s_and_b64 s[42:43], s[10:11], s[12:13]
	s_and_saveexec_b64 s[8:9], s[42:43]
	s_cbranch_execz .LBB84_76
; %bb.75:
	v_mov_b32_e32 v19, 0
	ds_read_b128 v[19:22], v19 offset:1056
	s_waitcnt lgkmcnt(0)
	v_mul_f64 v[23:24], v[13:14], v[21:22]
	v_mul_f64 v[21:22], v[11:12], v[21:22]
	v_fma_f64 v[11:12], v[11:12], v[19:20], -v[23:24]
	v_fma_f64 v[13:14], v[13:14], v[19:20], v[21:22]
	ds_write_b128 v16, v[11:14]
.LBB84_76:
	s_or_b64 exec, exec, s[8:9]
	v_cmp_ne_u32_e64 s[8:9], 0, v18
	s_and_b64 s[24:25], s[8:9], s[12:13]
	s_waitcnt lgkmcnt(0)
	s_barrier
	s_and_saveexec_b64 s[8:9], s[24:25]
	s_cbranch_execz .LBB84_78
; %bb.77:
	v_mov_b32_e32 v22, 0
	ds_read_b128 v[18:21], v16
	ds_read_b128 v[22:25], v22 offset:1072
	s_waitcnt lgkmcnt(0)
	v_mul_f64 v[26:27], v[20:21], v[24:25]
	v_mul_f64 v[24:25], v[18:19], v[24:25]
	v_fma_f64 v[18:19], v[18:19], v[22:23], -v[26:27]
	v_fma_f64 v[20:21], v[20:21], v[22:23], v[24:25]
	v_add_f64 v[11:12], v[11:12], v[18:19]
	v_add_f64 v[13:14], v[13:14], v[20:21]
.LBB84_78:
	s_or_b64 exec, exec, s[8:9]
	s_barrier
	s_and_saveexec_b64 s[8:9], s[24:25]
	s_cbranch_execz .LBB84_80
; %bb.79:
	v_mov_b32_e32 v18, 0
	ds_read_b128 v[18:21], v18 offset:1584
	s_waitcnt lgkmcnt(0)
	v_mul_f64 v[22:23], v[13:14], v[20:21]
	v_mul_f64 v[20:21], v[11:12], v[20:21]
	v_fma_f64 v[11:12], v[11:12], v[18:19], -v[22:23]
	v_fma_f64 v[13:14], v[13:14], v[18:19], v[20:21]
	ds_write_b128 v16, v[11:14]
.LBB84_80:
	s_or_b64 exec, exec, s[8:9]
	s_waitcnt lgkmcnt(0)
	s_barrier
	s_barrier
	s_and_saveexec_b64 s[8:9], s[2:3]
; %bb.81:
	v_xor_b32_e32 v12, 0x80000000, v12
	v_xor_b32_e32 v14, 0x80000000, v14
	ds_write_b128 v15, v[11:14] offset:32
; %bb.82:
	s_or_b64 exec, exec, s[8:9]
	v_cmp_eq_u32_e64 s[10:11], 0, v2
	v_cmp_gt_u32_e64 s[8:9], 2, v0
	s_and_b64 s[44:45], s[10:11], s[8:9]
	s_waitcnt lgkmcnt(0)
	s_barrier
	s_barrier
	s_and_saveexec_b64 s[8:9], s[44:45]
	s_cbranch_execz .LBB84_84
; %bb.83:
	v_lshlrev_b32_e32 v18, 9, v0
	ds_read_b128 v[11:14], v18 offset:32
	s_movk_i32 s0, 0xfe10
	v_mad_i32_i24 v19, v0, s0, v18
	s_waitcnt lgkmcnt(0)
	ds_write_b128 v19, v[11:14] offset:1024
	ds_read_b128 v[11:14], v18 offset:48
	s_waitcnt lgkmcnt(0)
	ds_write_b128 v19, v[11:14] offset:1536
.LBB84_84:
	s_or_b64 exec, exec, s[8:9]
	s_waitcnt lgkmcnt(0)
	s_barrier
	s_and_saveexec_b64 s[8:9], vcc
	s_cbranch_execz .LBB84_86
; %bb.85:
	v_mov_b32_e32 v28, 0
	ds_read_b128 v[11:14], v28 offset:1584
	ds_read_b128 v[18:21], v28 offset:1056
	;; [unrolled: 1-line block ×3, first 2 shown]
	s_waitcnt lgkmcnt(1)
	v_mul_f64 v[26:27], v[11:12], v[20:21]
	v_mul_f64 v[20:21], v[13:14], v[20:21]
	v_fma_f64 v[13:14], v[13:14], v[18:19], v[26:27]
	v_fma_f64 v[11:12], v[11:12], v[18:19], -v[20:21]
	s_waitcnt lgkmcnt(0)
	v_mul_f64 v[18:19], v[13:14], v[24:25]
	v_mul_f64 v[20:21], v[11:12], v[24:25]
	v_fma_f64 v[11:12], v[22:23], v[11:12], -v[18:19]
	v_fma_f64 v[13:14], v[22:23], v[13:14], v[20:21]
	ds_write_b128 v28, v[11:14] offset:1072
	ds_write_b128 v28, v[11:14] offset:1568
.LBB84_86:
	s_or_b64 exec, exec, s[8:9]
	v_and_b32_e32 v21, 3, v0
	v_lshrrev_b32_e32 v22, 2, v1
	v_lshlrev_b32_e32 v19, 4, v21
	v_mov_b32_e32 v13, 0
	v_mov_b32_e32 v11, 0
	v_cmp_lt_u32_e64 s[8:9], 15, v1
	v_cmp_gt_u32_e64 s[16:17], 16, v1
	v_mov_b32_e32 v14, 0
	v_mov_b32_e32 v12, 0
	v_lshl_or_b32 v18, v22, 9, v19
	s_waitcnt lgkmcnt(0)
	s_barrier
	s_and_saveexec_b64 s[14:15], s[16:17]
	s_cbranch_execz .LBB84_92
; %bb.87:
	v_mul_u32_u24_e32 v20, 0x210, v22
	ds_read_b128 v[11:14], v20
	ds_read_b128 v[23:26], v18 offset:64
	v_cmp_gt_u32_e64 s[12:13], 12, v1
	s_waitcnt lgkmcnt(0)
	v_mul_f64 v[27:28], v[13:14], v[25:26]
	v_mul_f64 v[25:26], v[11:12], v[25:26]
	v_fma_f64 v[11:12], v[11:12], v[23:24], -v[27:28]
	v_fma_f64 v[13:14], v[13:14], v[23:24], v[25:26]
	v_add_f64 v[11:12], v[11:12], 0
	v_add_f64 v[13:14], v[13:14], 0
	s_and_saveexec_b64 s[18:19], s[12:13]
	s_cbranch_execnz .LBB84_550
; %bb.88:
	s_or_b64 exec, exec, s[18:19]
	v_cmp_gt_u32_e64 s[12:13], 8, v1
	s_and_saveexec_b64 s[18:19], s[12:13]
	s_cbranch_execnz .LBB84_551
.LBB84_89:
	s_or_b64 exec, exec, s[18:19]
	v_cmp_gt_u32_e64 s[12:13], 4, v1
	s_and_saveexec_b64 s[18:19], s[12:13]
	s_cbranch_execz .LBB84_91
.LBB84_90:
	v_mov_b32_e32 v23, 0
	v_lshlrev_b32_e32 v20, 4, v0
	ds_read_b128 v[23:26], v23 offset:48
	ds_read_b128 v[27:30], v20 offset:1600
	s_waitcnt lgkmcnt(0)
	v_mul_f64 v[31:32], v[25:26], v[29:30]
	v_mul_f64 v[29:30], v[23:24], v[29:30]
	v_fma_f64 v[23:24], v[23:24], v[27:28], -v[31:32]
	v_fma_f64 v[25:26], v[25:26], v[27:28], v[29:30]
	v_add_f64 v[11:12], v[11:12], v[23:24]
	v_add_f64 v[13:14], v[13:14], v[25:26]
.LBB84_91:
	s_or_b64 exec, exec, s[18:19]
	v_xor_b32_e32 v12, 0x80000000, v12
	v_xor_b32_e32 v14, 0x80000000, v14
.LBB84_92:
	v_writelane_b32 v43, s48, 1
	v_writelane_b32 v43, s49, 2
	s_or_b64 exec, exec, s[14:15]
	v_mov_b32_e32 v20, 0x4000
	v_cmp_eq_u32_e64 s[12:13], 0, v21
	s_xor_b64 s[14:15], s[8:9], -1
	v_lshl_add_u32 v20, v22, 4, v20
	s_and_b64 s[48:49], s[12:13], s[14:15]
	s_and_saveexec_b64 s[8:9], s[48:49]
	s_cbranch_execz .LBB84_94
; %bb.93:
	v_mov_b32_e32 v23, 0
	ds_read_b128 v[23:26], v23 offset:2112
	s_waitcnt lgkmcnt(0)
	v_mul_f64 v[27:28], v[13:14], v[25:26]
	v_mul_f64 v[25:26], v[11:12], v[25:26]
	v_fma_f64 v[11:12], v[11:12], v[23:24], -v[27:28]
	v_fma_f64 v[13:14], v[13:14], v[23:24], v[25:26]
	ds_write_b128 v20, v[11:14]
.LBB84_94:
	s_or_b64 exec, exec, s[8:9]
	v_cmp_ne_u32_e64 s[8:9], 0, v21
	s_and_b64 s[50:51], s[8:9], s[14:15]
	s_waitcnt lgkmcnt(0)
	s_barrier
	s_and_saveexec_b64 s[8:9], s[50:51]
	s_cbranch_execz .LBB84_96
; %bb.95:
	ds_read_b128 v[23:26], v20
	ds_read_b128 v[27:30], v19 offset:2112
	s_waitcnt lgkmcnt(0)
	v_mul_f64 v[31:32], v[25:26], v[29:30]
	v_mul_f64 v[29:30], v[23:24], v[29:30]
	v_fma_f64 v[23:24], v[23:24], v[27:28], -v[31:32]
	v_fma_f64 v[25:26], v[25:26], v[27:28], v[29:30]
	v_add_f64 v[11:12], v[11:12], v[23:24]
	v_add_f64 v[13:14], v[13:14], v[25:26]
.LBB84_96:
	s_or_b64 exec, exec, s[8:9]
	v_cmp_eq_u32_e64 s[8:9], 1, v21
	s_and_b64 s[52:53], s[8:9], s[14:15]
	s_barrier
	s_and_saveexec_b64 s[8:9], s[52:53]
	s_cbranch_execz .LBB84_98
; %bb.97:
	v_mov_b32_e32 v23, 0
	ds_read_b128 v[23:26], v23 offset:2640
	s_waitcnt lgkmcnt(0)
	v_mul_f64 v[27:28], v[13:14], v[25:26]
	v_mul_f64 v[25:26], v[11:12], v[25:26]
	v_fma_f64 v[11:12], v[11:12], v[23:24], -v[27:28]
	v_fma_f64 v[13:14], v[13:14], v[23:24], v[25:26]
	ds_write_b128 v20, v[11:14]
.LBB84_98:
	s_or_b64 exec, exec, s[8:9]
	v_cmp_lt_u32_e64 s[8:9], 1, v21
	s_and_b64 s[54:55], s[8:9], s[14:15]
	s_waitcnt lgkmcnt(0)
	s_barrier
	s_and_saveexec_b64 s[8:9], s[54:55]
	s_cbranch_execz .LBB84_100
; %bb.99:
	ds_read_b128 v[23:26], v20
	ds_read_b128 v[27:30], v19 offset:2624
	s_waitcnt lgkmcnt(0)
	v_mul_f64 v[31:32], v[25:26], v[29:30]
	v_mul_f64 v[29:30], v[23:24], v[29:30]
	v_fma_f64 v[23:24], v[23:24], v[27:28], -v[31:32]
	v_fma_f64 v[25:26], v[25:26], v[27:28], v[29:30]
	v_add_f64 v[11:12], v[11:12], v[23:24]
	v_add_f64 v[13:14], v[13:14], v[25:26]
.LBB84_100:
	s_or_b64 exec, exec, s[8:9]
	v_cmp_eq_u32_e64 s[8:9], 2, v21
	s_and_b64 s[56:57], s[8:9], s[14:15]
	s_barrier
	s_and_saveexec_b64 s[8:9], s[56:57]
	s_cbranch_execz .LBB84_102
; %bb.101:
	v_mov_b32_e32 v23, 0
	ds_read_b128 v[23:26], v23 offset:3168
	s_waitcnt lgkmcnt(0)
	v_mul_f64 v[27:28], v[13:14], v[25:26]
	v_mul_f64 v[25:26], v[11:12], v[25:26]
	v_fma_f64 v[11:12], v[11:12], v[23:24], -v[27:28]
	v_fma_f64 v[13:14], v[13:14], v[23:24], v[25:26]
	ds_write_b128 v20, v[11:14]
.LBB84_102:
	s_or_b64 exec, exec, s[8:9]
	v_cmp_eq_u32_e64 s[8:9], 3, v21
	s_and_b64 s[46:47], s[8:9], s[14:15]
	s_waitcnt lgkmcnt(0)
	s_barrier
	s_and_saveexec_b64 s[8:9], s[46:47]
	s_cbranch_execz .LBB84_104
; %bb.103:
	v_mov_b32_e32 v27, 0
	ds_read_b128 v[23:26], v20
	ds_read_b128 v[27:30], v27 offset:3184
	s_waitcnt lgkmcnt(0)
	v_mul_f64 v[31:32], v[25:26], v[29:30]
	v_mul_f64 v[29:30], v[23:24], v[29:30]
	v_fma_f64 v[23:24], v[23:24], v[27:28], -v[31:32]
	v_fma_f64 v[25:26], v[25:26], v[27:28], v[29:30]
	v_add_f64 v[11:12], v[11:12], v[23:24]
	v_add_f64 v[13:14], v[13:14], v[25:26]
.LBB84_104:
	s_or_b64 exec, exec, s[8:9]
	s_barrier
	s_and_saveexec_b64 s[8:9], s[46:47]
	s_cbranch_execz .LBB84_106
; %bb.105:
	v_mov_b32_e32 v23, 0
	ds_read_b128 v[23:26], v23 offset:3696
	s_waitcnt lgkmcnt(0)
	v_mul_f64 v[27:28], v[13:14], v[25:26]
	v_mul_f64 v[25:26], v[11:12], v[25:26]
	v_fma_f64 v[11:12], v[11:12], v[23:24], -v[27:28]
	v_fma_f64 v[13:14], v[13:14], v[23:24], v[25:26]
	ds_write_b128 v20, v[11:14]
.LBB84_106:
	s_or_b64 exec, exec, s[8:9]
	s_waitcnt lgkmcnt(0)
	s_barrier
	s_barrier
	s_and_saveexec_b64 s[8:9], s[16:17]
; %bb.107:
	v_xor_b32_e32 v14, 0x80000000, v14
	v_xor_b32_e32 v12, 0x80000000, v12
	ds_write_b128 v18, v[11:14] offset:64
; %bb.108:
	s_or_b64 exec, exec, s[8:9]
	v_cmp_gt_u32_e64 s[8:9], 4, v0
	s_and_b64 s[58:59], s[10:11], s[8:9]
	s_waitcnt lgkmcnt(0)
	s_barrier
	s_barrier
	s_and_saveexec_b64 s[8:9], s[58:59]
	s_cbranch_execz .LBB84_110
; %bb.109:
	v_lshlrev_b32_e32 v23, 4, v0
	s_movk_i32 s0, 0x1f0
	v_mad_u32_u24 v24, v0, s0, v23
	ds_read_b128 v[11:14], v24 offset:64
	s_waitcnt lgkmcnt(0)
	ds_write_b128 v23, v[11:14] offset:2048
	ds_read_b128 v[11:14], v24 offset:80
	s_waitcnt lgkmcnt(0)
	ds_write_b128 v23, v[11:14] offset:2560
	;; [unrolled: 3-line block ×4, first 2 shown]
.LBB84_110:
	s_or_b64 exec, exec, s[8:9]
	s_waitcnt lgkmcnt(0)
	s_barrier
	s_and_saveexec_b64 s[8:9], vcc
	s_cbranch_execz .LBB84_112
; %bb.111:
	v_mov_b32_e32 v33, 0
	ds_read_b128 v[11:14], v33 offset:2640
	ds_read_b128 v[23:26], v33 offset:2112
	;; [unrolled: 1-line block ×3, first 2 shown]
	s_waitcnt lgkmcnt(1)
	v_mul_f64 v[31:32], v[11:12], v[25:26]
	v_mul_f64 v[25:26], v[13:14], v[25:26]
	v_fma_f64 v[13:14], v[13:14], v[23:24], v[31:32]
	v_fma_f64 v[11:12], v[11:12], v[23:24], -v[25:26]
	s_waitcnt lgkmcnt(0)
	v_mul_f64 v[23:24], v[13:14], v[29:30]
	v_mul_f64 v[25:26], v[11:12], v[29:30]
	v_fma_f64 v[11:12], v[27:28], v[11:12], -v[23:24]
	v_fma_f64 v[13:14], v[27:28], v[13:14], v[25:26]
	ds_write_b128 v33, v[11:14] offset:2128
	ds_write_b128 v33, v[11:14] offset:2624
.LBB84_112:
	s_or_b64 exec, exec, s[8:9]
	v_mov_b32_e32 v13, 0
	v_mov_b32_e32 v11, 0
	;; [unrolled: 1-line block ×4, first 2 shown]
	s_waitcnt lgkmcnt(0)
	s_barrier
	s_and_saveexec_b64 s[12:13], s[2:3]
	s_cbranch_execz .LBB84_116
; %bb.113:
	v_mul_u32_u24_e32 v11, 0x210, v17
	ds_read_b128 v[11:14], v11 offset:2112
	ds_read_b128 v[23:26], v15 offset:2144
	v_cmp_gt_u32_e64 s[8:9], 2, v1
	s_waitcnt lgkmcnt(0)
	v_mul_f64 v[27:28], v[13:14], v[25:26]
	v_mul_f64 v[25:26], v[11:12], v[25:26]
	v_fma_f64 v[11:12], v[11:12], v[23:24], -v[27:28]
	v_fma_f64 v[13:14], v[13:14], v[23:24], v[25:26]
	v_add_f64 v[11:12], v[11:12], 0
	v_add_f64 v[13:14], v[13:14], 0
	s_and_saveexec_b64 s[14:15], s[8:9]
	s_cbranch_execz .LBB84_115
; %bb.114:
	v_lshlrev_b32_e32 v27, 4, v0
	v_mov_b32_e32 v23, 0
	ds_read_b128 v[23:26], v23 offset:2128
	ds_read_b128 v[27:30], v27 offset:2656
	s_waitcnt lgkmcnt(0)
	v_mul_f64 v[31:32], v[25:26], v[29:30]
	v_mul_f64 v[29:30], v[23:24], v[29:30]
	v_fma_f64 v[23:24], v[23:24], v[27:28], -v[31:32]
	v_fma_f64 v[25:26], v[25:26], v[27:28], v[29:30]
	v_add_f64 v[11:12], v[11:12], v[23:24]
	v_add_f64 v[13:14], v[13:14], v[25:26]
.LBB84_115:
	s_or_b64 exec, exec, s[14:15]
	v_xor_b32_e32 v12, 0x80000000, v12
	v_xor_b32_e32 v14, 0x80000000, v14
.LBB84_116:
	s_or_b64 exec, exec, s[12:13]
	s_and_saveexec_b64 s[8:9], s[42:43]
	s_cbranch_execz .LBB84_118
; %bb.117:
	v_mov_b32_e32 v23, 0
	ds_read_b128 v[23:26], v23 offset:3168
	s_waitcnt lgkmcnt(0)
	v_mul_f64 v[27:28], v[13:14], v[25:26]
	v_mul_f64 v[25:26], v[11:12], v[25:26]
	v_fma_f64 v[11:12], v[11:12], v[23:24], -v[27:28]
	v_fma_f64 v[13:14], v[13:14], v[23:24], v[25:26]
	ds_write_b128 v16, v[11:14]
.LBB84_118:
	s_or_b64 exec, exec, s[8:9]
	s_waitcnt lgkmcnt(0)
	s_barrier
	s_and_saveexec_b64 s[8:9], s[24:25]
	s_cbranch_execz .LBB84_120
; %bb.119:
	v_mov_b32_e32 v27, 0
	ds_read_b128 v[23:26], v16
	ds_read_b128 v[27:30], v27 offset:3184
	s_waitcnt lgkmcnt(0)
	v_mul_f64 v[31:32], v[25:26], v[29:30]
	v_mul_f64 v[29:30], v[23:24], v[29:30]
	v_fma_f64 v[23:24], v[23:24], v[27:28], -v[31:32]
	v_fma_f64 v[25:26], v[25:26], v[27:28], v[29:30]
	v_add_f64 v[11:12], v[11:12], v[23:24]
	v_add_f64 v[13:14], v[13:14], v[25:26]
.LBB84_120:
	s_or_b64 exec, exec, s[8:9]
	s_barrier
	s_and_saveexec_b64 s[8:9], s[24:25]
	s_cbranch_execz .LBB84_122
; %bb.121:
	v_mov_b32_e32 v23, 0
	ds_read_b128 v[23:26], v23 offset:3696
	s_waitcnt lgkmcnt(0)
	v_mul_f64 v[27:28], v[13:14], v[25:26]
	v_mul_f64 v[25:26], v[11:12], v[25:26]
	v_fma_f64 v[11:12], v[11:12], v[23:24], -v[27:28]
	v_fma_f64 v[13:14], v[13:14], v[23:24], v[25:26]
	ds_write_b128 v16, v[11:14]
.LBB84_122:
	s_or_b64 exec, exec, s[8:9]
	s_waitcnt lgkmcnt(0)
	s_barrier
	s_barrier
	s_and_saveexec_b64 s[8:9], s[2:3]
; %bb.123:
	v_xor_b32_e32 v12, 0x80000000, v12
	v_xor_b32_e32 v14, 0x80000000, v14
	ds_write_b128 v15, v[11:14] offset:2144
; %bb.124:
	s_or_b64 exec, exec, s[8:9]
	s_waitcnt lgkmcnt(0)
	s_barrier
	s_barrier
	s_and_saveexec_b64 s[8:9], s[44:45]
	s_cbranch_execz .LBB84_126
; %bb.125:
	v_lshlrev_b32_e32 v23, 9, v0
	ds_read_b128 v[11:14], v23 offset:2144
	s_movk_i32 s0, 0xfe10
	v_mad_i32_i24 v24, v0, s0, v23
	s_waitcnt lgkmcnt(0)
	ds_write_b128 v24, v[11:14] offset:3136
	ds_read_b128 v[11:14], v23 offset:2160
	s_waitcnt lgkmcnt(0)
	ds_write_b128 v24, v[11:14] offset:3648
.LBB84_126:
	s_or_b64 exec, exec, s[8:9]
	s_waitcnt lgkmcnt(0)
	s_barrier
	s_and_saveexec_b64 s[8:9], vcc
	s_cbranch_execz .LBB84_128
; %bb.127:
	v_mov_b32_e32 v33, 0
	ds_read_b128 v[11:14], v33 offset:3696
	ds_read_b128 v[23:26], v33 offset:3168
	;; [unrolled: 1-line block ×3, first 2 shown]
	s_waitcnt lgkmcnt(1)
	v_mul_f64 v[31:32], v[11:12], v[25:26]
	v_mul_f64 v[25:26], v[13:14], v[25:26]
	v_fma_f64 v[13:14], v[13:14], v[23:24], v[31:32]
	v_fma_f64 v[11:12], v[11:12], v[23:24], -v[25:26]
	s_waitcnt lgkmcnt(0)
	v_mul_f64 v[23:24], v[13:14], v[29:30]
	v_mul_f64 v[25:26], v[11:12], v[29:30]
	v_fma_f64 v[11:12], v[27:28], v[11:12], -v[23:24]
	v_fma_f64 v[13:14], v[27:28], v[13:14], v[25:26]
	ds_write_b128 v33, v[11:14] offset:3184
	ds_write_b128 v33, v[11:14] offset:3680
.LBB84_128:
	s_or_b64 exec, exec, s[8:9]
	v_and_b32_e32 v26, 7, v0
	v_lshrrev_b32_e32 v27, 3, v1
	v_lshlrev_b32_e32 v24, 4, v26
	v_mov_b32_e32 v13, 0
	v_mov_b32_e32 v11, 0
	v_cmp_lt_u32_e64 s[12:13], 63, v1
	v_cmp_gt_u32_e64 s[8:9], 64, v1
	v_mov_b32_e32 v14, 0
	v_mov_b32_e32 v12, 0
	v_lshl_or_b32 v23, v27, 9, v24
	s_waitcnt lgkmcnt(0)
	s_barrier
	s_and_saveexec_b64 s[18:19], s[8:9]
	s_cbranch_execz .LBB84_138
; %bb.129:
	v_mul_u32_u24_e32 v25, 0x210, v27
	ds_read_b128 v[11:14], v25
	ds_read_b128 v[28:31], v23 offset:128
	v_cmp_gt_u32_e64 s[14:15], 56, v1
	s_waitcnt lgkmcnt(0)
	v_mul_f64 v[32:33], v[13:14], v[30:31]
	v_mul_f64 v[30:31], v[11:12], v[30:31]
	v_fma_f64 v[11:12], v[11:12], v[28:29], -v[32:33]
	v_fma_f64 v[13:14], v[13:14], v[28:29], v[30:31]
	v_add_f64 v[11:12], v[11:12], 0
	v_add_f64 v[13:14], v[13:14], 0
	s_and_saveexec_b64 s[60:61], s[14:15]
	s_cbranch_execnz .LBB84_552
; %bb.130:
	s_or_b64 exec, exec, s[60:61]
	v_cmp_gt_u32_e64 s[14:15], 48, v1
	s_and_saveexec_b64 s[60:61], s[14:15]
	s_cbranch_execnz .LBB84_553
.LBB84_131:
	s_or_b64 exec, exec, s[60:61]
	v_cmp_gt_u32_e64 s[14:15], 40, v1
	s_and_saveexec_b64 s[60:61], s[14:15]
	s_cbranch_execnz .LBB84_554
.LBB84_132:
	s_or_b64 exec, exec, s[60:61]
	v_cmp_gt_u32_e64 s[14:15], 32, v1
	s_and_saveexec_b64 s[60:61], s[14:15]
	s_cbranch_execnz .LBB84_555
.LBB84_133:
	s_or_b64 exec, exec, s[60:61]
	v_cmp_gt_u32_e64 s[14:15], 24, v1
	s_and_saveexec_b64 s[60:61], s[14:15]
	s_cbranch_execnz .LBB84_556
.LBB84_134:
	s_or_b64 exec, exec, s[60:61]
	v_cmp_gt_u32_e64 s[14:15], 16, v1
	s_and_saveexec_b64 s[60:61], s[14:15]
	s_cbranch_execnz .LBB84_557
.LBB84_135:
	s_or_b64 exec, exec, s[60:61]
	v_cmp_gt_u32_e64 s[14:15], 8, v1
	s_and_saveexec_b64 s[60:61], s[14:15]
	s_cbranch_execz .LBB84_137
.LBB84_136:
	v_mov_b32_e32 v28, 0
	v_lshlrev_b32_e32 v25, 4, v0
	ds_read_b128 v[28:31], v28 offset:112
	ds_read_b128 v[32:35], v25 offset:3712
	s_waitcnt lgkmcnt(0)
	v_mul_f64 v[36:37], v[30:31], v[34:35]
	v_mul_f64 v[34:35], v[28:29], v[34:35]
	v_fma_f64 v[28:29], v[28:29], v[32:33], -v[36:37]
	v_fma_f64 v[30:31], v[30:31], v[32:33], v[34:35]
	v_add_f64 v[11:12], v[11:12], v[28:29]
	v_add_f64 v[13:14], v[13:14], v[30:31]
.LBB84_137:
	s_or_b64 exec, exec, s[60:61]
	v_xor_b32_e32 v12, 0x80000000, v12
	v_xor_b32_e32 v14, 0x80000000, v14
.LBB84_138:
	s_or_b64 exec, exec, s[18:19]
	v_mov_b32_e32 v25, 0x4000
	v_cmp_eq_u32_e64 s[14:15], 0, v26
	s_xor_b64 s[18:19], s[12:13], -1
	v_lshl_add_u32 v25, v27, 4, v25
	s_and_b64 s[0:1], s[14:15], s[18:19]
	s_and_saveexec_b64 s[12:13], s[0:1]
	s_cbranch_execz .LBB84_140
; %bb.139:
	v_mov_b32_e32 v28, 0
	ds_read_b128 v[28:31], v28 offset:4224
	s_waitcnt lgkmcnt(0)
	v_mul_f64 v[32:33], v[13:14], v[30:31]
	v_mul_f64 v[30:31], v[11:12], v[30:31]
	v_fma_f64 v[11:12], v[11:12], v[28:29], -v[32:33]
	v_fma_f64 v[13:14], v[13:14], v[28:29], v[30:31]
	ds_write_b128 v25, v[11:14]
.LBB84_140:
	s_or_b64 exec, exec, s[12:13]
	v_cmp_ne_u32_e64 s[12:13], 0, v26
	s_and_b64 s[64:65], s[12:13], s[18:19]
	s_waitcnt lgkmcnt(0)
	s_barrier
	s_and_saveexec_b64 s[12:13], s[64:65]
	s_cbranch_execz .LBB84_142
; %bb.141:
	ds_read_b128 v[28:31], v25
	ds_read_b128 v[32:35], v24 offset:4224
	s_waitcnt lgkmcnt(0)
	v_mul_f64 v[36:37], v[30:31], v[34:35]
	v_mul_f64 v[34:35], v[28:29], v[34:35]
	v_fma_f64 v[28:29], v[28:29], v[32:33], -v[36:37]
	v_fma_f64 v[30:31], v[30:31], v[32:33], v[34:35]
	v_add_f64 v[11:12], v[11:12], v[28:29]
	v_add_f64 v[13:14], v[13:14], v[30:31]
.LBB84_142:
	s_or_b64 exec, exec, s[12:13]
	v_cmp_eq_u32_e64 s[12:13], 1, v26
	s_and_b64 s[66:67], s[12:13], s[18:19]
	s_barrier
	s_and_saveexec_b64 s[12:13], s[66:67]
	s_cbranch_execz .LBB84_144
; %bb.143:
	v_mov_b32_e32 v28, 0
	ds_read_b128 v[28:31], v28 offset:4752
	s_waitcnt lgkmcnt(0)
	v_mul_f64 v[32:33], v[13:14], v[30:31]
	v_mul_f64 v[30:31], v[11:12], v[30:31]
	v_fma_f64 v[11:12], v[11:12], v[28:29], -v[32:33]
	v_fma_f64 v[13:14], v[13:14], v[28:29], v[30:31]
	ds_write_b128 v25, v[11:14]
.LBB84_144:
	s_or_b64 exec, exec, s[12:13]
	v_cmp_lt_u32_e64 s[12:13], 1, v26
	s_and_b64 s[68:69], s[12:13], s[18:19]
	s_waitcnt lgkmcnt(0)
	s_barrier
	s_and_saveexec_b64 s[12:13], s[68:69]
	s_cbranch_execz .LBB84_146
; %bb.145:
	ds_read_b128 v[28:31], v25
	ds_read_b128 v[32:35], v24 offset:4736
	s_waitcnt lgkmcnt(0)
	v_mul_f64 v[36:37], v[30:31], v[34:35]
	v_mul_f64 v[34:35], v[28:29], v[34:35]
	v_fma_f64 v[28:29], v[28:29], v[32:33], -v[36:37]
	v_fma_f64 v[30:31], v[30:31], v[32:33], v[34:35]
	v_add_f64 v[11:12], v[11:12], v[28:29]
	v_add_f64 v[13:14], v[13:14], v[30:31]
.LBB84_146:
	s_or_b64 exec, exec, s[12:13]
	v_cmp_eq_u32_e64 s[12:13], 2, v26
	s_and_b64 s[70:71], s[12:13], s[18:19]
	s_barrier
	s_and_saveexec_b64 s[12:13], s[70:71]
	s_cbranch_execz .LBB84_148
; %bb.147:
	v_mov_b32_e32 v28, 0
	ds_read_b128 v[28:31], v28 offset:5280
	s_waitcnt lgkmcnt(0)
	v_mul_f64 v[32:33], v[13:14], v[30:31]
	v_mul_f64 v[30:31], v[11:12], v[30:31]
	v_fma_f64 v[11:12], v[11:12], v[28:29], -v[32:33]
	v_fma_f64 v[13:14], v[13:14], v[28:29], v[30:31]
	ds_write_b128 v25, v[11:14]
.LBB84_148:
	s_or_b64 exec, exec, s[12:13]
	v_cmp_lt_u32_e64 s[12:13], 2, v26
	;; [unrolled: 34-line block ×5, first 2 shown]
	s_and_b64 s[84:85], s[12:13], s[18:19]
	s_waitcnt lgkmcnt(0)
	s_barrier
	s_and_saveexec_b64 s[12:13], s[84:85]
	s_cbranch_execz .LBB84_162
; %bb.161:
	ds_read_b128 v[28:31], v25
	ds_read_b128 v[32:35], v24 offset:6784
	s_waitcnt lgkmcnt(0)
	v_mul_f64 v[36:37], v[30:31], v[34:35]
	v_mul_f64 v[34:35], v[28:29], v[34:35]
	v_fma_f64 v[28:29], v[28:29], v[32:33], -v[36:37]
	v_fma_f64 v[30:31], v[30:31], v[32:33], v[34:35]
	v_add_f64 v[11:12], v[11:12], v[28:29]
	v_add_f64 v[13:14], v[13:14], v[30:31]
.LBB84_162:
	s_or_b64 exec, exec, s[12:13]
	v_cmp_eq_u32_e64 s[12:13], 6, v26
	s_and_b64 s[86:87], s[12:13], s[18:19]
	s_barrier
	s_and_saveexec_b64 s[12:13], s[86:87]
	s_cbranch_execz .LBB84_164
; %bb.163:
	v_mov_b32_e32 v28, 0
	ds_read_b128 v[28:31], v28 offset:7392
	s_waitcnt lgkmcnt(0)
	v_mul_f64 v[32:33], v[13:14], v[30:31]
	v_mul_f64 v[30:31], v[11:12], v[30:31]
	v_fma_f64 v[11:12], v[11:12], v[28:29], -v[32:33]
	v_fma_f64 v[13:14], v[13:14], v[28:29], v[30:31]
	ds_write_b128 v25, v[11:14]
.LBB84_164:
	s_or_b64 exec, exec, s[12:13]
	v_cmp_eq_u32_e64 s[12:13], 7, v26
	s_and_b64 s[60:61], s[12:13], s[18:19]
	s_waitcnt lgkmcnt(0)
	s_barrier
	s_and_saveexec_b64 s[12:13], s[60:61]
	s_cbranch_execz .LBB84_166
; %bb.165:
	v_mov_b32_e32 v32, 0
	ds_read_b128 v[28:31], v25
	ds_read_b128 v[32:35], v32 offset:7408
	s_waitcnt lgkmcnt(0)
	v_mul_f64 v[36:37], v[30:31], v[34:35]
	v_mul_f64 v[34:35], v[28:29], v[34:35]
	v_fma_f64 v[28:29], v[28:29], v[32:33], -v[36:37]
	v_fma_f64 v[30:31], v[30:31], v[32:33], v[34:35]
	v_add_f64 v[11:12], v[11:12], v[28:29]
	v_add_f64 v[13:14], v[13:14], v[30:31]
.LBB84_166:
	s_or_b64 exec, exec, s[12:13]
	s_barrier
	s_and_saveexec_b64 s[12:13], s[60:61]
	s_cbranch_execz .LBB84_168
; %bb.167:
	v_mov_b32_e32 v28, 0
	ds_read_b128 v[28:31], v28 offset:7920
	s_waitcnt lgkmcnt(0)
	v_mul_f64 v[32:33], v[13:14], v[30:31]
	v_mul_f64 v[30:31], v[11:12], v[30:31]
	v_fma_f64 v[11:12], v[11:12], v[28:29], -v[32:33]
	v_fma_f64 v[13:14], v[13:14], v[28:29], v[30:31]
	ds_write_b128 v25, v[11:14]
.LBB84_168:
	s_or_b64 exec, exec, s[12:13]
	s_waitcnt lgkmcnt(0)
	s_barrier
	s_barrier
	s_and_saveexec_b64 s[12:13], s[8:9]
; %bb.169:
	v_xor_b32_e32 v12, 0x80000000, v12
	v_xor_b32_e32 v14, 0x80000000, v14
	ds_write_b128 v23, v[11:14] offset:128
; %bb.170:
	s_or_b64 exec, exec, s[12:13]
	v_cmp_gt_u32_e64 s[12:13], 8, v0
	s_and_b64 s[88:89], s[10:11], s[12:13]
	s_waitcnt lgkmcnt(0)
	s_barrier
	s_barrier
	s_and_saveexec_b64 s[12:13], s[88:89]
	s_cbranch_execz .LBB84_172
; %bb.171:
	v_lshlrev_b32_e32 v28, 9, v0
	ds_read_b128 v[11:14], v28 offset:128
	s_movk_i32 s14, 0xfe10
	v_mad_i32_i24 v29, v0, s14, v28
	s_waitcnt lgkmcnt(0)
	ds_write_b128 v29, v[11:14] offset:4096
	ds_read_b128 v[11:14], v28 offset:144
	s_waitcnt lgkmcnt(0)
	ds_write_b128 v29, v[11:14] offset:4608
	ds_read_b128 v[11:14], v28 offset:160
	;; [unrolled: 3-line block ×7, first 2 shown]
	s_waitcnt lgkmcnt(0)
	ds_write_b128 v29, v[11:14] offset:7680
.LBB84_172:
	s_or_b64 exec, exec, s[12:13]
	s_waitcnt lgkmcnt(0)
	s_barrier
	s_and_saveexec_b64 s[12:13], vcc
	s_cbranch_execz .LBB84_174
; %bb.173:
	v_mov_b32_e32 v38, 0
	ds_read_b128 v[11:14], v38 offset:4752
	ds_read_b128 v[28:31], v38 offset:4224
	ds_read_b128 v[32:35], v38 offset:4240
	s_waitcnt lgkmcnt(1)
	v_mul_f64 v[36:37], v[11:12], v[30:31]
	v_mul_f64 v[30:31], v[13:14], v[30:31]
	v_fma_f64 v[13:14], v[13:14], v[28:29], v[36:37]
	v_fma_f64 v[11:12], v[11:12], v[28:29], -v[30:31]
	s_waitcnt lgkmcnt(0)
	v_mul_f64 v[28:29], v[13:14], v[34:35]
	v_mul_f64 v[30:31], v[11:12], v[34:35]
	v_fma_f64 v[11:12], v[32:33], v[11:12], -v[28:29]
	v_fma_f64 v[13:14], v[32:33], v[13:14], v[30:31]
	ds_write_b128 v38, v[11:14] offset:4240
	ds_write_b128 v38, v[11:14] offset:4736
.LBB84_174:
	s_or_b64 exec, exec, s[12:13]
	v_mov_b32_e32 v13, 0
	v_mov_b32_e32 v11, 0
	;; [unrolled: 1-line block ×4, first 2 shown]
	s_waitcnt lgkmcnt(0)
	s_barrier
	s_and_saveexec_b64 s[14:15], s[2:3]
	s_cbranch_execz .LBB84_178
; %bb.175:
	v_mul_u32_u24_e32 v11, 0x210, v17
	ds_read_b128 v[11:14], v11 offset:4224
	ds_read_b128 v[28:31], v15 offset:4256
	v_cmp_gt_u32_e64 s[12:13], 2, v1
	s_waitcnt lgkmcnt(0)
	v_mul_f64 v[32:33], v[13:14], v[30:31]
	v_mul_f64 v[30:31], v[11:12], v[30:31]
	v_fma_f64 v[11:12], v[11:12], v[28:29], -v[32:33]
	v_fma_f64 v[13:14], v[13:14], v[28:29], v[30:31]
	v_add_f64 v[11:12], v[11:12], 0
	v_add_f64 v[13:14], v[13:14], 0
	s_and_saveexec_b64 s[18:19], s[12:13]
	s_cbranch_execz .LBB84_177
; %bb.176:
	v_lshlrev_b32_e32 v32, 4, v0
	v_mov_b32_e32 v28, 0
	ds_read_b128 v[28:31], v28 offset:4240
	ds_read_b128 v[32:35], v32 offset:4768
	s_waitcnt lgkmcnt(0)
	v_mul_f64 v[36:37], v[30:31], v[34:35]
	v_mul_f64 v[34:35], v[28:29], v[34:35]
	v_fma_f64 v[28:29], v[28:29], v[32:33], -v[36:37]
	v_fma_f64 v[30:31], v[30:31], v[32:33], v[34:35]
	v_add_f64 v[11:12], v[11:12], v[28:29]
	v_add_f64 v[13:14], v[13:14], v[30:31]
.LBB84_177:
	s_or_b64 exec, exec, s[18:19]
	v_xor_b32_e32 v12, 0x80000000, v12
	v_xor_b32_e32 v14, 0x80000000, v14
.LBB84_178:
	s_or_b64 exec, exec, s[14:15]
	s_and_saveexec_b64 s[12:13], s[42:43]
	s_cbranch_execz .LBB84_180
; %bb.179:
	v_mov_b32_e32 v28, 0
	ds_read_b128 v[28:31], v28 offset:5280
	s_waitcnt lgkmcnt(0)
	v_mul_f64 v[32:33], v[13:14], v[30:31]
	v_mul_f64 v[30:31], v[11:12], v[30:31]
	v_fma_f64 v[11:12], v[11:12], v[28:29], -v[32:33]
	v_fma_f64 v[13:14], v[13:14], v[28:29], v[30:31]
	ds_write_b128 v16, v[11:14]
.LBB84_180:
	s_or_b64 exec, exec, s[12:13]
	s_waitcnt lgkmcnt(0)
	s_barrier
	s_and_saveexec_b64 s[12:13], s[24:25]
	s_cbranch_execz .LBB84_182
; %bb.181:
	v_mov_b32_e32 v32, 0
	ds_read_b128 v[28:31], v16
	ds_read_b128 v[32:35], v32 offset:5296
	s_waitcnt lgkmcnt(0)
	v_mul_f64 v[36:37], v[30:31], v[34:35]
	v_mul_f64 v[34:35], v[28:29], v[34:35]
	v_fma_f64 v[28:29], v[28:29], v[32:33], -v[36:37]
	v_fma_f64 v[30:31], v[30:31], v[32:33], v[34:35]
	v_add_f64 v[11:12], v[11:12], v[28:29]
	v_add_f64 v[13:14], v[13:14], v[30:31]
.LBB84_182:
	s_or_b64 exec, exec, s[12:13]
	s_barrier
	s_and_saveexec_b64 s[12:13], s[24:25]
	s_cbranch_execz .LBB84_184
; %bb.183:
	v_mov_b32_e32 v28, 0
	ds_read_b128 v[28:31], v28 offset:5808
	s_waitcnt lgkmcnt(0)
	v_mul_f64 v[32:33], v[13:14], v[30:31]
	v_mul_f64 v[30:31], v[11:12], v[30:31]
	v_fma_f64 v[11:12], v[11:12], v[28:29], -v[32:33]
	v_fma_f64 v[13:14], v[13:14], v[28:29], v[30:31]
	ds_write_b128 v16, v[11:14]
.LBB84_184:
	s_or_b64 exec, exec, s[12:13]
	s_waitcnt lgkmcnt(0)
	s_barrier
	s_barrier
	s_and_saveexec_b64 s[12:13], s[2:3]
; %bb.185:
	v_xor_b32_e32 v12, 0x80000000, v12
	v_xor_b32_e32 v14, 0x80000000, v14
	ds_write_b128 v15, v[11:14] offset:4256
; %bb.186:
	s_or_b64 exec, exec, s[12:13]
	s_waitcnt lgkmcnt(0)
	s_barrier
	s_barrier
	s_and_saveexec_b64 s[12:13], s[44:45]
	s_cbranch_execz .LBB84_188
; %bb.187:
	v_lshlrev_b32_e32 v28, 9, v0
	ds_read_b128 v[11:14], v28 offset:4256
	s_movk_i32 s14, 0xfe10
	v_mad_i32_i24 v29, v0, s14, v28
	s_waitcnt lgkmcnt(0)
	ds_write_b128 v29, v[11:14] offset:5248
	ds_read_b128 v[11:14], v28 offset:4272
	s_waitcnt lgkmcnt(0)
	ds_write_b128 v29, v[11:14] offset:5760
.LBB84_188:
	s_or_b64 exec, exec, s[12:13]
	s_waitcnt lgkmcnt(0)
	s_barrier
	s_and_saveexec_b64 s[12:13], vcc
	s_cbranch_execz .LBB84_190
; %bb.189:
	v_mov_b32_e32 v38, 0
	ds_read_b128 v[11:14], v38 offset:5808
	ds_read_b128 v[28:31], v38 offset:5280
	;; [unrolled: 1-line block ×3, first 2 shown]
	s_waitcnt lgkmcnt(1)
	v_mul_f64 v[36:37], v[11:12], v[30:31]
	v_mul_f64 v[30:31], v[13:14], v[30:31]
	v_fma_f64 v[13:14], v[13:14], v[28:29], v[36:37]
	v_fma_f64 v[11:12], v[11:12], v[28:29], -v[30:31]
	s_waitcnt lgkmcnt(0)
	v_mul_f64 v[28:29], v[13:14], v[34:35]
	v_mul_f64 v[30:31], v[11:12], v[34:35]
	v_fma_f64 v[11:12], v[32:33], v[11:12], -v[28:29]
	v_fma_f64 v[13:14], v[32:33], v[13:14], v[30:31]
	ds_write_b128 v38, v[11:14] offset:5296
	ds_write_b128 v38, v[11:14] offset:5792
.LBB84_190:
	s_or_b64 exec, exec, s[12:13]
	v_mov_b32_e32 v13, 0
	v_mov_b32_e32 v11, 0
	;; [unrolled: 1-line block ×4, first 2 shown]
	s_waitcnt lgkmcnt(0)
	s_barrier
	s_and_saveexec_b64 s[14:15], s[16:17]
	s_cbranch_execz .LBB84_196
; %bb.191:
	v_mul_u32_u24_e32 v28, 0x210, v22
	ds_read_b128 v[11:14], v28 offset:4224
	ds_read_b128 v[29:32], v18 offset:4288
	v_cmp_gt_u32_e64 s[12:13], 12, v1
	s_waitcnt lgkmcnt(0)
	v_mul_f64 v[33:34], v[13:14], v[31:32]
	v_mul_f64 v[31:32], v[11:12], v[31:32]
	v_fma_f64 v[11:12], v[11:12], v[29:30], -v[33:34]
	v_fma_f64 v[13:14], v[13:14], v[29:30], v[31:32]
	v_add_f64 v[11:12], v[11:12], 0
	v_add_f64 v[13:14], v[13:14], 0
	s_and_saveexec_b64 s[18:19], s[12:13]
	s_cbranch_execnz .LBB84_558
; %bb.192:
	s_or_b64 exec, exec, s[18:19]
	v_cmp_gt_u32_e64 s[12:13], 8, v1
	s_and_saveexec_b64 s[18:19], s[12:13]
	s_cbranch_execnz .LBB84_559
.LBB84_193:
	s_or_b64 exec, exec, s[18:19]
	v_cmp_gt_u32_e64 s[12:13], 4, v1
	s_and_saveexec_b64 s[18:19], s[12:13]
	s_cbranch_execz .LBB84_195
.LBB84_194:
	v_lshlrev_b32_e32 v32, 4, v0
	v_mov_b32_e32 v28, 0
	ds_read_b128 v[28:31], v28 offset:4272
	ds_read_b128 v[32:35], v32 offset:5824
	s_waitcnt lgkmcnt(0)
	v_mul_f64 v[36:37], v[30:31], v[34:35]
	v_mul_f64 v[34:35], v[28:29], v[34:35]
	v_fma_f64 v[28:29], v[28:29], v[32:33], -v[36:37]
	v_fma_f64 v[30:31], v[30:31], v[32:33], v[34:35]
	v_add_f64 v[11:12], v[11:12], v[28:29]
	v_add_f64 v[13:14], v[13:14], v[30:31]
.LBB84_195:
	s_or_b64 exec, exec, s[18:19]
	v_xor_b32_e32 v12, 0x80000000, v12
	v_xor_b32_e32 v14, 0x80000000, v14
.LBB84_196:
	s_or_b64 exec, exec, s[14:15]
	s_and_saveexec_b64 s[12:13], s[48:49]
	s_cbranch_execz .LBB84_198
; %bb.197:
	v_mov_b32_e32 v28, 0
	ds_read_b128 v[28:31], v28 offset:6336
	s_waitcnt lgkmcnt(0)
	v_mul_f64 v[32:33], v[13:14], v[30:31]
	v_mul_f64 v[30:31], v[11:12], v[30:31]
	v_fma_f64 v[11:12], v[11:12], v[28:29], -v[32:33]
	v_fma_f64 v[13:14], v[13:14], v[28:29], v[30:31]
	ds_write_b128 v20, v[11:14]
.LBB84_198:
	s_or_b64 exec, exec, s[12:13]
	s_waitcnt lgkmcnt(0)
	s_barrier
	s_and_saveexec_b64 s[12:13], s[50:51]
	s_cbranch_execz .LBB84_200
; %bb.199:
	ds_read_b128 v[28:31], v20
	ds_read_b128 v[32:35], v19 offset:6336
	s_waitcnt lgkmcnt(0)
	v_mul_f64 v[36:37], v[30:31], v[34:35]
	v_mul_f64 v[34:35], v[28:29], v[34:35]
	v_fma_f64 v[28:29], v[28:29], v[32:33], -v[36:37]
	v_fma_f64 v[30:31], v[30:31], v[32:33], v[34:35]
	v_add_f64 v[11:12], v[11:12], v[28:29]
	v_add_f64 v[13:14], v[13:14], v[30:31]
.LBB84_200:
	s_or_b64 exec, exec, s[12:13]
	s_barrier
	s_and_saveexec_b64 s[12:13], s[52:53]
	s_cbranch_execz .LBB84_202
; %bb.201:
	v_mov_b32_e32 v28, 0
	ds_read_b128 v[28:31], v28 offset:6864
	s_waitcnt lgkmcnt(0)
	v_mul_f64 v[32:33], v[13:14], v[30:31]
	v_mul_f64 v[30:31], v[11:12], v[30:31]
	v_fma_f64 v[11:12], v[11:12], v[28:29], -v[32:33]
	v_fma_f64 v[13:14], v[13:14], v[28:29], v[30:31]
	ds_write_b128 v20, v[11:14]
.LBB84_202:
	s_or_b64 exec, exec, s[12:13]
	s_waitcnt lgkmcnt(0)
	s_barrier
	s_and_saveexec_b64 s[12:13], s[54:55]
	s_cbranch_execz .LBB84_204
; %bb.203:
	ds_read_b128 v[28:31], v20
	ds_read_b128 v[32:35], v19 offset:6848
	s_waitcnt lgkmcnt(0)
	v_mul_f64 v[36:37], v[30:31], v[34:35]
	v_mul_f64 v[34:35], v[28:29], v[34:35]
	v_fma_f64 v[28:29], v[28:29], v[32:33], -v[36:37]
	v_fma_f64 v[30:31], v[30:31], v[32:33], v[34:35]
	v_add_f64 v[11:12], v[11:12], v[28:29]
	v_add_f64 v[13:14], v[13:14], v[30:31]
.LBB84_204:
	s_or_b64 exec, exec, s[12:13]
	s_barrier
	s_and_saveexec_b64 s[12:13], s[56:57]
	s_cbranch_execz .LBB84_206
; %bb.205:
	v_mov_b32_e32 v28, 0
	ds_read_b128 v[28:31], v28 offset:7392
	s_waitcnt lgkmcnt(0)
	v_mul_f64 v[32:33], v[13:14], v[30:31]
	v_mul_f64 v[30:31], v[11:12], v[30:31]
	v_fma_f64 v[11:12], v[11:12], v[28:29], -v[32:33]
	v_fma_f64 v[13:14], v[13:14], v[28:29], v[30:31]
	ds_write_b128 v20, v[11:14]
.LBB84_206:
	s_or_b64 exec, exec, s[12:13]
	s_waitcnt lgkmcnt(0)
	s_barrier
	s_and_saveexec_b64 s[12:13], s[46:47]
	s_cbranch_execz .LBB84_208
; %bb.207:
	v_mov_b32_e32 v32, 0
	ds_read_b128 v[28:31], v20
	ds_read_b128 v[32:35], v32 offset:7408
	s_waitcnt lgkmcnt(0)
	v_mul_f64 v[36:37], v[30:31], v[34:35]
	v_mul_f64 v[34:35], v[28:29], v[34:35]
	v_fma_f64 v[28:29], v[28:29], v[32:33], -v[36:37]
	v_fma_f64 v[30:31], v[30:31], v[32:33], v[34:35]
	v_add_f64 v[11:12], v[11:12], v[28:29]
	v_add_f64 v[13:14], v[13:14], v[30:31]
.LBB84_208:
	s_or_b64 exec, exec, s[12:13]
	s_barrier
	s_and_saveexec_b64 s[12:13], s[46:47]
	s_cbranch_execz .LBB84_210
; %bb.209:
	v_mov_b32_e32 v28, 0
	ds_read_b128 v[28:31], v28 offset:7920
	s_waitcnt lgkmcnt(0)
	v_mul_f64 v[32:33], v[13:14], v[30:31]
	v_mul_f64 v[30:31], v[11:12], v[30:31]
	v_fma_f64 v[11:12], v[11:12], v[28:29], -v[32:33]
	v_fma_f64 v[13:14], v[13:14], v[28:29], v[30:31]
	ds_write_b128 v20, v[11:14]
.LBB84_210:
	s_or_b64 exec, exec, s[12:13]
	s_waitcnt lgkmcnt(0)
	s_barrier
	s_barrier
	s_and_saveexec_b64 s[12:13], s[16:17]
; %bb.211:
	v_xor_b32_e32 v14, 0x80000000, v14
	v_xor_b32_e32 v12, 0x80000000, v12
	ds_write_b128 v18, v[11:14] offset:4288
; %bb.212:
	s_or_b64 exec, exec, s[12:13]
	s_waitcnt lgkmcnt(0)
	s_barrier
	s_barrier
	s_and_saveexec_b64 s[12:13], s[58:59]
	s_cbranch_execz .LBB84_214
; %bb.213:
	v_lshlrev_b32_e32 v28, 4, v0
	s_movk_i32 s14, 0x1f0
	v_mad_u32_u24 v29, v0, s14, v28
	ds_read_b128 v[11:14], v29 offset:4288
	s_waitcnt lgkmcnt(0)
	ds_write_b128 v28, v[11:14] offset:6272
	ds_read_b128 v[11:14], v29 offset:4304
	s_waitcnt lgkmcnt(0)
	ds_write_b128 v28, v[11:14] offset:6784
	;; [unrolled: 3-line block ×4, first 2 shown]
.LBB84_214:
	s_or_b64 exec, exec, s[12:13]
	s_waitcnt lgkmcnt(0)
	s_barrier
	s_and_saveexec_b64 s[12:13], vcc
	s_cbranch_execz .LBB84_216
; %bb.215:
	v_mov_b32_e32 v38, 0
	ds_read_b128 v[11:14], v38 offset:6864
	ds_read_b128 v[28:31], v38 offset:6336
	;; [unrolled: 1-line block ×3, first 2 shown]
	s_waitcnt lgkmcnt(1)
	v_mul_f64 v[36:37], v[11:12], v[30:31]
	v_mul_f64 v[30:31], v[13:14], v[30:31]
	v_fma_f64 v[13:14], v[13:14], v[28:29], v[36:37]
	v_fma_f64 v[11:12], v[11:12], v[28:29], -v[30:31]
	s_waitcnt lgkmcnt(0)
	v_mul_f64 v[28:29], v[13:14], v[34:35]
	v_mul_f64 v[30:31], v[11:12], v[34:35]
	v_fma_f64 v[11:12], v[32:33], v[11:12], -v[28:29]
	v_fma_f64 v[13:14], v[32:33], v[13:14], v[30:31]
	ds_write_b128 v38, v[11:14] offset:6352
	ds_write_b128 v38, v[11:14] offset:6848
.LBB84_216:
	s_or_b64 exec, exec, s[12:13]
	v_mov_b32_e32 v13, 0
	v_mov_b32_e32 v11, 0
	;; [unrolled: 1-line block ×4, first 2 shown]
	s_waitcnt lgkmcnt(0)
	s_barrier
	s_and_saveexec_b64 s[14:15], s[2:3]
	s_cbranch_execz .LBB84_220
; %bb.217:
	v_mul_u32_u24_e32 v11, 0x210, v17
	ds_read_b128 v[11:14], v11 offset:6336
	ds_read_b128 v[28:31], v15 offset:6368
	v_cmp_gt_u32_e64 s[12:13], 2, v1
	s_waitcnt lgkmcnt(0)
	v_mul_f64 v[32:33], v[13:14], v[30:31]
	v_mul_f64 v[30:31], v[11:12], v[30:31]
	v_fma_f64 v[11:12], v[11:12], v[28:29], -v[32:33]
	v_fma_f64 v[13:14], v[13:14], v[28:29], v[30:31]
	v_add_f64 v[11:12], v[11:12], 0
	v_add_f64 v[13:14], v[13:14], 0
	s_and_saveexec_b64 s[18:19], s[12:13]
	s_cbranch_execz .LBB84_219
; %bb.218:
	v_lshlrev_b32_e32 v32, 4, v0
	v_mov_b32_e32 v28, 0
	ds_read_b128 v[28:31], v28 offset:6352
	ds_read_b128 v[32:35], v32 offset:6880
	s_waitcnt lgkmcnt(0)
	v_mul_f64 v[36:37], v[30:31], v[34:35]
	v_mul_f64 v[34:35], v[28:29], v[34:35]
	v_fma_f64 v[28:29], v[28:29], v[32:33], -v[36:37]
	v_fma_f64 v[30:31], v[30:31], v[32:33], v[34:35]
	v_add_f64 v[11:12], v[11:12], v[28:29]
	v_add_f64 v[13:14], v[13:14], v[30:31]
.LBB84_219:
	s_or_b64 exec, exec, s[18:19]
	v_xor_b32_e32 v12, 0x80000000, v12
	v_xor_b32_e32 v14, 0x80000000, v14
.LBB84_220:
	s_or_b64 exec, exec, s[14:15]
	s_and_saveexec_b64 s[12:13], s[42:43]
	s_cbranch_execz .LBB84_222
; %bb.221:
	v_mov_b32_e32 v28, 0
	ds_read_b128 v[28:31], v28 offset:7392
	s_waitcnt lgkmcnt(0)
	v_mul_f64 v[32:33], v[13:14], v[30:31]
	v_mul_f64 v[30:31], v[11:12], v[30:31]
	v_fma_f64 v[11:12], v[11:12], v[28:29], -v[32:33]
	v_fma_f64 v[13:14], v[13:14], v[28:29], v[30:31]
	ds_write_b128 v16, v[11:14]
.LBB84_222:
	s_or_b64 exec, exec, s[12:13]
	s_waitcnt lgkmcnt(0)
	s_barrier
	s_and_saveexec_b64 s[12:13], s[24:25]
	s_cbranch_execz .LBB84_224
; %bb.223:
	v_mov_b32_e32 v32, 0
	ds_read_b128 v[28:31], v16
	ds_read_b128 v[32:35], v32 offset:7408
	s_waitcnt lgkmcnt(0)
	v_mul_f64 v[36:37], v[30:31], v[34:35]
	v_mul_f64 v[34:35], v[28:29], v[34:35]
	v_fma_f64 v[28:29], v[28:29], v[32:33], -v[36:37]
	v_fma_f64 v[30:31], v[30:31], v[32:33], v[34:35]
	v_add_f64 v[11:12], v[11:12], v[28:29]
	v_add_f64 v[13:14], v[13:14], v[30:31]
.LBB84_224:
	s_or_b64 exec, exec, s[12:13]
	s_barrier
	s_and_saveexec_b64 s[12:13], s[24:25]
	s_cbranch_execz .LBB84_226
; %bb.225:
	v_mov_b32_e32 v28, 0
	ds_read_b128 v[28:31], v28 offset:7920
	s_waitcnt lgkmcnt(0)
	v_mul_f64 v[32:33], v[13:14], v[30:31]
	v_mul_f64 v[30:31], v[11:12], v[30:31]
	v_fma_f64 v[11:12], v[11:12], v[28:29], -v[32:33]
	v_fma_f64 v[13:14], v[13:14], v[28:29], v[30:31]
	ds_write_b128 v16, v[11:14]
.LBB84_226:
	s_or_b64 exec, exec, s[12:13]
	s_waitcnt lgkmcnt(0)
	s_barrier
	s_barrier
	s_and_saveexec_b64 s[12:13], s[2:3]
; %bb.227:
	v_xor_b32_e32 v12, 0x80000000, v12
	v_xor_b32_e32 v14, 0x80000000, v14
	ds_write_b128 v15, v[11:14] offset:6368
; %bb.228:
	s_or_b64 exec, exec, s[12:13]
	s_waitcnt lgkmcnt(0)
	s_barrier
	s_barrier
	s_and_saveexec_b64 s[12:13], s[44:45]
	s_cbranch_execz .LBB84_230
; %bb.229:
	v_lshlrev_b32_e32 v28, 9, v0
	ds_read_b128 v[11:14], v28 offset:6368
	s_movk_i32 s14, 0xfe10
	v_mad_i32_i24 v29, v0, s14, v28
	s_waitcnt lgkmcnt(0)
	ds_write_b128 v29, v[11:14] offset:7360
	ds_read_b128 v[11:14], v28 offset:6384
	s_waitcnt lgkmcnt(0)
	ds_write_b128 v29, v[11:14] offset:7872
.LBB84_230:
	s_or_b64 exec, exec, s[12:13]
	s_waitcnt lgkmcnt(0)
	s_barrier
	s_and_saveexec_b64 s[12:13], vcc
	s_cbranch_execz .LBB84_232
; %bb.231:
	v_mov_b32_e32 v38, 0
	ds_read_b128 v[11:14], v38 offset:7920
	ds_read_b128 v[28:31], v38 offset:7392
	;; [unrolled: 1-line block ×3, first 2 shown]
	s_waitcnt lgkmcnt(1)
	v_mul_f64 v[36:37], v[11:12], v[30:31]
	v_mul_f64 v[30:31], v[13:14], v[30:31]
	v_fma_f64 v[13:14], v[13:14], v[28:29], v[36:37]
	v_fma_f64 v[11:12], v[11:12], v[28:29], -v[30:31]
	s_waitcnt lgkmcnt(0)
	v_mul_f64 v[28:29], v[13:14], v[34:35]
	v_mul_f64 v[30:31], v[11:12], v[34:35]
	v_fma_f64 v[11:12], v[32:33], v[11:12], -v[28:29]
	v_fma_f64 v[13:14], v[32:33], v[13:14], v[30:31]
	ds_write_b128 v38, v[11:14] offset:7408
	ds_write_b128 v38, v[11:14] offset:7904
.LBB84_232:
	s_or_b64 exec, exec, s[12:13]
	v_and_b32_e32 v29, 15, v0
	s_movk_i32 s12, 0xff
	v_lshrrev_b32_e32 v31, 4, v1
	v_cmp_lt_u32_e64 s[14:15], s12, v1
	s_movk_i32 s12, 0x100
	v_lshlrev_b32_e32 v30, 4, v29
	v_mov_b32_e32 v13, 0
	v_mov_b32_e32 v11, 0
	v_cmp_gt_u32_e64 s[12:13], s12, v1
	v_mov_b32_e32 v14, 0
	v_mov_b32_e32 v12, 0
	v_lshl_or_b32 v28, v31, 9, v30
	s_waitcnt lgkmcnt(0)
	s_barrier
	s_and_saveexec_b64 s[90:91], s[12:13]
	s_cbranch_execz .LBB84_260
; %bb.233:
	v_mul_u32_u24_e32 v32, 0x210, v31
	ds_read_b128 v[11:14], v32
	ds_read_b128 v[33:36], v28 offset:256
	s_movk_i32 s18, 0xf0
	v_cmp_gt_u32_e64 s[18:19], s18, v1
	s_waitcnt lgkmcnt(0)
	v_mul_f64 v[37:38], v[13:14], v[35:36]
	v_mul_f64 v[35:36], v[11:12], v[35:36]
	v_fma_f64 v[11:12], v[11:12], v[33:34], -v[37:38]
	v_fma_f64 v[13:14], v[13:14], v[33:34], v[35:36]
	v_add_f64 v[11:12], v[11:12], 0
	v_add_f64 v[13:14], v[13:14], 0
	s_and_saveexec_b64 s[92:93], s[18:19]
	s_cbranch_execz .LBB84_235
; %bb.234:
	ds_read_b128 v[33:36], v32 offset:16
	ds_read_b128 v[37:40], v28 offset:768
	s_waitcnt lgkmcnt(0)
	v_mul_f64 v[41:42], v[35:36], v[39:40]
	v_mul_f64 v[39:40], v[33:34], v[39:40]
	v_fma_f64 v[33:34], v[33:34], v[37:38], -v[41:42]
	v_fma_f64 v[35:36], v[35:36], v[37:38], v[39:40]
	v_add_f64 v[11:12], v[11:12], v[33:34]
	v_add_f64 v[13:14], v[13:14], v[35:36]
.LBB84_235:
	s_or_b64 exec, exec, s[92:93]
	s_movk_i32 s18, 0xe0
	v_cmp_gt_u32_e64 s[18:19], s18, v1
	s_and_saveexec_b64 s[92:93], s[18:19]
	s_cbranch_execz .LBB84_237
; %bb.236:
	ds_read_b128 v[33:36], v32 offset:32
	ds_read_b128 v[37:40], v28 offset:1280
	s_waitcnt lgkmcnt(0)
	v_mul_f64 v[41:42], v[35:36], v[39:40]
	v_mul_f64 v[39:40], v[33:34], v[39:40]
	v_fma_f64 v[33:34], v[33:34], v[37:38], -v[41:42]
	v_fma_f64 v[35:36], v[35:36], v[37:38], v[39:40]
	v_add_f64 v[11:12], v[11:12], v[33:34]
	v_add_f64 v[13:14], v[13:14], v[35:36]
.LBB84_237:
	s_or_b64 exec, exec, s[92:93]
	s_movk_i32 s18, 0xd0
	v_cmp_gt_u32_e64 s[18:19], s18, v1
	;; [unrolled: 16-line block ×10, first 2 shown]
	s_and_saveexec_b64 s[92:93], s[18:19]
	s_cbranch_execnz .LBB84_560
; %bb.254:
	s_or_b64 exec, exec, s[92:93]
	v_cmp_gt_u32_e64 s[18:19], 64, v1
	s_and_saveexec_b64 s[92:93], s[18:19]
	s_cbranch_execnz .LBB84_561
.LBB84_255:
	s_or_b64 exec, exec, s[92:93]
	v_cmp_gt_u32_e64 s[18:19], 48, v1
	s_and_saveexec_b64 s[92:93], s[18:19]
	s_cbranch_execnz .LBB84_562
.LBB84_256:
	s_or_b64 exec, exec, s[92:93]
	v_cmp_gt_u32_e64 s[18:19], 32, v1
	s_and_saveexec_b64 s[92:93], s[18:19]
	s_cbranch_execnz .LBB84_563
.LBB84_257:
	s_or_b64 exec, exec, s[92:93]
	v_cmp_gt_u32_e64 s[18:19], 16, v1
	s_and_saveexec_b64 s[92:93], s[18:19]
	s_cbranch_execz .LBB84_259
.LBB84_258:
	v_lshlrev_b32_e32 v36, 4, v0
	v_mov_b32_e32 v32, 0
	ds_read_b128 v[32:35], v32 offset:240
	ds_read_b128 v[36:39], v36 offset:7936
	s_waitcnt lgkmcnt(0)
	v_mul_f64 v[40:41], v[34:35], v[38:39]
	v_mul_f64 v[38:39], v[32:33], v[38:39]
	v_fma_f64 v[32:33], v[32:33], v[36:37], -v[40:41]
	v_fma_f64 v[34:35], v[34:35], v[36:37], v[38:39]
	v_add_f64 v[11:12], v[11:12], v[32:33]
	v_add_f64 v[13:14], v[13:14], v[34:35]
.LBB84_259:
	s_or_b64 exec, exec, s[92:93]
	v_xor_b32_e32 v12, 0x80000000, v12
	v_xor_b32_e32 v14, 0x80000000, v14
.LBB84_260:
	s_or_b64 exec, exec, s[90:91]
	v_mov_b32_e32 v32, 0x4000
	v_cmp_eq_u32_e64 s[18:19], 0, v29
	s_xor_b64 s[90:91], s[14:15], -1
	v_lshl_add_u32 v31, v31, 4, v32
	s_and_b64 s[18:19], s[18:19], s[90:91]
	s_and_saveexec_b64 s[14:15], s[18:19]
	s_cbranch_execz .LBB84_262
; %bb.261:
	v_mov_b32_e32 v32, 0
	ds_read_b128 v[32:35], v32 offset:8448
	s_waitcnt lgkmcnt(0)
	v_mul_f64 v[36:37], v[13:14], v[34:35]
	v_mul_f64 v[34:35], v[11:12], v[34:35]
	v_fma_f64 v[11:12], v[11:12], v[32:33], -v[36:37]
	v_fma_f64 v[13:14], v[13:14], v[32:33], v[34:35]
	ds_write_b128 v31, v[11:14]
.LBB84_262:
	s_or_b64 exec, exec, s[14:15]
	v_cmp_ne_u32_e64 s[14:15], 0, v29
	s_and_b64 s[18:19], s[14:15], s[90:91]
	s_waitcnt lgkmcnt(0)
	s_barrier
	s_and_saveexec_b64 s[14:15], s[18:19]
	s_cbranch_execz .LBB84_264
; %bb.263:
	ds_read_b128 v[32:35], v31
	ds_read_b128 v[36:39], v30 offset:8448
	s_waitcnt lgkmcnt(0)
	v_mul_f64 v[40:41], v[34:35], v[38:39]
	v_mul_f64 v[38:39], v[32:33], v[38:39]
	v_fma_f64 v[32:33], v[32:33], v[36:37], -v[40:41]
	v_fma_f64 v[34:35], v[34:35], v[36:37], v[38:39]
	v_add_f64 v[11:12], v[11:12], v[32:33]
	v_add_f64 v[13:14], v[13:14], v[34:35]
.LBB84_264:
	s_or_b64 exec, exec, s[14:15]
	v_cmp_eq_u32_e64 s[14:15], 1, v29
	s_and_b64 s[18:19], s[14:15], s[90:91]
	s_barrier
	s_and_saveexec_b64 s[14:15], s[18:19]
	s_cbranch_execz .LBB84_266
; %bb.265:
	v_mov_b32_e32 v32, 0
	ds_read_b128 v[32:35], v32 offset:8976
	s_waitcnt lgkmcnt(0)
	v_mul_f64 v[36:37], v[13:14], v[34:35]
	v_mul_f64 v[34:35], v[11:12], v[34:35]
	v_fma_f64 v[11:12], v[11:12], v[32:33], -v[36:37]
	v_fma_f64 v[13:14], v[13:14], v[32:33], v[34:35]
	ds_write_b128 v31, v[11:14]
.LBB84_266:
	s_or_b64 exec, exec, s[14:15]
	v_cmp_lt_u32_e64 s[14:15], 1, v29
	s_and_b64 s[18:19], s[14:15], s[90:91]
	s_waitcnt lgkmcnt(0)
	s_barrier
	s_and_saveexec_b64 s[14:15], s[18:19]
	s_cbranch_execz .LBB84_268
; %bb.267:
	ds_read_b128 v[32:35], v31
	ds_read_b128 v[36:39], v30 offset:8960
	s_waitcnt lgkmcnt(0)
	v_mul_f64 v[40:41], v[34:35], v[38:39]
	v_mul_f64 v[38:39], v[32:33], v[38:39]
	v_fma_f64 v[32:33], v[32:33], v[36:37], -v[40:41]
	v_fma_f64 v[34:35], v[34:35], v[36:37], v[38:39]
	v_add_f64 v[11:12], v[11:12], v[32:33]
	v_add_f64 v[13:14], v[13:14], v[34:35]
.LBB84_268:
	s_or_b64 exec, exec, s[14:15]
	v_cmp_eq_u32_e64 s[14:15], 2, v29
	s_and_b64 s[18:19], s[14:15], s[90:91]
	s_barrier
	s_and_saveexec_b64 s[14:15], s[18:19]
	s_cbranch_execz .LBB84_270
; %bb.269:
	v_mov_b32_e32 v32, 0
	ds_read_b128 v[32:35], v32 offset:9504
	s_waitcnt lgkmcnt(0)
	v_mul_f64 v[36:37], v[13:14], v[34:35]
	v_mul_f64 v[34:35], v[11:12], v[34:35]
	v_fma_f64 v[11:12], v[11:12], v[32:33], -v[36:37]
	v_fma_f64 v[13:14], v[13:14], v[32:33], v[34:35]
	ds_write_b128 v31, v[11:14]
.LBB84_270:
	s_or_b64 exec, exec, s[14:15]
	v_cmp_lt_u32_e64 s[14:15], 2, v29
	;; [unrolled: 34-line block ×13, first 2 shown]
	s_and_b64 s[18:19], s[14:15], s[90:91]
	s_waitcnt lgkmcnt(0)
	s_barrier
	s_and_saveexec_b64 s[14:15], s[18:19]
	s_cbranch_execz .LBB84_316
; %bb.315:
	ds_read_b128 v[32:35], v31
	ds_read_b128 v[36:39], v30 offset:15104
	s_waitcnt lgkmcnt(0)
	v_mul_f64 v[40:41], v[34:35], v[38:39]
	v_mul_f64 v[38:39], v[32:33], v[38:39]
	v_fma_f64 v[32:33], v[32:33], v[36:37], -v[40:41]
	v_fma_f64 v[34:35], v[34:35], v[36:37], v[38:39]
	v_add_f64 v[11:12], v[11:12], v[32:33]
	v_add_f64 v[13:14], v[13:14], v[34:35]
.LBB84_316:
	s_or_b64 exec, exec, s[14:15]
	v_cmp_eq_u32_e64 s[14:15], 14, v29
	s_and_b64 s[18:19], s[14:15], s[90:91]
	s_barrier
	s_and_saveexec_b64 s[14:15], s[18:19]
	s_cbranch_execz .LBB84_318
; %bb.317:
	v_mov_b32_e32 v30, 0
	ds_read_b128 v[32:35], v30 offset:15840
	s_waitcnt lgkmcnt(0)
	v_mul_f64 v[36:37], v[13:14], v[34:35]
	v_mul_f64 v[34:35], v[11:12], v[34:35]
	v_fma_f64 v[11:12], v[11:12], v[32:33], -v[36:37]
	v_fma_f64 v[13:14], v[13:14], v[32:33], v[34:35]
	ds_write_b128 v31, v[11:14]
.LBB84_318:
	s_or_b64 exec, exec, s[14:15]
	v_cmp_eq_u32_e64 s[14:15], 15, v29
	s_and_b64 s[14:15], s[14:15], s[90:91]
	s_waitcnt lgkmcnt(0)
	s_barrier
	s_and_saveexec_b64 s[18:19], s[14:15]
	s_cbranch_execz .LBB84_320
; %bb.319:
	v_mov_b32_e32 v29, 0
	ds_read_b128 v[32:35], v31
	ds_read_b128 v[36:39], v29 offset:15856
	s_waitcnt lgkmcnt(0)
	v_mul_f64 v[29:30], v[34:35], v[38:39]
	v_mul_f64 v[38:39], v[32:33], v[38:39]
	v_fma_f64 v[29:30], v[32:33], v[36:37], -v[29:30]
	v_fma_f64 v[32:33], v[34:35], v[36:37], v[38:39]
	v_add_f64 v[11:12], v[11:12], v[29:30]
	v_add_f64 v[13:14], v[13:14], v[32:33]
.LBB84_320:
	s_or_b64 exec, exec, s[18:19]
	s_barrier
	s_and_saveexec_b64 s[18:19], s[14:15]
	s_cbranch_execz .LBB84_322
; %bb.321:
	v_mov_b32_e32 v29, 0
	ds_read_b128 v[32:35], v29 offset:16368
	s_waitcnt lgkmcnt(0)
	v_mul_f64 v[29:30], v[13:14], v[34:35]
	v_mul_f64 v[34:35], v[11:12], v[34:35]
	v_fma_f64 v[11:12], v[11:12], v[32:33], -v[29:30]
	v_fma_f64 v[13:14], v[13:14], v[32:33], v[34:35]
	ds_write_b128 v31, v[11:14]
.LBB84_322:
	s_or_b64 exec, exec, s[18:19]
	s_waitcnt lgkmcnt(0)
	s_barrier
	s_barrier
	s_and_saveexec_b64 s[14:15], s[12:13]
; %bb.323:
	v_xor_b32_e32 v14, 0x80000000, v14
	v_xor_b32_e32 v12, 0x80000000, v12
	ds_write_b128 v28, v[11:14] offset:256
; %bb.324:
	s_or_b64 exec, exec, s[14:15]
	v_cmp_gt_u32_e64 s[12:13], 16, v0
	s_and_b64 s[12:13], s[10:11], s[12:13]
	s_waitcnt lgkmcnt(0)
	s_barrier
	s_barrier
	s_and_saveexec_b64 s[10:11], s[12:13]
	s_cbranch_execz .LBB84_326
; %bb.325:
	v_lshlrev_b32_e32 v28, 9, v0
	ds_read_b128 v[11:14], v28 offset:256
	s_movk_i32 s12, 0xfe10
	v_mad_i32_i24 v29, v0, s12, v28
	s_waitcnt lgkmcnt(0)
	ds_write_b128 v29, v[11:14] offset:8192
	ds_read_b128 v[11:14], v28 offset:272
	s_waitcnt lgkmcnt(0)
	ds_write_b128 v29, v[11:14] offset:8704
	ds_read_b128 v[11:14], v28 offset:288
	;; [unrolled: 3-line block ×15, first 2 shown]
	s_waitcnt lgkmcnt(0)
	ds_write_b128 v29, v[11:14] offset:15872
.LBB84_326:
	s_or_b64 exec, exec, s[10:11]
	s_waitcnt lgkmcnt(0)
	s_barrier
	s_and_saveexec_b64 s[10:11], vcc
	s_cbranch_execz .LBB84_328
; %bb.327:
	v_mov_b32_e32 v38, 0
	ds_read_b128 v[11:14], v38 offset:8976
	ds_read_b128 v[28:31], v38 offset:8448
	;; [unrolled: 1-line block ×3, first 2 shown]
	s_waitcnt lgkmcnt(1)
	v_mul_f64 v[36:37], v[11:12], v[30:31]
	v_mul_f64 v[30:31], v[13:14], v[30:31]
	v_fma_f64 v[13:14], v[13:14], v[28:29], v[36:37]
	v_fma_f64 v[11:12], v[11:12], v[28:29], -v[30:31]
	s_waitcnt lgkmcnt(0)
	v_mul_f64 v[28:29], v[13:14], v[34:35]
	v_mul_f64 v[30:31], v[11:12], v[34:35]
	v_fma_f64 v[11:12], v[32:33], v[11:12], -v[28:29]
	v_fma_f64 v[13:14], v[32:33], v[13:14], v[30:31]
	ds_write_b128 v38, v[11:14] offset:8464
	ds_write_b128 v38, v[11:14] offset:8960
.LBB84_328:
	s_or_b64 exec, exec, s[10:11]
	v_mov_b32_e32 v13, 0
	v_mov_b32_e32 v11, 0
	;; [unrolled: 1-line block ×4, first 2 shown]
	s_waitcnt lgkmcnt(0)
	s_barrier
	s_and_saveexec_b64 s[12:13], s[2:3]
	s_cbranch_execz .LBB84_332
; %bb.329:
	v_mul_u32_u24_e32 v11, 0x210, v17
	ds_read_b128 v[11:14], v11 offset:8448
	ds_read_b128 v[28:31], v15 offset:8480
	v_cmp_gt_u32_e64 s[10:11], 2, v1
	s_waitcnt lgkmcnt(0)
	v_mul_f64 v[32:33], v[13:14], v[30:31]
	v_mul_f64 v[30:31], v[11:12], v[30:31]
	v_fma_f64 v[11:12], v[11:12], v[28:29], -v[32:33]
	v_fma_f64 v[13:14], v[13:14], v[28:29], v[30:31]
	v_add_f64 v[11:12], v[11:12], 0
	v_add_f64 v[13:14], v[13:14], 0
	s_and_saveexec_b64 s[14:15], s[10:11]
	s_cbranch_execz .LBB84_331
; %bb.330:
	v_lshlrev_b32_e32 v32, 4, v0
	v_mov_b32_e32 v28, 0
	ds_read_b128 v[28:31], v28 offset:8464
	ds_read_b128 v[32:35], v32 offset:8992
	s_waitcnt lgkmcnt(0)
	v_mul_f64 v[36:37], v[30:31], v[34:35]
	v_mul_f64 v[34:35], v[28:29], v[34:35]
	v_fma_f64 v[28:29], v[28:29], v[32:33], -v[36:37]
	v_fma_f64 v[30:31], v[30:31], v[32:33], v[34:35]
	v_add_f64 v[11:12], v[11:12], v[28:29]
	v_add_f64 v[13:14], v[13:14], v[30:31]
.LBB84_331:
	s_or_b64 exec, exec, s[14:15]
	v_xor_b32_e32 v12, 0x80000000, v12
	v_xor_b32_e32 v14, 0x80000000, v14
.LBB84_332:
	s_or_b64 exec, exec, s[12:13]
	s_and_saveexec_b64 s[10:11], s[42:43]
	s_cbranch_execz .LBB84_334
; %bb.333:
	v_mov_b32_e32 v28, 0
	ds_read_b128 v[28:31], v28 offset:9504
	s_waitcnt lgkmcnt(0)
	v_mul_f64 v[32:33], v[13:14], v[30:31]
	v_mul_f64 v[30:31], v[11:12], v[30:31]
	v_fma_f64 v[11:12], v[11:12], v[28:29], -v[32:33]
	v_fma_f64 v[13:14], v[13:14], v[28:29], v[30:31]
	ds_write_b128 v16, v[11:14]
.LBB84_334:
	s_or_b64 exec, exec, s[10:11]
	s_waitcnt lgkmcnt(0)
	s_barrier
	s_and_saveexec_b64 s[10:11], s[24:25]
	s_cbranch_execz .LBB84_336
; %bb.335:
	v_mov_b32_e32 v32, 0
	ds_read_b128 v[28:31], v16
	ds_read_b128 v[32:35], v32 offset:9520
	s_waitcnt lgkmcnt(0)
	v_mul_f64 v[36:37], v[30:31], v[34:35]
	v_mul_f64 v[34:35], v[28:29], v[34:35]
	v_fma_f64 v[28:29], v[28:29], v[32:33], -v[36:37]
	v_fma_f64 v[30:31], v[30:31], v[32:33], v[34:35]
	v_add_f64 v[11:12], v[11:12], v[28:29]
	v_add_f64 v[13:14], v[13:14], v[30:31]
.LBB84_336:
	s_or_b64 exec, exec, s[10:11]
	s_barrier
	s_and_saveexec_b64 s[10:11], s[24:25]
	s_cbranch_execz .LBB84_338
; %bb.337:
	v_mov_b32_e32 v28, 0
	ds_read_b128 v[28:31], v28 offset:10032
	s_waitcnt lgkmcnt(0)
	v_mul_f64 v[32:33], v[13:14], v[30:31]
	v_mul_f64 v[30:31], v[11:12], v[30:31]
	v_fma_f64 v[11:12], v[11:12], v[28:29], -v[32:33]
	v_fma_f64 v[13:14], v[13:14], v[28:29], v[30:31]
	ds_write_b128 v16, v[11:14]
.LBB84_338:
	s_or_b64 exec, exec, s[10:11]
	s_waitcnt lgkmcnt(0)
	s_barrier
	s_barrier
	s_and_saveexec_b64 s[10:11], s[2:3]
; %bb.339:
	v_xor_b32_e32 v12, 0x80000000, v12
	v_xor_b32_e32 v14, 0x80000000, v14
	ds_write_b128 v15, v[11:14] offset:8480
; %bb.340:
	s_or_b64 exec, exec, s[10:11]
	s_waitcnt lgkmcnt(0)
	s_barrier
	s_barrier
	s_and_saveexec_b64 s[10:11], s[44:45]
	s_cbranch_execz .LBB84_342
; %bb.341:
	v_lshlrev_b32_e32 v28, 9, v0
	ds_read_b128 v[11:14], v28 offset:8480
	s_movk_i32 s12, 0xfe10
	v_mad_i32_i24 v29, v0, s12, v28
	s_waitcnt lgkmcnt(0)
	ds_write_b128 v29, v[11:14] offset:9472
	ds_read_b128 v[11:14], v28 offset:8496
	s_waitcnt lgkmcnt(0)
	ds_write_b128 v29, v[11:14] offset:9984
.LBB84_342:
	s_or_b64 exec, exec, s[10:11]
	s_waitcnt lgkmcnt(0)
	s_barrier
	s_and_saveexec_b64 s[10:11], vcc
	s_cbranch_execz .LBB84_344
; %bb.343:
	v_mov_b32_e32 v38, 0
	ds_read_b128 v[11:14], v38 offset:10032
	ds_read_b128 v[28:31], v38 offset:9504
	ds_read_b128 v[32:35], v38 offset:9520
	s_waitcnt lgkmcnt(1)
	v_mul_f64 v[36:37], v[11:12], v[30:31]
	v_mul_f64 v[30:31], v[13:14], v[30:31]
	v_fma_f64 v[13:14], v[13:14], v[28:29], v[36:37]
	v_fma_f64 v[11:12], v[11:12], v[28:29], -v[30:31]
	s_waitcnt lgkmcnt(0)
	v_mul_f64 v[28:29], v[13:14], v[34:35]
	v_mul_f64 v[30:31], v[11:12], v[34:35]
	v_fma_f64 v[11:12], v[32:33], v[11:12], -v[28:29]
	v_fma_f64 v[13:14], v[32:33], v[13:14], v[30:31]
	ds_write_b128 v38, v[11:14] offset:9520
	ds_write_b128 v38, v[11:14] offset:10016
.LBB84_344:
	s_or_b64 exec, exec, s[10:11]
	v_mov_b32_e32 v13, 0
	v_mov_b32_e32 v11, 0
	;; [unrolled: 1-line block ×4, first 2 shown]
	s_waitcnt lgkmcnt(0)
	s_barrier
	s_and_saveexec_b64 s[12:13], s[16:17]
	s_cbranch_execz .LBB84_350
; %bb.345:
	v_mul_u32_u24_e32 v28, 0x210, v22
	ds_read_b128 v[11:14], v28 offset:8448
	ds_read_b128 v[29:32], v18 offset:8512
	v_cmp_gt_u32_e64 s[10:11], 12, v1
	s_waitcnt lgkmcnt(0)
	v_mul_f64 v[33:34], v[13:14], v[31:32]
	v_mul_f64 v[31:32], v[11:12], v[31:32]
	v_fma_f64 v[11:12], v[11:12], v[29:30], -v[33:34]
	v_fma_f64 v[13:14], v[13:14], v[29:30], v[31:32]
	v_add_f64 v[11:12], v[11:12], 0
	v_add_f64 v[13:14], v[13:14], 0
	s_and_saveexec_b64 s[14:15], s[10:11]
	s_cbranch_execnz .LBB84_564
; %bb.346:
	s_or_b64 exec, exec, s[14:15]
	v_cmp_gt_u32_e64 s[10:11], 8, v1
	s_and_saveexec_b64 s[14:15], s[10:11]
	s_cbranch_execnz .LBB84_565
.LBB84_347:
	s_or_b64 exec, exec, s[14:15]
	v_cmp_gt_u32_e64 s[10:11], 4, v1
	s_and_saveexec_b64 s[14:15], s[10:11]
	s_cbranch_execz .LBB84_349
.LBB84_348:
	v_lshlrev_b32_e32 v32, 4, v0
	v_mov_b32_e32 v28, 0
	ds_read_b128 v[28:31], v28 offset:8496
	ds_read_b128 v[32:35], v32 offset:10048
	s_waitcnt lgkmcnt(0)
	v_mul_f64 v[36:37], v[30:31], v[34:35]
	v_mul_f64 v[34:35], v[28:29], v[34:35]
	v_fma_f64 v[28:29], v[28:29], v[32:33], -v[36:37]
	v_fma_f64 v[30:31], v[30:31], v[32:33], v[34:35]
	v_add_f64 v[11:12], v[11:12], v[28:29]
	v_add_f64 v[13:14], v[13:14], v[30:31]
.LBB84_349:
	s_or_b64 exec, exec, s[14:15]
	v_xor_b32_e32 v12, 0x80000000, v12
	v_xor_b32_e32 v14, 0x80000000, v14
.LBB84_350:
	s_or_b64 exec, exec, s[12:13]
	s_and_saveexec_b64 s[10:11], s[48:49]
	s_cbranch_execz .LBB84_352
; %bb.351:
	v_mov_b32_e32 v28, 0
	ds_read_b128 v[28:31], v28 offset:10560
	s_waitcnt lgkmcnt(0)
	v_mul_f64 v[32:33], v[13:14], v[30:31]
	v_mul_f64 v[30:31], v[11:12], v[30:31]
	v_fma_f64 v[11:12], v[11:12], v[28:29], -v[32:33]
	v_fma_f64 v[13:14], v[13:14], v[28:29], v[30:31]
	ds_write_b128 v20, v[11:14]
.LBB84_352:
	s_or_b64 exec, exec, s[10:11]
	s_waitcnt lgkmcnt(0)
	s_barrier
	s_and_saveexec_b64 s[10:11], s[50:51]
	s_cbranch_execz .LBB84_354
; %bb.353:
	ds_read_b128 v[28:31], v20
	ds_read_b128 v[32:35], v19 offset:10560
	s_waitcnt lgkmcnt(0)
	v_mul_f64 v[36:37], v[30:31], v[34:35]
	v_mul_f64 v[34:35], v[28:29], v[34:35]
	v_fma_f64 v[28:29], v[28:29], v[32:33], -v[36:37]
	v_fma_f64 v[30:31], v[30:31], v[32:33], v[34:35]
	v_add_f64 v[11:12], v[11:12], v[28:29]
	v_add_f64 v[13:14], v[13:14], v[30:31]
.LBB84_354:
	s_or_b64 exec, exec, s[10:11]
	s_barrier
	s_and_saveexec_b64 s[10:11], s[52:53]
	s_cbranch_execz .LBB84_356
; %bb.355:
	v_mov_b32_e32 v28, 0
	ds_read_b128 v[28:31], v28 offset:11088
	s_waitcnt lgkmcnt(0)
	v_mul_f64 v[32:33], v[13:14], v[30:31]
	v_mul_f64 v[30:31], v[11:12], v[30:31]
	v_fma_f64 v[11:12], v[11:12], v[28:29], -v[32:33]
	v_fma_f64 v[13:14], v[13:14], v[28:29], v[30:31]
	ds_write_b128 v20, v[11:14]
.LBB84_356:
	s_or_b64 exec, exec, s[10:11]
	s_waitcnt lgkmcnt(0)
	s_barrier
	s_and_saveexec_b64 s[10:11], s[54:55]
	s_cbranch_execz .LBB84_358
; %bb.357:
	ds_read_b128 v[28:31], v20
	ds_read_b128 v[32:35], v19 offset:11072
	s_waitcnt lgkmcnt(0)
	v_mul_f64 v[36:37], v[30:31], v[34:35]
	v_mul_f64 v[34:35], v[28:29], v[34:35]
	v_fma_f64 v[28:29], v[28:29], v[32:33], -v[36:37]
	v_fma_f64 v[30:31], v[30:31], v[32:33], v[34:35]
	v_add_f64 v[11:12], v[11:12], v[28:29]
	v_add_f64 v[13:14], v[13:14], v[30:31]
.LBB84_358:
	s_or_b64 exec, exec, s[10:11]
	s_barrier
	s_and_saveexec_b64 s[10:11], s[56:57]
	s_cbranch_execz .LBB84_360
; %bb.359:
	v_mov_b32_e32 v28, 0
	ds_read_b128 v[28:31], v28 offset:11616
	s_waitcnt lgkmcnt(0)
	v_mul_f64 v[32:33], v[13:14], v[30:31]
	v_mul_f64 v[30:31], v[11:12], v[30:31]
	v_fma_f64 v[11:12], v[11:12], v[28:29], -v[32:33]
	v_fma_f64 v[13:14], v[13:14], v[28:29], v[30:31]
	ds_write_b128 v20, v[11:14]
.LBB84_360:
	s_or_b64 exec, exec, s[10:11]
	s_waitcnt lgkmcnt(0)
	s_barrier
	s_and_saveexec_b64 s[10:11], s[46:47]
	s_cbranch_execz .LBB84_362
; %bb.361:
	v_mov_b32_e32 v32, 0
	ds_read_b128 v[28:31], v20
	ds_read_b128 v[32:35], v32 offset:11632
	s_waitcnt lgkmcnt(0)
	v_mul_f64 v[36:37], v[30:31], v[34:35]
	v_mul_f64 v[34:35], v[28:29], v[34:35]
	v_fma_f64 v[28:29], v[28:29], v[32:33], -v[36:37]
	v_fma_f64 v[30:31], v[30:31], v[32:33], v[34:35]
	v_add_f64 v[11:12], v[11:12], v[28:29]
	v_add_f64 v[13:14], v[13:14], v[30:31]
.LBB84_362:
	s_or_b64 exec, exec, s[10:11]
	s_barrier
	s_and_saveexec_b64 s[10:11], s[46:47]
	s_cbranch_execz .LBB84_364
; %bb.363:
	v_mov_b32_e32 v28, 0
	ds_read_b128 v[28:31], v28 offset:12144
	s_waitcnt lgkmcnt(0)
	v_mul_f64 v[32:33], v[13:14], v[30:31]
	v_mul_f64 v[30:31], v[11:12], v[30:31]
	v_fma_f64 v[11:12], v[11:12], v[28:29], -v[32:33]
	v_fma_f64 v[13:14], v[13:14], v[28:29], v[30:31]
	ds_write_b128 v20, v[11:14]
.LBB84_364:
	s_or_b64 exec, exec, s[10:11]
	s_waitcnt lgkmcnt(0)
	s_barrier
	s_barrier
	s_and_saveexec_b64 s[10:11], s[16:17]
; %bb.365:
	v_xor_b32_e32 v14, 0x80000000, v14
	v_xor_b32_e32 v12, 0x80000000, v12
	ds_write_b128 v18, v[11:14] offset:8512
; %bb.366:
	s_or_b64 exec, exec, s[10:11]
	s_waitcnt lgkmcnt(0)
	s_barrier
	s_barrier
	s_and_saveexec_b64 s[10:11], s[58:59]
	s_cbranch_execz .LBB84_368
; %bb.367:
	v_lshlrev_b32_e32 v28, 4, v0
	s_movk_i32 s12, 0x1f0
	v_mad_u32_u24 v29, v0, s12, v28
	ds_read_b128 v[11:14], v29 offset:8512
	s_waitcnt lgkmcnt(0)
	ds_write_b128 v28, v[11:14] offset:10496
	ds_read_b128 v[11:14], v29 offset:8528
	s_waitcnt lgkmcnt(0)
	ds_write_b128 v28, v[11:14] offset:11008
	;; [unrolled: 3-line block ×4, first 2 shown]
.LBB84_368:
	s_or_b64 exec, exec, s[10:11]
	s_waitcnt lgkmcnt(0)
	s_barrier
	s_and_saveexec_b64 s[10:11], vcc
	s_cbranch_execz .LBB84_370
; %bb.369:
	v_mov_b32_e32 v38, 0
	ds_read_b128 v[11:14], v38 offset:11088
	ds_read_b128 v[28:31], v38 offset:10560
	;; [unrolled: 1-line block ×3, first 2 shown]
	s_waitcnt lgkmcnt(1)
	v_mul_f64 v[36:37], v[11:12], v[30:31]
	v_mul_f64 v[30:31], v[13:14], v[30:31]
	v_fma_f64 v[13:14], v[13:14], v[28:29], v[36:37]
	v_fma_f64 v[11:12], v[11:12], v[28:29], -v[30:31]
	s_waitcnt lgkmcnt(0)
	v_mul_f64 v[28:29], v[13:14], v[34:35]
	v_mul_f64 v[30:31], v[11:12], v[34:35]
	v_fma_f64 v[11:12], v[32:33], v[11:12], -v[28:29]
	v_fma_f64 v[13:14], v[32:33], v[13:14], v[30:31]
	ds_write_b128 v38, v[11:14] offset:10576
	ds_write_b128 v38, v[11:14] offset:11072
.LBB84_370:
	s_or_b64 exec, exec, s[10:11]
	v_mov_b32_e32 v13, 0
	v_mov_b32_e32 v11, 0
	;; [unrolled: 1-line block ×4, first 2 shown]
	s_waitcnt lgkmcnt(0)
	s_barrier
	s_and_saveexec_b64 s[12:13], s[2:3]
	s_cbranch_execz .LBB84_374
; %bb.371:
	v_mul_u32_u24_e32 v11, 0x210, v17
	ds_read_b128 v[11:14], v11 offset:10560
	ds_read_b128 v[28:31], v15 offset:10592
	v_cmp_gt_u32_e64 s[10:11], 2, v1
	s_waitcnt lgkmcnt(0)
	v_mul_f64 v[32:33], v[13:14], v[30:31]
	v_mul_f64 v[30:31], v[11:12], v[30:31]
	v_fma_f64 v[11:12], v[11:12], v[28:29], -v[32:33]
	v_fma_f64 v[13:14], v[13:14], v[28:29], v[30:31]
	v_add_f64 v[11:12], v[11:12], 0
	v_add_f64 v[13:14], v[13:14], 0
	s_and_saveexec_b64 s[14:15], s[10:11]
	s_cbranch_execz .LBB84_373
; %bb.372:
	v_lshlrev_b32_e32 v32, 4, v0
	v_mov_b32_e32 v28, 0
	ds_read_b128 v[28:31], v28 offset:10576
	ds_read_b128 v[32:35], v32 offset:11104
	s_waitcnt lgkmcnt(0)
	v_mul_f64 v[36:37], v[30:31], v[34:35]
	v_mul_f64 v[34:35], v[28:29], v[34:35]
	v_fma_f64 v[28:29], v[28:29], v[32:33], -v[36:37]
	v_fma_f64 v[30:31], v[30:31], v[32:33], v[34:35]
	v_add_f64 v[11:12], v[11:12], v[28:29]
	v_add_f64 v[13:14], v[13:14], v[30:31]
.LBB84_373:
	s_or_b64 exec, exec, s[14:15]
	v_xor_b32_e32 v12, 0x80000000, v12
	v_xor_b32_e32 v14, 0x80000000, v14
.LBB84_374:
	s_or_b64 exec, exec, s[12:13]
	s_and_saveexec_b64 s[10:11], s[42:43]
	s_cbranch_execz .LBB84_376
; %bb.375:
	v_mov_b32_e32 v28, 0
	ds_read_b128 v[28:31], v28 offset:11616
	s_waitcnt lgkmcnt(0)
	v_mul_f64 v[32:33], v[13:14], v[30:31]
	v_mul_f64 v[30:31], v[11:12], v[30:31]
	v_fma_f64 v[11:12], v[11:12], v[28:29], -v[32:33]
	v_fma_f64 v[13:14], v[13:14], v[28:29], v[30:31]
	ds_write_b128 v16, v[11:14]
.LBB84_376:
	s_or_b64 exec, exec, s[10:11]
	s_waitcnt lgkmcnt(0)
	s_barrier
	s_and_saveexec_b64 s[10:11], s[24:25]
	s_cbranch_execz .LBB84_378
; %bb.377:
	v_mov_b32_e32 v32, 0
	ds_read_b128 v[28:31], v16
	ds_read_b128 v[32:35], v32 offset:11632
	s_waitcnt lgkmcnt(0)
	v_mul_f64 v[36:37], v[30:31], v[34:35]
	v_mul_f64 v[34:35], v[28:29], v[34:35]
	v_fma_f64 v[28:29], v[28:29], v[32:33], -v[36:37]
	v_fma_f64 v[30:31], v[30:31], v[32:33], v[34:35]
	v_add_f64 v[11:12], v[11:12], v[28:29]
	v_add_f64 v[13:14], v[13:14], v[30:31]
.LBB84_378:
	s_or_b64 exec, exec, s[10:11]
	s_barrier
	s_and_saveexec_b64 s[10:11], s[24:25]
	s_cbranch_execz .LBB84_380
; %bb.379:
	v_mov_b32_e32 v28, 0
	ds_read_b128 v[28:31], v28 offset:12144
	s_waitcnt lgkmcnt(0)
	v_mul_f64 v[32:33], v[13:14], v[30:31]
	v_mul_f64 v[30:31], v[11:12], v[30:31]
	v_fma_f64 v[11:12], v[11:12], v[28:29], -v[32:33]
	v_fma_f64 v[13:14], v[13:14], v[28:29], v[30:31]
	ds_write_b128 v16, v[11:14]
.LBB84_380:
	s_or_b64 exec, exec, s[10:11]
	s_waitcnt lgkmcnt(0)
	s_barrier
	s_barrier
	s_and_saveexec_b64 s[10:11], s[2:3]
; %bb.381:
	v_xor_b32_e32 v12, 0x80000000, v12
	v_xor_b32_e32 v14, 0x80000000, v14
	ds_write_b128 v15, v[11:14] offset:10592
; %bb.382:
	s_or_b64 exec, exec, s[10:11]
	s_waitcnt lgkmcnt(0)
	s_barrier
	s_barrier
	s_and_saveexec_b64 s[10:11], s[44:45]
	s_cbranch_execz .LBB84_384
; %bb.383:
	v_lshlrev_b32_e32 v28, 9, v0
	ds_read_b128 v[11:14], v28 offset:10592
	s_movk_i32 s12, 0xfe10
	v_mad_i32_i24 v29, v0, s12, v28
	s_waitcnt lgkmcnt(0)
	ds_write_b128 v29, v[11:14] offset:11584
	ds_read_b128 v[11:14], v28 offset:10608
	s_waitcnt lgkmcnt(0)
	ds_write_b128 v29, v[11:14] offset:12096
.LBB84_384:
	s_or_b64 exec, exec, s[10:11]
	s_waitcnt lgkmcnt(0)
	s_barrier
	s_and_saveexec_b64 s[10:11], vcc
	s_cbranch_execz .LBB84_386
; %bb.385:
	v_mov_b32_e32 v38, 0
	ds_read_b128 v[11:14], v38 offset:12144
	ds_read_b128 v[28:31], v38 offset:11616
	;; [unrolled: 1-line block ×3, first 2 shown]
	s_waitcnt lgkmcnt(1)
	v_mul_f64 v[36:37], v[11:12], v[30:31]
	v_mul_f64 v[30:31], v[13:14], v[30:31]
	v_fma_f64 v[13:14], v[13:14], v[28:29], v[36:37]
	v_fma_f64 v[11:12], v[11:12], v[28:29], -v[30:31]
	s_waitcnt lgkmcnt(0)
	v_mul_f64 v[28:29], v[13:14], v[34:35]
	v_mul_f64 v[30:31], v[11:12], v[34:35]
	v_fma_f64 v[11:12], v[32:33], v[11:12], -v[28:29]
	v_fma_f64 v[13:14], v[32:33], v[13:14], v[30:31]
	ds_write_b128 v38, v[11:14] offset:11632
	ds_write_b128 v38, v[11:14] offset:12128
.LBB84_386:
	s_or_b64 exec, exec, s[10:11]
	v_mov_b32_e32 v13, 0
	v_mov_b32_e32 v11, 0
	;; [unrolled: 1-line block ×4, first 2 shown]
	s_waitcnt lgkmcnt(0)
	s_barrier
	s_and_saveexec_b64 s[12:13], s[8:9]
	s_cbranch_execz .LBB84_396
; %bb.387:
	v_mul_u32_u24_e32 v28, 0x210, v27
	ds_read_b128 v[11:14], v28 offset:8448
	ds_read_b128 v[29:32], v23 offset:8576
	v_cmp_gt_u32_e64 s[10:11], 56, v1
	s_waitcnt lgkmcnt(0)
	v_mul_f64 v[33:34], v[13:14], v[31:32]
	v_mul_f64 v[31:32], v[11:12], v[31:32]
	v_fma_f64 v[11:12], v[11:12], v[29:30], -v[33:34]
	v_fma_f64 v[13:14], v[13:14], v[29:30], v[31:32]
	v_add_f64 v[11:12], v[11:12], 0
	v_add_f64 v[13:14], v[13:14], 0
	s_and_saveexec_b64 s[14:15], s[10:11]
	s_cbranch_execnz .LBB84_566
; %bb.388:
	s_or_b64 exec, exec, s[14:15]
	v_cmp_gt_u32_e64 s[10:11], 48, v1
	s_and_saveexec_b64 s[14:15], s[10:11]
	s_cbranch_execnz .LBB84_567
.LBB84_389:
	s_or_b64 exec, exec, s[14:15]
	v_cmp_gt_u32_e64 s[10:11], 40, v1
	s_and_saveexec_b64 s[14:15], s[10:11]
	s_cbranch_execnz .LBB84_568
.LBB84_390:
	s_or_b64 exec, exec, s[14:15]
	v_cmp_gt_u32_e64 s[10:11], 32, v1
	s_and_saveexec_b64 s[14:15], s[10:11]
	s_cbranch_execnz .LBB84_569
.LBB84_391:
	s_or_b64 exec, exec, s[14:15]
	v_cmp_gt_u32_e64 s[10:11], 24, v1
	s_and_saveexec_b64 s[14:15], s[10:11]
	s_cbranch_execnz .LBB84_570
.LBB84_392:
	s_or_b64 exec, exec, s[14:15]
	v_cmp_gt_u32_e64 s[10:11], 16, v1
	s_and_saveexec_b64 s[14:15], s[10:11]
	s_cbranch_execnz .LBB84_571
.LBB84_393:
	s_or_b64 exec, exec, s[14:15]
	v_cmp_gt_u32_e64 s[10:11], 8, v1
	s_and_saveexec_b64 s[14:15], s[10:11]
	s_cbranch_execz .LBB84_395
.LBB84_394:
	v_lshlrev_b32_e32 v30, 4, v0
	v_mov_b32_e32 v26, 0
	ds_read_b128 v[26:29], v26 offset:8560
	ds_read_b128 v[30:33], v30 offset:12160
	s_waitcnt lgkmcnt(0)
	v_mul_f64 v[34:35], v[28:29], v[32:33]
	v_mul_f64 v[32:33], v[26:27], v[32:33]
	v_fma_f64 v[26:27], v[26:27], v[30:31], -v[34:35]
	v_fma_f64 v[28:29], v[28:29], v[30:31], v[32:33]
	v_add_f64 v[11:12], v[11:12], v[26:27]
	v_add_f64 v[13:14], v[13:14], v[28:29]
.LBB84_395:
	s_or_b64 exec, exec, s[14:15]
	v_xor_b32_e32 v12, 0x80000000, v12
	v_xor_b32_e32 v14, 0x80000000, v14
.LBB84_396:
	s_or_b64 exec, exec, s[12:13]
	s_and_saveexec_b64 s[10:11], s[0:1]
	s_cbranch_execz .LBB84_398
; %bb.397:
	v_mov_b32_e32 v26, 0
	ds_read_b128 v[26:29], v26 offset:12672
	s_waitcnt lgkmcnt(0)
	v_mul_f64 v[30:31], v[13:14], v[28:29]
	v_mul_f64 v[28:29], v[11:12], v[28:29]
	v_fma_f64 v[11:12], v[11:12], v[26:27], -v[30:31]
	v_fma_f64 v[13:14], v[13:14], v[26:27], v[28:29]
	ds_write_b128 v25, v[11:14]
.LBB84_398:
	s_or_b64 exec, exec, s[10:11]
	s_waitcnt lgkmcnt(0)
	s_barrier
	s_and_saveexec_b64 s[10:11], s[64:65]
	s_cbranch_execz .LBB84_400
; %bb.399:
	ds_read_b128 v[26:29], v25
	ds_read_b128 v[30:33], v24 offset:12672
	s_waitcnt lgkmcnt(0)
	v_mul_f64 v[34:35], v[28:29], v[32:33]
	v_mul_f64 v[32:33], v[26:27], v[32:33]
	v_fma_f64 v[26:27], v[26:27], v[30:31], -v[34:35]
	v_fma_f64 v[28:29], v[28:29], v[30:31], v[32:33]
	v_add_f64 v[11:12], v[11:12], v[26:27]
	v_add_f64 v[13:14], v[13:14], v[28:29]
.LBB84_400:
	s_or_b64 exec, exec, s[10:11]
	s_barrier
	s_and_saveexec_b64 s[10:11], s[66:67]
	s_cbranch_execz .LBB84_402
; %bb.401:
	v_mov_b32_e32 v26, 0
	ds_read_b128 v[26:29], v26 offset:13200
	s_waitcnt lgkmcnt(0)
	v_mul_f64 v[30:31], v[13:14], v[28:29]
	v_mul_f64 v[28:29], v[11:12], v[28:29]
	v_fma_f64 v[11:12], v[11:12], v[26:27], -v[30:31]
	v_fma_f64 v[13:14], v[13:14], v[26:27], v[28:29]
	ds_write_b128 v25, v[11:14]
.LBB84_402:
	s_or_b64 exec, exec, s[10:11]
	s_waitcnt lgkmcnt(0)
	s_barrier
	s_and_saveexec_b64 s[10:11], s[68:69]
	s_cbranch_execz .LBB84_404
; %bb.403:
	ds_read_b128 v[26:29], v25
	ds_read_b128 v[30:33], v24 offset:13184
	s_waitcnt lgkmcnt(0)
	v_mul_f64 v[34:35], v[28:29], v[32:33]
	v_mul_f64 v[32:33], v[26:27], v[32:33]
	v_fma_f64 v[26:27], v[26:27], v[30:31], -v[34:35]
	v_fma_f64 v[28:29], v[28:29], v[30:31], v[32:33]
	v_add_f64 v[11:12], v[11:12], v[26:27]
	v_add_f64 v[13:14], v[13:14], v[28:29]
.LBB84_404:
	s_or_b64 exec, exec, s[10:11]
	s_barrier
	;; [unrolled: 30-line block ×6, first 2 shown]
	s_and_saveexec_b64 s[10:11], s[86:87]
	s_cbranch_execz .LBB84_422
; %bb.421:
	v_mov_b32_e32 v24, 0
	ds_read_b128 v[26:29], v24 offset:15840
	s_waitcnt lgkmcnt(0)
	v_mul_f64 v[30:31], v[13:14], v[28:29]
	v_mul_f64 v[28:29], v[11:12], v[28:29]
	v_fma_f64 v[11:12], v[11:12], v[26:27], -v[30:31]
	v_fma_f64 v[13:14], v[13:14], v[26:27], v[28:29]
	ds_write_b128 v25, v[11:14]
.LBB84_422:
	s_or_b64 exec, exec, s[10:11]
	s_waitcnt lgkmcnt(0)
	s_barrier
	s_and_saveexec_b64 s[10:11], s[60:61]
	s_cbranch_execz .LBB84_424
; %bb.423:
	v_mov_b32_e32 v24, 0
	ds_read_b128 v[26:29], v25
	ds_read_b128 v[30:33], v24 offset:15856
	s_waitcnt lgkmcnt(0)
	v_mul_f64 v[34:35], v[28:29], v[32:33]
	v_mul_f64 v[32:33], v[26:27], v[32:33]
	v_fma_f64 v[26:27], v[26:27], v[30:31], -v[34:35]
	v_fma_f64 v[28:29], v[28:29], v[30:31], v[32:33]
	v_add_f64 v[11:12], v[11:12], v[26:27]
	v_add_f64 v[13:14], v[13:14], v[28:29]
.LBB84_424:
	s_or_b64 exec, exec, s[10:11]
	s_barrier
	s_and_saveexec_b64 s[10:11], s[60:61]
	s_cbranch_execz .LBB84_426
; %bb.425:
	v_mov_b32_e32 v24, 0
	ds_read_b128 v[26:29], v24 offset:16368
	s_waitcnt lgkmcnt(0)
	v_mul_f64 v[30:31], v[13:14], v[28:29]
	v_mul_f64 v[28:29], v[11:12], v[28:29]
	v_fma_f64 v[11:12], v[11:12], v[26:27], -v[30:31]
	v_fma_f64 v[13:14], v[13:14], v[26:27], v[28:29]
	ds_write_b128 v25, v[11:14]
.LBB84_426:
	s_or_b64 exec, exec, s[10:11]
	s_waitcnt lgkmcnt(0)
	s_barrier
	s_barrier
	s_and_saveexec_b64 s[10:11], s[8:9]
; %bb.427:
	v_xor_b32_e32 v12, 0x80000000, v12
	v_xor_b32_e32 v14, 0x80000000, v14
	ds_write_b128 v23, v[11:14] offset:8576
; %bb.428:
	s_or_b64 exec, exec, s[10:11]
	s_waitcnt lgkmcnt(0)
	s_barrier
	s_barrier
	s_and_saveexec_b64 s[8:9], s[88:89]
	s_cbranch_execz .LBB84_430
; %bb.429:
	v_lshlrev_b32_e32 v23, 9, v0
	ds_read_b128 v[11:14], v23 offset:8576
	s_movk_i32 s0, 0xfe10
	v_mad_i32_i24 v24, v0, s0, v23
	s_waitcnt lgkmcnt(0)
	ds_write_b128 v24, v[11:14] offset:12544
	ds_read_b128 v[11:14], v23 offset:8592
	s_waitcnt lgkmcnt(0)
	ds_write_b128 v24, v[11:14] offset:13056
	ds_read_b128 v[11:14], v23 offset:8608
	;; [unrolled: 3-line block ×7, first 2 shown]
	s_waitcnt lgkmcnt(0)
	ds_write_b128 v24, v[11:14] offset:16128
.LBB84_430:
	s_or_b64 exec, exec, s[8:9]
	s_waitcnt lgkmcnt(0)
	s_barrier
	s_and_saveexec_b64 s[8:9], vcc
	s_cbranch_execz .LBB84_432
; %bb.431:
	v_mov_b32_e32 v33, 0
	ds_read_b128 v[11:14], v33 offset:13200
	ds_read_b128 v[23:26], v33 offset:12672
	;; [unrolled: 1-line block ×3, first 2 shown]
	s_waitcnt lgkmcnt(1)
	v_mul_f64 v[31:32], v[11:12], v[25:26]
	v_mul_f64 v[25:26], v[13:14], v[25:26]
	v_fma_f64 v[13:14], v[13:14], v[23:24], v[31:32]
	v_fma_f64 v[11:12], v[11:12], v[23:24], -v[25:26]
	s_waitcnt lgkmcnt(0)
	v_mul_f64 v[23:24], v[13:14], v[29:30]
	v_mul_f64 v[25:26], v[11:12], v[29:30]
	v_fma_f64 v[11:12], v[27:28], v[11:12], -v[23:24]
	v_fma_f64 v[13:14], v[27:28], v[13:14], v[25:26]
	ds_write_b128 v33, v[11:14] offset:12688
	ds_write_b128 v33, v[11:14] offset:13184
.LBB84_432:
	s_or_b64 exec, exec, s[8:9]
	v_mov_b32_e32 v13, 0
	v_mov_b32_e32 v11, 0
	;; [unrolled: 1-line block ×4, first 2 shown]
	s_waitcnt lgkmcnt(0)
	s_barrier
	s_and_saveexec_b64 s[10:11], s[2:3]
	s_cbranch_execz .LBB84_436
; %bb.433:
	v_mul_u32_u24_e32 v11, 0x210, v17
	ds_read_b128 v[11:14], v11 offset:12672
	ds_read_b128 v[23:26], v15 offset:12704
	v_cmp_gt_u32_e64 s[8:9], 2, v1
	s_waitcnt lgkmcnt(0)
	v_mul_f64 v[27:28], v[13:14], v[25:26]
	v_mul_f64 v[25:26], v[11:12], v[25:26]
	v_fma_f64 v[11:12], v[11:12], v[23:24], -v[27:28]
	v_fma_f64 v[13:14], v[13:14], v[23:24], v[25:26]
	v_add_f64 v[11:12], v[11:12], 0
	v_add_f64 v[13:14], v[13:14], 0
	s_and_saveexec_b64 s[12:13], s[8:9]
	s_cbranch_execz .LBB84_435
; %bb.434:
	v_lshlrev_b32_e32 v27, 4, v0
	v_mov_b32_e32 v23, 0
	ds_read_b128 v[23:26], v23 offset:12688
	ds_read_b128 v[27:30], v27 offset:13216
	s_waitcnt lgkmcnt(0)
	v_mul_f64 v[31:32], v[25:26], v[29:30]
	v_mul_f64 v[29:30], v[23:24], v[29:30]
	v_fma_f64 v[23:24], v[23:24], v[27:28], -v[31:32]
	v_fma_f64 v[25:26], v[25:26], v[27:28], v[29:30]
	v_add_f64 v[11:12], v[11:12], v[23:24]
	v_add_f64 v[13:14], v[13:14], v[25:26]
.LBB84_435:
	s_or_b64 exec, exec, s[12:13]
	v_xor_b32_e32 v12, 0x80000000, v12
	v_xor_b32_e32 v14, 0x80000000, v14
.LBB84_436:
	s_or_b64 exec, exec, s[10:11]
	s_and_saveexec_b64 s[8:9], s[42:43]
	s_cbranch_execz .LBB84_438
; %bb.437:
	v_mov_b32_e32 v23, 0
	ds_read_b128 v[23:26], v23 offset:13728
	s_waitcnt lgkmcnt(0)
	v_mul_f64 v[27:28], v[13:14], v[25:26]
	v_mul_f64 v[25:26], v[11:12], v[25:26]
	v_fma_f64 v[11:12], v[11:12], v[23:24], -v[27:28]
	v_fma_f64 v[13:14], v[13:14], v[23:24], v[25:26]
	ds_write_b128 v16, v[11:14]
.LBB84_438:
	s_or_b64 exec, exec, s[8:9]
	s_waitcnt lgkmcnt(0)
	s_barrier
	s_and_saveexec_b64 s[8:9], s[24:25]
	s_cbranch_execz .LBB84_440
; %bb.439:
	v_mov_b32_e32 v27, 0
	ds_read_b128 v[23:26], v16
	ds_read_b128 v[27:30], v27 offset:13744
	s_waitcnt lgkmcnt(0)
	v_mul_f64 v[31:32], v[25:26], v[29:30]
	v_mul_f64 v[29:30], v[23:24], v[29:30]
	v_fma_f64 v[23:24], v[23:24], v[27:28], -v[31:32]
	v_fma_f64 v[25:26], v[25:26], v[27:28], v[29:30]
	v_add_f64 v[11:12], v[11:12], v[23:24]
	v_add_f64 v[13:14], v[13:14], v[25:26]
.LBB84_440:
	s_or_b64 exec, exec, s[8:9]
	s_barrier
	s_and_saveexec_b64 s[8:9], s[24:25]
	s_cbranch_execz .LBB84_442
; %bb.441:
	v_mov_b32_e32 v23, 0
	ds_read_b128 v[23:26], v23 offset:14256
	s_waitcnt lgkmcnt(0)
	v_mul_f64 v[27:28], v[13:14], v[25:26]
	v_mul_f64 v[25:26], v[11:12], v[25:26]
	v_fma_f64 v[11:12], v[11:12], v[23:24], -v[27:28]
	v_fma_f64 v[13:14], v[13:14], v[23:24], v[25:26]
	ds_write_b128 v16, v[11:14]
.LBB84_442:
	s_or_b64 exec, exec, s[8:9]
	s_waitcnt lgkmcnt(0)
	s_barrier
	s_barrier
	s_and_saveexec_b64 s[8:9], s[2:3]
; %bb.443:
	v_xor_b32_e32 v12, 0x80000000, v12
	v_xor_b32_e32 v14, 0x80000000, v14
	ds_write_b128 v15, v[11:14] offset:12704
; %bb.444:
	s_or_b64 exec, exec, s[8:9]
	s_waitcnt lgkmcnt(0)
	s_barrier
	s_barrier
	s_and_saveexec_b64 s[8:9], s[44:45]
	s_cbranch_execz .LBB84_446
; %bb.445:
	v_lshlrev_b32_e32 v23, 9, v0
	ds_read_b128 v[11:14], v23 offset:12704
	s_movk_i32 s0, 0xfe10
	v_mad_i32_i24 v24, v0, s0, v23
	s_waitcnt lgkmcnt(0)
	ds_write_b128 v24, v[11:14] offset:13696
	ds_read_b128 v[11:14], v23 offset:12720
	s_waitcnt lgkmcnt(0)
	ds_write_b128 v24, v[11:14] offset:14208
.LBB84_446:
	s_or_b64 exec, exec, s[8:9]
	s_waitcnt lgkmcnt(0)
	s_barrier
	s_and_saveexec_b64 s[8:9], vcc
	s_cbranch_execz .LBB84_448
; %bb.447:
	v_mov_b32_e32 v33, 0
	ds_read_b128 v[11:14], v33 offset:14256
	ds_read_b128 v[23:26], v33 offset:13728
	;; [unrolled: 1-line block ×3, first 2 shown]
	s_waitcnt lgkmcnt(1)
	v_mul_f64 v[31:32], v[11:12], v[25:26]
	v_mul_f64 v[25:26], v[13:14], v[25:26]
	v_fma_f64 v[13:14], v[13:14], v[23:24], v[31:32]
	v_fma_f64 v[11:12], v[11:12], v[23:24], -v[25:26]
	s_waitcnt lgkmcnt(0)
	v_mul_f64 v[23:24], v[13:14], v[29:30]
	v_mul_f64 v[25:26], v[11:12], v[29:30]
	v_fma_f64 v[11:12], v[27:28], v[11:12], -v[23:24]
	v_fma_f64 v[13:14], v[27:28], v[13:14], v[25:26]
	ds_write_b128 v33, v[11:14] offset:13744
	ds_write_b128 v33, v[11:14] offset:14240
.LBB84_448:
	s_or_b64 exec, exec, s[8:9]
	v_mov_b32_e32 v13, 0
	v_mov_b32_e32 v11, 0
	;; [unrolled: 1-line block ×4, first 2 shown]
	s_waitcnt lgkmcnt(0)
	s_barrier
	s_and_saveexec_b64 s[10:11], s[16:17]
	s_cbranch_execz .LBB84_454
; %bb.449:
	v_mul_u32_u24_e32 v23, 0x210, v22
	ds_read_b128 v[11:14], v23 offset:12672
	ds_read_b128 v[24:27], v18 offset:12736
	v_cmp_gt_u32_e64 s[8:9], 12, v1
	s_waitcnt lgkmcnt(0)
	v_mul_f64 v[28:29], v[13:14], v[26:27]
	v_mul_f64 v[26:27], v[11:12], v[26:27]
	v_fma_f64 v[11:12], v[11:12], v[24:25], -v[28:29]
	v_fma_f64 v[13:14], v[13:14], v[24:25], v[26:27]
	v_add_f64 v[11:12], v[11:12], 0
	v_add_f64 v[13:14], v[13:14], 0
	s_and_saveexec_b64 s[12:13], s[8:9]
	s_cbranch_execnz .LBB84_572
; %bb.450:
	s_or_b64 exec, exec, s[12:13]
	v_cmp_gt_u32_e64 s[8:9], 8, v1
	s_and_saveexec_b64 s[12:13], s[8:9]
	s_cbranch_execnz .LBB84_573
.LBB84_451:
	s_or_b64 exec, exec, s[12:13]
	v_cmp_gt_u32_e64 s[8:9], 4, v1
	s_and_saveexec_b64 s[12:13], s[8:9]
	s_cbranch_execz .LBB84_453
.LBB84_452:
	v_lshlrev_b32_e32 v25, 4, v0
	v_mov_b32_e32 v21, 0
	ds_read_b128 v[21:24], v21 offset:12720
	ds_read_b128 v[25:28], v25 offset:14272
	s_waitcnt lgkmcnt(0)
	v_mul_f64 v[29:30], v[23:24], v[27:28]
	v_mul_f64 v[27:28], v[21:22], v[27:28]
	v_fma_f64 v[21:22], v[21:22], v[25:26], -v[29:30]
	v_fma_f64 v[23:24], v[23:24], v[25:26], v[27:28]
	v_add_f64 v[11:12], v[11:12], v[21:22]
	v_add_f64 v[13:14], v[13:14], v[23:24]
.LBB84_453:
	s_or_b64 exec, exec, s[12:13]
	v_xor_b32_e32 v12, 0x80000000, v12
	v_xor_b32_e32 v14, 0x80000000, v14
.LBB84_454:
	s_or_b64 exec, exec, s[10:11]
	s_and_saveexec_b64 s[8:9], s[48:49]
	s_cbranch_execz .LBB84_456
; %bb.455:
	v_mov_b32_e32 v21, 0
	ds_read_b128 v[21:24], v21 offset:14784
	s_waitcnt lgkmcnt(0)
	v_mul_f64 v[25:26], v[13:14], v[23:24]
	v_mul_f64 v[23:24], v[11:12], v[23:24]
	v_fma_f64 v[11:12], v[11:12], v[21:22], -v[25:26]
	v_fma_f64 v[13:14], v[13:14], v[21:22], v[23:24]
	ds_write_b128 v20, v[11:14]
.LBB84_456:
	s_or_b64 exec, exec, s[8:9]
	s_waitcnt lgkmcnt(0)
	s_barrier
	s_and_saveexec_b64 s[8:9], s[50:51]
	v_readlane_b32 s48, v43, 1
	v_readlane_b32 s49, v43, 2
	s_cbranch_execz .LBB84_458
; %bb.457:
	ds_read_b128 v[21:24], v20
	ds_read_b128 v[25:28], v19 offset:14784
	s_waitcnt lgkmcnt(0)
	v_mul_f64 v[29:30], v[23:24], v[27:28]
	v_mul_f64 v[27:28], v[21:22], v[27:28]
	v_fma_f64 v[21:22], v[21:22], v[25:26], -v[29:30]
	v_fma_f64 v[23:24], v[23:24], v[25:26], v[27:28]
	v_add_f64 v[11:12], v[11:12], v[21:22]
	v_add_f64 v[13:14], v[13:14], v[23:24]
.LBB84_458:
	s_or_b64 exec, exec, s[8:9]
	s_barrier
	s_and_saveexec_b64 s[8:9], s[52:53]
	s_cbranch_execz .LBB84_460
; %bb.459:
	v_mov_b32_e32 v21, 0
	ds_read_b128 v[21:24], v21 offset:15312
	s_waitcnt lgkmcnt(0)
	v_mul_f64 v[25:26], v[13:14], v[23:24]
	v_mul_f64 v[23:24], v[11:12], v[23:24]
	v_fma_f64 v[11:12], v[11:12], v[21:22], -v[25:26]
	v_fma_f64 v[13:14], v[13:14], v[21:22], v[23:24]
	ds_write_b128 v20, v[11:14]
.LBB84_460:
	s_or_b64 exec, exec, s[8:9]
	s_waitcnt lgkmcnt(0)
	s_barrier
	s_and_saveexec_b64 s[8:9], s[54:55]
	s_cbranch_execz .LBB84_462
; %bb.461:
	ds_read_b128 v[21:24], v20
	ds_read_b128 v[25:28], v19 offset:15296
	s_waitcnt lgkmcnt(0)
	v_mul_f64 v[29:30], v[23:24], v[27:28]
	v_mul_f64 v[27:28], v[21:22], v[27:28]
	v_fma_f64 v[21:22], v[21:22], v[25:26], -v[29:30]
	v_fma_f64 v[23:24], v[23:24], v[25:26], v[27:28]
	v_add_f64 v[11:12], v[11:12], v[21:22]
	v_add_f64 v[13:14], v[13:14], v[23:24]
.LBB84_462:
	s_or_b64 exec, exec, s[8:9]
	s_barrier
	s_and_saveexec_b64 s[8:9], s[56:57]
	s_cbranch_execz .LBB84_464
; %bb.463:
	v_mov_b32_e32 v19, 0
	ds_read_b128 v[21:24], v19 offset:15840
	s_waitcnt lgkmcnt(0)
	v_mul_f64 v[25:26], v[13:14], v[23:24]
	v_mul_f64 v[23:24], v[11:12], v[23:24]
	v_fma_f64 v[11:12], v[11:12], v[21:22], -v[25:26]
	v_fma_f64 v[13:14], v[13:14], v[21:22], v[23:24]
	ds_write_b128 v20, v[11:14]
.LBB84_464:
	s_or_b64 exec, exec, s[8:9]
	s_waitcnt lgkmcnt(0)
	s_barrier
	s_and_saveexec_b64 s[8:9], s[46:47]
	s_cbranch_execz .LBB84_466
; %bb.465:
	v_mov_b32_e32 v19, 0
	ds_read_b128 v[21:24], v20
	ds_read_b128 v[25:28], v19 offset:15856
	s_waitcnt lgkmcnt(0)
	v_mul_f64 v[29:30], v[23:24], v[27:28]
	v_mul_f64 v[27:28], v[21:22], v[27:28]
	v_fma_f64 v[21:22], v[21:22], v[25:26], -v[29:30]
	v_fma_f64 v[23:24], v[23:24], v[25:26], v[27:28]
	v_add_f64 v[11:12], v[11:12], v[21:22]
	v_add_f64 v[13:14], v[13:14], v[23:24]
.LBB84_466:
	s_or_b64 exec, exec, s[8:9]
	s_barrier
	s_and_saveexec_b64 s[8:9], s[46:47]
	s_cbranch_execz .LBB84_468
; %bb.467:
	v_mov_b32_e32 v19, 0
	ds_read_b128 v[21:24], v19 offset:16368
	s_waitcnt lgkmcnt(0)
	v_mul_f64 v[25:26], v[13:14], v[23:24]
	v_mul_f64 v[23:24], v[11:12], v[23:24]
	v_fma_f64 v[11:12], v[11:12], v[21:22], -v[25:26]
	v_fma_f64 v[13:14], v[13:14], v[21:22], v[23:24]
	ds_write_b128 v20, v[11:14]
.LBB84_468:
	s_or_b64 exec, exec, s[8:9]
	s_waitcnt lgkmcnt(0)
	s_barrier
	s_barrier
	s_and_saveexec_b64 s[8:9], s[16:17]
; %bb.469:
	v_xor_b32_e32 v14, 0x80000000, v14
	v_xor_b32_e32 v12, 0x80000000, v12
	ds_write_b128 v18, v[11:14] offset:12736
; %bb.470:
	s_or_b64 exec, exec, s[8:9]
	s_waitcnt lgkmcnt(0)
	s_barrier
	s_barrier
	s_and_saveexec_b64 s[8:9], s[58:59]
	s_cbranch_execz .LBB84_472
; %bb.471:
	v_lshlrev_b32_e32 v18, 4, v0
	s_movk_i32 s0, 0x1f0
	v_mad_u32_u24 v19, v0, s0, v18
	ds_read_b128 v[11:14], v19 offset:12736
	s_waitcnt lgkmcnt(0)
	ds_write_b128 v18, v[11:14] offset:14720
	ds_read_b128 v[11:14], v19 offset:12752
	s_waitcnt lgkmcnt(0)
	ds_write_b128 v18, v[11:14] offset:15232
	;; [unrolled: 3-line block ×4, first 2 shown]
.LBB84_472:
	s_or_b64 exec, exec, s[8:9]
	s_waitcnt lgkmcnt(0)
	s_barrier
	s_and_saveexec_b64 s[8:9], vcc
	s_cbranch_execz .LBB84_474
; %bb.473:
	v_mov_b32_e32 v28, 0
	ds_read_b128 v[11:14], v28 offset:15312
	ds_read_b128 v[18:21], v28 offset:14784
	ds_read_b128 v[22:25], v28 offset:14800
	s_waitcnt lgkmcnt(1)
	v_mul_f64 v[26:27], v[11:12], v[20:21]
	v_mul_f64 v[20:21], v[13:14], v[20:21]
	v_fma_f64 v[13:14], v[13:14], v[18:19], v[26:27]
	v_fma_f64 v[11:12], v[11:12], v[18:19], -v[20:21]
	s_waitcnt lgkmcnt(0)
	v_mul_f64 v[18:19], v[13:14], v[24:25]
	v_mul_f64 v[20:21], v[11:12], v[24:25]
	v_fma_f64 v[11:12], v[22:23], v[11:12], -v[18:19]
	v_fma_f64 v[13:14], v[22:23], v[13:14], v[20:21]
	ds_write_b128 v28, v[11:14] offset:14800
	ds_write_b128 v28, v[11:14] offset:15296
.LBB84_474:
	s_or_b64 exec, exec, s[8:9]
	v_mov_b32_e32 v13, 0
	v_mov_b32_e32 v11, 0
	v_mov_b32_e32 v14, 0
	v_mov_b32_e32 v12, 0
	s_waitcnt lgkmcnt(0)
	s_barrier
	s_and_saveexec_b64 s[10:11], s[2:3]
	s_cbranch_execz .LBB84_478
; %bb.475:
	v_mul_u32_u24_e32 v11, 0x210, v17
	ds_read_b128 v[11:14], v11 offset:14784
	ds_read_b128 v[17:20], v15 offset:14816
	v_cmp_gt_u32_e64 s[8:9], 2, v1
	s_waitcnt lgkmcnt(0)
	v_mul_f64 v[21:22], v[13:14], v[19:20]
	v_mul_f64 v[19:20], v[11:12], v[19:20]
	v_fma_f64 v[11:12], v[11:12], v[17:18], -v[21:22]
	v_fma_f64 v[13:14], v[13:14], v[17:18], v[19:20]
	v_add_f64 v[11:12], v[11:12], 0
	v_add_f64 v[13:14], v[13:14], 0
	s_and_saveexec_b64 s[12:13], s[8:9]
	s_cbranch_execz .LBB84_477
; %bb.476:
	v_lshlrev_b32_e32 v21, 4, v0
	v_mov_b32_e32 v17, 0
	ds_read_b128 v[17:20], v17 offset:14800
	ds_read_b128 v[21:24], v21 offset:15328
	s_waitcnt lgkmcnt(0)
	v_mul_f64 v[25:26], v[19:20], v[23:24]
	v_mul_f64 v[23:24], v[17:18], v[23:24]
	v_fma_f64 v[17:18], v[17:18], v[21:22], -v[25:26]
	v_fma_f64 v[19:20], v[19:20], v[21:22], v[23:24]
	v_add_f64 v[11:12], v[11:12], v[17:18]
	v_add_f64 v[13:14], v[13:14], v[19:20]
.LBB84_477:
	s_or_b64 exec, exec, s[12:13]
	v_xor_b32_e32 v12, 0x80000000, v12
	v_xor_b32_e32 v14, 0x80000000, v14
.LBB84_478:
	s_or_b64 exec, exec, s[10:11]
	s_and_saveexec_b64 s[8:9], s[42:43]
	s_cbranch_execz .LBB84_480
; %bb.479:
	v_mov_b32_e32 v17, 0
	ds_read_b128 v[17:20], v17 offset:15840
	s_waitcnt lgkmcnt(0)
	v_mul_f64 v[21:22], v[13:14], v[19:20]
	v_mul_f64 v[19:20], v[11:12], v[19:20]
	v_fma_f64 v[11:12], v[11:12], v[17:18], -v[21:22]
	v_fma_f64 v[13:14], v[13:14], v[17:18], v[19:20]
	ds_write_b128 v16, v[11:14]
.LBB84_480:
	s_or_b64 exec, exec, s[8:9]
	s_waitcnt lgkmcnt(0)
	s_barrier
	s_and_saveexec_b64 s[8:9], s[24:25]
	s_load_dword s43, s[4:5], 0x6c
	v_readlane_b32 s42, v43, 0
	s_cbranch_execz .LBB84_482
; %bb.481:
	v_mov_b32_e32 v21, 0
	ds_read_b128 v[17:20], v16
	ds_read_b128 v[21:24], v21 offset:15856
	s_waitcnt lgkmcnt(0)
	v_mul_f64 v[25:26], v[19:20], v[23:24]
	v_mul_f64 v[23:24], v[17:18], v[23:24]
	v_fma_f64 v[17:18], v[17:18], v[21:22], -v[25:26]
	v_fma_f64 v[19:20], v[19:20], v[21:22], v[23:24]
	v_add_f64 v[11:12], v[11:12], v[17:18]
	v_add_f64 v[13:14], v[13:14], v[19:20]
.LBB84_482:
	s_or_b64 exec, exec, s[8:9]
	s_waitcnt lgkmcnt(0)
	s_barrier
	s_and_saveexec_b64 s[8:9], s[24:25]
	s_cbranch_execz .LBB84_484
; %bb.483:
	v_mov_b32_e32 v17, 0
	ds_read_b128 v[17:20], v17 offset:16368
	s_waitcnt lgkmcnt(0)
	v_mul_f64 v[21:22], v[13:14], v[19:20]
	v_mul_f64 v[19:20], v[11:12], v[19:20]
	v_fma_f64 v[11:12], v[11:12], v[17:18], -v[21:22]
	v_fma_f64 v[13:14], v[13:14], v[17:18], v[19:20]
	ds_write_b128 v16, v[11:14]
.LBB84_484:
	s_or_b64 exec, exec, s[8:9]
	s_waitcnt lgkmcnt(0)
	s_barrier
	s_barrier
	s_and_saveexec_b64 s[8:9], s[2:3]
; %bb.485:
	v_xor_b32_e32 v12, 0x80000000, v12
	v_xor_b32_e32 v14, 0x80000000, v14
	ds_write_b128 v15, v[11:14] offset:14816
; %bb.486:
	s_or_b64 exec, exec, s[8:9]
	s_waitcnt lgkmcnt(0)
	s_barrier
	s_barrier
	s_and_saveexec_b64 s[2:3], s[44:45]
	s_cbranch_execz .LBB84_488
; %bb.487:
	v_lshlrev_b32_e32 v15, 9, v0
	ds_read_b128 v[11:14], v15 offset:14816
	s_movk_i32 s0, 0xfe10
	v_mad_i32_i24 v16, v0, s0, v15
	s_waitcnt lgkmcnt(0)
	ds_write_b128 v16, v[11:14] offset:15808
	ds_read_b128 v[11:14], v15 offset:14832
	s_waitcnt lgkmcnt(0)
	ds_write_b128 v16, v[11:14] offset:16320
.LBB84_488:
	s_or_b64 exec, exec, s[2:3]
	s_waitcnt lgkmcnt(0)
	s_barrier
	s_and_saveexec_b64 s[2:3], vcc
	s_cbranch_execz .LBB84_490
; %bb.489:
	v_mov_b32_e32 v25, 0
	ds_read_b128 v[11:14], v25 offset:16368
	ds_read_b128 v[15:18], v25 offset:15840
	;; [unrolled: 1-line block ×3, first 2 shown]
	s_waitcnt lgkmcnt(1)
	v_mul_f64 v[23:24], v[11:12], v[17:18]
	v_mul_f64 v[17:18], v[13:14], v[17:18]
	v_fma_f64 v[13:14], v[13:14], v[15:16], v[23:24]
	v_fma_f64 v[11:12], v[11:12], v[15:16], -v[17:18]
	s_waitcnt lgkmcnt(0)
	v_mul_f64 v[15:16], v[13:14], v[21:22]
	v_mul_f64 v[17:18], v[11:12], v[21:22]
	v_fma_f64 v[11:12], v[19:20], v[11:12], -v[15:16]
	v_fma_f64 v[13:14], v[19:20], v[13:14], v[17:18]
	ds_write_b128 v25, v[11:14] offset:15856
	ds_write_b128 v25, v[11:14] offset:16352
.LBB84_490:
	s_or_b64 exec, exec, s[2:3]
.LBB84_491:
	s_load_dwordx4 s[12:15], s[4:5], 0x48
	v_cmp_le_i32_e32 vcc, s95, v0
	v_mov_b32_e32 v13, 0
	v_mov_b32_e32 v11, 0
	;; [unrolled: 1-line block ×3, first 2 shown]
	s_waitcnt lgkmcnt(0)
	s_mul_i32 s1, s13, s34
	s_mul_hi_u32 s2, s12, s34
	s_mul_i32 s0, s12, s34
	s_add_i32 s1, s2, s1
	s_lshl_b64 s[0:1], s[0:1], 4
	s_add_u32 s2, s26, s0
	s_addc_u32 s3, s27, s1
	s_lshl_b64 s[0:1], s[28:29], 4
	s_add_u32 s24, s2, s0
	s_addc_u32 s25, s3, s1
	s_and_b64 s[16:17], vcc, s[22:23]
	v_cmp_eq_u32_e64 s[2:3], 0, v2
	s_xor_b64 s[0:1], s[16:17], -1
	s_and_b64 s[0:1], s[2:3], s[0:1]
	v_mov_b32_e32 v12, 0
	v_add_u32_e32 v16, s33, v0
	s_barrier
	s_and_saveexec_b64 s[4:5], s[0:1]
	s_cbranch_execz .LBB84_493
; %bb.492:
	v_ashrrev_i32_e32 v13, 31, v16
	v_mul_lo_u32 v14, s31, v16
	v_mad_u64_u32 v[11:12], s[0:1], s30, v16, 0
	v_mul_lo_u32 v13, s30, v13
	v_add3_u32 v12, v12, v13, v14
	v_lshlrev_b64 v[11:12], 4, v[11:12]
	v_mov_b32_e32 v13, s25
	v_add_co_u32_e32 v11, vcc, s24, v11
	v_addc_co_u32_e32 v12, vcc, v13, v12, vcc
	global_load_dwordx4 v[11:14], v[11:12], off
	s_waitcnt vmcnt(0)
	v_mul_f64 v[17:18], s[36:37], v[11:12]
	v_mul_f64 v[19:20], s[36:37], v[13:14]
	v_fma_f64 v[13:14], s[38:39], v[13:14], -v[17:18]
	v_fma_f64 v[11:12], v[11:12], -s[38:39], -v[19:20]
.LBB84_493:
	s_or_b64 exec, exec, s[4:5]
	s_and_b32 s0, 0xffff, s43
	v_mad_u32_u24 v23, v2, s0, v0
	v_mov_b32_e32 v15, 0
	s_cmp_lt_i32 s6, 1
	v_cmp_eq_u32_e64 s[4:5], 0, v23
	s_cbranch_scc1 .LBB84_516
; %bb.494:
	v_ashrrev_i32_e32 v19, 31, v16
	v_mul_lo_u32 v20, s21, v16
	v_mad_u64_u32 v[17:18], s[0:1], s20, v16, 0
	v_mul_lo_u32 v19, s20, v19
	s_lshl_b64 s[8:9], s[34:35], 2
	s_add_u32 s18, s14, s8
	s_addc_u32 s19, s15, s9
	v_add3_u32 v18, v18, v19, v20
	v_cmp_gt_i32_e64 s[8:9], s40, v16
	v_lshlrev_b64 v[16:17], 4, v[17:18]
	v_mov_b32_e32 v19, 0x6000
	v_mov_b32_e32 v18, s62
	v_add_co_u32_e32 v26, vcc, s94, v16
	s_mov_b32 s0, 0
	v_cmp_gt_u32_e64 s[12:13], 32, v23
	v_lshl_add_u32 v24, v23, 4, v19
	v_lshl_or_b32 v25, v2, 4, v19
	s_add_i32 s63, s63, 1
	v_addc_co_u32_e32 v27, vcc, v18, v17, vcc
	v_mov_b32_e32 v28, -1
	s_branch .LBB84_497
.LBB84_495:                             ;   in Loop: Header=BB84_497 Depth=1
	ds_read_b128 v[29:32], v25 offset:256
	s_waitcnt vmcnt(0) lgkmcnt(0)
	v_mul_f64 v[16:17], v[20:21], v[31:32]
	v_mul_f64 v[20:21], v[20:21], v[29:30]
	v_fma_f64 v[16:17], v[18:19], v[29:30], v[16:17]
	v_fma_f64 v[18:19], v[18:19], v[31:32], -v[20:21]
	v_add_f64 v[13:14], v[13:14], v[16:17]
	v_add_f64 v[11:12], v[11:12], v[18:19]
.LBB84_496:                             ;   in Loop: Header=BB84_497 Depth=1
	s_or_b64 exec, exec, s[20:21]
	s_add_i32 s0, s0, 1
	s_cmp_eq_u32 s0, s6
	s_cbranch_scc1 .LBB84_516
.LBB84_497:                             ; =>This Loop Header: Depth=1
                                        ;     Child Loop BB84_499 Depth 2
	v_cmp_gt_i32_e32 vcc, s0, v28
	s_and_b64 s[20:21], s[4:5], vcc
	s_and_saveexec_b64 s[10:11], s[20:21]
	s_cbranch_execz .LBB84_500
; %bb.498:                              ;   in Loop: Header=BB84_497 Depth=1
	global_load_dword v28, v15, s[18:19]
	s_waitcnt vmcnt(0)
	v_cmp_le_i32_e32 vcc, s0, v28
	s_cbranch_vccnz .LBB84_500
.LBB84_499:                             ;   Parent Loop BB84_497 Depth=1
                                        ; =>  This Inner Loop Header: Depth=2
	buffer_wbinvl1_vol
	global_load_dword v28, v15, s[18:19]
	s_waitcnt vmcnt(0)
	v_cmp_gt_i32_e32 vcc, s0, v28
	s_cbranch_vccnz .LBB84_499
.LBB84_500:                             ;   in Loop: Header=BB84_497 Depth=1
	s_or_b64 exec, exec, s[10:11]
	s_sub_i32 s1, s7, s0
	s_lshl_b32 s26, s1, 5
	buffer_wbinvl1_vol
	s_barrier
	s_and_saveexec_b64 s[10:11], s[12:13]
	s_cbranch_execz .LBB84_505
; %bb.501:                              ;   in Loop: Header=BB84_497 Depth=1
	s_ashr_i32 s20, s26, 31
	v_mov_b32_e32 v17, s20
	v_or_b32_e32 v16, s26, v23
	v_cmp_le_i64_e32 vcc, s[40:41], v[16:17]
	s_and_saveexec_b64 s[20:21], vcc
	s_xor_b64 s[20:21], exec, s[20:21]
; %bb.502:                              ;   in Loop: Header=BB84_497 Depth=1
	v_mov_b32_e32 v16, v15
	v_mov_b32_e32 v17, v15
	;; [unrolled: 1-line block ×3, first 2 shown]
	ds_write_b128 v24, v[15:18]
                                        ; implicit-def: $vgpr16_vgpr17
; %bb.503:                              ;   in Loop: Header=BB84_497 Depth=1
	s_andn2_saveexec_b64 s[20:21], s[20:21]
	s_cbranch_execz .LBB84_505
; %bb.504:                              ;   in Loop: Header=BB84_497 Depth=1
	v_mul_lo_u32 v18, v17, s30
	v_mul_lo_u32 v19, v16, s31
	v_mad_u64_u32 v[16:17], s[20:21], v16, s30, 0
	v_add3_u32 v17, v17, v19, v18
	v_lshlrev_b64 v[16:17], 4, v[16:17]
	v_mov_b32_e32 v18, s25
	v_add_co_u32_e32 v16, vcc, s24, v16
	v_addc_co_u32_e32 v17, vcc, v18, v17, vcc
	global_load_dwordx4 v[16:19], v[16:17], off
	s_waitcnt vmcnt(0)
	ds_write2_b64 v24, v[16:17], v[18:19] offset1:1
.LBB84_505:                             ;   in Loop: Header=BB84_497 Depth=1
	s_or_b64 exec, exec, s[10:11]
	v_add_u32_e32 v18, s26, v2
	v_ashrrev_i32_e32 v19, 31, v18
	v_lshlrev_b64 v[16:17], 4, v[18:19]
	s_cmp_lg_u32 s1, s63
	v_add_co_u32_e32 v16, vcc, v26, v16
	s_cselect_b64 s[10:11], -1, 0
	v_addc_co_u32_e32 v17, vcc, v27, v17, vcc
	v_cmp_gt_i32_e32 vcc, s40, v18
	v_cndmask_b32_e64 v19, 0, 1, s[10:11]
	s_and_b64 s[26:27], vcc, s[8:9]
	v_cmp_ne_u32_e64 s[10:11], 1, v19
	s_waitcnt lgkmcnt(0)
	s_barrier
	s_and_saveexec_b64 s[20:21], s[26:27]
	s_cbranch_execz .LBB84_511
; %bb.506:                              ;   in Loop: Header=BB84_497 Depth=1
	v_mov_b32_e32 v20, v8
	s_and_b64 vcc, exec, s[10:11]
	v_mov_b32_e32 v19, v7
	s_cbranch_vccnz .LBB84_508
; %bb.507:                              ;   in Loop: Header=BB84_497 Depth=1
	global_load_dwordx2 v[19:20], v[16:17], off
.LBB84_508:                             ;   in Loop: Header=BB84_497 Depth=1
	v_mov_b32_e32 v22, v10
	s_and_b64 vcc, exec, s[10:11]
	v_mov_b32_e32 v21, v9
	s_cbranch_vccnz .LBB84_510
; %bb.509:                              ;   in Loop: Header=BB84_497 Depth=1
	global_load_dwordx2 v[21:22], v[16:17], off offset:8
.LBB84_510:                             ;   in Loop: Header=BB84_497 Depth=1
	ds_read_b128 v[29:32], v25
	s_waitcnt vmcnt(0) lgkmcnt(0)
	v_mul_f64 v[33:34], v[21:22], v[31:32]
	v_mul_f64 v[21:22], v[21:22], v[29:30]
	v_fma_f64 v[29:30], v[19:20], v[29:30], v[33:34]
	v_fma_f64 v[19:20], v[19:20], v[31:32], -v[21:22]
	v_add_f64 v[13:14], v[13:14], v[29:30]
	v_add_f64 v[11:12], v[11:12], v[19:20]
.LBB84_511:                             ;   in Loop: Header=BB84_497 Depth=1
	s_or_b64 exec, exec, s[20:21]
	v_add_u32_e32 v18, 16, v18
	v_cmp_gt_i32_e32 vcc, s40, v18
	s_and_b64 s[26:27], vcc, s[8:9]
	s_and_saveexec_b64 s[20:21], s[26:27]
	s_cbranch_execz .LBB84_496
; %bb.512:                              ;   in Loop: Header=BB84_497 Depth=1
	v_mov_b32_e32 v19, v4
	s_and_b64 vcc, exec, s[10:11]
	v_mov_b32_e32 v18, v3
	s_cbranch_vccnz .LBB84_514
; %bb.513:                              ;   in Loop: Header=BB84_497 Depth=1
	global_load_dwordx2 v[18:19], v[16:17], off offset:256
.LBB84_514:                             ;   in Loop: Header=BB84_497 Depth=1
	v_mov_b32_e32 v21, v6
	s_and_b64 vcc, exec, s[10:11]
	v_mov_b32_e32 v20, v5
	s_cbranch_vccnz .LBB84_495
; %bb.515:                              ;   in Loop: Header=BB84_497 Depth=1
	global_load_dwordx2 v[20:21], v[16:17], off offset:264
	s_branch .LBB84_495
.LBB84_516:
	s_xor_b64 s[4:5], s[22:23], -1
	v_lshlrev_b32_e32 v1, 4, v1
	v_mov_b32_e32 v15, v11
	v_mov_b32_e32 v16, v12
	ds_write_b128 v1, v[13:16] offset:16384
	s_waitcnt lgkmcnt(0)
	s_barrier
	s_and_saveexec_b64 s[6:7], s[2:3]
	s_cbranch_execz .LBB84_518
; %bb.517:
	v_lshlrev_b32_e32 v15, 4, v0
	ds_read_b128 v[3:6], v15 offset:16896
	ds_read_b128 v[7:10], v15 offset:17408
	s_waitcnt lgkmcnt(1)
	v_add_f64 v[3:4], v[13:14], v[3:4]
	v_add_f64 v[5:6], v[11:12], v[5:6]
	s_waitcnt lgkmcnt(0)
	v_add_f64 v[11:12], v[3:4], v[7:8]
	v_add_f64 v[13:14], v[5:6], v[9:10]
	ds_read_b128 v[3:6], v15 offset:17920
	ds_read_b128 v[7:10], v15 offset:18432
	s_waitcnt lgkmcnt(1)
	v_add_f64 v[3:4], v[11:12], v[3:4]
	v_add_f64 v[5:6], v[13:14], v[5:6]
	s_waitcnt lgkmcnt(0)
	v_add_f64 v[11:12], v[3:4], v[7:8]
	v_add_f64 v[13:14], v[5:6], v[9:10]
	;; [unrolled: 8-line block ×7, first 2 shown]
	ds_read_b128 v[3:6], v15 offset:24064
	s_waitcnt lgkmcnt(0)
	v_add_f64 v[3:4], v[7:8], v[3:4]
	v_add_f64 v[5:6], v[9:10], v[5:6]
	v_xor_b32_e32 v4, 0x80000000, v4
	v_xor_b32_e32 v6, 0x80000000, v6
	v_cndmask_b32_e64 v13, v3, 0, s[16:17]
	v_cndmask_b32_e64 v14, v4, 0, s[16:17]
	;; [unrolled: 1-line block ×4, first 2 shown]
.LBB84_518:
	s_or_b64 exec, exec, s[6:7]
	s_and_b64 vcc, exec, s[48:49]
	s_cbranch_vccnz .LBB84_527
; %bb.519:
	v_mov_b32_e32 v3, 0x6000
	v_lshl_or_b32 v7, v2, 4, v3
	s_and_saveexec_b64 s[0:1], s[2:3]
; %bb.520:
	v_lshl_add_u32 v3, v0, 4, v7
	v_mov_b32_e32 v15, v11
	v_mov_b32_e32 v16, v12
	ds_write_b128 v3, v[13:16]
; %bb.521:
	s_or_b64 exec, exec, s[0:1]
	v_mov_b32_e32 v3, 0
	v_mov_b32_e32 v5, 0
	;; [unrolled: 1-line block ×4, first 2 shown]
	v_cmp_le_u32_e32 vcc, v0, v2
	s_waitcnt lgkmcnt(0)
	s_barrier
	s_and_saveexec_b64 s[0:1], vcc
	s_cbranch_execz .LBB84_523
; %bb.522:
	ds_read_b128 v[3:6], v7
	ds_read_b128 v[15:18], v1
	s_waitcnt lgkmcnt(0)
	v_mul_f64 v[8:9], v[5:6], v[17:18]
	v_mul_f64 v[17:18], v[3:4], v[17:18]
	v_fma_f64 v[3:4], v[3:4], v[15:16], -v[8:9]
	v_fma_f64 v[5:6], v[5:6], v[15:16], v[17:18]
	v_add_f64 v[3:4], v[3:4], 0
	v_add_f64 v[5:6], v[5:6], 0
.LBB84_523:
	s_or_b64 exec, exec, s[0:1]
	v_add_u32_e32 v2, 16, v2
	v_add_u32_e32 v8, 0x4000, v1
	v_cmp_le_u32_e32 vcc, v0, v2
	s_and_saveexec_b64 s[0:1], vcc
	s_cbranch_execz .LBB84_525
; %bb.524:
	ds_read_b128 v[15:18], v7 offset:256
	ds_read_b128 v[19:22], v1 offset:8192
	s_waitcnt lgkmcnt(0)
	v_mul_f64 v[1:2], v[17:18], v[21:22]
	v_mul_f64 v[9:10], v[15:16], v[21:22]
	v_fma_f64 v[1:2], v[15:16], v[19:20], -v[1:2]
	v_fma_f64 v[9:10], v[17:18], v[19:20], v[9:10]
	v_add_f64 v[3:4], v[3:4], v[1:2]
	v_add_f64 v[5:6], v[5:6], v[9:10]
.LBB84_525:
	s_or_b64 exec, exec, s[0:1]
	s_mov_b64 s[6:7], 0
	s_mov_b64 s[0:1], 0
	ds_write_b128 v8, v[3:6]
	s_waitcnt lgkmcnt(0)
	s_barrier
                                        ; implicit-def: $vgpr1_vgpr2
                                        ; implicit-def: $vgpr7_vgpr8
	s_and_saveexec_b64 s[8:9], s[2:3]
	s_cbranch_execz .LBB84_546
; %bb.526:
	v_lshlrev_b32_e32 v19, 4, v0
	ds_read_b128 v[7:10], v19 offset:16896
	ds_read_b128 v[15:18], v19 offset:17408
	s_mov_b64 s[0:1], exec
	s_waitcnt lgkmcnt(1)
	v_add_f64 v[1:2], v[3:4], v[7:8]
	v_add_f64 v[3:4], v[5:6], v[9:10]
	s_waitcnt lgkmcnt(0)
	v_add_f64 v[9:10], v[1:2], v[15:16]
	v_add_f64 v[15:16], v[3:4], v[17:18]
	ds_read_b128 v[1:4], v19 offset:17920
	ds_read_b128 v[5:8], v19 offset:18432
	s_waitcnt lgkmcnt(1)
	v_add_f64 v[1:2], v[9:10], v[1:2]
	v_add_f64 v[3:4], v[15:16], v[3:4]
	s_waitcnt lgkmcnt(0)
	v_add_f64 v[9:10], v[1:2], v[5:6]
	v_add_f64 v[15:16], v[3:4], v[7:8]
	ds_read_b128 v[1:4], v19 offset:18944
	ds_read_b128 v[5:8], v19 offset:19456
	;; [unrolled: 8-line block ×6, first 2 shown]
	s_waitcnt lgkmcnt(1)
	v_add_f64 v[1:2], v[9:10], v[1:2]
	v_add_f64 v[3:4], v[15:16], v[3:4]
	s_waitcnt lgkmcnt(0)
	v_add_f64 v[5:6], v[1:2], v[5:6]
	v_add_f64 v[9:10], v[3:4], v[7:8]
	ds_read_b128 v[1:4], v19 offset:24064
	s_waitcnt lgkmcnt(0)
	v_add_f64 v[7:8], v[5:6], v[1:2]
	v_add_f64 v[1:2], v[9:10], v[3:4]
	s_or_b64 exec, exec, s[8:9]
	s_and_b64 vcc, exec, s[6:7]
	s_cbranch_vccnz .LBB84_528
	s_branch .LBB84_547
.LBB84_527:
	s_mov_b64 s[0:1], 0
                                        ; implicit-def: $vgpr1_vgpr2
                                        ; implicit-def: $vgpr7_vgpr8
	s_cbranch_execz .LBB84_547
.LBB84_528:
	s_movk_i32 s6, 0x210
	v_lshlrev_b32_e32 v2, 9, v0
	v_mov_b32_e32 v3, 0x3c00
	v_mul_u32_u24_e32 v1, 0x210, v0
	v_sub_u32_e32 v2, 0, v2
	v_mad_u32_u24 v3, v0, s6, v3
	s_mov_b32 s8, 31
	s_movk_i32 s9, 0xc200
	v_mov_b32_e32 v4, 0
	s_branch .LBB84_530
.LBB84_529:                             ;   in Loop: Header=BB84_530 Depth=1
	s_or_b64 exec, exec, s[6:7]
	s_add_i32 s8, s8, -2
	s_cmp_lg_u32 s10, 0
	v_add_u32_e32 v2, 0xfffffc00, v2
	s_barrier
	s_cbranch_scc0 .LBB84_538
.LBB84_530:                             ; =>This Inner Loop Header: Depth=1
	v_cmp_eq_u32_e32 vcc, s9, v2
	s_and_b64 s[10:11], s[2:3], vcc
	s_and_saveexec_b64 s[6:7], s[10:11]
	s_cbranch_execz .LBB84_532
; %bb.531:                              ;   in Loop: Header=BB84_530 Depth=1
	ds_read_b128 v[5:8], v1
	s_waitcnt lgkmcnt(0)
	v_mul_f64 v[9:10], v[11:12], v[7:8]
	v_mul_f64 v[7:8], v[13:14], v[7:8]
	v_fma_f64 v[9:10], v[13:14], v[5:6], -v[9:10]
	v_fma_f64 v[11:12], v[11:12], v[5:6], v[7:8]
	v_mov_b32_e32 v14, v10
	v_mov_b32_e32 v13, v9
	ds_write_b128 v4, v[9:12] offset:25088
.LBB84_532:                             ;   in Loop: Header=BB84_530 Depth=1
	s_or_b64 exec, exec, s[6:7]
	v_cmp_gt_u32_e32 vcc, s8, v0
	s_and_b64 s[10:11], s[2:3], vcc
	v_add_u32_e32 v5, v3, v2
	s_waitcnt lgkmcnt(0)
	s_barrier
	s_and_saveexec_b64 s[6:7], s[10:11]
	s_cbranch_execz .LBB84_534
; %bb.533:                              ;   in Loop: Header=BB84_530 Depth=1
	ds_read_b128 v[6:9], v4 offset:25088
	ds_read_b128 v[15:18], v5 offset:512
	s_waitcnt lgkmcnt(0)
	v_mul_f64 v[19:20], v[8:9], v[17:18]
	v_mul_f64 v[17:18], v[6:7], v[17:18]
	v_fma_f64 v[6:7], v[6:7], v[15:16], -v[19:20]
	v_fma_f64 v[8:9], v[8:9], v[15:16], v[17:18]
	v_add_f64 v[13:14], v[13:14], v[6:7]
	v_add_f64 v[11:12], v[11:12], v[8:9]
.LBB84_534:                             ;   in Loop: Header=BB84_530 Depth=1
	s_or_b64 exec, exec, s[6:7]
	s_add_i32 s10, s8, -1
	v_cmp_eq_u32_e32 vcc, s10, v0
	s_and_b64 s[12:13], s[2:3], vcc
	s_barrier
	s_and_saveexec_b64 s[6:7], s[12:13]
	s_cbranch_execz .LBB84_536
; %bb.535:                              ;   in Loop: Header=BB84_530 Depth=1
	ds_read_b128 v[6:9], v1
	s_waitcnt lgkmcnt(0)
	v_mul_f64 v[15:16], v[11:12], v[8:9]
	v_mul_f64 v[17:18], v[13:14], v[8:9]
	v_fma_f64 v[9:10], v[13:14], v[6:7], -v[15:16]
	v_fma_f64 v[11:12], v[11:12], v[6:7], v[17:18]
	v_mov_b32_e32 v14, v10
	v_mov_b32_e32 v13, v9
	ds_write_b128 v4, v[9:12] offset:25088
.LBB84_536:                             ;   in Loop: Header=BB84_530 Depth=1
	s_or_b64 exec, exec, s[6:7]
	v_cmp_gt_u32_e32 vcc, s10, v0
	s_and_b64 s[12:13], s[2:3], vcc
	s_waitcnt lgkmcnt(0)
	s_barrier
	s_and_saveexec_b64 s[6:7], s[12:13]
	s_cbranch_execz .LBB84_529
; %bb.537:                              ;   in Loop: Header=BB84_530 Depth=1
	ds_read_b128 v[6:9], v4 offset:25088
	ds_read_b128 v[15:18], v5
	s_waitcnt lgkmcnt(0)
	v_mul_f64 v[19:20], v[8:9], v[17:18]
	v_mul_f64 v[17:18], v[6:7], v[17:18]
	v_fma_f64 v[5:6], v[6:7], v[15:16], -v[19:20]
	v_fma_f64 v[7:8], v[8:9], v[15:16], v[17:18]
	v_add_f64 v[13:14], v[13:14], v[5:6]
	v_add_f64 v[11:12], v[11:12], v[7:8]
	s_branch .LBB84_529
.LBB84_538:
	s_mov_b64 s[6:7], -1
	s_and_b64 vcc, exec, s[4:5]
	s_cbranch_vccnz .LBB84_548
; %bb.539:
	s_andn2_b64 vcc, exec, s[6:7]
	s_cbranch_vccz .LBB84_549
.LBB84_540:
	s_and_saveexec_b64 s[2:3], s[0:1]
	s_cbranch_execz .LBB84_542
.LBB84_541:
	v_mov_b32_e32 v0, s42
	v_add_co_u32_e32 v1, vcc, s33, v23
	v_addc_co_u32_e32 v0, vcc, 0, v0, vcc
	v_mul_lo_u32 v2, v0, s30
	v_mul_lo_u32 v3, v1, s31
	v_mad_u64_u32 v[0:1], s[0:1], v1, s30, 0
	v_mov_b32_e32 v15, v11
	v_mov_b32_e32 v16, v12
	v_add3_u32 v1, v1, v3, v2
	v_lshlrev_b64 v[0:1], 4, v[0:1]
	v_mov_b32_e32 v2, s25
	v_add_co_u32_e32 v0, vcc, s24, v0
	v_addc_co_u32_e32 v1, vcc, v2, v1, vcc
	global_store_dwordx4 v[0:1], v[13:16], off
.LBB84_542:
	s_or_b64 exec, exec, s[2:3]
	v_cmp_eq_u32_e32 vcc, 0, v23
	s_waitcnt vmcnt(0)
	buffer_wbinvl1_vol
	s_barrier
	s_and_saveexec_b64 s[0:1], vcc
	s_cbranch_execz .LBB84_544
; %bb.543:
	s_lshl_b64 s[2:3], s[34:35], 2
	s_add_u32 s2, s14, s2
	s_addc_u32 s3, s15, s3
	v_mov_b32_e32 v0, 0
	global_load_dword v1, v0, s[2:3]
	s_waitcnt vmcnt(0)
	v_add_u32_e32 v1, 1, v1
	global_store_dword v0, v1, s[2:3]
.LBB84_544:
	s_or_b64 exec, exec, s[0:1]
	s_waitcnt vmcnt(0)
	buffer_wbinvl1_vol
	s_endpgm
.LBB84_545:
                                        ; implicit-def: $vgpr5_vgpr6
                                        ; implicit-def: $vgpr9_vgpr10
                                        ; implicit-def: $sgpr33
	s_cbranch_execnz .LBB84_6
	s_branch .LBB84_7
.LBB84_546:
	s_or_b64 exec, exec, s[8:9]
	s_and_b64 vcc, exec, s[6:7]
	s_cbranch_vccnz .LBB84_528
.LBB84_547:
	v_mov_b32_e32 v12, v2
	v_mov_b32_e32 v14, v8
	;; [unrolled: 1-line block ×4, first 2 shown]
	s_and_saveexec_b64 s[2:3], s[0:1]
	s_cbranch_execnz .LBB84_541
	s_branch .LBB84_542
.LBB84_548:
	s_andn2_b64 s[0:1], s[0:1], exec
	s_and_b64 s[4:5], s[2:3], exec
	s_or_b64 s[0:1], s[0:1], s[4:5]
	s_cbranch_execnz .LBB84_540
.LBB84_549:
	v_cmp_gt_i32_e32 vcc, s95, v0
	s_and_b64 s[2:3], s[2:3], vcc
	s_andn2_b64 s[0:1], s[0:1], exec
	s_and_b64 s[2:3], s[2:3], exec
	s_or_b64 s[0:1], s[0:1], s[2:3]
	s_and_saveexec_b64 s[2:3], s[0:1]
	s_cbranch_execnz .LBB84_541
	s_branch .LBB84_542
.LBB84_550:
	v_lshlrev_b32_e32 v23, 4, v22
	v_sub_u32_e32 v23, v20, v23
	v_lshl_add_u32 v27, v21, 4, v23
	ds_read_b128 v[23:26], v20 offset:16
	ds_read_b128 v[27:30], v27 offset:576
	s_waitcnt lgkmcnt(0)
	v_mul_f64 v[31:32], v[25:26], v[29:30]
	v_mul_f64 v[29:30], v[23:24], v[29:30]
	v_fma_f64 v[23:24], v[23:24], v[27:28], -v[31:32]
	v_fma_f64 v[25:26], v[25:26], v[27:28], v[29:30]
	v_add_f64 v[11:12], v[11:12], v[23:24]
	v_add_f64 v[13:14], v[13:14], v[25:26]
	s_or_b64 exec, exec, s[18:19]
	v_cmp_gt_u32_e64 s[12:13], 8, v1
	s_and_saveexec_b64 s[18:19], s[12:13]
	s_cbranch_execz .LBB84_89
.LBB84_551:
	ds_read_b128 v[23:26], v20 offset:32
	ds_read_b128 v[27:30], v18 offset:1088
	s_waitcnt lgkmcnt(0)
	v_mul_f64 v[31:32], v[25:26], v[29:30]
	v_mul_f64 v[29:30], v[23:24], v[29:30]
	v_fma_f64 v[23:24], v[23:24], v[27:28], -v[31:32]
	v_fma_f64 v[25:26], v[25:26], v[27:28], v[29:30]
	v_add_f64 v[11:12], v[11:12], v[23:24]
	v_add_f64 v[13:14], v[13:14], v[25:26]
	s_or_b64 exec, exec, s[18:19]
	v_cmp_gt_u32_e64 s[12:13], 4, v1
	s_and_saveexec_b64 s[18:19], s[12:13]
	s_cbranch_execnz .LBB84_90
	s_branch .LBB84_91
.LBB84_552:
	v_lshlrev_b32_e32 v28, 4, v27
	v_sub_u32_e32 v28, v25, v28
	v_lshl_add_u32 v32, v26, 4, v28
	ds_read_b128 v[28:31], v25 offset:16
	ds_read_b128 v[32:35], v32 offset:640
	s_waitcnt lgkmcnt(0)
	v_mul_f64 v[36:37], v[30:31], v[34:35]
	v_mul_f64 v[34:35], v[28:29], v[34:35]
	v_fma_f64 v[28:29], v[28:29], v[32:33], -v[36:37]
	v_fma_f64 v[30:31], v[30:31], v[32:33], v[34:35]
	v_add_f64 v[11:12], v[11:12], v[28:29]
	v_add_f64 v[13:14], v[13:14], v[30:31]
	s_or_b64 exec, exec, s[60:61]
	v_cmp_gt_u32_e64 s[14:15], 48, v1
	s_and_saveexec_b64 s[60:61], s[14:15]
	s_cbranch_execz .LBB84_131
.LBB84_553:
	v_lshlrev_b32_e32 v28, 4, v27
	v_sub_u32_e32 v28, v25, v28
	v_lshl_add_u32 v32, v26, 4, v28
	ds_read_b128 v[28:31], v25 offset:32
	ds_read_b128 v[32:35], v32 offset:1152
	s_waitcnt lgkmcnt(0)
	v_mul_f64 v[36:37], v[30:31], v[34:35]
	v_mul_f64 v[34:35], v[28:29], v[34:35]
	v_fma_f64 v[28:29], v[28:29], v[32:33], -v[36:37]
	v_fma_f64 v[30:31], v[30:31], v[32:33], v[34:35]
	v_add_f64 v[11:12], v[11:12], v[28:29]
	v_add_f64 v[13:14], v[13:14], v[30:31]
	s_or_b64 exec, exec, s[60:61]
	v_cmp_gt_u32_e64 s[14:15], 40, v1
	s_and_saveexec_b64 s[60:61], s[14:15]
	s_cbranch_execz .LBB84_132
.LBB84_554:
	v_lshlrev_b32_e32 v28, 4, v27
	v_sub_u32_e32 v28, v25, v28
	v_lshl_add_u32 v32, v26, 4, v28
	ds_read_b128 v[28:31], v25 offset:48
	ds_read_b128 v[32:35], v32 offset:1664
	s_waitcnt lgkmcnt(0)
	v_mul_f64 v[36:37], v[30:31], v[34:35]
	v_mul_f64 v[34:35], v[28:29], v[34:35]
	v_fma_f64 v[28:29], v[28:29], v[32:33], -v[36:37]
	v_fma_f64 v[30:31], v[30:31], v[32:33], v[34:35]
	v_add_f64 v[11:12], v[11:12], v[28:29]
	v_add_f64 v[13:14], v[13:14], v[30:31]
	s_or_b64 exec, exec, s[60:61]
	v_cmp_gt_u32_e64 s[14:15], 32, v1
	s_and_saveexec_b64 s[60:61], s[14:15]
	s_cbranch_execz .LBB84_133
.LBB84_555:
	ds_read_b128 v[28:31], v25 offset:64
	ds_read_b128 v[32:35], v23 offset:2176
	s_waitcnt lgkmcnt(0)
	v_mul_f64 v[36:37], v[30:31], v[34:35]
	v_mul_f64 v[34:35], v[28:29], v[34:35]
	v_fma_f64 v[28:29], v[28:29], v[32:33], -v[36:37]
	v_fma_f64 v[30:31], v[30:31], v[32:33], v[34:35]
	v_add_f64 v[11:12], v[11:12], v[28:29]
	v_add_f64 v[13:14], v[13:14], v[30:31]
	s_or_b64 exec, exec, s[60:61]
	v_cmp_gt_u32_e64 s[14:15], 24, v1
	s_and_saveexec_b64 s[60:61], s[14:15]
	s_cbranch_execz .LBB84_134
.LBB84_556:
	v_lshlrev_b32_e32 v28, 4, v27
	v_sub_u32_e32 v28, v25, v28
	v_lshl_add_u32 v32, v26, 4, v28
	ds_read_b128 v[28:31], v25 offset:80
	ds_read_b128 v[32:35], v32 offset:2688
	s_waitcnt lgkmcnt(0)
	v_mul_f64 v[36:37], v[30:31], v[34:35]
	v_mul_f64 v[34:35], v[28:29], v[34:35]
	v_fma_f64 v[28:29], v[28:29], v[32:33], -v[36:37]
	v_fma_f64 v[30:31], v[30:31], v[32:33], v[34:35]
	v_add_f64 v[11:12], v[11:12], v[28:29]
	v_add_f64 v[13:14], v[13:14], v[30:31]
	s_or_b64 exec, exec, s[60:61]
	v_cmp_gt_u32_e64 s[14:15], 16, v1
	s_and_saveexec_b64 s[60:61], s[14:15]
	s_cbranch_execz .LBB84_135
.LBB84_557:
	ds_read_b128 v[28:31], v25 offset:96
	ds_read_b128 v[32:35], v23 offset:3200
	s_waitcnt lgkmcnt(0)
	v_mul_f64 v[36:37], v[30:31], v[34:35]
	v_mul_f64 v[34:35], v[28:29], v[34:35]
	v_fma_f64 v[28:29], v[28:29], v[32:33], -v[36:37]
	v_fma_f64 v[30:31], v[30:31], v[32:33], v[34:35]
	v_add_f64 v[11:12], v[11:12], v[28:29]
	v_add_f64 v[13:14], v[13:14], v[30:31]
	s_or_b64 exec, exec, s[60:61]
	v_cmp_gt_u32_e64 s[14:15], 8, v1
	s_and_saveexec_b64 s[60:61], s[14:15]
	s_cbranch_execnz .LBB84_136
	s_branch .LBB84_137
.LBB84_558:
	v_lshlrev_b32_e32 v29, 4, v22
	v_sub_u32_e32 v29, v28, v29
	v_lshl_add_u32 v33, v21, 4, v29
	ds_read_b128 v[29:32], v28 offset:4240
	ds_read_b128 v[33:36], v33 offset:4800
	s_waitcnt lgkmcnt(0)
	v_mul_f64 v[37:38], v[31:32], v[35:36]
	v_mul_f64 v[35:36], v[29:30], v[35:36]
	v_fma_f64 v[29:30], v[29:30], v[33:34], -v[37:38]
	v_fma_f64 v[31:32], v[31:32], v[33:34], v[35:36]
	v_add_f64 v[11:12], v[11:12], v[29:30]
	v_add_f64 v[13:14], v[13:14], v[31:32]
	s_or_b64 exec, exec, s[18:19]
	v_cmp_gt_u32_e64 s[12:13], 8, v1
	s_and_saveexec_b64 s[18:19], s[12:13]
	s_cbranch_execz .LBB84_193
.LBB84_559:
	ds_read_b128 v[28:31], v28 offset:4256
	ds_read_b128 v[32:35], v18 offset:5312
	s_waitcnt lgkmcnt(0)
	v_mul_f64 v[36:37], v[30:31], v[34:35]
	v_mul_f64 v[34:35], v[28:29], v[34:35]
	v_fma_f64 v[28:29], v[28:29], v[32:33], -v[36:37]
	v_fma_f64 v[30:31], v[30:31], v[32:33], v[34:35]
	v_add_f64 v[11:12], v[11:12], v[28:29]
	v_add_f64 v[13:14], v[13:14], v[30:31]
	s_or_b64 exec, exec, s[18:19]
	v_cmp_gt_u32_e64 s[12:13], 4, v1
	s_and_saveexec_b64 s[18:19], s[12:13]
	s_cbranch_execnz .LBB84_194
	s_branch .LBB84_195
.LBB84_560:
	ds_read_b128 v[33:36], v32 offset:176
	ds_read_b128 v[37:40], v28 offset:5888
	s_waitcnt lgkmcnt(0)
	v_mul_f64 v[41:42], v[35:36], v[39:40]
	v_mul_f64 v[39:40], v[33:34], v[39:40]
	v_fma_f64 v[33:34], v[33:34], v[37:38], -v[41:42]
	v_fma_f64 v[35:36], v[35:36], v[37:38], v[39:40]
	v_add_f64 v[11:12], v[11:12], v[33:34]
	v_add_f64 v[13:14], v[13:14], v[35:36]
	s_or_b64 exec, exec, s[92:93]
	v_cmp_gt_u32_e64 s[18:19], 64, v1
	s_and_saveexec_b64 s[92:93], s[18:19]
	s_cbranch_execz .LBB84_255
.LBB84_561:
	ds_read_b128 v[33:36], v32 offset:192
	ds_read_b128 v[37:40], v28 offset:6400
	s_waitcnt lgkmcnt(0)
	v_mul_f64 v[41:42], v[35:36], v[39:40]
	v_mul_f64 v[39:40], v[33:34], v[39:40]
	v_fma_f64 v[33:34], v[33:34], v[37:38], -v[41:42]
	v_fma_f64 v[35:36], v[35:36], v[37:38], v[39:40]
	v_add_f64 v[11:12], v[11:12], v[33:34]
	v_add_f64 v[13:14], v[13:14], v[35:36]
	s_or_b64 exec, exec, s[92:93]
	v_cmp_gt_u32_e64 s[18:19], 48, v1
	s_and_saveexec_b64 s[92:93], s[18:19]
	s_cbranch_execz .LBB84_256
.LBB84_562:
	ds_read_b128 v[33:36], v32 offset:208
	ds_read_b128 v[37:40], v28 offset:6912
	s_waitcnt lgkmcnt(0)
	v_mul_f64 v[41:42], v[35:36], v[39:40]
	v_mul_f64 v[39:40], v[33:34], v[39:40]
	v_fma_f64 v[33:34], v[33:34], v[37:38], -v[41:42]
	v_fma_f64 v[35:36], v[35:36], v[37:38], v[39:40]
	v_add_f64 v[11:12], v[11:12], v[33:34]
	v_add_f64 v[13:14], v[13:14], v[35:36]
	s_or_b64 exec, exec, s[92:93]
	v_cmp_gt_u32_e64 s[18:19], 32, v1
	s_and_saveexec_b64 s[92:93], s[18:19]
	s_cbranch_execz .LBB84_257
.LBB84_563:
	ds_read_b128 v[32:35], v32 offset:224
	ds_read_b128 v[36:39], v28 offset:7424
	s_waitcnt lgkmcnt(0)
	v_mul_f64 v[40:41], v[34:35], v[38:39]
	v_mul_f64 v[38:39], v[32:33], v[38:39]
	v_fma_f64 v[32:33], v[32:33], v[36:37], -v[40:41]
	v_fma_f64 v[34:35], v[34:35], v[36:37], v[38:39]
	v_add_f64 v[11:12], v[11:12], v[32:33]
	v_add_f64 v[13:14], v[13:14], v[34:35]
	s_or_b64 exec, exec, s[92:93]
	v_cmp_gt_u32_e64 s[18:19], 16, v1
	s_and_saveexec_b64 s[92:93], s[18:19]
	s_cbranch_execnz .LBB84_258
	s_branch .LBB84_259
.LBB84_564:
	v_lshlrev_b32_e32 v29, 4, v22
	v_sub_u32_e32 v29, v28, v29
	v_lshl_add_u32 v33, v21, 4, v29
	ds_read_b128 v[29:32], v28 offset:8464
	ds_read_b128 v[33:36], v33 offset:9024
	s_waitcnt lgkmcnt(0)
	v_mul_f64 v[37:38], v[31:32], v[35:36]
	v_mul_f64 v[35:36], v[29:30], v[35:36]
	v_fma_f64 v[29:30], v[29:30], v[33:34], -v[37:38]
	v_fma_f64 v[31:32], v[31:32], v[33:34], v[35:36]
	v_add_f64 v[11:12], v[11:12], v[29:30]
	v_add_f64 v[13:14], v[13:14], v[31:32]
	s_or_b64 exec, exec, s[14:15]
	v_cmp_gt_u32_e64 s[10:11], 8, v1
	s_and_saveexec_b64 s[14:15], s[10:11]
	s_cbranch_execz .LBB84_347
.LBB84_565:
	ds_read_b128 v[28:31], v28 offset:8480
	ds_read_b128 v[32:35], v18 offset:9536
	s_waitcnt lgkmcnt(0)
	v_mul_f64 v[36:37], v[30:31], v[34:35]
	v_mul_f64 v[34:35], v[28:29], v[34:35]
	v_fma_f64 v[28:29], v[28:29], v[32:33], -v[36:37]
	v_fma_f64 v[30:31], v[30:31], v[32:33], v[34:35]
	v_add_f64 v[11:12], v[11:12], v[28:29]
	v_add_f64 v[13:14], v[13:14], v[30:31]
	s_or_b64 exec, exec, s[14:15]
	v_cmp_gt_u32_e64 s[10:11], 4, v1
	s_and_saveexec_b64 s[14:15], s[10:11]
	s_cbranch_execnz .LBB84_348
	s_branch .LBB84_349
.LBB84_566:
	v_lshlrev_b32_e32 v29, 4, v27
	v_sub_u32_e32 v29, v28, v29
	v_lshl_add_u32 v33, v26, 4, v29
	ds_read_b128 v[29:32], v28 offset:8464
	ds_read_b128 v[33:36], v33 offset:9088
	s_waitcnt lgkmcnt(0)
	v_mul_f64 v[37:38], v[31:32], v[35:36]
	v_mul_f64 v[35:36], v[29:30], v[35:36]
	v_fma_f64 v[29:30], v[29:30], v[33:34], -v[37:38]
	v_fma_f64 v[31:32], v[31:32], v[33:34], v[35:36]
	v_add_f64 v[11:12], v[11:12], v[29:30]
	v_add_f64 v[13:14], v[13:14], v[31:32]
	s_or_b64 exec, exec, s[14:15]
	v_cmp_gt_u32_e64 s[10:11], 48, v1
	s_and_saveexec_b64 s[14:15], s[10:11]
	s_cbranch_execz .LBB84_389
.LBB84_567:
	v_lshlrev_b32_e32 v29, 4, v27
	v_sub_u32_e32 v29, v28, v29
	v_lshl_add_u32 v33, v26, 4, v29
	ds_read_b128 v[29:32], v28 offset:8480
	ds_read_b128 v[33:36], v33 offset:9600
	s_waitcnt lgkmcnt(0)
	v_mul_f64 v[37:38], v[31:32], v[35:36]
	v_mul_f64 v[35:36], v[29:30], v[35:36]
	v_fma_f64 v[29:30], v[29:30], v[33:34], -v[37:38]
	v_fma_f64 v[31:32], v[31:32], v[33:34], v[35:36]
	v_add_f64 v[11:12], v[11:12], v[29:30]
	v_add_f64 v[13:14], v[13:14], v[31:32]
	s_or_b64 exec, exec, s[14:15]
	v_cmp_gt_u32_e64 s[10:11], 40, v1
	s_and_saveexec_b64 s[14:15], s[10:11]
	s_cbranch_execz .LBB84_390
.LBB84_568:
	v_lshlrev_b32_e32 v29, 4, v27
	v_sub_u32_e32 v29, v28, v29
	v_lshl_add_u32 v33, v26, 4, v29
	ds_read_b128 v[29:32], v28 offset:8496
	ds_read_b128 v[33:36], v33 offset:10112
	s_waitcnt lgkmcnt(0)
	v_mul_f64 v[37:38], v[31:32], v[35:36]
	v_mul_f64 v[35:36], v[29:30], v[35:36]
	v_fma_f64 v[29:30], v[29:30], v[33:34], -v[37:38]
	v_fma_f64 v[31:32], v[31:32], v[33:34], v[35:36]
	v_add_f64 v[11:12], v[11:12], v[29:30]
	v_add_f64 v[13:14], v[13:14], v[31:32]
	s_or_b64 exec, exec, s[14:15]
	v_cmp_gt_u32_e64 s[10:11], 32, v1
	s_and_saveexec_b64 s[14:15], s[10:11]
	s_cbranch_execz .LBB84_391
.LBB84_569:
	ds_read_b128 v[29:32], v28 offset:8512
	ds_read_b128 v[33:36], v23 offset:10624
	s_waitcnt lgkmcnt(0)
	v_mul_f64 v[37:38], v[31:32], v[35:36]
	v_mul_f64 v[35:36], v[29:30], v[35:36]
	v_fma_f64 v[29:30], v[29:30], v[33:34], -v[37:38]
	v_fma_f64 v[31:32], v[31:32], v[33:34], v[35:36]
	v_add_f64 v[11:12], v[11:12], v[29:30]
	v_add_f64 v[13:14], v[13:14], v[31:32]
	s_or_b64 exec, exec, s[14:15]
	v_cmp_gt_u32_e64 s[10:11], 24, v1
	s_and_saveexec_b64 s[14:15], s[10:11]
	s_cbranch_execz .LBB84_392
.LBB84_570:
	v_lshlrev_b32_e32 v27, 4, v27
	v_sub_u32_e32 v27, v28, v27
	v_lshl_add_u32 v26, v26, 4, v27
	ds_read_b128 v[29:32], v28 offset:8528
	ds_read_b128 v[33:36], v26 offset:11136
	s_waitcnt lgkmcnt(0)
	v_mul_f64 v[26:27], v[31:32], v[35:36]
	v_mul_f64 v[35:36], v[29:30], v[35:36]
	v_fma_f64 v[26:27], v[29:30], v[33:34], -v[26:27]
	v_fma_f64 v[29:30], v[31:32], v[33:34], v[35:36]
	v_add_f64 v[11:12], v[11:12], v[26:27]
	v_add_f64 v[13:14], v[13:14], v[29:30]
	s_or_b64 exec, exec, s[14:15]
	v_cmp_gt_u32_e64 s[10:11], 16, v1
	s_and_saveexec_b64 s[14:15], s[10:11]
	s_cbranch_execz .LBB84_393
.LBB84_571:
	ds_read_b128 v[26:29], v28 offset:8544
	ds_read_b128 v[30:33], v23 offset:11648
	s_waitcnt lgkmcnt(0)
	v_mul_f64 v[34:35], v[28:29], v[32:33]
	v_mul_f64 v[32:33], v[26:27], v[32:33]
	v_fma_f64 v[26:27], v[26:27], v[30:31], -v[34:35]
	v_fma_f64 v[28:29], v[28:29], v[30:31], v[32:33]
	v_add_f64 v[11:12], v[11:12], v[26:27]
	v_add_f64 v[13:14], v[13:14], v[28:29]
	s_or_b64 exec, exec, s[14:15]
	v_cmp_gt_u32_e64 s[10:11], 8, v1
	s_and_saveexec_b64 s[14:15], s[10:11]
	s_cbranch_execnz .LBB84_394
	s_branch .LBB84_395
.LBB84_572:
	v_lshlrev_b32_e32 v22, 4, v22
	v_sub_u32_e32 v22, v23, v22
	v_lshl_add_u32 v21, v21, 4, v22
	ds_read_b128 v[24:27], v23 offset:12688
	ds_read_b128 v[28:31], v21 offset:13248
	s_waitcnt lgkmcnt(0)
	v_mul_f64 v[21:22], v[26:27], v[30:31]
	v_mul_f64 v[30:31], v[24:25], v[30:31]
	v_fma_f64 v[21:22], v[24:25], v[28:29], -v[21:22]
	v_fma_f64 v[24:25], v[26:27], v[28:29], v[30:31]
	v_add_f64 v[11:12], v[11:12], v[21:22]
	v_add_f64 v[13:14], v[13:14], v[24:25]
	s_or_b64 exec, exec, s[12:13]
	v_cmp_gt_u32_e64 s[8:9], 8, v1
	s_and_saveexec_b64 s[12:13], s[8:9]
	s_cbranch_execz .LBB84_451
.LBB84_573:
	ds_read_b128 v[21:24], v23 offset:12704
	ds_read_b128 v[25:28], v18 offset:13760
	s_waitcnt lgkmcnt(0)
	v_mul_f64 v[29:30], v[23:24], v[27:28]
	v_mul_f64 v[27:28], v[21:22], v[27:28]
	v_fma_f64 v[21:22], v[21:22], v[25:26], -v[29:30]
	v_fma_f64 v[23:24], v[23:24], v[25:26], v[27:28]
	v_add_f64 v[11:12], v[11:12], v[21:22]
	v_add_f64 v[13:14], v[13:14], v[23:24]
	s_or_b64 exec, exec, s[12:13]
	v_cmp_gt_u32_e64 s[8:9], 4, v1
	s_and_saveexec_b64 s[12:13], s[8:9]
	s_cbranch_execnz .LBB84_452
	s_branch .LBB84_453
	.section	.rodata,"a",@progbits
	.p2align	6, 0x0
	.amdhsa_kernel _ZL19rocblas_trsv_deviceILi32ELi16ELb1ELb1ELb1ELb0E19rocblas_complex_numIdEPKS1_S3_PS1_EviT7_lllT6_T8_lllPii
		.amdhsa_group_segment_fixed_size 25104
		.amdhsa_private_segment_fixed_size 0
		.amdhsa_kernarg_size 352
		.amdhsa_user_sgpr_count 6
		.amdhsa_user_sgpr_private_segment_buffer 1
		.amdhsa_user_sgpr_dispatch_ptr 0
		.amdhsa_user_sgpr_queue_ptr 0
		.amdhsa_user_sgpr_kernarg_segment_ptr 1
		.amdhsa_user_sgpr_dispatch_id 0
		.amdhsa_user_sgpr_flat_scratch_init 0
		.amdhsa_user_sgpr_private_segment_size 0
		.amdhsa_uses_dynamic_stack 0
		.amdhsa_system_sgpr_private_segment_wavefront_offset 0
		.amdhsa_system_sgpr_workgroup_id_x 1
		.amdhsa_system_sgpr_workgroup_id_y 0
		.amdhsa_system_sgpr_workgroup_id_z 1
		.amdhsa_system_sgpr_workgroup_info 0
		.amdhsa_system_vgpr_workitem_id 1
		.amdhsa_next_free_vgpr 49
		.amdhsa_next_free_sgpr 98
		.amdhsa_reserve_vcc 1
		.amdhsa_reserve_flat_scratch 0
		.amdhsa_float_round_mode_32 0
		.amdhsa_float_round_mode_16_64 0
		.amdhsa_float_denorm_mode_32 3
		.amdhsa_float_denorm_mode_16_64 3
		.amdhsa_dx10_clamp 1
		.amdhsa_ieee_mode 1
		.amdhsa_fp16_overflow 0
		.amdhsa_exception_fp_ieee_invalid_op 0
		.amdhsa_exception_fp_denorm_src 0
		.amdhsa_exception_fp_ieee_div_zero 0
		.amdhsa_exception_fp_ieee_overflow 0
		.amdhsa_exception_fp_ieee_underflow 0
		.amdhsa_exception_fp_ieee_inexact 0
		.amdhsa_exception_int_div_zero 0
	.end_amdhsa_kernel
	.section	.text._ZL19rocblas_trsv_deviceILi32ELi16ELb1ELb1ELb1ELb0E19rocblas_complex_numIdEPKS1_S3_PS1_EviT7_lllT6_T8_lllPii,"axG",@progbits,_ZL19rocblas_trsv_deviceILi32ELi16ELb1ELb1ELb1ELb0E19rocblas_complex_numIdEPKS1_S3_PS1_EviT7_lllT6_T8_lllPii,comdat
.Lfunc_end84:
	.size	_ZL19rocblas_trsv_deviceILi32ELi16ELb1ELb1ELb1ELb0E19rocblas_complex_numIdEPKS1_S3_PS1_EviT7_lllT6_T8_lllPii, .Lfunc_end84-_ZL19rocblas_trsv_deviceILi32ELi16ELb1ELb1ELb1ELb0E19rocblas_complex_numIdEPKS1_S3_PS1_EviT7_lllT6_T8_lllPii
                                        ; -- End function
	.set _ZL19rocblas_trsv_deviceILi32ELi16ELb1ELb1ELb1ELb0E19rocblas_complex_numIdEPKS1_S3_PS1_EviT7_lllT6_T8_lllPii.num_vgpr, 44
	.set _ZL19rocblas_trsv_deviceILi32ELi16ELb1ELb1ELb1ELb0E19rocblas_complex_numIdEPKS1_S3_PS1_EviT7_lllT6_T8_lllPii.num_agpr, 0
	.set _ZL19rocblas_trsv_deviceILi32ELi16ELb1ELb1ELb1ELb0E19rocblas_complex_numIdEPKS1_S3_PS1_EviT7_lllT6_T8_lllPii.numbered_sgpr, 96
	.set _ZL19rocblas_trsv_deviceILi32ELi16ELb1ELb1ELb1ELb0E19rocblas_complex_numIdEPKS1_S3_PS1_EviT7_lllT6_T8_lllPii.num_named_barrier, 0
	.set _ZL19rocblas_trsv_deviceILi32ELi16ELb1ELb1ELb1ELb0E19rocblas_complex_numIdEPKS1_S3_PS1_EviT7_lllT6_T8_lllPii.private_seg_size, 0
	.set _ZL19rocblas_trsv_deviceILi32ELi16ELb1ELb1ELb1ELb0E19rocblas_complex_numIdEPKS1_S3_PS1_EviT7_lllT6_T8_lllPii.uses_vcc, 1
	.set _ZL19rocblas_trsv_deviceILi32ELi16ELb1ELb1ELb1ELb0E19rocblas_complex_numIdEPKS1_S3_PS1_EviT7_lllT6_T8_lllPii.uses_flat_scratch, 0
	.set _ZL19rocblas_trsv_deviceILi32ELi16ELb1ELb1ELb1ELb0E19rocblas_complex_numIdEPKS1_S3_PS1_EviT7_lllT6_T8_lllPii.has_dyn_sized_stack, 0
	.set _ZL19rocblas_trsv_deviceILi32ELi16ELb1ELb1ELb1ELb0E19rocblas_complex_numIdEPKS1_S3_PS1_EviT7_lllT6_T8_lllPii.has_recursion, 0
	.set _ZL19rocblas_trsv_deviceILi32ELi16ELb1ELb1ELb1ELb0E19rocblas_complex_numIdEPKS1_S3_PS1_EviT7_lllT6_T8_lllPii.has_indirect_call, 0
	.section	.AMDGPU.csdata,"",@progbits
; Kernel info:
; codeLenInByte = 27796
; TotalNumSgprs: 100
; NumVgprs: 44
; ScratchSize: 0
; MemoryBound: 1
; FloatMode: 240
; IeeeMode: 1
; LDSByteSize: 25104 bytes/workgroup (compile time only)
; SGPRBlocks: 12
; VGPRBlocks: 12
; NumSGPRsForWavesPerEU: 102
; NumVGPRsForWavesPerEU: 49
; Occupancy: 4
; WaveLimiterHint : 0
; COMPUTE_PGM_RSRC2:SCRATCH_EN: 0
; COMPUTE_PGM_RSRC2:USER_SGPR: 6
; COMPUTE_PGM_RSRC2:TRAP_HANDLER: 0
; COMPUTE_PGM_RSRC2:TGID_X_EN: 1
; COMPUTE_PGM_RSRC2:TGID_Y_EN: 0
; COMPUTE_PGM_RSRC2:TGID_Z_EN: 1
; COMPUTE_PGM_RSRC2:TIDIG_COMP_CNT: 1
	.section	.text._ZL19rocblas_trsv_deviceILi32ELi16ELb0ELb0ELb0ELb1E19rocblas_complex_numIdES1_PKS1_PS1_EviT7_lllT6_T8_lllPii,"axG",@progbits,_ZL19rocblas_trsv_deviceILi32ELi16ELb0ELb0ELb0ELb1E19rocblas_complex_numIdES1_PKS1_PS1_EviT7_lllT6_T8_lllPii,comdat
	.globl	_ZL19rocblas_trsv_deviceILi32ELi16ELb0ELb0ELb0ELb1E19rocblas_complex_numIdES1_PKS1_PS1_EviT7_lllT6_T8_lllPii ; -- Begin function _ZL19rocblas_trsv_deviceILi32ELi16ELb0ELb0ELb0ELb1E19rocblas_complex_numIdES1_PKS1_PS1_EviT7_lllT6_T8_lllPii
	.p2align	8
	.type	_ZL19rocblas_trsv_deviceILi32ELi16ELb0ELb0ELb0ELb1E19rocblas_complex_numIdES1_PKS1_PS1_EviT7_lllT6_T8_lllPii,@function
_ZL19rocblas_trsv_deviceILi32ELi16ELb0ELb0ELb0ELb1E19rocblas_complex_numIdES1_PKS1_PS1_EviT7_lllT6_T8_lllPii: ; @_ZL19rocblas_trsv_deviceILi32ELi16ELb0ELb0ELb0ELb1E19rocblas_complex_numIdES1_PKS1_PS1_EviT7_lllT6_T8_lllPii
; %bb.0:
	s_load_dwordx16 s[12:27], s[4:5], 0x8
	s_load_dword s30, s[4:5], 0x0
	s_mov_b32 s28, s7
	s_mov_b32 s29, 0
	s_load_dword s87, s[4:5], 0x74
	s_waitcnt lgkmcnt(0)
	s_mul_i32 s0, s19, s7
	s_mul_hi_u32 s1, s18, s7
	s_add_i32 s1, s1, s0
	s_mul_i32 s0, s18, s7
	s_load_dword s7, s[4:5], 0x68
	s_lshl_b64 s[0:1], s[0:1], 4
	s_add_u32 s2, s12, s0
	s_addc_u32 s3, s13, s1
	s_lshl_b64 s[0:1], s[14:15], 4
	s_add_u32 s85, s2, s0
	s_addc_u32 s86, s3, s1
	s_waitcnt lgkmcnt(0)
	s_add_i32 s7, s7, -1
	s_sub_i32 s33, s7, s6
	s_cmp_eq_u32 s6, 0
	s_cbranch_scc1 .LBB85_6
; %bb.1:
	s_lshl_b32 s2, s33, 5
	v_add3_u32 v6, v1, s2, 32
	v_ashrrev_i32_e32 v2, 31, v6
	v_mul_lo_u32 v7, s16, v2
	v_mul_lo_u32 v8, s17, v6
	v_mad_u64_u32 v[2:3], s[0:1], s16, v6, 0
	v_add_u32_e32 v4, s2, v0
	v_ashrrev_i32_e32 v5, 31, v4
	v_add3_u32 v3, v3, v7, v8
	v_lshlrev_b64 v[2:3], 4, v[2:3]
	v_mov_b32_e32 v7, s86
	v_add_co_u32_e64 v8, s[0:1], s85, v2
	v_addc_co_u32_e64 v7, s[0:1], v7, v3, s[0:1]
	v_lshlrev_b64 v[2:3], 4, v[4:5]
	v_cmp_gt_i32_e32 vcc, s30, v4
	v_add_co_u32_e64 v10, s[0:1], v8, v2
	v_addc_co_u32_e64 v11, s[0:1], v7, v3, s[0:1]
	v_cmp_gt_i32_e64 s[0:1], s30, v6
	v_mov_b32_e32 v8, 0
	v_mov_b32_e32 v2, 0
	;; [unrolled: 1-line block ×6, first 2 shown]
	s_and_b64 s[2:3], vcc, s[0:1]
	s_barrier
	s_and_saveexec_b64 s[0:1], s[2:3]
	s_cbranch_execz .LBB85_3
; %bb.2:
	global_load_dwordx4 v[2:5], v[10:11], off
.LBB85_3:
	s_or_b64 exec, exec, s[0:1]
	v_add_u32_e32 v6, 16, v6
	v_cmp_gt_i32_e64 s[0:1], s30, v6
	v_mov_b32_e32 v6, 0
	v_mov_b32_e32 v7, 0
	s_and_b64 s[2:3], vcc, s[0:1]
	s_waitcnt vmcnt(0)
	s_barrier
	s_and_saveexec_b64 s[0:1], s[2:3]
	s_cbranch_execz .LBB85_5
; %bb.4:
	s_lshl_b64 s[2:3], s[16:17], 8
	v_mov_b32_e32 v7, s3
	v_add_co_u32_e32 v6, vcc, s2, v10
	v_addc_co_u32_e32 v7, vcc, v11, v7, vcc
	global_load_dwordx4 v[6:9], v[6:7], off
.LBB85_5:
	s_or_b64 exec, exec, s[0:1]
	s_branch .LBB85_7
.LBB85_6:
                                        ; implicit-def: $vgpr8_vgpr9
                                        ; implicit-def: $vgpr4_vgpr5
.LBB85_7:
	s_ashr_i32 s31, s30, 31
	s_lshr_b32 s0, s31, 27
	s_add_i32 s0, s30, s0
	s_andn2_b32 s0, s0, 31
	s_sub_i32 s84, s30, s0
	s_add_i32 s0, s30, -1
	s_ashr_i32 s1, s0, 31
	s_lshr_b32 s1, s1, 27
	s_add_i32 s0, s0, s1
	s_ashr_i32 s0, s0, 5
	s_cmp_eq_u32 s0, s33
	s_cselect_b64 s[0:1], -1, 0
	s_cmp_lg_u32 s84, 0
	s_cselect_b64 s[2:3], -1, 0
	s_and_b64 s[18:19], s[2:3], s[0:1]
	s_mov_b64 s[2:3], -1
	s_and_b64 vcc, exec, s[18:19]
	v_cmp_le_u32_e64 s[0:1], v1, v0
	v_lshl_add_u32 v21, v1, 5, v0
	s_cbranch_vccnz .LBB85_21
; %bb.8:
	s_add_u32 s2, s16, 1
	s_addc_u32 s3, s17, 0
	s_lshl_b32 s8, s33, 5
	s_ashr_i32 s9, s8, 31
	s_mul_hi_u32 s10, s2, s8
	s_mul_i32 s9, s2, s9
	s_add_i32 s9, s10, s9
	s_mul_i32 s3, s3, s8
	s_add_i32 s3, s9, s3
	s_mul_i32 s2, s2, s8
	s_lshl_b64 s[2:3], s[2:3], 4
	s_add_u32 s2, s85, s2
	s_addc_u32 s3, s86, s3
	v_lshlrev_b32_e32 v10, 4, v0
	v_mov_b32_e32 v11, s3
	v_add_co_u32_e32 v10, vcc, s2, v10
	v_addc_co_u32_e32 v11, vcc, 0, v11, vcc
	s_and_saveexec_b64 s[2:3], s[0:1]
	s_xor_b64 s[0:1], exec, s[2:3]
	s_cbranch_execz .LBB85_12
; %bb.9:
	v_or_b32_e32 v12, v1, v0
	v_cmp_gt_u32_e32 vcc, 32, v12
	s_and_saveexec_b64 s[2:3], vcc
	s_cbranch_execz .LBB85_11
; %bb.10:
	v_mov_b32_e32 v12, 0
	v_lshlrev_b32_e32 v16, 4, v21
	v_mov_b32_e32 v13, v12
	v_mov_b32_e32 v14, v12
	;; [unrolled: 1-line block ×3, first 2 shown]
	ds_write_b128 v16, v[12:15]
.LBB85_11:
	s_or_b64 exec, exec, s[2:3]
.LBB85_12:
	s_andn2_saveexec_b64 s[0:1], s[0:1]
	s_cbranch_execz .LBB85_14
; %bb.13:
	v_mad_u64_u32 v[12:13], s[2:3], s16, v1, 0
	v_lshlrev_b32_e32 v16, 4, v21
	v_mad_u64_u32 v[13:14], s[2:3], s17, v1, v[13:14]
	v_lshlrev_b64 v[12:13], 4, v[12:13]
	v_add_co_u32_e32 v12, vcc, v10, v12
	v_addc_co_u32_e32 v13, vcc, v11, v13, vcc
	global_load_dwordx4 v[12:15], v[12:13], off
	s_waitcnt vmcnt(0)
	v_xor_b32_e32 v13, 0x80000000, v13
	v_xor_b32_e32 v15, 0x80000000, v15
	ds_write_b128 v16, v[12:15]
.LBB85_14:
	s_or_b64 exec, exec, s[0:1]
	v_add_u32_e32 v13, 16, v1
	v_lshl_add_u32 v12, v13, 5, v0
	v_cmp_le_u32_e32 vcc, v13, v0
	s_and_saveexec_b64 s[0:1], vcc
	s_xor_b64 s[0:1], exec, s[0:1]
	s_cbranch_execz .LBB85_18
; %bb.15:
	v_or_b32_e32 v10, v13, v0
	v_cmp_gt_u32_e32 vcc, 32, v10
	s_and_saveexec_b64 s[2:3], vcc
	s_cbranch_execz .LBB85_17
; %bb.16:
	v_mov_b32_e32 v10, 0
	v_lshlrev_b32_e32 v14, 4, v12
	v_mov_b32_e32 v11, v10
	v_mov_b32_e32 v12, v10
	;; [unrolled: 1-line block ×3, first 2 shown]
	ds_write_b128 v14, v[10:13]
.LBB85_17:
	s_or_b64 exec, exec, s[2:3]
                                        ; implicit-def: $vgpr13
                                        ; implicit-def: $vgpr10
                                        ; implicit-def: $vgpr11
                                        ; implicit-def: $vgpr12
.LBB85_18:
	s_andn2_saveexec_b64 s[0:1], s[0:1]
	s_cbranch_execz .LBB85_20
; %bb.19:
	v_mad_u64_u32 v[14:15], s[2:3], s16, v13, 0
	v_mad_u64_u32 v[15:16], s[2:3], s17, v13, v[15:16]
	v_lshlrev_b64 v[13:14], 4, v[14:15]
	v_add_co_u32_e32 v10, vcc, v10, v13
	v_addc_co_u32_e32 v11, vcc, v11, v14, vcc
	global_load_dwordx4 v[13:16], v[10:11], off
	v_lshlrev_b32_e32 v10, 4, v12
	s_waitcnt vmcnt(0)
	v_xor_b32_e32 v14, 0x80000000, v14
	v_xor_b32_e32 v16, 0x80000000, v16
	ds_write_b128 v10, v[13:16]
.LBB85_20:
	s_or_b64 exec, exec, s[0:1]
	s_mov_b64 s[2:3], 0
.LBB85_21:
	s_and_b64 vcc, exec, s[2:3]
	s_cbranch_vccz .LBB85_35
; %bb.22:
	s_add_u32 s0, s16, 1
	s_addc_u32 s1, s17, 0
	s_lshl_b32 s2, s33, 5
	s_ashr_i32 s3, s2, 31
	s_mul_hi_u32 s8, s0, s2
	s_mul_i32 s3, s0, s3
	s_add_i32 s3, s8, s3
	s_mul_i32 s1, s1, s2
	s_add_i32 s1, s3, s1
	s_mul_i32 s0, s0, s2
	s_lshl_b64 s[0:1], s[0:1], 4
	s_add_u32 s0, s85, s0
	s_addc_u32 s1, s86, s1
	v_lshlrev_b32_e32 v10, 4, v0
	v_mov_b32_e32 v11, s1
	v_add_co_u32_e64 v10, s[0:1], s0, v10
	v_addc_co_u32_e64 v11, s[0:1], 0, v11, s[0:1]
	v_max_i32_e32 v12, v1, v0
	v_cmp_le_u32_e64 s[0:1], v1, v0
	v_cmp_le_i32_e64 s[2:3], s84, v12
	v_cmp_gt_i32_e32 vcc, s84, v0
	s_or_b64 s[0:1], s[2:3], s[0:1]
	s_and_saveexec_b64 s[2:3], s[0:1]
	s_xor_b64 s[2:3], exec, s[2:3]
	s_cbranch_execz .LBB85_26
; %bb.23:
	v_or_b32_e32 v12, v1, v0
	v_cmp_gt_u32_e64 s[0:1], 32, v12
	s_and_saveexec_b64 s[8:9], s[0:1]
	s_cbranch_execz .LBB85_25
; %bb.24:
	v_mov_b32_e32 v12, 0
	v_lshlrev_b32_e32 v16, 4, v21
	v_mov_b32_e32 v13, v12
	v_mov_b32_e32 v14, v12
	;; [unrolled: 1-line block ×3, first 2 shown]
	ds_write_b128 v16, v[12:15]
.LBB85_25:
	s_or_b64 exec, exec, s[8:9]
.LBB85_26:
	s_andn2_saveexec_b64 s[2:3], s[2:3]
	s_cbranch_execz .LBB85_28
; %bb.27:
	v_mad_u64_u32 v[12:13], s[0:1], s16, v1, 0
	v_lshlrev_b32_e32 v16, 4, v21
	v_mad_u64_u32 v[13:14], s[0:1], s17, v1, v[13:14]
	v_lshlrev_b64 v[12:13], 4, v[12:13]
	v_add_co_u32_e64 v12, s[0:1], v10, v12
	v_addc_co_u32_e64 v13, s[0:1], v11, v13, s[0:1]
	global_load_dwordx4 v[12:15], v[12:13], off
	s_waitcnt vmcnt(0)
	v_xor_b32_e32 v13, 0x80000000, v13
	v_xor_b32_e32 v15, 0x80000000, v15
	ds_write_b128 v16, v[12:15]
.LBB85_28:
	s_or_b64 exec, exec, s[2:3]
	v_add_u32_e32 v13, 16, v1
	v_cmp_gt_u32_e64 s[0:1], v13, v0
	v_cmp_gt_i32_e64 s[2:3], s84, v13
	s_and_b64 s[0:1], s[0:1], s[2:3]
	s_and_b64 s[0:1], s[0:1], vcc
	v_lshl_add_u32 v12, v13, 5, v0
	s_xor_b64 s[0:1], s[0:1], -1
	s_and_saveexec_b64 s[2:3], s[0:1]
	s_xor_b64 s[0:1], exec, s[2:3]
	s_cbranch_execz .LBB85_32
; %bb.29:
	v_or_b32_e32 v10, v13, v0
	v_cmp_gt_u32_e32 vcc, 32, v10
	s_and_saveexec_b64 s[2:3], vcc
	s_cbranch_execz .LBB85_31
; %bb.30:
	v_mov_b32_e32 v10, 0
	v_lshlrev_b32_e32 v14, 4, v12
	v_mov_b32_e32 v11, v10
	v_mov_b32_e32 v12, v10
	;; [unrolled: 1-line block ×3, first 2 shown]
	ds_write_b128 v14, v[10:13]
.LBB85_31:
	s_or_b64 exec, exec, s[2:3]
                                        ; implicit-def: $vgpr13
                                        ; implicit-def: $vgpr10
                                        ; implicit-def: $vgpr11
                                        ; implicit-def: $vgpr12
.LBB85_32:
	s_andn2_saveexec_b64 s[0:1], s[0:1]
	s_cbranch_execz .LBB85_34
; %bb.33:
	v_mad_u64_u32 v[14:15], s[2:3], s16, v13, 0
	v_mad_u64_u32 v[15:16], s[2:3], s17, v13, v[15:16]
	v_lshlrev_b64 v[13:14], 4, v[14:15]
	v_add_co_u32_e32 v10, vcc, v10, v13
	v_addc_co_u32_e32 v11, vcc, v11, v14, vcc
	global_load_dwordx4 v[13:16], v[10:11], off
	v_lshlrev_b32_e32 v10, 4, v12
	s_waitcnt vmcnt(0)
	v_xor_b32_e32 v14, 0x80000000, v14
	v_xor_b32_e32 v16, 0x80000000, v16
	ds_write_b128 v10, v[13:16]
.LBB85_34:
	s_or_b64 exec, exec, s[0:1]
.LBB85_35:
	s_cmp_lt_i32 s6, 5
	s_cselect_b64 s[0:1], -1, 0
	s_or_b64 s[34:35], s[0:1], s[18:19]
	s_and_b64 vcc, exec, s[34:35]
	s_waitcnt vmcnt(0) lgkmcnt(0)
	s_barrier
	s_cbranch_vccnz .LBB85_429
; %bb.36:
	v_or_b32_e32 v10, v0, v1
	s_mov_b32 s0, 0
	v_cmp_eq_u32_e32 vcc, 0, v10
	s_and_saveexec_b64 s[8:9], vcc
	s_cbranch_execz .LBB85_38
; %bb.37:
	s_mov_b32 s3, s0
	s_mov_b32 s1, 0x3ff00000
	;; [unrolled: 1-line block ×3, first 2 shown]
	v_mov_b32_e32 v13, s3
	v_mov_b32_e32 v14, 0
	;; [unrolled: 1-line block ×5, first 2 shown]
	ds_write_b128 v14, v[10:13] offset:15840
	ds_write_b128 v14, v[10:13] offset:16368
.LBB85_38:
	s_or_b64 exec, exec, s[8:9]
	v_lshlrev_b32_e32 v10, 5, v1
	v_add_u32_e32 v17, v10, v0
	v_add_u16_e32 v10, v10, v0
	v_lshrrev_b16_e32 v16, 1, v10
	v_mov_b32_e32 v10, 0
	v_mov_b32_e32 v12, 0
	v_and_b32_e32 v14, 1, v0
	v_sub_u32_e32 v15, 1, v16
	v_cmp_lt_u32_e64 s[2:3], 3, v17
	v_mov_b32_e32 v11, 0
	v_mov_b32_e32 v13, 0
	v_cmp_gt_u32_e64 s[0:1], 4, v17
	s_waitcnt lgkmcnt(0)
	s_barrier
	buffer_wbinvl1_vol
	s_and_saveexec_b64 s[10:11], s[0:1]
	s_cbranch_execz .LBB85_42
; %bb.39:
	v_lshlrev_b32_e32 v10, 9, v15
	v_lshlrev_b32_e32 v18, 4, v14
	ds_read_b128 v[10:13], v10 offset:15840
	ds_read_b128 v[22:25], v18 offset:15808
	v_cmp_gt_u32_e64 s[8:9], 2, v17
	s_waitcnt lgkmcnt(0)
	v_mul_f64 v[18:19], v[12:13], v[24:25]
	v_mul_f64 v[24:25], v[10:11], v[24:25]
	v_fma_f64 v[10:11], v[10:11], v[22:23], -v[18:19]
	v_fma_f64 v[12:13], v[12:13], v[22:23], v[24:25]
	v_add_f64 v[10:11], v[10:11], 0
	v_add_f64 v[12:13], v[12:13], 0
	s_and_saveexec_b64 s[12:13], s[8:9]
	s_cbranch_execz .LBB85_41
; %bb.40:
	v_mov_b32_e32 v19, 0
	v_lshlrev_b32_e32 v18, 4, v0
	ds_read_b128 v[22:25], v19 offset:16368
	ds_read_b128 v[26:29], v18 offset:16320
	s_waitcnt lgkmcnt(0)
	v_mul_f64 v[18:19], v[24:25], v[28:29]
	v_mul_f64 v[28:29], v[22:23], v[28:29]
	v_fma_f64 v[18:19], v[22:23], v[26:27], -v[18:19]
	v_fma_f64 v[22:23], v[24:25], v[26:27], v[28:29]
	v_add_f64 v[10:11], v[10:11], v[18:19]
	v_add_f64 v[12:13], v[12:13], v[22:23]
.LBB85_41:
	s_or_b64 exec, exec, s[12:13]
.LBB85_42:
	s_or_b64 exec, exec, s[10:11]
	v_mov_b32_e32 v18, 0x4000
	v_cmp_ne_u32_e64 s[8:9], 0, v14
	s_xor_b64 s[10:11], s[2:3], -1
	v_lshl_add_u32 v16, v16, 4, v18
	s_and_b64 s[38:39], s[8:9], s[10:11]
	s_and_saveexec_b64 s[2:3], s[38:39]
; %bb.43:
	v_xor_b32_e32 v23, 0x80000000, v11
	v_xor_b32_e32 v25, 0x80000000, v13
	v_mov_b32_e32 v22, v10
	v_mov_b32_e32 v24, v12
	ds_write_b128 v16, v[22:25]
; %bb.44:
	s_or_b64 exec, exec, s[2:3]
	v_cmp_eq_u32_e64 s[2:3], 0, v14
	s_and_b64 s[36:37], s[2:3], s[10:11]
	s_waitcnt lgkmcnt(0)
	s_barrier
	s_and_saveexec_b64 s[2:3], s[36:37]
	s_cbranch_execz .LBB85_46
; %bb.45:
	v_mov_b32_e32 v18, 0
	ds_read_b128 v[22:25], v16
	ds_read_b128 v[26:29], v18 offset:15296
	s_waitcnt lgkmcnt(0)
	v_mul_f64 v[18:19], v[22:23], v[26:27]
	v_mul_f64 v[22:23], v[22:23], v[28:29]
	v_fma_f64 v[18:19], v[24:25], v[28:29], -v[18:19]
	v_fma_f64 v[22:23], v[24:25], v[26:27], v[22:23]
	v_add_f64 v[10:11], v[10:11], v[18:19]
	v_add_f64 v[12:13], v[12:13], -v[22:23]
.LBB85_46:
	s_or_b64 exec, exec, s[2:3]
	s_barrier
	s_and_saveexec_b64 s[2:3], s[36:37]
; %bb.47:
	v_xor_b32_e32 v23, 0x80000000, v11
	v_xor_b32_e32 v25, 0x80000000, v13
	v_mov_b32_e32 v22, v10
	v_mov_b32_e32 v24, v12
	ds_write_b128 v16, v[22:25]
; %bb.48:
	s_or_b64 exec, exec, s[2:3]
	s_waitcnt lgkmcnt(0)
	s_barrier
	s_barrier
	s_and_saveexec_b64 s[2:3], s[0:1]
; %bb.49:
	v_lshlrev_b32_e32 v18, 4, v14
	v_lshl_or_b32 v18, v15, 9, v18
	ds_write_b128 v18, v[10:13] offset:15808
; %bb.50:
	s_or_b64 exec, exec, s[2:3]
	s_waitcnt lgkmcnt(0)
	s_barrier
	s_barrier
	s_and_saveexec_b64 s[2:3], vcc
	s_cbranch_execz .LBB85_52
; %bb.51:
	s_mov_b32 s8, 0
	s_mov_b32 s11, s8
	;; [unrolled: 1-line block ×4, first 2 shown]
	v_mov_b32_e32 v13, s11
	v_mov_b32_e32 v18, 0
	;; [unrolled: 1-line block ×5, first 2 shown]
	ds_write_b128 v18, v[10:13] offset:14784
	ds_write_b128 v18, v[10:13] offset:15312
.LBB85_52:
	s_or_b64 exec, exec, s[2:3]
	v_lshrrev_b32_e32 v20, 2, v17
	v_mov_b32_e32 v12, 0
	v_mov_b32_e32 v10, 0
	v_and_b32_e32 v18, 3, v0
	v_sub_u32_e32 v19, 3, v20
	v_cmp_lt_u32_e64 s[8:9], 15, v17
	v_mov_b32_e32 v13, 0
	v_mov_b32_e32 v11, 0
	v_cmp_gt_u32_e64 s[2:3], 16, v17
	s_waitcnt lgkmcnt(0)
	s_barrier
	buffer_wbinvl1_vol
	s_and_saveexec_b64 s[12:13], s[2:3]
	s_cbranch_execz .LBB85_58
; %bb.53:
	v_lshlrev_b32_e32 v23, 9, v19
	v_lshlrev_b32_e32 v22, 4, v18
	ds_read_b128 v[10:13], v23 offset:14784
	ds_read_b128 v[24:27], v22 offset:14720
	v_cmp_gt_u32_e64 s[10:11], 12, v17
	s_waitcnt lgkmcnt(0)
	v_mul_f64 v[28:29], v[12:13], v[26:27]
	v_mul_f64 v[26:27], v[10:11], v[26:27]
	v_fma_f64 v[10:11], v[10:11], v[24:25], -v[28:29]
	v_fma_f64 v[12:13], v[12:13], v[24:25], v[26:27]
	v_add_f64 v[10:11], v[10:11], 0
	v_add_f64 v[12:13], v[12:13], 0
	s_and_saveexec_b64 s[14:15], s[10:11]
	s_cbranch_execnz .LBB85_487
; %bb.54:
	s_or_b64 exec, exec, s[14:15]
	v_cmp_gt_u32_e64 s[10:11], 8, v17
	s_and_saveexec_b64 s[14:15], s[10:11]
	s_cbranch_execnz .LBB85_488
.LBB85_55:
	s_or_b64 exec, exec, s[14:15]
	v_cmp_gt_u32_e64 s[10:11], 4, v17
	s_and_saveexec_b64 s[14:15], s[10:11]
	s_cbranch_execz .LBB85_57
.LBB85_56:
	v_lshlrev_b32_e32 v26, 4, v0
	v_mov_b32_e32 v22, 0
	ds_read_b128 v[22:25], v22 offset:16368
	ds_read_b128 v[26:29], v26 offset:16256
	s_waitcnt lgkmcnt(0)
	v_mul_f64 v[30:31], v[24:25], v[28:29]
	v_mul_f64 v[28:29], v[22:23], v[28:29]
	v_fma_f64 v[22:23], v[22:23], v[26:27], -v[30:31]
	v_fma_f64 v[24:25], v[24:25], v[26:27], v[28:29]
	v_add_f64 v[10:11], v[10:11], v[22:23]
	v_add_f64 v[12:13], v[12:13], v[24:25]
.LBB85_57:
	s_or_b64 exec, exec, s[14:15]
.LBB85_58:
	s_or_b64 exec, exec, s[12:13]
	v_mov_b32_e32 v22, 0x4000
	v_cmp_eq_u32_e64 s[10:11], 3, v18
	s_xor_b64 s[12:13], s[8:9], -1
	v_lshl_add_u32 v20, v20, 4, v22
	s_and_b64 s[42:43], s[10:11], s[12:13]
	s_and_saveexec_b64 s[8:9], s[42:43]
; %bb.59:
	v_xor_b32_e32 v25, 0x80000000, v13
	v_xor_b32_e32 v23, 0x80000000, v11
	v_mov_b32_e32 v22, v10
	v_mov_b32_e32 v24, v12
	ds_write_b128 v20, v[22:25]
; %bb.60:
	s_or_b64 exec, exec, s[8:9]
	v_cmp_ne_u32_e64 s[8:9], 3, v18
	s_and_b64 s[44:45], s[8:9], s[12:13]
	s_waitcnt lgkmcnt(0)
	s_barrier
	s_and_saveexec_b64 s[8:9], s[44:45]
	s_cbranch_execz .LBB85_62
; %bb.61:
	v_lshlrev_b32_e32 v26, 4, v18
	ds_read_b128 v[22:25], v20
	ds_read_b128 v[26:29], v26 offset:14208
	s_waitcnt lgkmcnt(0)
	v_mul_f64 v[30:31], v[24:25], v[28:29]
	v_mul_f64 v[28:29], v[22:23], v[28:29]
	v_fma_f64 v[22:23], v[22:23], v[26:27], -v[30:31]
	v_fma_f64 v[24:25], v[24:25], v[26:27], v[28:29]
	v_add_f64 v[10:11], v[10:11], -v[22:23]
	v_add_f64 v[12:13], v[12:13], -v[24:25]
.LBB85_62:
	s_or_b64 exec, exec, s[8:9]
	v_cmp_eq_u32_e64 s[8:9], 2, v18
	s_and_b64 s[46:47], s[8:9], s[12:13]
	s_barrier
	s_and_saveexec_b64 s[8:9], s[46:47]
; %bb.63:
	v_xor_b32_e32 v25, 0x80000000, v13
	v_xor_b32_e32 v23, 0x80000000, v11
	v_mov_b32_e32 v22, v10
	v_mov_b32_e32 v24, v12
	ds_write_b128 v20, v[22:25]
; %bb.64:
	s_or_b64 exec, exec, s[8:9]
	v_cmp_gt_u32_e64 s[8:9], 2, v18
	s_and_b64 s[48:49], s[8:9], s[12:13]
	s_waitcnt lgkmcnt(0)
	s_barrier
	s_and_saveexec_b64 s[8:9], s[48:49]
	s_cbranch_execz .LBB85_66
; %bb.65:
	v_lshlrev_b32_e32 v26, 4, v18
	ds_read_b128 v[22:25], v20
	ds_read_b128 v[26:29], v26 offset:13696
	s_waitcnt lgkmcnt(0)
	v_mul_f64 v[30:31], v[24:25], v[28:29]
	v_mul_f64 v[28:29], v[22:23], v[28:29]
	v_fma_f64 v[22:23], v[22:23], v[26:27], -v[30:31]
	v_fma_f64 v[24:25], v[24:25], v[26:27], v[28:29]
	v_add_f64 v[10:11], v[10:11], -v[22:23]
	v_add_f64 v[12:13], v[12:13], -v[24:25]
.LBB85_66:
	s_or_b64 exec, exec, s[8:9]
	v_cmp_eq_u32_e64 s[8:9], 1, v18
	s_and_b64 s[50:51], s[8:9], s[12:13]
	s_barrier
	s_and_saveexec_b64 s[8:9], s[50:51]
; %bb.67:
	v_xor_b32_e32 v25, 0x80000000, v13
	v_xor_b32_e32 v23, 0x80000000, v11
	v_mov_b32_e32 v22, v10
	v_mov_b32_e32 v24, v12
	ds_write_b128 v20, v[22:25]
; %bb.68:
	s_or_b64 exec, exec, s[8:9]
	v_cmp_eq_u32_e64 s[8:9], 0, v18
	s_and_b64 s[40:41], s[8:9], s[12:13]
	s_waitcnt lgkmcnt(0)
	s_barrier
	s_and_saveexec_b64 s[8:9], s[40:41]
	s_cbranch_execz .LBB85_70
; %bb.69:
	v_mov_b32_e32 v26, 0
	ds_read_b128 v[22:25], v20
	ds_read_b128 v[26:29], v26 offset:13184
	s_waitcnt lgkmcnt(0)
	v_mul_f64 v[30:31], v[24:25], v[28:29]
	v_mul_f64 v[28:29], v[22:23], v[28:29]
	v_fma_f64 v[22:23], v[22:23], v[26:27], -v[30:31]
	v_fma_f64 v[24:25], v[24:25], v[26:27], v[28:29]
	v_add_f64 v[10:11], v[10:11], -v[22:23]
	v_add_f64 v[12:13], v[12:13], -v[24:25]
.LBB85_70:
	s_or_b64 exec, exec, s[8:9]
	s_barrier
	s_and_saveexec_b64 s[8:9], s[40:41]
; %bb.71:
	v_xor_b32_e32 v25, 0x80000000, v13
	v_xor_b32_e32 v23, 0x80000000, v11
	v_mov_b32_e32 v22, v10
	v_mov_b32_e32 v24, v12
	ds_write_b128 v20, v[22:25]
; %bb.72:
	s_or_b64 exec, exec, s[8:9]
	s_waitcnt lgkmcnt(0)
	s_barrier
	s_barrier
	s_and_saveexec_b64 s[8:9], s[2:3]
; %bb.73:
	v_lshlrev_b32_e32 v22, 4, v18
	v_lshl_or_b32 v22, v19, 9, v22
	ds_write_b128 v22, v[10:13] offset:14720
; %bb.74:
	s_or_b64 exec, exec, s[8:9]
	s_waitcnt lgkmcnt(0)
	s_barrier
	s_barrier
	s_and_saveexec_b64 s[8:9], vcc
	s_cbranch_execz .LBB85_76
; %bb.75:
	s_mov_b32 s12, 0
	s_mov_b32 s13, 0x3ff00000
	;; [unrolled: 1-line block ×4, first 2 shown]
	v_mov_b32_e32 v10, s12
	v_mov_b32_e32 v22, 0
	;; [unrolled: 1-line block ×5, first 2 shown]
	ds_write_b128 v22, v[10:13] offset:13728
	ds_write_b128 v22, v[10:13] offset:14256
.LBB85_76:
	s_or_b64 exec, exec, s[8:9]
	v_mov_b32_e32 v10, 0
	v_mov_b32_e32 v12, 0
	;; [unrolled: 1-line block ×4, first 2 shown]
	s_waitcnt lgkmcnt(0)
	s_barrier
	buffer_wbinvl1_vol
	s_and_saveexec_b64 s[10:11], s[0:1]
	s_cbranch_execz .LBB85_80
; %bb.77:
	v_lshlrev_b32_e32 v22, 4, v14
	v_lshlrev_b32_e32 v10, 9, v15
	ds_read_b128 v[10:13], v10 offset:13728
	ds_read_b128 v[22:25], v22 offset:13696
	v_cmp_gt_u32_e64 s[8:9], 2, v17
	s_waitcnt lgkmcnt(0)
	v_mul_f64 v[26:27], v[12:13], v[24:25]
	v_mul_f64 v[24:25], v[10:11], v[24:25]
	v_fma_f64 v[10:11], v[10:11], v[22:23], -v[26:27]
	v_fma_f64 v[12:13], v[12:13], v[22:23], v[24:25]
	v_add_f64 v[10:11], v[10:11], 0
	v_add_f64 v[12:13], v[12:13], 0
	s_and_saveexec_b64 s[12:13], s[8:9]
	s_cbranch_execz .LBB85_79
; %bb.78:
	v_lshlrev_b32_e32 v26, 4, v0
	v_mov_b32_e32 v22, 0
	ds_read_b128 v[22:25], v22 offset:14256
	ds_read_b128 v[26:29], v26 offset:14208
	s_waitcnt lgkmcnt(0)
	v_mul_f64 v[30:31], v[24:25], v[28:29]
	v_mul_f64 v[28:29], v[22:23], v[28:29]
	v_fma_f64 v[22:23], v[22:23], v[26:27], -v[30:31]
	v_fma_f64 v[24:25], v[24:25], v[26:27], v[28:29]
	v_add_f64 v[10:11], v[10:11], v[22:23]
	v_add_f64 v[12:13], v[12:13], v[24:25]
.LBB85_79:
	s_or_b64 exec, exec, s[12:13]
.LBB85_80:
	s_or_b64 exec, exec, s[10:11]
	s_and_saveexec_b64 s[8:9], s[38:39]
; %bb.81:
	v_xor_b32_e32 v23, 0x80000000, v11
	v_xor_b32_e32 v25, 0x80000000, v13
	v_mov_b32_e32 v22, v10
	v_mov_b32_e32 v24, v12
	ds_write_b128 v16, v[22:25]
; %bb.82:
	s_or_b64 exec, exec, s[8:9]
	s_waitcnt lgkmcnt(0)
	s_barrier
	s_and_saveexec_b64 s[8:9], s[36:37]
	s_cbranch_execz .LBB85_84
; %bb.83:
	v_mov_b32_e32 v26, 0
	ds_read_b128 v[22:25], v16
	ds_read_b128 v[26:29], v26 offset:13184
	s_waitcnt lgkmcnt(0)
	v_mul_f64 v[30:31], v[22:23], v[26:27]
	v_mul_f64 v[22:23], v[22:23], v[28:29]
	v_fma_f64 v[28:29], v[24:25], v[28:29], -v[30:31]
	v_fma_f64 v[22:23], v[24:25], v[26:27], v[22:23]
	v_add_f64 v[10:11], v[10:11], v[28:29]
	v_add_f64 v[12:13], v[12:13], -v[22:23]
.LBB85_84:
	s_or_b64 exec, exec, s[8:9]
	s_barrier
	s_and_saveexec_b64 s[8:9], s[36:37]
; %bb.85:
	v_xor_b32_e32 v23, 0x80000000, v11
	v_xor_b32_e32 v25, 0x80000000, v13
	v_mov_b32_e32 v22, v10
	v_mov_b32_e32 v24, v12
	ds_write_b128 v16, v[22:25]
; %bb.86:
	s_or_b64 exec, exec, s[8:9]
	s_waitcnt lgkmcnt(0)
	s_barrier
	s_barrier
	s_and_saveexec_b64 s[8:9], s[0:1]
; %bb.87:
	v_lshlrev_b32_e32 v22, 4, v14
	v_lshl_or_b32 v22, v15, 9, v22
	ds_write_b128 v22, v[10:13] offset:13696
; %bb.88:
	s_or_b64 exec, exec, s[8:9]
	s_waitcnt lgkmcnt(0)
	s_barrier
	s_barrier
	s_and_saveexec_b64 s[8:9], vcc
	s_cbranch_execz .LBB85_90
; %bb.89:
	s_mov_b32 s12, 0
	s_mov_b32 s13, 0x3ff00000
	;; [unrolled: 1-line block ×4, first 2 shown]
	v_mov_b32_e32 v10, s12
	v_mov_b32_e32 v22, 0
	v_mov_b32_e32 v11, s13
	v_mov_b32_e32 v12, s14
	v_mov_b32_e32 v13, s15
	ds_write_b128 v22, v[10:13] offset:12672
	ds_write_b128 v22, v[10:13] offset:13200
.LBB85_90:
	s_or_b64 exec, exec, s[8:9]
	v_lshrrev_b32_e32 v24, 3, v17
	v_mov_b32_e32 v12, 0
	v_mov_b32_e32 v10, 0
	v_and_b32_e32 v22, 7, v0
	v_sub_u32_e32 v23, 7, v24
	v_cmp_lt_u32_e64 s[8:9], 63, v17
	v_mov_b32_e32 v13, 0
	v_mov_b32_e32 v11, 0
	v_cmp_gt_u32_e64 s[12:13], 64, v17
	s_waitcnt lgkmcnt(0)
	s_barrier
	buffer_wbinvl1_vol
	s_and_saveexec_b64 s[14:15], s[12:13]
	s_cbranch_execz .LBB85_100
; %bb.91:
	v_lshlrev_b32_e32 v26, 9, v23
	v_lshlrev_b32_e32 v25, 4, v22
	ds_read_b128 v[10:13], v26 offset:12672
	ds_read_b128 v[27:30], v25 offset:12544
	v_cmp_gt_u32_e64 s[10:11], 56, v17
	s_waitcnt lgkmcnt(0)
	v_mul_f64 v[31:32], v[12:13], v[29:30]
	v_mul_f64 v[29:30], v[10:11], v[29:30]
	v_fma_f64 v[10:11], v[10:11], v[27:28], -v[31:32]
	v_fma_f64 v[12:13], v[12:13], v[27:28], v[29:30]
	v_add_f64 v[10:11], v[10:11], 0
	v_add_f64 v[12:13], v[12:13], 0
	s_and_saveexec_b64 s[52:53], s[10:11]
	s_cbranch_execnz .LBB85_489
; %bb.92:
	s_or_b64 exec, exec, s[52:53]
	v_cmp_gt_u32_e64 s[10:11], 48, v17
	s_and_saveexec_b64 s[52:53], s[10:11]
	s_cbranch_execnz .LBB85_490
.LBB85_93:
	s_or_b64 exec, exec, s[52:53]
	v_cmp_gt_u32_e64 s[10:11], 40, v17
	s_and_saveexec_b64 s[52:53], s[10:11]
	s_cbranch_execnz .LBB85_491
.LBB85_94:
	s_or_b64 exec, exec, s[52:53]
	v_cmp_gt_u32_e64 s[10:11], 32, v17
	s_and_saveexec_b64 s[52:53], s[10:11]
	s_cbranch_execnz .LBB85_492
.LBB85_95:
	s_or_b64 exec, exec, s[52:53]
	v_cmp_gt_u32_e64 s[10:11], 24, v17
	s_and_saveexec_b64 s[52:53], s[10:11]
	s_cbranch_execnz .LBB85_493
.LBB85_96:
	s_or_b64 exec, exec, s[52:53]
	s_and_saveexec_b64 s[10:11], s[2:3]
	s_cbranch_execnz .LBB85_494
.LBB85_97:
	s_or_b64 exec, exec, s[10:11]
	v_cmp_gt_u32_e64 s[10:11], 8, v17
	s_and_saveexec_b64 s[52:53], s[10:11]
	s_cbranch_execz .LBB85_99
.LBB85_98:
	v_lshlrev_b32_e32 v29, 4, v0
	v_mov_b32_e32 v25, 0
	ds_read_b128 v[25:28], v25 offset:16368
	ds_read_b128 v[29:32], v29 offset:16128
	s_waitcnt lgkmcnt(0)
	v_mul_f64 v[33:34], v[27:28], v[31:32]
	v_mul_f64 v[31:32], v[25:26], v[31:32]
	v_fma_f64 v[25:26], v[25:26], v[29:30], -v[33:34]
	v_fma_f64 v[27:28], v[27:28], v[29:30], v[31:32]
	v_add_f64 v[10:11], v[10:11], v[25:26]
	v_add_f64 v[12:13], v[12:13], v[27:28]
.LBB85_99:
	s_or_b64 exec, exec, s[52:53]
.LBB85_100:
	s_or_b64 exec, exec, s[14:15]
	v_mov_b32_e32 v25, 0x4000
	v_cmp_eq_u32_e64 s[10:11], 7, v22
	s_xor_b64 s[14:15], s[8:9], -1
	v_lshl_add_u32 v24, v24, 4, v25
	s_and_b64 s[54:55], s[10:11], s[14:15]
	s_and_saveexec_b64 s[8:9], s[54:55]
; %bb.101:
	v_xor_b32_e32 v26, 0x80000000, v11
	v_xor_b32_e32 v28, 0x80000000, v13
	v_mov_b32_e32 v25, v10
	v_mov_b32_e32 v27, v12
	ds_write_b128 v24, v[25:28]
; %bb.102:
	s_or_b64 exec, exec, s[8:9]
	v_cmp_ne_u32_e64 s[8:9], 7, v22
	s_and_b64 s[56:57], s[8:9], s[14:15]
	s_waitcnt lgkmcnt(0)
	s_barrier
	s_and_saveexec_b64 s[8:9], s[56:57]
	s_cbranch_execz .LBB85_104
; %bb.103:
	v_lshlrev_b32_e32 v29, 4, v22
	ds_read_b128 v[25:28], v24
	ds_read_b128 v[29:32], v29 offset:12032
	s_waitcnt lgkmcnt(0)
	v_mul_f64 v[33:34], v[27:28], v[31:32]
	v_mul_f64 v[31:32], v[25:26], v[31:32]
	v_fma_f64 v[25:26], v[25:26], v[29:30], -v[33:34]
	v_fma_f64 v[27:28], v[27:28], v[29:30], v[31:32]
	v_add_f64 v[10:11], v[10:11], -v[25:26]
	v_add_f64 v[12:13], v[12:13], -v[27:28]
.LBB85_104:
	s_or_b64 exec, exec, s[8:9]
	v_cmp_eq_u32_e64 s[8:9], 6, v22
	s_and_b64 s[58:59], s[8:9], s[14:15]
	s_barrier
	s_and_saveexec_b64 s[8:9], s[58:59]
; %bb.105:
	v_xor_b32_e32 v26, 0x80000000, v11
	v_xor_b32_e32 v28, 0x80000000, v13
	v_mov_b32_e32 v25, v10
	v_mov_b32_e32 v27, v12
	ds_write_b128 v24, v[25:28]
; %bb.106:
	s_or_b64 exec, exec, s[8:9]
	v_cmp_gt_u32_e64 s[8:9], 6, v22
	s_and_b64 s[60:61], s[8:9], s[14:15]
	s_waitcnt lgkmcnt(0)
	s_barrier
	s_and_saveexec_b64 s[8:9], s[60:61]
	s_cbranch_execz .LBB85_108
; %bb.107:
	v_lshlrev_b32_e32 v29, 4, v22
	ds_read_b128 v[25:28], v24
	ds_read_b128 v[29:32], v29 offset:11520
	s_waitcnt lgkmcnt(0)
	v_mul_f64 v[33:34], v[27:28], v[31:32]
	v_mul_f64 v[31:32], v[25:26], v[31:32]
	v_fma_f64 v[25:26], v[25:26], v[29:30], -v[33:34]
	v_fma_f64 v[27:28], v[27:28], v[29:30], v[31:32]
	v_add_f64 v[10:11], v[10:11], -v[25:26]
	v_add_f64 v[12:13], v[12:13], -v[27:28]
.LBB85_108:
	s_or_b64 exec, exec, s[8:9]
	v_cmp_eq_u32_e64 s[8:9], 5, v22
	s_and_b64 s[62:63], s[8:9], s[14:15]
	s_barrier
	s_and_saveexec_b64 s[8:9], s[62:63]
; %bb.109:
	v_xor_b32_e32 v26, 0x80000000, v11
	v_xor_b32_e32 v28, 0x80000000, v13
	v_mov_b32_e32 v25, v10
	v_mov_b32_e32 v27, v12
	ds_write_b128 v24, v[25:28]
; %bb.110:
	s_or_b64 exec, exec, s[8:9]
	v_cmp_gt_u32_e64 s[8:9], 5, v22
	;; [unrolled: 31-line block ×5, first 2 shown]
	s_and_b64 s[76:77], s[8:9], s[14:15]
	s_waitcnt lgkmcnt(0)
	s_barrier
	s_and_saveexec_b64 s[8:9], s[76:77]
	s_cbranch_execz .LBB85_124
; %bb.123:
	v_lshlrev_b32_e32 v29, 4, v22
	ds_read_b128 v[25:28], v24
	ds_read_b128 v[29:32], v29 offset:9472
	s_waitcnt lgkmcnt(0)
	v_mul_f64 v[33:34], v[27:28], v[31:32]
	v_mul_f64 v[31:32], v[25:26], v[31:32]
	v_fma_f64 v[25:26], v[25:26], v[29:30], -v[33:34]
	v_fma_f64 v[27:28], v[27:28], v[29:30], v[31:32]
	v_add_f64 v[10:11], v[10:11], -v[25:26]
	v_add_f64 v[12:13], v[12:13], -v[27:28]
.LBB85_124:
	s_or_b64 exec, exec, s[8:9]
	v_cmp_eq_u32_e64 s[8:9], 1, v22
	s_and_b64 s[78:79], s[8:9], s[14:15]
	s_barrier
	s_and_saveexec_b64 s[8:9], s[78:79]
; %bb.125:
	v_xor_b32_e32 v26, 0x80000000, v11
	v_xor_b32_e32 v28, 0x80000000, v13
	v_mov_b32_e32 v25, v10
	v_mov_b32_e32 v27, v12
	ds_write_b128 v24, v[25:28]
; %bb.126:
	s_or_b64 exec, exec, s[8:9]
	v_cmp_eq_u32_e64 s[8:9], 0, v22
	s_and_b64 s[52:53], s[8:9], s[14:15]
	s_waitcnt lgkmcnt(0)
	s_barrier
	s_and_saveexec_b64 s[8:9], s[52:53]
	s_cbranch_execz .LBB85_128
; %bb.127:
	v_mov_b32_e32 v29, 0
	ds_read_b128 v[25:28], v24
	ds_read_b128 v[29:32], v29 offset:8960
	s_waitcnt lgkmcnt(0)
	v_mul_f64 v[33:34], v[27:28], v[31:32]
	v_mul_f64 v[31:32], v[25:26], v[31:32]
	v_fma_f64 v[25:26], v[25:26], v[29:30], -v[33:34]
	v_fma_f64 v[27:28], v[27:28], v[29:30], v[31:32]
	v_add_f64 v[10:11], v[10:11], -v[25:26]
	v_add_f64 v[12:13], v[12:13], -v[27:28]
.LBB85_128:
	s_or_b64 exec, exec, s[8:9]
	s_barrier
	s_and_saveexec_b64 s[8:9], s[52:53]
; %bb.129:
	v_xor_b32_e32 v26, 0x80000000, v11
	v_xor_b32_e32 v28, 0x80000000, v13
	v_mov_b32_e32 v25, v10
	v_mov_b32_e32 v27, v12
	ds_write_b128 v24, v[25:28]
; %bb.130:
	s_or_b64 exec, exec, s[8:9]
	s_waitcnt lgkmcnt(0)
	s_barrier
	s_barrier
	s_and_saveexec_b64 s[8:9], s[12:13]
; %bb.131:
	v_lshlrev_b32_e32 v25, 4, v22
	v_lshl_or_b32 v25, v23, 9, v25
	ds_write_b128 v25, v[10:13] offset:12544
; %bb.132:
	s_or_b64 exec, exec, s[8:9]
	s_waitcnt lgkmcnt(0)
	s_barrier
	s_barrier
	s_and_saveexec_b64 s[8:9], vcc
	s_cbranch_execz .LBB85_134
; %bb.133:
	s_mov_b32 s80, 0
	s_mov_b32 s81, 0x3ff00000
	;; [unrolled: 1-line block ×4, first 2 shown]
	v_mov_b32_e32 v10, s80
	v_mov_b32_e32 v25, 0
	;; [unrolled: 1-line block ×5, first 2 shown]
	ds_write_b128 v25, v[10:13] offset:11616
	ds_write_b128 v25, v[10:13] offset:12144
.LBB85_134:
	s_or_b64 exec, exec, s[8:9]
	v_mov_b32_e32 v10, 0
	v_mov_b32_e32 v12, 0
	;; [unrolled: 1-line block ×4, first 2 shown]
	s_waitcnt lgkmcnt(0)
	s_barrier
	buffer_wbinvl1_vol
	s_and_saveexec_b64 s[10:11], s[0:1]
	s_cbranch_execz .LBB85_138
; %bb.135:
	v_lshlrev_b32_e32 v25, 4, v14
	v_lshlrev_b32_e32 v10, 9, v15
	ds_read_b128 v[10:13], v10 offset:11616
	ds_read_b128 v[25:28], v25 offset:11584
	v_cmp_gt_u32_e64 s[8:9], 2, v17
	s_waitcnt lgkmcnt(0)
	v_mul_f64 v[29:30], v[12:13], v[27:28]
	v_mul_f64 v[27:28], v[10:11], v[27:28]
	v_fma_f64 v[10:11], v[10:11], v[25:26], -v[29:30]
	v_fma_f64 v[12:13], v[12:13], v[25:26], v[27:28]
	v_add_f64 v[10:11], v[10:11], 0
	v_add_f64 v[12:13], v[12:13], 0
	s_and_saveexec_b64 s[14:15], s[8:9]
	s_cbranch_execz .LBB85_137
; %bb.136:
	v_lshlrev_b32_e32 v29, 4, v0
	v_mov_b32_e32 v25, 0
	ds_read_b128 v[25:28], v25 offset:12144
	ds_read_b128 v[29:32], v29 offset:12096
	s_waitcnt lgkmcnt(0)
	v_mul_f64 v[33:34], v[27:28], v[31:32]
	v_mul_f64 v[31:32], v[25:26], v[31:32]
	v_fma_f64 v[25:26], v[25:26], v[29:30], -v[33:34]
	v_fma_f64 v[27:28], v[27:28], v[29:30], v[31:32]
	v_add_f64 v[10:11], v[10:11], v[25:26]
	v_add_f64 v[12:13], v[12:13], v[27:28]
.LBB85_137:
	s_or_b64 exec, exec, s[14:15]
.LBB85_138:
	s_or_b64 exec, exec, s[10:11]
	s_and_saveexec_b64 s[8:9], s[38:39]
; %bb.139:
	v_xor_b32_e32 v26, 0x80000000, v11
	v_xor_b32_e32 v28, 0x80000000, v13
	v_mov_b32_e32 v25, v10
	v_mov_b32_e32 v27, v12
	ds_write_b128 v16, v[25:28]
; %bb.140:
	s_or_b64 exec, exec, s[8:9]
	s_waitcnt lgkmcnt(0)
	s_barrier
	s_and_saveexec_b64 s[8:9], s[36:37]
	s_cbranch_execz .LBB85_142
; %bb.141:
	v_mov_b32_e32 v29, 0
	ds_read_b128 v[25:28], v16
	ds_read_b128 v[29:32], v29 offset:11072
	s_waitcnt lgkmcnt(0)
	v_mul_f64 v[33:34], v[25:26], v[29:30]
	v_mul_f64 v[25:26], v[25:26], v[31:32]
	v_fma_f64 v[31:32], v[27:28], v[31:32], -v[33:34]
	v_fma_f64 v[25:26], v[27:28], v[29:30], v[25:26]
	v_add_f64 v[10:11], v[10:11], v[31:32]
	v_add_f64 v[12:13], v[12:13], -v[25:26]
.LBB85_142:
	s_or_b64 exec, exec, s[8:9]
	s_barrier
	s_and_saveexec_b64 s[8:9], s[36:37]
; %bb.143:
	v_xor_b32_e32 v26, 0x80000000, v11
	v_xor_b32_e32 v28, 0x80000000, v13
	v_mov_b32_e32 v25, v10
	v_mov_b32_e32 v27, v12
	ds_write_b128 v16, v[25:28]
; %bb.144:
	s_or_b64 exec, exec, s[8:9]
	s_waitcnt lgkmcnt(0)
	s_barrier
	s_barrier
	s_and_saveexec_b64 s[8:9], s[0:1]
; %bb.145:
	v_lshlrev_b32_e32 v25, 4, v14
	v_lshl_or_b32 v25, v15, 9, v25
	ds_write_b128 v25, v[10:13] offset:11584
; %bb.146:
	s_or_b64 exec, exec, s[8:9]
	s_waitcnt lgkmcnt(0)
	s_barrier
	s_barrier
	s_and_saveexec_b64 s[8:9], vcc
	s_cbranch_execz .LBB85_148
; %bb.147:
	s_mov_b32 s80, 0
	s_mov_b32 s81, 0x3ff00000
	;; [unrolled: 1-line block ×4, first 2 shown]
	v_mov_b32_e32 v10, s80
	v_mov_b32_e32 v25, 0
	;; [unrolled: 1-line block ×5, first 2 shown]
	ds_write_b128 v25, v[10:13] offset:10560
	ds_write_b128 v25, v[10:13] offset:11088
.LBB85_148:
	s_or_b64 exec, exec, s[8:9]
	v_mov_b32_e32 v12, 0
	v_mov_b32_e32 v10, 0
	;; [unrolled: 1-line block ×4, first 2 shown]
	s_waitcnt lgkmcnt(0)
	s_barrier
	buffer_wbinvl1_vol
	s_and_saveexec_b64 s[10:11], s[2:3]
	s_cbranch_execz .LBB85_154
; %bb.149:
	v_lshlrev_b32_e32 v26, 9, v19
	v_lshlrev_b32_e32 v25, 4, v18
	ds_read_b128 v[10:13], v26 offset:10560
	ds_read_b128 v[27:30], v25 offset:10496
	v_cmp_gt_u32_e64 s[8:9], 12, v17
	s_waitcnt lgkmcnt(0)
	v_mul_f64 v[31:32], v[12:13], v[29:30]
	v_mul_f64 v[29:30], v[10:11], v[29:30]
	v_fma_f64 v[10:11], v[10:11], v[27:28], -v[31:32]
	v_fma_f64 v[12:13], v[12:13], v[27:28], v[29:30]
	v_add_f64 v[10:11], v[10:11], 0
	v_add_f64 v[12:13], v[12:13], 0
	s_and_saveexec_b64 s[14:15], s[8:9]
	s_cbranch_execnz .LBB85_495
; %bb.150:
	s_or_b64 exec, exec, s[14:15]
	v_cmp_gt_u32_e64 s[8:9], 8, v17
	s_and_saveexec_b64 s[14:15], s[8:9]
	s_cbranch_execnz .LBB85_496
.LBB85_151:
	s_or_b64 exec, exec, s[14:15]
	v_cmp_gt_u32_e64 s[8:9], 4, v17
	s_and_saveexec_b64 s[14:15], s[8:9]
	s_cbranch_execz .LBB85_153
.LBB85_152:
	v_lshlrev_b32_e32 v29, 4, v0
	v_mov_b32_e32 v25, 0
	ds_read_b128 v[25:28], v25 offset:12144
	ds_read_b128 v[29:32], v29 offset:12032
	s_waitcnt lgkmcnt(0)
	v_mul_f64 v[33:34], v[27:28], v[31:32]
	v_mul_f64 v[31:32], v[25:26], v[31:32]
	v_fma_f64 v[25:26], v[25:26], v[29:30], -v[33:34]
	v_fma_f64 v[27:28], v[27:28], v[29:30], v[31:32]
	v_add_f64 v[10:11], v[10:11], v[25:26]
	v_add_f64 v[12:13], v[12:13], v[27:28]
.LBB85_153:
	s_or_b64 exec, exec, s[14:15]
.LBB85_154:
	s_or_b64 exec, exec, s[10:11]
	s_and_saveexec_b64 s[8:9], s[42:43]
; %bb.155:
	v_xor_b32_e32 v28, 0x80000000, v13
	v_xor_b32_e32 v26, 0x80000000, v11
	v_mov_b32_e32 v25, v10
	v_mov_b32_e32 v27, v12
	ds_write_b128 v20, v[25:28]
; %bb.156:
	s_or_b64 exec, exec, s[8:9]
	s_waitcnt lgkmcnt(0)
	s_barrier
	s_and_saveexec_b64 s[8:9], s[44:45]
	s_cbranch_execz .LBB85_158
; %bb.157:
	v_lshlrev_b32_e32 v29, 4, v18
	ds_read_b128 v[25:28], v20
	ds_read_b128 v[29:32], v29 offset:9984
	s_waitcnt lgkmcnt(0)
	v_mul_f64 v[33:34], v[27:28], v[31:32]
	v_mul_f64 v[31:32], v[25:26], v[31:32]
	v_fma_f64 v[25:26], v[25:26], v[29:30], -v[33:34]
	v_fma_f64 v[27:28], v[27:28], v[29:30], v[31:32]
	v_add_f64 v[10:11], v[10:11], -v[25:26]
	v_add_f64 v[12:13], v[12:13], -v[27:28]
.LBB85_158:
	s_or_b64 exec, exec, s[8:9]
	s_barrier
	s_and_saveexec_b64 s[8:9], s[46:47]
; %bb.159:
	v_xor_b32_e32 v28, 0x80000000, v13
	v_xor_b32_e32 v26, 0x80000000, v11
	v_mov_b32_e32 v25, v10
	v_mov_b32_e32 v27, v12
	ds_write_b128 v20, v[25:28]
; %bb.160:
	s_or_b64 exec, exec, s[8:9]
	s_waitcnt lgkmcnt(0)
	s_barrier
	s_and_saveexec_b64 s[8:9], s[48:49]
	s_cbranch_execz .LBB85_162
; %bb.161:
	v_lshlrev_b32_e32 v29, 4, v18
	ds_read_b128 v[25:28], v20
	ds_read_b128 v[29:32], v29 offset:9472
	s_waitcnt lgkmcnt(0)
	v_mul_f64 v[33:34], v[27:28], v[31:32]
	v_mul_f64 v[31:32], v[25:26], v[31:32]
	v_fma_f64 v[25:26], v[25:26], v[29:30], -v[33:34]
	v_fma_f64 v[27:28], v[27:28], v[29:30], v[31:32]
	v_add_f64 v[10:11], v[10:11], -v[25:26]
	v_add_f64 v[12:13], v[12:13], -v[27:28]
.LBB85_162:
	s_or_b64 exec, exec, s[8:9]
	s_barrier
	s_and_saveexec_b64 s[8:9], s[50:51]
; %bb.163:
	v_xor_b32_e32 v28, 0x80000000, v13
	v_xor_b32_e32 v26, 0x80000000, v11
	v_mov_b32_e32 v25, v10
	v_mov_b32_e32 v27, v12
	ds_write_b128 v20, v[25:28]
; %bb.164:
	s_or_b64 exec, exec, s[8:9]
	s_waitcnt lgkmcnt(0)
	s_barrier
	s_and_saveexec_b64 s[8:9], s[40:41]
	s_cbranch_execz .LBB85_166
; %bb.165:
	v_mov_b32_e32 v29, 0
	ds_read_b128 v[25:28], v20
	ds_read_b128 v[29:32], v29 offset:8960
	s_waitcnt lgkmcnt(0)
	v_mul_f64 v[33:34], v[27:28], v[31:32]
	v_mul_f64 v[31:32], v[25:26], v[31:32]
	v_fma_f64 v[25:26], v[25:26], v[29:30], -v[33:34]
	v_fma_f64 v[27:28], v[27:28], v[29:30], v[31:32]
	v_add_f64 v[10:11], v[10:11], -v[25:26]
	v_add_f64 v[12:13], v[12:13], -v[27:28]
.LBB85_166:
	s_or_b64 exec, exec, s[8:9]
	s_barrier
	s_and_saveexec_b64 s[8:9], s[40:41]
; %bb.167:
	v_xor_b32_e32 v28, 0x80000000, v13
	v_xor_b32_e32 v26, 0x80000000, v11
	v_mov_b32_e32 v25, v10
	v_mov_b32_e32 v27, v12
	ds_write_b128 v20, v[25:28]
; %bb.168:
	s_or_b64 exec, exec, s[8:9]
	s_waitcnt lgkmcnt(0)
	s_barrier
	s_barrier
	s_and_saveexec_b64 s[8:9], s[2:3]
; %bb.169:
	v_lshlrev_b32_e32 v25, 4, v18
	v_lshl_or_b32 v25, v19, 9, v25
	ds_write_b128 v25, v[10:13] offset:10496
; %bb.170:
	s_or_b64 exec, exec, s[8:9]
	s_waitcnt lgkmcnt(0)
	s_barrier
	s_barrier
	s_and_saveexec_b64 s[8:9], vcc
	s_cbranch_execz .LBB85_172
; %bb.171:
	s_mov_b32 s80, 0
	s_mov_b32 s81, 0x3ff00000
	;; [unrolled: 1-line block ×4, first 2 shown]
	v_mov_b32_e32 v10, s80
	v_mov_b32_e32 v25, 0
	;; [unrolled: 1-line block ×5, first 2 shown]
	ds_write_b128 v25, v[10:13] offset:9504
	ds_write_b128 v25, v[10:13] offset:10032
.LBB85_172:
	s_or_b64 exec, exec, s[8:9]
	v_mov_b32_e32 v10, 0
	v_mov_b32_e32 v12, 0
	;; [unrolled: 1-line block ×4, first 2 shown]
	s_waitcnt lgkmcnt(0)
	s_barrier
	buffer_wbinvl1_vol
	s_and_saveexec_b64 s[10:11], s[0:1]
	s_cbranch_execz .LBB85_176
; %bb.173:
	v_lshlrev_b32_e32 v25, 4, v14
	v_lshlrev_b32_e32 v10, 9, v15
	ds_read_b128 v[10:13], v10 offset:9504
	ds_read_b128 v[25:28], v25 offset:9472
	v_cmp_gt_u32_e64 s[8:9], 2, v17
	s_waitcnt lgkmcnt(0)
	v_mul_f64 v[29:30], v[12:13], v[27:28]
	v_mul_f64 v[27:28], v[10:11], v[27:28]
	v_fma_f64 v[10:11], v[10:11], v[25:26], -v[29:30]
	v_fma_f64 v[12:13], v[12:13], v[25:26], v[27:28]
	v_add_f64 v[10:11], v[10:11], 0
	v_add_f64 v[12:13], v[12:13], 0
	s_and_saveexec_b64 s[14:15], s[8:9]
	s_cbranch_execz .LBB85_175
; %bb.174:
	v_lshlrev_b32_e32 v29, 4, v0
	v_mov_b32_e32 v25, 0
	ds_read_b128 v[25:28], v25 offset:10032
	ds_read_b128 v[29:32], v29 offset:9984
	s_waitcnt lgkmcnt(0)
	v_mul_f64 v[33:34], v[27:28], v[31:32]
	v_mul_f64 v[31:32], v[25:26], v[31:32]
	v_fma_f64 v[25:26], v[25:26], v[29:30], -v[33:34]
	v_fma_f64 v[27:28], v[27:28], v[29:30], v[31:32]
	v_add_f64 v[10:11], v[10:11], v[25:26]
	v_add_f64 v[12:13], v[12:13], v[27:28]
.LBB85_175:
	s_or_b64 exec, exec, s[14:15]
.LBB85_176:
	s_or_b64 exec, exec, s[10:11]
	s_and_saveexec_b64 s[8:9], s[38:39]
; %bb.177:
	v_xor_b32_e32 v26, 0x80000000, v11
	v_xor_b32_e32 v28, 0x80000000, v13
	v_mov_b32_e32 v25, v10
	v_mov_b32_e32 v27, v12
	ds_write_b128 v16, v[25:28]
; %bb.178:
	s_or_b64 exec, exec, s[8:9]
	s_waitcnt lgkmcnt(0)
	s_barrier
	s_and_saveexec_b64 s[8:9], s[36:37]
	s_cbranch_execz .LBB85_180
; %bb.179:
	v_mov_b32_e32 v29, 0
	ds_read_b128 v[25:28], v16
	ds_read_b128 v[29:32], v29 offset:8960
	s_waitcnt lgkmcnt(0)
	v_mul_f64 v[33:34], v[25:26], v[29:30]
	v_mul_f64 v[25:26], v[25:26], v[31:32]
	v_fma_f64 v[31:32], v[27:28], v[31:32], -v[33:34]
	v_fma_f64 v[25:26], v[27:28], v[29:30], v[25:26]
	v_add_f64 v[10:11], v[10:11], v[31:32]
	v_add_f64 v[12:13], v[12:13], -v[25:26]
.LBB85_180:
	s_or_b64 exec, exec, s[8:9]
	s_barrier
	s_and_saveexec_b64 s[8:9], s[36:37]
; %bb.181:
	v_xor_b32_e32 v26, 0x80000000, v11
	v_xor_b32_e32 v28, 0x80000000, v13
	v_mov_b32_e32 v25, v10
	v_mov_b32_e32 v27, v12
	ds_write_b128 v16, v[25:28]
; %bb.182:
	s_or_b64 exec, exec, s[8:9]
	s_waitcnt lgkmcnt(0)
	s_barrier
	s_barrier
	s_and_saveexec_b64 s[8:9], s[0:1]
; %bb.183:
	v_lshlrev_b32_e32 v25, 4, v14
	v_lshl_or_b32 v25, v15, 9, v25
	ds_write_b128 v25, v[10:13] offset:9472
; %bb.184:
	s_or_b64 exec, exec, s[8:9]
	s_waitcnt lgkmcnt(0)
	s_barrier
	s_barrier
	s_and_saveexec_b64 s[8:9], vcc
	s_cbranch_execz .LBB85_186
; %bb.185:
	s_mov_b32 s80, 0
	s_mov_b32 s81, 0x3ff00000
	;; [unrolled: 1-line block ×4, first 2 shown]
	v_mov_b32_e32 v10, s80
	v_mov_b32_e32 v25, 0
	;; [unrolled: 1-line block ×5, first 2 shown]
	ds_write_b128 v25, v[10:13] offset:8448
	ds_write_b128 v25, v[10:13] offset:8976
.LBB85_186:
	s_or_b64 exec, exec, s[8:9]
	s_movk_i32 s8, 0xff
	v_lshrrev_b32_e32 v27, 4, v17
	v_cmp_lt_u32_e64 s[10:11], s8, v17
	s_movk_i32 s8, 0x100
	v_mov_b32_e32 v12, 0
	v_mov_b32_e32 v10, 0
	v_and_b32_e32 v25, 15, v0
	v_sub_u32_e32 v26, 15, v27
	v_mov_b32_e32 v13, 0
	v_mov_b32_e32 v11, 0
	v_cmp_gt_u32_e64 s[8:9], s8, v17
	s_waitcnt lgkmcnt(0)
	s_barrier
	buffer_wbinvl1_vol
	s_and_saveexec_b64 s[80:81], s[8:9]
	s_cbranch_execz .LBB85_214
; %bb.187:
	v_lshlrev_b32_e32 v29, 9, v26
	v_lshlrev_b32_e32 v28, 4, v25
	ds_read_b128 v[10:13], v29 offset:8448
	ds_read_b128 v[30:33], v28 offset:8192
	s_movk_i32 s14, 0xf0
	v_cmp_gt_u32_e64 s[14:15], s14, v17
	s_waitcnt lgkmcnt(0)
	v_mul_f64 v[34:35], v[12:13], v[32:33]
	v_mul_f64 v[32:33], v[10:11], v[32:33]
	v_fma_f64 v[10:11], v[10:11], v[30:31], -v[34:35]
	v_fma_f64 v[12:13], v[12:13], v[30:31], v[32:33]
	v_add_f64 v[10:11], v[10:11], 0
	v_add_f64 v[12:13], v[12:13], 0
	s_and_saveexec_b64 s[82:83], s[14:15]
	s_cbranch_execz .LBB85_189
; %bb.188:
	ds_read_b128 v[30:33], v29 offset:8464
	ds_read_b128 v[34:37], v28 offset:8704
	s_waitcnt lgkmcnt(0)
	v_mul_f64 v[38:39], v[32:33], v[36:37]
	v_mul_f64 v[36:37], v[30:31], v[36:37]
	v_fma_f64 v[30:31], v[30:31], v[34:35], -v[38:39]
	v_fma_f64 v[32:33], v[32:33], v[34:35], v[36:37]
	v_add_f64 v[10:11], v[10:11], v[30:31]
	v_add_f64 v[12:13], v[12:13], v[32:33]
.LBB85_189:
	s_or_b64 exec, exec, s[82:83]
	s_movk_i32 s14, 0xe0
	v_cmp_gt_u32_e64 s[14:15], s14, v17
	s_and_saveexec_b64 s[82:83], s[14:15]
	s_cbranch_execz .LBB85_191
; %bb.190:
	ds_read_b128 v[30:33], v29 offset:8480
	ds_read_b128 v[34:37], v28 offset:9216
	s_waitcnt lgkmcnt(0)
	v_mul_f64 v[38:39], v[32:33], v[36:37]
	v_mul_f64 v[36:37], v[30:31], v[36:37]
	v_fma_f64 v[30:31], v[30:31], v[34:35], -v[38:39]
	v_fma_f64 v[32:33], v[32:33], v[34:35], v[36:37]
	v_add_f64 v[10:11], v[10:11], v[30:31]
	v_add_f64 v[12:13], v[12:13], v[32:33]
.LBB85_191:
	s_or_b64 exec, exec, s[82:83]
	s_movk_i32 s14, 0xd0
	v_cmp_gt_u32_e64 s[14:15], s14, v17
	;; [unrolled: 16-line block ×10, first 2 shown]
	s_and_saveexec_b64 s[82:83], s[14:15]
	s_cbranch_execnz .LBB85_497
; %bb.208:
	s_or_b64 exec, exec, s[82:83]
	s_and_saveexec_b64 s[14:15], s[12:13]
	s_cbranch_execnz .LBB85_498
.LBB85_209:
	s_or_b64 exec, exec, s[14:15]
	v_cmp_gt_u32_e64 s[14:15], 48, v17
	s_and_saveexec_b64 s[82:83], s[14:15]
	s_cbranch_execnz .LBB85_499
.LBB85_210:
	s_or_b64 exec, exec, s[82:83]
	v_cmp_gt_u32_e64 s[14:15], 32, v17
	s_and_saveexec_b64 s[82:83], s[14:15]
	s_cbranch_execnz .LBB85_500
.LBB85_211:
	s_or_b64 exec, exec, s[82:83]
	v_cmp_gt_u32_e64 s[14:15], 16, v17
	s_and_saveexec_b64 s[82:83], s[14:15]
	s_cbranch_execz .LBB85_213
.LBB85_212:
	v_lshlrev_b32_e32 v32, 4, v0
	v_mov_b32_e32 v28, 0
	ds_read_b128 v[28:31], v28 offset:16368
	ds_read_b128 v[32:35], v32 offset:15872
	s_waitcnt lgkmcnt(0)
	v_mul_f64 v[36:37], v[30:31], v[34:35]
	v_mul_f64 v[34:35], v[28:29], v[34:35]
	v_fma_f64 v[28:29], v[28:29], v[32:33], -v[36:37]
	v_fma_f64 v[30:31], v[30:31], v[32:33], v[34:35]
	v_add_f64 v[10:11], v[10:11], v[28:29]
	v_add_f64 v[12:13], v[12:13], v[30:31]
.LBB85_213:
	s_or_b64 exec, exec, s[82:83]
.LBB85_214:
	s_or_b64 exec, exec, s[80:81]
	v_mov_b32_e32 v28, 0x4000
	v_cmp_eq_u32_e64 s[14:15], 15, v25
	s_xor_b64 s[80:81], s[10:11], -1
	v_lshl_add_u32 v27, v27, 4, v28
	s_and_b64 s[14:15], s[14:15], s[80:81]
	s_and_saveexec_b64 s[10:11], s[14:15]
; %bb.215:
	v_xor_b32_e32 v31, 0x80000000, v13
	v_xor_b32_e32 v29, 0x80000000, v11
	v_mov_b32_e32 v28, v10
	v_mov_b32_e32 v30, v12
	ds_write_b128 v27, v[28:31]
; %bb.216:
	s_or_b64 exec, exec, s[10:11]
	v_cmp_ne_u32_e64 s[10:11], 15, v25
	s_and_b64 s[14:15], s[10:11], s[80:81]
	s_waitcnt lgkmcnt(0)
	s_barrier
	s_and_saveexec_b64 s[10:11], s[14:15]
	s_cbranch_execz .LBB85_218
; %bb.217:
	v_lshlrev_b32_e32 v32, 4, v25
	ds_read_b128 v[28:31], v27
	ds_read_b128 v[32:35], v32 offset:7680
	s_waitcnt lgkmcnt(0)
	v_mul_f64 v[36:37], v[30:31], v[34:35]
	v_mul_f64 v[34:35], v[28:29], v[34:35]
	v_fma_f64 v[28:29], v[28:29], v[32:33], -v[36:37]
	v_fma_f64 v[30:31], v[30:31], v[32:33], v[34:35]
	v_add_f64 v[10:11], v[10:11], -v[28:29]
	v_add_f64 v[12:13], v[12:13], -v[30:31]
.LBB85_218:
	s_or_b64 exec, exec, s[10:11]
	v_cmp_eq_u32_e64 s[10:11], 14, v25
	s_and_b64 s[14:15], s[10:11], s[80:81]
	s_barrier
	s_and_saveexec_b64 s[10:11], s[14:15]
; %bb.219:
	v_xor_b32_e32 v31, 0x80000000, v13
	v_xor_b32_e32 v29, 0x80000000, v11
	v_mov_b32_e32 v28, v10
	v_mov_b32_e32 v30, v12
	ds_write_b128 v27, v[28:31]
; %bb.220:
	s_or_b64 exec, exec, s[10:11]
	v_cmp_gt_u32_e64 s[10:11], 14, v25
	s_and_b64 s[14:15], s[10:11], s[80:81]
	s_waitcnt lgkmcnt(0)
	s_barrier
	s_and_saveexec_b64 s[10:11], s[14:15]
	s_cbranch_execz .LBB85_222
; %bb.221:
	v_lshlrev_b32_e32 v32, 4, v25
	ds_read_b128 v[28:31], v27
	ds_read_b128 v[32:35], v32 offset:7168
	s_waitcnt lgkmcnt(0)
	v_mul_f64 v[36:37], v[30:31], v[34:35]
	v_mul_f64 v[34:35], v[28:29], v[34:35]
	v_fma_f64 v[28:29], v[28:29], v[32:33], -v[36:37]
	v_fma_f64 v[30:31], v[30:31], v[32:33], v[34:35]
	v_add_f64 v[10:11], v[10:11], -v[28:29]
	v_add_f64 v[12:13], v[12:13], -v[30:31]
.LBB85_222:
	s_or_b64 exec, exec, s[10:11]
	v_cmp_eq_u32_e64 s[10:11], 13, v25
	s_and_b64 s[14:15], s[10:11], s[80:81]
	s_barrier
	s_and_saveexec_b64 s[10:11], s[14:15]
; %bb.223:
	v_xor_b32_e32 v31, 0x80000000, v13
	v_xor_b32_e32 v29, 0x80000000, v11
	v_mov_b32_e32 v28, v10
	v_mov_b32_e32 v30, v12
	ds_write_b128 v27, v[28:31]
; %bb.224:
	s_or_b64 exec, exec, s[10:11]
	v_cmp_gt_u32_e64 s[10:11], 13, v25
	;; [unrolled: 31-line block ×13, first 2 shown]
	s_and_b64 s[14:15], s[10:11], s[80:81]
	s_waitcnt lgkmcnt(0)
	s_barrier
	s_and_saveexec_b64 s[10:11], s[14:15]
	s_cbranch_execz .LBB85_270
; %bb.269:
	v_lshlrev_b32_e32 v32, 4, v25
	ds_read_b128 v[28:31], v27
	ds_read_b128 v[32:35], v32 offset:1024
	s_waitcnt lgkmcnt(0)
	v_mul_f64 v[36:37], v[30:31], v[34:35]
	v_mul_f64 v[34:35], v[28:29], v[34:35]
	v_fma_f64 v[28:29], v[28:29], v[32:33], -v[36:37]
	v_fma_f64 v[30:31], v[30:31], v[32:33], v[34:35]
	v_add_f64 v[10:11], v[10:11], -v[28:29]
	v_add_f64 v[12:13], v[12:13], -v[30:31]
.LBB85_270:
	s_or_b64 exec, exec, s[10:11]
	v_cmp_eq_u32_e64 s[10:11], 1, v25
	s_and_b64 s[14:15], s[10:11], s[80:81]
	s_barrier
	s_and_saveexec_b64 s[10:11], s[14:15]
; %bb.271:
	v_xor_b32_e32 v31, 0x80000000, v13
	v_xor_b32_e32 v29, 0x80000000, v11
	v_mov_b32_e32 v28, v10
	v_mov_b32_e32 v30, v12
	ds_write_b128 v27, v[28:31]
; %bb.272:
	s_or_b64 exec, exec, s[10:11]
	v_cmp_eq_u32_e64 s[10:11], 0, v25
	s_and_b64 s[10:11], s[10:11], s[80:81]
	s_waitcnt lgkmcnt(0)
	s_barrier
	s_and_saveexec_b64 s[14:15], s[10:11]
	s_cbranch_execz .LBB85_274
; %bb.273:
	v_mov_b32_e32 v32, 0
	ds_read_b128 v[28:31], v27
	ds_read_b128 v[32:35], v32 offset:512
	s_waitcnt lgkmcnt(0)
	v_mul_f64 v[36:37], v[30:31], v[34:35]
	v_mul_f64 v[34:35], v[28:29], v[34:35]
	v_fma_f64 v[28:29], v[28:29], v[32:33], -v[36:37]
	v_fma_f64 v[30:31], v[30:31], v[32:33], v[34:35]
	v_add_f64 v[10:11], v[10:11], -v[28:29]
	v_add_f64 v[12:13], v[12:13], -v[30:31]
.LBB85_274:
	s_or_b64 exec, exec, s[14:15]
	s_barrier
	s_and_saveexec_b64 s[14:15], s[10:11]
; %bb.275:
	v_xor_b32_e32 v31, 0x80000000, v13
	v_xor_b32_e32 v29, 0x80000000, v11
	v_mov_b32_e32 v28, v10
	v_mov_b32_e32 v30, v12
	ds_write_b128 v27, v[28:31]
; %bb.276:
	s_or_b64 exec, exec, s[14:15]
	s_waitcnt lgkmcnt(0)
	s_barrier
	s_barrier
	s_and_saveexec_b64 s[10:11], s[8:9]
; %bb.277:
	v_lshlrev_b32_e32 v25, 4, v25
	v_lshl_or_b32 v25, v26, 9, v25
	ds_write_b128 v25, v[10:13] offset:8192
; %bb.278:
	s_or_b64 exec, exec, s[10:11]
	s_waitcnt lgkmcnt(0)
	s_barrier
	s_barrier
	s_and_saveexec_b64 s[8:9], vcc
	s_cbranch_execz .LBB85_280
; %bb.279:
	s_mov_b32 s80, 0
	s_mov_b32 s81, 0x3ff00000
	s_mov_b32 s82, s80
	s_mov_b32 s83, s80
	v_mov_b32_e32 v10, s80
	v_mov_b32_e32 v25, 0
	;; [unrolled: 1-line block ×5, first 2 shown]
	ds_write_b128 v25, v[10:13] offset:7392
	ds_write_b128 v25, v[10:13] offset:7920
.LBB85_280:
	s_or_b64 exec, exec, s[8:9]
	v_mov_b32_e32 v10, 0
	v_mov_b32_e32 v12, 0
	;; [unrolled: 1-line block ×4, first 2 shown]
	s_waitcnt lgkmcnt(0)
	s_barrier
	buffer_wbinvl1_vol
	s_and_saveexec_b64 s[10:11], s[0:1]
	s_cbranch_execz .LBB85_284
; %bb.281:
	v_lshlrev_b32_e32 v25, 4, v14
	v_lshlrev_b32_e32 v10, 9, v15
	ds_read_b128 v[10:13], v10 offset:7392
	ds_read_b128 v[25:28], v25 offset:7360
	v_cmp_gt_u32_e64 s[8:9], 2, v17
	s_waitcnt lgkmcnt(0)
	v_mul_f64 v[29:30], v[12:13], v[27:28]
	v_mul_f64 v[27:28], v[10:11], v[27:28]
	v_fma_f64 v[10:11], v[10:11], v[25:26], -v[29:30]
	v_fma_f64 v[12:13], v[12:13], v[25:26], v[27:28]
	v_add_f64 v[10:11], v[10:11], 0
	v_add_f64 v[12:13], v[12:13], 0
	s_and_saveexec_b64 s[14:15], s[8:9]
	s_cbranch_execz .LBB85_283
; %bb.282:
	v_lshlrev_b32_e32 v29, 4, v0
	v_mov_b32_e32 v25, 0
	ds_read_b128 v[25:28], v25 offset:7920
	ds_read_b128 v[29:32], v29 offset:7872
	s_waitcnt lgkmcnt(0)
	v_mul_f64 v[33:34], v[27:28], v[31:32]
	v_mul_f64 v[31:32], v[25:26], v[31:32]
	v_fma_f64 v[25:26], v[25:26], v[29:30], -v[33:34]
	v_fma_f64 v[27:28], v[27:28], v[29:30], v[31:32]
	v_add_f64 v[10:11], v[10:11], v[25:26]
	v_add_f64 v[12:13], v[12:13], v[27:28]
.LBB85_283:
	s_or_b64 exec, exec, s[14:15]
.LBB85_284:
	s_or_b64 exec, exec, s[10:11]
	s_and_saveexec_b64 s[8:9], s[38:39]
; %bb.285:
	v_xor_b32_e32 v26, 0x80000000, v11
	v_xor_b32_e32 v28, 0x80000000, v13
	v_mov_b32_e32 v25, v10
	v_mov_b32_e32 v27, v12
	ds_write_b128 v16, v[25:28]
; %bb.286:
	s_or_b64 exec, exec, s[8:9]
	s_waitcnt lgkmcnt(0)
	s_barrier
	s_and_saveexec_b64 s[8:9], s[36:37]
	s_cbranch_execz .LBB85_288
; %bb.287:
	v_mov_b32_e32 v29, 0
	ds_read_b128 v[25:28], v16
	ds_read_b128 v[29:32], v29 offset:6848
	s_waitcnt lgkmcnt(0)
	v_mul_f64 v[33:34], v[25:26], v[29:30]
	v_mul_f64 v[25:26], v[25:26], v[31:32]
	v_fma_f64 v[31:32], v[27:28], v[31:32], -v[33:34]
	v_fma_f64 v[25:26], v[27:28], v[29:30], v[25:26]
	v_add_f64 v[10:11], v[10:11], v[31:32]
	v_add_f64 v[12:13], v[12:13], -v[25:26]
.LBB85_288:
	s_or_b64 exec, exec, s[8:9]
	s_barrier
	s_and_saveexec_b64 s[8:9], s[36:37]
; %bb.289:
	v_xor_b32_e32 v26, 0x80000000, v11
	v_xor_b32_e32 v28, 0x80000000, v13
	v_mov_b32_e32 v25, v10
	v_mov_b32_e32 v27, v12
	ds_write_b128 v16, v[25:28]
; %bb.290:
	s_or_b64 exec, exec, s[8:9]
	s_waitcnt lgkmcnt(0)
	s_barrier
	s_barrier
	s_and_saveexec_b64 s[8:9], s[0:1]
; %bb.291:
	v_lshlrev_b32_e32 v25, 4, v14
	v_lshl_or_b32 v25, v15, 9, v25
	ds_write_b128 v25, v[10:13] offset:7360
; %bb.292:
	s_or_b64 exec, exec, s[8:9]
	s_waitcnt lgkmcnt(0)
	s_barrier
	s_barrier
	s_and_saveexec_b64 s[8:9], vcc
	s_cbranch_execz .LBB85_294
; %bb.293:
	s_mov_b32 s80, 0
	s_mov_b32 s81, 0x3ff00000
	;; [unrolled: 1-line block ×4, first 2 shown]
	v_mov_b32_e32 v10, s80
	v_mov_b32_e32 v25, 0
	;; [unrolled: 1-line block ×5, first 2 shown]
	ds_write_b128 v25, v[10:13] offset:6336
	ds_write_b128 v25, v[10:13] offset:6864
.LBB85_294:
	s_or_b64 exec, exec, s[8:9]
	v_mov_b32_e32 v12, 0
	v_mov_b32_e32 v10, 0
	;; [unrolled: 1-line block ×4, first 2 shown]
	s_waitcnt lgkmcnt(0)
	s_barrier
	buffer_wbinvl1_vol
	s_and_saveexec_b64 s[10:11], s[2:3]
	s_cbranch_execz .LBB85_300
; %bb.295:
	v_lshlrev_b32_e32 v26, 9, v19
	v_lshlrev_b32_e32 v25, 4, v18
	ds_read_b128 v[10:13], v26 offset:6336
	ds_read_b128 v[27:30], v25 offset:6272
	v_cmp_gt_u32_e64 s[8:9], 12, v17
	s_waitcnt lgkmcnt(0)
	v_mul_f64 v[31:32], v[12:13], v[29:30]
	v_mul_f64 v[29:30], v[10:11], v[29:30]
	v_fma_f64 v[10:11], v[10:11], v[27:28], -v[31:32]
	v_fma_f64 v[12:13], v[12:13], v[27:28], v[29:30]
	v_add_f64 v[10:11], v[10:11], 0
	v_add_f64 v[12:13], v[12:13], 0
	s_and_saveexec_b64 s[14:15], s[8:9]
	s_cbranch_execnz .LBB85_501
; %bb.296:
	s_or_b64 exec, exec, s[14:15]
	v_cmp_gt_u32_e64 s[8:9], 8, v17
	s_and_saveexec_b64 s[14:15], s[8:9]
	s_cbranch_execnz .LBB85_502
.LBB85_297:
	s_or_b64 exec, exec, s[14:15]
	v_cmp_gt_u32_e64 s[8:9], 4, v17
	s_and_saveexec_b64 s[14:15], s[8:9]
	s_cbranch_execz .LBB85_299
.LBB85_298:
	v_lshlrev_b32_e32 v29, 4, v0
	v_mov_b32_e32 v25, 0
	ds_read_b128 v[25:28], v25 offset:7920
	ds_read_b128 v[29:32], v29 offset:7808
	s_waitcnt lgkmcnt(0)
	v_mul_f64 v[33:34], v[27:28], v[31:32]
	v_mul_f64 v[31:32], v[25:26], v[31:32]
	v_fma_f64 v[25:26], v[25:26], v[29:30], -v[33:34]
	v_fma_f64 v[27:28], v[27:28], v[29:30], v[31:32]
	v_add_f64 v[10:11], v[10:11], v[25:26]
	v_add_f64 v[12:13], v[12:13], v[27:28]
.LBB85_299:
	s_or_b64 exec, exec, s[14:15]
.LBB85_300:
	s_or_b64 exec, exec, s[10:11]
	s_and_saveexec_b64 s[8:9], s[42:43]
; %bb.301:
	v_xor_b32_e32 v28, 0x80000000, v13
	v_xor_b32_e32 v26, 0x80000000, v11
	v_mov_b32_e32 v25, v10
	v_mov_b32_e32 v27, v12
	ds_write_b128 v20, v[25:28]
; %bb.302:
	s_or_b64 exec, exec, s[8:9]
	s_waitcnt lgkmcnt(0)
	s_barrier
	s_and_saveexec_b64 s[8:9], s[44:45]
	s_cbranch_execz .LBB85_304
; %bb.303:
	v_lshlrev_b32_e32 v29, 4, v18
	ds_read_b128 v[25:28], v20
	ds_read_b128 v[29:32], v29 offset:5760
	s_waitcnt lgkmcnt(0)
	v_mul_f64 v[33:34], v[27:28], v[31:32]
	v_mul_f64 v[31:32], v[25:26], v[31:32]
	v_fma_f64 v[25:26], v[25:26], v[29:30], -v[33:34]
	v_fma_f64 v[27:28], v[27:28], v[29:30], v[31:32]
	v_add_f64 v[10:11], v[10:11], -v[25:26]
	v_add_f64 v[12:13], v[12:13], -v[27:28]
.LBB85_304:
	s_or_b64 exec, exec, s[8:9]
	s_barrier
	s_and_saveexec_b64 s[8:9], s[46:47]
; %bb.305:
	v_xor_b32_e32 v28, 0x80000000, v13
	v_xor_b32_e32 v26, 0x80000000, v11
	v_mov_b32_e32 v25, v10
	v_mov_b32_e32 v27, v12
	ds_write_b128 v20, v[25:28]
; %bb.306:
	s_or_b64 exec, exec, s[8:9]
	s_waitcnt lgkmcnt(0)
	s_barrier
	s_and_saveexec_b64 s[8:9], s[48:49]
	s_cbranch_execz .LBB85_308
; %bb.307:
	v_lshlrev_b32_e32 v29, 4, v18
	ds_read_b128 v[25:28], v20
	ds_read_b128 v[29:32], v29 offset:5248
	s_waitcnt lgkmcnt(0)
	v_mul_f64 v[33:34], v[27:28], v[31:32]
	v_mul_f64 v[31:32], v[25:26], v[31:32]
	v_fma_f64 v[25:26], v[25:26], v[29:30], -v[33:34]
	v_fma_f64 v[27:28], v[27:28], v[29:30], v[31:32]
	v_add_f64 v[10:11], v[10:11], -v[25:26]
	v_add_f64 v[12:13], v[12:13], -v[27:28]
.LBB85_308:
	s_or_b64 exec, exec, s[8:9]
	s_barrier
	s_and_saveexec_b64 s[8:9], s[50:51]
; %bb.309:
	v_xor_b32_e32 v28, 0x80000000, v13
	v_xor_b32_e32 v26, 0x80000000, v11
	v_mov_b32_e32 v25, v10
	v_mov_b32_e32 v27, v12
	ds_write_b128 v20, v[25:28]
; %bb.310:
	s_or_b64 exec, exec, s[8:9]
	s_waitcnt lgkmcnt(0)
	s_barrier
	s_and_saveexec_b64 s[8:9], s[40:41]
	s_cbranch_execz .LBB85_312
; %bb.311:
	v_mov_b32_e32 v29, 0
	ds_read_b128 v[25:28], v20
	ds_read_b128 v[29:32], v29 offset:4736
	s_waitcnt lgkmcnt(0)
	v_mul_f64 v[33:34], v[27:28], v[31:32]
	v_mul_f64 v[31:32], v[25:26], v[31:32]
	v_fma_f64 v[25:26], v[25:26], v[29:30], -v[33:34]
	v_fma_f64 v[27:28], v[27:28], v[29:30], v[31:32]
	v_add_f64 v[10:11], v[10:11], -v[25:26]
	v_add_f64 v[12:13], v[12:13], -v[27:28]
.LBB85_312:
	s_or_b64 exec, exec, s[8:9]
	s_barrier
	s_and_saveexec_b64 s[8:9], s[40:41]
; %bb.313:
	v_xor_b32_e32 v28, 0x80000000, v13
	v_xor_b32_e32 v26, 0x80000000, v11
	v_mov_b32_e32 v25, v10
	v_mov_b32_e32 v27, v12
	ds_write_b128 v20, v[25:28]
; %bb.314:
	s_or_b64 exec, exec, s[8:9]
	s_waitcnt lgkmcnt(0)
	s_barrier
	s_barrier
	s_and_saveexec_b64 s[8:9], s[2:3]
; %bb.315:
	v_lshlrev_b32_e32 v25, 4, v18
	v_lshl_or_b32 v25, v19, 9, v25
	ds_write_b128 v25, v[10:13] offset:6272
; %bb.316:
	s_or_b64 exec, exec, s[8:9]
	s_waitcnt lgkmcnt(0)
	s_barrier
	s_barrier
	s_and_saveexec_b64 s[8:9], vcc
	s_cbranch_execz .LBB85_318
; %bb.317:
	s_mov_b32 s80, 0
	s_mov_b32 s81, 0x3ff00000
	;; [unrolled: 1-line block ×4, first 2 shown]
	v_mov_b32_e32 v10, s80
	v_mov_b32_e32 v25, 0
	;; [unrolled: 1-line block ×5, first 2 shown]
	ds_write_b128 v25, v[10:13] offset:5280
	ds_write_b128 v25, v[10:13] offset:5808
.LBB85_318:
	s_or_b64 exec, exec, s[8:9]
	v_mov_b32_e32 v10, 0
	v_mov_b32_e32 v12, 0
	;; [unrolled: 1-line block ×4, first 2 shown]
	s_waitcnt lgkmcnt(0)
	s_barrier
	buffer_wbinvl1_vol
	s_and_saveexec_b64 s[10:11], s[0:1]
	s_cbranch_execz .LBB85_322
; %bb.319:
	v_lshlrev_b32_e32 v25, 4, v14
	v_lshlrev_b32_e32 v10, 9, v15
	ds_read_b128 v[10:13], v10 offset:5280
	ds_read_b128 v[25:28], v25 offset:5248
	v_cmp_gt_u32_e64 s[8:9], 2, v17
	s_waitcnt lgkmcnt(0)
	v_mul_f64 v[29:30], v[12:13], v[27:28]
	v_mul_f64 v[27:28], v[10:11], v[27:28]
	v_fma_f64 v[10:11], v[10:11], v[25:26], -v[29:30]
	v_fma_f64 v[12:13], v[12:13], v[25:26], v[27:28]
	v_add_f64 v[10:11], v[10:11], 0
	v_add_f64 v[12:13], v[12:13], 0
	s_and_saveexec_b64 s[14:15], s[8:9]
	s_cbranch_execz .LBB85_321
; %bb.320:
	v_lshlrev_b32_e32 v29, 4, v0
	v_mov_b32_e32 v25, 0
	ds_read_b128 v[25:28], v25 offset:5808
	ds_read_b128 v[29:32], v29 offset:5760
	s_waitcnt lgkmcnt(0)
	v_mul_f64 v[33:34], v[27:28], v[31:32]
	v_mul_f64 v[31:32], v[25:26], v[31:32]
	v_fma_f64 v[25:26], v[25:26], v[29:30], -v[33:34]
	v_fma_f64 v[27:28], v[27:28], v[29:30], v[31:32]
	v_add_f64 v[10:11], v[10:11], v[25:26]
	v_add_f64 v[12:13], v[12:13], v[27:28]
.LBB85_321:
	s_or_b64 exec, exec, s[14:15]
.LBB85_322:
	s_or_b64 exec, exec, s[10:11]
	s_and_saveexec_b64 s[8:9], s[38:39]
; %bb.323:
	v_xor_b32_e32 v26, 0x80000000, v11
	v_xor_b32_e32 v28, 0x80000000, v13
	v_mov_b32_e32 v25, v10
	v_mov_b32_e32 v27, v12
	ds_write_b128 v16, v[25:28]
; %bb.324:
	s_or_b64 exec, exec, s[8:9]
	s_waitcnt lgkmcnt(0)
	s_barrier
	s_and_saveexec_b64 s[8:9], s[36:37]
	s_cbranch_execz .LBB85_326
; %bb.325:
	v_mov_b32_e32 v29, 0
	ds_read_b128 v[25:28], v16
	ds_read_b128 v[29:32], v29 offset:4736
	s_waitcnt lgkmcnt(0)
	v_mul_f64 v[33:34], v[25:26], v[29:30]
	v_mul_f64 v[25:26], v[25:26], v[31:32]
	v_fma_f64 v[31:32], v[27:28], v[31:32], -v[33:34]
	v_fma_f64 v[25:26], v[27:28], v[29:30], v[25:26]
	v_add_f64 v[10:11], v[10:11], v[31:32]
	v_add_f64 v[12:13], v[12:13], -v[25:26]
.LBB85_326:
	s_or_b64 exec, exec, s[8:9]
	s_barrier
	s_and_saveexec_b64 s[8:9], s[36:37]
; %bb.327:
	v_xor_b32_e32 v26, 0x80000000, v11
	v_xor_b32_e32 v28, 0x80000000, v13
	v_mov_b32_e32 v25, v10
	v_mov_b32_e32 v27, v12
	ds_write_b128 v16, v[25:28]
; %bb.328:
	s_or_b64 exec, exec, s[8:9]
	s_waitcnt lgkmcnt(0)
	s_barrier
	s_barrier
	s_and_saveexec_b64 s[8:9], s[0:1]
; %bb.329:
	v_lshlrev_b32_e32 v25, 4, v14
	v_lshl_or_b32 v25, v15, 9, v25
	ds_write_b128 v25, v[10:13] offset:5248
; %bb.330:
	s_or_b64 exec, exec, s[8:9]
	s_waitcnt lgkmcnt(0)
	s_barrier
	s_barrier
	s_and_saveexec_b64 s[8:9], vcc
	s_cbranch_execz .LBB85_332
; %bb.331:
	s_mov_b32 s80, 0
	s_mov_b32 s81, 0x3ff00000
	;; [unrolled: 1-line block ×4, first 2 shown]
	v_mov_b32_e32 v10, s80
	v_mov_b32_e32 v25, 0
	;; [unrolled: 1-line block ×5, first 2 shown]
	ds_write_b128 v25, v[10:13] offset:4224
	ds_write_b128 v25, v[10:13] offset:4752
.LBB85_332:
	s_or_b64 exec, exec, s[8:9]
	v_mov_b32_e32 v12, 0
	v_mov_b32_e32 v10, 0
	;; [unrolled: 1-line block ×4, first 2 shown]
	s_waitcnt lgkmcnt(0)
	s_barrier
	buffer_wbinvl1_vol
	s_and_saveexec_b64 s[10:11], s[12:13]
	s_cbranch_execz .LBB85_342
; %bb.333:
	v_lshlrev_b32_e32 v26, 9, v23
	v_lshlrev_b32_e32 v25, 4, v22
	ds_read_b128 v[10:13], v26 offset:4224
	ds_read_b128 v[27:30], v25 offset:4096
	v_cmp_gt_u32_e64 s[8:9], 56, v17
	s_waitcnt lgkmcnt(0)
	v_mul_f64 v[31:32], v[12:13], v[29:30]
	v_mul_f64 v[29:30], v[10:11], v[29:30]
	v_fma_f64 v[10:11], v[10:11], v[27:28], -v[31:32]
	v_fma_f64 v[12:13], v[12:13], v[27:28], v[29:30]
	v_add_f64 v[10:11], v[10:11], 0
	v_add_f64 v[12:13], v[12:13], 0
	s_and_saveexec_b64 s[14:15], s[8:9]
	s_cbranch_execnz .LBB85_503
; %bb.334:
	s_or_b64 exec, exec, s[14:15]
	v_cmp_gt_u32_e64 s[8:9], 48, v17
	s_and_saveexec_b64 s[14:15], s[8:9]
	s_cbranch_execnz .LBB85_504
.LBB85_335:
	s_or_b64 exec, exec, s[14:15]
	v_cmp_gt_u32_e64 s[8:9], 40, v17
	s_and_saveexec_b64 s[14:15], s[8:9]
	s_cbranch_execnz .LBB85_505
.LBB85_336:
	s_or_b64 exec, exec, s[14:15]
	v_cmp_gt_u32_e64 s[8:9], 32, v17
	s_and_saveexec_b64 s[14:15], s[8:9]
	s_cbranch_execnz .LBB85_506
.LBB85_337:
	s_or_b64 exec, exec, s[14:15]
	v_cmp_gt_u32_e64 s[8:9], 24, v17
	s_and_saveexec_b64 s[14:15], s[8:9]
	s_cbranch_execnz .LBB85_507
.LBB85_338:
	s_or_b64 exec, exec, s[14:15]
	s_and_saveexec_b64 s[8:9], s[2:3]
	s_cbranch_execnz .LBB85_508
.LBB85_339:
	s_or_b64 exec, exec, s[8:9]
	v_cmp_gt_u32_e64 s[8:9], 8, v17
	s_and_saveexec_b64 s[14:15], s[8:9]
	s_cbranch_execz .LBB85_341
.LBB85_340:
	v_lshlrev_b32_e32 v29, 4, v0
	v_mov_b32_e32 v25, 0
	ds_read_b128 v[25:28], v25 offset:7920
	ds_read_b128 v[29:32], v29 offset:7680
	s_waitcnt lgkmcnt(0)
	v_mul_f64 v[33:34], v[27:28], v[31:32]
	v_mul_f64 v[31:32], v[25:26], v[31:32]
	v_fma_f64 v[25:26], v[25:26], v[29:30], -v[33:34]
	v_fma_f64 v[27:28], v[27:28], v[29:30], v[31:32]
	v_add_f64 v[10:11], v[10:11], v[25:26]
	v_add_f64 v[12:13], v[12:13], v[27:28]
.LBB85_341:
	s_or_b64 exec, exec, s[14:15]
.LBB85_342:
	s_or_b64 exec, exec, s[10:11]
	s_and_saveexec_b64 s[8:9], s[54:55]
; %bb.343:
	v_xor_b32_e32 v26, 0x80000000, v11
	v_xor_b32_e32 v28, 0x80000000, v13
	v_mov_b32_e32 v25, v10
	v_mov_b32_e32 v27, v12
	ds_write_b128 v24, v[25:28]
; %bb.344:
	s_or_b64 exec, exec, s[8:9]
	s_waitcnt lgkmcnt(0)
	s_barrier
	s_and_saveexec_b64 s[8:9], s[56:57]
	s_cbranch_execz .LBB85_346
; %bb.345:
	v_lshlrev_b32_e32 v29, 4, v22
	ds_read_b128 v[25:28], v24
	ds_read_b128 v[29:32], v29 offset:3584
	s_waitcnt lgkmcnt(0)
	v_mul_f64 v[33:34], v[27:28], v[31:32]
	v_mul_f64 v[31:32], v[25:26], v[31:32]
	v_fma_f64 v[25:26], v[25:26], v[29:30], -v[33:34]
	v_fma_f64 v[27:28], v[27:28], v[29:30], v[31:32]
	v_add_f64 v[10:11], v[10:11], -v[25:26]
	v_add_f64 v[12:13], v[12:13], -v[27:28]
.LBB85_346:
	s_or_b64 exec, exec, s[8:9]
	s_barrier
	s_and_saveexec_b64 s[8:9], s[58:59]
; %bb.347:
	v_xor_b32_e32 v26, 0x80000000, v11
	v_xor_b32_e32 v28, 0x80000000, v13
	v_mov_b32_e32 v25, v10
	v_mov_b32_e32 v27, v12
	ds_write_b128 v24, v[25:28]
; %bb.348:
	s_or_b64 exec, exec, s[8:9]
	s_waitcnt lgkmcnt(0)
	s_barrier
	s_and_saveexec_b64 s[8:9], s[60:61]
	s_cbranch_execz .LBB85_350
; %bb.349:
	v_lshlrev_b32_e32 v29, 4, v22
	ds_read_b128 v[25:28], v24
	ds_read_b128 v[29:32], v29 offset:3072
	s_waitcnt lgkmcnt(0)
	v_mul_f64 v[33:34], v[27:28], v[31:32]
	v_mul_f64 v[31:32], v[25:26], v[31:32]
	v_fma_f64 v[25:26], v[25:26], v[29:30], -v[33:34]
	v_fma_f64 v[27:28], v[27:28], v[29:30], v[31:32]
	v_add_f64 v[10:11], v[10:11], -v[25:26]
	v_add_f64 v[12:13], v[12:13], -v[27:28]
.LBB85_350:
	s_or_b64 exec, exec, s[8:9]
	s_barrier
	;; [unrolled: 27-line block ×6, first 2 shown]
	s_and_saveexec_b64 s[8:9], s[78:79]
; %bb.367:
	v_xor_b32_e32 v26, 0x80000000, v11
	v_xor_b32_e32 v28, 0x80000000, v13
	v_mov_b32_e32 v25, v10
	v_mov_b32_e32 v27, v12
	ds_write_b128 v24, v[25:28]
; %bb.368:
	s_or_b64 exec, exec, s[8:9]
	s_waitcnt lgkmcnt(0)
	s_barrier
	s_and_saveexec_b64 s[8:9], s[52:53]
	s_cbranch_execz .LBB85_370
; %bb.369:
	v_mov_b32_e32 v29, 0
	ds_read_b128 v[25:28], v24
	ds_read_b128 v[29:32], v29 offset:512
	s_waitcnt lgkmcnt(0)
	v_mul_f64 v[33:34], v[27:28], v[31:32]
	v_mul_f64 v[31:32], v[25:26], v[31:32]
	v_fma_f64 v[25:26], v[25:26], v[29:30], -v[33:34]
	v_fma_f64 v[27:28], v[27:28], v[29:30], v[31:32]
	v_add_f64 v[10:11], v[10:11], -v[25:26]
	v_add_f64 v[12:13], v[12:13], -v[27:28]
.LBB85_370:
	s_or_b64 exec, exec, s[8:9]
	s_barrier
	s_and_saveexec_b64 s[8:9], s[52:53]
; %bb.371:
	v_xor_b32_e32 v26, 0x80000000, v11
	v_xor_b32_e32 v28, 0x80000000, v13
	v_mov_b32_e32 v25, v10
	v_mov_b32_e32 v27, v12
	ds_write_b128 v24, v[25:28]
; %bb.372:
	s_or_b64 exec, exec, s[8:9]
	s_waitcnt lgkmcnt(0)
	s_barrier
	s_barrier
	s_and_saveexec_b64 s[8:9], s[12:13]
; %bb.373:
	v_lshlrev_b32_e32 v22, 4, v22
	v_lshl_or_b32 v22, v23, 9, v22
	ds_write_b128 v22, v[10:13] offset:4096
; %bb.374:
	s_or_b64 exec, exec, s[8:9]
	s_waitcnt lgkmcnt(0)
	s_barrier
	s_barrier
	s_and_saveexec_b64 s[8:9], vcc
	s_cbranch_execz .LBB85_376
; %bb.375:
	s_mov_b32 s12, 0
	s_mov_b32 s13, 0x3ff00000
	;; [unrolled: 1-line block ×4, first 2 shown]
	v_mov_b32_e32 v10, s12
	v_mov_b32_e32 v22, 0
	;; [unrolled: 1-line block ×5, first 2 shown]
	ds_write_b128 v22, v[10:13] offset:3168
	ds_write_b128 v22, v[10:13] offset:3696
.LBB85_376:
	s_or_b64 exec, exec, s[8:9]
	v_mov_b32_e32 v10, 0
	v_mov_b32_e32 v12, 0
	;; [unrolled: 1-line block ×4, first 2 shown]
	s_waitcnt lgkmcnt(0)
	s_barrier
	buffer_wbinvl1_vol
	s_and_saveexec_b64 s[10:11], s[0:1]
	s_cbranch_execz .LBB85_380
; %bb.377:
	v_lshlrev_b32_e32 v22, 4, v14
	v_lshlrev_b32_e32 v10, 9, v15
	ds_read_b128 v[10:13], v10 offset:3168
	ds_read_b128 v[22:25], v22 offset:3136
	v_cmp_gt_u32_e64 s[8:9], 2, v17
	s_waitcnt lgkmcnt(0)
	v_mul_f64 v[26:27], v[12:13], v[24:25]
	v_mul_f64 v[24:25], v[10:11], v[24:25]
	v_fma_f64 v[10:11], v[10:11], v[22:23], -v[26:27]
	v_fma_f64 v[12:13], v[12:13], v[22:23], v[24:25]
	v_add_f64 v[10:11], v[10:11], 0
	v_add_f64 v[12:13], v[12:13], 0
	s_and_saveexec_b64 s[12:13], s[8:9]
	s_cbranch_execz .LBB85_379
; %bb.378:
	v_lshlrev_b32_e32 v26, 4, v0
	v_mov_b32_e32 v22, 0
	ds_read_b128 v[22:25], v22 offset:3696
	ds_read_b128 v[26:29], v26 offset:3648
	s_waitcnt lgkmcnt(0)
	v_mul_f64 v[30:31], v[24:25], v[28:29]
	v_mul_f64 v[28:29], v[22:23], v[28:29]
	v_fma_f64 v[22:23], v[22:23], v[26:27], -v[30:31]
	v_fma_f64 v[24:25], v[24:25], v[26:27], v[28:29]
	v_add_f64 v[10:11], v[10:11], v[22:23]
	v_add_f64 v[12:13], v[12:13], v[24:25]
.LBB85_379:
	s_or_b64 exec, exec, s[12:13]
.LBB85_380:
	s_or_b64 exec, exec, s[10:11]
	s_and_saveexec_b64 s[8:9], s[38:39]
; %bb.381:
	v_xor_b32_e32 v23, 0x80000000, v11
	v_xor_b32_e32 v25, 0x80000000, v13
	v_mov_b32_e32 v22, v10
	v_mov_b32_e32 v24, v12
	ds_write_b128 v16, v[22:25]
; %bb.382:
	s_or_b64 exec, exec, s[8:9]
	s_waitcnt lgkmcnt(0)
	s_barrier
	s_and_saveexec_b64 s[8:9], s[36:37]
	s_cbranch_execz .LBB85_384
; %bb.383:
	v_mov_b32_e32 v26, 0
	ds_read_b128 v[22:25], v16
	ds_read_b128 v[26:29], v26 offset:2624
	s_waitcnt lgkmcnt(0)
	v_mul_f64 v[30:31], v[22:23], v[26:27]
	v_mul_f64 v[22:23], v[22:23], v[28:29]
	v_fma_f64 v[28:29], v[24:25], v[28:29], -v[30:31]
	v_fma_f64 v[22:23], v[24:25], v[26:27], v[22:23]
	v_add_f64 v[10:11], v[10:11], v[28:29]
	v_add_f64 v[12:13], v[12:13], -v[22:23]
.LBB85_384:
	s_or_b64 exec, exec, s[8:9]
	s_barrier
	s_and_saveexec_b64 s[8:9], s[36:37]
; %bb.385:
	v_xor_b32_e32 v23, 0x80000000, v11
	v_xor_b32_e32 v25, 0x80000000, v13
	v_mov_b32_e32 v22, v10
	v_mov_b32_e32 v24, v12
	ds_write_b128 v16, v[22:25]
; %bb.386:
	s_or_b64 exec, exec, s[8:9]
	s_waitcnt lgkmcnt(0)
	s_barrier
	s_barrier
	s_and_saveexec_b64 s[8:9], s[0:1]
; %bb.387:
	v_lshlrev_b32_e32 v22, 4, v14
	v_lshl_or_b32 v22, v15, 9, v22
	ds_write_b128 v22, v[10:13] offset:3136
; %bb.388:
	s_or_b64 exec, exec, s[8:9]
	s_waitcnt lgkmcnt(0)
	s_barrier
	s_barrier
	s_and_saveexec_b64 s[8:9], vcc
	s_cbranch_execz .LBB85_390
; %bb.389:
	s_mov_b32 s12, 0
	s_mov_b32 s13, 0x3ff00000
	;; [unrolled: 1-line block ×4, first 2 shown]
	v_mov_b32_e32 v10, s12
	v_mov_b32_e32 v22, 0
	;; [unrolled: 1-line block ×5, first 2 shown]
	ds_write_b128 v22, v[10:13] offset:2112
	ds_write_b128 v22, v[10:13] offset:2640
.LBB85_390:
	s_or_b64 exec, exec, s[8:9]
	v_mov_b32_e32 v12, 0
	v_mov_b32_e32 v10, 0
	;; [unrolled: 1-line block ×4, first 2 shown]
	s_waitcnt lgkmcnt(0)
	s_barrier
	buffer_wbinvl1_vol
	s_and_saveexec_b64 s[10:11], s[2:3]
	s_cbranch_execz .LBB85_396
; %bb.391:
	v_lshlrev_b32_e32 v23, 9, v19
	v_lshlrev_b32_e32 v22, 4, v18
	ds_read_b128 v[10:13], v23 offset:2112
	ds_read_b128 v[24:27], v22 offset:2048
	v_cmp_gt_u32_e64 s[8:9], 12, v17
	s_waitcnt lgkmcnt(0)
	v_mul_f64 v[28:29], v[12:13], v[26:27]
	v_mul_f64 v[26:27], v[10:11], v[26:27]
	v_fma_f64 v[10:11], v[10:11], v[24:25], -v[28:29]
	v_fma_f64 v[12:13], v[12:13], v[24:25], v[26:27]
	v_add_f64 v[10:11], v[10:11], 0
	v_add_f64 v[12:13], v[12:13], 0
	s_and_saveexec_b64 s[12:13], s[8:9]
	s_cbranch_execnz .LBB85_509
; %bb.392:
	s_or_b64 exec, exec, s[12:13]
	v_cmp_gt_u32_e64 s[8:9], 8, v17
	s_and_saveexec_b64 s[12:13], s[8:9]
	s_cbranch_execnz .LBB85_510
.LBB85_393:
	s_or_b64 exec, exec, s[12:13]
	v_cmp_gt_u32_e64 s[8:9], 4, v17
	s_and_saveexec_b64 s[12:13], s[8:9]
	s_cbranch_execz .LBB85_395
.LBB85_394:
	v_lshlrev_b32_e32 v26, 4, v0
	v_mov_b32_e32 v22, 0
	ds_read_b128 v[22:25], v22 offset:3696
	ds_read_b128 v[26:29], v26 offset:3584
	s_waitcnt lgkmcnt(0)
	v_mul_f64 v[30:31], v[24:25], v[28:29]
	v_mul_f64 v[28:29], v[22:23], v[28:29]
	v_fma_f64 v[22:23], v[22:23], v[26:27], -v[30:31]
	v_fma_f64 v[24:25], v[24:25], v[26:27], v[28:29]
	v_add_f64 v[10:11], v[10:11], v[22:23]
	v_add_f64 v[12:13], v[12:13], v[24:25]
.LBB85_395:
	s_or_b64 exec, exec, s[12:13]
.LBB85_396:
	s_or_b64 exec, exec, s[10:11]
	s_and_saveexec_b64 s[8:9], s[42:43]
; %bb.397:
	v_xor_b32_e32 v25, 0x80000000, v13
	v_xor_b32_e32 v23, 0x80000000, v11
	v_mov_b32_e32 v22, v10
	v_mov_b32_e32 v24, v12
	ds_write_b128 v20, v[22:25]
; %bb.398:
	s_or_b64 exec, exec, s[8:9]
	s_waitcnt lgkmcnt(0)
	s_barrier
	s_and_saveexec_b64 s[8:9], s[44:45]
	s_cbranch_execz .LBB85_400
; %bb.399:
	v_lshlrev_b32_e32 v26, 4, v18
	ds_read_b128 v[22:25], v20
	ds_read_b128 v[26:29], v26 offset:1536
	s_waitcnt lgkmcnt(0)
	v_mul_f64 v[30:31], v[24:25], v[28:29]
	v_mul_f64 v[28:29], v[22:23], v[28:29]
	v_fma_f64 v[22:23], v[22:23], v[26:27], -v[30:31]
	v_fma_f64 v[24:25], v[24:25], v[26:27], v[28:29]
	v_add_f64 v[10:11], v[10:11], -v[22:23]
	v_add_f64 v[12:13], v[12:13], -v[24:25]
.LBB85_400:
	s_or_b64 exec, exec, s[8:9]
	s_barrier
	s_and_saveexec_b64 s[8:9], s[46:47]
; %bb.401:
	v_xor_b32_e32 v25, 0x80000000, v13
	v_xor_b32_e32 v23, 0x80000000, v11
	v_mov_b32_e32 v22, v10
	v_mov_b32_e32 v24, v12
	ds_write_b128 v20, v[22:25]
; %bb.402:
	s_or_b64 exec, exec, s[8:9]
	s_waitcnt lgkmcnt(0)
	s_barrier
	s_and_saveexec_b64 s[8:9], s[48:49]
	s_cbranch_execz .LBB85_404
; %bb.403:
	v_lshlrev_b32_e32 v26, 4, v18
	ds_read_b128 v[22:25], v20
	ds_read_b128 v[26:29], v26 offset:1024
	s_waitcnt lgkmcnt(0)
	v_mul_f64 v[30:31], v[24:25], v[28:29]
	v_mul_f64 v[28:29], v[22:23], v[28:29]
	v_fma_f64 v[22:23], v[22:23], v[26:27], -v[30:31]
	v_fma_f64 v[24:25], v[24:25], v[26:27], v[28:29]
	v_add_f64 v[10:11], v[10:11], -v[22:23]
	v_add_f64 v[12:13], v[12:13], -v[24:25]
.LBB85_404:
	s_or_b64 exec, exec, s[8:9]
	s_barrier
	s_and_saveexec_b64 s[8:9], s[50:51]
; %bb.405:
	v_xor_b32_e32 v25, 0x80000000, v13
	v_xor_b32_e32 v23, 0x80000000, v11
	v_mov_b32_e32 v22, v10
	v_mov_b32_e32 v24, v12
	ds_write_b128 v20, v[22:25]
; %bb.406:
	s_or_b64 exec, exec, s[8:9]
	s_waitcnt lgkmcnt(0)
	s_barrier
	s_and_saveexec_b64 s[8:9], s[40:41]
	s_cbranch_execz .LBB85_408
; %bb.407:
	v_mov_b32_e32 v26, 0
	ds_read_b128 v[22:25], v20
	ds_read_b128 v[26:29], v26 offset:512
	s_waitcnt lgkmcnt(0)
	v_mul_f64 v[30:31], v[24:25], v[28:29]
	v_mul_f64 v[28:29], v[22:23], v[28:29]
	v_fma_f64 v[22:23], v[22:23], v[26:27], -v[30:31]
	v_fma_f64 v[24:25], v[24:25], v[26:27], v[28:29]
	v_add_f64 v[10:11], v[10:11], -v[22:23]
	v_add_f64 v[12:13], v[12:13], -v[24:25]
.LBB85_408:
	s_or_b64 exec, exec, s[8:9]
	s_barrier
	s_and_saveexec_b64 s[8:9], s[40:41]
; %bb.409:
	v_xor_b32_e32 v25, 0x80000000, v13
	v_xor_b32_e32 v23, 0x80000000, v11
	v_mov_b32_e32 v22, v10
	v_mov_b32_e32 v24, v12
	ds_write_b128 v20, v[22:25]
; %bb.410:
	s_or_b64 exec, exec, s[8:9]
	s_waitcnt lgkmcnt(0)
	s_barrier
	s_barrier
	s_and_saveexec_b64 s[8:9], s[2:3]
; %bb.411:
	v_lshlrev_b32_e32 v18, 4, v18
	v_lshl_or_b32 v18, v19, 9, v18
	ds_write_b128 v18, v[10:13] offset:2048
; %bb.412:
	s_or_b64 exec, exec, s[8:9]
	s_waitcnt lgkmcnt(0)
	s_barrier
	s_barrier
	s_and_saveexec_b64 s[2:3], vcc
	s_cbranch_execz .LBB85_414
; %bb.413:
	s_mov_b32 s8, 0
	s_mov_b32 s11, s8
	;; [unrolled: 1-line block ×4, first 2 shown]
	v_mov_b32_e32 v13, s11
	v_mov_b32_e32 v18, 0
	;; [unrolled: 1-line block ×5, first 2 shown]
	ds_write_b128 v18, v[10:13] offset:1056
	ds_write_b128 v18, v[10:13] offset:1584
.LBB85_414:
	s_or_b64 exec, exec, s[2:3]
	v_mov_b32_e32 v10, 0
	v_mov_b32_e32 v12, 0
	;; [unrolled: 1-line block ×4, first 2 shown]
	s_waitcnt lgkmcnt(0)
	s_barrier
	buffer_wbinvl1_vol
	s_and_saveexec_b64 s[8:9], s[0:1]
	s_cbranch_execz .LBB85_418
; %bb.415:
	v_lshlrev_b32_e32 v10, 9, v15
	v_lshlrev_b32_e32 v18, 4, v14
	ds_read_b128 v[10:13], v10 offset:1056
	ds_read_b128 v[22:25], v18 offset:1024
	v_cmp_gt_u32_e64 s[2:3], 2, v17
	s_waitcnt lgkmcnt(0)
	v_mul_f64 v[18:19], v[12:13], v[24:25]
	v_mul_f64 v[24:25], v[10:11], v[24:25]
	v_fma_f64 v[10:11], v[10:11], v[22:23], -v[18:19]
	v_fma_f64 v[12:13], v[12:13], v[22:23], v[24:25]
	v_add_f64 v[10:11], v[10:11], 0
	v_add_f64 v[12:13], v[12:13], 0
	s_and_saveexec_b64 s[10:11], s[2:3]
	s_cbranch_execz .LBB85_417
; %bb.416:
	v_lshlrev_b32_e32 v22, 4, v0
	v_mov_b32_e32 v17, 0
	ds_read_b128 v[17:20], v17 offset:1584
	ds_read_b128 v[22:25], v22 offset:1536
	s_waitcnt lgkmcnt(0)
	v_mul_f64 v[26:27], v[19:20], v[24:25]
	v_mul_f64 v[24:25], v[17:18], v[24:25]
	v_fma_f64 v[17:18], v[17:18], v[22:23], -v[26:27]
	v_fma_f64 v[19:20], v[19:20], v[22:23], v[24:25]
	v_add_f64 v[10:11], v[10:11], v[17:18]
	v_add_f64 v[12:13], v[12:13], v[19:20]
.LBB85_417:
	s_or_b64 exec, exec, s[10:11]
.LBB85_418:
	s_or_b64 exec, exec, s[8:9]
	s_and_saveexec_b64 s[2:3], s[38:39]
; %bb.419:
	v_xor_b32_e32 v18, 0x80000000, v11
	v_xor_b32_e32 v20, 0x80000000, v13
	v_mov_b32_e32 v17, v10
	v_mov_b32_e32 v19, v12
	ds_write_b128 v16, v[17:20]
; %bb.420:
	s_or_b64 exec, exec, s[2:3]
	s_waitcnt lgkmcnt(0)
	s_barrier
	s_and_saveexec_b64 s[2:3], s[36:37]
	s_cbranch_execz .LBB85_422
; %bb.421:
	v_mov_b32_e32 v22, 0
	ds_read_b128 v[17:20], v16
	ds_read_b128 v[22:25], v22 offset:512
	s_waitcnt lgkmcnt(0)
	v_mul_f64 v[26:27], v[17:18], v[22:23]
	v_mul_f64 v[17:18], v[17:18], v[24:25]
	v_fma_f64 v[24:25], v[19:20], v[24:25], -v[26:27]
	v_fma_f64 v[17:18], v[19:20], v[22:23], v[17:18]
	v_add_f64 v[10:11], v[10:11], v[24:25]
	v_add_f64 v[12:13], v[12:13], -v[17:18]
.LBB85_422:
	s_or_b64 exec, exec, s[2:3]
	s_barrier
	s_and_saveexec_b64 s[2:3], s[36:37]
; %bb.423:
	v_xor_b32_e32 v18, 0x80000000, v11
	v_xor_b32_e32 v20, 0x80000000, v13
	v_mov_b32_e32 v17, v10
	v_mov_b32_e32 v19, v12
	ds_write_b128 v16, v[17:20]
; %bb.424:
	s_or_b64 exec, exec, s[2:3]
	s_waitcnt lgkmcnt(0)
	s_barrier
	s_barrier
	s_and_saveexec_b64 s[2:3], s[0:1]
; %bb.425:
	v_lshlrev_b32_e32 v14, 4, v14
	v_lshl_or_b32 v14, v15, 9, v14
	ds_write_b128 v14, v[10:13] offset:1024
; %bb.426:
	s_or_b64 exec, exec, s[2:3]
	s_waitcnt lgkmcnt(0)
	s_barrier
	s_barrier
	s_and_saveexec_b64 s[0:1], vcc
	s_cbranch_execz .LBB85_428
; %bb.427:
	s_mov_b32 s8, 0
	s_mov_b32 s11, s8
	;; [unrolled: 1-line block ×4, first 2 shown]
	v_mov_b32_e32 v13, s11
	v_mov_b32_e32 v14, 0
	;; [unrolled: 1-line block ×5, first 2 shown]
	ds_write_b128 v14, v[10:13]
	ds_write_b128 v14, v[10:13] offset:528
.LBB85_428:
	s_or_b64 exec, exec, s[0:1]
.LBB85_429:
	s_load_dwordx4 s[12:15], s[4:5], 0x48
	s_load_dwordx2 s[36:37], s[4:5], 0x58
	v_cmp_le_i32_e32 vcc, s84, v0
	v_mov_b32_e32 v10, 0
	v_mov_b32_e32 v11, 0
	s_waitcnt lgkmcnt(0)
	s_mul_i32 s1, s15, s28
	s_mul_hi_u32 s2, s14, s28
	s_mul_i32 s0, s14, s28
	s_add_i32 s1, s2, s1
	s_lshl_b64 s[0:1], s[0:1], 4
	s_add_u32 s2, s24, s0
	s_addc_u32 s3, s25, s1
	s_lshl_b64 s[0:1], s[26:27], 4
	s_add_u32 s26, s2, s0
	s_addc_u32 s27, s3, s1
	s_and_b64 s[14:15], vcc, s[18:19]
	v_cmp_eq_u32_e64 s[0:1], 0, v1
	s_xor_b64 s[2:3], s[14:15], -1
	v_mov_b32_e32 v13, v11
	s_and_b64 s[4:5], s[0:1], s[2:3]
	v_lshl_add_u32 v15, s33, 5, v0
	v_mov_b32_e32 v12, v10
	s_barrier
	s_and_saveexec_b64 s[2:3], s[4:5]
	s_cbranch_execz .LBB85_431
; %bb.430:
	v_ashrrev_i32_e32 v12, 31, v15
	v_mul_lo_u32 v13, s13, v15
	v_mad_u64_u32 v[10:11], s[4:5], s12, v15, 0
	v_mul_lo_u32 v12, s12, v12
	v_add3_u32 v11, v11, v12, v13
	v_lshlrev_b64 v[10:11], 4, v[10:11]
	v_mov_b32_e32 v12, s27
	v_add_co_u32_e32 v10, vcc, s26, v10
	v_addc_co_u32_e32 v11, vcc, v12, v11, vcc
	global_load_dwordx4 v[16:19], v[10:11], off
	s_waitcnt vmcnt(0)
	v_mul_f64 v[10:11], s[20:21], v[16:17]
	v_mul_f64 v[12:13], s[20:21], v[18:19]
	v_fma_f64 v[10:11], s[22:23], v[18:19], -v[10:11]
	v_fma_f64 v[12:13], v[16:17], -s[22:23], -v[12:13]
.LBB85_431:
	s_or_b64 exec, exec, s[2:3]
	s_and_b32 s2, 0xffff, s87
	v_mad_u32_u24 v22, v1, s2, v0
	v_mov_b32_e32 v14, 0
	s_cmp_lt_i32 s6, 1
	v_cmp_eq_u32_e64 s[2:3], 0, v22
	s_cbranch_scc1 .LBB85_454
; %bb.432:
	v_ashrrev_i32_e32 v16, 31, v15
	v_cmp_gt_i32_e64 s[10:11], s30, v15
	v_lshlrev_b64 v[15:16], 4, v[15:16]
	s_lshl_b64 s[4:5], s[28:29], 2
	v_mov_b32_e32 v17, 0x6000
	s_add_u32 s20, s36, s4
	v_lshl_add_u32 v23, v22, 4, v17
	v_lshl_or_b32 v24, v1, 4, v17
	v_mov_b32_e32 v17, s86
	v_add_co_u32_e32 v25, vcc, s85, v15
	s_mov_b32 s38, 0
	s_addc_u32 s21, s37, s5
	v_cmp_gt_u32_e64 s[4:5], 32, v22
	s_add_i32 s39, s33, 1
	v_addc_co_u32_e32 v26, vcc, v17, v16, vcc
	s_lshl_b64 s[22:23], s[16:17], 8
	v_mov_b32_e32 v27, -1
	s_branch .LBB85_435
.LBB85_433:                             ;   in Loop: Header=BB85_435 Depth=1
	ds_read_b128 v[28:31], v24 offset:256
	s_waitcnt vmcnt(0) lgkmcnt(0)
	v_mul_f64 v[17:18], v[19:20], v[30:31]
	v_mul_f64 v[30:31], v[15:16], v[30:31]
	v_fma_f64 v[15:16], v[15:16], v[28:29], -v[17:18]
	v_fma_f64 v[17:18], v[19:20], v[28:29], v[30:31]
	v_add_f64 v[10:11], v[10:11], v[15:16]
	v_add_f64 v[12:13], v[12:13], v[17:18]
.LBB85_434:                             ;   in Loop: Header=BB85_435 Depth=1
	s_or_b64 exec, exec, s[24:25]
	s_add_i32 s38, s38, 1
	s_cmp_eq_u32 s38, s6
	s_cbranch_scc1 .LBB85_454
.LBB85_435:                             ; =>This Loop Header: Depth=1
                                        ;     Child Loop BB85_437 Depth 2
	v_cmp_gt_i32_e32 vcc, s38, v27
	s_and_b64 s[24:25], s[2:3], vcc
	s_and_saveexec_b64 s[8:9], s[24:25]
	s_cbranch_execz .LBB85_438
; %bb.436:                              ;   in Loop: Header=BB85_435 Depth=1
	global_load_dword v27, v14, s[20:21]
	s_waitcnt vmcnt(0)
	v_cmp_le_i32_e32 vcc, s38, v27
	s_cbranch_vccnz .LBB85_438
.LBB85_437:                             ;   Parent Loop BB85_435 Depth=1
                                        ; =>  This Inner Loop Header: Depth=2
	buffer_wbinvl1_vol
	global_load_dword v27, v14, s[20:21]
	s_waitcnt vmcnt(0)
	v_cmp_gt_i32_e32 vcc, s38, v27
	s_cbranch_vccnz .LBB85_437
.LBB85_438:                             ;   in Loop: Header=BB85_435 Depth=1
	s_or_b64 exec, exec, s[8:9]
	s_sub_i32 s40, s7, s38
	s_lshl_b32 s41, s40, 5
	buffer_wbinvl1_vol
	s_barrier
	s_and_saveexec_b64 s[8:9], s[4:5]
	s_cbranch_execz .LBB85_443
; %bb.439:                              ;   in Loop: Header=BB85_435 Depth=1
	s_ashr_i32 s24, s41, 31
	v_mov_b32_e32 v16, s24
	v_or_b32_e32 v15, s41, v22
	v_cmp_le_i64_e32 vcc, s[30:31], v[15:16]
	s_and_saveexec_b64 s[24:25], vcc
	s_xor_b64 s[24:25], exec, s[24:25]
; %bb.440:                              ;   in Loop: Header=BB85_435 Depth=1
	v_mov_b32_e32 v15, v14
	v_mov_b32_e32 v16, v14
	;; [unrolled: 1-line block ×3, first 2 shown]
	ds_write_b128 v23, v[14:17]
                                        ; implicit-def: $vgpr15_vgpr16
; %bb.441:                              ;   in Loop: Header=BB85_435 Depth=1
	s_andn2_saveexec_b64 s[24:25], s[24:25]
	s_cbranch_execz .LBB85_443
; %bb.442:                              ;   in Loop: Header=BB85_435 Depth=1
	v_mul_lo_u32 v17, v16, s12
	v_mul_lo_u32 v18, v15, s13
	v_mad_u64_u32 v[15:16], s[24:25], v15, s12, 0
	v_add3_u32 v16, v16, v18, v17
	v_lshlrev_b64 v[15:16], 4, v[15:16]
	v_mov_b32_e32 v17, s27
	v_add_co_u32_e32 v15, vcc, s26, v15
	v_addc_co_u32_e32 v16, vcc, v17, v16, vcc
	global_load_dwordx4 v[15:18], v[15:16], off
	s_waitcnt vmcnt(0)
	ds_write2_b64 v23, v[15:16], v[17:18] offset1:1
.LBB85_443:                             ;   in Loop: Header=BB85_435 Depth=1
	s_or_b64 exec, exec, s[8:9]
	v_add_u32_e32 v28, s41, v1
	v_ashrrev_i32_e32 v17, 31, v28
	v_mul_lo_u32 v18, s17, v28
	v_mad_u64_u32 v[15:16], s[8:9], s16, v28, 0
	v_mul_lo_u32 v17, s16, v17
	s_cmp_lg_u32 s40, s39
	s_cselect_b64 s[8:9], -1, 0
	s_waitcnt lgkmcnt(0)
	v_add3_u32 v16, v16, v17, v18
	v_lshlrev_b64 v[15:16], 4, v[15:16]
	v_cndmask_b32_e64 v17, 0, 1, s[8:9]
	v_add_co_u32_e32 v15, vcc, v25, v15
	v_addc_co_u32_e32 v16, vcc, v26, v16, vcc
	v_cmp_gt_i32_e32 vcc, s30, v28
	s_and_b64 s[40:41], s[10:11], vcc
	v_cmp_ne_u32_e64 s[8:9], 1, v17
	s_barrier
	s_and_saveexec_b64 s[24:25], s[40:41]
	s_cbranch_execz .LBB85_449
; %bb.444:                              ;   in Loop: Header=BB85_435 Depth=1
	v_mov_b32_e32 v18, v3
	s_and_b64 vcc, exec, s[8:9]
	v_mov_b32_e32 v17, v2
	s_cbranch_vccnz .LBB85_446
; %bb.445:                              ;   in Loop: Header=BB85_435 Depth=1
	global_load_dwordx2 v[17:18], v[15:16], off
.LBB85_446:                             ;   in Loop: Header=BB85_435 Depth=1
	v_mov_b32_e32 v20, v5
	s_and_b64 vcc, exec, s[8:9]
	v_mov_b32_e32 v19, v4
	s_cbranch_vccnz .LBB85_448
; %bb.447:                              ;   in Loop: Header=BB85_435 Depth=1
	global_load_dwordx2 v[19:20], v[15:16], off offset:8
.LBB85_448:                             ;   in Loop: Header=BB85_435 Depth=1
	ds_read_b128 v[29:32], v24
	s_waitcnt vmcnt(0) lgkmcnt(0)
	v_mul_f64 v[33:34], v[19:20], v[31:32]
	v_mul_f64 v[31:32], v[17:18], v[31:32]
	v_fma_f64 v[17:18], v[17:18], v[29:30], -v[33:34]
	v_fma_f64 v[19:20], v[19:20], v[29:30], v[31:32]
	v_add_f64 v[10:11], v[10:11], v[17:18]
	v_add_f64 v[12:13], v[12:13], v[19:20]
.LBB85_449:                             ;   in Loop: Header=BB85_435 Depth=1
	s_or_b64 exec, exec, s[24:25]
	v_add_u32_e32 v17, 16, v28
	v_cmp_gt_i32_e32 vcc, s30, v17
	s_and_b64 s[40:41], s[10:11], vcc
	s_and_saveexec_b64 s[24:25], s[40:41]
	s_cbranch_execz .LBB85_434
; %bb.450:                              ;   in Loop: Header=BB85_435 Depth=1
	v_mov_b32_e32 v18, s23
	v_add_co_u32_e32 v17, vcc, s22, v15
	v_addc_co_u32_e32 v18, vcc, v16, v18, vcc
	v_mov_b32_e32 v16, v7
	s_and_b64 vcc, exec, s[8:9]
	v_mov_b32_e32 v15, v6
	s_cbranch_vccnz .LBB85_452
; %bb.451:                              ;   in Loop: Header=BB85_435 Depth=1
	global_load_dwordx2 v[15:16], v[17:18], off
.LBB85_452:                             ;   in Loop: Header=BB85_435 Depth=1
	v_mov_b32_e32 v20, v9
	s_and_b64 vcc, exec, s[8:9]
	v_mov_b32_e32 v19, v8
	s_cbranch_vccnz .LBB85_433
; %bb.453:                              ;   in Loop: Header=BB85_435 Depth=1
	global_load_dwordx2 v[19:20], v[17:18], off offset:8
	s_branch .LBB85_433
.LBB85_454:
	s_xor_b64 s[2:3], s[18:19], -1
	s_xor_b64 s[4:5], s[34:35], -1
	v_lshlrev_b32_e32 v6, 4, v21
	ds_write_b128 v6, v[10:13] offset:16384
	s_waitcnt lgkmcnt(0)
	s_barrier
	s_and_saveexec_b64 s[6:7], s[0:1]
	s_cbranch_execz .LBB85_456
; %bb.455:
	v_lshlrev_b32_e32 v18, 4, v0
	ds_read_b128 v[2:5], v18 offset:16896
	ds_read_b128 v[14:17], v18 offset:17408
	s_waitcnt lgkmcnt(1)
	v_add_f64 v[2:3], v[10:11], v[2:3]
	v_add_f64 v[4:5], v[12:13], v[4:5]
	s_waitcnt lgkmcnt(0)
	v_add_f64 v[11:12], v[2:3], v[14:15]
	v_add_f64 v[13:14], v[4:5], v[16:17]
	ds_read_b128 v[2:5], v18 offset:17920
	ds_read_b128 v[7:10], v18 offset:18432
	s_waitcnt lgkmcnt(1)
	v_add_f64 v[2:3], v[11:12], v[2:3]
	v_add_f64 v[4:5], v[13:14], v[4:5]
	s_waitcnt lgkmcnt(0)
	v_add_f64 v[11:12], v[2:3], v[7:8]
	v_add_f64 v[13:14], v[4:5], v[9:10]
	;; [unrolled: 8-line block ×7, first 2 shown]
	ds_read_b128 v[2:5], v18 offset:24064
	s_waitcnt lgkmcnt(0)
	v_add_f64 v[2:3], v[7:8], v[2:3]
	v_add_f64 v[4:5], v[9:10], v[4:5]
	v_xor_b32_e32 v3, 0x80000000, v3
	v_xor_b32_e32 v5, 0x80000000, v5
	v_cndmask_b32_e64 v10, v2, 0, s[14:15]
	v_cndmask_b32_e64 v11, v3, 0, s[14:15]
	;; [unrolled: 1-line block ×4, first 2 shown]
.LBB85_456:
	s_or_b64 exec, exec, s[6:7]
	s_andn2_b64 vcc, exec, s[4:5]
	s_cbranch_vccnz .LBB85_465
; %bb.457:
	v_mov_b32_e32 v2, 0x6000
	v_lshl_or_b32 v7, v1, 4, v2
	s_and_saveexec_b64 s[4:5], s[0:1]
; %bb.458:
	v_lshl_add_u32 v2, v0, 4, v7
	ds_write_b128 v2, v[10:13]
; %bb.459:
	s_or_b64 exec, exec, s[4:5]
	v_mov_b32_e32 v2, 0
	v_mov_b32_e32 v4, 0
	;; [unrolled: 1-line block ×4, first 2 shown]
	v_cmp_le_u32_e32 vcc, v0, v1
	s_waitcnt lgkmcnt(0)
	s_barrier
	s_and_saveexec_b64 s[4:5], vcc
	s_cbranch_execz .LBB85_461
; %bb.460:
	ds_read_b128 v[2:5], v7
	ds_read_b128 v[14:17], v6
	s_waitcnt lgkmcnt(0)
	v_mul_f64 v[8:9], v[4:5], v[16:17]
	v_mul_f64 v[16:17], v[2:3], v[16:17]
	v_fma_f64 v[2:3], v[2:3], v[14:15], -v[8:9]
	v_fma_f64 v[4:5], v[4:5], v[14:15], v[16:17]
	v_add_f64 v[2:3], v[2:3], 0
	v_add_f64 v[4:5], v[4:5], 0
.LBB85_461:
	s_or_b64 exec, exec, s[4:5]
	v_add_u32_e32 v1, 16, v1
	v_add_u32_e32 v8, 0x4000, v6
	v_cmp_le_u32_e32 vcc, v0, v1
	s_and_saveexec_b64 s[4:5], vcc
	s_cbranch_execz .LBB85_463
; %bb.462:
	ds_read_b128 v[14:17], v7 offset:256
	ds_read_b128 v[18:21], v6 offset:8192
	s_waitcnt lgkmcnt(0)
	v_mul_f64 v[6:7], v[16:17], v[20:21]
	v_mul_f64 v[20:21], v[14:15], v[20:21]
	v_fma_f64 v[6:7], v[14:15], v[18:19], -v[6:7]
	v_fma_f64 v[14:15], v[16:17], v[18:19], v[20:21]
	v_add_f64 v[2:3], v[2:3], v[6:7]
	v_add_f64 v[4:5], v[4:5], v[14:15]
.LBB85_463:
	s_or_b64 exec, exec, s[4:5]
	s_mov_b64 s[6:7], 0
	s_mov_b64 s[4:5], 0
	ds_write_b128 v8, v[2:5]
	s_waitcnt lgkmcnt(0)
	s_barrier
                                        ; implicit-def: $vgpr6_vgpr7
                                        ; implicit-def: $vgpr8_vgpr9
	s_and_saveexec_b64 s[8:9], s[0:1]
	s_cbranch_execz .LBB85_483
; %bb.464:
	v_lshlrev_b32_e32 v18, 4, v0
	ds_read_b128 v[6:9], v18 offset:16896
	ds_read_b128 v[14:17], v18 offset:17408
	s_mov_b64 s[4:5], exec
	s_waitcnt lgkmcnt(1)
	v_add_f64 v[1:2], v[2:3], v[6:7]
	v_add_f64 v[3:4], v[4:5], v[8:9]
	s_waitcnt lgkmcnt(0)
	v_add_f64 v[14:15], v[1:2], v[14:15]
	v_add_f64 v[16:17], v[3:4], v[16:17]
	ds_read_b128 v[1:4], v18 offset:17920
	ds_read_b128 v[5:8], v18 offset:18432
	s_waitcnt lgkmcnt(1)
	v_add_f64 v[1:2], v[14:15], v[1:2]
	v_add_f64 v[3:4], v[16:17], v[3:4]
	s_waitcnt lgkmcnt(0)
	v_add_f64 v[14:15], v[1:2], v[5:6]
	v_add_f64 v[16:17], v[3:4], v[7:8]
	ds_read_b128 v[1:4], v18 offset:18944
	ds_read_b128 v[5:8], v18 offset:19456
	;; [unrolled: 8-line block ×6, first 2 shown]
	s_waitcnt lgkmcnt(1)
	v_add_f64 v[1:2], v[14:15], v[1:2]
	v_add_f64 v[3:4], v[16:17], v[3:4]
	s_waitcnt lgkmcnt(0)
	v_add_f64 v[5:6], v[1:2], v[5:6]
	v_add_f64 v[14:15], v[3:4], v[7:8]
	ds_read_b128 v[1:4], v18 offset:24064
	s_waitcnt lgkmcnt(0)
	v_add_f64 v[8:9], v[5:6], v[1:2]
	v_add_f64 v[6:7], v[14:15], v[3:4]
	s_or_b64 exec, exec, s[8:9]
	s_and_b64 vcc, exec, s[6:7]
	s_cbranch_vccnz .LBB85_466
	s_branch .LBB85_484
.LBB85_465:
	s_mov_b64 s[4:5], 0
                                        ; implicit-def: $vgpr6_vgpr7
                                        ; implicit-def: $vgpr8_vgpr9
	s_cbranch_execz .LBB85_484
.LBB85_466:
	v_mov_b32_e32 v1, 0x3c00
	v_lshl_add_u32 v1, v0, 4, v1
	v_mov_b32_e32 v3, 31
	v_mov_b32_e32 v2, 0
	s_branch .LBB85_468
.LBB85_467:                             ;   in Loop: Header=BB85_468 Depth=1
	s_or_b64 exec, exec, s[6:7]
	v_subrev_co_u32_e32 v3, vcc, 1, v3
	s_andn2_b64 vcc, exec, vcc
	v_add_u32_e32 v1, 0xfffffc00, v1
	s_barrier
	s_cbranch_vccz .LBB85_476
.LBB85_468:                             ; =>This Inner Loop Header: Depth=1
	v_cmp_eq_u32_e32 vcc, v0, v3
	s_and_b64 s[8:9], s[0:1], vcc
	s_and_saveexec_b64 s[6:7], s[8:9]
; %bb.469:                              ;   in Loop: Header=BB85_468 Depth=1
	ds_write_b128 v2, v[10:13] offset:25088
; %bb.470:                              ;   in Loop: Header=BB85_468 Depth=1
	s_or_b64 exec, exec, s[6:7]
	v_cmp_lt_u32_e32 vcc, v0, v3
	s_and_b64 s[8:9], s[0:1], vcc
	s_waitcnt lgkmcnt(0)
	s_barrier
	s_and_saveexec_b64 s[6:7], s[8:9]
	s_cbranch_execz .LBB85_472
; %bb.471:                              ;   in Loop: Header=BB85_468 Depth=1
	ds_read_b128 v[4:7], v2 offset:25088
	ds_read_b128 v[14:17], v1 offset:512
	s_waitcnt lgkmcnt(0)
	v_mul_f64 v[8:9], v[6:7], v[16:17]
	v_mul_f64 v[16:17], v[4:5], v[16:17]
	v_fma_f64 v[4:5], v[4:5], v[14:15], -v[8:9]
	v_fma_f64 v[6:7], v[6:7], v[14:15], v[16:17]
	v_add_f64 v[10:11], v[10:11], v[4:5]
	v_add_f64 v[12:13], v[12:13], v[6:7]
.LBB85_472:                             ;   in Loop: Header=BB85_468 Depth=1
	s_or_b64 exec, exec, s[6:7]
	v_add_u32_e32 v3, -1, v3
	v_cmp_eq_u32_e32 vcc, v0, v3
	s_and_b64 s[8:9], s[0:1], vcc
	s_barrier
	s_and_saveexec_b64 s[6:7], s[8:9]
; %bb.473:                              ;   in Loop: Header=BB85_468 Depth=1
	ds_write_b128 v2, v[10:13] offset:25088
; %bb.474:                              ;   in Loop: Header=BB85_468 Depth=1
	s_or_b64 exec, exec, s[6:7]
	v_cmp_lt_u32_e32 vcc, v0, v3
	s_and_b64 s[8:9], s[0:1], vcc
	s_waitcnt lgkmcnt(0)
	s_barrier
	s_and_saveexec_b64 s[6:7], s[8:9]
	s_cbranch_execz .LBB85_467
; %bb.475:                              ;   in Loop: Header=BB85_468 Depth=1
	ds_read_b128 v[4:7], v2 offset:25088
	ds_read_b128 v[14:17], v1
	s_waitcnt lgkmcnt(0)
	v_mul_f64 v[8:9], v[6:7], v[16:17]
	v_mul_f64 v[16:17], v[4:5], v[16:17]
	v_fma_f64 v[4:5], v[4:5], v[14:15], -v[8:9]
	v_fma_f64 v[6:7], v[6:7], v[14:15], v[16:17]
	v_add_f64 v[10:11], v[10:11], v[4:5]
	v_add_f64 v[12:13], v[12:13], v[6:7]
	s_branch .LBB85_467
.LBB85_476:
	s_mov_b64 s[6:7], -1
	s_and_b64 vcc, exec, s[2:3]
	s_cbranch_vccnz .LBB85_485
; %bb.477:
	s_andn2_b64 vcc, exec, s[6:7]
	s_cbranch_vccz .LBB85_486
.LBB85_478:
	s_and_saveexec_b64 s[0:1], s[4:5]
	s_cbranch_execz .LBB85_480
.LBB85_479:
	s_lshl_b32 s2, s33, 5
	s_ashr_i32 s3, s2, 31
	v_mov_b32_e32 v0, s3
	v_add_co_u32_e32 v1, vcc, s2, v22
	v_addc_co_u32_e32 v0, vcc, 0, v0, vcc
	v_mul_lo_u32 v2, v0, s12
	v_mul_lo_u32 v3, v1, s13
	v_mad_u64_u32 v[0:1], s[2:3], v1, s12, 0
	v_add3_u32 v1, v1, v3, v2
	v_lshlrev_b64 v[0:1], 4, v[0:1]
	v_mov_b32_e32 v2, s27
	v_add_co_u32_e32 v0, vcc, s26, v0
	v_addc_co_u32_e32 v1, vcc, v2, v1, vcc
	global_store_dwordx4 v[0:1], v[10:13], off
.LBB85_480:
	s_or_b64 exec, exec, s[0:1]
	v_cmp_eq_u32_e32 vcc, 0, v22
	s_waitcnt vmcnt(0)
	buffer_wbinvl1_vol
	s_barrier
	s_and_saveexec_b64 s[0:1], vcc
	s_cbranch_execz .LBB85_482
; %bb.481:
	s_lshl_b64 s[2:3], s[28:29], 2
	s_add_u32 s2, s36, s2
	s_addc_u32 s3, s37, s3
	v_mov_b32_e32 v0, 0
	global_load_dword v1, v0, s[2:3]
	s_waitcnt vmcnt(0)
	v_add_u32_e32 v1, 1, v1
	global_store_dword v0, v1, s[2:3]
.LBB85_482:
	s_or_b64 exec, exec, s[0:1]
	s_waitcnt vmcnt(0)
	buffer_wbinvl1_vol
	s_endpgm
.LBB85_483:
	s_or_b64 exec, exec, s[8:9]
	s_and_b64 vcc, exec, s[6:7]
	s_cbranch_vccnz .LBB85_466
.LBB85_484:
	v_mov_b32_e32 v13, v7
	v_mov_b32_e32 v11, v9
	;; [unrolled: 1-line block ×4, first 2 shown]
	s_and_saveexec_b64 s[0:1], s[4:5]
	s_cbranch_execnz .LBB85_479
	s_branch .LBB85_480
.LBB85_485:
	s_andn2_b64 s[2:3], s[4:5], exec
	s_and_b64 s[4:5], s[0:1], exec
	s_or_b64 s[4:5], s[2:3], s[4:5]
	s_cbranch_execnz .LBB85_478
.LBB85_486:
	v_cmp_gt_i32_e32 vcc, s84, v0
	s_and_b64 s[0:1], s[0:1], vcc
	s_andn2_b64 s[2:3], s[4:5], exec
	s_and_b64 s[0:1], s[0:1], exec
	s_or_b64 s[4:5], s[2:3], s[0:1]
	s_and_saveexec_b64 s[0:1], s[4:5]
	s_cbranch_execnz .LBB85_479
	s_branch .LBB85_480
.LBB85_487:
	ds_read_b128 v[24:27], v23 offset:14800
	ds_read_b128 v[28:31], v22 offset:15232
	s_waitcnt lgkmcnt(0)
	v_mul_f64 v[32:33], v[26:27], v[30:31]
	v_mul_f64 v[30:31], v[24:25], v[30:31]
	v_fma_f64 v[24:25], v[24:25], v[28:29], -v[32:33]
	v_fma_f64 v[26:27], v[26:27], v[28:29], v[30:31]
	v_add_f64 v[10:11], v[10:11], v[24:25]
	v_add_f64 v[12:13], v[12:13], v[26:27]
	s_or_b64 exec, exec, s[14:15]
	v_cmp_gt_u32_e64 s[10:11], 8, v17
	s_and_saveexec_b64 s[14:15], s[10:11]
	s_cbranch_execz .LBB85_55
.LBB85_488:
	ds_read_b128 v[23:26], v23 offset:14816
	ds_read_b128 v[27:30], v22 offset:15744
	s_waitcnt lgkmcnt(0)
	v_mul_f64 v[31:32], v[25:26], v[29:30]
	v_mul_f64 v[29:30], v[23:24], v[29:30]
	v_fma_f64 v[22:23], v[23:24], v[27:28], -v[31:32]
	v_fma_f64 v[24:25], v[25:26], v[27:28], v[29:30]
	v_add_f64 v[10:11], v[10:11], v[22:23]
	v_add_f64 v[12:13], v[12:13], v[24:25]
	s_or_b64 exec, exec, s[14:15]
	v_cmp_gt_u32_e64 s[10:11], 4, v17
	s_and_saveexec_b64 s[14:15], s[10:11]
	s_cbranch_execnz .LBB85_56
	s_branch .LBB85_57
.LBB85_489:
	ds_read_b128 v[27:30], v26 offset:12688
	ds_read_b128 v[31:34], v25 offset:13056
	s_waitcnt lgkmcnt(0)
	v_mul_f64 v[35:36], v[29:30], v[33:34]
	v_mul_f64 v[33:34], v[27:28], v[33:34]
	v_fma_f64 v[27:28], v[27:28], v[31:32], -v[35:36]
	v_fma_f64 v[29:30], v[29:30], v[31:32], v[33:34]
	v_add_f64 v[10:11], v[10:11], v[27:28]
	v_add_f64 v[12:13], v[12:13], v[29:30]
	s_or_b64 exec, exec, s[52:53]
	v_cmp_gt_u32_e64 s[10:11], 48, v17
	s_and_saveexec_b64 s[52:53], s[10:11]
	s_cbranch_execz .LBB85_93
.LBB85_490:
	ds_read_b128 v[27:30], v26 offset:12704
	ds_read_b128 v[31:34], v25 offset:13568
	s_waitcnt lgkmcnt(0)
	v_mul_f64 v[35:36], v[29:30], v[33:34]
	v_mul_f64 v[33:34], v[27:28], v[33:34]
	v_fma_f64 v[27:28], v[27:28], v[31:32], -v[35:36]
	v_fma_f64 v[29:30], v[29:30], v[31:32], v[33:34]
	v_add_f64 v[10:11], v[10:11], v[27:28]
	v_add_f64 v[12:13], v[12:13], v[29:30]
	s_or_b64 exec, exec, s[52:53]
	v_cmp_gt_u32_e64 s[10:11], 40, v17
	s_and_saveexec_b64 s[52:53], s[10:11]
	s_cbranch_execz .LBB85_94
.LBB85_491:
	ds_read_b128 v[27:30], v26 offset:12720
	ds_read_b128 v[31:34], v25 offset:14080
	s_waitcnt lgkmcnt(0)
	v_mul_f64 v[35:36], v[29:30], v[33:34]
	v_mul_f64 v[33:34], v[27:28], v[33:34]
	v_fma_f64 v[27:28], v[27:28], v[31:32], -v[35:36]
	v_fma_f64 v[29:30], v[29:30], v[31:32], v[33:34]
	v_add_f64 v[10:11], v[10:11], v[27:28]
	v_add_f64 v[12:13], v[12:13], v[29:30]
	s_or_b64 exec, exec, s[52:53]
	v_cmp_gt_u32_e64 s[10:11], 32, v17
	s_and_saveexec_b64 s[52:53], s[10:11]
	s_cbranch_execz .LBB85_95
.LBB85_492:
	ds_read_b128 v[27:30], v26 offset:12736
	ds_read_b128 v[31:34], v25 offset:14592
	s_waitcnt lgkmcnt(0)
	v_mul_f64 v[35:36], v[29:30], v[33:34]
	v_mul_f64 v[33:34], v[27:28], v[33:34]
	v_fma_f64 v[27:28], v[27:28], v[31:32], -v[35:36]
	v_fma_f64 v[29:30], v[29:30], v[31:32], v[33:34]
	v_add_f64 v[10:11], v[10:11], v[27:28]
	v_add_f64 v[12:13], v[12:13], v[29:30]
	s_or_b64 exec, exec, s[52:53]
	v_cmp_gt_u32_e64 s[10:11], 24, v17
	s_and_saveexec_b64 s[52:53], s[10:11]
	s_cbranch_execz .LBB85_96
.LBB85_493:
	ds_read_b128 v[27:30], v26 offset:12752
	ds_read_b128 v[31:34], v25 offset:15104
	s_waitcnt lgkmcnt(0)
	v_mul_f64 v[35:36], v[29:30], v[33:34]
	v_mul_f64 v[33:34], v[27:28], v[33:34]
	v_fma_f64 v[27:28], v[27:28], v[31:32], -v[35:36]
	v_fma_f64 v[29:30], v[29:30], v[31:32], v[33:34]
	v_add_f64 v[10:11], v[10:11], v[27:28]
	v_add_f64 v[12:13], v[12:13], v[29:30]
	s_or_b64 exec, exec, s[52:53]
	s_and_saveexec_b64 s[10:11], s[2:3]
	s_cbranch_execz .LBB85_97
.LBB85_494:
	ds_read_b128 v[26:29], v26 offset:12768
	ds_read_b128 v[30:33], v25 offset:15616
	s_waitcnt lgkmcnt(0)
	v_mul_f64 v[34:35], v[28:29], v[32:33]
	v_mul_f64 v[32:33], v[26:27], v[32:33]
	v_fma_f64 v[25:26], v[26:27], v[30:31], -v[34:35]
	v_fma_f64 v[27:28], v[28:29], v[30:31], v[32:33]
	v_add_f64 v[10:11], v[10:11], v[25:26]
	v_add_f64 v[12:13], v[12:13], v[27:28]
	s_or_b64 exec, exec, s[10:11]
	v_cmp_gt_u32_e64 s[10:11], 8, v17
	s_and_saveexec_b64 s[52:53], s[10:11]
	s_cbranch_execnz .LBB85_98
	s_branch .LBB85_99
.LBB85_495:
	ds_read_b128 v[27:30], v26 offset:10576
	ds_read_b128 v[31:34], v25 offset:11008
	s_waitcnt lgkmcnt(0)
	v_mul_f64 v[35:36], v[29:30], v[33:34]
	v_mul_f64 v[33:34], v[27:28], v[33:34]
	v_fma_f64 v[27:28], v[27:28], v[31:32], -v[35:36]
	v_fma_f64 v[29:30], v[29:30], v[31:32], v[33:34]
	v_add_f64 v[10:11], v[10:11], v[27:28]
	v_add_f64 v[12:13], v[12:13], v[29:30]
	s_or_b64 exec, exec, s[14:15]
	v_cmp_gt_u32_e64 s[8:9], 8, v17
	s_and_saveexec_b64 s[14:15], s[8:9]
	s_cbranch_execz .LBB85_151
.LBB85_496:
	ds_read_b128 v[26:29], v26 offset:10592
	ds_read_b128 v[30:33], v25 offset:11520
	s_waitcnt lgkmcnt(0)
	v_mul_f64 v[34:35], v[28:29], v[32:33]
	v_mul_f64 v[32:33], v[26:27], v[32:33]
	v_fma_f64 v[25:26], v[26:27], v[30:31], -v[34:35]
	v_fma_f64 v[27:28], v[28:29], v[30:31], v[32:33]
	v_add_f64 v[10:11], v[10:11], v[25:26]
	v_add_f64 v[12:13], v[12:13], v[27:28]
	s_or_b64 exec, exec, s[14:15]
	v_cmp_gt_u32_e64 s[8:9], 4, v17
	s_and_saveexec_b64 s[14:15], s[8:9]
	s_cbranch_execnz .LBB85_152
	s_branch .LBB85_153
.LBB85_497:
	ds_read_b128 v[30:33], v29 offset:8624
	ds_read_b128 v[34:37], v28 offset:13824
	s_waitcnt lgkmcnt(0)
	v_mul_f64 v[38:39], v[32:33], v[36:37]
	v_mul_f64 v[36:37], v[30:31], v[36:37]
	v_fma_f64 v[30:31], v[30:31], v[34:35], -v[38:39]
	v_fma_f64 v[32:33], v[32:33], v[34:35], v[36:37]
	v_add_f64 v[10:11], v[10:11], v[30:31]
	v_add_f64 v[12:13], v[12:13], v[32:33]
	s_or_b64 exec, exec, s[82:83]
	s_and_saveexec_b64 s[14:15], s[12:13]
	s_cbranch_execz .LBB85_209
.LBB85_498:
	ds_read_b128 v[30:33], v29 offset:8640
	ds_read_b128 v[34:37], v28 offset:14336
	s_waitcnt lgkmcnt(0)
	v_mul_f64 v[38:39], v[32:33], v[36:37]
	v_mul_f64 v[36:37], v[30:31], v[36:37]
	v_fma_f64 v[30:31], v[30:31], v[34:35], -v[38:39]
	v_fma_f64 v[32:33], v[32:33], v[34:35], v[36:37]
	v_add_f64 v[10:11], v[10:11], v[30:31]
	v_add_f64 v[12:13], v[12:13], v[32:33]
	s_or_b64 exec, exec, s[14:15]
	v_cmp_gt_u32_e64 s[14:15], 48, v17
	s_and_saveexec_b64 s[82:83], s[14:15]
	s_cbranch_execz .LBB85_210
.LBB85_499:
	ds_read_b128 v[30:33], v29 offset:8656
	ds_read_b128 v[34:37], v28 offset:14848
	s_waitcnt lgkmcnt(0)
	v_mul_f64 v[38:39], v[32:33], v[36:37]
	v_mul_f64 v[36:37], v[30:31], v[36:37]
	v_fma_f64 v[30:31], v[30:31], v[34:35], -v[38:39]
	v_fma_f64 v[32:33], v[32:33], v[34:35], v[36:37]
	v_add_f64 v[10:11], v[10:11], v[30:31]
	v_add_f64 v[12:13], v[12:13], v[32:33]
	s_or_b64 exec, exec, s[82:83]
	v_cmp_gt_u32_e64 s[14:15], 32, v17
	s_and_saveexec_b64 s[82:83], s[14:15]
	s_cbranch_execz .LBB85_211
.LBB85_500:
	ds_read_b128 v[29:32], v29 offset:8672
	ds_read_b128 v[33:36], v28 offset:15360
	s_waitcnt lgkmcnt(0)
	v_mul_f64 v[37:38], v[31:32], v[35:36]
	v_mul_f64 v[35:36], v[29:30], v[35:36]
	v_fma_f64 v[28:29], v[29:30], v[33:34], -v[37:38]
	v_fma_f64 v[30:31], v[31:32], v[33:34], v[35:36]
	v_add_f64 v[10:11], v[10:11], v[28:29]
	v_add_f64 v[12:13], v[12:13], v[30:31]
	s_or_b64 exec, exec, s[82:83]
	v_cmp_gt_u32_e64 s[14:15], 16, v17
	s_and_saveexec_b64 s[82:83], s[14:15]
	s_cbranch_execnz .LBB85_212
	s_branch .LBB85_213
.LBB85_501:
	ds_read_b128 v[27:30], v26 offset:6352
	ds_read_b128 v[31:34], v25 offset:6784
	s_waitcnt lgkmcnt(0)
	v_mul_f64 v[35:36], v[29:30], v[33:34]
	v_mul_f64 v[33:34], v[27:28], v[33:34]
	v_fma_f64 v[27:28], v[27:28], v[31:32], -v[35:36]
	v_fma_f64 v[29:30], v[29:30], v[31:32], v[33:34]
	v_add_f64 v[10:11], v[10:11], v[27:28]
	v_add_f64 v[12:13], v[12:13], v[29:30]
	s_or_b64 exec, exec, s[14:15]
	v_cmp_gt_u32_e64 s[8:9], 8, v17
	s_and_saveexec_b64 s[14:15], s[8:9]
	s_cbranch_execz .LBB85_297
.LBB85_502:
	ds_read_b128 v[26:29], v26 offset:6368
	ds_read_b128 v[30:33], v25 offset:7296
	s_waitcnt lgkmcnt(0)
	v_mul_f64 v[34:35], v[28:29], v[32:33]
	v_mul_f64 v[32:33], v[26:27], v[32:33]
	v_fma_f64 v[25:26], v[26:27], v[30:31], -v[34:35]
	v_fma_f64 v[27:28], v[28:29], v[30:31], v[32:33]
	v_add_f64 v[10:11], v[10:11], v[25:26]
	v_add_f64 v[12:13], v[12:13], v[27:28]
	s_or_b64 exec, exec, s[14:15]
	v_cmp_gt_u32_e64 s[8:9], 4, v17
	s_and_saveexec_b64 s[14:15], s[8:9]
	s_cbranch_execnz .LBB85_298
	s_branch .LBB85_299
.LBB85_503:
	ds_read_b128 v[27:30], v26 offset:4240
	ds_read_b128 v[31:34], v25 offset:4608
	s_waitcnt lgkmcnt(0)
	v_mul_f64 v[35:36], v[29:30], v[33:34]
	v_mul_f64 v[33:34], v[27:28], v[33:34]
	v_fma_f64 v[27:28], v[27:28], v[31:32], -v[35:36]
	v_fma_f64 v[29:30], v[29:30], v[31:32], v[33:34]
	v_add_f64 v[10:11], v[10:11], v[27:28]
	v_add_f64 v[12:13], v[12:13], v[29:30]
	s_or_b64 exec, exec, s[14:15]
	v_cmp_gt_u32_e64 s[8:9], 48, v17
	s_and_saveexec_b64 s[14:15], s[8:9]
	s_cbranch_execz .LBB85_335
.LBB85_504:
	ds_read_b128 v[27:30], v26 offset:4256
	ds_read_b128 v[31:34], v25 offset:5120
	s_waitcnt lgkmcnt(0)
	v_mul_f64 v[35:36], v[29:30], v[33:34]
	v_mul_f64 v[33:34], v[27:28], v[33:34]
	v_fma_f64 v[27:28], v[27:28], v[31:32], -v[35:36]
	v_fma_f64 v[29:30], v[29:30], v[31:32], v[33:34]
	v_add_f64 v[10:11], v[10:11], v[27:28]
	v_add_f64 v[12:13], v[12:13], v[29:30]
	s_or_b64 exec, exec, s[14:15]
	v_cmp_gt_u32_e64 s[8:9], 40, v17
	s_and_saveexec_b64 s[14:15], s[8:9]
	s_cbranch_execz .LBB85_336
.LBB85_505:
	ds_read_b128 v[27:30], v26 offset:4272
	ds_read_b128 v[31:34], v25 offset:5632
	s_waitcnt lgkmcnt(0)
	v_mul_f64 v[35:36], v[29:30], v[33:34]
	v_mul_f64 v[33:34], v[27:28], v[33:34]
	v_fma_f64 v[27:28], v[27:28], v[31:32], -v[35:36]
	v_fma_f64 v[29:30], v[29:30], v[31:32], v[33:34]
	v_add_f64 v[10:11], v[10:11], v[27:28]
	v_add_f64 v[12:13], v[12:13], v[29:30]
	s_or_b64 exec, exec, s[14:15]
	v_cmp_gt_u32_e64 s[8:9], 32, v17
	s_and_saveexec_b64 s[14:15], s[8:9]
	s_cbranch_execz .LBB85_337
.LBB85_506:
	ds_read_b128 v[27:30], v26 offset:4288
	ds_read_b128 v[31:34], v25 offset:6144
	s_waitcnt lgkmcnt(0)
	v_mul_f64 v[35:36], v[29:30], v[33:34]
	v_mul_f64 v[33:34], v[27:28], v[33:34]
	v_fma_f64 v[27:28], v[27:28], v[31:32], -v[35:36]
	v_fma_f64 v[29:30], v[29:30], v[31:32], v[33:34]
	v_add_f64 v[10:11], v[10:11], v[27:28]
	v_add_f64 v[12:13], v[12:13], v[29:30]
	s_or_b64 exec, exec, s[14:15]
	v_cmp_gt_u32_e64 s[8:9], 24, v17
	s_and_saveexec_b64 s[14:15], s[8:9]
	s_cbranch_execz .LBB85_338
.LBB85_507:
	ds_read_b128 v[27:30], v26 offset:4304
	ds_read_b128 v[31:34], v25 offset:6656
	s_waitcnt lgkmcnt(0)
	v_mul_f64 v[35:36], v[29:30], v[33:34]
	v_mul_f64 v[33:34], v[27:28], v[33:34]
	v_fma_f64 v[27:28], v[27:28], v[31:32], -v[35:36]
	v_fma_f64 v[29:30], v[29:30], v[31:32], v[33:34]
	v_add_f64 v[10:11], v[10:11], v[27:28]
	v_add_f64 v[12:13], v[12:13], v[29:30]
	s_or_b64 exec, exec, s[14:15]
	s_and_saveexec_b64 s[8:9], s[2:3]
	s_cbranch_execz .LBB85_339
.LBB85_508:
	ds_read_b128 v[26:29], v26 offset:4320
	ds_read_b128 v[30:33], v25 offset:7168
	s_waitcnt lgkmcnt(0)
	v_mul_f64 v[34:35], v[28:29], v[32:33]
	v_mul_f64 v[32:33], v[26:27], v[32:33]
	v_fma_f64 v[25:26], v[26:27], v[30:31], -v[34:35]
	v_fma_f64 v[27:28], v[28:29], v[30:31], v[32:33]
	v_add_f64 v[10:11], v[10:11], v[25:26]
	v_add_f64 v[12:13], v[12:13], v[27:28]
	s_or_b64 exec, exec, s[8:9]
	v_cmp_gt_u32_e64 s[8:9], 8, v17
	s_and_saveexec_b64 s[14:15], s[8:9]
	s_cbranch_execnz .LBB85_340
	s_branch .LBB85_341
.LBB85_509:
	ds_read_b128 v[24:27], v23 offset:2128
	ds_read_b128 v[28:31], v22 offset:2560
	s_waitcnt lgkmcnt(0)
	v_mul_f64 v[32:33], v[26:27], v[30:31]
	v_mul_f64 v[30:31], v[24:25], v[30:31]
	v_fma_f64 v[24:25], v[24:25], v[28:29], -v[32:33]
	v_fma_f64 v[26:27], v[26:27], v[28:29], v[30:31]
	v_add_f64 v[10:11], v[10:11], v[24:25]
	v_add_f64 v[12:13], v[12:13], v[26:27]
	s_or_b64 exec, exec, s[12:13]
	v_cmp_gt_u32_e64 s[8:9], 8, v17
	s_and_saveexec_b64 s[12:13], s[8:9]
	s_cbranch_execz .LBB85_393
.LBB85_510:
	ds_read_b128 v[23:26], v23 offset:2144
	ds_read_b128 v[27:30], v22 offset:3072
	s_waitcnt lgkmcnt(0)
	v_mul_f64 v[31:32], v[25:26], v[29:30]
	v_mul_f64 v[29:30], v[23:24], v[29:30]
	v_fma_f64 v[22:23], v[23:24], v[27:28], -v[31:32]
	v_fma_f64 v[24:25], v[25:26], v[27:28], v[29:30]
	v_add_f64 v[10:11], v[10:11], v[22:23]
	v_add_f64 v[12:13], v[12:13], v[24:25]
	s_or_b64 exec, exec, s[12:13]
	v_cmp_gt_u32_e64 s[8:9], 4, v17
	s_and_saveexec_b64 s[12:13], s[8:9]
	s_cbranch_execnz .LBB85_394
	s_branch .LBB85_395
	.section	.rodata,"a",@progbits
	.p2align	6, 0x0
	.amdhsa_kernel _ZL19rocblas_trsv_deviceILi32ELi16ELb0ELb0ELb0ELb1E19rocblas_complex_numIdES1_PKS1_PS1_EviT7_lllT6_T8_lllPii
		.amdhsa_group_segment_fixed_size 25104
		.amdhsa_private_segment_fixed_size 0
		.amdhsa_kernarg_size 360
		.amdhsa_user_sgpr_count 6
		.amdhsa_user_sgpr_private_segment_buffer 1
		.amdhsa_user_sgpr_dispatch_ptr 0
		.amdhsa_user_sgpr_queue_ptr 0
		.amdhsa_user_sgpr_kernarg_segment_ptr 1
		.amdhsa_user_sgpr_dispatch_id 0
		.amdhsa_user_sgpr_flat_scratch_init 0
		.amdhsa_user_sgpr_private_segment_size 0
		.amdhsa_uses_dynamic_stack 0
		.amdhsa_system_sgpr_private_segment_wavefront_offset 0
		.amdhsa_system_sgpr_workgroup_id_x 1
		.amdhsa_system_sgpr_workgroup_id_y 0
		.amdhsa_system_sgpr_workgroup_id_z 1
		.amdhsa_system_sgpr_workgroup_info 0
		.amdhsa_system_vgpr_workitem_id 1
		.amdhsa_next_free_vgpr 49
		.amdhsa_next_free_sgpr 98
		.amdhsa_reserve_vcc 1
		.amdhsa_reserve_flat_scratch 0
		.amdhsa_float_round_mode_32 0
		.amdhsa_float_round_mode_16_64 0
		.amdhsa_float_denorm_mode_32 3
		.amdhsa_float_denorm_mode_16_64 3
		.amdhsa_dx10_clamp 1
		.amdhsa_ieee_mode 1
		.amdhsa_fp16_overflow 0
		.amdhsa_exception_fp_ieee_invalid_op 0
		.amdhsa_exception_fp_denorm_src 0
		.amdhsa_exception_fp_ieee_div_zero 0
		.amdhsa_exception_fp_ieee_overflow 0
		.amdhsa_exception_fp_ieee_underflow 0
		.amdhsa_exception_fp_ieee_inexact 0
		.amdhsa_exception_int_div_zero 0
	.end_amdhsa_kernel
	.section	.text._ZL19rocblas_trsv_deviceILi32ELi16ELb0ELb0ELb0ELb1E19rocblas_complex_numIdES1_PKS1_PS1_EviT7_lllT6_T8_lllPii,"axG",@progbits,_ZL19rocblas_trsv_deviceILi32ELi16ELb0ELb0ELb0ELb1E19rocblas_complex_numIdES1_PKS1_PS1_EviT7_lllT6_T8_lllPii,comdat
.Lfunc_end85:
	.size	_ZL19rocblas_trsv_deviceILi32ELi16ELb0ELb0ELb0ELb1E19rocblas_complex_numIdES1_PKS1_PS1_EviT7_lllT6_T8_lllPii, .Lfunc_end85-_ZL19rocblas_trsv_deviceILi32ELi16ELb0ELb0ELb0ELb1E19rocblas_complex_numIdES1_PKS1_PS1_EviT7_lllT6_T8_lllPii
                                        ; -- End function
	.set _ZL19rocblas_trsv_deviceILi32ELi16ELb0ELb0ELb0ELb1E19rocblas_complex_numIdES1_PKS1_PS1_EviT7_lllT6_T8_lllPii.num_vgpr, 40
	.set _ZL19rocblas_trsv_deviceILi32ELi16ELb0ELb0ELb0ELb1E19rocblas_complex_numIdES1_PKS1_PS1_EviT7_lllT6_T8_lllPii.num_agpr, 0
	.set _ZL19rocblas_trsv_deviceILi32ELi16ELb0ELb0ELb0ELb1E19rocblas_complex_numIdES1_PKS1_PS1_EviT7_lllT6_T8_lllPii.numbered_sgpr, 88
	.set _ZL19rocblas_trsv_deviceILi32ELi16ELb0ELb0ELb0ELb1E19rocblas_complex_numIdES1_PKS1_PS1_EviT7_lllT6_T8_lllPii.num_named_barrier, 0
	.set _ZL19rocblas_trsv_deviceILi32ELi16ELb0ELb0ELb0ELb1E19rocblas_complex_numIdES1_PKS1_PS1_EviT7_lllT6_T8_lllPii.private_seg_size, 0
	.set _ZL19rocblas_trsv_deviceILi32ELi16ELb0ELb0ELb0ELb1E19rocblas_complex_numIdES1_PKS1_PS1_EviT7_lllT6_T8_lllPii.uses_vcc, 1
	.set _ZL19rocblas_trsv_deviceILi32ELi16ELb0ELb0ELb0ELb1E19rocblas_complex_numIdES1_PKS1_PS1_EviT7_lllT6_T8_lllPii.uses_flat_scratch, 0
	.set _ZL19rocblas_trsv_deviceILi32ELi16ELb0ELb0ELb0ELb1E19rocblas_complex_numIdES1_PKS1_PS1_EviT7_lllT6_T8_lllPii.has_dyn_sized_stack, 0
	.set _ZL19rocblas_trsv_deviceILi32ELi16ELb0ELb0ELb0ELb1E19rocblas_complex_numIdES1_PKS1_PS1_EviT7_lllT6_T8_lllPii.has_recursion, 0
	.set _ZL19rocblas_trsv_deviceILi32ELi16ELb0ELb0ELb0ELb1E19rocblas_complex_numIdES1_PKS1_PS1_EviT7_lllT6_T8_lllPii.has_indirect_call, 0
	.section	.AMDGPU.csdata,"",@progbits
; Kernel info:
; codeLenInByte = 20800
; TotalNumSgprs: 92
; NumVgprs: 40
; ScratchSize: 0
; MemoryBound: 1
; FloatMode: 240
; IeeeMode: 1
; LDSByteSize: 25104 bytes/workgroup (compile time only)
; SGPRBlocks: 12
; VGPRBlocks: 12
; NumSGPRsForWavesPerEU: 102
; NumVGPRsForWavesPerEU: 49
; Occupancy: 4
; WaveLimiterHint : 0
; COMPUTE_PGM_RSRC2:SCRATCH_EN: 0
; COMPUTE_PGM_RSRC2:USER_SGPR: 6
; COMPUTE_PGM_RSRC2:TRAP_HANDLER: 0
; COMPUTE_PGM_RSRC2:TGID_X_EN: 1
; COMPUTE_PGM_RSRC2:TGID_Y_EN: 0
; COMPUTE_PGM_RSRC2:TGID_Z_EN: 1
; COMPUTE_PGM_RSRC2:TIDIG_COMP_CNT: 1
	.section	.text._ZL19rocblas_trsv_deviceILi32ELi16ELb0ELb1ELb0ELb1E19rocblas_complex_numIdES1_PKS1_PS1_EviT7_lllT6_T8_lllPii,"axG",@progbits,_ZL19rocblas_trsv_deviceILi32ELi16ELb0ELb1ELb0ELb1E19rocblas_complex_numIdES1_PKS1_PS1_EviT7_lllT6_T8_lllPii,comdat
	.globl	_ZL19rocblas_trsv_deviceILi32ELi16ELb0ELb1ELb0ELb1E19rocblas_complex_numIdES1_PKS1_PS1_EviT7_lllT6_T8_lllPii ; -- Begin function _ZL19rocblas_trsv_deviceILi32ELi16ELb0ELb1ELb0ELb1E19rocblas_complex_numIdES1_PKS1_PS1_EviT7_lllT6_T8_lllPii
	.p2align	8
	.type	_ZL19rocblas_trsv_deviceILi32ELi16ELb0ELb1ELb0ELb1E19rocblas_complex_numIdES1_PKS1_PS1_EviT7_lllT6_T8_lllPii,@function
_ZL19rocblas_trsv_deviceILi32ELi16ELb0ELb1ELb0ELb1E19rocblas_complex_numIdES1_PKS1_PS1_EviT7_lllT6_T8_lllPii: ; @_ZL19rocblas_trsv_deviceILi32ELi16ELb0ELb1ELb0ELb1E19rocblas_complex_numIdES1_PKS1_PS1_EviT7_lllT6_T8_lllPii
; %bb.0:
	s_load_dwordx16 s[16:31], s[4:5], 0x8
	s_load_dword s33, s[4:5], 0x0
	s_load_dword s44, s[4:5], 0x74
	s_mov_b32 s34, s7
	s_mov_b32 s35, 0
	s_waitcnt lgkmcnt(0)
	s_mul_i32 s0, s23, s7
	s_mul_hi_u32 s1, s22, s7
	s_add_i32 s1, s1, s0
	s_mul_i32 s0, s22, s7
	s_lshl_b64 s[0:1], s[0:1], 4
	s_add_u32 s2, s16, s0
	s_addc_u32 s3, s17, s1
	s_lshl_b64 s[0:1], s[18:19], 4
	s_add_u32 s90, s2, s0
	s_addc_u32 s91, s3, s1
	s_cmp_eq_u32 s6, 0
	s_cbranch_scc1 .LBB86_6
; %bb.1:
	s_lshl_b32 s2, s6, 5
	v_add_u32_e32 v6, s2, v0
	v_ashrrev_i32_e32 v2, 31, v6
	v_mul_lo_u32 v7, s20, v2
	v_mul_lo_u32 v8, s21, v6
	v_mad_u64_u32 v[4:5], s[0:1], s20, v6, 0
	v_add_u32_e32 v2, s2, v1
	v_subrev_u32_e32 v2, 32, v2
	v_add3_u32 v5, v5, v7, v8
	v_lshlrev_b64 v[4:5], 4, v[4:5]
	v_ashrrev_i32_e32 v3, 31, v2
	v_cmp_gt_i32_e32 vcc, s33, v6
	v_mov_b32_e32 v6, s91
	v_add_co_u32_e64 v7, s[0:1], s90, v4
	v_lshlrev_b64 v[3:4], 4, v[2:3]
	v_addc_co_u32_e64 v5, s[0:1], v6, v5, s[0:1]
	v_add_co_u32_e64 v10, s[0:1], v7, v3
	v_addc_co_u32_e64 v11, s[0:1], v5, v4, s[0:1]
	v_cmp_gt_i32_e64 s[0:1], s33, v2
	v_mov_b32_e32 v4, 0
	v_mov_b32_e32 v6, 0
	;; [unrolled: 1-line block ×6, first 2 shown]
	s_and_b64 s[2:3], s[0:1], vcc
	s_barrier
	s_and_saveexec_b64 s[0:1], s[2:3]
	s_cbranch_execz .LBB86_3
; %bb.2:
	global_load_dwordx4 v[6:9], v[10:11], off
.LBB86_3:
	s_or_b64 exec, exec, s[0:1]
	v_add_u32_e32 v2, 16, v2
	v_cmp_gt_i32_e64 s[0:1], s33, v2
	v_mov_b32_e32 v2, 0
	v_mov_b32_e32 v3, 0
	s_and_b64 s[2:3], s[0:1], vcc
	s_waitcnt vmcnt(0)
	s_barrier
	s_and_saveexec_b64 s[0:1], s[2:3]
	s_cbranch_execz .LBB86_5
; %bb.4:
	global_load_dwordx4 v[2:5], v[10:11], off offset:256
.LBB86_5:
	s_or_b64 exec, exec, s[0:1]
	s_branch .LBB86_7
.LBB86_6:
                                        ; implicit-def: $vgpr4_vgpr5
                                        ; implicit-def: $vgpr8_vgpr9
.LBB86_7:
	s_ashr_i32 s0, s33, 31
	s_lshr_b32 s0, s0, 27
	s_add_i32 s0, s33, s0
	s_andn2_b32 s0, s0, 31
	s_sub_i32 s7, s33, s0
	s_add_i32 s0, s33, -1
	s_ashr_i32 s1, s0, 31
	s_lshr_b32 s1, s1, 27
	s_add_i32 s0, s0, s1
	s_ashr_i32 s0, s0, 5
	s_cmp_eq_u32 s0, s6
	s_cselect_b64 s[0:1], -1, 0
	s_cmp_lg_u32 s7, 0
	s_cselect_b64 s[2:3], -1, 0
	s_and_b64 s[22:23], s[2:3], s[0:1]
	s_cmp_lt_i32 s6, 5
	s_cselect_b64 s[2:3], -1, 0
	v_lshlrev_b32_e32 v10, 5, v0
	s_mov_b64 s[12:13], -1
	s_or_b64 s[0:1], s[2:3], s[22:23]
	s_and_b64 vcc, exec, s[22:23]
	v_add_u32_e32 v11, v1, v10
	v_cmp_le_u32_e64 s[8:9], v1, v0
	v_lshlrev_b32_e32 v22, 4, v0
	v_lshl_add_u32 v23, v1, 5, v0
	s_cbranch_vccnz .LBB86_21
; %bb.8:
	s_add_u32 s10, s20, 1
	s_addc_u32 s11, s21, 0
	s_lshl_b32 s12, s6, 5
	s_ashr_i32 s13, s12, 31
	s_mul_hi_u32 s14, s10, s12
	s_mul_i32 s13, s10, s13
	s_add_i32 s13, s14, s13
	s_mul_i32 s11, s11, s12
	s_add_i32 s11, s13, s11
	s_mul_i32 s10, s10, s12
	s_lshl_b64 s[10:11], s[10:11], 4
	s_add_u32 s10, s90, s10
	s_addc_u32 s11, s91, s11
	v_lshlrev_b32_e32 v12, 4, v0
	v_mov_b32_e32 v13, s11
	v_add_co_u32_e32 v12, vcc, s10, v12
	v_addc_co_u32_e32 v13, vcc, 0, v13, vcc
	v_cndmask_b32_e64 v14, v23, v11, s[2:3]
	s_and_saveexec_b64 s[2:3], s[8:9]
	s_xor_b64 s[2:3], exec, s[2:3]
	s_cbranch_execz .LBB86_12
; %bb.9:
	v_or_b32_e32 v15, v1, v0
	v_cmp_gt_u32_e32 vcc, 32, v15
	s_and_saveexec_b64 s[8:9], vcc
	s_cbranch_execz .LBB86_11
; %bb.10:
	v_lshlrev_b32_e32 v18, 4, v14
	v_mov_b32_e32 v14, 0
	v_mov_b32_e32 v15, v14
	;; [unrolled: 1-line block ×4, first 2 shown]
	ds_write_b128 v18, v[14:17]
.LBB86_11:
	s_or_b64 exec, exec, s[8:9]
                                        ; implicit-def: $vgpr14
.LBB86_12:
	s_andn2_saveexec_b64 s[2:3], s[2:3]
	s_cbranch_execz .LBB86_14
; %bb.13:
	v_mad_u64_u32 v[15:16], s[8:9], s20, v1, 0
	v_lshlrev_b32_e32 v14, 4, v14
	v_mad_u64_u32 v[16:17], s[8:9], s21, v1, v[16:17]
	v_lshlrev_b64 v[15:16], 4, v[15:16]
	v_add_co_u32_e32 v15, vcc, v12, v15
	v_addc_co_u32_e32 v16, vcc, v13, v16, vcc
	global_load_dwordx4 v[15:18], v[15:16], off
	s_waitcnt vmcnt(0)
	v_xor_b32_e32 v16, 0x80000000, v16
	v_xor_b32_e32 v18, 0x80000000, v18
	ds_write_b128 v14, v[15:18]
.LBB86_14:
	s_or_b64 exec, exec, s[2:3]
	v_add_u32_e32 v15, 16, v1
	v_add_u32_e32 v14, v15, v10
	v_lshl_add_u32 v16, v15, 5, v0
	v_cndmask_b32_e64 v14, v16, v14, s[0:1]
	v_cmp_le_u32_e32 vcc, v15, v0
	s_and_saveexec_b64 s[2:3], vcc
	s_xor_b64 s[2:3], exec, s[2:3]
	s_cbranch_execz .LBB86_18
; %bb.15:
	v_or_b32_e32 v12, v15, v0
	v_cmp_gt_u32_e32 vcc, 32, v12
	s_and_saveexec_b64 s[8:9], vcc
	s_cbranch_execz .LBB86_17
; %bb.16:
	v_mov_b32_e32 v12, 0
	v_lshlrev_b32_e32 v16, 4, v14
	v_mov_b32_e32 v13, v12
	v_mov_b32_e32 v14, v12
	;; [unrolled: 1-line block ×3, first 2 shown]
	ds_write_b128 v16, v[12:15]
.LBB86_17:
	s_or_b64 exec, exec, s[8:9]
                                        ; implicit-def: $vgpr15
                                        ; implicit-def: $vgpr12
                                        ; implicit-def: $vgpr13
                                        ; implicit-def: $vgpr14
.LBB86_18:
	s_andn2_saveexec_b64 s[2:3], s[2:3]
	s_cbranch_execz .LBB86_20
; %bb.19:
	v_mad_u64_u32 v[16:17], s[8:9], s20, v15, 0
	v_mad_u64_u32 v[17:18], s[8:9], s21, v15, v[17:18]
	v_lshlrev_b64 v[15:16], 4, v[16:17]
	v_add_co_u32_e32 v12, vcc, v12, v15
	v_addc_co_u32_e32 v13, vcc, v13, v16, vcc
	global_load_dwordx4 v[15:18], v[12:13], off
	v_lshlrev_b32_e32 v12, 4, v14
	s_waitcnt vmcnt(0)
	v_xor_b32_e32 v16, 0x80000000, v16
	v_xor_b32_e32 v18, 0x80000000, v18
	ds_write_b128 v12, v[15:18]
.LBB86_20:
	s_or_b64 exec, exec, s[2:3]
	s_mov_b64 s[12:13], 0
.LBB86_21:
	s_xor_b64 s[10:11], s[0:1], -1
	s_and_b64 vcc, exec, s[12:13]
	s_cbranch_vccz .LBB86_35
; %bb.22:
	s_add_u32 s2, s20, 1
	s_addc_u32 s3, s21, 0
	s_lshl_b32 s8, s6, 5
	s_ashr_i32 s9, s8, 31
	s_mul_hi_u32 s12, s2, s8
	s_mul_i32 s9, s2, s9
	s_add_i32 s9, s12, s9
	s_mul_i32 s3, s3, s8
	s_add_i32 s3, s9, s3
	s_mul_i32 s2, s2, s8
	s_lshl_b64 s[2:3], s[2:3], 4
	s_add_u32 s2, s90, s2
	s_addc_u32 s3, s91, s3
	v_lshlrev_b32_e32 v12, 4, v0
	v_mov_b32_e32 v13, s3
	v_add_co_u32_e64 v12, s[2:3], s2, v12
	v_addc_co_u32_e64 v13, s[2:3], 0, v13, s[2:3]
	v_max_i32_e32 v14, v1, v0
	v_cmp_le_u32_e64 s[2:3], v1, v0
	v_cmp_le_i32_e64 s[8:9], s7, v14
	v_cmp_gt_i32_e32 vcc, s7, v0
	s_or_b64 s[2:3], s[8:9], s[2:3]
	s_and_saveexec_b64 s[8:9], s[2:3]
	s_xor_b64 s[8:9], exec, s[8:9]
	s_cbranch_execz .LBB86_26
; %bb.23:
	v_or_b32_e32 v14, v1, v0
	v_cmp_gt_u32_e64 s[2:3], 32, v14
	s_and_saveexec_b64 s[12:13], s[2:3]
	s_cbranch_execz .LBB86_25
; %bb.24:
	v_mov_b32_e32 v14, 0
	v_lshlrev_b32_e32 v11, 4, v11
	v_mov_b32_e32 v15, v14
	v_mov_b32_e32 v16, v14
	v_mov_b32_e32 v17, v14
	ds_write_b128 v11, v[14:17]
.LBB86_25:
	s_or_b64 exec, exec, s[12:13]
                                        ; implicit-def: $vgpr11
.LBB86_26:
	s_andn2_saveexec_b64 s[8:9], s[8:9]
	s_cbranch_execz .LBB86_28
; %bb.27:
	v_mad_u64_u32 v[14:15], s[2:3], s20, v1, 0
	v_lshlrev_b32_e32 v11, 4, v11
	v_mad_u64_u32 v[15:16], s[2:3], s21, v1, v[15:16]
	v_lshlrev_b64 v[14:15], 4, v[14:15]
	v_add_co_u32_e64 v14, s[2:3], v12, v14
	v_addc_co_u32_e64 v15, s[2:3], v13, v15, s[2:3]
	global_load_dwordx4 v[14:17], v[14:15], off
	s_waitcnt vmcnt(0)
	v_xor_b32_e32 v15, 0x80000000, v15
	v_xor_b32_e32 v17, 0x80000000, v17
	ds_write_b128 v11, v[14:17]
.LBB86_28:
	s_or_b64 exec, exec, s[8:9]
	v_add_u32_e32 v11, 16, v1
	v_add_u32_e32 v10, v11, v10
	v_lshl_add_u32 v14, v11, 5, v0
	v_cndmask_b32_e64 v10, v14, v10, s[0:1]
	v_cmp_gt_u32_e64 s[0:1], v11, v0
	v_cmp_gt_i32_e64 s[2:3], s7, v11
	s_and_b64 s[0:1], s[0:1], s[2:3]
	s_and_b64 s[0:1], s[0:1], vcc
	s_xor_b64 s[0:1], s[0:1], -1
	s_and_saveexec_b64 s[2:3], s[0:1]
	s_xor_b64 s[0:1], exec, s[2:3]
	s_cbranch_execz .LBB86_32
; %bb.29:
	v_or_b32_e32 v11, v11, v0
	v_cmp_gt_u32_e32 vcc, 32, v11
	s_and_saveexec_b64 s[2:3], vcc
	s_cbranch_execz .LBB86_31
; %bb.30:
	v_lshlrev_b32_e32 v14, 4, v10
	v_mov_b32_e32 v10, 0
	v_mov_b32_e32 v11, v10
	;; [unrolled: 1-line block ×4, first 2 shown]
	ds_write_b128 v14, v[10:13]
.LBB86_31:
	s_or_b64 exec, exec, s[2:3]
                                        ; implicit-def: $vgpr11
                                        ; implicit-def: $vgpr12
                                        ; implicit-def: $vgpr13
                                        ; implicit-def: $vgpr10
.LBB86_32:
	s_andn2_saveexec_b64 s[0:1], s[0:1]
	s_cbranch_execz .LBB86_34
; %bb.33:
	v_mad_u64_u32 v[14:15], s[2:3], s20, v11, 0
	v_lshlrev_b32_e32 v10, 4, v10
	v_mad_u64_u32 v[15:16], s[2:3], s21, v11, v[15:16]
	v_lshlrev_b64 v[14:15], 4, v[14:15]
	v_add_co_u32_e32 v11, vcc, v12, v14
	v_addc_co_u32_e32 v12, vcc, v13, v15, vcc
	global_load_dwordx4 v[11:14], v[11:12], off
	s_waitcnt vmcnt(0)
	v_xor_b32_e32 v12, 0x80000000, v12
	v_xor_b32_e32 v14, 0x80000000, v14
	ds_write_b128 v10, v[11:14]
.LBB86_34:
	s_or_b64 exec, exec, s[0:1]
.LBB86_35:
	v_cndmask_b32_e64 v10, 0, 1, s[10:11]
	v_cmp_ne_u32_e64 s[0:1], 1, v10
	s_andn2_b64 vcc, exec, s[10:11]
	s_waitcnt vmcnt(0) lgkmcnt(0)
	s_barrier
	s_cbranch_vccnz .LBB86_459
; %bb.36:
	v_or_b32_e32 v10, v0, v1
	s_mov_b32 s8, 0
	v_cmp_eq_u32_e32 vcc, 0, v10
	s_and_saveexec_b64 s[2:3], vcc
	s_cbranch_execz .LBB86_38
; %bb.37:
	v_mov_b32_e32 v18, 0
	ds_read_b128 v[10:13], v18 offset:16352
	s_mov_b32 s11, s8
	s_mov_b32 s9, 0x3ff00000
	;; [unrolled: 1-line block ×3, first 2 shown]
	v_mov_b32_e32 v17, s11
	v_mov_b32_e32 v16, s10
	;; [unrolled: 1-line block ×4, first 2 shown]
	ds_write_b128 v18, v[14:17] offset:15840
	ds_write_b128 v18, v[14:17] offset:16368
	s_waitcnt lgkmcnt(2)
	ds_write_b128 v18, v[10:13] offset:15856
.LBB86_38:
	s_or_b64 exec, exec, s[2:3]
	v_lshlrev_b32_e32 v10, 5, v1
	v_add_u32_e32 v17, v10, v0
	v_add_u16_e32 v10, v10, v0
	v_lshrrev_b16_e32 v16, 1, v10
	v_mov_b32_e32 v10, 0
	v_mov_b32_e32 v12, 0
	v_and_b32_e32 v14, 1, v0
	v_sub_u32_e32 v15, 1, v16
	v_cmp_lt_u32_e64 s[8:9], 3, v17
	v_mov_b32_e32 v11, 0
	v_mov_b32_e32 v13, 0
	v_cmp_gt_u32_e64 s[2:3], 4, v17
	s_waitcnt lgkmcnt(0)
	s_barrier
	buffer_wbinvl1_vol
	s_and_saveexec_b64 s[12:13], s[2:3]
	s_cbranch_execz .LBB86_42
; %bb.39:
	v_lshlrev_b32_e32 v18, 4, v14
	v_lshlrev_b32_e32 v10, 9, v15
	ds_read_b128 v[10:13], v10 offset:15840
	ds_read_b128 v[18:21], v18 offset:15808
	v_cmp_gt_u32_e64 s[10:11], 2, v17
	s_waitcnt lgkmcnt(0)
	v_mul_f64 v[24:25], v[12:13], v[20:21]
	v_mul_f64 v[20:21], v[10:11], v[20:21]
	v_fma_f64 v[10:11], v[10:11], v[18:19], -v[24:25]
	v_fma_f64 v[12:13], v[12:13], v[18:19], v[20:21]
	v_add_f64 v[10:11], v[10:11], 0
	v_add_f64 v[12:13], v[12:13], 0
	s_and_saveexec_b64 s[14:15], s[10:11]
	s_cbranch_execz .LBB86_41
; %bb.40:
	v_lshlrev_b32_e32 v24, 4, v0
	v_mov_b32_e32 v18, 0
	ds_read_b128 v[18:21], v18 offset:16368
	ds_read_b128 v[24:27], v24 offset:16320
	s_waitcnt lgkmcnt(0)
	v_mul_f64 v[28:29], v[20:21], v[26:27]
	v_mul_f64 v[26:27], v[18:19], v[26:27]
	v_fma_f64 v[18:19], v[18:19], v[24:25], -v[28:29]
	v_fma_f64 v[20:21], v[20:21], v[24:25], v[26:27]
	v_add_f64 v[10:11], v[10:11], v[18:19]
	v_add_f64 v[12:13], v[12:13], v[20:21]
.LBB86_41:
	s_or_b64 exec, exec, s[14:15]
.LBB86_42:
	s_or_b64 exec, exec, s[12:13]
	v_mov_b32_e32 v18, 0x4000
	v_cmp_ne_u32_e64 s[10:11], 0, v14
	s_xor_b64 s[12:13], s[8:9], -1
	v_lshl_add_u32 v16, v16, 4, v18
	s_and_b64 s[38:39], s[10:11], s[12:13]
	s_and_saveexec_b64 s[8:9], s[38:39]
; %bb.43:
	v_xor_b32_e32 v19, 0x80000000, v11
	v_xor_b32_e32 v21, 0x80000000, v13
	v_mov_b32_e32 v18, v10
	v_mov_b32_e32 v20, v12
	ds_write_b128 v16, v[18:21]
; %bb.44:
	s_or_b64 exec, exec, s[8:9]
	v_cmp_eq_u32_e64 s[8:9], 0, v14
	s_and_b64 s[36:37], s[8:9], s[12:13]
	s_waitcnt lgkmcnt(0)
	s_barrier
	s_and_saveexec_b64 s[8:9], s[36:37]
	s_cbranch_execz .LBB86_46
; %bb.45:
	v_mov_b32_e32 v24, 0
	ds_read_b128 v[18:21], v16
	ds_read_b128 v[24:27], v24 offset:15296
	s_waitcnt lgkmcnt(0)
	v_mul_f64 v[28:29], v[18:19], v[24:25]
	v_mul_f64 v[18:19], v[18:19], v[26:27]
	v_fma_f64 v[26:27], v[20:21], v[26:27], -v[28:29]
	v_fma_f64 v[18:19], v[20:21], v[24:25], v[18:19]
	v_add_f64 v[10:11], v[10:11], v[26:27]
	v_add_f64 v[12:13], v[12:13], -v[18:19]
.LBB86_46:
	s_or_b64 exec, exec, s[8:9]
	s_barrier
	s_and_saveexec_b64 s[8:9], s[36:37]
; %bb.47:
	v_xor_b32_e32 v19, 0x80000000, v11
	v_xor_b32_e32 v21, 0x80000000, v13
	v_mov_b32_e32 v18, v10
	v_mov_b32_e32 v20, v12
	ds_write_b128 v16, v[18:21]
; %bb.48:
	s_or_b64 exec, exec, s[8:9]
	s_waitcnt lgkmcnt(0)
	s_barrier
	s_barrier
	s_and_saveexec_b64 s[8:9], s[2:3]
; %bb.49:
	v_lshlrev_b32_e32 v18, 4, v14
	v_lshl_or_b32 v18, v15, 9, v18
	ds_write_b128 v18, v[10:13] offset:15808
; %bb.50:
	s_or_b64 exec, exec, s[8:9]
	v_cmp_eq_u32_e64 s[10:11], 0, v1
	v_cmp_gt_u32_e64 s[8:9], 2, v0
	s_and_b64 s[40:41], s[10:11], s[8:9]
	s_waitcnt lgkmcnt(0)
	s_barrier
	s_barrier
	s_and_saveexec_b64 s[8:9], s[40:41]
	s_cbranch_execz .LBB86_52
; %bb.51:
	v_lshlrev_b32_e32 v18, 9, v0
	ds_read_b128 v[10:13], v18 offset:15808
	s_movk_i32 s12, 0xfe10
	v_mad_i32_i24 v19, v0, s12, v18
	s_waitcnt lgkmcnt(0)
	ds_write_b128 v19, v[10:13] offset:14816
	ds_read_b128 v[10:13], v18 offset:15824
	s_waitcnt lgkmcnt(0)
	ds_write_b128 v19, v[10:13] offset:15328
.LBB86_52:
	s_or_b64 exec, exec, s[8:9]
	s_waitcnt lgkmcnt(0)
	s_barrier
	s_and_saveexec_b64 s[8:9], vcc
	s_cbranch_execz .LBB86_54
; %bb.53:
	s_mov_b32 s12, 0
	v_mov_b32_e32 v24, 0
	ds_read_b128 v[10:13], v24 offset:15296
	s_mov_b32 s15, s12
	s_mov_b32 s13, 0x3ff00000
	;; [unrolled: 1-line block ×3, first 2 shown]
	v_mov_b32_e32 v21, s15
	v_mov_b32_e32 v20, s14
	;; [unrolled: 1-line block ×4, first 2 shown]
	ds_write_b128 v24, v[18:21] offset:14784
	ds_write_b128 v24, v[18:21] offset:15312
	s_waitcnt lgkmcnt(2)
	ds_write_b128 v24, v[10:13] offset:14800
.LBB86_54:
	s_or_b64 exec, exec, s[8:9]
	v_lshrrev_b32_e32 v20, 2, v17
	v_mov_b32_e32 v12, 0
	v_mov_b32_e32 v10, 0
	v_and_b32_e32 v18, 3, v0
	v_sub_u32_e32 v19, 3, v20
	v_cmp_lt_u32_e64 s[8:9], 15, v17
	v_mov_b32_e32 v13, 0
	v_mov_b32_e32 v11, 0
	v_cmp_gt_u32_e64 s[16:17], 16, v17
	s_waitcnt lgkmcnt(0)
	s_barrier
	buffer_wbinvl1_vol
	s_and_saveexec_b64 s[14:15], s[16:17]
	s_cbranch_execz .LBB86_60
; %bb.55:
	v_lshlrev_b32_e32 v24, 9, v19
	v_lshlrev_b32_e32 v21, 4, v18
	ds_read_b128 v[10:13], v24 offset:14784
	ds_read_b128 v[25:28], v21 offset:14720
	v_cmp_gt_u32_e64 s[12:13], 12, v17
	s_waitcnt lgkmcnt(0)
	v_mul_f64 v[29:30], v[12:13], v[27:28]
	v_mul_f64 v[27:28], v[10:11], v[27:28]
	v_fma_f64 v[10:11], v[10:11], v[25:26], -v[29:30]
	v_fma_f64 v[12:13], v[12:13], v[25:26], v[27:28]
	v_add_f64 v[10:11], v[10:11], 0
	v_add_f64 v[12:13], v[12:13], 0
	s_and_saveexec_b64 s[18:19], s[12:13]
	s_cbranch_execnz .LBB86_519
; %bb.56:
	s_or_b64 exec, exec, s[18:19]
	v_cmp_gt_u32_e64 s[12:13], 8, v17
	s_and_saveexec_b64 s[18:19], s[12:13]
	s_cbranch_execnz .LBB86_520
.LBB86_57:
	s_or_b64 exec, exec, s[18:19]
	v_cmp_gt_u32_e64 s[12:13], 4, v17
	s_and_saveexec_b64 s[18:19], s[12:13]
	s_cbranch_execz .LBB86_59
.LBB86_58:
	v_mov_b32_e32 v24, 0
	v_lshlrev_b32_e32 v21, 4, v0
	ds_read_b128 v[24:27], v24 offset:16368
	ds_read_b128 v[28:31], v21 offset:16256
	s_waitcnt lgkmcnt(0)
	v_mul_f64 v[32:33], v[26:27], v[30:31]
	v_mul_f64 v[30:31], v[24:25], v[30:31]
	v_fma_f64 v[24:25], v[24:25], v[28:29], -v[32:33]
	v_fma_f64 v[26:27], v[26:27], v[28:29], v[30:31]
	v_add_f64 v[10:11], v[10:11], v[24:25]
	v_add_f64 v[12:13], v[12:13], v[26:27]
.LBB86_59:
	s_or_b64 exec, exec, s[18:19]
.LBB86_60:
	s_or_b64 exec, exec, s[14:15]
	v_mov_b32_e32 v21, 0x4000
	v_cmp_eq_u32_e64 s[12:13], 3, v18
	s_xor_b64 s[14:15], s[8:9], -1
	v_lshl_add_u32 v20, v20, 4, v21
	s_and_b64 s[44:45], s[12:13], s[14:15]
	s_and_saveexec_b64 s[8:9], s[44:45]
; %bb.61:
	v_xor_b32_e32 v27, 0x80000000, v13
	v_xor_b32_e32 v25, 0x80000000, v11
	v_mov_b32_e32 v24, v10
	v_mov_b32_e32 v26, v12
	ds_write_b128 v20, v[24:27]
; %bb.62:
	s_or_b64 exec, exec, s[8:9]
	v_cmp_ne_u32_e64 s[8:9], 3, v18
	s_and_b64 s[46:47], s[8:9], s[14:15]
	s_waitcnt lgkmcnt(0)
	s_barrier
	s_and_saveexec_b64 s[8:9], s[46:47]
	s_cbranch_execz .LBB86_64
; %bb.63:
	v_lshlrev_b32_e32 v21, 4, v18
	ds_read_b128 v[24:27], v20
	ds_read_b128 v[28:31], v21 offset:14208
	s_waitcnt lgkmcnt(0)
	v_mul_f64 v[32:33], v[26:27], v[30:31]
	v_mul_f64 v[30:31], v[24:25], v[30:31]
	v_fma_f64 v[24:25], v[24:25], v[28:29], -v[32:33]
	v_fma_f64 v[26:27], v[26:27], v[28:29], v[30:31]
	v_add_f64 v[10:11], v[10:11], -v[24:25]
	v_add_f64 v[12:13], v[12:13], -v[26:27]
.LBB86_64:
	s_or_b64 exec, exec, s[8:9]
	v_cmp_eq_u32_e64 s[8:9], 2, v18
	s_and_b64 s[48:49], s[8:9], s[14:15]
	s_barrier
	s_and_saveexec_b64 s[8:9], s[48:49]
; %bb.65:
	v_xor_b32_e32 v27, 0x80000000, v13
	v_xor_b32_e32 v25, 0x80000000, v11
	v_mov_b32_e32 v24, v10
	v_mov_b32_e32 v26, v12
	ds_write_b128 v20, v[24:27]
; %bb.66:
	s_or_b64 exec, exec, s[8:9]
	v_cmp_gt_u32_e64 s[8:9], 2, v18
	s_and_b64 s[50:51], s[8:9], s[14:15]
	s_waitcnt lgkmcnt(0)
	s_barrier
	s_and_saveexec_b64 s[8:9], s[50:51]
	s_cbranch_execz .LBB86_68
; %bb.67:
	v_lshlrev_b32_e32 v21, 4, v18
	ds_read_b128 v[24:27], v20
	ds_read_b128 v[28:31], v21 offset:13696
	s_waitcnt lgkmcnt(0)
	v_mul_f64 v[32:33], v[26:27], v[30:31]
	v_mul_f64 v[30:31], v[24:25], v[30:31]
	v_fma_f64 v[24:25], v[24:25], v[28:29], -v[32:33]
	v_fma_f64 v[26:27], v[26:27], v[28:29], v[30:31]
	v_add_f64 v[10:11], v[10:11], -v[24:25]
	v_add_f64 v[12:13], v[12:13], -v[26:27]
.LBB86_68:
	s_or_b64 exec, exec, s[8:9]
	v_cmp_eq_u32_e64 s[8:9], 1, v18
	s_and_b64 s[52:53], s[8:9], s[14:15]
	s_barrier
	s_and_saveexec_b64 s[8:9], s[52:53]
; %bb.69:
	v_xor_b32_e32 v27, 0x80000000, v13
	v_xor_b32_e32 v25, 0x80000000, v11
	v_mov_b32_e32 v24, v10
	v_mov_b32_e32 v26, v12
	ds_write_b128 v20, v[24:27]
; %bb.70:
	s_or_b64 exec, exec, s[8:9]
	v_cmp_eq_u32_e64 s[8:9], 0, v18
	s_and_b64 s[42:43], s[8:9], s[14:15]
	s_waitcnt lgkmcnt(0)
	s_barrier
	s_and_saveexec_b64 s[8:9], s[42:43]
	s_cbranch_execz .LBB86_72
; %bb.71:
	v_mov_b32_e32 v21, 0
	ds_read_b128 v[24:27], v20
	ds_read_b128 v[28:31], v21 offset:13184
	s_waitcnt lgkmcnt(0)
	v_mul_f64 v[32:33], v[26:27], v[30:31]
	v_mul_f64 v[30:31], v[24:25], v[30:31]
	v_fma_f64 v[24:25], v[24:25], v[28:29], -v[32:33]
	v_fma_f64 v[26:27], v[26:27], v[28:29], v[30:31]
	v_add_f64 v[10:11], v[10:11], -v[24:25]
	v_add_f64 v[12:13], v[12:13], -v[26:27]
.LBB86_72:
	s_or_b64 exec, exec, s[8:9]
	s_barrier
	s_and_saveexec_b64 s[8:9], s[42:43]
; %bb.73:
	v_xor_b32_e32 v27, 0x80000000, v13
	v_xor_b32_e32 v25, 0x80000000, v11
	v_mov_b32_e32 v24, v10
	v_mov_b32_e32 v26, v12
	ds_write_b128 v20, v[24:27]
; %bb.74:
	s_or_b64 exec, exec, s[8:9]
	s_waitcnt lgkmcnt(0)
	s_barrier
	s_barrier
	s_and_saveexec_b64 s[8:9], s[16:17]
; %bb.75:
	v_lshlrev_b32_e32 v21, 4, v18
	v_lshl_or_b32 v21, v19, 9, v21
	ds_write_b128 v21, v[10:13] offset:14720
; %bb.76:
	s_or_b64 exec, exec, s[8:9]
	v_cmp_gt_u32_e64 s[8:9], 4, v0
	s_and_b64 s[54:55], s[10:11], s[8:9]
	s_waitcnt lgkmcnt(0)
	s_barrier
	s_barrier
	s_and_saveexec_b64 s[8:9], s[54:55]
	s_cbranch_execz .LBB86_78
; %bb.77:
	v_lshlrev_b32_e32 v21, 4, v0
	s_movk_i32 s12, 0x1f0
	v_mad_u32_u24 v24, v0, s12, v21
	ds_read_b128 v[10:13], v24 offset:14720
	s_waitcnt lgkmcnt(0)
	ds_write_b128 v21, v[10:13] offset:12736
	ds_read_b128 v[10:13], v24 offset:14736
	s_waitcnt lgkmcnt(0)
	ds_write_b128 v21, v[10:13] offset:13248
	;; [unrolled: 3-line block ×4, first 2 shown]
.LBB86_78:
	s_or_b64 exec, exec, s[8:9]
	s_waitcnt lgkmcnt(0)
	s_barrier
	s_and_saveexec_b64 s[8:9], vcc
	s_cbranch_execz .LBB86_80
; %bb.79:
	s_mov_b32 s12, 0
	v_mov_b32_e32 v21, 0
	ds_read_b128 v[10:13], v21 offset:14240
	s_mov_b32 s15, s12
	s_mov_b32 s13, 0x3ff00000
	;; [unrolled: 1-line block ×3, first 2 shown]
	v_mov_b32_e32 v27, s15
	v_mov_b32_e32 v26, s14
	;; [unrolled: 1-line block ×4, first 2 shown]
	ds_write_b128 v21, v[24:27] offset:13728
	ds_write_b128 v21, v[24:27] offset:14256
	s_waitcnt lgkmcnt(2)
	ds_write_b128 v21, v[10:13] offset:13744
.LBB86_80:
	s_or_b64 exec, exec, s[8:9]
	v_mov_b32_e32 v10, 0
	v_mov_b32_e32 v12, 0
	v_mov_b32_e32 v11, 0
	v_mov_b32_e32 v13, 0
	s_waitcnt lgkmcnt(0)
	s_barrier
	buffer_wbinvl1_vol
	s_and_saveexec_b64 s[12:13], s[2:3]
	s_cbranch_execz .LBB86_84
; %bb.81:
	v_lshlrev_b32_e32 v10, 9, v15
	v_lshlrev_b32_e32 v21, 4, v14
	ds_read_b128 v[10:13], v10 offset:13728
	ds_read_b128 v[24:27], v21 offset:13696
	v_cmp_gt_u32_e64 s[8:9], 2, v17
	s_waitcnt lgkmcnt(0)
	v_mul_f64 v[28:29], v[12:13], v[26:27]
	v_mul_f64 v[26:27], v[10:11], v[26:27]
	v_fma_f64 v[10:11], v[10:11], v[24:25], -v[28:29]
	v_fma_f64 v[12:13], v[12:13], v[24:25], v[26:27]
	v_add_f64 v[10:11], v[10:11], 0
	v_add_f64 v[12:13], v[12:13], 0
	s_and_saveexec_b64 s[14:15], s[8:9]
	s_cbranch_execz .LBB86_83
; %bb.82:
	v_mov_b32_e32 v24, 0
	v_lshlrev_b32_e32 v21, 4, v0
	ds_read_b128 v[24:27], v24 offset:14256
	ds_read_b128 v[28:31], v21 offset:14208
	s_waitcnt lgkmcnt(0)
	v_mul_f64 v[32:33], v[26:27], v[30:31]
	v_mul_f64 v[30:31], v[24:25], v[30:31]
	v_fma_f64 v[24:25], v[24:25], v[28:29], -v[32:33]
	v_fma_f64 v[26:27], v[26:27], v[28:29], v[30:31]
	v_add_f64 v[10:11], v[10:11], v[24:25]
	v_add_f64 v[12:13], v[12:13], v[26:27]
.LBB86_83:
	s_or_b64 exec, exec, s[14:15]
.LBB86_84:
	s_or_b64 exec, exec, s[12:13]
	s_and_saveexec_b64 s[8:9], s[38:39]
; %bb.85:
	v_xor_b32_e32 v25, 0x80000000, v11
	v_xor_b32_e32 v27, 0x80000000, v13
	v_mov_b32_e32 v24, v10
	v_mov_b32_e32 v26, v12
	ds_write_b128 v16, v[24:27]
; %bb.86:
	s_or_b64 exec, exec, s[8:9]
	s_waitcnt lgkmcnt(0)
	s_barrier
	s_and_saveexec_b64 s[8:9], s[36:37]
	s_cbranch_execz .LBB86_88
; %bb.87:
	v_mov_b32_e32 v21, 0
	ds_read_b128 v[24:27], v16
	ds_read_b128 v[28:31], v21 offset:13184
	s_waitcnt lgkmcnt(0)
	v_mul_f64 v[32:33], v[24:25], v[28:29]
	v_mul_f64 v[24:25], v[24:25], v[30:31]
	v_fma_f64 v[30:31], v[26:27], v[30:31], -v[32:33]
	v_fma_f64 v[24:25], v[26:27], v[28:29], v[24:25]
	v_add_f64 v[10:11], v[10:11], v[30:31]
	v_add_f64 v[12:13], v[12:13], -v[24:25]
.LBB86_88:
	s_or_b64 exec, exec, s[8:9]
	s_barrier
	s_and_saveexec_b64 s[8:9], s[36:37]
; %bb.89:
	v_xor_b32_e32 v25, 0x80000000, v11
	v_xor_b32_e32 v27, 0x80000000, v13
	v_mov_b32_e32 v24, v10
	v_mov_b32_e32 v26, v12
	ds_write_b128 v16, v[24:27]
; %bb.90:
	s_or_b64 exec, exec, s[8:9]
	s_waitcnt lgkmcnt(0)
	s_barrier
	s_barrier
	s_and_saveexec_b64 s[8:9], s[2:3]
; %bb.91:
	v_lshlrev_b32_e32 v21, 4, v14
	v_lshl_or_b32 v21, v15, 9, v21
	ds_write_b128 v21, v[10:13] offset:13696
; %bb.92:
	s_or_b64 exec, exec, s[8:9]
	s_waitcnt lgkmcnt(0)
	s_barrier
	s_barrier
	s_and_saveexec_b64 s[8:9], s[40:41]
	s_cbranch_execz .LBB86_94
; %bb.93:
	v_lshlrev_b32_e32 v21, 9, v0
	ds_read_b128 v[10:13], v21 offset:13696
	s_movk_i32 s12, 0xfe10
	v_mad_i32_i24 v24, v0, s12, v21
	s_waitcnt lgkmcnt(0)
	ds_write_b128 v24, v[10:13] offset:12704
	ds_read_b128 v[10:13], v21 offset:13712
	s_waitcnt lgkmcnt(0)
	ds_write_b128 v24, v[10:13] offset:13216
.LBB86_94:
	s_or_b64 exec, exec, s[8:9]
	s_waitcnt lgkmcnt(0)
	s_barrier
	s_and_saveexec_b64 s[8:9], vcc
	s_cbranch_execz .LBB86_96
; %bb.95:
	s_mov_b32 s12, 0
	v_mov_b32_e32 v21, 0
	ds_read_b128 v[10:13], v21 offset:13184
	s_mov_b32 s15, s12
	s_mov_b32 s13, 0x3ff00000
	;; [unrolled: 1-line block ×3, first 2 shown]
	v_mov_b32_e32 v27, s15
	v_mov_b32_e32 v26, s14
	;; [unrolled: 1-line block ×4, first 2 shown]
	ds_write_b128 v21, v[24:27] offset:12672
	ds_write_b128 v21, v[24:27] offset:13200
	s_waitcnt lgkmcnt(2)
	ds_write_b128 v21, v[10:13] offset:12688
.LBB86_96:
	s_or_b64 exec, exec, s[8:9]
	v_lshrrev_b32_e32 v25, 3, v17
	v_mov_b32_e32 v12, 0
	v_mov_b32_e32 v10, 0
	v_and_b32_e32 v21, 7, v0
	v_sub_u32_e32 v24, 7, v25
	v_cmp_lt_u32_e64 s[12:13], 63, v17
	v_mov_b32_e32 v13, 0
	v_mov_b32_e32 v11, 0
	v_cmp_gt_u32_e64 s[8:9], 64, v17
	s_waitcnt lgkmcnt(0)
	s_barrier
	buffer_wbinvl1_vol
	s_and_saveexec_b64 s[18:19], s[8:9]
	s_cbranch_execz .LBB86_106
; %bb.97:
	v_lshlrev_b32_e32 v27, 9, v24
	v_lshlrev_b32_e32 v26, 4, v21
	ds_read_b128 v[10:13], v27 offset:12672
	ds_read_b128 v[28:31], v26 offset:12544
	v_cmp_gt_u32_e64 s[14:15], 56, v17
	s_waitcnt lgkmcnt(0)
	v_mul_f64 v[32:33], v[12:13], v[30:31]
	v_mul_f64 v[30:31], v[10:11], v[30:31]
	v_fma_f64 v[10:11], v[10:11], v[28:29], -v[32:33]
	v_fma_f64 v[12:13], v[12:13], v[28:29], v[30:31]
	v_add_f64 v[10:11], v[10:11], 0
	v_add_f64 v[12:13], v[12:13], 0
	s_and_saveexec_b64 s[56:57], s[14:15]
	s_cbranch_execnz .LBB86_521
; %bb.98:
	s_or_b64 exec, exec, s[56:57]
	v_cmp_gt_u32_e64 s[14:15], 48, v17
	s_and_saveexec_b64 s[56:57], s[14:15]
	s_cbranch_execnz .LBB86_522
.LBB86_99:
	s_or_b64 exec, exec, s[56:57]
	v_cmp_gt_u32_e64 s[14:15], 40, v17
	s_and_saveexec_b64 s[56:57], s[14:15]
	s_cbranch_execnz .LBB86_523
.LBB86_100:
	s_or_b64 exec, exec, s[56:57]
	v_cmp_gt_u32_e64 s[14:15], 32, v17
	s_and_saveexec_b64 s[56:57], s[14:15]
	s_cbranch_execnz .LBB86_524
.LBB86_101:
	s_or_b64 exec, exec, s[56:57]
	v_cmp_gt_u32_e64 s[14:15], 24, v17
	s_and_saveexec_b64 s[56:57], s[14:15]
	s_cbranch_execnz .LBB86_525
.LBB86_102:
	s_or_b64 exec, exec, s[56:57]
	s_and_saveexec_b64 s[14:15], s[16:17]
	s_cbranch_execnz .LBB86_526
.LBB86_103:
	s_or_b64 exec, exec, s[14:15]
	v_cmp_gt_u32_e64 s[14:15], 8, v17
	s_and_saveexec_b64 s[56:57], s[14:15]
	s_cbranch_execz .LBB86_105
.LBB86_104:
	v_lshlrev_b32_e32 v30, 4, v0
	v_mov_b32_e32 v26, 0
	ds_read_b128 v[26:29], v26 offset:16368
	ds_read_b128 v[30:33], v30 offset:16128
	s_waitcnt lgkmcnt(0)
	v_mul_f64 v[34:35], v[28:29], v[32:33]
	v_mul_f64 v[32:33], v[26:27], v[32:33]
	v_fma_f64 v[26:27], v[26:27], v[30:31], -v[34:35]
	v_fma_f64 v[28:29], v[28:29], v[30:31], v[32:33]
	v_add_f64 v[10:11], v[10:11], v[26:27]
	v_add_f64 v[12:13], v[12:13], v[28:29]
.LBB86_105:
	s_or_b64 exec, exec, s[56:57]
.LBB86_106:
	s_or_b64 exec, exec, s[18:19]
	v_mov_b32_e32 v26, 0x4000
	v_cmp_eq_u32_e64 s[14:15], 7, v21
	s_xor_b64 s[18:19], s[12:13], -1
	v_lshl_add_u32 v25, v25, 4, v26
	s_and_b64 s[58:59], s[14:15], s[18:19]
	s_and_saveexec_b64 s[12:13], s[58:59]
; %bb.107:
	v_xor_b32_e32 v27, 0x80000000, v11
	v_xor_b32_e32 v29, 0x80000000, v13
	v_mov_b32_e32 v26, v10
	v_mov_b32_e32 v28, v12
	ds_write_b128 v25, v[26:29]
; %bb.108:
	s_or_b64 exec, exec, s[12:13]
	v_cmp_ne_u32_e64 s[12:13], 7, v21
	s_and_b64 s[60:61], s[12:13], s[18:19]
	s_waitcnt lgkmcnt(0)
	s_barrier
	s_and_saveexec_b64 s[12:13], s[60:61]
	s_cbranch_execz .LBB86_110
; %bb.109:
	v_lshlrev_b32_e32 v30, 4, v21
	ds_read_b128 v[26:29], v25
	ds_read_b128 v[30:33], v30 offset:12032
	s_waitcnt lgkmcnt(0)
	v_mul_f64 v[34:35], v[28:29], v[32:33]
	v_mul_f64 v[32:33], v[26:27], v[32:33]
	v_fma_f64 v[26:27], v[26:27], v[30:31], -v[34:35]
	v_fma_f64 v[28:29], v[28:29], v[30:31], v[32:33]
	v_add_f64 v[10:11], v[10:11], -v[26:27]
	v_add_f64 v[12:13], v[12:13], -v[28:29]
.LBB86_110:
	s_or_b64 exec, exec, s[12:13]
	v_cmp_eq_u32_e64 s[12:13], 6, v21
	s_and_b64 s[62:63], s[12:13], s[18:19]
	s_barrier
	s_and_saveexec_b64 s[12:13], s[62:63]
; %bb.111:
	v_xor_b32_e32 v27, 0x80000000, v11
	v_xor_b32_e32 v29, 0x80000000, v13
	v_mov_b32_e32 v26, v10
	v_mov_b32_e32 v28, v12
	ds_write_b128 v25, v[26:29]
; %bb.112:
	s_or_b64 exec, exec, s[12:13]
	v_cmp_gt_u32_e64 s[12:13], 6, v21
	s_and_b64 s[64:65], s[12:13], s[18:19]
	s_waitcnt lgkmcnt(0)
	s_barrier
	s_and_saveexec_b64 s[12:13], s[64:65]
	s_cbranch_execz .LBB86_114
; %bb.113:
	v_lshlrev_b32_e32 v30, 4, v21
	ds_read_b128 v[26:29], v25
	ds_read_b128 v[30:33], v30 offset:11520
	s_waitcnt lgkmcnt(0)
	v_mul_f64 v[34:35], v[28:29], v[32:33]
	v_mul_f64 v[32:33], v[26:27], v[32:33]
	v_fma_f64 v[26:27], v[26:27], v[30:31], -v[34:35]
	v_fma_f64 v[28:29], v[28:29], v[30:31], v[32:33]
	v_add_f64 v[10:11], v[10:11], -v[26:27]
	v_add_f64 v[12:13], v[12:13], -v[28:29]
.LBB86_114:
	s_or_b64 exec, exec, s[12:13]
	v_cmp_eq_u32_e64 s[12:13], 5, v21
	s_and_b64 s[66:67], s[12:13], s[18:19]
	s_barrier
	s_and_saveexec_b64 s[12:13], s[66:67]
; %bb.115:
	v_xor_b32_e32 v27, 0x80000000, v11
	v_xor_b32_e32 v29, 0x80000000, v13
	v_mov_b32_e32 v26, v10
	v_mov_b32_e32 v28, v12
	ds_write_b128 v25, v[26:29]
; %bb.116:
	s_or_b64 exec, exec, s[12:13]
	v_cmp_gt_u32_e64 s[12:13], 5, v21
	;; [unrolled: 31-line block ×5, first 2 shown]
	s_and_b64 s[80:81], s[12:13], s[18:19]
	s_waitcnt lgkmcnt(0)
	s_barrier
	s_and_saveexec_b64 s[12:13], s[80:81]
	s_cbranch_execz .LBB86_130
; %bb.129:
	v_lshlrev_b32_e32 v30, 4, v21
	ds_read_b128 v[26:29], v25
	ds_read_b128 v[30:33], v30 offset:9472
	s_waitcnt lgkmcnt(0)
	v_mul_f64 v[34:35], v[28:29], v[32:33]
	v_mul_f64 v[32:33], v[26:27], v[32:33]
	v_fma_f64 v[26:27], v[26:27], v[30:31], -v[34:35]
	v_fma_f64 v[28:29], v[28:29], v[30:31], v[32:33]
	v_add_f64 v[10:11], v[10:11], -v[26:27]
	v_add_f64 v[12:13], v[12:13], -v[28:29]
.LBB86_130:
	s_or_b64 exec, exec, s[12:13]
	v_cmp_eq_u32_e64 s[12:13], 1, v21
	s_and_b64 s[82:83], s[12:13], s[18:19]
	s_barrier
	s_and_saveexec_b64 s[12:13], s[82:83]
; %bb.131:
	v_xor_b32_e32 v27, 0x80000000, v11
	v_xor_b32_e32 v29, 0x80000000, v13
	v_mov_b32_e32 v26, v10
	v_mov_b32_e32 v28, v12
	ds_write_b128 v25, v[26:29]
; %bb.132:
	s_or_b64 exec, exec, s[12:13]
	v_cmp_eq_u32_e64 s[12:13], 0, v21
	s_and_b64 s[56:57], s[12:13], s[18:19]
	s_waitcnt lgkmcnt(0)
	s_barrier
	s_and_saveexec_b64 s[12:13], s[56:57]
	s_cbranch_execz .LBB86_134
; %bb.133:
	v_mov_b32_e32 v30, 0
	ds_read_b128 v[26:29], v25
	ds_read_b128 v[30:33], v30 offset:8960
	s_waitcnt lgkmcnt(0)
	v_mul_f64 v[34:35], v[28:29], v[32:33]
	v_mul_f64 v[32:33], v[26:27], v[32:33]
	v_fma_f64 v[26:27], v[26:27], v[30:31], -v[34:35]
	v_fma_f64 v[28:29], v[28:29], v[30:31], v[32:33]
	v_add_f64 v[10:11], v[10:11], -v[26:27]
	v_add_f64 v[12:13], v[12:13], -v[28:29]
.LBB86_134:
	s_or_b64 exec, exec, s[12:13]
	s_barrier
	s_and_saveexec_b64 s[12:13], s[56:57]
; %bb.135:
	v_xor_b32_e32 v27, 0x80000000, v11
	v_xor_b32_e32 v29, 0x80000000, v13
	v_mov_b32_e32 v26, v10
	v_mov_b32_e32 v28, v12
	ds_write_b128 v25, v[26:29]
; %bb.136:
	s_or_b64 exec, exec, s[12:13]
	s_waitcnt lgkmcnt(0)
	s_barrier
	s_barrier
	s_and_saveexec_b64 s[12:13], s[8:9]
; %bb.137:
	v_lshlrev_b32_e32 v26, 4, v21
	v_lshl_or_b32 v26, v24, 9, v26
	ds_write_b128 v26, v[10:13] offset:12544
; %bb.138:
	s_or_b64 exec, exec, s[12:13]
	v_cmp_gt_u32_e64 s[12:13], 8, v0
	s_and_b64 s[84:85], s[10:11], s[12:13]
	s_waitcnt lgkmcnt(0)
	s_barrier
	s_barrier
	s_and_saveexec_b64 s[12:13], s[84:85]
	s_cbranch_execz .LBB86_140
; %bb.139:
	v_lshlrev_b32_e32 v26, 9, v0
	ds_read_b128 v[10:13], v26 offset:12544
	s_movk_i32 s14, 0xfe10
	v_mad_i32_i24 v27, v0, s14, v26
	s_waitcnt lgkmcnt(0)
	ds_write_b128 v27, v[10:13] offset:8576
	ds_read_b128 v[10:13], v26 offset:12560
	s_waitcnt lgkmcnt(0)
	ds_write_b128 v27, v[10:13] offset:9088
	ds_read_b128 v[10:13], v26 offset:12576
	;; [unrolled: 3-line block ×7, first 2 shown]
	s_waitcnt lgkmcnt(0)
	ds_write_b128 v27, v[10:13] offset:12160
.LBB86_140:
	s_or_b64 exec, exec, s[12:13]
	s_waitcnt lgkmcnt(0)
	s_barrier
	s_and_saveexec_b64 s[12:13], vcc
	s_cbranch_execz .LBB86_142
; %bb.141:
	v_mov_b32_e32 v30, 0
	s_mov_b32 s92, 0
	ds_read_b128 v[10:13], v30 offset:12128
	s_mov_b32 s93, 0x3ff00000
	s_mov_b32 s94, s92
	;; [unrolled: 1-line block ×3, first 2 shown]
	v_mov_b32_e32 v26, s92
	v_mov_b32_e32 v27, s93
	;; [unrolled: 1-line block ×4, first 2 shown]
	ds_write_b128 v30, v[26:29] offset:11616
	ds_write_b128 v30, v[26:29] offset:12144
	s_waitcnt lgkmcnt(2)
	ds_write_b128 v30, v[10:13] offset:11632
.LBB86_142:
	s_or_b64 exec, exec, s[12:13]
	v_mov_b32_e32 v10, 0
	v_mov_b32_e32 v12, 0
	;; [unrolled: 1-line block ×4, first 2 shown]
	s_waitcnt lgkmcnt(0)
	s_barrier
	buffer_wbinvl1_vol
	s_and_saveexec_b64 s[14:15], s[2:3]
	s_cbranch_execz .LBB86_146
; %bb.143:
	v_lshlrev_b32_e32 v26, 4, v14
	v_lshlrev_b32_e32 v10, 9, v15
	ds_read_b128 v[10:13], v10 offset:11616
	ds_read_b128 v[26:29], v26 offset:11584
	v_cmp_gt_u32_e64 s[12:13], 2, v17
	s_waitcnt lgkmcnt(0)
	v_mul_f64 v[30:31], v[12:13], v[28:29]
	v_mul_f64 v[28:29], v[10:11], v[28:29]
	v_fma_f64 v[10:11], v[10:11], v[26:27], -v[30:31]
	v_fma_f64 v[12:13], v[12:13], v[26:27], v[28:29]
	v_add_f64 v[10:11], v[10:11], 0
	v_add_f64 v[12:13], v[12:13], 0
	s_and_saveexec_b64 s[18:19], s[12:13]
	s_cbranch_execz .LBB86_145
; %bb.144:
	v_lshlrev_b32_e32 v30, 4, v0
	v_mov_b32_e32 v26, 0
	ds_read_b128 v[26:29], v26 offset:12144
	ds_read_b128 v[30:33], v30 offset:12096
	s_waitcnt lgkmcnt(0)
	v_mul_f64 v[34:35], v[28:29], v[32:33]
	v_mul_f64 v[32:33], v[26:27], v[32:33]
	v_fma_f64 v[26:27], v[26:27], v[30:31], -v[34:35]
	v_fma_f64 v[28:29], v[28:29], v[30:31], v[32:33]
	v_add_f64 v[10:11], v[10:11], v[26:27]
	v_add_f64 v[12:13], v[12:13], v[28:29]
.LBB86_145:
	s_or_b64 exec, exec, s[18:19]
.LBB86_146:
	s_or_b64 exec, exec, s[14:15]
	s_and_saveexec_b64 s[12:13], s[38:39]
; %bb.147:
	v_xor_b32_e32 v27, 0x80000000, v11
	v_xor_b32_e32 v29, 0x80000000, v13
	v_mov_b32_e32 v26, v10
	v_mov_b32_e32 v28, v12
	ds_write_b128 v16, v[26:29]
; %bb.148:
	s_or_b64 exec, exec, s[12:13]
	s_waitcnt lgkmcnt(0)
	s_barrier
	s_and_saveexec_b64 s[12:13], s[36:37]
	s_cbranch_execz .LBB86_150
; %bb.149:
	v_mov_b32_e32 v30, 0
	ds_read_b128 v[26:29], v16
	ds_read_b128 v[30:33], v30 offset:11072
	s_waitcnt lgkmcnt(0)
	v_mul_f64 v[34:35], v[26:27], v[30:31]
	v_mul_f64 v[26:27], v[26:27], v[32:33]
	v_fma_f64 v[32:33], v[28:29], v[32:33], -v[34:35]
	v_fma_f64 v[26:27], v[28:29], v[30:31], v[26:27]
	v_add_f64 v[10:11], v[10:11], v[32:33]
	v_add_f64 v[12:13], v[12:13], -v[26:27]
.LBB86_150:
	s_or_b64 exec, exec, s[12:13]
	s_barrier
	s_and_saveexec_b64 s[12:13], s[36:37]
; %bb.151:
	v_xor_b32_e32 v27, 0x80000000, v11
	v_xor_b32_e32 v29, 0x80000000, v13
	v_mov_b32_e32 v26, v10
	v_mov_b32_e32 v28, v12
	ds_write_b128 v16, v[26:29]
; %bb.152:
	s_or_b64 exec, exec, s[12:13]
	s_waitcnt lgkmcnt(0)
	s_barrier
	s_barrier
	s_and_saveexec_b64 s[12:13], s[2:3]
; %bb.153:
	v_lshlrev_b32_e32 v26, 4, v14
	v_lshl_or_b32 v26, v15, 9, v26
	ds_write_b128 v26, v[10:13] offset:11584
; %bb.154:
	s_or_b64 exec, exec, s[12:13]
	s_waitcnt lgkmcnt(0)
	s_barrier
	s_barrier
	s_and_saveexec_b64 s[12:13], s[40:41]
	s_cbranch_execz .LBB86_156
; %bb.155:
	v_lshlrev_b32_e32 v26, 9, v0
	ds_read_b128 v[10:13], v26 offset:11584
	s_movk_i32 s14, 0xfe10
	v_mad_i32_i24 v27, v0, s14, v26
	s_waitcnt lgkmcnt(0)
	ds_write_b128 v27, v[10:13] offset:10592
	ds_read_b128 v[10:13], v26 offset:11600
	s_waitcnt lgkmcnt(0)
	ds_write_b128 v27, v[10:13] offset:11104
.LBB86_156:
	s_or_b64 exec, exec, s[12:13]
	s_waitcnt lgkmcnt(0)
	s_barrier
	s_and_saveexec_b64 s[12:13], vcc
	s_cbranch_execz .LBB86_158
; %bb.157:
	v_mov_b32_e32 v30, 0
	s_mov_b32 s92, 0
	ds_read_b128 v[10:13], v30 offset:11072
	s_mov_b32 s93, 0x3ff00000
	s_mov_b32 s94, s92
	;; [unrolled: 1-line block ×3, first 2 shown]
	v_mov_b32_e32 v26, s92
	v_mov_b32_e32 v27, s93
	;; [unrolled: 1-line block ×4, first 2 shown]
	ds_write_b128 v30, v[26:29] offset:10560
	ds_write_b128 v30, v[26:29] offset:11088
	s_waitcnt lgkmcnt(2)
	ds_write_b128 v30, v[10:13] offset:10576
.LBB86_158:
	s_or_b64 exec, exec, s[12:13]
	v_mov_b32_e32 v12, 0
	v_mov_b32_e32 v10, 0
	;; [unrolled: 1-line block ×4, first 2 shown]
	s_waitcnt lgkmcnt(0)
	s_barrier
	buffer_wbinvl1_vol
	s_and_saveexec_b64 s[14:15], s[16:17]
	s_cbranch_execz .LBB86_164
; %bb.159:
	v_lshlrev_b32_e32 v27, 9, v19
	v_lshlrev_b32_e32 v26, 4, v18
	ds_read_b128 v[10:13], v27 offset:10560
	ds_read_b128 v[28:31], v26 offset:10496
	v_cmp_gt_u32_e64 s[12:13], 12, v17
	s_waitcnt lgkmcnt(0)
	v_mul_f64 v[32:33], v[12:13], v[30:31]
	v_mul_f64 v[30:31], v[10:11], v[30:31]
	v_fma_f64 v[10:11], v[10:11], v[28:29], -v[32:33]
	v_fma_f64 v[12:13], v[12:13], v[28:29], v[30:31]
	v_add_f64 v[10:11], v[10:11], 0
	v_add_f64 v[12:13], v[12:13], 0
	s_and_saveexec_b64 s[18:19], s[12:13]
	s_cbranch_execnz .LBB86_527
; %bb.160:
	s_or_b64 exec, exec, s[18:19]
	v_cmp_gt_u32_e64 s[12:13], 8, v17
	s_and_saveexec_b64 s[18:19], s[12:13]
	s_cbranch_execnz .LBB86_528
.LBB86_161:
	s_or_b64 exec, exec, s[18:19]
	v_cmp_gt_u32_e64 s[12:13], 4, v17
	s_and_saveexec_b64 s[18:19], s[12:13]
	s_cbranch_execz .LBB86_163
.LBB86_162:
	v_lshlrev_b32_e32 v30, 4, v0
	v_mov_b32_e32 v26, 0
	ds_read_b128 v[26:29], v26 offset:12144
	ds_read_b128 v[30:33], v30 offset:12032
	s_waitcnt lgkmcnt(0)
	v_mul_f64 v[34:35], v[28:29], v[32:33]
	v_mul_f64 v[32:33], v[26:27], v[32:33]
	v_fma_f64 v[26:27], v[26:27], v[30:31], -v[34:35]
	v_fma_f64 v[28:29], v[28:29], v[30:31], v[32:33]
	v_add_f64 v[10:11], v[10:11], v[26:27]
	v_add_f64 v[12:13], v[12:13], v[28:29]
.LBB86_163:
	s_or_b64 exec, exec, s[18:19]
.LBB86_164:
	s_or_b64 exec, exec, s[14:15]
	s_and_saveexec_b64 s[12:13], s[44:45]
; %bb.165:
	v_xor_b32_e32 v29, 0x80000000, v13
	v_xor_b32_e32 v27, 0x80000000, v11
	v_mov_b32_e32 v26, v10
	v_mov_b32_e32 v28, v12
	ds_write_b128 v20, v[26:29]
; %bb.166:
	s_or_b64 exec, exec, s[12:13]
	s_waitcnt lgkmcnt(0)
	s_barrier
	s_and_saveexec_b64 s[12:13], s[46:47]
	s_cbranch_execz .LBB86_168
; %bb.167:
	v_lshlrev_b32_e32 v30, 4, v18
	ds_read_b128 v[26:29], v20
	ds_read_b128 v[30:33], v30 offset:9984
	s_waitcnt lgkmcnt(0)
	v_mul_f64 v[34:35], v[28:29], v[32:33]
	v_mul_f64 v[32:33], v[26:27], v[32:33]
	v_fma_f64 v[26:27], v[26:27], v[30:31], -v[34:35]
	v_fma_f64 v[28:29], v[28:29], v[30:31], v[32:33]
	v_add_f64 v[10:11], v[10:11], -v[26:27]
	v_add_f64 v[12:13], v[12:13], -v[28:29]
.LBB86_168:
	s_or_b64 exec, exec, s[12:13]
	s_barrier
	s_and_saveexec_b64 s[12:13], s[48:49]
; %bb.169:
	v_xor_b32_e32 v29, 0x80000000, v13
	v_xor_b32_e32 v27, 0x80000000, v11
	v_mov_b32_e32 v26, v10
	v_mov_b32_e32 v28, v12
	ds_write_b128 v20, v[26:29]
; %bb.170:
	s_or_b64 exec, exec, s[12:13]
	s_waitcnt lgkmcnt(0)
	s_barrier
	s_and_saveexec_b64 s[12:13], s[50:51]
	s_cbranch_execz .LBB86_172
; %bb.171:
	v_lshlrev_b32_e32 v30, 4, v18
	ds_read_b128 v[26:29], v20
	ds_read_b128 v[30:33], v30 offset:9472
	s_waitcnt lgkmcnt(0)
	v_mul_f64 v[34:35], v[28:29], v[32:33]
	v_mul_f64 v[32:33], v[26:27], v[32:33]
	v_fma_f64 v[26:27], v[26:27], v[30:31], -v[34:35]
	v_fma_f64 v[28:29], v[28:29], v[30:31], v[32:33]
	v_add_f64 v[10:11], v[10:11], -v[26:27]
	v_add_f64 v[12:13], v[12:13], -v[28:29]
.LBB86_172:
	s_or_b64 exec, exec, s[12:13]
	s_barrier
	s_and_saveexec_b64 s[12:13], s[52:53]
; %bb.173:
	v_xor_b32_e32 v29, 0x80000000, v13
	v_xor_b32_e32 v27, 0x80000000, v11
	v_mov_b32_e32 v26, v10
	v_mov_b32_e32 v28, v12
	ds_write_b128 v20, v[26:29]
; %bb.174:
	s_or_b64 exec, exec, s[12:13]
	s_waitcnt lgkmcnt(0)
	s_barrier
	s_and_saveexec_b64 s[12:13], s[42:43]
	s_cbranch_execz .LBB86_176
; %bb.175:
	v_mov_b32_e32 v30, 0
	ds_read_b128 v[26:29], v20
	ds_read_b128 v[30:33], v30 offset:8960
	s_waitcnt lgkmcnt(0)
	v_mul_f64 v[34:35], v[28:29], v[32:33]
	v_mul_f64 v[32:33], v[26:27], v[32:33]
	v_fma_f64 v[26:27], v[26:27], v[30:31], -v[34:35]
	v_fma_f64 v[28:29], v[28:29], v[30:31], v[32:33]
	v_add_f64 v[10:11], v[10:11], -v[26:27]
	v_add_f64 v[12:13], v[12:13], -v[28:29]
.LBB86_176:
	s_or_b64 exec, exec, s[12:13]
	s_barrier
	s_and_saveexec_b64 s[12:13], s[42:43]
; %bb.177:
	v_xor_b32_e32 v29, 0x80000000, v13
	v_xor_b32_e32 v27, 0x80000000, v11
	v_mov_b32_e32 v26, v10
	v_mov_b32_e32 v28, v12
	ds_write_b128 v20, v[26:29]
; %bb.178:
	s_or_b64 exec, exec, s[12:13]
	s_waitcnt lgkmcnt(0)
	s_barrier
	s_barrier
	s_and_saveexec_b64 s[12:13], s[16:17]
; %bb.179:
	v_lshlrev_b32_e32 v26, 4, v18
	v_lshl_or_b32 v26, v19, 9, v26
	ds_write_b128 v26, v[10:13] offset:10496
; %bb.180:
	s_or_b64 exec, exec, s[12:13]
	s_waitcnt lgkmcnt(0)
	s_barrier
	s_barrier
	s_and_saveexec_b64 s[12:13], s[54:55]
	s_cbranch_execz .LBB86_182
; %bb.181:
	v_lshlrev_b32_e32 v26, 4, v0
	s_movk_i32 s14, 0x1f0
	v_mad_u32_u24 v27, v0, s14, v26
	ds_read_b128 v[10:13], v27 offset:10496
	s_waitcnt lgkmcnt(0)
	ds_write_b128 v26, v[10:13] offset:8512
	ds_read_b128 v[10:13], v27 offset:10512
	s_waitcnt lgkmcnt(0)
	ds_write_b128 v26, v[10:13] offset:9024
	;; [unrolled: 3-line block ×4, first 2 shown]
.LBB86_182:
	s_or_b64 exec, exec, s[12:13]
	s_waitcnt lgkmcnt(0)
	s_barrier
	s_and_saveexec_b64 s[12:13], vcc
	s_cbranch_execz .LBB86_184
; %bb.183:
	v_mov_b32_e32 v30, 0
	s_mov_b32 s92, 0
	ds_read_b128 v[10:13], v30 offset:10016
	s_mov_b32 s93, 0x3ff00000
	s_mov_b32 s94, s92
	;; [unrolled: 1-line block ×3, first 2 shown]
	v_mov_b32_e32 v26, s92
	v_mov_b32_e32 v27, s93
	;; [unrolled: 1-line block ×4, first 2 shown]
	ds_write_b128 v30, v[26:29] offset:9504
	ds_write_b128 v30, v[26:29] offset:10032
	s_waitcnt lgkmcnt(2)
	ds_write_b128 v30, v[10:13] offset:9520
.LBB86_184:
	s_or_b64 exec, exec, s[12:13]
	v_mov_b32_e32 v10, 0
	v_mov_b32_e32 v12, 0
	;; [unrolled: 1-line block ×4, first 2 shown]
	s_waitcnt lgkmcnt(0)
	s_barrier
	buffer_wbinvl1_vol
	s_and_saveexec_b64 s[14:15], s[2:3]
	s_cbranch_execz .LBB86_188
; %bb.185:
	v_lshlrev_b32_e32 v26, 4, v14
	v_lshlrev_b32_e32 v10, 9, v15
	ds_read_b128 v[10:13], v10 offset:9504
	ds_read_b128 v[26:29], v26 offset:9472
	v_cmp_gt_u32_e64 s[12:13], 2, v17
	s_waitcnt lgkmcnt(0)
	v_mul_f64 v[30:31], v[12:13], v[28:29]
	v_mul_f64 v[28:29], v[10:11], v[28:29]
	v_fma_f64 v[10:11], v[10:11], v[26:27], -v[30:31]
	v_fma_f64 v[12:13], v[12:13], v[26:27], v[28:29]
	v_add_f64 v[10:11], v[10:11], 0
	v_add_f64 v[12:13], v[12:13], 0
	s_and_saveexec_b64 s[18:19], s[12:13]
	s_cbranch_execz .LBB86_187
; %bb.186:
	v_lshlrev_b32_e32 v30, 4, v0
	v_mov_b32_e32 v26, 0
	ds_read_b128 v[26:29], v26 offset:10032
	ds_read_b128 v[30:33], v30 offset:9984
	s_waitcnt lgkmcnt(0)
	v_mul_f64 v[34:35], v[28:29], v[32:33]
	v_mul_f64 v[32:33], v[26:27], v[32:33]
	v_fma_f64 v[26:27], v[26:27], v[30:31], -v[34:35]
	v_fma_f64 v[28:29], v[28:29], v[30:31], v[32:33]
	v_add_f64 v[10:11], v[10:11], v[26:27]
	v_add_f64 v[12:13], v[12:13], v[28:29]
.LBB86_187:
	s_or_b64 exec, exec, s[18:19]
.LBB86_188:
	s_or_b64 exec, exec, s[14:15]
	s_and_saveexec_b64 s[12:13], s[38:39]
; %bb.189:
	v_xor_b32_e32 v27, 0x80000000, v11
	v_xor_b32_e32 v29, 0x80000000, v13
	v_mov_b32_e32 v26, v10
	v_mov_b32_e32 v28, v12
	ds_write_b128 v16, v[26:29]
; %bb.190:
	s_or_b64 exec, exec, s[12:13]
	s_waitcnt lgkmcnt(0)
	s_barrier
	s_and_saveexec_b64 s[12:13], s[36:37]
	s_cbranch_execz .LBB86_192
; %bb.191:
	v_mov_b32_e32 v30, 0
	ds_read_b128 v[26:29], v16
	ds_read_b128 v[30:33], v30 offset:8960
	s_waitcnt lgkmcnt(0)
	v_mul_f64 v[34:35], v[26:27], v[30:31]
	v_mul_f64 v[26:27], v[26:27], v[32:33]
	v_fma_f64 v[32:33], v[28:29], v[32:33], -v[34:35]
	v_fma_f64 v[26:27], v[28:29], v[30:31], v[26:27]
	v_add_f64 v[10:11], v[10:11], v[32:33]
	v_add_f64 v[12:13], v[12:13], -v[26:27]
.LBB86_192:
	s_or_b64 exec, exec, s[12:13]
	s_barrier
	s_and_saveexec_b64 s[12:13], s[36:37]
; %bb.193:
	v_xor_b32_e32 v27, 0x80000000, v11
	v_xor_b32_e32 v29, 0x80000000, v13
	v_mov_b32_e32 v26, v10
	v_mov_b32_e32 v28, v12
	ds_write_b128 v16, v[26:29]
; %bb.194:
	s_or_b64 exec, exec, s[12:13]
	s_waitcnt lgkmcnt(0)
	s_barrier
	s_barrier
	s_and_saveexec_b64 s[12:13], s[2:3]
; %bb.195:
	v_lshlrev_b32_e32 v26, 4, v14
	v_lshl_or_b32 v26, v15, 9, v26
	ds_write_b128 v26, v[10:13] offset:9472
; %bb.196:
	s_or_b64 exec, exec, s[12:13]
	s_waitcnt lgkmcnt(0)
	s_barrier
	s_barrier
	s_and_saveexec_b64 s[12:13], s[40:41]
	s_cbranch_execz .LBB86_198
; %bb.197:
	v_lshlrev_b32_e32 v26, 9, v0
	ds_read_b128 v[10:13], v26 offset:9472
	s_movk_i32 s14, 0xfe10
	v_mad_i32_i24 v27, v0, s14, v26
	s_waitcnt lgkmcnt(0)
	ds_write_b128 v27, v[10:13] offset:8480
	ds_read_b128 v[10:13], v26 offset:9488
	s_waitcnt lgkmcnt(0)
	ds_write_b128 v27, v[10:13] offset:8992
.LBB86_198:
	s_or_b64 exec, exec, s[12:13]
	s_waitcnt lgkmcnt(0)
	s_barrier
	s_and_saveexec_b64 s[12:13], vcc
	s_cbranch_execz .LBB86_200
; %bb.199:
	v_mov_b32_e32 v30, 0
	s_mov_b32 s92, 0
	ds_read_b128 v[10:13], v30 offset:8960
	s_mov_b32 s93, 0x3ff00000
	s_mov_b32 s94, s92
	;; [unrolled: 1-line block ×3, first 2 shown]
	v_mov_b32_e32 v26, s92
	v_mov_b32_e32 v27, s93
	;; [unrolled: 1-line block ×4, first 2 shown]
	ds_write_b128 v30, v[26:29] offset:8448
	ds_write_b128 v30, v[26:29] offset:8976
	s_waitcnt lgkmcnt(2)
	ds_write_b128 v30, v[10:13] offset:8464
.LBB86_200:
	s_or_b64 exec, exec, s[12:13]
	s_movk_i32 s12, 0xff
	v_lshrrev_b32_e32 v28, 4, v17
	v_cmp_lt_u32_e64 s[14:15], s12, v17
	s_movk_i32 s12, 0x100
	v_mov_b32_e32 v12, 0
	v_mov_b32_e32 v10, 0
	v_and_b32_e32 v26, 15, v0
	v_sub_u32_e32 v27, 15, v28
	v_mov_b32_e32 v13, 0
	v_mov_b32_e32 v11, 0
	v_cmp_gt_u32_e64 s[12:13], s12, v17
	s_waitcnt lgkmcnt(0)
	s_barrier
	buffer_wbinvl1_vol
	s_and_saveexec_b64 s[86:87], s[12:13]
	s_cbranch_execz .LBB86_228
; %bb.201:
	v_lshlrev_b32_e32 v30, 9, v27
	v_lshlrev_b32_e32 v29, 4, v26
	ds_read_b128 v[10:13], v30 offset:8448
	ds_read_b128 v[31:34], v29 offset:8192
	s_movk_i32 s18, 0xf0
	v_cmp_gt_u32_e64 s[18:19], s18, v17
	s_waitcnt lgkmcnt(0)
	v_mul_f64 v[35:36], v[12:13], v[33:34]
	v_mul_f64 v[33:34], v[10:11], v[33:34]
	v_fma_f64 v[10:11], v[10:11], v[31:32], -v[35:36]
	v_fma_f64 v[12:13], v[12:13], v[31:32], v[33:34]
	v_add_f64 v[10:11], v[10:11], 0
	v_add_f64 v[12:13], v[12:13], 0
	s_and_saveexec_b64 s[88:89], s[18:19]
	s_cbranch_execz .LBB86_203
; %bb.202:
	ds_read_b128 v[31:34], v30 offset:8464
	ds_read_b128 v[35:38], v29 offset:8704
	s_waitcnt lgkmcnt(0)
	v_mul_f64 v[39:40], v[33:34], v[37:38]
	v_mul_f64 v[37:38], v[31:32], v[37:38]
	v_fma_f64 v[31:32], v[31:32], v[35:36], -v[39:40]
	v_fma_f64 v[33:34], v[33:34], v[35:36], v[37:38]
	v_add_f64 v[10:11], v[10:11], v[31:32]
	v_add_f64 v[12:13], v[12:13], v[33:34]
.LBB86_203:
	s_or_b64 exec, exec, s[88:89]
	s_movk_i32 s18, 0xe0
	v_cmp_gt_u32_e64 s[18:19], s18, v17
	s_and_saveexec_b64 s[88:89], s[18:19]
	s_cbranch_execz .LBB86_205
; %bb.204:
	ds_read_b128 v[31:34], v30 offset:8480
	ds_read_b128 v[35:38], v29 offset:9216
	s_waitcnt lgkmcnt(0)
	v_mul_f64 v[39:40], v[33:34], v[37:38]
	v_mul_f64 v[37:38], v[31:32], v[37:38]
	v_fma_f64 v[31:32], v[31:32], v[35:36], -v[39:40]
	v_fma_f64 v[33:34], v[33:34], v[35:36], v[37:38]
	v_add_f64 v[10:11], v[10:11], v[31:32]
	v_add_f64 v[12:13], v[12:13], v[33:34]
.LBB86_205:
	s_or_b64 exec, exec, s[88:89]
	s_movk_i32 s18, 0xd0
	v_cmp_gt_u32_e64 s[18:19], s18, v17
	;; [unrolled: 16-line block ×10, first 2 shown]
	s_and_saveexec_b64 s[88:89], s[18:19]
	s_cbranch_execnz .LBB86_529
; %bb.222:
	s_or_b64 exec, exec, s[88:89]
	s_and_saveexec_b64 s[18:19], s[8:9]
	s_cbranch_execnz .LBB86_530
.LBB86_223:
	s_or_b64 exec, exec, s[18:19]
	v_cmp_gt_u32_e64 s[18:19], 48, v17
	s_and_saveexec_b64 s[88:89], s[18:19]
	s_cbranch_execnz .LBB86_531
.LBB86_224:
	s_or_b64 exec, exec, s[88:89]
	v_cmp_gt_u32_e64 s[18:19], 32, v17
	s_and_saveexec_b64 s[88:89], s[18:19]
	s_cbranch_execnz .LBB86_532
.LBB86_225:
	s_or_b64 exec, exec, s[88:89]
	v_cmp_gt_u32_e64 s[18:19], 16, v17
	s_and_saveexec_b64 s[88:89], s[18:19]
	s_cbranch_execz .LBB86_227
.LBB86_226:
	v_lshlrev_b32_e32 v33, 4, v0
	v_mov_b32_e32 v29, 0
	ds_read_b128 v[29:32], v29 offset:16368
	ds_read_b128 v[33:36], v33 offset:15872
	s_waitcnt lgkmcnt(0)
	v_mul_f64 v[37:38], v[31:32], v[35:36]
	v_mul_f64 v[35:36], v[29:30], v[35:36]
	v_fma_f64 v[29:30], v[29:30], v[33:34], -v[37:38]
	v_fma_f64 v[31:32], v[31:32], v[33:34], v[35:36]
	v_add_f64 v[10:11], v[10:11], v[29:30]
	v_add_f64 v[12:13], v[12:13], v[31:32]
.LBB86_227:
	s_or_b64 exec, exec, s[88:89]
.LBB86_228:
	s_or_b64 exec, exec, s[86:87]
	v_mov_b32_e32 v29, 0x4000
	v_cmp_eq_u32_e64 s[18:19], 15, v26
	s_xor_b64 s[86:87], s[14:15], -1
	v_lshl_add_u32 v28, v28, 4, v29
	s_and_b64 s[18:19], s[18:19], s[86:87]
	s_and_saveexec_b64 s[14:15], s[18:19]
; %bb.229:
	v_xor_b32_e32 v32, 0x80000000, v13
	v_xor_b32_e32 v30, 0x80000000, v11
	v_mov_b32_e32 v29, v10
	v_mov_b32_e32 v31, v12
	ds_write_b128 v28, v[29:32]
; %bb.230:
	s_or_b64 exec, exec, s[14:15]
	v_cmp_ne_u32_e64 s[14:15], 15, v26
	s_and_b64 s[18:19], s[14:15], s[86:87]
	s_waitcnt lgkmcnt(0)
	s_barrier
	s_and_saveexec_b64 s[14:15], s[18:19]
	s_cbranch_execz .LBB86_232
; %bb.231:
	v_lshlrev_b32_e32 v33, 4, v26
	ds_read_b128 v[29:32], v28
	ds_read_b128 v[33:36], v33 offset:7680
	s_waitcnt lgkmcnt(0)
	v_mul_f64 v[37:38], v[31:32], v[35:36]
	v_mul_f64 v[35:36], v[29:30], v[35:36]
	v_fma_f64 v[29:30], v[29:30], v[33:34], -v[37:38]
	v_fma_f64 v[31:32], v[31:32], v[33:34], v[35:36]
	v_add_f64 v[10:11], v[10:11], -v[29:30]
	v_add_f64 v[12:13], v[12:13], -v[31:32]
.LBB86_232:
	s_or_b64 exec, exec, s[14:15]
	v_cmp_eq_u32_e64 s[14:15], 14, v26
	s_and_b64 s[18:19], s[14:15], s[86:87]
	s_barrier
	s_and_saveexec_b64 s[14:15], s[18:19]
; %bb.233:
	v_xor_b32_e32 v32, 0x80000000, v13
	v_xor_b32_e32 v30, 0x80000000, v11
	v_mov_b32_e32 v29, v10
	v_mov_b32_e32 v31, v12
	ds_write_b128 v28, v[29:32]
; %bb.234:
	s_or_b64 exec, exec, s[14:15]
	v_cmp_gt_u32_e64 s[14:15], 14, v26
	s_and_b64 s[18:19], s[14:15], s[86:87]
	s_waitcnt lgkmcnt(0)
	s_barrier
	s_and_saveexec_b64 s[14:15], s[18:19]
	s_cbranch_execz .LBB86_236
; %bb.235:
	v_lshlrev_b32_e32 v33, 4, v26
	ds_read_b128 v[29:32], v28
	ds_read_b128 v[33:36], v33 offset:7168
	s_waitcnt lgkmcnt(0)
	v_mul_f64 v[37:38], v[31:32], v[35:36]
	v_mul_f64 v[35:36], v[29:30], v[35:36]
	v_fma_f64 v[29:30], v[29:30], v[33:34], -v[37:38]
	v_fma_f64 v[31:32], v[31:32], v[33:34], v[35:36]
	v_add_f64 v[10:11], v[10:11], -v[29:30]
	v_add_f64 v[12:13], v[12:13], -v[31:32]
.LBB86_236:
	s_or_b64 exec, exec, s[14:15]
	v_cmp_eq_u32_e64 s[14:15], 13, v26
	s_and_b64 s[18:19], s[14:15], s[86:87]
	s_barrier
	s_and_saveexec_b64 s[14:15], s[18:19]
; %bb.237:
	v_xor_b32_e32 v32, 0x80000000, v13
	v_xor_b32_e32 v30, 0x80000000, v11
	v_mov_b32_e32 v29, v10
	v_mov_b32_e32 v31, v12
	ds_write_b128 v28, v[29:32]
; %bb.238:
	s_or_b64 exec, exec, s[14:15]
	v_cmp_gt_u32_e64 s[14:15], 13, v26
	;; [unrolled: 31-line block ×13, first 2 shown]
	s_and_b64 s[18:19], s[14:15], s[86:87]
	s_waitcnt lgkmcnt(0)
	s_barrier
	s_and_saveexec_b64 s[14:15], s[18:19]
	s_cbranch_execz .LBB86_284
; %bb.283:
	v_lshlrev_b32_e32 v33, 4, v26
	ds_read_b128 v[29:32], v28
	ds_read_b128 v[33:36], v33 offset:1024
	s_waitcnt lgkmcnt(0)
	v_mul_f64 v[37:38], v[31:32], v[35:36]
	v_mul_f64 v[35:36], v[29:30], v[35:36]
	v_fma_f64 v[29:30], v[29:30], v[33:34], -v[37:38]
	v_fma_f64 v[31:32], v[31:32], v[33:34], v[35:36]
	v_add_f64 v[10:11], v[10:11], -v[29:30]
	v_add_f64 v[12:13], v[12:13], -v[31:32]
.LBB86_284:
	s_or_b64 exec, exec, s[14:15]
	v_cmp_eq_u32_e64 s[14:15], 1, v26
	s_and_b64 s[18:19], s[14:15], s[86:87]
	s_barrier
	s_and_saveexec_b64 s[14:15], s[18:19]
; %bb.285:
	v_xor_b32_e32 v32, 0x80000000, v13
	v_xor_b32_e32 v30, 0x80000000, v11
	v_mov_b32_e32 v29, v10
	v_mov_b32_e32 v31, v12
	ds_write_b128 v28, v[29:32]
; %bb.286:
	s_or_b64 exec, exec, s[14:15]
	v_cmp_eq_u32_e64 s[14:15], 0, v26
	s_and_b64 s[14:15], s[14:15], s[86:87]
	s_waitcnt lgkmcnt(0)
	s_barrier
	s_and_saveexec_b64 s[18:19], s[14:15]
	s_cbranch_execz .LBB86_288
; %bb.287:
	v_mov_b32_e32 v33, 0
	ds_read_b128 v[29:32], v28
	ds_read_b128 v[33:36], v33 offset:512
	s_waitcnt lgkmcnt(0)
	v_mul_f64 v[37:38], v[31:32], v[35:36]
	v_mul_f64 v[35:36], v[29:30], v[35:36]
	v_fma_f64 v[29:30], v[29:30], v[33:34], -v[37:38]
	v_fma_f64 v[31:32], v[31:32], v[33:34], v[35:36]
	v_add_f64 v[10:11], v[10:11], -v[29:30]
	v_add_f64 v[12:13], v[12:13], -v[31:32]
.LBB86_288:
	s_or_b64 exec, exec, s[18:19]
	s_barrier
	s_and_saveexec_b64 s[18:19], s[14:15]
; %bb.289:
	v_xor_b32_e32 v32, 0x80000000, v13
	v_xor_b32_e32 v30, 0x80000000, v11
	v_mov_b32_e32 v29, v10
	v_mov_b32_e32 v31, v12
	ds_write_b128 v28, v[29:32]
; %bb.290:
	s_or_b64 exec, exec, s[18:19]
	s_waitcnt lgkmcnt(0)
	s_barrier
	s_barrier
	s_and_saveexec_b64 s[14:15], s[12:13]
; %bb.291:
	v_lshlrev_b32_e32 v26, 4, v26
	v_lshl_or_b32 v26, v27, 9, v26
	ds_write_b128 v26, v[10:13] offset:8192
; %bb.292:
	s_or_b64 exec, exec, s[14:15]
	v_cmp_gt_u32_e64 s[12:13], 16, v0
	s_and_b64 s[12:13], s[10:11], s[12:13]
	s_waitcnt lgkmcnt(0)
	s_barrier
	s_barrier
	s_and_saveexec_b64 s[10:11], s[12:13]
	s_cbranch_execz .LBB86_294
; %bb.293:
	v_lshlrev_b32_e32 v26, 9, v0
	ds_read_b128 v[10:13], v26 offset:8192
	s_movk_i32 s12, 0xfe10
	v_mad_i32_i24 v27, v0, s12, v26
	s_waitcnt lgkmcnt(0)
	ds_write_b128 v27, v[10:13] offset:256
	ds_read_b128 v[10:13], v26 offset:8208
	s_waitcnt lgkmcnt(0)
	ds_write_b128 v27, v[10:13] offset:768
	ds_read_b128 v[10:13], v26 offset:8224
	;; [unrolled: 3-line block ×15, first 2 shown]
	s_waitcnt lgkmcnt(0)
	ds_write_b128 v27, v[10:13] offset:7936
.LBB86_294:
	s_or_b64 exec, exec, s[10:11]
	s_waitcnt lgkmcnt(0)
	s_barrier
	s_and_saveexec_b64 s[10:11], vcc
	s_cbranch_execz .LBB86_296
; %bb.295:
	s_mov_b32 s12, 0
	v_mov_b32_e32 v30, 0
	ds_read_b128 v[10:13], v30 offset:7904
	s_mov_b32 s15, s12
	s_mov_b32 s13, 0x3ff00000
	;; [unrolled: 1-line block ×3, first 2 shown]
	v_mov_b32_e32 v29, s15
	v_mov_b32_e32 v28, s14
	;; [unrolled: 1-line block ×4, first 2 shown]
	ds_write_b128 v30, v[26:29] offset:7392
	ds_write_b128 v30, v[26:29] offset:7920
	s_waitcnt lgkmcnt(2)
	ds_write_b128 v30, v[10:13] offset:7408
.LBB86_296:
	s_or_b64 exec, exec, s[10:11]
	v_mov_b32_e32 v10, 0
	v_mov_b32_e32 v12, 0
	;; [unrolled: 1-line block ×4, first 2 shown]
	s_waitcnt lgkmcnt(0)
	s_barrier
	buffer_wbinvl1_vol
	s_and_saveexec_b64 s[12:13], s[2:3]
	s_cbranch_execz .LBB86_300
; %bb.297:
	v_lshlrev_b32_e32 v26, 4, v14
	v_lshlrev_b32_e32 v10, 9, v15
	ds_read_b128 v[10:13], v10 offset:7392
	ds_read_b128 v[26:29], v26 offset:7360
	v_cmp_gt_u32_e64 s[10:11], 2, v17
	s_waitcnt lgkmcnt(0)
	v_mul_f64 v[30:31], v[12:13], v[28:29]
	v_mul_f64 v[28:29], v[10:11], v[28:29]
	v_fma_f64 v[10:11], v[10:11], v[26:27], -v[30:31]
	v_fma_f64 v[12:13], v[12:13], v[26:27], v[28:29]
	v_add_f64 v[10:11], v[10:11], 0
	v_add_f64 v[12:13], v[12:13], 0
	s_and_saveexec_b64 s[14:15], s[10:11]
	s_cbranch_execz .LBB86_299
; %bb.298:
	v_lshlrev_b32_e32 v30, 4, v0
	v_mov_b32_e32 v26, 0
	ds_read_b128 v[26:29], v26 offset:7920
	ds_read_b128 v[30:33], v30 offset:7872
	s_waitcnt lgkmcnt(0)
	v_mul_f64 v[34:35], v[28:29], v[32:33]
	v_mul_f64 v[32:33], v[26:27], v[32:33]
	v_fma_f64 v[26:27], v[26:27], v[30:31], -v[34:35]
	v_fma_f64 v[28:29], v[28:29], v[30:31], v[32:33]
	v_add_f64 v[10:11], v[10:11], v[26:27]
	v_add_f64 v[12:13], v[12:13], v[28:29]
.LBB86_299:
	s_or_b64 exec, exec, s[14:15]
.LBB86_300:
	s_or_b64 exec, exec, s[12:13]
	s_and_saveexec_b64 s[10:11], s[38:39]
; %bb.301:
	v_xor_b32_e32 v27, 0x80000000, v11
	v_xor_b32_e32 v29, 0x80000000, v13
	v_mov_b32_e32 v26, v10
	v_mov_b32_e32 v28, v12
	ds_write_b128 v16, v[26:29]
; %bb.302:
	s_or_b64 exec, exec, s[10:11]
	s_waitcnt lgkmcnt(0)
	s_barrier
	s_and_saveexec_b64 s[10:11], s[36:37]
	s_cbranch_execz .LBB86_304
; %bb.303:
	v_mov_b32_e32 v30, 0
	ds_read_b128 v[26:29], v16
	ds_read_b128 v[30:33], v30 offset:6848
	s_waitcnt lgkmcnt(0)
	v_mul_f64 v[34:35], v[26:27], v[30:31]
	v_mul_f64 v[26:27], v[26:27], v[32:33]
	v_fma_f64 v[32:33], v[28:29], v[32:33], -v[34:35]
	v_fma_f64 v[26:27], v[28:29], v[30:31], v[26:27]
	v_add_f64 v[10:11], v[10:11], v[32:33]
	v_add_f64 v[12:13], v[12:13], -v[26:27]
.LBB86_304:
	s_or_b64 exec, exec, s[10:11]
	s_barrier
	s_and_saveexec_b64 s[10:11], s[36:37]
; %bb.305:
	v_xor_b32_e32 v27, 0x80000000, v11
	v_xor_b32_e32 v29, 0x80000000, v13
	v_mov_b32_e32 v26, v10
	v_mov_b32_e32 v28, v12
	ds_write_b128 v16, v[26:29]
; %bb.306:
	s_or_b64 exec, exec, s[10:11]
	s_waitcnt lgkmcnt(0)
	s_barrier
	s_barrier
	s_and_saveexec_b64 s[10:11], s[2:3]
; %bb.307:
	v_lshlrev_b32_e32 v26, 4, v14
	v_lshl_or_b32 v26, v15, 9, v26
	ds_write_b128 v26, v[10:13] offset:7360
; %bb.308:
	s_or_b64 exec, exec, s[10:11]
	s_waitcnt lgkmcnt(0)
	s_barrier
	s_barrier
	s_and_saveexec_b64 s[10:11], s[40:41]
	s_cbranch_execz .LBB86_310
; %bb.309:
	v_lshlrev_b32_e32 v26, 9, v0
	ds_read_b128 v[10:13], v26 offset:7360
	s_movk_i32 s12, 0xfe10
	v_mad_i32_i24 v27, v0, s12, v26
	s_waitcnt lgkmcnt(0)
	ds_write_b128 v27, v[10:13] offset:6368
	ds_read_b128 v[10:13], v26 offset:7376
	s_waitcnt lgkmcnt(0)
	ds_write_b128 v27, v[10:13] offset:6880
.LBB86_310:
	s_or_b64 exec, exec, s[10:11]
	s_waitcnt lgkmcnt(0)
	s_barrier
	s_and_saveexec_b64 s[10:11], vcc
	s_cbranch_execz .LBB86_312
; %bb.311:
	s_mov_b32 s12, 0
	v_mov_b32_e32 v30, 0
	ds_read_b128 v[10:13], v30 offset:6848
	s_mov_b32 s15, s12
	s_mov_b32 s13, 0x3ff00000
	;; [unrolled: 1-line block ×3, first 2 shown]
	v_mov_b32_e32 v29, s15
	v_mov_b32_e32 v28, s14
	;; [unrolled: 1-line block ×4, first 2 shown]
	ds_write_b128 v30, v[26:29] offset:6336
	ds_write_b128 v30, v[26:29] offset:6864
	s_waitcnt lgkmcnt(2)
	ds_write_b128 v30, v[10:13] offset:6352
.LBB86_312:
	s_or_b64 exec, exec, s[10:11]
	v_mov_b32_e32 v12, 0
	v_mov_b32_e32 v10, 0
	;; [unrolled: 1-line block ×4, first 2 shown]
	s_waitcnt lgkmcnt(0)
	s_barrier
	buffer_wbinvl1_vol
	s_and_saveexec_b64 s[12:13], s[16:17]
	s_cbranch_execz .LBB86_318
; %bb.313:
	v_lshlrev_b32_e32 v27, 9, v19
	v_lshlrev_b32_e32 v26, 4, v18
	ds_read_b128 v[10:13], v27 offset:6336
	ds_read_b128 v[28:31], v26 offset:6272
	v_cmp_gt_u32_e64 s[10:11], 12, v17
	s_waitcnt lgkmcnt(0)
	v_mul_f64 v[32:33], v[12:13], v[30:31]
	v_mul_f64 v[30:31], v[10:11], v[30:31]
	v_fma_f64 v[10:11], v[10:11], v[28:29], -v[32:33]
	v_fma_f64 v[12:13], v[12:13], v[28:29], v[30:31]
	v_add_f64 v[10:11], v[10:11], 0
	v_add_f64 v[12:13], v[12:13], 0
	s_and_saveexec_b64 s[14:15], s[10:11]
	s_cbranch_execnz .LBB86_533
; %bb.314:
	s_or_b64 exec, exec, s[14:15]
	v_cmp_gt_u32_e64 s[10:11], 8, v17
	s_and_saveexec_b64 s[14:15], s[10:11]
	s_cbranch_execnz .LBB86_534
.LBB86_315:
	s_or_b64 exec, exec, s[14:15]
	v_cmp_gt_u32_e64 s[10:11], 4, v17
	s_and_saveexec_b64 s[14:15], s[10:11]
	s_cbranch_execz .LBB86_317
.LBB86_316:
	v_lshlrev_b32_e32 v30, 4, v0
	v_mov_b32_e32 v26, 0
	ds_read_b128 v[26:29], v26 offset:7920
	ds_read_b128 v[30:33], v30 offset:7808
	s_waitcnt lgkmcnt(0)
	v_mul_f64 v[34:35], v[28:29], v[32:33]
	v_mul_f64 v[32:33], v[26:27], v[32:33]
	v_fma_f64 v[26:27], v[26:27], v[30:31], -v[34:35]
	v_fma_f64 v[28:29], v[28:29], v[30:31], v[32:33]
	v_add_f64 v[10:11], v[10:11], v[26:27]
	v_add_f64 v[12:13], v[12:13], v[28:29]
.LBB86_317:
	s_or_b64 exec, exec, s[14:15]
.LBB86_318:
	s_or_b64 exec, exec, s[12:13]
	s_and_saveexec_b64 s[10:11], s[44:45]
; %bb.319:
	v_xor_b32_e32 v29, 0x80000000, v13
	v_xor_b32_e32 v27, 0x80000000, v11
	v_mov_b32_e32 v26, v10
	v_mov_b32_e32 v28, v12
	ds_write_b128 v20, v[26:29]
; %bb.320:
	s_or_b64 exec, exec, s[10:11]
	s_waitcnt lgkmcnt(0)
	s_barrier
	s_and_saveexec_b64 s[10:11], s[46:47]
	s_cbranch_execz .LBB86_322
; %bb.321:
	v_lshlrev_b32_e32 v30, 4, v18
	ds_read_b128 v[26:29], v20
	ds_read_b128 v[30:33], v30 offset:5760
	s_waitcnt lgkmcnt(0)
	v_mul_f64 v[34:35], v[28:29], v[32:33]
	v_mul_f64 v[32:33], v[26:27], v[32:33]
	v_fma_f64 v[26:27], v[26:27], v[30:31], -v[34:35]
	v_fma_f64 v[28:29], v[28:29], v[30:31], v[32:33]
	v_add_f64 v[10:11], v[10:11], -v[26:27]
	v_add_f64 v[12:13], v[12:13], -v[28:29]
.LBB86_322:
	s_or_b64 exec, exec, s[10:11]
	s_barrier
	s_and_saveexec_b64 s[10:11], s[48:49]
; %bb.323:
	v_xor_b32_e32 v29, 0x80000000, v13
	v_xor_b32_e32 v27, 0x80000000, v11
	v_mov_b32_e32 v26, v10
	v_mov_b32_e32 v28, v12
	ds_write_b128 v20, v[26:29]
; %bb.324:
	s_or_b64 exec, exec, s[10:11]
	s_waitcnt lgkmcnt(0)
	s_barrier
	s_and_saveexec_b64 s[10:11], s[50:51]
	s_cbranch_execz .LBB86_326
; %bb.325:
	v_lshlrev_b32_e32 v30, 4, v18
	ds_read_b128 v[26:29], v20
	ds_read_b128 v[30:33], v30 offset:5248
	s_waitcnt lgkmcnt(0)
	v_mul_f64 v[34:35], v[28:29], v[32:33]
	v_mul_f64 v[32:33], v[26:27], v[32:33]
	v_fma_f64 v[26:27], v[26:27], v[30:31], -v[34:35]
	v_fma_f64 v[28:29], v[28:29], v[30:31], v[32:33]
	v_add_f64 v[10:11], v[10:11], -v[26:27]
	v_add_f64 v[12:13], v[12:13], -v[28:29]
.LBB86_326:
	s_or_b64 exec, exec, s[10:11]
	s_barrier
	s_and_saveexec_b64 s[10:11], s[52:53]
; %bb.327:
	v_xor_b32_e32 v29, 0x80000000, v13
	v_xor_b32_e32 v27, 0x80000000, v11
	v_mov_b32_e32 v26, v10
	v_mov_b32_e32 v28, v12
	ds_write_b128 v20, v[26:29]
; %bb.328:
	s_or_b64 exec, exec, s[10:11]
	s_waitcnt lgkmcnt(0)
	s_barrier
	s_and_saveexec_b64 s[10:11], s[42:43]
	s_cbranch_execz .LBB86_330
; %bb.329:
	v_mov_b32_e32 v30, 0
	ds_read_b128 v[26:29], v20
	ds_read_b128 v[30:33], v30 offset:4736
	s_waitcnt lgkmcnt(0)
	v_mul_f64 v[34:35], v[28:29], v[32:33]
	v_mul_f64 v[32:33], v[26:27], v[32:33]
	v_fma_f64 v[26:27], v[26:27], v[30:31], -v[34:35]
	v_fma_f64 v[28:29], v[28:29], v[30:31], v[32:33]
	v_add_f64 v[10:11], v[10:11], -v[26:27]
	v_add_f64 v[12:13], v[12:13], -v[28:29]
.LBB86_330:
	s_or_b64 exec, exec, s[10:11]
	s_barrier
	s_and_saveexec_b64 s[10:11], s[42:43]
; %bb.331:
	v_xor_b32_e32 v29, 0x80000000, v13
	v_xor_b32_e32 v27, 0x80000000, v11
	v_mov_b32_e32 v26, v10
	v_mov_b32_e32 v28, v12
	ds_write_b128 v20, v[26:29]
; %bb.332:
	s_or_b64 exec, exec, s[10:11]
	s_waitcnt lgkmcnt(0)
	s_barrier
	s_barrier
	s_and_saveexec_b64 s[10:11], s[16:17]
; %bb.333:
	v_lshlrev_b32_e32 v26, 4, v18
	v_lshl_or_b32 v26, v19, 9, v26
	ds_write_b128 v26, v[10:13] offset:6272
; %bb.334:
	s_or_b64 exec, exec, s[10:11]
	s_waitcnt lgkmcnt(0)
	s_barrier
	s_barrier
	s_and_saveexec_b64 s[10:11], s[54:55]
	s_cbranch_execz .LBB86_336
; %bb.335:
	v_lshlrev_b32_e32 v26, 4, v0
	s_movk_i32 s12, 0x1f0
	v_mad_u32_u24 v27, v0, s12, v26
	ds_read_b128 v[10:13], v27 offset:6272
	s_waitcnt lgkmcnt(0)
	ds_write_b128 v26, v[10:13] offset:4288
	ds_read_b128 v[10:13], v27 offset:6288
	s_waitcnt lgkmcnt(0)
	ds_write_b128 v26, v[10:13] offset:4800
	ds_read_b128 v[10:13], v27 offset:6304
	s_waitcnt lgkmcnt(0)
	ds_write_b128 v26, v[10:13] offset:5312
	ds_read_b128 v[10:13], v27 offset:6320
	s_waitcnt lgkmcnt(0)
	ds_write_b128 v26, v[10:13] offset:5824
.LBB86_336:
	s_or_b64 exec, exec, s[10:11]
	s_waitcnt lgkmcnt(0)
	s_barrier
	s_and_saveexec_b64 s[10:11], vcc
	s_cbranch_execz .LBB86_338
; %bb.337:
	s_mov_b32 s12, 0
	v_mov_b32_e32 v30, 0
	ds_read_b128 v[10:13], v30 offset:5792
	s_mov_b32 s15, s12
	s_mov_b32 s13, 0x3ff00000
	;; [unrolled: 1-line block ×3, first 2 shown]
	v_mov_b32_e32 v29, s15
	v_mov_b32_e32 v28, s14
	;; [unrolled: 1-line block ×4, first 2 shown]
	ds_write_b128 v30, v[26:29] offset:5280
	ds_write_b128 v30, v[26:29] offset:5808
	s_waitcnt lgkmcnt(2)
	ds_write_b128 v30, v[10:13] offset:5296
.LBB86_338:
	s_or_b64 exec, exec, s[10:11]
	v_mov_b32_e32 v10, 0
	v_mov_b32_e32 v12, 0
	;; [unrolled: 1-line block ×4, first 2 shown]
	s_waitcnt lgkmcnt(0)
	s_barrier
	buffer_wbinvl1_vol
	s_and_saveexec_b64 s[12:13], s[2:3]
	s_cbranch_execz .LBB86_342
; %bb.339:
	v_lshlrev_b32_e32 v26, 4, v14
	v_lshlrev_b32_e32 v10, 9, v15
	ds_read_b128 v[10:13], v10 offset:5280
	ds_read_b128 v[26:29], v26 offset:5248
	v_cmp_gt_u32_e64 s[10:11], 2, v17
	s_waitcnt lgkmcnt(0)
	v_mul_f64 v[30:31], v[12:13], v[28:29]
	v_mul_f64 v[28:29], v[10:11], v[28:29]
	v_fma_f64 v[10:11], v[10:11], v[26:27], -v[30:31]
	v_fma_f64 v[12:13], v[12:13], v[26:27], v[28:29]
	v_add_f64 v[10:11], v[10:11], 0
	v_add_f64 v[12:13], v[12:13], 0
	s_and_saveexec_b64 s[14:15], s[10:11]
	s_cbranch_execz .LBB86_341
; %bb.340:
	v_lshlrev_b32_e32 v30, 4, v0
	v_mov_b32_e32 v26, 0
	ds_read_b128 v[26:29], v26 offset:5808
	ds_read_b128 v[30:33], v30 offset:5760
	s_waitcnt lgkmcnt(0)
	v_mul_f64 v[34:35], v[28:29], v[32:33]
	v_mul_f64 v[32:33], v[26:27], v[32:33]
	v_fma_f64 v[26:27], v[26:27], v[30:31], -v[34:35]
	v_fma_f64 v[28:29], v[28:29], v[30:31], v[32:33]
	v_add_f64 v[10:11], v[10:11], v[26:27]
	v_add_f64 v[12:13], v[12:13], v[28:29]
.LBB86_341:
	s_or_b64 exec, exec, s[14:15]
.LBB86_342:
	s_or_b64 exec, exec, s[12:13]
	s_and_saveexec_b64 s[10:11], s[38:39]
; %bb.343:
	v_xor_b32_e32 v27, 0x80000000, v11
	v_xor_b32_e32 v29, 0x80000000, v13
	v_mov_b32_e32 v26, v10
	v_mov_b32_e32 v28, v12
	ds_write_b128 v16, v[26:29]
; %bb.344:
	s_or_b64 exec, exec, s[10:11]
	s_waitcnt lgkmcnt(0)
	s_barrier
	s_and_saveexec_b64 s[10:11], s[36:37]
	s_cbranch_execz .LBB86_346
; %bb.345:
	v_mov_b32_e32 v30, 0
	ds_read_b128 v[26:29], v16
	ds_read_b128 v[30:33], v30 offset:4736
	s_waitcnt lgkmcnt(0)
	v_mul_f64 v[34:35], v[26:27], v[30:31]
	v_mul_f64 v[26:27], v[26:27], v[32:33]
	v_fma_f64 v[32:33], v[28:29], v[32:33], -v[34:35]
	v_fma_f64 v[26:27], v[28:29], v[30:31], v[26:27]
	v_add_f64 v[10:11], v[10:11], v[32:33]
	v_add_f64 v[12:13], v[12:13], -v[26:27]
.LBB86_346:
	s_or_b64 exec, exec, s[10:11]
	s_barrier
	s_and_saveexec_b64 s[10:11], s[36:37]
; %bb.347:
	v_xor_b32_e32 v27, 0x80000000, v11
	v_xor_b32_e32 v29, 0x80000000, v13
	v_mov_b32_e32 v26, v10
	v_mov_b32_e32 v28, v12
	ds_write_b128 v16, v[26:29]
; %bb.348:
	s_or_b64 exec, exec, s[10:11]
	s_waitcnt lgkmcnt(0)
	s_barrier
	s_barrier
	s_and_saveexec_b64 s[10:11], s[2:3]
; %bb.349:
	v_lshlrev_b32_e32 v26, 4, v14
	v_lshl_or_b32 v26, v15, 9, v26
	ds_write_b128 v26, v[10:13] offset:5248
; %bb.350:
	s_or_b64 exec, exec, s[10:11]
	s_waitcnt lgkmcnt(0)
	s_barrier
	s_barrier
	s_and_saveexec_b64 s[10:11], s[40:41]
	s_cbranch_execz .LBB86_352
; %bb.351:
	v_lshlrev_b32_e32 v26, 9, v0
	ds_read_b128 v[10:13], v26 offset:5248
	s_movk_i32 s12, 0xfe10
	v_mad_i32_i24 v27, v0, s12, v26
	s_waitcnt lgkmcnt(0)
	ds_write_b128 v27, v[10:13] offset:4256
	ds_read_b128 v[10:13], v26 offset:5264
	s_waitcnt lgkmcnt(0)
	ds_write_b128 v27, v[10:13] offset:4768
.LBB86_352:
	s_or_b64 exec, exec, s[10:11]
	s_waitcnt lgkmcnt(0)
	s_barrier
	s_and_saveexec_b64 s[10:11], vcc
	s_cbranch_execz .LBB86_354
; %bb.353:
	s_mov_b32 s12, 0
	v_mov_b32_e32 v30, 0
	ds_read_b128 v[10:13], v30 offset:4736
	s_mov_b32 s15, s12
	s_mov_b32 s13, 0x3ff00000
	;; [unrolled: 1-line block ×3, first 2 shown]
	v_mov_b32_e32 v29, s15
	v_mov_b32_e32 v28, s14
	;; [unrolled: 1-line block ×4, first 2 shown]
	ds_write_b128 v30, v[26:29] offset:4224
	ds_write_b128 v30, v[26:29] offset:4752
	s_waitcnt lgkmcnt(2)
	ds_write_b128 v30, v[10:13] offset:4240
.LBB86_354:
	s_or_b64 exec, exec, s[10:11]
	v_mov_b32_e32 v12, 0
	v_mov_b32_e32 v10, 0
	;; [unrolled: 1-line block ×4, first 2 shown]
	s_waitcnt lgkmcnt(0)
	s_barrier
	buffer_wbinvl1_vol
	s_and_saveexec_b64 s[12:13], s[8:9]
	s_cbranch_execz .LBB86_364
; %bb.355:
	v_lshlrev_b32_e32 v27, 9, v24
	v_lshlrev_b32_e32 v26, 4, v21
	ds_read_b128 v[10:13], v27 offset:4224
	ds_read_b128 v[28:31], v26 offset:4096
	v_cmp_gt_u32_e64 s[10:11], 56, v17
	s_waitcnt lgkmcnt(0)
	v_mul_f64 v[32:33], v[12:13], v[30:31]
	v_mul_f64 v[30:31], v[10:11], v[30:31]
	v_fma_f64 v[10:11], v[10:11], v[28:29], -v[32:33]
	v_fma_f64 v[12:13], v[12:13], v[28:29], v[30:31]
	v_add_f64 v[10:11], v[10:11], 0
	v_add_f64 v[12:13], v[12:13], 0
	s_and_saveexec_b64 s[14:15], s[10:11]
	s_cbranch_execnz .LBB86_535
; %bb.356:
	s_or_b64 exec, exec, s[14:15]
	v_cmp_gt_u32_e64 s[10:11], 48, v17
	s_and_saveexec_b64 s[14:15], s[10:11]
	s_cbranch_execnz .LBB86_536
.LBB86_357:
	s_or_b64 exec, exec, s[14:15]
	v_cmp_gt_u32_e64 s[10:11], 40, v17
	s_and_saveexec_b64 s[14:15], s[10:11]
	s_cbranch_execnz .LBB86_537
.LBB86_358:
	s_or_b64 exec, exec, s[14:15]
	v_cmp_gt_u32_e64 s[10:11], 32, v17
	s_and_saveexec_b64 s[14:15], s[10:11]
	s_cbranch_execnz .LBB86_538
.LBB86_359:
	s_or_b64 exec, exec, s[14:15]
	v_cmp_gt_u32_e64 s[10:11], 24, v17
	s_and_saveexec_b64 s[14:15], s[10:11]
	s_cbranch_execnz .LBB86_539
.LBB86_360:
	s_or_b64 exec, exec, s[14:15]
	s_and_saveexec_b64 s[10:11], s[16:17]
	s_cbranch_execnz .LBB86_540
.LBB86_361:
	s_or_b64 exec, exec, s[10:11]
	v_cmp_gt_u32_e64 s[10:11], 8, v17
	s_and_saveexec_b64 s[14:15], s[10:11]
	s_cbranch_execz .LBB86_363
.LBB86_362:
	v_lshlrev_b32_e32 v30, 4, v0
	v_mov_b32_e32 v26, 0
	ds_read_b128 v[26:29], v26 offset:7920
	ds_read_b128 v[30:33], v30 offset:7680
	s_waitcnt lgkmcnt(0)
	v_mul_f64 v[34:35], v[28:29], v[32:33]
	v_mul_f64 v[32:33], v[26:27], v[32:33]
	v_fma_f64 v[26:27], v[26:27], v[30:31], -v[34:35]
	v_fma_f64 v[28:29], v[28:29], v[30:31], v[32:33]
	v_add_f64 v[10:11], v[10:11], v[26:27]
	v_add_f64 v[12:13], v[12:13], v[28:29]
.LBB86_363:
	s_or_b64 exec, exec, s[14:15]
.LBB86_364:
	s_or_b64 exec, exec, s[12:13]
	s_and_saveexec_b64 s[10:11], s[58:59]
; %bb.365:
	v_xor_b32_e32 v27, 0x80000000, v11
	v_xor_b32_e32 v29, 0x80000000, v13
	v_mov_b32_e32 v26, v10
	v_mov_b32_e32 v28, v12
	ds_write_b128 v25, v[26:29]
; %bb.366:
	s_or_b64 exec, exec, s[10:11]
	s_waitcnt lgkmcnt(0)
	s_barrier
	s_and_saveexec_b64 s[10:11], s[60:61]
	s_cbranch_execz .LBB86_368
; %bb.367:
	v_lshlrev_b32_e32 v30, 4, v21
	ds_read_b128 v[26:29], v25
	ds_read_b128 v[30:33], v30 offset:3584
	s_waitcnt lgkmcnt(0)
	v_mul_f64 v[34:35], v[28:29], v[32:33]
	v_mul_f64 v[32:33], v[26:27], v[32:33]
	v_fma_f64 v[26:27], v[26:27], v[30:31], -v[34:35]
	v_fma_f64 v[28:29], v[28:29], v[30:31], v[32:33]
	v_add_f64 v[10:11], v[10:11], -v[26:27]
	v_add_f64 v[12:13], v[12:13], -v[28:29]
.LBB86_368:
	s_or_b64 exec, exec, s[10:11]
	s_barrier
	s_and_saveexec_b64 s[10:11], s[62:63]
; %bb.369:
	v_xor_b32_e32 v27, 0x80000000, v11
	v_xor_b32_e32 v29, 0x80000000, v13
	v_mov_b32_e32 v26, v10
	v_mov_b32_e32 v28, v12
	ds_write_b128 v25, v[26:29]
; %bb.370:
	s_or_b64 exec, exec, s[10:11]
	s_waitcnt lgkmcnt(0)
	s_barrier
	s_and_saveexec_b64 s[10:11], s[64:65]
	s_cbranch_execz .LBB86_372
; %bb.371:
	v_lshlrev_b32_e32 v30, 4, v21
	ds_read_b128 v[26:29], v25
	ds_read_b128 v[30:33], v30 offset:3072
	s_waitcnt lgkmcnt(0)
	v_mul_f64 v[34:35], v[28:29], v[32:33]
	v_mul_f64 v[32:33], v[26:27], v[32:33]
	v_fma_f64 v[26:27], v[26:27], v[30:31], -v[34:35]
	v_fma_f64 v[28:29], v[28:29], v[30:31], v[32:33]
	v_add_f64 v[10:11], v[10:11], -v[26:27]
	v_add_f64 v[12:13], v[12:13], -v[28:29]
.LBB86_372:
	s_or_b64 exec, exec, s[10:11]
	s_barrier
	;; [unrolled: 27-line block ×6, first 2 shown]
	s_and_saveexec_b64 s[10:11], s[82:83]
; %bb.389:
	v_xor_b32_e32 v27, 0x80000000, v11
	v_xor_b32_e32 v29, 0x80000000, v13
	v_mov_b32_e32 v26, v10
	v_mov_b32_e32 v28, v12
	ds_write_b128 v25, v[26:29]
; %bb.390:
	s_or_b64 exec, exec, s[10:11]
	s_waitcnt lgkmcnt(0)
	s_barrier
	s_and_saveexec_b64 s[10:11], s[56:57]
	s_cbranch_execz .LBB86_392
; %bb.391:
	v_mov_b32_e32 v30, 0
	ds_read_b128 v[26:29], v25
	ds_read_b128 v[30:33], v30 offset:512
	s_waitcnt lgkmcnt(0)
	v_mul_f64 v[34:35], v[28:29], v[32:33]
	v_mul_f64 v[32:33], v[26:27], v[32:33]
	v_fma_f64 v[26:27], v[26:27], v[30:31], -v[34:35]
	v_fma_f64 v[28:29], v[28:29], v[30:31], v[32:33]
	v_add_f64 v[10:11], v[10:11], -v[26:27]
	v_add_f64 v[12:13], v[12:13], -v[28:29]
.LBB86_392:
	s_or_b64 exec, exec, s[10:11]
	s_barrier
	s_and_saveexec_b64 s[10:11], s[56:57]
; %bb.393:
	v_xor_b32_e32 v27, 0x80000000, v11
	v_xor_b32_e32 v29, 0x80000000, v13
	v_mov_b32_e32 v26, v10
	v_mov_b32_e32 v28, v12
	ds_write_b128 v25, v[26:29]
; %bb.394:
	s_or_b64 exec, exec, s[10:11]
	s_waitcnt lgkmcnt(0)
	s_barrier
	s_barrier
	s_and_saveexec_b64 s[10:11], s[8:9]
; %bb.395:
	v_lshlrev_b32_e32 v21, 4, v21
	v_lshl_or_b32 v21, v24, 9, v21
	ds_write_b128 v21, v[10:13] offset:4096
; %bb.396:
	s_or_b64 exec, exec, s[10:11]
	s_waitcnt lgkmcnt(0)
	s_barrier
	s_barrier
	s_and_saveexec_b64 s[8:9], s[84:85]
	s_cbranch_execz .LBB86_398
; %bb.397:
	v_lshlrev_b32_e32 v21, 9, v0
	ds_read_b128 v[10:13], v21 offset:4096
	s_movk_i32 s10, 0xfe10
	v_mad_i32_i24 v24, v0, s10, v21
	s_waitcnt lgkmcnt(0)
	ds_write_b128 v24, v[10:13] offset:128
	ds_read_b128 v[10:13], v21 offset:4112
	s_waitcnt lgkmcnt(0)
	ds_write_b128 v24, v[10:13] offset:640
	ds_read_b128 v[10:13], v21 offset:4128
	;; [unrolled: 3-line block ×7, first 2 shown]
	s_waitcnt lgkmcnt(0)
	ds_write_b128 v24, v[10:13] offset:3712
.LBB86_398:
	s_or_b64 exec, exec, s[8:9]
	s_waitcnt lgkmcnt(0)
	s_barrier
	s_and_saveexec_b64 s[8:9], vcc
	s_cbranch_execz .LBB86_400
; %bb.399:
	s_mov_b32 s12, 0
	v_mov_b32_e32 v21, 0
	ds_read_b128 v[10:13], v21 offset:3680
	s_mov_b32 s15, s12
	s_mov_b32 s13, 0x3ff00000
	;; [unrolled: 1-line block ×3, first 2 shown]
	v_mov_b32_e32 v27, s15
	v_mov_b32_e32 v26, s14
	;; [unrolled: 1-line block ×4, first 2 shown]
	ds_write_b128 v21, v[24:27] offset:3168
	ds_write_b128 v21, v[24:27] offset:3696
	s_waitcnt lgkmcnt(2)
	ds_write_b128 v21, v[10:13] offset:3184
.LBB86_400:
	s_or_b64 exec, exec, s[8:9]
	v_mov_b32_e32 v10, 0
	v_mov_b32_e32 v12, 0
	;; [unrolled: 1-line block ×4, first 2 shown]
	s_waitcnt lgkmcnt(0)
	s_barrier
	buffer_wbinvl1_vol
	s_and_saveexec_b64 s[10:11], s[2:3]
	s_cbranch_execz .LBB86_404
; %bb.401:
	v_lshlrev_b32_e32 v10, 9, v15
	v_lshlrev_b32_e32 v21, 4, v14
	ds_read_b128 v[10:13], v10 offset:3168
	ds_read_b128 v[24:27], v21 offset:3136
	v_cmp_gt_u32_e64 s[8:9], 2, v17
	s_waitcnt lgkmcnt(0)
	v_mul_f64 v[28:29], v[12:13], v[26:27]
	v_mul_f64 v[26:27], v[10:11], v[26:27]
	v_fma_f64 v[10:11], v[10:11], v[24:25], -v[28:29]
	v_fma_f64 v[12:13], v[12:13], v[24:25], v[26:27]
	v_add_f64 v[10:11], v[10:11], 0
	v_add_f64 v[12:13], v[12:13], 0
	s_and_saveexec_b64 s[12:13], s[8:9]
	s_cbranch_execz .LBB86_403
; %bb.402:
	v_mov_b32_e32 v24, 0
	v_lshlrev_b32_e32 v21, 4, v0
	ds_read_b128 v[24:27], v24 offset:3696
	ds_read_b128 v[28:31], v21 offset:3648
	s_waitcnt lgkmcnt(0)
	v_mul_f64 v[32:33], v[26:27], v[30:31]
	v_mul_f64 v[30:31], v[24:25], v[30:31]
	v_fma_f64 v[24:25], v[24:25], v[28:29], -v[32:33]
	v_fma_f64 v[26:27], v[26:27], v[28:29], v[30:31]
	v_add_f64 v[10:11], v[10:11], v[24:25]
	v_add_f64 v[12:13], v[12:13], v[26:27]
.LBB86_403:
	s_or_b64 exec, exec, s[12:13]
.LBB86_404:
	s_or_b64 exec, exec, s[10:11]
	s_and_saveexec_b64 s[8:9], s[38:39]
; %bb.405:
	v_xor_b32_e32 v25, 0x80000000, v11
	v_xor_b32_e32 v27, 0x80000000, v13
	v_mov_b32_e32 v24, v10
	v_mov_b32_e32 v26, v12
	ds_write_b128 v16, v[24:27]
; %bb.406:
	s_or_b64 exec, exec, s[8:9]
	s_waitcnt lgkmcnt(0)
	s_barrier
	s_and_saveexec_b64 s[8:9], s[36:37]
	s_cbranch_execz .LBB86_408
; %bb.407:
	v_mov_b32_e32 v21, 0
	ds_read_b128 v[24:27], v16
	ds_read_b128 v[28:31], v21 offset:2624
	s_waitcnt lgkmcnt(0)
	v_mul_f64 v[32:33], v[24:25], v[28:29]
	v_mul_f64 v[24:25], v[24:25], v[30:31]
	v_fma_f64 v[30:31], v[26:27], v[30:31], -v[32:33]
	v_fma_f64 v[24:25], v[26:27], v[28:29], v[24:25]
	v_add_f64 v[10:11], v[10:11], v[30:31]
	v_add_f64 v[12:13], v[12:13], -v[24:25]
.LBB86_408:
	s_or_b64 exec, exec, s[8:9]
	s_barrier
	s_and_saveexec_b64 s[8:9], s[36:37]
; %bb.409:
	v_xor_b32_e32 v25, 0x80000000, v11
	v_xor_b32_e32 v27, 0x80000000, v13
	v_mov_b32_e32 v24, v10
	v_mov_b32_e32 v26, v12
	ds_write_b128 v16, v[24:27]
; %bb.410:
	s_or_b64 exec, exec, s[8:9]
	s_waitcnt lgkmcnt(0)
	s_barrier
	s_barrier
	s_and_saveexec_b64 s[8:9], s[2:3]
; %bb.411:
	v_lshlrev_b32_e32 v21, 4, v14
	v_lshl_or_b32 v21, v15, 9, v21
	ds_write_b128 v21, v[10:13] offset:3136
; %bb.412:
	s_or_b64 exec, exec, s[8:9]
	s_waitcnt lgkmcnt(0)
	s_barrier
	s_barrier
	s_and_saveexec_b64 s[8:9], s[40:41]
	s_cbranch_execz .LBB86_414
; %bb.413:
	v_lshlrev_b32_e32 v21, 9, v0
	ds_read_b128 v[10:13], v21 offset:3136
	s_movk_i32 s10, 0xfe10
	v_mad_i32_i24 v24, v0, s10, v21
	s_waitcnt lgkmcnt(0)
	ds_write_b128 v24, v[10:13] offset:2144
	ds_read_b128 v[10:13], v21 offset:3152
	s_waitcnt lgkmcnt(0)
	ds_write_b128 v24, v[10:13] offset:2656
.LBB86_414:
	s_or_b64 exec, exec, s[8:9]
	s_waitcnt lgkmcnt(0)
	s_barrier
	s_and_saveexec_b64 s[8:9], vcc
	s_cbranch_execz .LBB86_416
; %bb.415:
	s_mov_b32 s12, 0
	v_mov_b32_e32 v21, 0
	ds_read_b128 v[10:13], v21 offset:2624
	s_mov_b32 s15, s12
	s_mov_b32 s13, 0x3ff00000
	;; [unrolled: 1-line block ×3, first 2 shown]
	v_mov_b32_e32 v27, s15
	v_mov_b32_e32 v26, s14
	;; [unrolled: 1-line block ×4, first 2 shown]
	ds_write_b128 v21, v[24:27] offset:2112
	ds_write_b128 v21, v[24:27] offset:2640
	s_waitcnt lgkmcnt(2)
	ds_write_b128 v21, v[10:13] offset:2128
.LBB86_416:
	s_or_b64 exec, exec, s[8:9]
	v_mov_b32_e32 v12, 0
	v_mov_b32_e32 v10, 0
	;; [unrolled: 1-line block ×4, first 2 shown]
	s_waitcnt lgkmcnt(0)
	s_barrier
	buffer_wbinvl1_vol
	s_and_saveexec_b64 s[10:11], s[16:17]
	s_cbranch_execz .LBB86_422
; %bb.417:
	v_lshlrev_b32_e32 v24, 9, v19
	v_lshlrev_b32_e32 v21, 4, v18
	ds_read_b128 v[10:13], v24 offset:2112
	ds_read_b128 v[25:28], v21 offset:2048
	v_cmp_gt_u32_e64 s[8:9], 12, v17
	s_waitcnt lgkmcnt(0)
	v_mul_f64 v[29:30], v[12:13], v[27:28]
	v_mul_f64 v[27:28], v[10:11], v[27:28]
	v_fma_f64 v[10:11], v[10:11], v[25:26], -v[29:30]
	v_fma_f64 v[12:13], v[12:13], v[25:26], v[27:28]
	v_add_f64 v[10:11], v[10:11], 0
	v_add_f64 v[12:13], v[12:13], 0
	s_and_saveexec_b64 s[12:13], s[8:9]
	s_cbranch_execnz .LBB86_541
; %bb.418:
	s_or_b64 exec, exec, s[12:13]
	v_cmp_gt_u32_e64 s[8:9], 8, v17
	s_and_saveexec_b64 s[12:13], s[8:9]
	s_cbranch_execnz .LBB86_542
.LBB86_419:
	s_or_b64 exec, exec, s[12:13]
	v_cmp_gt_u32_e64 s[8:9], 4, v17
	s_and_saveexec_b64 s[12:13], s[8:9]
	s_cbranch_execz .LBB86_421
.LBB86_420:
	v_mov_b32_e32 v24, 0
	v_lshlrev_b32_e32 v21, 4, v0
	ds_read_b128 v[24:27], v24 offset:3696
	ds_read_b128 v[28:31], v21 offset:3584
	s_waitcnt lgkmcnt(0)
	v_mul_f64 v[32:33], v[26:27], v[30:31]
	v_mul_f64 v[30:31], v[24:25], v[30:31]
	v_fma_f64 v[24:25], v[24:25], v[28:29], -v[32:33]
	v_fma_f64 v[26:27], v[26:27], v[28:29], v[30:31]
	v_add_f64 v[10:11], v[10:11], v[24:25]
	v_add_f64 v[12:13], v[12:13], v[26:27]
.LBB86_421:
	s_or_b64 exec, exec, s[12:13]
.LBB86_422:
	s_or_b64 exec, exec, s[10:11]
	s_and_saveexec_b64 s[8:9], s[44:45]
; %bb.423:
	v_xor_b32_e32 v27, 0x80000000, v13
	v_xor_b32_e32 v25, 0x80000000, v11
	v_mov_b32_e32 v24, v10
	v_mov_b32_e32 v26, v12
	ds_write_b128 v20, v[24:27]
; %bb.424:
	s_or_b64 exec, exec, s[8:9]
	s_waitcnt lgkmcnt(0)
	s_barrier
	s_and_saveexec_b64 s[8:9], s[46:47]
	s_load_dword s44, s[4:5], 0x74
	s_cbranch_execz .LBB86_426
; %bb.425:
	v_lshlrev_b32_e32 v21, 4, v18
	ds_read_b128 v[24:27], v20
	ds_read_b128 v[28:31], v21 offset:1536
	s_waitcnt lgkmcnt(0)
	v_mul_f64 v[32:33], v[26:27], v[30:31]
	v_mul_f64 v[30:31], v[24:25], v[30:31]
	v_fma_f64 v[24:25], v[24:25], v[28:29], -v[32:33]
	v_fma_f64 v[26:27], v[26:27], v[28:29], v[30:31]
	v_add_f64 v[10:11], v[10:11], -v[24:25]
	v_add_f64 v[12:13], v[12:13], -v[26:27]
.LBB86_426:
	s_or_b64 exec, exec, s[8:9]
	s_waitcnt lgkmcnt(0)
	s_barrier
	s_and_saveexec_b64 s[8:9], s[48:49]
; %bb.427:
	v_xor_b32_e32 v27, 0x80000000, v13
	v_xor_b32_e32 v25, 0x80000000, v11
	v_mov_b32_e32 v24, v10
	v_mov_b32_e32 v26, v12
	ds_write_b128 v20, v[24:27]
; %bb.428:
	s_or_b64 exec, exec, s[8:9]
	s_waitcnt lgkmcnt(0)
	s_barrier
	s_and_saveexec_b64 s[8:9], s[50:51]
	s_cbranch_execz .LBB86_430
; %bb.429:
	v_lshlrev_b32_e32 v21, 4, v18
	ds_read_b128 v[24:27], v20
	ds_read_b128 v[28:31], v21 offset:1024
	s_waitcnt lgkmcnt(0)
	v_mul_f64 v[32:33], v[26:27], v[30:31]
	v_mul_f64 v[30:31], v[24:25], v[30:31]
	v_fma_f64 v[24:25], v[24:25], v[28:29], -v[32:33]
	v_fma_f64 v[26:27], v[26:27], v[28:29], v[30:31]
	v_add_f64 v[10:11], v[10:11], -v[24:25]
	v_add_f64 v[12:13], v[12:13], -v[26:27]
.LBB86_430:
	s_or_b64 exec, exec, s[8:9]
	s_barrier
	s_and_saveexec_b64 s[8:9], s[52:53]
; %bb.431:
	v_xor_b32_e32 v27, 0x80000000, v13
	v_xor_b32_e32 v25, 0x80000000, v11
	v_mov_b32_e32 v24, v10
	v_mov_b32_e32 v26, v12
	ds_write_b128 v20, v[24:27]
; %bb.432:
	s_or_b64 exec, exec, s[8:9]
	s_waitcnt lgkmcnt(0)
	s_barrier
	s_and_saveexec_b64 s[8:9], s[42:43]
	s_cbranch_execz .LBB86_434
; %bb.433:
	v_mov_b32_e32 v21, 0
	ds_read_b128 v[24:27], v20
	ds_read_b128 v[28:31], v21 offset:512
	s_waitcnt lgkmcnt(0)
	v_mul_f64 v[32:33], v[26:27], v[30:31]
	v_mul_f64 v[30:31], v[24:25], v[30:31]
	v_fma_f64 v[24:25], v[24:25], v[28:29], -v[32:33]
	v_fma_f64 v[26:27], v[26:27], v[28:29], v[30:31]
	v_add_f64 v[10:11], v[10:11], -v[24:25]
	v_add_f64 v[12:13], v[12:13], -v[26:27]
.LBB86_434:
	s_or_b64 exec, exec, s[8:9]
	s_barrier
	s_and_saveexec_b64 s[8:9], s[42:43]
; %bb.435:
	v_xor_b32_e32 v27, 0x80000000, v13
	v_xor_b32_e32 v25, 0x80000000, v11
	v_mov_b32_e32 v24, v10
	v_mov_b32_e32 v26, v12
	ds_write_b128 v20, v[24:27]
; %bb.436:
	s_or_b64 exec, exec, s[8:9]
	s_waitcnt lgkmcnt(0)
	s_barrier
	s_barrier
	s_and_saveexec_b64 s[8:9], s[16:17]
; %bb.437:
	v_lshlrev_b32_e32 v18, 4, v18
	v_lshl_or_b32 v18, v19, 9, v18
	ds_write_b128 v18, v[10:13] offset:2048
; %bb.438:
	s_or_b64 exec, exec, s[8:9]
	s_waitcnt lgkmcnt(0)
	s_barrier
	s_barrier
	s_and_saveexec_b64 s[8:9], s[54:55]
	s_cbranch_execz .LBB86_440
; %bb.439:
	v_lshlrev_b32_e32 v18, 4, v0
	s_movk_i32 s10, 0x1f0
	v_mad_u32_u24 v19, v0, s10, v18
	ds_read_b128 v[10:13], v19 offset:2048
	s_waitcnt lgkmcnt(0)
	ds_write_b128 v18, v[10:13] offset:64
	ds_read_b128 v[10:13], v19 offset:2064
	s_waitcnt lgkmcnt(0)
	ds_write_b128 v18, v[10:13] offset:576
	;; [unrolled: 3-line block ×4, first 2 shown]
.LBB86_440:
	s_or_b64 exec, exec, s[8:9]
	s_waitcnt lgkmcnt(0)
	s_barrier
	s_and_saveexec_b64 s[8:9], vcc
	s_cbranch_execz .LBB86_442
; %bb.441:
	s_mov_b32 s12, 0
	v_mov_b32_e32 v24, 0
	ds_read_b128 v[10:13], v24 offset:1568
	s_mov_b32 s15, s12
	s_mov_b32 s13, 0x3ff00000
	;; [unrolled: 1-line block ×3, first 2 shown]
	v_mov_b32_e32 v21, s15
	v_mov_b32_e32 v20, s14
	;; [unrolled: 1-line block ×4, first 2 shown]
	ds_write_b128 v24, v[18:21] offset:1056
	ds_write_b128 v24, v[18:21] offset:1584
	s_waitcnt lgkmcnt(2)
	ds_write_b128 v24, v[10:13] offset:1072
.LBB86_442:
	s_or_b64 exec, exec, s[8:9]
	v_mov_b32_e32 v10, 0
	v_mov_b32_e32 v12, 0
	;; [unrolled: 1-line block ×4, first 2 shown]
	s_waitcnt lgkmcnt(0)
	s_barrier
	buffer_wbinvl1_vol
	s_and_saveexec_b64 s[10:11], s[2:3]
	s_cbranch_execz .LBB86_446
; %bb.443:
	v_lshlrev_b32_e32 v18, 4, v14
	v_lshlrev_b32_e32 v10, 9, v15
	ds_read_b128 v[10:13], v10 offset:1056
	ds_read_b128 v[18:21], v18 offset:1024
	v_cmp_gt_u32_e64 s[8:9], 2, v17
	s_waitcnt lgkmcnt(0)
	v_mul_f64 v[24:25], v[12:13], v[20:21]
	v_mul_f64 v[20:21], v[10:11], v[20:21]
	v_fma_f64 v[10:11], v[10:11], v[18:19], -v[24:25]
	v_fma_f64 v[12:13], v[12:13], v[18:19], v[20:21]
	v_add_f64 v[10:11], v[10:11], 0
	v_add_f64 v[12:13], v[12:13], 0
	s_and_saveexec_b64 s[12:13], s[8:9]
	s_cbranch_execz .LBB86_445
; %bb.444:
	v_mov_b32_e32 v17, 0
	v_lshlrev_b32_e32 v21, 4, v0
	ds_read_b128 v[17:20], v17 offset:1584
	ds_read_b128 v[24:27], v21 offset:1536
	s_waitcnt lgkmcnt(0)
	v_mul_f64 v[28:29], v[19:20], v[26:27]
	v_mul_f64 v[26:27], v[17:18], v[26:27]
	v_fma_f64 v[17:18], v[17:18], v[24:25], -v[28:29]
	v_fma_f64 v[19:20], v[19:20], v[24:25], v[26:27]
	v_add_f64 v[10:11], v[10:11], v[17:18]
	v_add_f64 v[12:13], v[12:13], v[19:20]
.LBB86_445:
	s_or_b64 exec, exec, s[12:13]
.LBB86_446:
	s_or_b64 exec, exec, s[10:11]
	s_and_saveexec_b64 s[8:9], s[38:39]
; %bb.447:
	v_xor_b32_e32 v18, 0x80000000, v11
	v_xor_b32_e32 v20, 0x80000000, v13
	v_mov_b32_e32 v17, v10
	v_mov_b32_e32 v19, v12
	ds_write_b128 v16, v[17:20]
; %bb.448:
	s_or_b64 exec, exec, s[8:9]
	s_waitcnt lgkmcnt(0)
	s_barrier
	s_and_saveexec_b64 s[8:9], s[36:37]
	s_cbranch_execz .LBB86_450
; %bb.449:
	v_mov_b32_e32 v21, 0
	ds_read_b128 v[17:20], v16
	ds_read_b128 v[24:27], v21 offset:512
	s_waitcnt lgkmcnt(0)
	v_mul_f64 v[28:29], v[17:18], v[24:25]
	v_mul_f64 v[17:18], v[17:18], v[26:27]
	v_fma_f64 v[26:27], v[19:20], v[26:27], -v[28:29]
	v_fma_f64 v[17:18], v[19:20], v[24:25], v[17:18]
	v_add_f64 v[10:11], v[10:11], v[26:27]
	v_add_f64 v[12:13], v[12:13], -v[17:18]
.LBB86_450:
	s_or_b64 exec, exec, s[8:9]
	s_barrier
	s_and_saveexec_b64 s[8:9], s[36:37]
; %bb.451:
	v_xor_b32_e32 v18, 0x80000000, v11
	v_xor_b32_e32 v20, 0x80000000, v13
	v_mov_b32_e32 v17, v10
	v_mov_b32_e32 v19, v12
	ds_write_b128 v16, v[17:20]
; %bb.452:
	s_or_b64 exec, exec, s[8:9]
	s_waitcnt lgkmcnt(0)
	s_barrier
	s_barrier
	s_and_saveexec_b64 s[8:9], s[2:3]
; %bb.453:
	v_lshlrev_b32_e32 v14, 4, v14
	v_lshl_or_b32 v14, v15, 9, v14
	ds_write_b128 v14, v[10:13] offset:1024
; %bb.454:
	s_or_b64 exec, exec, s[8:9]
	s_waitcnt lgkmcnt(0)
	s_barrier
	s_barrier
	s_and_saveexec_b64 s[2:3], s[40:41]
	s_cbranch_execz .LBB86_456
; %bb.455:
	v_lshlrev_b32_e32 v14, 9, v0
	ds_read_b128 v[10:13], v14 offset:1024
	s_movk_i32 s8, 0xfe10
	v_mad_i32_i24 v15, v0, s8, v14
	s_waitcnt lgkmcnt(0)
	ds_write_b128 v15, v[10:13] offset:32
	ds_read_b128 v[10:13], v14 offset:1040
	s_waitcnt lgkmcnt(0)
	ds_write_b128 v15, v[10:13] offset:544
.LBB86_456:
	s_or_b64 exec, exec, s[2:3]
	s_waitcnt lgkmcnt(0)
	s_barrier
	s_and_saveexec_b64 s[2:3], vcc
	s_cbranch_execz .LBB86_458
; %bb.457:
	s_mov_b32 s8, 0
	v_mov_b32_e32 v18, 0
	ds_read_b128 v[10:13], v18 offset:512
	s_mov_b32 s11, s8
	s_mov_b32 s9, 0x3ff00000
	;; [unrolled: 1-line block ×3, first 2 shown]
	v_mov_b32_e32 v17, s11
	v_mov_b32_e32 v16, s10
	;; [unrolled: 1-line block ×4, first 2 shown]
	ds_write_b128 v18, v[14:17]
	ds_write_b128 v18, v[14:17] offset:528
	s_waitcnt lgkmcnt(2)
	ds_write_b128 v18, v[10:13] offset:16
.LBB86_458:
	s_or_b64 exec, exec, s[2:3]
.LBB86_459:
	s_load_dwordx4 s[16:19], s[4:5], 0x48
	s_load_dwordx2 s[14:15], s[4:5], 0x58
	v_cmp_le_i32_e32 vcc, s7, v0
	v_mov_b32_e32 v10, 0
	v_mov_b32_e32 v11, 0
	s_waitcnt lgkmcnt(0)
	s_mul_i32 s3, s19, s34
	s_mul_hi_u32 s4, s18, s34
	s_mul_i32 s2, s18, s34
	s_add_i32 s3, s4, s3
	s_lshl_b64 s[2:3], s[2:3], 4
	s_add_u32 s4, s28, s2
	s_addc_u32 s5, s29, s3
	s_lshl_b64 s[2:3], s[30:31], 4
	s_add_u32 s28, s4, s2
	s_addc_u32 s29, s5, s3
	s_and_b64 s[18:19], vcc, s[22:23]
	v_cmp_eq_u32_e64 s[2:3], 0, v1
	s_xor_b64 s[4:5], s[18:19], -1
	v_mov_b32_e32 v13, v11
	s_and_b64 s[8:9], s[2:3], s[4:5]
	v_lshl_add_u32 v14, s6, 5, v0
	v_mov_b32_e32 v12, v10
	s_barrier
	s_and_saveexec_b64 s[4:5], s[8:9]
	s_cbranch_execz .LBB86_461
; %bb.460:
	v_ashrrev_i32_e32 v12, 31, v14
	v_mul_lo_u32 v13, s17, v14
	v_mad_u64_u32 v[10:11], s[8:9], s16, v14, 0
	v_mul_lo_u32 v12, s16, v12
	v_add3_u32 v11, v11, v12, v13
	v_lshlrev_b64 v[10:11], 4, v[10:11]
	v_mov_b32_e32 v12, s29
	v_add_co_u32_e32 v10, vcc, s28, v10
	v_addc_co_u32_e32 v11, vcc, v12, v11, vcc
	global_load_dwordx4 v[15:18], v[10:11], off
	s_waitcnt vmcnt(0)
	v_mul_f64 v[10:11], s[24:25], v[15:16]
	v_mul_f64 v[12:13], s[24:25], v[17:18]
	v_fma_f64 v[10:11], s[26:27], v[17:18], -v[10:11]
	v_fma_f64 v[12:13], v[15:16], -s[26:27], -v[12:13]
.LBB86_461:
	s_or_b64 exec, exec, s[4:5]
	s_and_b32 s4, 0xffff, s44
	v_mad_u32_u24 v24, v1, s4, v0
	v_mov_b32_e32 v15, 0
	s_cmp_lt_i32 s6, 1
	v_cmp_eq_u32_e64 s[4:5], 0, v24
	s_cbranch_scc1 .LBB86_484
; %bb.462:
	v_mad_u64_u32 v[16:17], s[8:9], s20, v14, 0
	s_mov_b32 s26, 0
	v_cmp_gt_u32_e64 s[12:13], 32, v24
	v_mad_u64_u32 v[17:18], s[8:9], s21, v14, v[17:18]
	s_lshl_b64 s[8:9], s[34:35], 2
	s_add_u32 s20, s14, s8
	v_lshlrev_b64 v[16:17], 4, v[16:17]
	s_addc_u32 s21, s15, s9
	v_mov_b32_e32 v18, 0x6000
	v_cmp_gt_i32_e64 s[8:9], s33, v14
	v_mov_b32_e32 v14, s91
	v_add_co_u32_e32 v27, vcc, s90, v16
	v_lshl_add_u32 v25, v24, 4, v18
	v_lshl_or_b32 v26, v1, 4, v18
	s_add_i32 s27, s6, -1
	v_addc_co_u32_e32 v28, vcc, v14, v17, vcc
	v_mov_b32_e32 v29, -1
	s_branch .LBB86_465
.LBB86_463:                             ;   in Loop: Header=BB86_465 Depth=1
	ds_read_b128 v[30:33], v26 offset:256
	s_waitcnt vmcnt(0) lgkmcnt(0)
	v_mul_f64 v[16:17], v[20:21], v[32:33]
	v_mul_f64 v[32:33], v[18:19], v[32:33]
	v_fma_f64 v[16:17], v[18:19], v[30:31], -v[16:17]
	v_fma_f64 v[18:19], v[20:21], v[30:31], v[32:33]
	v_add_f64 v[10:11], v[10:11], v[16:17]
	v_add_f64 v[12:13], v[12:13], v[18:19]
.LBB86_464:                             ;   in Loop: Header=BB86_465 Depth=1
	s_or_b64 exec, exec, s[24:25]
	s_add_i32 s26, s26, 1
	s_cmp_eq_u32 s26, s6
	s_cbranch_scc1 .LBB86_484
.LBB86_465:                             ; =>This Loop Header: Depth=1
                                        ;     Child Loop BB86_467 Depth 2
	v_cmp_gt_i32_e32 vcc, s26, v29
	s_and_b64 s[24:25], s[4:5], vcc
	s_and_saveexec_b64 s[10:11], s[24:25]
	s_cbranch_execz .LBB86_468
; %bb.466:                              ;   in Loop: Header=BB86_465 Depth=1
	global_load_dword v29, v15, s[20:21]
	s_waitcnt vmcnt(0)
	v_cmp_le_i32_e32 vcc, s26, v29
	s_cbranch_vccnz .LBB86_468
.LBB86_467:                             ;   Parent Loop BB86_465 Depth=1
                                        ; =>  This Inner Loop Header: Depth=2
	buffer_wbinvl1_vol
	global_load_dword v29, v15, s[20:21]
	s_waitcnt vmcnt(0)
	v_cmp_gt_i32_e32 vcc, s26, v29
	s_cbranch_vccnz .LBB86_467
.LBB86_468:                             ;   in Loop: Header=BB86_465 Depth=1
	s_or_b64 exec, exec, s[10:11]
	s_lshl_b32 s30, s26, 5
	buffer_wbinvl1_vol
	s_barrier
	s_and_saveexec_b64 s[10:11], s[12:13]
	s_cbranch_execz .LBB86_473
; %bb.469:                              ;   in Loop: Header=BB86_465 Depth=1
	v_or_b32_e32 v14, s30, v24
	v_cmp_le_i32_e32 vcc, s33, v14
	s_and_saveexec_b64 s[24:25], vcc
	s_xor_b64 s[24:25], exec, s[24:25]
; %bb.470:                              ;   in Loop: Header=BB86_465 Depth=1
	v_mov_b32_e32 v14, v15
	v_mov_b32_e32 v16, v15
	;; [unrolled: 1-line block ×3, first 2 shown]
	ds_write_b128 v25, v[14:17]
                                        ; implicit-def: $vgpr14
; %bb.471:                              ;   in Loop: Header=BB86_465 Depth=1
	s_andn2_saveexec_b64 s[24:25], s[24:25]
	s_cbranch_execz .LBB86_473
; %bb.472:                              ;   in Loop: Header=BB86_465 Depth=1
	v_mad_u64_u32 v[16:17], s[24:25], s16, v14, 0
	v_mad_u64_u32 v[17:18], s[24:25], s17, v14, v[17:18]
	v_mov_b32_e32 v14, s29
	v_lshlrev_b64 v[16:17], 4, v[16:17]
	v_add_co_u32_e32 v16, vcc, s28, v16
	v_addc_co_u32_e32 v17, vcc, v14, v17, vcc
	global_load_dwordx4 v[16:19], v[16:17], off
	s_waitcnt vmcnt(0)
	ds_write2_b64 v25, v[16:17], v[18:19] offset1:1
.LBB86_473:                             ;   in Loop: Header=BB86_465 Depth=1
	s_or_b64 exec, exec, s[10:11]
	v_add_u32_e32 v14, s30, v1
	v_lshlrev_b64 v[16:17], 4, v[14:15]
	s_cmp_lg_u32 s26, s27
	v_add_co_u32_e32 v16, vcc, v27, v16
	s_cselect_b64 s[10:11], -1, 0
	v_addc_co_u32_e32 v17, vcc, v28, v17, vcc
	v_cmp_gt_i32_e32 vcc, s33, v14
	v_cndmask_b32_e64 v18, 0, 1, s[10:11]
	s_and_b64 s[30:31], vcc, s[8:9]
	v_cmp_ne_u32_e64 s[10:11], 1, v18
	s_waitcnt lgkmcnt(0)
	s_barrier
	s_and_saveexec_b64 s[24:25], s[30:31]
	s_cbranch_execz .LBB86_479
; %bb.474:                              ;   in Loop: Header=BB86_465 Depth=1
	v_mov_b32_e32 v19, v7
	s_and_b64 vcc, exec, s[10:11]
	v_mov_b32_e32 v18, v6
	s_cbranch_vccnz .LBB86_476
; %bb.475:                              ;   in Loop: Header=BB86_465 Depth=1
	global_load_dwordx2 v[18:19], v[16:17], off
.LBB86_476:                             ;   in Loop: Header=BB86_465 Depth=1
	v_mov_b32_e32 v21, v9
	s_and_b64 vcc, exec, s[10:11]
	v_mov_b32_e32 v20, v8
	s_cbranch_vccnz .LBB86_478
; %bb.477:                              ;   in Loop: Header=BB86_465 Depth=1
	global_load_dwordx2 v[20:21], v[16:17], off offset:8
.LBB86_478:                             ;   in Loop: Header=BB86_465 Depth=1
	ds_read_b128 v[30:33], v26
	s_waitcnt vmcnt(0) lgkmcnt(0)
	v_mul_f64 v[34:35], v[20:21], v[32:33]
	v_mul_f64 v[32:33], v[18:19], v[32:33]
	v_fma_f64 v[18:19], v[18:19], v[30:31], -v[34:35]
	v_fma_f64 v[20:21], v[20:21], v[30:31], v[32:33]
	v_add_f64 v[10:11], v[10:11], v[18:19]
	v_add_f64 v[12:13], v[12:13], v[20:21]
.LBB86_479:                             ;   in Loop: Header=BB86_465 Depth=1
	s_or_b64 exec, exec, s[24:25]
	v_add_u32_e32 v14, 16, v14
	v_cmp_gt_i32_e32 vcc, s33, v14
	s_and_b64 s[30:31], vcc, s[8:9]
	s_and_saveexec_b64 s[24:25], s[30:31]
	s_cbranch_execz .LBB86_464
; %bb.480:                              ;   in Loop: Header=BB86_465 Depth=1
	v_mov_b32_e32 v19, v3
	s_and_b64 vcc, exec, s[10:11]
	v_mov_b32_e32 v18, v2
	s_cbranch_vccnz .LBB86_482
; %bb.481:                              ;   in Loop: Header=BB86_465 Depth=1
	global_load_dwordx2 v[18:19], v[16:17], off offset:256
.LBB86_482:                             ;   in Loop: Header=BB86_465 Depth=1
	v_mov_b32_e32 v21, v5
	s_and_b64 vcc, exec, s[10:11]
	v_mov_b32_e32 v20, v4
	s_cbranch_vccnz .LBB86_463
; %bb.483:                              ;   in Loop: Header=BB86_465 Depth=1
	global_load_dwordx2 v[20:21], v[16:17], off offset:264
	s_branch .LBB86_463
.LBB86_484:
	s_xor_b64 s[4:5], s[22:23], -1
	v_lshlrev_b32_e32 v6, 4, v23
	ds_write_b128 v6, v[10:13] offset:16384
	s_waitcnt lgkmcnt(0)
	s_barrier
	s_and_saveexec_b64 s[8:9], s[2:3]
	s_cbranch_execz .LBB86_486
; %bb.485:
	v_lshlrev_b32_e32 v18, 4, v0
	ds_read_b128 v[2:5], v18 offset:16896
	ds_read_b128 v[14:17], v18 offset:17408
	s_waitcnt lgkmcnt(1)
	v_add_f64 v[2:3], v[10:11], v[2:3]
	v_add_f64 v[4:5], v[12:13], v[4:5]
	s_waitcnt lgkmcnt(0)
	v_add_f64 v[11:12], v[2:3], v[14:15]
	v_add_f64 v[13:14], v[4:5], v[16:17]
	ds_read_b128 v[2:5], v18 offset:17920
	ds_read_b128 v[7:10], v18 offset:18432
	s_waitcnt lgkmcnt(1)
	v_add_f64 v[2:3], v[11:12], v[2:3]
	v_add_f64 v[4:5], v[13:14], v[4:5]
	s_waitcnt lgkmcnt(0)
	v_add_f64 v[11:12], v[2:3], v[7:8]
	v_add_f64 v[13:14], v[4:5], v[9:10]
	;; [unrolled: 8-line block ×7, first 2 shown]
	ds_read_b128 v[2:5], v18 offset:24064
	s_waitcnt lgkmcnt(0)
	v_add_f64 v[2:3], v[7:8], v[2:3]
	v_add_f64 v[4:5], v[9:10], v[4:5]
	v_xor_b32_e32 v3, 0x80000000, v3
	v_xor_b32_e32 v5, 0x80000000, v5
	v_cndmask_b32_e64 v10, v2, 0, s[18:19]
	v_cndmask_b32_e64 v11, v3, 0, s[18:19]
	;; [unrolled: 1-line block ×4, first 2 shown]
.LBB86_486:
	s_or_b64 exec, exec, s[8:9]
	s_and_b64 vcc, exec, s[0:1]
	s_cbranch_vccnz .LBB86_495
; %bb.487:
	v_mov_b32_e32 v2, 0x6000
	v_lshl_or_b32 v7, v1, 4, v2
	s_and_saveexec_b64 s[0:1], s[2:3]
; %bb.488:
	v_lshl_add_u32 v2, v0, 4, v7
	ds_write_b128 v2, v[10:13]
; %bb.489:
	s_or_b64 exec, exec, s[0:1]
	v_mov_b32_e32 v2, 0
	v_mov_b32_e32 v4, 0
	v_mov_b32_e32 v3, 0
	v_mov_b32_e32 v5, 0
	v_cmp_le_u32_e32 vcc, v1, v0
	s_waitcnt lgkmcnt(0)
	s_barrier
	s_and_saveexec_b64 s[0:1], vcc
	s_cbranch_execz .LBB86_491
; %bb.490:
	ds_read_b128 v[2:5], v7
	ds_read_b128 v[14:17], v6
	s_waitcnt lgkmcnt(0)
	v_mul_f64 v[8:9], v[4:5], v[16:17]
	v_mul_f64 v[16:17], v[2:3], v[16:17]
	v_fma_f64 v[2:3], v[2:3], v[14:15], -v[8:9]
	v_fma_f64 v[4:5], v[4:5], v[14:15], v[16:17]
	v_add_f64 v[2:3], v[2:3], 0
	v_add_f64 v[4:5], v[4:5], 0
.LBB86_491:
	s_or_b64 exec, exec, s[0:1]
	v_add_u32_e32 v1, 16, v1
	v_add_u32_e32 v8, 0x4000, v6
	v_cmp_ge_u32_e32 vcc, v0, v1
	s_and_saveexec_b64 s[0:1], vcc
	s_cbranch_execz .LBB86_493
; %bb.492:
	ds_read_b128 v[14:17], v7 offset:256
	ds_read_b128 v[18:21], v6 offset:8192
	s_waitcnt lgkmcnt(0)
	v_mul_f64 v[6:7], v[16:17], v[20:21]
	v_mul_f64 v[20:21], v[14:15], v[20:21]
	v_fma_f64 v[6:7], v[14:15], v[18:19], -v[6:7]
	v_fma_f64 v[14:15], v[16:17], v[18:19], v[20:21]
	v_add_f64 v[2:3], v[2:3], v[6:7]
	v_add_f64 v[4:5], v[4:5], v[14:15]
.LBB86_493:
	s_or_b64 exec, exec, s[0:1]
	s_mov_b64 s[8:9], 0
	s_mov_b64 s[0:1], 0
	ds_write_b128 v8, v[2:5]
	s_waitcnt lgkmcnt(0)
	s_barrier
                                        ; implicit-def: $vgpr8_vgpr9
                                        ; implicit-def: $vgpr14_vgpr15
                                        ; implicit-def: $vgpr6_vgpr7
	s_and_saveexec_b64 s[10:11], s[2:3]
	s_cbranch_execz .LBB86_508
; %bb.494:
	v_lshlrev_b32_e32 v18, 4, v0
	ds_read_b128 v[6:9], v18 offset:16896
	ds_read_b128 v[14:17], v18 offset:17408
	s_mov_b64 s[0:1], exec
	s_waitcnt lgkmcnt(1)
	v_add_f64 v[1:2], v[2:3], v[6:7]
	v_add_f64 v[3:4], v[4:5], v[8:9]
	s_waitcnt lgkmcnt(0)
	v_add_f64 v[14:15], v[1:2], v[14:15]
	v_add_f64 v[16:17], v[3:4], v[16:17]
	ds_read_b128 v[1:4], v18 offset:17920
	ds_read_b128 v[5:8], v18 offset:18432
	s_waitcnt lgkmcnt(1)
	v_add_f64 v[1:2], v[14:15], v[1:2]
	v_add_f64 v[3:4], v[16:17], v[3:4]
	s_waitcnt lgkmcnt(0)
	v_add_f64 v[14:15], v[1:2], v[5:6]
	v_add_f64 v[16:17], v[3:4], v[7:8]
	ds_read_b128 v[1:4], v18 offset:18944
	ds_read_b128 v[5:8], v18 offset:19456
	;; [unrolled: 8-line block ×6, first 2 shown]
	s_waitcnt lgkmcnt(1)
	v_add_f64 v[1:2], v[14:15], v[1:2]
	v_add_f64 v[3:4], v[16:17], v[3:4]
	s_waitcnt lgkmcnt(0)
	v_add_f64 v[14:15], v[1:2], v[5:6]
	v_add_f64 v[8:9], v[3:4], v[7:8]
	ds_read_b128 v[1:4], v18 offset:24064
	v_lshl_add_u32 v5, s6, 5, v24
	v_mad_u64_u32 v[6:7], s[12:13], s16, v5, 0
	s_waitcnt lgkmcnt(0)
	v_add_f64 v[14:15], v[14:15], v[1:2]
	v_add_f64 v[8:9], v[8:9], v[3:4]
	v_mov_b32_e32 v1, v7
	v_mad_u64_u32 v[1:2], s[12:13], s17, v5, v[1:2]
	v_mov_b32_e32 v7, v1
	s_or_b64 exec, exec, s[10:11]
	s_and_b64 vcc, exec, s[8:9]
	s_cbranch_vccnz .LBB86_496
	s_branch .LBB86_509
.LBB86_495:
	s_mov_b64 s[0:1], 0
                                        ; implicit-def: $vgpr8_vgpr9
                                        ; implicit-def: $vgpr14_vgpr15
                                        ; implicit-def: $vgpr6_vgpr7
	s_cbranch_execz .LBB86_509
.LBB86_496:
	s_mov_b32 s10, 0
	v_mov_b32_e32 v1, 0
	v_mov_b32_e32 v2, v0
	s_branch .LBB86_498
.LBB86_497:                             ;   in Loop: Header=BB86_498 Depth=1
	s_or_b64 exec, exec, s[8:9]
	s_add_i32 s10, s10, 2
	v_add_u32_e32 v22, 0x400, v22
	s_cmp_lg_u32 s10, 32
	v_add_u32_e32 v2, -2, v2
	s_barrier
	s_cbranch_scc0 .LBB86_506
.LBB86_498:                             ; =>This Inner Loop Header: Depth=1
	v_cmp_eq_u32_e32 vcc, 0, v2
	s_and_b64 s[12:13], s[2:3], vcc
	s_and_saveexec_b64 s[8:9], s[12:13]
; %bb.499:                              ;   in Loop: Header=BB86_498 Depth=1
	ds_write_b128 v1, v[10:13] offset:25088
; %bb.500:                              ;   in Loop: Header=BB86_498 Depth=1
	s_or_b64 exec, exec, s[8:9]
	v_cmp_lt_u32_e32 vcc, s10, v0
	s_and_b64 s[12:13], s[2:3], vcc
	s_waitcnt lgkmcnt(0)
	s_barrier
	s_and_saveexec_b64 s[8:9], s[12:13]
	s_cbranch_execz .LBB86_502
; %bb.501:                              ;   in Loop: Header=BB86_498 Depth=1
	ds_read_b128 v[3:6], v1 offset:25088
	ds_read_b128 v[14:17], v22
	s_waitcnt lgkmcnt(0)
	v_mul_f64 v[7:8], v[5:6], v[16:17]
	v_mul_f64 v[16:17], v[3:4], v[16:17]
	v_fma_f64 v[3:4], v[3:4], v[14:15], -v[7:8]
	v_fma_f64 v[5:6], v[5:6], v[14:15], v[16:17]
	v_add_f64 v[10:11], v[10:11], v[3:4]
	v_add_f64 v[12:13], v[12:13], v[5:6]
.LBB86_502:                             ;   in Loop: Header=BB86_498 Depth=1
	s_or_b64 exec, exec, s[8:9]
	s_or_b32 s11, s10, 1
	v_cmp_eq_u32_e32 vcc, s11, v0
	s_and_b64 s[12:13], s[2:3], vcc
	s_barrier
	s_and_saveexec_b64 s[8:9], s[12:13]
; %bb.503:                              ;   in Loop: Header=BB86_498 Depth=1
	ds_write_b128 v1, v[10:13] offset:25088
; %bb.504:                              ;   in Loop: Header=BB86_498 Depth=1
	s_or_b64 exec, exec, s[8:9]
	v_cmp_lt_u32_e32 vcc, s11, v0
	s_and_b64 s[12:13], s[2:3], vcc
	s_waitcnt lgkmcnt(0)
	s_barrier
	s_and_saveexec_b64 s[8:9], s[12:13]
	s_cbranch_execz .LBB86_497
; %bb.505:                              ;   in Loop: Header=BB86_498 Depth=1
	ds_read_b128 v[3:6], v1 offset:25088
	ds_read_b128 v[14:17], v22 offset:512
	s_waitcnt lgkmcnt(0)
	v_mul_f64 v[7:8], v[5:6], v[16:17]
	v_mul_f64 v[16:17], v[3:4], v[16:17]
	v_fma_f64 v[3:4], v[3:4], v[14:15], -v[7:8]
	v_fma_f64 v[5:6], v[5:6], v[14:15], v[16:17]
	v_add_f64 v[10:11], v[10:11], v[3:4]
	v_add_f64 v[12:13], v[12:13], v[5:6]
	s_branch .LBB86_497
.LBB86_506:
	s_and_b64 vcc, exec, s[4:5]
	s_cbranch_vccz .LBB86_510
; %bb.507:
	s_and_b64 s[4:5], s[2:3], exec
	s_cbranch_execz .LBB86_511
	s_branch .LBB86_512
.LBB86_508:
	s_or_b64 exec, exec, s[10:11]
	s_and_b64 vcc, exec, s[8:9]
	s_cbranch_vccnz .LBB86_496
.LBB86_509:
	v_mov_b32_e32 v13, v9
	v_mov_b32_e32 v10, v14
	;; [unrolled: 1-line block ×4, first 2 shown]
	s_and_saveexec_b64 s[2:3], s[0:1]
	s_cbranch_execnz .LBB86_515
	s_branch .LBB86_516
.LBB86_510:
	s_mov_b64 s[4:5], 0
.LBB86_511:
	v_cmp_gt_i32_e32 vcc, s7, v0
	s_and_b64 s[2:3], s[2:3], vcc
	s_andn2_b64 s[4:5], s[4:5], exec
	s_and_b64 s[2:3], s[2:3], exec
	s_or_b64 s[4:5], s[4:5], s[2:3]
.LBB86_512:
                                        ; implicit-def: $vgpr6_vgpr7
	s_and_saveexec_b64 s[2:3], s[4:5]
	s_cbranch_execz .LBB86_514
; %bb.513:
	s_lshl_b32 s4, s6, 5
	s_ashr_i32 s5, s4, 31
	v_mov_b32_e32 v0, s5
	v_add_co_u32_e32 v1, vcc, s4, v24
	v_addc_co_u32_e32 v0, vcc, 0, v0, vcc
	v_mul_lo_u32 v0, v0, s16
	v_mul_lo_u32 v2, v1, s17
	v_mad_u64_u32 v[6:7], s[4:5], v1, s16, 0
	s_or_b64 s[0:1], s[0:1], exec
	v_add3_u32 v7, v7, v2, v0
.LBB86_514:
	s_or_b64 exec, exec, s[2:3]
	s_and_saveexec_b64 s[2:3], s[0:1]
	s_cbranch_execz .LBB86_516
.LBB86_515:
	v_lshlrev_b64 v[0:1], 4, v[6:7]
	v_mov_b32_e32 v2, s29
	v_add_co_u32_e32 v0, vcc, s28, v0
	v_addc_co_u32_e32 v1, vcc, v2, v1, vcc
	global_store_dwordx4 v[0:1], v[10:13], off
.LBB86_516:
	s_or_b64 exec, exec, s[2:3]
	v_cmp_eq_u32_e32 vcc, 0, v24
	s_waitcnt vmcnt(0)
	buffer_wbinvl1_vol
	s_barrier
	s_and_saveexec_b64 s[0:1], vcc
	s_cbranch_execz .LBB86_518
; %bb.517:
	s_lshl_b64 s[2:3], s[34:35], 2
	s_add_u32 s2, s14, s2
	s_addc_u32 s3, s15, s3
	v_mov_b32_e32 v0, 0
	global_load_dword v1, v0, s[2:3]
	s_waitcnt vmcnt(0)
	v_add_u32_e32 v1, 1, v1
	global_store_dword v0, v1, s[2:3]
.LBB86_518:
	s_or_b64 exec, exec, s[0:1]
	s_waitcnt vmcnt(0)
	buffer_wbinvl1_vol
	s_endpgm
.LBB86_519:
	ds_read_b128 v[25:28], v24 offset:14800
	ds_read_b128 v[29:32], v21 offset:15232
	s_waitcnt lgkmcnt(0)
	v_mul_f64 v[33:34], v[27:28], v[31:32]
	v_mul_f64 v[31:32], v[25:26], v[31:32]
	v_fma_f64 v[25:26], v[25:26], v[29:30], -v[33:34]
	v_fma_f64 v[27:28], v[27:28], v[29:30], v[31:32]
	v_add_f64 v[10:11], v[10:11], v[25:26]
	v_add_f64 v[12:13], v[12:13], v[27:28]
	s_or_b64 exec, exec, s[18:19]
	v_cmp_gt_u32_e64 s[12:13], 8, v17
	s_and_saveexec_b64 s[18:19], s[12:13]
	s_cbranch_execz .LBB86_57
.LBB86_520:
	ds_read_b128 v[24:27], v24 offset:14816
	ds_read_b128 v[28:31], v21 offset:15744
	s_waitcnt lgkmcnt(0)
	v_mul_f64 v[32:33], v[26:27], v[30:31]
	v_mul_f64 v[30:31], v[24:25], v[30:31]
	v_fma_f64 v[24:25], v[24:25], v[28:29], -v[32:33]
	v_fma_f64 v[26:27], v[26:27], v[28:29], v[30:31]
	v_add_f64 v[10:11], v[10:11], v[24:25]
	v_add_f64 v[12:13], v[12:13], v[26:27]
	s_or_b64 exec, exec, s[18:19]
	v_cmp_gt_u32_e64 s[12:13], 4, v17
	s_and_saveexec_b64 s[18:19], s[12:13]
	s_cbranch_execnz .LBB86_58
	s_branch .LBB86_59
.LBB86_521:
	ds_read_b128 v[28:31], v27 offset:12688
	ds_read_b128 v[32:35], v26 offset:13056
	s_waitcnt lgkmcnt(0)
	v_mul_f64 v[36:37], v[30:31], v[34:35]
	v_mul_f64 v[34:35], v[28:29], v[34:35]
	v_fma_f64 v[28:29], v[28:29], v[32:33], -v[36:37]
	v_fma_f64 v[30:31], v[30:31], v[32:33], v[34:35]
	v_add_f64 v[10:11], v[10:11], v[28:29]
	v_add_f64 v[12:13], v[12:13], v[30:31]
	s_or_b64 exec, exec, s[56:57]
	v_cmp_gt_u32_e64 s[14:15], 48, v17
	s_and_saveexec_b64 s[56:57], s[14:15]
	s_cbranch_execz .LBB86_99
.LBB86_522:
	ds_read_b128 v[28:31], v27 offset:12704
	ds_read_b128 v[32:35], v26 offset:13568
	s_waitcnt lgkmcnt(0)
	v_mul_f64 v[36:37], v[30:31], v[34:35]
	v_mul_f64 v[34:35], v[28:29], v[34:35]
	v_fma_f64 v[28:29], v[28:29], v[32:33], -v[36:37]
	v_fma_f64 v[30:31], v[30:31], v[32:33], v[34:35]
	v_add_f64 v[10:11], v[10:11], v[28:29]
	v_add_f64 v[12:13], v[12:13], v[30:31]
	s_or_b64 exec, exec, s[56:57]
	v_cmp_gt_u32_e64 s[14:15], 40, v17
	s_and_saveexec_b64 s[56:57], s[14:15]
	s_cbranch_execz .LBB86_100
.LBB86_523:
	ds_read_b128 v[28:31], v27 offset:12720
	ds_read_b128 v[32:35], v26 offset:14080
	s_waitcnt lgkmcnt(0)
	v_mul_f64 v[36:37], v[30:31], v[34:35]
	v_mul_f64 v[34:35], v[28:29], v[34:35]
	v_fma_f64 v[28:29], v[28:29], v[32:33], -v[36:37]
	v_fma_f64 v[30:31], v[30:31], v[32:33], v[34:35]
	v_add_f64 v[10:11], v[10:11], v[28:29]
	v_add_f64 v[12:13], v[12:13], v[30:31]
	s_or_b64 exec, exec, s[56:57]
	v_cmp_gt_u32_e64 s[14:15], 32, v17
	s_and_saveexec_b64 s[56:57], s[14:15]
	s_cbranch_execz .LBB86_101
.LBB86_524:
	ds_read_b128 v[28:31], v27 offset:12736
	ds_read_b128 v[32:35], v26 offset:14592
	s_waitcnt lgkmcnt(0)
	v_mul_f64 v[36:37], v[30:31], v[34:35]
	v_mul_f64 v[34:35], v[28:29], v[34:35]
	v_fma_f64 v[28:29], v[28:29], v[32:33], -v[36:37]
	v_fma_f64 v[30:31], v[30:31], v[32:33], v[34:35]
	v_add_f64 v[10:11], v[10:11], v[28:29]
	v_add_f64 v[12:13], v[12:13], v[30:31]
	s_or_b64 exec, exec, s[56:57]
	v_cmp_gt_u32_e64 s[14:15], 24, v17
	s_and_saveexec_b64 s[56:57], s[14:15]
	s_cbranch_execz .LBB86_102
.LBB86_525:
	ds_read_b128 v[28:31], v27 offset:12752
	ds_read_b128 v[32:35], v26 offset:15104
	s_waitcnt lgkmcnt(0)
	v_mul_f64 v[36:37], v[30:31], v[34:35]
	v_mul_f64 v[34:35], v[28:29], v[34:35]
	v_fma_f64 v[28:29], v[28:29], v[32:33], -v[36:37]
	v_fma_f64 v[30:31], v[30:31], v[32:33], v[34:35]
	v_add_f64 v[10:11], v[10:11], v[28:29]
	v_add_f64 v[12:13], v[12:13], v[30:31]
	s_or_b64 exec, exec, s[56:57]
	s_and_saveexec_b64 s[14:15], s[16:17]
	s_cbranch_execz .LBB86_103
.LBB86_526:
	ds_read_b128 v[27:30], v27 offset:12768
	ds_read_b128 v[31:34], v26 offset:15616
	s_waitcnt lgkmcnt(0)
	v_mul_f64 v[35:36], v[29:30], v[33:34]
	v_mul_f64 v[33:34], v[27:28], v[33:34]
	v_fma_f64 v[26:27], v[27:28], v[31:32], -v[35:36]
	v_fma_f64 v[28:29], v[29:30], v[31:32], v[33:34]
	v_add_f64 v[10:11], v[10:11], v[26:27]
	v_add_f64 v[12:13], v[12:13], v[28:29]
	s_or_b64 exec, exec, s[14:15]
	v_cmp_gt_u32_e64 s[14:15], 8, v17
	s_and_saveexec_b64 s[56:57], s[14:15]
	s_cbranch_execnz .LBB86_104
	s_branch .LBB86_105
.LBB86_527:
	ds_read_b128 v[28:31], v27 offset:10576
	ds_read_b128 v[32:35], v26 offset:11008
	s_waitcnt lgkmcnt(0)
	v_mul_f64 v[36:37], v[30:31], v[34:35]
	v_mul_f64 v[34:35], v[28:29], v[34:35]
	v_fma_f64 v[28:29], v[28:29], v[32:33], -v[36:37]
	v_fma_f64 v[30:31], v[30:31], v[32:33], v[34:35]
	v_add_f64 v[10:11], v[10:11], v[28:29]
	v_add_f64 v[12:13], v[12:13], v[30:31]
	s_or_b64 exec, exec, s[18:19]
	v_cmp_gt_u32_e64 s[12:13], 8, v17
	s_and_saveexec_b64 s[18:19], s[12:13]
	s_cbranch_execz .LBB86_161
.LBB86_528:
	ds_read_b128 v[27:30], v27 offset:10592
	ds_read_b128 v[31:34], v26 offset:11520
	s_waitcnt lgkmcnt(0)
	v_mul_f64 v[35:36], v[29:30], v[33:34]
	v_mul_f64 v[33:34], v[27:28], v[33:34]
	v_fma_f64 v[26:27], v[27:28], v[31:32], -v[35:36]
	v_fma_f64 v[28:29], v[29:30], v[31:32], v[33:34]
	v_add_f64 v[10:11], v[10:11], v[26:27]
	v_add_f64 v[12:13], v[12:13], v[28:29]
	s_or_b64 exec, exec, s[18:19]
	v_cmp_gt_u32_e64 s[12:13], 4, v17
	s_and_saveexec_b64 s[18:19], s[12:13]
	s_cbranch_execnz .LBB86_162
	s_branch .LBB86_163
.LBB86_529:
	ds_read_b128 v[31:34], v30 offset:8624
	ds_read_b128 v[35:38], v29 offset:13824
	s_waitcnt lgkmcnt(0)
	v_mul_f64 v[39:40], v[33:34], v[37:38]
	v_mul_f64 v[37:38], v[31:32], v[37:38]
	v_fma_f64 v[31:32], v[31:32], v[35:36], -v[39:40]
	v_fma_f64 v[33:34], v[33:34], v[35:36], v[37:38]
	v_add_f64 v[10:11], v[10:11], v[31:32]
	v_add_f64 v[12:13], v[12:13], v[33:34]
	s_or_b64 exec, exec, s[88:89]
	s_and_saveexec_b64 s[18:19], s[8:9]
	s_cbranch_execz .LBB86_223
.LBB86_530:
	ds_read_b128 v[31:34], v30 offset:8640
	ds_read_b128 v[35:38], v29 offset:14336
	s_waitcnt lgkmcnt(0)
	v_mul_f64 v[39:40], v[33:34], v[37:38]
	v_mul_f64 v[37:38], v[31:32], v[37:38]
	v_fma_f64 v[31:32], v[31:32], v[35:36], -v[39:40]
	v_fma_f64 v[33:34], v[33:34], v[35:36], v[37:38]
	v_add_f64 v[10:11], v[10:11], v[31:32]
	v_add_f64 v[12:13], v[12:13], v[33:34]
	s_or_b64 exec, exec, s[18:19]
	v_cmp_gt_u32_e64 s[18:19], 48, v17
	s_and_saveexec_b64 s[88:89], s[18:19]
	s_cbranch_execz .LBB86_224
.LBB86_531:
	ds_read_b128 v[31:34], v30 offset:8656
	ds_read_b128 v[35:38], v29 offset:14848
	s_waitcnt lgkmcnt(0)
	v_mul_f64 v[39:40], v[33:34], v[37:38]
	v_mul_f64 v[37:38], v[31:32], v[37:38]
	v_fma_f64 v[31:32], v[31:32], v[35:36], -v[39:40]
	v_fma_f64 v[33:34], v[33:34], v[35:36], v[37:38]
	v_add_f64 v[10:11], v[10:11], v[31:32]
	v_add_f64 v[12:13], v[12:13], v[33:34]
	s_or_b64 exec, exec, s[88:89]
	v_cmp_gt_u32_e64 s[18:19], 32, v17
	s_and_saveexec_b64 s[88:89], s[18:19]
	s_cbranch_execz .LBB86_225
.LBB86_532:
	ds_read_b128 v[30:33], v30 offset:8672
	ds_read_b128 v[34:37], v29 offset:15360
	s_waitcnt lgkmcnt(0)
	v_mul_f64 v[38:39], v[32:33], v[36:37]
	v_mul_f64 v[36:37], v[30:31], v[36:37]
	v_fma_f64 v[29:30], v[30:31], v[34:35], -v[38:39]
	v_fma_f64 v[31:32], v[32:33], v[34:35], v[36:37]
	v_add_f64 v[10:11], v[10:11], v[29:30]
	v_add_f64 v[12:13], v[12:13], v[31:32]
	s_or_b64 exec, exec, s[88:89]
	v_cmp_gt_u32_e64 s[18:19], 16, v17
	s_and_saveexec_b64 s[88:89], s[18:19]
	s_cbranch_execnz .LBB86_226
	s_branch .LBB86_227
.LBB86_533:
	ds_read_b128 v[28:31], v27 offset:6352
	ds_read_b128 v[32:35], v26 offset:6784
	s_waitcnt lgkmcnt(0)
	v_mul_f64 v[36:37], v[30:31], v[34:35]
	v_mul_f64 v[34:35], v[28:29], v[34:35]
	v_fma_f64 v[28:29], v[28:29], v[32:33], -v[36:37]
	v_fma_f64 v[30:31], v[30:31], v[32:33], v[34:35]
	v_add_f64 v[10:11], v[10:11], v[28:29]
	v_add_f64 v[12:13], v[12:13], v[30:31]
	s_or_b64 exec, exec, s[14:15]
	v_cmp_gt_u32_e64 s[10:11], 8, v17
	s_and_saveexec_b64 s[14:15], s[10:11]
	s_cbranch_execz .LBB86_315
.LBB86_534:
	ds_read_b128 v[27:30], v27 offset:6368
	ds_read_b128 v[31:34], v26 offset:7296
	s_waitcnt lgkmcnt(0)
	v_mul_f64 v[35:36], v[29:30], v[33:34]
	v_mul_f64 v[33:34], v[27:28], v[33:34]
	v_fma_f64 v[26:27], v[27:28], v[31:32], -v[35:36]
	v_fma_f64 v[28:29], v[29:30], v[31:32], v[33:34]
	v_add_f64 v[10:11], v[10:11], v[26:27]
	v_add_f64 v[12:13], v[12:13], v[28:29]
	s_or_b64 exec, exec, s[14:15]
	v_cmp_gt_u32_e64 s[10:11], 4, v17
	s_and_saveexec_b64 s[14:15], s[10:11]
	s_cbranch_execnz .LBB86_316
	s_branch .LBB86_317
.LBB86_535:
	ds_read_b128 v[28:31], v27 offset:4240
	ds_read_b128 v[32:35], v26 offset:4608
	s_waitcnt lgkmcnt(0)
	v_mul_f64 v[36:37], v[30:31], v[34:35]
	v_mul_f64 v[34:35], v[28:29], v[34:35]
	v_fma_f64 v[28:29], v[28:29], v[32:33], -v[36:37]
	v_fma_f64 v[30:31], v[30:31], v[32:33], v[34:35]
	v_add_f64 v[10:11], v[10:11], v[28:29]
	v_add_f64 v[12:13], v[12:13], v[30:31]
	s_or_b64 exec, exec, s[14:15]
	v_cmp_gt_u32_e64 s[10:11], 48, v17
	s_and_saveexec_b64 s[14:15], s[10:11]
	s_cbranch_execz .LBB86_357
.LBB86_536:
	ds_read_b128 v[28:31], v27 offset:4256
	ds_read_b128 v[32:35], v26 offset:5120
	s_waitcnt lgkmcnt(0)
	v_mul_f64 v[36:37], v[30:31], v[34:35]
	v_mul_f64 v[34:35], v[28:29], v[34:35]
	v_fma_f64 v[28:29], v[28:29], v[32:33], -v[36:37]
	v_fma_f64 v[30:31], v[30:31], v[32:33], v[34:35]
	v_add_f64 v[10:11], v[10:11], v[28:29]
	v_add_f64 v[12:13], v[12:13], v[30:31]
	s_or_b64 exec, exec, s[14:15]
	v_cmp_gt_u32_e64 s[10:11], 40, v17
	s_and_saveexec_b64 s[14:15], s[10:11]
	s_cbranch_execz .LBB86_358
.LBB86_537:
	ds_read_b128 v[28:31], v27 offset:4272
	ds_read_b128 v[32:35], v26 offset:5632
	s_waitcnt lgkmcnt(0)
	v_mul_f64 v[36:37], v[30:31], v[34:35]
	v_mul_f64 v[34:35], v[28:29], v[34:35]
	v_fma_f64 v[28:29], v[28:29], v[32:33], -v[36:37]
	v_fma_f64 v[30:31], v[30:31], v[32:33], v[34:35]
	v_add_f64 v[10:11], v[10:11], v[28:29]
	v_add_f64 v[12:13], v[12:13], v[30:31]
	s_or_b64 exec, exec, s[14:15]
	v_cmp_gt_u32_e64 s[10:11], 32, v17
	s_and_saveexec_b64 s[14:15], s[10:11]
	s_cbranch_execz .LBB86_359
.LBB86_538:
	ds_read_b128 v[28:31], v27 offset:4288
	ds_read_b128 v[32:35], v26 offset:6144
	s_waitcnt lgkmcnt(0)
	v_mul_f64 v[36:37], v[30:31], v[34:35]
	v_mul_f64 v[34:35], v[28:29], v[34:35]
	v_fma_f64 v[28:29], v[28:29], v[32:33], -v[36:37]
	v_fma_f64 v[30:31], v[30:31], v[32:33], v[34:35]
	v_add_f64 v[10:11], v[10:11], v[28:29]
	v_add_f64 v[12:13], v[12:13], v[30:31]
	s_or_b64 exec, exec, s[14:15]
	v_cmp_gt_u32_e64 s[10:11], 24, v17
	s_and_saveexec_b64 s[14:15], s[10:11]
	s_cbranch_execz .LBB86_360
.LBB86_539:
	ds_read_b128 v[28:31], v27 offset:4304
	ds_read_b128 v[32:35], v26 offset:6656
	s_waitcnt lgkmcnt(0)
	v_mul_f64 v[36:37], v[30:31], v[34:35]
	v_mul_f64 v[34:35], v[28:29], v[34:35]
	v_fma_f64 v[28:29], v[28:29], v[32:33], -v[36:37]
	v_fma_f64 v[30:31], v[30:31], v[32:33], v[34:35]
	v_add_f64 v[10:11], v[10:11], v[28:29]
	v_add_f64 v[12:13], v[12:13], v[30:31]
	s_or_b64 exec, exec, s[14:15]
	s_and_saveexec_b64 s[10:11], s[16:17]
	s_cbranch_execz .LBB86_361
.LBB86_540:
	ds_read_b128 v[27:30], v27 offset:4320
	ds_read_b128 v[31:34], v26 offset:7168
	s_waitcnt lgkmcnt(0)
	v_mul_f64 v[35:36], v[29:30], v[33:34]
	v_mul_f64 v[33:34], v[27:28], v[33:34]
	v_fma_f64 v[26:27], v[27:28], v[31:32], -v[35:36]
	v_fma_f64 v[28:29], v[29:30], v[31:32], v[33:34]
	v_add_f64 v[10:11], v[10:11], v[26:27]
	v_add_f64 v[12:13], v[12:13], v[28:29]
	s_or_b64 exec, exec, s[10:11]
	v_cmp_gt_u32_e64 s[10:11], 8, v17
	s_and_saveexec_b64 s[14:15], s[10:11]
	s_cbranch_execnz .LBB86_362
	s_branch .LBB86_363
.LBB86_541:
	ds_read_b128 v[25:28], v24 offset:2128
	ds_read_b128 v[29:32], v21 offset:2560
	s_waitcnt lgkmcnt(0)
	v_mul_f64 v[33:34], v[27:28], v[31:32]
	v_mul_f64 v[31:32], v[25:26], v[31:32]
	v_fma_f64 v[25:26], v[25:26], v[29:30], -v[33:34]
	v_fma_f64 v[27:28], v[27:28], v[29:30], v[31:32]
	v_add_f64 v[10:11], v[10:11], v[25:26]
	v_add_f64 v[12:13], v[12:13], v[27:28]
	s_or_b64 exec, exec, s[12:13]
	v_cmp_gt_u32_e64 s[8:9], 8, v17
	s_and_saveexec_b64 s[12:13], s[8:9]
	s_cbranch_execz .LBB86_419
.LBB86_542:
	ds_read_b128 v[24:27], v24 offset:2144
	ds_read_b128 v[28:31], v21 offset:3072
	s_waitcnt lgkmcnt(0)
	v_mul_f64 v[32:33], v[26:27], v[30:31]
	v_mul_f64 v[30:31], v[24:25], v[30:31]
	v_fma_f64 v[24:25], v[24:25], v[28:29], -v[32:33]
	v_fma_f64 v[26:27], v[26:27], v[28:29], v[30:31]
	v_add_f64 v[10:11], v[10:11], v[24:25]
	v_add_f64 v[12:13], v[12:13], v[26:27]
	s_or_b64 exec, exec, s[12:13]
	v_cmp_gt_u32_e64 s[8:9], 4, v17
	s_and_saveexec_b64 s[12:13], s[8:9]
	s_cbranch_execnz .LBB86_420
	s_branch .LBB86_421
	.section	.rodata,"a",@progbits
	.p2align	6, 0x0
	.amdhsa_kernel _ZL19rocblas_trsv_deviceILi32ELi16ELb0ELb1ELb0ELb1E19rocblas_complex_numIdES1_PKS1_PS1_EviT7_lllT6_T8_lllPii
		.amdhsa_group_segment_fixed_size 25104
		.amdhsa_private_segment_fixed_size 0
		.amdhsa_kernarg_size 360
		.amdhsa_user_sgpr_count 6
		.amdhsa_user_sgpr_private_segment_buffer 1
		.amdhsa_user_sgpr_dispatch_ptr 0
		.amdhsa_user_sgpr_queue_ptr 0
		.amdhsa_user_sgpr_kernarg_segment_ptr 1
		.amdhsa_user_sgpr_dispatch_id 0
		.amdhsa_user_sgpr_flat_scratch_init 0
		.amdhsa_user_sgpr_private_segment_size 0
		.amdhsa_uses_dynamic_stack 0
		.amdhsa_system_sgpr_private_segment_wavefront_offset 0
		.amdhsa_system_sgpr_workgroup_id_x 1
		.amdhsa_system_sgpr_workgroup_id_y 0
		.amdhsa_system_sgpr_workgroup_id_z 1
		.amdhsa_system_sgpr_workgroup_info 0
		.amdhsa_system_vgpr_workitem_id 1
		.amdhsa_next_free_vgpr 49
		.amdhsa_next_free_sgpr 98
		.amdhsa_reserve_vcc 1
		.amdhsa_reserve_flat_scratch 0
		.amdhsa_float_round_mode_32 0
		.amdhsa_float_round_mode_16_64 0
		.amdhsa_float_denorm_mode_32 3
		.amdhsa_float_denorm_mode_16_64 3
		.amdhsa_dx10_clamp 1
		.amdhsa_ieee_mode 1
		.amdhsa_fp16_overflow 0
		.amdhsa_exception_fp_ieee_invalid_op 0
		.amdhsa_exception_fp_denorm_src 0
		.amdhsa_exception_fp_ieee_div_zero 0
		.amdhsa_exception_fp_ieee_overflow 0
		.amdhsa_exception_fp_ieee_underflow 0
		.amdhsa_exception_fp_ieee_inexact 0
		.amdhsa_exception_int_div_zero 0
	.end_amdhsa_kernel
	.section	.text._ZL19rocblas_trsv_deviceILi32ELi16ELb0ELb1ELb0ELb1E19rocblas_complex_numIdES1_PKS1_PS1_EviT7_lllT6_T8_lllPii,"axG",@progbits,_ZL19rocblas_trsv_deviceILi32ELi16ELb0ELb1ELb0ELb1E19rocblas_complex_numIdES1_PKS1_PS1_EviT7_lllT6_T8_lllPii,comdat
.Lfunc_end86:
	.size	_ZL19rocblas_trsv_deviceILi32ELi16ELb0ELb1ELb0ELb1E19rocblas_complex_numIdES1_PKS1_PS1_EviT7_lllT6_T8_lllPii, .Lfunc_end86-_ZL19rocblas_trsv_deviceILi32ELi16ELb0ELb1ELb0ELb1E19rocblas_complex_numIdES1_PKS1_PS1_EviT7_lllT6_T8_lllPii
                                        ; -- End function
	.set _ZL19rocblas_trsv_deviceILi32ELi16ELb0ELb1ELb0ELb1E19rocblas_complex_numIdES1_PKS1_PS1_EviT7_lllT6_T8_lllPii.num_vgpr, 41
	.set _ZL19rocblas_trsv_deviceILi32ELi16ELb0ELb1ELb0ELb1E19rocblas_complex_numIdES1_PKS1_PS1_EviT7_lllT6_T8_lllPii.num_agpr, 0
	.set _ZL19rocblas_trsv_deviceILi32ELi16ELb0ELb1ELb0ELb1E19rocblas_complex_numIdES1_PKS1_PS1_EviT7_lllT6_T8_lllPii.numbered_sgpr, 96
	.set _ZL19rocblas_trsv_deviceILi32ELi16ELb0ELb1ELb0ELb1E19rocblas_complex_numIdES1_PKS1_PS1_EviT7_lllT6_T8_lllPii.num_named_barrier, 0
	.set _ZL19rocblas_trsv_deviceILi32ELi16ELb0ELb1ELb0ELb1E19rocblas_complex_numIdES1_PKS1_PS1_EviT7_lllT6_T8_lllPii.private_seg_size, 0
	.set _ZL19rocblas_trsv_deviceILi32ELi16ELb0ELb1ELb0ELb1E19rocblas_complex_numIdES1_PKS1_PS1_EviT7_lllT6_T8_lllPii.uses_vcc, 1
	.set _ZL19rocblas_trsv_deviceILi32ELi16ELb0ELb1ELb0ELb1E19rocblas_complex_numIdES1_PKS1_PS1_EviT7_lllT6_T8_lllPii.uses_flat_scratch, 0
	.set _ZL19rocblas_trsv_deviceILi32ELi16ELb0ELb1ELb0ELb1E19rocblas_complex_numIdES1_PKS1_PS1_EviT7_lllT6_T8_lllPii.has_dyn_sized_stack, 0
	.set _ZL19rocblas_trsv_deviceILi32ELi16ELb0ELb1ELb0ELb1E19rocblas_complex_numIdES1_PKS1_PS1_EviT7_lllT6_T8_lllPii.has_recursion, 0
	.set _ZL19rocblas_trsv_deviceILi32ELi16ELb0ELb1ELb0ELb1E19rocblas_complex_numIdES1_PKS1_PS1_EviT7_lllT6_T8_lllPii.has_indirect_call, 0
	.section	.AMDGPU.csdata,"",@progbits
; Kernel info:
; codeLenInByte = 22980
; TotalNumSgprs: 100
; NumVgprs: 41
; ScratchSize: 0
; MemoryBound: 1
; FloatMode: 240
; IeeeMode: 1
; LDSByteSize: 25104 bytes/workgroup (compile time only)
; SGPRBlocks: 12
; VGPRBlocks: 12
; NumSGPRsForWavesPerEU: 102
; NumVGPRsForWavesPerEU: 49
; Occupancy: 4
; WaveLimiterHint : 0
; COMPUTE_PGM_RSRC2:SCRATCH_EN: 0
; COMPUTE_PGM_RSRC2:USER_SGPR: 6
; COMPUTE_PGM_RSRC2:TRAP_HANDLER: 0
; COMPUTE_PGM_RSRC2:TGID_X_EN: 1
; COMPUTE_PGM_RSRC2:TGID_Y_EN: 0
; COMPUTE_PGM_RSRC2:TGID_Z_EN: 1
; COMPUTE_PGM_RSRC2:TIDIG_COMP_CNT: 1
	.section	.text._ZL19rocblas_trsv_deviceILi32ELi16ELb0ELb1ELb1ELb1E19rocblas_complex_numIdES1_PKS1_PS1_EviT7_lllT6_T8_lllPii,"axG",@progbits,_ZL19rocblas_trsv_deviceILi32ELi16ELb0ELb1ELb1ELb1E19rocblas_complex_numIdES1_PKS1_PS1_EviT7_lllT6_T8_lllPii,comdat
	.globl	_ZL19rocblas_trsv_deviceILi32ELi16ELb0ELb1ELb1ELb1E19rocblas_complex_numIdES1_PKS1_PS1_EviT7_lllT6_T8_lllPii ; -- Begin function _ZL19rocblas_trsv_deviceILi32ELi16ELb0ELb1ELb1ELb1E19rocblas_complex_numIdES1_PKS1_PS1_EviT7_lllT6_T8_lllPii
	.p2align	8
	.type	_ZL19rocblas_trsv_deviceILi32ELi16ELb0ELb1ELb1ELb1E19rocblas_complex_numIdES1_PKS1_PS1_EviT7_lllT6_T8_lllPii,@function
_ZL19rocblas_trsv_deviceILi32ELi16ELb0ELb1ELb1ELb1E19rocblas_complex_numIdES1_PKS1_PS1_EviT7_lllT6_T8_lllPii: ; @_ZL19rocblas_trsv_deviceILi32ELi16ELb0ELb1ELb1ELb1E19rocblas_complex_numIdES1_PKS1_PS1_EviT7_lllT6_T8_lllPii
; %bb.0:
	s_load_dwordx16 s[16:31], s[4:5], 0x8
	s_load_dword s33, s[4:5], 0x0
	s_load_dword s44, s[4:5], 0x74
	s_mov_b32 s34, s7
	s_mov_b32 s35, 0
	s_waitcnt lgkmcnt(0)
	s_mul_i32 s0, s23, s7
	s_mul_hi_u32 s1, s22, s7
	s_add_i32 s1, s1, s0
	s_mul_i32 s0, s22, s7
	s_lshl_b64 s[0:1], s[0:1], 4
	s_add_u32 s2, s16, s0
	s_addc_u32 s3, s17, s1
	s_lshl_b64 s[0:1], s[18:19], 4
	s_add_u32 s90, s2, s0
	s_addc_u32 s91, s3, s1
	s_cmp_eq_u32 s6, 0
	s_cbranch_scc1 .LBB87_6
; %bb.1:
	s_lshl_b32 s2, s6, 5
	v_add_u32_e32 v6, s2, v0
	v_ashrrev_i32_e32 v2, 31, v6
	v_mul_lo_u32 v7, s20, v2
	v_mul_lo_u32 v8, s21, v6
	v_mad_u64_u32 v[4:5], s[0:1], s20, v6, 0
	v_add_u32_e32 v2, s2, v1
	v_subrev_u32_e32 v2, 32, v2
	v_add3_u32 v5, v5, v7, v8
	v_lshlrev_b64 v[4:5], 4, v[4:5]
	v_ashrrev_i32_e32 v3, 31, v2
	v_cmp_gt_i32_e32 vcc, s33, v6
	v_mov_b32_e32 v6, s91
	v_add_co_u32_e64 v7, s[0:1], s90, v4
	v_lshlrev_b64 v[3:4], 4, v[2:3]
	v_addc_co_u32_e64 v5, s[0:1], v6, v5, s[0:1]
	v_add_co_u32_e64 v10, s[0:1], v7, v3
	v_addc_co_u32_e64 v11, s[0:1], v5, v4, s[0:1]
	v_cmp_gt_i32_e64 s[0:1], s33, v2
	v_mov_b32_e32 v4, 0
	v_mov_b32_e32 v6, 0
	;; [unrolled: 1-line block ×6, first 2 shown]
	s_and_b64 s[2:3], s[0:1], vcc
	s_barrier
	s_and_saveexec_b64 s[0:1], s[2:3]
	s_cbranch_execz .LBB87_3
; %bb.2:
	global_load_dwordx4 v[6:9], v[10:11], off
.LBB87_3:
	s_or_b64 exec, exec, s[0:1]
	v_add_u32_e32 v2, 16, v2
	v_cmp_gt_i32_e64 s[0:1], s33, v2
	v_mov_b32_e32 v2, 0
	v_mov_b32_e32 v3, 0
	s_and_b64 s[2:3], s[0:1], vcc
	s_waitcnt vmcnt(0)
	s_barrier
	s_and_saveexec_b64 s[0:1], s[2:3]
	s_cbranch_execz .LBB87_5
; %bb.4:
	global_load_dwordx4 v[2:5], v[10:11], off offset:256
.LBB87_5:
	s_or_b64 exec, exec, s[0:1]
	s_branch .LBB87_7
.LBB87_6:
                                        ; implicit-def: $vgpr4_vgpr5
                                        ; implicit-def: $vgpr8_vgpr9
.LBB87_7:
	s_ashr_i32 s0, s33, 31
	s_lshr_b32 s0, s0, 27
	s_add_i32 s0, s33, s0
	s_andn2_b32 s0, s0, 31
	s_sub_i32 s7, s33, s0
	s_add_i32 s0, s33, -1
	s_ashr_i32 s1, s0, 31
	s_lshr_b32 s1, s1, 27
	s_add_i32 s0, s0, s1
	s_ashr_i32 s0, s0, 5
	s_cmp_eq_u32 s0, s6
	s_cselect_b64 s[0:1], -1, 0
	s_cmp_lg_u32 s7, 0
	s_cselect_b64 s[2:3], -1, 0
	s_and_b64 s[22:23], s[2:3], s[0:1]
	s_cmp_lt_i32 s6, 5
	s_cselect_b64 s[2:3], -1, 0
	v_lshlrev_b32_e32 v10, 5, v0
	s_mov_b64 s[12:13], -1
	s_or_b64 s[0:1], s[2:3], s[22:23]
	s_and_b64 vcc, exec, s[22:23]
	v_add_u32_e32 v11, v1, v10
	v_cmp_le_u32_e64 s[8:9], v1, v0
	v_lshlrev_b32_e32 v22, 4, v0
	v_lshl_add_u32 v23, v1, 5, v0
	s_cbranch_vccnz .LBB87_21
; %bb.8:
	s_add_u32 s10, s20, 1
	s_addc_u32 s11, s21, 0
	s_lshl_b32 s12, s6, 5
	s_ashr_i32 s13, s12, 31
	s_mul_hi_u32 s14, s10, s12
	s_mul_i32 s13, s10, s13
	s_add_i32 s13, s14, s13
	s_mul_i32 s11, s11, s12
	s_add_i32 s11, s13, s11
	s_mul_i32 s10, s10, s12
	s_lshl_b64 s[10:11], s[10:11], 4
	s_add_u32 s10, s90, s10
	s_addc_u32 s11, s91, s11
	v_lshlrev_b32_e32 v12, 4, v0
	v_mov_b32_e32 v13, s11
	v_add_co_u32_e32 v12, vcc, s10, v12
	v_addc_co_u32_e32 v13, vcc, 0, v13, vcc
	v_cndmask_b32_e64 v14, v23, v11, s[2:3]
	s_and_saveexec_b64 s[2:3], s[8:9]
	s_xor_b64 s[2:3], exec, s[2:3]
	s_cbranch_execz .LBB87_12
; %bb.9:
	v_or_b32_e32 v15, v1, v0
	v_cmp_gt_u32_e32 vcc, 32, v15
	s_and_saveexec_b64 s[8:9], vcc
	s_cbranch_execz .LBB87_11
; %bb.10:
	v_lshlrev_b32_e32 v18, 4, v14
	v_mov_b32_e32 v14, 0
	v_mov_b32_e32 v15, v14
	;; [unrolled: 1-line block ×4, first 2 shown]
	ds_write_b128 v18, v[14:17]
.LBB87_11:
	s_or_b64 exec, exec, s[8:9]
                                        ; implicit-def: $vgpr14
.LBB87_12:
	s_andn2_saveexec_b64 s[2:3], s[2:3]
	s_cbranch_execz .LBB87_14
; %bb.13:
	v_mad_u64_u32 v[15:16], s[8:9], s20, v1, 0
	v_lshlrev_b32_e32 v14, 4, v14
	v_mad_u64_u32 v[16:17], s[8:9], s21, v1, v[16:17]
	v_lshlrev_b64 v[15:16], 4, v[15:16]
	v_add_co_u32_e32 v15, vcc, v12, v15
	v_addc_co_u32_e32 v16, vcc, v13, v16, vcc
	global_load_dwordx4 v[15:18], v[15:16], off
	s_waitcnt vmcnt(0)
	v_xor_b32_e32 v16, 0x80000000, v16
	ds_write_b128 v14, v[15:18]
.LBB87_14:
	s_or_b64 exec, exec, s[2:3]
	v_add_u32_e32 v15, 16, v1
	v_add_u32_e32 v14, v15, v10
	v_lshl_add_u32 v16, v15, 5, v0
	v_cndmask_b32_e64 v14, v16, v14, s[0:1]
	v_cmp_le_u32_e32 vcc, v15, v0
	s_and_saveexec_b64 s[2:3], vcc
	s_xor_b64 s[2:3], exec, s[2:3]
	s_cbranch_execz .LBB87_18
; %bb.15:
	v_or_b32_e32 v12, v15, v0
	v_cmp_gt_u32_e32 vcc, 32, v12
	s_and_saveexec_b64 s[8:9], vcc
	s_cbranch_execz .LBB87_17
; %bb.16:
	v_mov_b32_e32 v12, 0
	v_lshlrev_b32_e32 v16, 4, v14
	v_mov_b32_e32 v13, v12
	v_mov_b32_e32 v14, v12
	;; [unrolled: 1-line block ×3, first 2 shown]
	ds_write_b128 v16, v[12:15]
.LBB87_17:
	s_or_b64 exec, exec, s[8:9]
                                        ; implicit-def: $vgpr15
                                        ; implicit-def: $vgpr12
                                        ; implicit-def: $vgpr13
                                        ; implicit-def: $vgpr14
.LBB87_18:
	s_andn2_saveexec_b64 s[2:3], s[2:3]
	s_cbranch_execz .LBB87_20
; %bb.19:
	v_mad_u64_u32 v[16:17], s[8:9], s20, v15, 0
	v_mad_u64_u32 v[17:18], s[8:9], s21, v15, v[17:18]
	v_lshlrev_b64 v[15:16], 4, v[16:17]
	v_add_co_u32_e32 v12, vcc, v12, v15
	v_addc_co_u32_e32 v13, vcc, v13, v16, vcc
	global_load_dwordx4 v[15:18], v[12:13], off
	v_lshlrev_b32_e32 v12, 4, v14
	s_waitcnt vmcnt(0)
	v_xor_b32_e32 v16, 0x80000000, v16
	ds_write_b128 v12, v[15:18]
.LBB87_20:
	s_or_b64 exec, exec, s[2:3]
	s_mov_b64 s[12:13], 0
.LBB87_21:
	s_xor_b64 s[10:11], s[0:1], -1
	s_and_b64 vcc, exec, s[12:13]
	s_cbranch_vccz .LBB87_35
; %bb.22:
	s_add_u32 s2, s20, 1
	s_addc_u32 s3, s21, 0
	s_lshl_b32 s8, s6, 5
	s_ashr_i32 s9, s8, 31
	s_mul_hi_u32 s12, s2, s8
	s_mul_i32 s9, s2, s9
	s_add_i32 s9, s12, s9
	s_mul_i32 s3, s3, s8
	s_add_i32 s3, s9, s3
	s_mul_i32 s2, s2, s8
	s_lshl_b64 s[2:3], s[2:3], 4
	s_add_u32 s2, s90, s2
	s_addc_u32 s3, s91, s3
	v_lshlrev_b32_e32 v12, 4, v0
	v_mov_b32_e32 v13, s3
	v_add_co_u32_e64 v12, s[2:3], s2, v12
	v_addc_co_u32_e64 v13, s[2:3], 0, v13, s[2:3]
	v_max_i32_e32 v14, v1, v0
	v_cmp_le_u32_e64 s[2:3], v1, v0
	v_cmp_le_i32_e64 s[8:9], s7, v14
	v_cmp_gt_i32_e32 vcc, s7, v0
	s_or_b64 s[2:3], s[8:9], s[2:3]
	s_and_saveexec_b64 s[8:9], s[2:3]
	s_xor_b64 s[8:9], exec, s[8:9]
	s_cbranch_execz .LBB87_26
; %bb.23:
	v_or_b32_e32 v14, v1, v0
	v_cmp_gt_u32_e64 s[2:3], 32, v14
	s_and_saveexec_b64 s[12:13], s[2:3]
	s_cbranch_execz .LBB87_25
; %bb.24:
	v_mov_b32_e32 v14, 0
	v_lshlrev_b32_e32 v11, 4, v11
	v_mov_b32_e32 v15, v14
	v_mov_b32_e32 v16, v14
	;; [unrolled: 1-line block ×3, first 2 shown]
	ds_write_b128 v11, v[14:17]
.LBB87_25:
	s_or_b64 exec, exec, s[12:13]
                                        ; implicit-def: $vgpr11
.LBB87_26:
	s_andn2_saveexec_b64 s[8:9], s[8:9]
	s_cbranch_execz .LBB87_28
; %bb.27:
	v_mad_u64_u32 v[14:15], s[2:3], s20, v1, 0
	v_lshlrev_b32_e32 v11, 4, v11
	v_mad_u64_u32 v[15:16], s[2:3], s21, v1, v[15:16]
	v_lshlrev_b64 v[14:15], 4, v[14:15]
	v_add_co_u32_e64 v14, s[2:3], v12, v14
	v_addc_co_u32_e64 v15, s[2:3], v13, v15, s[2:3]
	global_load_dwordx4 v[14:17], v[14:15], off
	s_waitcnt vmcnt(0)
	v_xor_b32_e32 v15, 0x80000000, v15
	ds_write_b128 v11, v[14:17]
.LBB87_28:
	s_or_b64 exec, exec, s[8:9]
	v_add_u32_e32 v11, 16, v1
	v_add_u32_e32 v10, v11, v10
	v_lshl_add_u32 v14, v11, 5, v0
	v_cndmask_b32_e64 v10, v14, v10, s[0:1]
	v_cmp_gt_u32_e64 s[0:1], v11, v0
	v_cmp_gt_i32_e64 s[2:3], s7, v11
	s_and_b64 s[0:1], s[0:1], s[2:3]
	s_and_b64 s[0:1], s[0:1], vcc
	s_xor_b64 s[0:1], s[0:1], -1
	s_and_saveexec_b64 s[2:3], s[0:1]
	s_xor_b64 s[0:1], exec, s[2:3]
	s_cbranch_execz .LBB87_32
; %bb.29:
	v_or_b32_e32 v11, v11, v0
	v_cmp_gt_u32_e32 vcc, 32, v11
	s_and_saveexec_b64 s[2:3], vcc
	s_cbranch_execz .LBB87_31
; %bb.30:
	v_lshlrev_b32_e32 v14, 4, v10
	v_mov_b32_e32 v10, 0
	v_mov_b32_e32 v11, v10
	;; [unrolled: 1-line block ×4, first 2 shown]
	ds_write_b128 v14, v[10:13]
.LBB87_31:
	s_or_b64 exec, exec, s[2:3]
                                        ; implicit-def: $vgpr11
                                        ; implicit-def: $vgpr12
                                        ; implicit-def: $vgpr13
                                        ; implicit-def: $vgpr10
.LBB87_32:
	s_andn2_saveexec_b64 s[0:1], s[0:1]
	s_cbranch_execz .LBB87_34
; %bb.33:
	v_mad_u64_u32 v[14:15], s[2:3], s20, v11, 0
	v_lshlrev_b32_e32 v10, 4, v10
	v_mad_u64_u32 v[15:16], s[2:3], s21, v11, v[15:16]
	v_lshlrev_b64 v[14:15], 4, v[14:15]
	v_add_co_u32_e32 v11, vcc, v12, v14
	v_addc_co_u32_e32 v12, vcc, v13, v15, vcc
	global_load_dwordx4 v[11:14], v[11:12], off
	s_waitcnt vmcnt(0)
	v_xor_b32_e32 v12, 0x80000000, v12
	ds_write_b128 v10, v[11:14]
.LBB87_34:
	s_or_b64 exec, exec, s[0:1]
.LBB87_35:
	v_cndmask_b32_e64 v10, 0, 1, s[10:11]
	v_cmp_ne_u32_e64 s[0:1], 1, v10
	s_andn2_b64 vcc, exec, s[10:11]
	s_waitcnt vmcnt(0) lgkmcnt(0)
	s_barrier
	s_cbranch_vccnz .LBB87_459
; %bb.36:
	v_or_b32_e32 v10, v0, v1
	s_mov_b32 s8, 0
	v_cmp_eq_u32_e32 vcc, 0, v10
	s_and_saveexec_b64 s[2:3], vcc
	s_cbranch_execz .LBB87_38
; %bb.37:
	v_mov_b32_e32 v18, 0
	ds_read_b128 v[10:13], v18 offset:16352
	s_mov_b32 s11, s8
	s_mov_b32 s9, 0x3ff00000
	;; [unrolled: 1-line block ×3, first 2 shown]
	v_mov_b32_e32 v17, s11
	v_mov_b32_e32 v16, s10
	;; [unrolled: 1-line block ×4, first 2 shown]
	ds_write_b128 v18, v[14:17] offset:15840
	ds_write_b128 v18, v[14:17] offset:16368
	s_waitcnt lgkmcnt(2)
	ds_write_b128 v18, v[10:13] offset:15856
.LBB87_38:
	s_or_b64 exec, exec, s[2:3]
	v_lshlrev_b32_e32 v10, 5, v1
	v_add_u32_e32 v17, v10, v0
	v_add_u16_e32 v10, v10, v0
	v_lshrrev_b16_e32 v16, 1, v10
	v_mov_b32_e32 v10, 0
	v_mov_b32_e32 v12, 0
	v_and_b32_e32 v14, 1, v0
	v_sub_u32_e32 v15, 1, v16
	v_cmp_lt_u32_e64 s[8:9], 3, v17
	v_mov_b32_e32 v11, 0
	v_mov_b32_e32 v13, 0
	v_cmp_gt_u32_e64 s[2:3], 4, v17
	s_waitcnt lgkmcnt(0)
	s_barrier
	buffer_wbinvl1_vol
	s_and_saveexec_b64 s[12:13], s[2:3]
	s_cbranch_execz .LBB87_42
; %bb.39:
	v_lshlrev_b32_e32 v18, 4, v14
	v_lshlrev_b32_e32 v10, 9, v15
	ds_read_b128 v[10:13], v10 offset:15840
	ds_read_b128 v[18:21], v18 offset:15808
	v_cmp_gt_u32_e64 s[10:11], 2, v17
	s_waitcnt lgkmcnt(0)
	v_mul_f64 v[24:25], v[12:13], v[20:21]
	v_mul_f64 v[20:21], v[10:11], v[20:21]
	v_fma_f64 v[10:11], v[10:11], v[18:19], -v[24:25]
	v_fma_f64 v[12:13], v[12:13], v[18:19], v[20:21]
	v_add_f64 v[10:11], v[10:11], 0
	v_add_f64 v[12:13], v[12:13], 0
	s_and_saveexec_b64 s[14:15], s[10:11]
	s_cbranch_execz .LBB87_41
; %bb.40:
	v_lshlrev_b32_e32 v24, 4, v0
	v_mov_b32_e32 v18, 0
	ds_read_b128 v[18:21], v18 offset:16368
	ds_read_b128 v[24:27], v24 offset:16320
	s_waitcnt lgkmcnt(0)
	v_mul_f64 v[28:29], v[20:21], v[26:27]
	v_mul_f64 v[26:27], v[18:19], v[26:27]
	v_fma_f64 v[18:19], v[18:19], v[24:25], -v[28:29]
	v_fma_f64 v[20:21], v[20:21], v[24:25], v[26:27]
	v_add_f64 v[10:11], v[10:11], v[18:19]
	v_add_f64 v[12:13], v[12:13], v[20:21]
.LBB87_41:
	s_or_b64 exec, exec, s[14:15]
.LBB87_42:
	s_or_b64 exec, exec, s[12:13]
	v_mov_b32_e32 v18, 0x4000
	v_cmp_ne_u32_e64 s[10:11], 0, v14
	s_xor_b64 s[12:13], s[8:9], -1
	v_lshl_add_u32 v16, v16, 4, v18
	s_and_b64 s[38:39], s[10:11], s[12:13]
	s_and_saveexec_b64 s[8:9], s[38:39]
; %bb.43:
	v_xor_b32_e32 v19, 0x80000000, v11
	v_xor_b32_e32 v21, 0x80000000, v13
	v_mov_b32_e32 v18, v10
	v_mov_b32_e32 v20, v12
	ds_write_b128 v16, v[18:21]
; %bb.44:
	s_or_b64 exec, exec, s[8:9]
	v_cmp_eq_u32_e64 s[8:9], 0, v14
	s_and_b64 s[36:37], s[8:9], s[12:13]
	s_waitcnt lgkmcnt(0)
	s_barrier
	s_and_saveexec_b64 s[8:9], s[36:37]
	s_cbranch_execz .LBB87_46
; %bb.45:
	v_mov_b32_e32 v24, 0
	ds_read_b128 v[18:21], v16
	ds_read_b128 v[24:27], v24 offset:15296
	s_waitcnt lgkmcnt(0)
	v_mul_f64 v[28:29], v[18:19], v[24:25]
	v_mul_f64 v[18:19], v[18:19], v[26:27]
	v_fma_f64 v[26:27], v[20:21], v[26:27], -v[28:29]
	v_fma_f64 v[18:19], v[20:21], v[24:25], v[18:19]
	v_add_f64 v[10:11], v[10:11], v[26:27]
	v_add_f64 v[12:13], v[12:13], -v[18:19]
.LBB87_46:
	s_or_b64 exec, exec, s[8:9]
	s_barrier
	s_and_saveexec_b64 s[8:9], s[36:37]
; %bb.47:
	v_xor_b32_e32 v19, 0x80000000, v11
	v_xor_b32_e32 v21, 0x80000000, v13
	v_mov_b32_e32 v18, v10
	v_mov_b32_e32 v20, v12
	ds_write_b128 v16, v[18:21]
; %bb.48:
	s_or_b64 exec, exec, s[8:9]
	s_waitcnt lgkmcnt(0)
	s_barrier
	s_barrier
	s_and_saveexec_b64 s[8:9], s[2:3]
; %bb.49:
	v_lshlrev_b32_e32 v18, 4, v14
	v_lshl_or_b32 v18, v15, 9, v18
	ds_write_b128 v18, v[10:13] offset:15808
; %bb.50:
	s_or_b64 exec, exec, s[8:9]
	v_cmp_eq_u32_e64 s[10:11], 0, v1
	v_cmp_gt_u32_e64 s[8:9], 2, v0
	s_and_b64 s[40:41], s[10:11], s[8:9]
	s_waitcnt lgkmcnt(0)
	s_barrier
	s_barrier
	s_and_saveexec_b64 s[8:9], s[40:41]
	s_cbranch_execz .LBB87_52
; %bb.51:
	v_lshlrev_b32_e32 v18, 9, v0
	ds_read_b128 v[10:13], v18 offset:15808
	s_movk_i32 s12, 0xfe10
	v_mad_i32_i24 v19, v0, s12, v18
	s_waitcnt lgkmcnt(0)
	ds_write_b128 v19, v[10:13] offset:14816
	ds_read_b128 v[10:13], v18 offset:15824
	s_waitcnt lgkmcnt(0)
	ds_write_b128 v19, v[10:13] offset:15328
.LBB87_52:
	s_or_b64 exec, exec, s[8:9]
	s_waitcnt lgkmcnt(0)
	s_barrier
	s_and_saveexec_b64 s[8:9], vcc
	s_cbranch_execz .LBB87_54
; %bb.53:
	s_mov_b32 s12, 0
	v_mov_b32_e32 v24, 0
	ds_read_b128 v[10:13], v24 offset:15296
	s_mov_b32 s15, s12
	s_mov_b32 s13, 0x3ff00000
	;; [unrolled: 1-line block ×3, first 2 shown]
	v_mov_b32_e32 v21, s15
	v_mov_b32_e32 v20, s14
	;; [unrolled: 1-line block ×4, first 2 shown]
	ds_write_b128 v24, v[18:21] offset:14784
	ds_write_b128 v24, v[18:21] offset:15312
	s_waitcnt lgkmcnt(2)
	ds_write_b128 v24, v[10:13] offset:14800
.LBB87_54:
	s_or_b64 exec, exec, s[8:9]
	v_lshrrev_b32_e32 v20, 2, v17
	v_mov_b32_e32 v12, 0
	v_mov_b32_e32 v10, 0
	v_and_b32_e32 v18, 3, v0
	v_sub_u32_e32 v19, 3, v20
	v_cmp_lt_u32_e64 s[8:9], 15, v17
	v_mov_b32_e32 v13, 0
	v_mov_b32_e32 v11, 0
	v_cmp_gt_u32_e64 s[16:17], 16, v17
	s_waitcnt lgkmcnt(0)
	s_barrier
	buffer_wbinvl1_vol
	s_and_saveexec_b64 s[14:15], s[16:17]
	s_cbranch_execz .LBB87_60
; %bb.55:
	v_lshlrev_b32_e32 v24, 9, v19
	v_lshlrev_b32_e32 v21, 4, v18
	ds_read_b128 v[10:13], v24 offset:14784
	ds_read_b128 v[25:28], v21 offset:14720
	v_cmp_gt_u32_e64 s[12:13], 12, v17
	s_waitcnt lgkmcnt(0)
	v_mul_f64 v[29:30], v[12:13], v[27:28]
	v_mul_f64 v[27:28], v[10:11], v[27:28]
	v_fma_f64 v[10:11], v[10:11], v[25:26], -v[29:30]
	v_fma_f64 v[12:13], v[12:13], v[25:26], v[27:28]
	v_add_f64 v[10:11], v[10:11], 0
	v_add_f64 v[12:13], v[12:13], 0
	s_and_saveexec_b64 s[18:19], s[12:13]
	s_cbranch_execnz .LBB87_519
; %bb.56:
	s_or_b64 exec, exec, s[18:19]
	v_cmp_gt_u32_e64 s[12:13], 8, v17
	s_and_saveexec_b64 s[18:19], s[12:13]
	s_cbranch_execnz .LBB87_520
.LBB87_57:
	s_or_b64 exec, exec, s[18:19]
	v_cmp_gt_u32_e64 s[12:13], 4, v17
	s_and_saveexec_b64 s[18:19], s[12:13]
	s_cbranch_execz .LBB87_59
.LBB87_58:
	v_mov_b32_e32 v24, 0
	v_lshlrev_b32_e32 v21, 4, v0
	ds_read_b128 v[24:27], v24 offset:16368
	ds_read_b128 v[28:31], v21 offset:16256
	s_waitcnt lgkmcnt(0)
	v_mul_f64 v[32:33], v[26:27], v[30:31]
	v_mul_f64 v[30:31], v[24:25], v[30:31]
	v_fma_f64 v[24:25], v[24:25], v[28:29], -v[32:33]
	v_fma_f64 v[26:27], v[26:27], v[28:29], v[30:31]
	v_add_f64 v[10:11], v[10:11], v[24:25]
	v_add_f64 v[12:13], v[12:13], v[26:27]
.LBB87_59:
	s_or_b64 exec, exec, s[18:19]
.LBB87_60:
	s_or_b64 exec, exec, s[14:15]
	v_mov_b32_e32 v21, 0x4000
	v_cmp_eq_u32_e64 s[12:13], 3, v18
	s_xor_b64 s[14:15], s[8:9], -1
	v_lshl_add_u32 v20, v20, 4, v21
	s_and_b64 s[44:45], s[12:13], s[14:15]
	s_and_saveexec_b64 s[8:9], s[44:45]
; %bb.61:
	v_xor_b32_e32 v27, 0x80000000, v13
	v_xor_b32_e32 v25, 0x80000000, v11
	v_mov_b32_e32 v24, v10
	v_mov_b32_e32 v26, v12
	ds_write_b128 v20, v[24:27]
; %bb.62:
	s_or_b64 exec, exec, s[8:9]
	v_cmp_ne_u32_e64 s[8:9], 3, v18
	s_and_b64 s[46:47], s[8:9], s[14:15]
	s_waitcnt lgkmcnt(0)
	s_barrier
	s_and_saveexec_b64 s[8:9], s[46:47]
	s_cbranch_execz .LBB87_64
; %bb.63:
	v_lshlrev_b32_e32 v21, 4, v18
	ds_read_b128 v[24:27], v20
	ds_read_b128 v[28:31], v21 offset:14208
	s_waitcnt lgkmcnt(0)
	v_mul_f64 v[32:33], v[26:27], v[30:31]
	v_mul_f64 v[30:31], v[24:25], v[30:31]
	v_fma_f64 v[24:25], v[24:25], v[28:29], -v[32:33]
	v_fma_f64 v[26:27], v[26:27], v[28:29], v[30:31]
	v_add_f64 v[10:11], v[10:11], -v[24:25]
	v_add_f64 v[12:13], v[12:13], -v[26:27]
.LBB87_64:
	s_or_b64 exec, exec, s[8:9]
	v_cmp_eq_u32_e64 s[8:9], 2, v18
	s_and_b64 s[48:49], s[8:9], s[14:15]
	s_barrier
	s_and_saveexec_b64 s[8:9], s[48:49]
; %bb.65:
	v_xor_b32_e32 v27, 0x80000000, v13
	v_xor_b32_e32 v25, 0x80000000, v11
	v_mov_b32_e32 v24, v10
	v_mov_b32_e32 v26, v12
	ds_write_b128 v20, v[24:27]
; %bb.66:
	s_or_b64 exec, exec, s[8:9]
	v_cmp_gt_u32_e64 s[8:9], 2, v18
	s_and_b64 s[50:51], s[8:9], s[14:15]
	s_waitcnt lgkmcnt(0)
	s_barrier
	s_and_saveexec_b64 s[8:9], s[50:51]
	s_cbranch_execz .LBB87_68
; %bb.67:
	v_lshlrev_b32_e32 v21, 4, v18
	ds_read_b128 v[24:27], v20
	ds_read_b128 v[28:31], v21 offset:13696
	s_waitcnt lgkmcnt(0)
	v_mul_f64 v[32:33], v[26:27], v[30:31]
	v_mul_f64 v[30:31], v[24:25], v[30:31]
	v_fma_f64 v[24:25], v[24:25], v[28:29], -v[32:33]
	v_fma_f64 v[26:27], v[26:27], v[28:29], v[30:31]
	v_add_f64 v[10:11], v[10:11], -v[24:25]
	v_add_f64 v[12:13], v[12:13], -v[26:27]
.LBB87_68:
	s_or_b64 exec, exec, s[8:9]
	v_cmp_eq_u32_e64 s[8:9], 1, v18
	s_and_b64 s[52:53], s[8:9], s[14:15]
	s_barrier
	s_and_saveexec_b64 s[8:9], s[52:53]
; %bb.69:
	v_xor_b32_e32 v27, 0x80000000, v13
	v_xor_b32_e32 v25, 0x80000000, v11
	v_mov_b32_e32 v24, v10
	v_mov_b32_e32 v26, v12
	ds_write_b128 v20, v[24:27]
; %bb.70:
	s_or_b64 exec, exec, s[8:9]
	v_cmp_eq_u32_e64 s[8:9], 0, v18
	s_and_b64 s[42:43], s[8:9], s[14:15]
	s_waitcnt lgkmcnt(0)
	s_barrier
	s_and_saveexec_b64 s[8:9], s[42:43]
	s_cbranch_execz .LBB87_72
; %bb.71:
	v_mov_b32_e32 v21, 0
	ds_read_b128 v[24:27], v20
	ds_read_b128 v[28:31], v21 offset:13184
	s_waitcnt lgkmcnt(0)
	v_mul_f64 v[32:33], v[26:27], v[30:31]
	v_mul_f64 v[30:31], v[24:25], v[30:31]
	v_fma_f64 v[24:25], v[24:25], v[28:29], -v[32:33]
	v_fma_f64 v[26:27], v[26:27], v[28:29], v[30:31]
	v_add_f64 v[10:11], v[10:11], -v[24:25]
	v_add_f64 v[12:13], v[12:13], -v[26:27]
.LBB87_72:
	s_or_b64 exec, exec, s[8:9]
	s_barrier
	s_and_saveexec_b64 s[8:9], s[42:43]
; %bb.73:
	v_xor_b32_e32 v27, 0x80000000, v13
	v_xor_b32_e32 v25, 0x80000000, v11
	v_mov_b32_e32 v24, v10
	v_mov_b32_e32 v26, v12
	ds_write_b128 v20, v[24:27]
; %bb.74:
	s_or_b64 exec, exec, s[8:9]
	s_waitcnt lgkmcnt(0)
	s_barrier
	s_barrier
	s_and_saveexec_b64 s[8:9], s[16:17]
; %bb.75:
	v_lshlrev_b32_e32 v21, 4, v18
	v_lshl_or_b32 v21, v19, 9, v21
	ds_write_b128 v21, v[10:13] offset:14720
; %bb.76:
	s_or_b64 exec, exec, s[8:9]
	v_cmp_gt_u32_e64 s[8:9], 4, v0
	s_and_b64 s[54:55], s[10:11], s[8:9]
	s_waitcnt lgkmcnt(0)
	s_barrier
	s_barrier
	s_and_saveexec_b64 s[8:9], s[54:55]
	s_cbranch_execz .LBB87_78
; %bb.77:
	v_lshlrev_b32_e32 v21, 4, v0
	s_movk_i32 s12, 0x1f0
	v_mad_u32_u24 v24, v0, s12, v21
	ds_read_b128 v[10:13], v24 offset:14720
	s_waitcnt lgkmcnt(0)
	ds_write_b128 v21, v[10:13] offset:12736
	ds_read_b128 v[10:13], v24 offset:14736
	s_waitcnt lgkmcnt(0)
	ds_write_b128 v21, v[10:13] offset:13248
	ds_read_b128 v[10:13], v24 offset:14752
	s_waitcnt lgkmcnt(0)
	ds_write_b128 v21, v[10:13] offset:13760
	ds_read_b128 v[10:13], v24 offset:14768
	s_waitcnt lgkmcnt(0)
	ds_write_b128 v21, v[10:13] offset:14272
.LBB87_78:
	s_or_b64 exec, exec, s[8:9]
	s_waitcnt lgkmcnt(0)
	s_barrier
	s_and_saveexec_b64 s[8:9], vcc
	s_cbranch_execz .LBB87_80
; %bb.79:
	s_mov_b32 s12, 0
	v_mov_b32_e32 v21, 0
	ds_read_b128 v[10:13], v21 offset:14240
	s_mov_b32 s15, s12
	s_mov_b32 s13, 0x3ff00000
	;; [unrolled: 1-line block ×3, first 2 shown]
	v_mov_b32_e32 v27, s15
	v_mov_b32_e32 v26, s14
	;; [unrolled: 1-line block ×4, first 2 shown]
	ds_write_b128 v21, v[24:27] offset:13728
	ds_write_b128 v21, v[24:27] offset:14256
	s_waitcnt lgkmcnt(2)
	ds_write_b128 v21, v[10:13] offset:13744
.LBB87_80:
	s_or_b64 exec, exec, s[8:9]
	v_mov_b32_e32 v10, 0
	v_mov_b32_e32 v12, 0
	;; [unrolled: 1-line block ×4, first 2 shown]
	s_waitcnt lgkmcnt(0)
	s_barrier
	buffer_wbinvl1_vol
	s_and_saveexec_b64 s[12:13], s[2:3]
	s_cbranch_execz .LBB87_84
; %bb.81:
	v_lshlrev_b32_e32 v10, 9, v15
	v_lshlrev_b32_e32 v21, 4, v14
	ds_read_b128 v[10:13], v10 offset:13728
	ds_read_b128 v[24:27], v21 offset:13696
	v_cmp_gt_u32_e64 s[8:9], 2, v17
	s_waitcnt lgkmcnt(0)
	v_mul_f64 v[28:29], v[12:13], v[26:27]
	v_mul_f64 v[26:27], v[10:11], v[26:27]
	v_fma_f64 v[10:11], v[10:11], v[24:25], -v[28:29]
	v_fma_f64 v[12:13], v[12:13], v[24:25], v[26:27]
	v_add_f64 v[10:11], v[10:11], 0
	v_add_f64 v[12:13], v[12:13], 0
	s_and_saveexec_b64 s[14:15], s[8:9]
	s_cbranch_execz .LBB87_83
; %bb.82:
	v_mov_b32_e32 v24, 0
	v_lshlrev_b32_e32 v21, 4, v0
	ds_read_b128 v[24:27], v24 offset:14256
	ds_read_b128 v[28:31], v21 offset:14208
	s_waitcnt lgkmcnt(0)
	v_mul_f64 v[32:33], v[26:27], v[30:31]
	v_mul_f64 v[30:31], v[24:25], v[30:31]
	v_fma_f64 v[24:25], v[24:25], v[28:29], -v[32:33]
	v_fma_f64 v[26:27], v[26:27], v[28:29], v[30:31]
	v_add_f64 v[10:11], v[10:11], v[24:25]
	v_add_f64 v[12:13], v[12:13], v[26:27]
.LBB87_83:
	s_or_b64 exec, exec, s[14:15]
.LBB87_84:
	s_or_b64 exec, exec, s[12:13]
	s_and_saveexec_b64 s[8:9], s[38:39]
; %bb.85:
	v_xor_b32_e32 v25, 0x80000000, v11
	v_xor_b32_e32 v27, 0x80000000, v13
	v_mov_b32_e32 v24, v10
	v_mov_b32_e32 v26, v12
	ds_write_b128 v16, v[24:27]
; %bb.86:
	s_or_b64 exec, exec, s[8:9]
	s_waitcnt lgkmcnt(0)
	s_barrier
	s_and_saveexec_b64 s[8:9], s[36:37]
	s_cbranch_execz .LBB87_88
; %bb.87:
	v_mov_b32_e32 v21, 0
	ds_read_b128 v[24:27], v16
	ds_read_b128 v[28:31], v21 offset:13184
	s_waitcnt lgkmcnt(0)
	v_mul_f64 v[32:33], v[24:25], v[28:29]
	v_mul_f64 v[24:25], v[24:25], v[30:31]
	v_fma_f64 v[30:31], v[26:27], v[30:31], -v[32:33]
	v_fma_f64 v[24:25], v[26:27], v[28:29], v[24:25]
	v_add_f64 v[10:11], v[10:11], v[30:31]
	v_add_f64 v[12:13], v[12:13], -v[24:25]
.LBB87_88:
	s_or_b64 exec, exec, s[8:9]
	s_barrier
	s_and_saveexec_b64 s[8:9], s[36:37]
; %bb.89:
	v_xor_b32_e32 v25, 0x80000000, v11
	v_xor_b32_e32 v27, 0x80000000, v13
	v_mov_b32_e32 v24, v10
	v_mov_b32_e32 v26, v12
	ds_write_b128 v16, v[24:27]
; %bb.90:
	s_or_b64 exec, exec, s[8:9]
	s_waitcnt lgkmcnt(0)
	s_barrier
	s_barrier
	s_and_saveexec_b64 s[8:9], s[2:3]
; %bb.91:
	v_lshlrev_b32_e32 v21, 4, v14
	v_lshl_or_b32 v21, v15, 9, v21
	ds_write_b128 v21, v[10:13] offset:13696
; %bb.92:
	s_or_b64 exec, exec, s[8:9]
	s_waitcnt lgkmcnt(0)
	s_barrier
	s_barrier
	s_and_saveexec_b64 s[8:9], s[40:41]
	s_cbranch_execz .LBB87_94
; %bb.93:
	v_lshlrev_b32_e32 v21, 9, v0
	ds_read_b128 v[10:13], v21 offset:13696
	s_movk_i32 s12, 0xfe10
	v_mad_i32_i24 v24, v0, s12, v21
	s_waitcnt lgkmcnt(0)
	ds_write_b128 v24, v[10:13] offset:12704
	ds_read_b128 v[10:13], v21 offset:13712
	s_waitcnt lgkmcnt(0)
	ds_write_b128 v24, v[10:13] offset:13216
.LBB87_94:
	s_or_b64 exec, exec, s[8:9]
	s_waitcnt lgkmcnt(0)
	s_barrier
	s_and_saveexec_b64 s[8:9], vcc
	s_cbranch_execz .LBB87_96
; %bb.95:
	s_mov_b32 s12, 0
	v_mov_b32_e32 v21, 0
	ds_read_b128 v[10:13], v21 offset:13184
	s_mov_b32 s15, s12
	s_mov_b32 s13, 0x3ff00000
	;; [unrolled: 1-line block ×3, first 2 shown]
	v_mov_b32_e32 v27, s15
	v_mov_b32_e32 v26, s14
	;; [unrolled: 1-line block ×4, first 2 shown]
	ds_write_b128 v21, v[24:27] offset:12672
	ds_write_b128 v21, v[24:27] offset:13200
	s_waitcnt lgkmcnt(2)
	ds_write_b128 v21, v[10:13] offset:12688
.LBB87_96:
	s_or_b64 exec, exec, s[8:9]
	v_lshrrev_b32_e32 v25, 3, v17
	v_mov_b32_e32 v12, 0
	v_mov_b32_e32 v10, 0
	v_and_b32_e32 v21, 7, v0
	v_sub_u32_e32 v24, 7, v25
	v_cmp_lt_u32_e64 s[12:13], 63, v17
	v_mov_b32_e32 v13, 0
	v_mov_b32_e32 v11, 0
	v_cmp_gt_u32_e64 s[8:9], 64, v17
	s_waitcnt lgkmcnt(0)
	s_barrier
	buffer_wbinvl1_vol
	s_and_saveexec_b64 s[18:19], s[8:9]
	s_cbranch_execz .LBB87_106
; %bb.97:
	v_lshlrev_b32_e32 v27, 9, v24
	v_lshlrev_b32_e32 v26, 4, v21
	ds_read_b128 v[10:13], v27 offset:12672
	ds_read_b128 v[28:31], v26 offset:12544
	v_cmp_gt_u32_e64 s[14:15], 56, v17
	s_waitcnt lgkmcnt(0)
	v_mul_f64 v[32:33], v[12:13], v[30:31]
	v_mul_f64 v[30:31], v[10:11], v[30:31]
	v_fma_f64 v[10:11], v[10:11], v[28:29], -v[32:33]
	v_fma_f64 v[12:13], v[12:13], v[28:29], v[30:31]
	v_add_f64 v[10:11], v[10:11], 0
	v_add_f64 v[12:13], v[12:13], 0
	s_and_saveexec_b64 s[56:57], s[14:15]
	s_cbranch_execnz .LBB87_521
; %bb.98:
	s_or_b64 exec, exec, s[56:57]
	v_cmp_gt_u32_e64 s[14:15], 48, v17
	s_and_saveexec_b64 s[56:57], s[14:15]
	s_cbranch_execnz .LBB87_522
.LBB87_99:
	s_or_b64 exec, exec, s[56:57]
	v_cmp_gt_u32_e64 s[14:15], 40, v17
	s_and_saveexec_b64 s[56:57], s[14:15]
	s_cbranch_execnz .LBB87_523
.LBB87_100:
	s_or_b64 exec, exec, s[56:57]
	v_cmp_gt_u32_e64 s[14:15], 32, v17
	s_and_saveexec_b64 s[56:57], s[14:15]
	s_cbranch_execnz .LBB87_524
.LBB87_101:
	s_or_b64 exec, exec, s[56:57]
	v_cmp_gt_u32_e64 s[14:15], 24, v17
	s_and_saveexec_b64 s[56:57], s[14:15]
	s_cbranch_execnz .LBB87_525
.LBB87_102:
	s_or_b64 exec, exec, s[56:57]
	s_and_saveexec_b64 s[14:15], s[16:17]
	s_cbranch_execnz .LBB87_526
.LBB87_103:
	s_or_b64 exec, exec, s[14:15]
	v_cmp_gt_u32_e64 s[14:15], 8, v17
	s_and_saveexec_b64 s[56:57], s[14:15]
	s_cbranch_execz .LBB87_105
.LBB87_104:
	v_lshlrev_b32_e32 v30, 4, v0
	v_mov_b32_e32 v26, 0
	ds_read_b128 v[26:29], v26 offset:16368
	ds_read_b128 v[30:33], v30 offset:16128
	s_waitcnt lgkmcnt(0)
	v_mul_f64 v[34:35], v[28:29], v[32:33]
	v_mul_f64 v[32:33], v[26:27], v[32:33]
	v_fma_f64 v[26:27], v[26:27], v[30:31], -v[34:35]
	v_fma_f64 v[28:29], v[28:29], v[30:31], v[32:33]
	v_add_f64 v[10:11], v[10:11], v[26:27]
	v_add_f64 v[12:13], v[12:13], v[28:29]
.LBB87_105:
	s_or_b64 exec, exec, s[56:57]
.LBB87_106:
	s_or_b64 exec, exec, s[18:19]
	v_mov_b32_e32 v26, 0x4000
	v_cmp_eq_u32_e64 s[14:15], 7, v21
	s_xor_b64 s[18:19], s[12:13], -1
	v_lshl_add_u32 v25, v25, 4, v26
	s_and_b64 s[58:59], s[14:15], s[18:19]
	s_and_saveexec_b64 s[12:13], s[58:59]
; %bb.107:
	v_xor_b32_e32 v27, 0x80000000, v11
	v_xor_b32_e32 v29, 0x80000000, v13
	v_mov_b32_e32 v26, v10
	v_mov_b32_e32 v28, v12
	ds_write_b128 v25, v[26:29]
; %bb.108:
	s_or_b64 exec, exec, s[12:13]
	v_cmp_ne_u32_e64 s[12:13], 7, v21
	s_and_b64 s[60:61], s[12:13], s[18:19]
	s_waitcnt lgkmcnt(0)
	s_barrier
	s_and_saveexec_b64 s[12:13], s[60:61]
	s_cbranch_execz .LBB87_110
; %bb.109:
	v_lshlrev_b32_e32 v30, 4, v21
	ds_read_b128 v[26:29], v25
	ds_read_b128 v[30:33], v30 offset:12032
	s_waitcnt lgkmcnt(0)
	v_mul_f64 v[34:35], v[28:29], v[32:33]
	v_mul_f64 v[32:33], v[26:27], v[32:33]
	v_fma_f64 v[26:27], v[26:27], v[30:31], -v[34:35]
	v_fma_f64 v[28:29], v[28:29], v[30:31], v[32:33]
	v_add_f64 v[10:11], v[10:11], -v[26:27]
	v_add_f64 v[12:13], v[12:13], -v[28:29]
.LBB87_110:
	s_or_b64 exec, exec, s[12:13]
	v_cmp_eq_u32_e64 s[12:13], 6, v21
	s_and_b64 s[62:63], s[12:13], s[18:19]
	s_barrier
	s_and_saveexec_b64 s[12:13], s[62:63]
; %bb.111:
	v_xor_b32_e32 v27, 0x80000000, v11
	v_xor_b32_e32 v29, 0x80000000, v13
	v_mov_b32_e32 v26, v10
	v_mov_b32_e32 v28, v12
	ds_write_b128 v25, v[26:29]
; %bb.112:
	s_or_b64 exec, exec, s[12:13]
	v_cmp_gt_u32_e64 s[12:13], 6, v21
	s_and_b64 s[64:65], s[12:13], s[18:19]
	s_waitcnt lgkmcnt(0)
	s_barrier
	s_and_saveexec_b64 s[12:13], s[64:65]
	s_cbranch_execz .LBB87_114
; %bb.113:
	v_lshlrev_b32_e32 v30, 4, v21
	ds_read_b128 v[26:29], v25
	ds_read_b128 v[30:33], v30 offset:11520
	s_waitcnt lgkmcnt(0)
	v_mul_f64 v[34:35], v[28:29], v[32:33]
	v_mul_f64 v[32:33], v[26:27], v[32:33]
	v_fma_f64 v[26:27], v[26:27], v[30:31], -v[34:35]
	v_fma_f64 v[28:29], v[28:29], v[30:31], v[32:33]
	v_add_f64 v[10:11], v[10:11], -v[26:27]
	v_add_f64 v[12:13], v[12:13], -v[28:29]
.LBB87_114:
	s_or_b64 exec, exec, s[12:13]
	v_cmp_eq_u32_e64 s[12:13], 5, v21
	s_and_b64 s[66:67], s[12:13], s[18:19]
	s_barrier
	s_and_saveexec_b64 s[12:13], s[66:67]
; %bb.115:
	v_xor_b32_e32 v27, 0x80000000, v11
	v_xor_b32_e32 v29, 0x80000000, v13
	v_mov_b32_e32 v26, v10
	v_mov_b32_e32 v28, v12
	ds_write_b128 v25, v[26:29]
; %bb.116:
	s_or_b64 exec, exec, s[12:13]
	v_cmp_gt_u32_e64 s[12:13], 5, v21
	;; [unrolled: 31-line block ×5, first 2 shown]
	s_and_b64 s[80:81], s[12:13], s[18:19]
	s_waitcnt lgkmcnt(0)
	s_barrier
	s_and_saveexec_b64 s[12:13], s[80:81]
	s_cbranch_execz .LBB87_130
; %bb.129:
	v_lshlrev_b32_e32 v30, 4, v21
	ds_read_b128 v[26:29], v25
	ds_read_b128 v[30:33], v30 offset:9472
	s_waitcnt lgkmcnt(0)
	v_mul_f64 v[34:35], v[28:29], v[32:33]
	v_mul_f64 v[32:33], v[26:27], v[32:33]
	v_fma_f64 v[26:27], v[26:27], v[30:31], -v[34:35]
	v_fma_f64 v[28:29], v[28:29], v[30:31], v[32:33]
	v_add_f64 v[10:11], v[10:11], -v[26:27]
	v_add_f64 v[12:13], v[12:13], -v[28:29]
.LBB87_130:
	s_or_b64 exec, exec, s[12:13]
	v_cmp_eq_u32_e64 s[12:13], 1, v21
	s_and_b64 s[82:83], s[12:13], s[18:19]
	s_barrier
	s_and_saveexec_b64 s[12:13], s[82:83]
; %bb.131:
	v_xor_b32_e32 v27, 0x80000000, v11
	v_xor_b32_e32 v29, 0x80000000, v13
	v_mov_b32_e32 v26, v10
	v_mov_b32_e32 v28, v12
	ds_write_b128 v25, v[26:29]
; %bb.132:
	s_or_b64 exec, exec, s[12:13]
	v_cmp_eq_u32_e64 s[12:13], 0, v21
	s_and_b64 s[56:57], s[12:13], s[18:19]
	s_waitcnt lgkmcnt(0)
	s_barrier
	s_and_saveexec_b64 s[12:13], s[56:57]
	s_cbranch_execz .LBB87_134
; %bb.133:
	v_mov_b32_e32 v30, 0
	ds_read_b128 v[26:29], v25
	ds_read_b128 v[30:33], v30 offset:8960
	s_waitcnt lgkmcnt(0)
	v_mul_f64 v[34:35], v[28:29], v[32:33]
	v_mul_f64 v[32:33], v[26:27], v[32:33]
	v_fma_f64 v[26:27], v[26:27], v[30:31], -v[34:35]
	v_fma_f64 v[28:29], v[28:29], v[30:31], v[32:33]
	v_add_f64 v[10:11], v[10:11], -v[26:27]
	v_add_f64 v[12:13], v[12:13], -v[28:29]
.LBB87_134:
	s_or_b64 exec, exec, s[12:13]
	s_barrier
	s_and_saveexec_b64 s[12:13], s[56:57]
; %bb.135:
	v_xor_b32_e32 v27, 0x80000000, v11
	v_xor_b32_e32 v29, 0x80000000, v13
	v_mov_b32_e32 v26, v10
	v_mov_b32_e32 v28, v12
	ds_write_b128 v25, v[26:29]
; %bb.136:
	s_or_b64 exec, exec, s[12:13]
	s_waitcnt lgkmcnt(0)
	s_barrier
	s_barrier
	s_and_saveexec_b64 s[12:13], s[8:9]
; %bb.137:
	v_lshlrev_b32_e32 v26, 4, v21
	v_lshl_or_b32 v26, v24, 9, v26
	ds_write_b128 v26, v[10:13] offset:12544
; %bb.138:
	s_or_b64 exec, exec, s[12:13]
	v_cmp_gt_u32_e64 s[12:13], 8, v0
	s_and_b64 s[84:85], s[10:11], s[12:13]
	s_waitcnt lgkmcnt(0)
	s_barrier
	s_barrier
	s_and_saveexec_b64 s[12:13], s[84:85]
	s_cbranch_execz .LBB87_140
; %bb.139:
	v_lshlrev_b32_e32 v26, 9, v0
	ds_read_b128 v[10:13], v26 offset:12544
	s_movk_i32 s14, 0xfe10
	v_mad_i32_i24 v27, v0, s14, v26
	s_waitcnt lgkmcnt(0)
	ds_write_b128 v27, v[10:13] offset:8576
	ds_read_b128 v[10:13], v26 offset:12560
	s_waitcnt lgkmcnt(0)
	ds_write_b128 v27, v[10:13] offset:9088
	ds_read_b128 v[10:13], v26 offset:12576
	;; [unrolled: 3-line block ×7, first 2 shown]
	s_waitcnt lgkmcnt(0)
	ds_write_b128 v27, v[10:13] offset:12160
.LBB87_140:
	s_or_b64 exec, exec, s[12:13]
	s_waitcnt lgkmcnt(0)
	s_barrier
	s_and_saveexec_b64 s[12:13], vcc
	s_cbranch_execz .LBB87_142
; %bb.141:
	v_mov_b32_e32 v30, 0
	s_mov_b32 s92, 0
	ds_read_b128 v[10:13], v30 offset:12128
	s_mov_b32 s93, 0x3ff00000
	s_mov_b32 s94, s92
	;; [unrolled: 1-line block ×3, first 2 shown]
	v_mov_b32_e32 v26, s92
	v_mov_b32_e32 v27, s93
	;; [unrolled: 1-line block ×4, first 2 shown]
	ds_write_b128 v30, v[26:29] offset:11616
	ds_write_b128 v30, v[26:29] offset:12144
	s_waitcnt lgkmcnt(2)
	ds_write_b128 v30, v[10:13] offset:11632
.LBB87_142:
	s_or_b64 exec, exec, s[12:13]
	v_mov_b32_e32 v10, 0
	v_mov_b32_e32 v12, 0
	;; [unrolled: 1-line block ×4, first 2 shown]
	s_waitcnt lgkmcnt(0)
	s_barrier
	buffer_wbinvl1_vol
	s_and_saveexec_b64 s[14:15], s[2:3]
	s_cbranch_execz .LBB87_146
; %bb.143:
	v_lshlrev_b32_e32 v26, 4, v14
	v_lshlrev_b32_e32 v10, 9, v15
	ds_read_b128 v[10:13], v10 offset:11616
	ds_read_b128 v[26:29], v26 offset:11584
	v_cmp_gt_u32_e64 s[12:13], 2, v17
	s_waitcnt lgkmcnt(0)
	v_mul_f64 v[30:31], v[12:13], v[28:29]
	v_mul_f64 v[28:29], v[10:11], v[28:29]
	v_fma_f64 v[10:11], v[10:11], v[26:27], -v[30:31]
	v_fma_f64 v[12:13], v[12:13], v[26:27], v[28:29]
	v_add_f64 v[10:11], v[10:11], 0
	v_add_f64 v[12:13], v[12:13], 0
	s_and_saveexec_b64 s[18:19], s[12:13]
	s_cbranch_execz .LBB87_145
; %bb.144:
	v_lshlrev_b32_e32 v30, 4, v0
	v_mov_b32_e32 v26, 0
	ds_read_b128 v[26:29], v26 offset:12144
	ds_read_b128 v[30:33], v30 offset:12096
	s_waitcnt lgkmcnt(0)
	v_mul_f64 v[34:35], v[28:29], v[32:33]
	v_mul_f64 v[32:33], v[26:27], v[32:33]
	v_fma_f64 v[26:27], v[26:27], v[30:31], -v[34:35]
	v_fma_f64 v[28:29], v[28:29], v[30:31], v[32:33]
	v_add_f64 v[10:11], v[10:11], v[26:27]
	v_add_f64 v[12:13], v[12:13], v[28:29]
.LBB87_145:
	s_or_b64 exec, exec, s[18:19]
.LBB87_146:
	s_or_b64 exec, exec, s[14:15]
	s_and_saveexec_b64 s[12:13], s[38:39]
; %bb.147:
	v_xor_b32_e32 v27, 0x80000000, v11
	v_xor_b32_e32 v29, 0x80000000, v13
	v_mov_b32_e32 v26, v10
	v_mov_b32_e32 v28, v12
	ds_write_b128 v16, v[26:29]
; %bb.148:
	s_or_b64 exec, exec, s[12:13]
	s_waitcnt lgkmcnt(0)
	s_barrier
	s_and_saveexec_b64 s[12:13], s[36:37]
	s_cbranch_execz .LBB87_150
; %bb.149:
	v_mov_b32_e32 v30, 0
	ds_read_b128 v[26:29], v16
	ds_read_b128 v[30:33], v30 offset:11072
	s_waitcnt lgkmcnt(0)
	v_mul_f64 v[34:35], v[26:27], v[30:31]
	v_mul_f64 v[26:27], v[26:27], v[32:33]
	v_fma_f64 v[32:33], v[28:29], v[32:33], -v[34:35]
	v_fma_f64 v[26:27], v[28:29], v[30:31], v[26:27]
	v_add_f64 v[10:11], v[10:11], v[32:33]
	v_add_f64 v[12:13], v[12:13], -v[26:27]
.LBB87_150:
	s_or_b64 exec, exec, s[12:13]
	s_barrier
	s_and_saveexec_b64 s[12:13], s[36:37]
; %bb.151:
	v_xor_b32_e32 v27, 0x80000000, v11
	v_xor_b32_e32 v29, 0x80000000, v13
	v_mov_b32_e32 v26, v10
	v_mov_b32_e32 v28, v12
	ds_write_b128 v16, v[26:29]
; %bb.152:
	s_or_b64 exec, exec, s[12:13]
	s_waitcnt lgkmcnt(0)
	s_barrier
	s_barrier
	s_and_saveexec_b64 s[12:13], s[2:3]
; %bb.153:
	v_lshlrev_b32_e32 v26, 4, v14
	v_lshl_or_b32 v26, v15, 9, v26
	ds_write_b128 v26, v[10:13] offset:11584
; %bb.154:
	s_or_b64 exec, exec, s[12:13]
	s_waitcnt lgkmcnt(0)
	s_barrier
	s_barrier
	s_and_saveexec_b64 s[12:13], s[40:41]
	s_cbranch_execz .LBB87_156
; %bb.155:
	v_lshlrev_b32_e32 v26, 9, v0
	ds_read_b128 v[10:13], v26 offset:11584
	s_movk_i32 s14, 0xfe10
	v_mad_i32_i24 v27, v0, s14, v26
	s_waitcnt lgkmcnt(0)
	ds_write_b128 v27, v[10:13] offset:10592
	ds_read_b128 v[10:13], v26 offset:11600
	s_waitcnt lgkmcnt(0)
	ds_write_b128 v27, v[10:13] offset:11104
.LBB87_156:
	s_or_b64 exec, exec, s[12:13]
	s_waitcnt lgkmcnt(0)
	s_barrier
	s_and_saveexec_b64 s[12:13], vcc
	s_cbranch_execz .LBB87_158
; %bb.157:
	v_mov_b32_e32 v30, 0
	s_mov_b32 s92, 0
	ds_read_b128 v[10:13], v30 offset:11072
	s_mov_b32 s93, 0x3ff00000
	s_mov_b32 s94, s92
	;; [unrolled: 1-line block ×3, first 2 shown]
	v_mov_b32_e32 v26, s92
	v_mov_b32_e32 v27, s93
	;; [unrolled: 1-line block ×4, first 2 shown]
	ds_write_b128 v30, v[26:29] offset:10560
	ds_write_b128 v30, v[26:29] offset:11088
	s_waitcnt lgkmcnt(2)
	ds_write_b128 v30, v[10:13] offset:10576
.LBB87_158:
	s_or_b64 exec, exec, s[12:13]
	v_mov_b32_e32 v12, 0
	v_mov_b32_e32 v10, 0
	;; [unrolled: 1-line block ×4, first 2 shown]
	s_waitcnt lgkmcnt(0)
	s_barrier
	buffer_wbinvl1_vol
	s_and_saveexec_b64 s[14:15], s[16:17]
	s_cbranch_execz .LBB87_164
; %bb.159:
	v_lshlrev_b32_e32 v27, 9, v19
	v_lshlrev_b32_e32 v26, 4, v18
	ds_read_b128 v[10:13], v27 offset:10560
	ds_read_b128 v[28:31], v26 offset:10496
	v_cmp_gt_u32_e64 s[12:13], 12, v17
	s_waitcnt lgkmcnt(0)
	v_mul_f64 v[32:33], v[12:13], v[30:31]
	v_mul_f64 v[30:31], v[10:11], v[30:31]
	v_fma_f64 v[10:11], v[10:11], v[28:29], -v[32:33]
	v_fma_f64 v[12:13], v[12:13], v[28:29], v[30:31]
	v_add_f64 v[10:11], v[10:11], 0
	v_add_f64 v[12:13], v[12:13], 0
	s_and_saveexec_b64 s[18:19], s[12:13]
	s_cbranch_execnz .LBB87_527
; %bb.160:
	s_or_b64 exec, exec, s[18:19]
	v_cmp_gt_u32_e64 s[12:13], 8, v17
	s_and_saveexec_b64 s[18:19], s[12:13]
	s_cbranch_execnz .LBB87_528
.LBB87_161:
	s_or_b64 exec, exec, s[18:19]
	v_cmp_gt_u32_e64 s[12:13], 4, v17
	s_and_saveexec_b64 s[18:19], s[12:13]
	s_cbranch_execz .LBB87_163
.LBB87_162:
	v_lshlrev_b32_e32 v30, 4, v0
	v_mov_b32_e32 v26, 0
	ds_read_b128 v[26:29], v26 offset:12144
	ds_read_b128 v[30:33], v30 offset:12032
	s_waitcnt lgkmcnt(0)
	v_mul_f64 v[34:35], v[28:29], v[32:33]
	v_mul_f64 v[32:33], v[26:27], v[32:33]
	v_fma_f64 v[26:27], v[26:27], v[30:31], -v[34:35]
	v_fma_f64 v[28:29], v[28:29], v[30:31], v[32:33]
	v_add_f64 v[10:11], v[10:11], v[26:27]
	v_add_f64 v[12:13], v[12:13], v[28:29]
.LBB87_163:
	s_or_b64 exec, exec, s[18:19]
.LBB87_164:
	s_or_b64 exec, exec, s[14:15]
	s_and_saveexec_b64 s[12:13], s[44:45]
; %bb.165:
	v_xor_b32_e32 v29, 0x80000000, v13
	v_xor_b32_e32 v27, 0x80000000, v11
	v_mov_b32_e32 v26, v10
	v_mov_b32_e32 v28, v12
	ds_write_b128 v20, v[26:29]
; %bb.166:
	s_or_b64 exec, exec, s[12:13]
	s_waitcnt lgkmcnt(0)
	s_barrier
	s_and_saveexec_b64 s[12:13], s[46:47]
	s_cbranch_execz .LBB87_168
; %bb.167:
	v_lshlrev_b32_e32 v30, 4, v18
	ds_read_b128 v[26:29], v20
	ds_read_b128 v[30:33], v30 offset:9984
	s_waitcnt lgkmcnt(0)
	v_mul_f64 v[34:35], v[28:29], v[32:33]
	v_mul_f64 v[32:33], v[26:27], v[32:33]
	v_fma_f64 v[26:27], v[26:27], v[30:31], -v[34:35]
	v_fma_f64 v[28:29], v[28:29], v[30:31], v[32:33]
	v_add_f64 v[10:11], v[10:11], -v[26:27]
	v_add_f64 v[12:13], v[12:13], -v[28:29]
.LBB87_168:
	s_or_b64 exec, exec, s[12:13]
	s_barrier
	s_and_saveexec_b64 s[12:13], s[48:49]
; %bb.169:
	v_xor_b32_e32 v29, 0x80000000, v13
	v_xor_b32_e32 v27, 0x80000000, v11
	v_mov_b32_e32 v26, v10
	v_mov_b32_e32 v28, v12
	ds_write_b128 v20, v[26:29]
; %bb.170:
	s_or_b64 exec, exec, s[12:13]
	s_waitcnt lgkmcnt(0)
	s_barrier
	s_and_saveexec_b64 s[12:13], s[50:51]
	s_cbranch_execz .LBB87_172
; %bb.171:
	v_lshlrev_b32_e32 v30, 4, v18
	ds_read_b128 v[26:29], v20
	ds_read_b128 v[30:33], v30 offset:9472
	s_waitcnt lgkmcnt(0)
	v_mul_f64 v[34:35], v[28:29], v[32:33]
	v_mul_f64 v[32:33], v[26:27], v[32:33]
	v_fma_f64 v[26:27], v[26:27], v[30:31], -v[34:35]
	v_fma_f64 v[28:29], v[28:29], v[30:31], v[32:33]
	v_add_f64 v[10:11], v[10:11], -v[26:27]
	v_add_f64 v[12:13], v[12:13], -v[28:29]
.LBB87_172:
	s_or_b64 exec, exec, s[12:13]
	s_barrier
	s_and_saveexec_b64 s[12:13], s[52:53]
; %bb.173:
	v_xor_b32_e32 v29, 0x80000000, v13
	v_xor_b32_e32 v27, 0x80000000, v11
	v_mov_b32_e32 v26, v10
	v_mov_b32_e32 v28, v12
	ds_write_b128 v20, v[26:29]
; %bb.174:
	s_or_b64 exec, exec, s[12:13]
	s_waitcnt lgkmcnt(0)
	s_barrier
	s_and_saveexec_b64 s[12:13], s[42:43]
	s_cbranch_execz .LBB87_176
; %bb.175:
	v_mov_b32_e32 v30, 0
	ds_read_b128 v[26:29], v20
	ds_read_b128 v[30:33], v30 offset:8960
	s_waitcnt lgkmcnt(0)
	v_mul_f64 v[34:35], v[28:29], v[32:33]
	v_mul_f64 v[32:33], v[26:27], v[32:33]
	v_fma_f64 v[26:27], v[26:27], v[30:31], -v[34:35]
	v_fma_f64 v[28:29], v[28:29], v[30:31], v[32:33]
	v_add_f64 v[10:11], v[10:11], -v[26:27]
	v_add_f64 v[12:13], v[12:13], -v[28:29]
.LBB87_176:
	s_or_b64 exec, exec, s[12:13]
	s_barrier
	s_and_saveexec_b64 s[12:13], s[42:43]
; %bb.177:
	v_xor_b32_e32 v29, 0x80000000, v13
	v_xor_b32_e32 v27, 0x80000000, v11
	v_mov_b32_e32 v26, v10
	v_mov_b32_e32 v28, v12
	ds_write_b128 v20, v[26:29]
; %bb.178:
	s_or_b64 exec, exec, s[12:13]
	s_waitcnt lgkmcnt(0)
	s_barrier
	s_barrier
	s_and_saveexec_b64 s[12:13], s[16:17]
; %bb.179:
	v_lshlrev_b32_e32 v26, 4, v18
	v_lshl_or_b32 v26, v19, 9, v26
	ds_write_b128 v26, v[10:13] offset:10496
; %bb.180:
	s_or_b64 exec, exec, s[12:13]
	s_waitcnt lgkmcnt(0)
	s_barrier
	s_barrier
	s_and_saveexec_b64 s[12:13], s[54:55]
	s_cbranch_execz .LBB87_182
; %bb.181:
	v_lshlrev_b32_e32 v26, 4, v0
	s_movk_i32 s14, 0x1f0
	v_mad_u32_u24 v27, v0, s14, v26
	ds_read_b128 v[10:13], v27 offset:10496
	s_waitcnt lgkmcnt(0)
	ds_write_b128 v26, v[10:13] offset:8512
	ds_read_b128 v[10:13], v27 offset:10512
	s_waitcnt lgkmcnt(0)
	ds_write_b128 v26, v[10:13] offset:9024
	;; [unrolled: 3-line block ×4, first 2 shown]
.LBB87_182:
	s_or_b64 exec, exec, s[12:13]
	s_waitcnt lgkmcnt(0)
	s_barrier
	s_and_saveexec_b64 s[12:13], vcc
	s_cbranch_execz .LBB87_184
; %bb.183:
	v_mov_b32_e32 v30, 0
	s_mov_b32 s92, 0
	ds_read_b128 v[10:13], v30 offset:10016
	s_mov_b32 s93, 0x3ff00000
	s_mov_b32 s94, s92
	;; [unrolled: 1-line block ×3, first 2 shown]
	v_mov_b32_e32 v26, s92
	v_mov_b32_e32 v27, s93
	;; [unrolled: 1-line block ×4, first 2 shown]
	ds_write_b128 v30, v[26:29] offset:9504
	ds_write_b128 v30, v[26:29] offset:10032
	s_waitcnt lgkmcnt(2)
	ds_write_b128 v30, v[10:13] offset:9520
.LBB87_184:
	s_or_b64 exec, exec, s[12:13]
	v_mov_b32_e32 v10, 0
	v_mov_b32_e32 v12, 0
	;; [unrolled: 1-line block ×4, first 2 shown]
	s_waitcnt lgkmcnt(0)
	s_barrier
	buffer_wbinvl1_vol
	s_and_saveexec_b64 s[14:15], s[2:3]
	s_cbranch_execz .LBB87_188
; %bb.185:
	v_lshlrev_b32_e32 v26, 4, v14
	v_lshlrev_b32_e32 v10, 9, v15
	ds_read_b128 v[10:13], v10 offset:9504
	ds_read_b128 v[26:29], v26 offset:9472
	v_cmp_gt_u32_e64 s[12:13], 2, v17
	s_waitcnt lgkmcnt(0)
	v_mul_f64 v[30:31], v[12:13], v[28:29]
	v_mul_f64 v[28:29], v[10:11], v[28:29]
	v_fma_f64 v[10:11], v[10:11], v[26:27], -v[30:31]
	v_fma_f64 v[12:13], v[12:13], v[26:27], v[28:29]
	v_add_f64 v[10:11], v[10:11], 0
	v_add_f64 v[12:13], v[12:13], 0
	s_and_saveexec_b64 s[18:19], s[12:13]
	s_cbranch_execz .LBB87_187
; %bb.186:
	v_lshlrev_b32_e32 v30, 4, v0
	v_mov_b32_e32 v26, 0
	ds_read_b128 v[26:29], v26 offset:10032
	ds_read_b128 v[30:33], v30 offset:9984
	s_waitcnt lgkmcnt(0)
	v_mul_f64 v[34:35], v[28:29], v[32:33]
	v_mul_f64 v[32:33], v[26:27], v[32:33]
	v_fma_f64 v[26:27], v[26:27], v[30:31], -v[34:35]
	v_fma_f64 v[28:29], v[28:29], v[30:31], v[32:33]
	v_add_f64 v[10:11], v[10:11], v[26:27]
	v_add_f64 v[12:13], v[12:13], v[28:29]
.LBB87_187:
	s_or_b64 exec, exec, s[18:19]
.LBB87_188:
	s_or_b64 exec, exec, s[14:15]
	s_and_saveexec_b64 s[12:13], s[38:39]
; %bb.189:
	v_xor_b32_e32 v27, 0x80000000, v11
	v_xor_b32_e32 v29, 0x80000000, v13
	v_mov_b32_e32 v26, v10
	v_mov_b32_e32 v28, v12
	ds_write_b128 v16, v[26:29]
; %bb.190:
	s_or_b64 exec, exec, s[12:13]
	s_waitcnt lgkmcnt(0)
	s_barrier
	s_and_saveexec_b64 s[12:13], s[36:37]
	s_cbranch_execz .LBB87_192
; %bb.191:
	v_mov_b32_e32 v30, 0
	ds_read_b128 v[26:29], v16
	ds_read_b128 v[30:33], v30 offset:8960
	s_waitcnt lgkmcnt(0)
	v_mul_f64 v[34:35], v[26:27], v[30:31]
	v_mul_f64 v[26:27], v[26:27], v[32:33]
	v_fma_f64 v[32:33], v[28:29], v[32:33], -v[34:35]
	v_fma_f64 v[26:27], v[28:29], v[30:31], v[26:27]
	v_add_f64 v[10:11], v[10:11], v[32:33]
	v_add_f64 v[12:13], v[12:13], -v[26:27]
.LBB87_192:
	s_or_b64 exec, exec, s[12:13]
	s_barrier
	s_and_saveexec_b64 s[12:13], s[36:37]
; %bb.193:
	v_xor_b32_e32 v27, 0x80000000, v11
	v_xor_b32_e32 v29, 0x80000000, v13
	v_mov_b32_e32 v26, v10
	v_mov_b32_e32 v28, v12
	ds_write_b128 v16, v[26:29]
; %bb.194:
	s_or_b64 exec, exec, s[12:13]
	s_waitcnt lgkmcnt(0)
	s_barrier
	s_barrier
	s_and_saveexec_b64 s[12:13], s[2:3]
; %bb.195:
	v_lshlrev_b32_e32 v26, 4, v14
	v_lshl_or_b32 v26, v15, 9, v26
	ds_write_b128 v26, v[10:13] offset:9472
; %bb.196:
	s_or_b64 exec, exec, s[12:13]
	s_waitcnt lgkmcnt(0)
	s_barrier
	s_barrier
	s_and_saveexec_b64 s[12:13], s[40:41]
	s_cbranch_execz .LBB87_198
; %bb.197:
	v_lshlrev_b32_e32 v26, 9, v0
	ds_read_b128 v[10:13], v26 offset:9472
	s_movk_i32 s14, 0xfe10
	v_mad_i32_i24 v27, v0, s14, v26
	s_waitcnt lgkmcnt(0)
	ds_write_b128 v27, v[10:13] offset:8480
	ds_read_b128 v[10:13], v26 offset:9488
	s_waitcnt lgkmcnt(0)
	ds_write_b128 v27, v[10:13] offset:8992
.LBB87_198:
	s_or_b64 exec, exec, s[12:13]
	s_waitcnt lgkmcnt(0)
	s_barrier
	s_and_saveexec_b64 s[12:13], vcc
	s_cbranch_execz .LBB87_200
; %bb.199:
	v_mov_b32_e32 v30, 0
	s_mov_b32 s92, 0
	ds_read_b128 v[10:13], v30 offset:8960
	s_mov_b32 s93, 0x3ff00000
	s_mov_b32 s94, s92
	;; [unrolled: 1-line block ×3, first 2 shown]
	v_mov_b32_e32 v26, s92
	v_mov_b32_e32 v27, s93
	v_mov_b32_e32 v28, s94
	v_mov_b32_e32 v29, s95
	ds_write_b128 v30, v[26:29] offset:8448
	ds_write_b128 v30, v[26:29] offset:8976
	s_waitcnt lgkmcnt(2)
	ds_write_b128 v30, v[10:13] offset:8464
.LBB87_200:
	s_or_b64 exec, exec, s[12:13]
	s_movk_i32 s12, 0xff
	v_lshrrev_b32_e32 v28, 4, v17
	v_cmp_lt_u32_e64 s[14:15], s12, v17
	s_movk_i32 s12, 0x100
	v_mov_b32_e32 v12, 0
	v_mov_b32_e32 v10, 0
	v_and_b32_e32 v26, 15, v0
	v_sub_u32_e32 v27, 15, v28
	v_mov_b32_e32 v13, 0
	v_mov_b32_e32 v11, 0
	v_cmp_gt_u32_e64 s[12:13], s12, v17
	s_waitcnt lgkmcnt(0)
	s_barrier
	buffer_wbinvl1_vol
	s_and_saveexec_b64 s[86:87], s[12:13]
	s_cbranch_execz .LBB87_228
; %bb.201:
	v_lshlrev_b32_e32 v30, 9, v27
	v_lshlrev_b32_e32 v29, 4, v26
	ds_read_b128 v[10:13], v30 offset:8448
	ds_read_b128 v[31:34], v29 offset:8192
	s_movk_i32 s18, 0xf0
	v_cmp_gt_u32_e64 s[18:19], s18, v17
	s_waitcnt lgkmcnt(0)
	v_mul_f64 v[35:36], v[12:13], v[33:34]
	v_mul_f64 v[33:34], v[10:11], v[33:34]
	v_fma_f64 v[10:11], v[10:11], v[31:32], -v[35:36]
	v_fma_f64 v[12:13], v[12:13], v[31:32], v[33:34]
	v_add_f64 v[10:11], v[10:11], 0
	v_add_f64 v[12:13], v[12:13], 0
	s_and_saveexec_b64 s[88:89], s[18:19]
	s_cbranch_execz .LBB87_203
; %bb.202:
	ds_read_b128 v[31:34], v30 offset:8464
	ds_read_b128 v[35:38], v29 offset:8704
	s_waitcnt lgkmcnt(0)
	v_mul_f64 v[39:40], v[33:34], v[37:38]
	v_mul_f64 v[37:38], v[31:32], v[37:38]
	v_fma_f64 v[31:32], v[31:32], v[35:36], -v[39:40]
	v_fma_f64 v[33:34], v[33:34], v[35:36], v[37:38]
	v_add_f64 v[10:11], v[10:11], v[31:32]
	v_add_f64 v[12:13], v[12:13], v[33:34]
.LBB87_203:
	s_or_b64 exec, exec, s[88:89]
	s_movk_i32 s18, 0xe0
	v_cmp_gt_u32_e64 s[18:19], s18, v17
	s_and_saveexec_b64 s[88:89], s[18:19]
	s_cbranch_execz .LBB87_205
; %bb.204:
	ds_read_b128 v[31:34], v30 offset:8480
	ds_read_b128 v[35:38], v29 offset:9216
	s_waitcnt lgkmcnt(0)
	v_mul_f64 v[39:40], v[33:34], v[37:38]
	v_mul_f64 v[37:38], v[31:32], v[37:38]
	v_fma_f64 v[31:32], v[31:32], v[35:36], -v[39:40]
	v_fma_f64 v[33:34], v[33:34], v[35:36], v[37:38]
	v_add_f64 v[10:11], v[10:11], v[31:32]
	v_add_f64 v[12:13], v[12:13], v[33:34]
.LBB87_205:
	s_or_b64 exec, exec, s[88:89]
	s_movk_i32 s18, 0xd0
	v_cmp_gt_u32_e64 s[18:19], s18, v17
	;; [unrolled: 16-line block ×10, first 2 shown]
	s_and_saveexec_b64 s[88:89], s[18:19]
	s_cbranch_execnz .LBB87_529
; %bb.222:
	s_or_b64 exec, exec, s[88:89]
	s_and_saveexec_b64 s[18:19], s[8:9]
	s_cbranch_execnz .LBB87_530
.LBB87_223:
	s_or_b64 exec, exec, s[18:19]
	v_cmp_gt_u32_e64 s[18:19], 48, v17
	s_and_saveexec_b64 s[88:89], s[18:19]
	s_cbranch_execnz .LBB87_531
.LBB87_224:
	s_or_b64 exec, exec, s[88:89]
	v_cmp_gt_u32_e64 s[18:19], 32, v17
	s_and_saveexec_b64 s[88:89], s[18:19]
	s_cbranch_execnz .LBB87_532
.LBB87_225:
	s_or_b64 exec, exec, s[88:89]
	v_cmp_gt_u32_e64 s[18:19], 16, v17
	s_and_saveexec_b64 s[88:89], s[18:19]
	s_cbranch_execz .LBB87_227
.LBB87_226:
	v_lshlrev_b32_e32 v33, 4, v0
	v_mov_b32_e32 v29, 0
	ds_read_b128 v[29:32], v29 offset:16368
	ds_read_b128 v[33:36], v33 offset:15872
	s_waitcnt lgkmcnt(0)
	v_mul_f64 v[37:38], v[31:32], v[35:36]
	v_mul_f64 v[35:36], v[29:30], v[35:36]
	v_fma_f64 v[29:30], v[29:30], v[33:34], -v[37:38]
	v_fma_f64 v[31:32], v[31:32], v[33:34], v[35:36]
	v_add_f64 v[10:11], v[10:11], v[29:30]
	v_add_f64 v[12:13], v[12:13], v[31:32]
.LBB87_227:
	s_or_b64 exec, exec, s[88:89]
.LBB87_228:
	s_or_b64 exec, exec, s[86:87]
	v_mov_b32_e32 v29, 0x4000
	v_cmp_eq_u32_e64 s[18:19], 15, v26
	s_xor_b64 s[86:87], s[14:15], -1
	v_lshl_add_u32 v28, v28, 4, v29
	s_and_b64 s[18:19], s[18:19], s[86:87]
	s_and_saveexec_b64 s[14:15], s[18:19]
; %bb.229:
	v_xor_b32_e32 v32, 0x80000000, v13
	v_xor_b32_e32 v30, 0x80000000, v11
	v_mov_b32_e32 v29, v10
	v_mov_b32_e32 v31, v12
	ds_write_b128 v28, v[29:32]
; %bb.230:
	s_or_b64 exec, exec, s[14:15]
	v_cmp_ne_u32_e64 s[14:15], 15, v26
	s_and_b64 s[18:19], s[14:15], s[86:87]
	s_waitcnt lgkmcnt(0)
	s_barrier
	s_and_saveexec_b64 s[14:15], s[18:19]
	s_cbranch_execz .LBB87_232
; %bb.231:
	v_lshlrev_b32_e32 v33, 4, v26
	ds_read_b128 v[29:32], v28
	ds_read_b128 v[33:36], v33 offset:7680
	s_waitcnt lgkmcnt(0)
	v_mul_f64 v[37:38], v[31:32], v[35:36]
	v_mul_f64 v[35:36], v[29:30], v[35:36]
	v_fma_f64 v[29:30], v[29:30], v[33:34], -v[37:38]
	v_fma_f64 v[31:32], v[31:32], v[33:34], v[35:36]
	v_add_f64 v[10:11], v[10:11], -v[29:30]
	v_add_f64 v[12:13], v[12:13], -v[31:32]
.LBB87_232:
	s_or_b64 exec, exec, s[14:15]
	v_cmp_eq_u32_e64 s[14:15], 14, v26
	s_and_b64 s[18:19], s[14:15], s[86:87]
	s_barrier
	s_and_saveexec_b64 s[14:15], s[18:19]
; %bb.233:
	v_xor_b32_e32 v32, 0x80000000, v13
	v_xor_b32_e32 v30, 0x80000000, v11
	v_mov_b32_e32 v29, v10
	v_mov_b32_e32 v31, v12
	ds_write_b128 v28, v[29:32]
; %bb.234:
	s_or_b64 exec, exec, s[14:15]
	v_cmp_gt_u32_e64 s[14:15], 14, v26
	s_and_b64 s[18:19], s[14:15], s[86:87]
	s_waitcnt lgkmcnt(0)
	s_barrier
	s_and_saveexec_b64 s[14:15], s[18:19]
	s_cbranch_execz .LBB87_236
; %bb.235:
	v_lshlrev_b32_e32 v33, 4, v26
	ds_read_b128 v[29:32], v28
	ds_read_b128 v[33:36], v33 offset:7168
	s_waitcnt lgkmcnt(0)
	v_mul_f64 v[37:38], v[31:32], v[35:36]
	v_mul_f64 v[35:36], v[29:30], v[35:36]
	v_fma_f64 v[29:30], v[29:30], v[33:34], -v[37:38]
	v_fma_f64 v[31:32], v[31:32], v[33:34], v[35:36]
	v_add_f64 v[10:11], v[10:11], -v[29:30]
	v_add_f64 v[12:13], v[12:13], -v[31:32]
.LBB87_236:
	s_or_b64 exec, exec, s[14:15]
	v_cmp_eq_u32_e64 s[14:15], 13, v26
	s_and_b64 s[18:19], s[14:15], s[86:87]
	s_barrier
	s_and_saveexec_b64 s[14:15], s[18:19]
; %bb.237:
	v_xor_b32_e32 v32, 0x80000000, v13
	v_xor_b32_e32 v30, 0x80000000, v11
	v_mov_b32_e32 v29, v10
	v_mov_b32_e32 v31, v12
	ds_write_b128 v28, v[29:32]
; %bb.238:
	s_or_b64 exec, exec, s[14:15]
	v_cmp_gt_u32_e64 s[14:15], 13, v26
	;; [unrolled: 31-line block ×13, first 2 shown]
	s_and_b64 s[18:19], s[14:15], s[86:87]
	s_waitcnt lgkmcnt(0)
	s_barrier
	s_and_saveexec_b64 s[14:15], s[18:19]
	s_cbranch_execz .LBB87_284
; %bb.283:
	v_lshlrev_b32_e32 v33, 4, v26
	ds_read_b128 v[29:32], v28
	ds_read_b128 v[33:36], v33 offset:1024
	s_waitcnt lgkmcnt(0)
	v_mul_f64 v[37:38], v[31:32], v[35:36]
	v_mul_f64 v[35:36], v[29:30], v[35:36]
	v_fma_f64 v[29:30], v[29:30], v[33:34], -v[37:38]
	v_fma_f64 v[31:32], v[31:32], v[33:34], v[35:36]
	v_add_f64 v[10:11], v[10:11], -v[29:30]
	v_add_f64 v[12:13], v[12:13], -v[31:32]
.LBB87_284:
	s_or_b64 exec, exec, s[14:15]
	v_cmp_eq_u32_e64 s[14:15], 1, v26
	s_and_b64 s[18:19], s[14:15], s[86:87]
	s_barrier
	s_and_saveexec_b64 s[14:15], s[18:19]
; %bb.285:
	v_xor_b32_e32 v32, 0x80000000, v13
	v_xor_b32_e32 v30, 0x80000000, v11
	v_mov_b32_e32 v29, v10
	v_mov_b32_e32 v31, v12
	ds_write_b128 v28, v[29:32]
; %bb.286:
	s_or_b64 exec, exec, s[14:15]
	v_cmp_eq_u32_e64 s[14:15], 0, v26
	s_and_b64 s[14:15], s[14:15], s[86:87]
	s_waitcnt lgkmcnt(0)
	s_barrier
	s_and_saveexec_b64 s[18:19], s[14:15]
	s_cbranch_execz .LBB87_288
; %bb.287:
	v_mov_b32_e32 v33, 0
	ds_read_b128 v[29:32], v28
	ds_read_b128 v[33:36], v33 offset:512
	s_waitcnt lgkmcnt(0)
	v_mul_f64 v[37:38], v[31:32], v[35:36]
	v_mul_f64 v[35:36], v[29:30], v[35:36]
	v_fma_f64 v[29:30], v[29:30], v[33:34], -v[37:38]
	v_fma_f64 v[31:32], v[31:32], v[33:34], v[35:36]
	v_add_f64 v[10:11], v[10:11], -v[29:30]
	v_add_f64 v[12:13], v[12:13], -v[31:32]
.LBB87_288:
	s_or_b64 exec, exec, s[18:19]
	s_barrier
	s_and_saveexec_b64 s[18:19], s[14:15]
; %bb.289:
	v_xor_b32_e32 v32, 0x80000000, v13
	v_xor_b32_e32 v30, 0x80000000, v11
	v_mov_b32_e32 v29, v10
	v_mov_b32_e32 v31, v12
	ds_write_b128 v28, v[29:32]
; %bb.290:
	s_or_b64 exec, exec, s[18:19]
	s_waitcnt lgkmcnt(0)
	s_barrier
	s_barrier
	s_and_saveexec_b64 s[14:15], s[12:13]
; %bb.291:
	v_lshlrev_b32_e32 v26, 4, v26
	v_lshl_or_b32 v26, v27, 9, v26
	ds_write_b128 v26, v[10:13] offset:8192
; %bb.292:
	s_or_b64 exec, exec, s[14:15]
	v_cmp_gt_u32_e64 s[12:13], 16, v0
	s_and_b64 s[12:13], s[10:11], s[12:13]
	s_waitcnt lgkmcnt(0)
	s_barrier
	s_barrier
	s_and_saveexec_b64 s[10:11], s[12:13]
	s_cbranch_execz .LBB87_294
; %bb.293:
	v_lshlrev_b32_e32 v26, 9, v0
	ds_read_b128 v[10:13], v26 offset:8192
	s_movk_i32 s12, 0xfe10
	v_mad_i32_i24 v27, v0, s12, v26
	s_waitcnt lgkmcnt(0)
	ds_write_b128 v27, v[10:13] offset:256
	ds_read_b128 v[10:13], v26 offset:8208
	s_waitcnt lgkmcnt(0)
	ds_write_b128 v27, v[10:13] offset:768
	ds_read_b128 v[10:13], v26 offset:8224
	;; [unrolled: 3-line block ×15, first 2 shown]
	s_waitcnt lgkmcnt(0)
	ds_write_b128 v27, v[10:13] offset:7936
.LBB87_294:
	s_or_b64 exec, exec, s[10:11]
	s_waitcnt lgkmcnt(0)
	s_barrier
	s_and_saveexec_b64 s[10:11], vcc
	s_cbranch_execz .LBB87_296
; %bb.295:
	s_mov_b32 s12, 0
	v_mov_b32_e32 v30, 0
	ds_read_b128 v[10:13], v30 offset:7904
	s_mov_b32 s15, s12
	s_mov_b32 s13, 0x3ff00000
	s_mov_b32 s14, s12
	v_mov_b32_e32 v29, s15
	v_mov_b32_e32 v28, s14
	;; [unrolled: 1-line block ×4, first 2 shown]
	ds_write_b128 v30, v[26:29] offset:7392
	ds_write_b128 v30, v[26:29] offset:7920
	s_waitcnt lgkmcnt(2)
	ds_write_b128 v30, v[10:13] offset:7408
.LBB87_296:
	s_or_b64 exec, exec, s[10:11]
	v_mov_b32_e32 v10, 0
	v_mov_b32_e32 v12, 0
	;; [unrolled: 1-line block ×4, first 2 shown]
	s_waitcnt lgkmcnt(0)
	s_barrier
	buffer_wbinvl1_vol
	s_and_saveexec_b64 s[12:13], s[2:3]
	s_cbranch_execz .LBB87_300
; %bb.297:
	v_lshlrev_b32_e32 v26, 4, v14
	v_lshlrev_b32_e32 v10, 9, v15
	ds_read_b128 v[10:13], v10 offset:7392
	ds_read_b128 v[26:29], v26 offset:7360
	v_cmp_gt_u32_e64 s[10:11], 2, v17
	s_waitcnt lgkmcnt(0)
	v_mul_f64 v[30:31], v[12:13], v[28:29]
	v_mul_f64 v[28:29], v[10:11], v[28:29]
	v_fma_f64 v[10:11], v[10:11], v[26:27], -v[30:31]
	v_fma_f64 v[12:13], v[12:13], v[26:27], v[28:29]
	v_add_f64 v[10:11], v[10:11], 0
	v_add_f64 v[12:13], v[12:13], 0
	s_and_saveexec_b64 s[14:15], s[10:11]
	s_cbranch_execz .LBB87_299
; %bb.298:
	v_lshlrev_b32_e32 v30, 4, v0
	v_mov_b32_e32 v26, 0
	ds_read_b128 v[26:29], v26 offset:7920
	ds_read_b128 v[30:33], v30 offset:7872
	s_waitcnt lgkmcnt(0)
	v_mul_f64 v[34:35], v[28:29], v[32:33]
	v_mul_f64 v[32:33], v[26:27], v[32:33]
	v_fma_f64 v[26:27], v[26:27], v[30:31], -v[34:35]
	v_fma_f64 v[28:29], v[28:29], v[30:31], v[32:33]
	v_add_f64 v[10:11], v[10:11], v[26:27]
	v_add_f64 v[12:13], v[12:13], v[28:29]
.LBB87_299:
	s_or_b64 exec, exec, s[14:15]
.LBB87_300:
	s_or_b64 exec, exec, s[12:13]
	s_and_saveexec_b64 s[10:11], s[38:39]
; %bb.301:
	v_xor_b32_e32 v27, 0x80000000, v11
	v_xor_b32_e32 v29, 0x80000000, v13
	v_mov_b32_e32 v26, v10
	v_mov_b32_e32 v28, v12
	ds_write_b128 v16, v[26:29]
; %bb.302:
	s_or_b64 exec, exec, s[10:11]
	s_waitcnt lgkmcnt(0)
	s_barrier
	s_and_saveexec_b64 s[10:11], s[36:37]
	s_cbranch_execz .LBB87_304
; %bb.303:
	v_mov_b32_e32 v30, 0
	ds_read_b128 v[26:29], v16
	ds_read_b128 v[30:33], v30 offset:6848
	s_waitcnt lgkmcnt(0)
	v_mul_f64 v[34:35], v[26:27], v[30:31]
	v_mul_f64 v[26:27], v[26:27], v[32:33]
	v_fma_f64 v[32:33], v[28:29], v[32:33], -v[34:35]
	v_fma_f64 v[26:27], v[28:29], v[30:31], v[26:27]
	v_add_f64 v[10:11], v[10:11], v[32:33]
	v_add_f64 v[12:13], v[12:13], -v[26:27]
.LBB87_304:
	s_or_b64 exec, exec, s[10:11]
	s_barrier
	s_and_saveexec_b64 s[10:11], s[36:37]
; %bb.305:
	v_xor_b32_e32 v27, 0x80000000, v11
	v_xor_b32_e32 v29, 0x80000000, v13
	v_mov_b32_e32 v26, v10
	v_mov_b32_e32 v28, v12
	ds_write_b128 v16, v[26:29]
; %bb.306:
	s_or_b64 exec, exec, s[10:11]
	s_waitcnt lgkmcnt(0)
	s_barrier
	s_barrier
	s_and_saveexec_b64 s[10:11], s[2:3]
; %bb.307:
	v_lshlrev_b32_e32 v26, 4, v14
	v_lshl_or_b32 v26, v15, 9, v26
	ds_write_b128 v26, v[10:13] offset:7360
; %bb.308:
	s_or_b64 exec, exec, s[10:11]
	s_waitcnt lgkmcnt(0)
	s_barrier
	s_barrier
	s_and_saveexec_b64 s[10:11], s[40:41]
	s_cbranch_execz .LBB87_310
; %bb.309:
	v_lshlrev_b32_e32 v26, 9, v0
	ds_read_b128 v[10:13], v26 offset:7360
	s_movk_i32 s12, 0xfe10
	v_mad_i32_i24 v27, v0, s12, v26
	s_waitcnt lgkmcnt(0)
	ds_write_b128 v27, v[10:13] offset:6368
	ds_read_b128 v[10:13], v26 offset:7376
	s_waitcnt lgkmcnt(0)
	ds_write_b128 v27, v[10:13] offset:6880
.LBB87_310:
	s_or_b64 exec, exec, s[10:11]
	s_waitcnt lgkmcnt(0)
	s_barrier
	s_and_saveexec_b64 s[10:11], vcc
	s_cbranch_execz .LBB87_312
; %bb.311:
	s_mov_b32 s12, 0
	v_mov_b32_e32 v30, 0
	ds_read_b128 v[10:13], v30 offset:6848
	s_mov_b32 s15, s12
	s_mov_b32 s13, 0x3ff00000
	;; [unrolled: 1-line block ×3, first 2 shown]
	v_mov_b32_e32 v29, s15
	v_mov_b32_e32 v28, s14
	;; [unrolled: 1-line block ×4, first 2 shown]
	ds_write_b128 v30, v[26:29] offset:6336
	ds_write_b128 v30, v[26:29] offset:6864
	s_waitcnt lgkmcnt(2)
	ds_write_b128 v30, v[10:13] offset:6352
.LBB87_312:
	s_or_b64 exec, exec, s[10:11]
	v_mov_b32_e32 v12, 0
	v_mov_b32_e32 v10, 0
	;; [unrolled: 1-line block ×4, first 2 shown]
	s_waitcnt lgkmcnt(0)
	s_barrier
	buffer_wbinvl1_vol
	s_and_saveexec_b64 s[12:13], s[16:17]
	s_cbranch_execz .LBB87_318
; %bb.313:
	v_lshlrev_b32_e32 v27, 9, v19
	v_lshlrev_b32_e32 v26, 4, v18
	ds_read_b128 v[10:13], v27 offset:6336
	ds_read_b128 v[28:31], v26 offset:6272
	v_cmp_gt_u32_e64 s[10:11], 12, v17
	s_waitcnt lgkmcnt(0)
	v_mul_f64 v[32:33], v[12:13], v[30:31]
	v_mul_f64 v[30:31], v[10:11], v[30:31]
	v_fma_f64 v[10:11], v[10:11], v[28:29], -v[32:33]
	v_fma_f64 v[12:13], v[12:13], v[28:29], v[30:31]
	v_add_f64 v[10:11], v[10:11], 0
	v_add_f64 v[12:13], v[12:13], 0
	s_and_saveexec_b64 s[14:15], s[10:11]
	s_cbranch_execnz .LBB87_533
; %bb.314:
	s_or_b64 exec, exec, s[14:15]
	v_cmp_gt_u32_e64 s[10:11], 8, v17
	s_and_saveexec_b64 s[14:15], s[10:11]
	s_cbranch_execnz .LBB87_534
.LBB87_315:
	s_or_b64 exec, exec, s[14:15]
	v_cmp_gt_u32_e64 s[10:11], 4, v17
	s_and_saveexec_b64 s[14:15], s[10:11]
	s_cbranch_execz .LBB87_317
.LBB87_316:
	v_lshlrev_b32_e32 v30, 4, v0
	v_mov_b32_e32 v26, 0
	ds_read_b128 v[26:29], v26 offset:7920
	ds_read_b128 v[30:33], v30 offset:7808
	s_waitcnt lgkmcnt(0)
	v_mul_f64 v[34:35], v[28:29], v[32:33]
	v_mul_f64 v[32:33], v[26:27], v[32:33]
	v_fma_f64 v[26:27], v[26:27], v[30:31], -v[34:35]
	v_fma_f64 v[28:29], v[28:29], v[30:31], v[32:33]
	v_add_f64 v[10:11], v[10:11], v[26:27]
	v_add_f64 v[12:13], v[12:13], v[28:29]
.LBB87_317:
	s_or_b64 exec, exec, s[14:15]
.LBB87_318:
	s_or_b64 exec, exec, s[12:13]
	s_and_saveexec_b64 s[10:11], s[44:45]
; %bb.319:
	v_xor_b32_e32 v29, 0x80000000, v13
	v_xor_b32_e32 v27, 0x80000000, v11
	v_mov_b32_e32 v26, v10
	v_mov_b32_e32 v28, v12
	ds_write_b128 v20, v[26:29]
; %bb.320:
	s_or_b64 exec, exec, s[10:11]
	s_waitcnt lgkmcnt(0)
	s_barrier
	s_and_saveexec_b64 s[10:11], s[46:47]
	s_cbranch_execz .LBB87_322
; %bb.321:
	v_lshlrev_b32_e32 v30, 4, v18
	ds_read_b128 v[26:29], v20
	ds_read_b128 v[30:33], v30 offset:5760
	s_waitcnt lgkmcnt(0)
	v_mul_f64 v[34:35], v[28:29], v[32:33]
	v_mul_f64 v[32:33], v[26:27], v[32:33]
	v_fma_f64 v[26:27], v[26:27], v[30:31], -v[34:35]
	v_fma_f64 v[28:29], v[28:29], v[30:31], v[32:33]
	v_add_f64 v[10:11], v[10:11], -v[26:27]
	v_add_f64 v[12:13], v[12:13], -v[28:29]
.LBB87_322:
	s_or_b64 exec, exec, s[10:11]
	s_barrier
	s_and_saveexec_b64 s[10:11], s[48:49]
; %bb.323:
	v_xor_b32_e32 v29, 0x80000000, v13
	v_xor_b32_e32 v27, 0x80000000, v11
	v_mov_b32_e32 v26, v10
	v_mov_b32_e32 v28, v12
	ds_write_b128 v20, v[26:29]
; %bb.324:
	s_or_b64 exec, exec, s[10:11]
	s_waitcnt lgkmcnt(0)
	s_barrier
	s_and_saveexec_b64 s[10:11], s[50:51]
	s_cbranch_execz .LBB87_326
; %bb.325:
	v_lshlrev_b32_e32 v30, 4, v18
	ds_read_b128 v[26:29], v20
	ds_read_b128 v[30:33], v30 offset:5248
	s_waitcnt lgkmcnt(0)
	v_mul_f64 v[34:35], v[28:29], v[32:33]
	v_mul_f64 v[32:33], v[26:27], v[32:33]
	v_fma_f64 v[26:27], v[26:27], v[30:31], -v[34:35]
	v_fma_f64 v[28:29], v[28:29], v[30:31], v[32:33]
	v_add_f64 v[10:11], v[10:11], -v[26:27]
	v_add_f64 v[12:13], v[12:13], -v[28:29]
.LBB87_326:
	s_or_b64 exec, exec, s[10:11]
	s_barrier
	s_and_saveexec_b64 s[10:11], s[52:53]
; %bb.327:
	v_xor_b32_e32 v29, 0x80000000, v13
	v_xor_b32_e32 v27, 0x80000000, v11
	v_mov_b32_e32 v26, v10
	v_mov_b32_e32 v28, v12
	ds_write_b128 v20, v[26:29]
; %bb.328:
	s_or_b64 exec, exec, s[10:11]
	s_waitcnt lgkmcnt(0)
	s_barrier
	s_and_saveexec_b64 s[10:11], s[42:43]
	s_cbranch_execz .LBB87_330
; %bb.329:
	v_mov_b32_e32 v30, 0
	ds_read_b128 v[26:29], v20
	ds_read_b128 v[30:33], v30 offset:4736
	s_waitcnt lgkmcnt(0)
	v_mul_f64 v[34:35], v[28:29], v[32:33]
	v_mul_f64 v[32:33], v[26:27], v[32:33]
	v_fma_f64 v[26:27], v[26:27], v[30:31], -v[34:35]
	v_fma_f64 v[28:29], v[28:29], v[30:31], v[32:33]
	v_add_f64 v[10:11], v[10:11], -v[26:27]
	v_add_f64 v[12:13], v[12:13], -v[28:29]
.LBB87_330:
	s_or_b64 exec, exec, s[10:11]
	s_barrier
	s_and_saveexec_b64 s[10:11], s[42:43]
; %bb.331:
	v_xor_b32_e32 v29, 0x80000000, v13
	v_xor_b32_e32 v27, 0x80000000, v11
	v_mov_b32_e32 v26, v10
	v_mov_b32_e32 v28, v12
	ds_write_b128 v20, v[26:29]
; %bb.332:
	s_or_b64 exec, exec, s[10:11]
	s_waitcnt lgkmcnt(0)
	s_barrier
	s_barrier
	s_and_saveexec_b64 s[10:11], s[16:17]
; %bb.333:
	v_lshlrev_b32_e32 v26, 4, v18
	v_lshl_or_b32 v26, v19, 9, v26
	ds_write_b128 v26, v[10:13] offset:6272
; %bb.334:
	s_or_b64 exec, exec, s[10:11]
	s_waitcnt lgkmcnt(0)
	s_barrier
	s_barrier
	s_and_saveexec_b64 s[10:11], s[54:55]
	s_cbranch_execz .LBB87_336
; %bb.335:
	v_lshlrev_b32_e32 v26, 4, v0
	s_movk_i32 s12, 0x1f0
	v_mad_u32_u24 v27, v0, s12, v26
	ds_read_b128 v[10:13], v27 offset:6272
	s_waitcnt lgkmcnt(0)
	ds_write_b128 v26, v[10:13] offset:4288
	ds_read_b128 v[10:13], v27 offset:6288
	s_waitcnt lgkmcnt(0)
	ds_write_b128 v26, v[10:13] offset:4800
	;; [unrolled: 3-line block ×4, first 2 shown]
.LBB87_336:
	s_or_b64 exec, exec, s[10:11]
	s_waitcnt lgkmcnt(0)
	s_barrier
	s_and_saveexec_b64 s[10:11], vcc
	s_cbranch_execz .LBB87_338
; %bb.337:
	s_mov_b32 s12, 0
	v_mov_b32_e32 v30, 0
	ds_read_b128 v[10:13], v30 offset:5792
	s_mov_b32 s15, s12
	s_mov_b32 s13, 0x3ff00000
	;; [unrolled: 1-line block ×3, first 2 shown]
	v_mov_b32_e32 v29, s15
	v_mov_b32_e32 v28, s14
	;; [unrolled: 1-line block ×4, first 2 shown]
	ds_write_b128 v30, v[26:29] offset:5280
	ds_write_b128 v30, v[26:29] offset:5808
	s_waitcnt lgkmcnt(2)
	ds_write_b128 v30, v[10:13] offset:5296
.LBB87_338:
	s_or_b64 exec, exec, s[10:11]
	v_mov_b32_e32 v10, 0
	v_mov_b32_e32 v12, 0
	;; [unrolled: 1-line block ×4, first 2 shown]
	s_waitcnt lgkmcnt(0)
	s_barrier
	buffer_wbinvl1_vol
	s_and_saveexec_b64 s[12:13], s[2:3]
	s_cbranch_execz .LBB87_342
; %bb.339:
	v_lshlrev_b32_e32 v26, 4, v14
	v_lshlrev_b32_e32 v10, 9, v15
	ds_read_b128 v[10:13], v10 offset:5280
	ds_read_b128 v[26:29], v26 offset:5248
	v_cmp_gt_u32_e64 s[10:11], 2, v17
	s_waitcnt lgkmcnt(0)
	v_mul_f64 v[30:31], v[12:13], v[28:29]
	v_mul_f64 v[28:29], v[10:11], v[28:29]
	v_fma_f64 v[10:11], v[10:11], v[26:27], -v[30:31]
	v_fma_f64 v[12:13], v[12:13], v[26:27], v[28:29]
	v_add_f64 v[10:11], v[10:11], 0
	v_add_f64 v[12:13], v[12:13], 0
	s_and_saveexec_b64 s[14:15], s[10:11]
	s_cbranch_execz .LBB87_341
; %bb.340:
	v_lshlrev_b32_e32 v30, 4, v0
	v_mov_b32_e32 v26, 0
	ds_read_b128 v[26:29], v26 offset:5808
	ds_read_b128 v[30:33], v30 offset:5760
	s_waitcnt lgkmcnt(0)
	v_mul_f64 v[34:35], v[28:29], v[32:33]
	v_mul_f64 v[32:33], v[26:27], v[32:33]
	v_fma_f64 v[26:27], v[26:27], v[30:31], -v[34:35]
	v_fma_f64 v[28:29], v[28:29], v[30:31], v[32:33]
	v_add_f64 v[10:11], v[10:11], v[26:27]
	v_add_f64 v[12:13], v[12:13], v[28:29]
.LBB87_341:
	s_or_b64 exec, exec, s[14:15]
.LBB87_342:
	s_or_b64 exec, exec, s[12:13]
	s_and_saveexec_b64 s[10:11], s[38:39]
; %bb.343:
	v_xor_b32_e32 v27, 0x80000000, v11
	v_xor_b32_e32 v29, 0x80000000, v13
	v_mov_b32_e32 v26, v10
	v_mov_b32_e32 v28, v12
	ds_write_b128 v16, v[26:29]
; %bb.344:
	s_or_b64 exec, exec, s[10:11]
	s_waitcnt lgkmcnt(0)
	s_barrier
	s_and_saveexec_b64 s[10:11], s[36:37]
	s_cbranch_execz .LBB87_346
; %bb.345:
	v_mov_b32_e32 v30, 0
	ds_read_b128 v[26:29], v16
	ds_read_b128 v[30:33], v30 offset:4736
	s_waitcnt lgkmcnt(0)
	v_mul_f64 v[34:35], v[26:27], v[30:31]
	v_mul_f64 v[26:27], v[26:27], v[32:33]
	v_fma_f64 v[32:33], v[28:29], v[32:33], -v[34:35]
	v_fma_f64 v[26:27], v[28:29], v[30:31], v[26:27]
	v_add_f64 v[10:11], v[10:11], v[32:33]
	v_add_f64 v[12:13], v[12:13], -v[26:27]
.LBB87_346:
	s_or_b64 exec, exec, s[10:11]
	s_barrier
	s_and_saveexec_b64 s[10:11], s[36:37]
; %bb.347:
	v_xor_b32_e32 v27, 0x80000000, v11
	v_xor_b32_e32 v29, 0x80000000, v13
	v_mov_b32_e32 v26, v10
	v_mov_b32_e32 v28, v12
	ds_write_b128 v16, v[26:29]
; %bb.348:
	s_or_b64 exec, exec, s[10:11]
	s_waitcnt lgkmcnt(0)
	s_barrier
	s_barrier
	s_and_saveexec_b64 s[10:11], s[2:3]
; %bb.349:
	v_lshlrev_b32_e32 v26, 4, v14
	v_lshl_or_b32 v26, v15, 9, v26
	ds_write_b128 v26, v[10:13] offset:5248
; %bb.350:
	s_or_b64 exec, exec, s[10:11]
	s_waitcnt lgkmcnt(0)
	s_barrier
	s_barrier
	s_and_saveexec_b64 s[10:11], s[40:41]
	s_cbranch_execz .LBB87_352
; %bb.351:
	v_lshlrev_b32_e32 v26, 9, v0
	ds_read_b128 v[10:13], v26 offset:5248
	s_movk_i32 s12, 0xfe10
	v_mad_i32_i24 v27, v0, s12, v26
	s_waitcnt lgkmcnt(0)
	ds_write_b128 v27, v[10:13] offset:4256
	ds_read_b128 v[10:13], v26 offset:5264
	s_waitcnt lgkmcnt(0)
	ds_write_b128 v27, v[10:13] offset:4768
.LBB87_352:
	s_or_b64 exec, exec, s[10:11]
	s_waitcnt lgkmcnt(0)
	s_barrier
	s_and_saveexec_b64 s[10:11], vcc
	s_cbranch_execz .LBB87_354
; %bb.353:
	s_mov_b32 s12, 0
	v_mov_b32_e32 v30, 0
	ds_read_b128 v[10:13], v30 offset:4736
	s_mov_b32 s15, s12
	s_mov_b32 s13, 0x3ff00000
	;; [unrolled: 1-line block ×3, first 2 shown]
	v_mov_b32_e32 v29, s15
	v_mov_b32_e32 v28, s14
	;; [unrolled: 1-line block ×4, first 2 shown]
	ds_write_b128 v30, v[26:29] offset:4224
	ds_write_b128 v30, v[26:29] offset:4752
	s_waitcnt lgkmcnt(2)
	ds_write_b128 v30, v[10:13] offset:4240
.LBB87_354:
	s_or_b64 exec, exec, s[10:11]
	v_mov_b32_e32 v12, 0
	v_mov_b32_e32 v10, 0
	;; [unrolled: 1-line block ×4, first 2 shown]
	s_waitcnt lgkmcnt(0)
	s_barrier
	buffer_wbinvl1_vol
	s_and_saveexec_b64 s[12:13], s[8:9]
	s_cbranch_execz .LBB87_364
; %bb.355:
	v_lshlrev_b32_e32 v27, 9, v24
	v_lshlrev_b32_e32 v26, 4, v21
	ds_read_b128 v[10:13], v27 offset:4224
	ds_read_b128 v[28:31], v26 offset:4096
	v_cmp_gt_u32_e64 s[10:11], 56, v17
	s_waitcnt lgkmcnt(0)
	v_mul_f64 v[32:33], v[12:13], v[30:31]
	v_mul_f64 v[30:31], v[10:11], v[30:31]
	v_fma_f64 v[10:11], v[10:11], v[28:29], -v[32:33]
	v_fma_f64 v[12:13], v[12:13], v[28:29], v[30:31]
	v_add_f64 v[10:11], v[10:11], 0
	v_add_f64 v[12:13], v[12:13], 0
	s_and_saveexec_b64 s[14:15], s[10:11]
	s_cbranch_execnz .LBB87_535
; %bb.356:
	s_or_b64 exec, exec, s[14:15]
	v_cmp_gt_u32_e64 s[10:11], 48, v17
	s_and_saveexec_b64 s[14:15], s[10:11]
	s_cbranch_execnz .LBB87_536
.LBB87_357:
	s_or_b64 exec, exec, s[14:15]
	v_cmp_gt_u32_e64 s[10:11], 40, v17
	s_and_saveexec_b64 s[14:15], s[10:11]
	s_cbranch_execnz .LBB87_537
.LBB87_358:
	s_or_b64 exec, exec, s[14:15]
	v_cmp_gt_u32_e64 s[10:11], 32, v17
	s_and_saveexec_b64 s[14:15], s[10:11]
	s_cbranch_execnz .LBB87_538
.LBB87_359:
	s_or_b64 exec, exec, s[14:15]
	v_cmp_gt_u32_e64 s[10:11], 24, v17
	s_and_saveexec_b64 s[14:15], s[10:11]
	s_cbranch_execnz .LBB87_539
.LBB87_360:
	s_or_b64 exec, exec, s[14:15]
	s_and_saveexec_b64 s[10:11], s[16:17]
	s_cbranch_execnz .LBB87_540
.LBB87_361:
	s_or_b64 exec, exec, s[10:11]
	v_cmp_gt_u32_e64 s[10:11], 8, v17
	s_and_saveexec_b64 s[14:15], s[10:11]
	s_cbranch_execz .LBB87_363
.LBB87_362:
	v_lshlrev_b32_e32 v30, 4, v0
	v_mov_b32_e32 v26, 0
	ds_read_b128 v[26:29], v26 offset:7920
	ds_read_b128 v[30:33], v30 offset:7680
	s_waitcnt lgkmcnt(0)
	v_mul_f64 v[34:35], v[28:29], v[32:33]
	v_mul_f64 v[32:33], v[26:27], v[32:33]
	v_fma_f64 v[26:27], v[26:27], v[30:31], -v[34:35]
	v_fma_f64 v[28:29], v[28:29], v[30:31], v[32:33]
	v_add_f64 v[10:11], v[10:11], v[26:27]
	v_add_f64 v[12:13], v[12:13], v[28:29]
.LBB87_363:
	s_or_b64 exec, exec, s[14:15]
.LBB87_364:
	s_or_b64 exec, exec, s[12:13]
	s_and_saveexec_b64 s[10:11], s[58:59]
; %bb.365:
	v_xor_b32_e32 v27, 0x80000000, v11
	v_xor_b32_e32 v29, 0x80000000, v13
	v_mov_b32_e32 v26, v10
	v_mov_b32_e32 v28, v12
	ds_write_b128 v25, v[26:29]
; %bb.366:
	s_or_b64 exec, exec, s[10:11]
	s_waitcnt lgkmcnt(0)
	s_barrier
	s_and_saveexec_b64 s[10:11], s[60:61]
	s_cbranch_execz .LBB87_368
; %bb.367:
	v_lshlrev_b32_e32 v30, 4, v21
	ds_read_b128 v[26:29], v25
	ds_read_b128 v[30:33], v30 offset:3584
	s_waitcnt lgkmcnt(0)
	v_mul_f64 v[34:35], v[28:29], v[32:33]
	v_mul_f64 v[32:33], v[26:27], v[32:33]
	v_fma_f64 v[26:27], v[26:27], v[30:31], -v[34:35]
	v_fma_f64 v[28:29], v[28:29], v[30:31], v[32:33]
	v_add_f64 v[10:11], v[10:11], -v[26:27]
	v_add_f64 v[12:13], v[12:13], -v[28:29]
.LBB87_368:
	s_or_b64 exec, exec, s[10:11]
	s_barrier
	s_and_saveexec_b64 s[10:11], s[62:63]
; %bb.369:
	v_xor_b32_e32 v27, 0x80000000, v11
	v_xor_b32_e32 v29, 0x80000000, v13
	v_mov_b32_e32 v26, v10
	v_mov_b32_e32 v28, v12
	ds_write_b128 v25, v[26:29]
; %bb.370:
	s_or_b64 exec, exec, s[10:11]
	s_waitcnt lgkmcnt(0)
	s_barrier
	s_and_saveexec_b64 s[10:11], s[64:65]
	s_cbranch_execz .LBB87_372
; %bb.371:
	v_lshlrev_b32_e32 v30, 4, v21
	ds_read_b128 v[26:29], v25
	ds_read_b128 v[30:33], v30 offset:3072
	s_waitcnt lgkmcnt(0)
	v_mul_f64 v[34:35], v[28:29], v[32:33]
	v_mul_f64 v[32:33], v[26:27], v[32:33]
	v_fma_f64 v[26:27], v[26:27], v[30:31], -v[34:35]
	v_fma_f64 v[28:29], v[28:29], v[30:31], v[32:33]
	v_add_f64 v[10:11], v[10:11], -v[26:27]
	v_add_f64 v[12:13], v[12:13], -v[28:29]
.LBB87_372:
	s_or_b64 exec, exec, s[10:11]
	s_barrier
	;; [unrolled: 27-line block ×6, first 2 shown]
	s_and_saveexec_b64 s[10:11], s[82:83]
; %bb.389:
	v_xor_b32_e32 v27, 0x80000000, v11
	v_xor_b32_e32 v29, 0x80000000, v13
	v_mov_b32_e32 v26, v10
	v_mov_b32_e32 v28, v12
	ds_write_b128 v25, v[26:29]
; %bb.390:
	s_or_b64 exec, exec, s[10:11]
	s_waitcnt lgkmcnt(0)
	s_barrier
	s_and_saveexec_b64 s[10:11], s[56:57]
	s_cbranch_execz .LBB87_392
; %bb.391:
	v_mov_b32_e32 v30, 0
	ds_read_b128 v[26:29], v25
	ds_read_b128 v[30:33], v30 offset:512
	s_waitcnt lgkmcnt(0)
	v_mul_f64 v[34:35], v[28:29], v[32:33]
	v_mul_f64 v[32:33], v[26:27], v[32:33]
	v_fma_f64 v[26:27], v[26:27], v[30:31], -v[34:35]
	v_fma_f64 v[28:29], v[28:29], v[30:31], v[32:33]
	v_add_f64 v[10:11], v[10:11], -v[26:27]
	v_add_f64 v[12:13], v[12:13], -v[28:29]
.LBB87_392:
	s_or_b64 exec, exec, s[10:11]
	s_barrier
	s_and_saveexec_b64 s[10:11], s[56:57]
; %bb.393:
	v_xor_b32_e32 v27, 0x80000000, v11
	v_xor_b32_e32 v29, 0x80000000, v13
	v_mov_b32_e32 v26, v10
	v_mov_b32_e32 v28, v12
	ds_write_b128 v25, v[26:29]
; %bb.394:
	s_or_b64 exec, exec, s[10:11]
	s_waitcnt lgkmcnt(0)
	s_barrier
	s_barrier
	s_and_saveexec_b64 s[10:11], s[8:9]
; %bb.395:
	v_lshlrev_b32_e32 v21, 4, v21
	v_lshl_or_b32 v21, v24, 9, v21
	ds_write_b128 v21, v[10:13] offset:4096
; %bb.396:
	s_or_b64 exec, exec, s[10:11]
	s_waitcnt lgkmcnt(0)
	s_barrier
	s_barrier
	s_and_saveexec_b64 s[8:9], s[84:85]
	s_cbranch_execz .LBB87_398
; %bb.397:
	v_lshlrev_b32_e32 v21, 9, v0
	ds_read_b128 v[10:13], v21 offset:4096
	s_movk_i32 s10, 0xfe10
	v_mad_i32_i24 v24, v0, s10, v21
	s_waitcnt lgkmcnt(0)
	ds_write_b128 v24, v[10:13] offset:128
	ds_read_b128 v[10:13], v21 offset:4112
	s_waitcnt lgkmcnt(0)
	ds_write_b128 v24, v[10:13] offset:640
	ds_read_b128 v[10:13], v21 offset:4128
	;; [unrolled: 3-line block ×7, first 2 shown]
	s_waitcnt lgkmcnt(0)
	ds_write_b128 v24, v[10:13] offset:3712
.LBB87_398:
	s_or_b64 exec, exec, s[8:9]
	s_waitcnt lgkmcnt(0)
	s_barrier
	s_and_saveexec_b64 s[8:9], vcc
	s_cbranch_execz .LBB87_400
; %bb.399:
	s_mov_b32 s12, 0
	v_mov_b32_e32 v21, 0
	ds_read_b128 v[10:13], v21 offset:3680
	s_mov_b32 s15, s12
	s_mov_b32 s13, 0x3ff00000
	;; [unrolled: 1-line block ×3, first 2 shown]
	v_mov_b32_e32 v27, s15
	v_mov_b32_e32 v26, s14
	;; [unrolled: 1-line block ×4, first 2 shown]
	ds_write_b128 v21, v[24:27] offset:3168
	ds_write_b128 v21, v[24:27] offset:3696
	s_waitcnt lgkmcnt(2)
	ds_write_b128 v21, v[10:13] offset:3184
.LBB87_400:
	s_or_b64 exec, exec, s[8:9]
	v_mov_b32_e32 v10, 0
	v_mov_b32_e32 v12, 0
	;; [unrolled: 1-line block ×4, first 2 shown]
	s_waitcnt lgkmcnt(0)
	s_barrier
	buffer_wbinvl1_vol
	s_and_saveexec_b64 s[10:11], s[2:3]
	s_cbranch_execz .LBB87_404
; %bb.401:
	v_lshlrev_b32_e32 v10, 9, v15
	v_lshlrev_b32_e32 v21, 4, v14
	ds_read_b128 v[10:13], v10 offset:3168
	ds_read_b128 v[24:27], v21 offset:3136
	v_cmp_gt_u32_e64 s[8:9], 2, v17
	s_waitcnt lgkmcnt(0)
	v_mul_f64 v[28:29], v[12:13], v[26:27]
	v_mul_f64 v[26:27], v[10:11], v[26:27]
	v_fma_f64 v[10:11], v[10:11], v[24:25], -v[28:29]
	v_fma_f64 v[12:13], v[12:13], v[24:25], v[26:27]
	v_add_f64 v[10:11], v[10:11], 0
	v_add_f64 v[12:13], v[12:13], 0
	s_and_saveexec_b64 s[12:13], s[8:9]
	s_cbranch_execz .LBB87_403
; %bb.402:
	v_mov_b32_e32 v24, 0
	v_lshlrev_b32_e32 v21, 4, v0
	ds_read_b128 v[24:27], v24 offset:3696
	ds_read_b128 v[28:31], v21 offset:3648
	s_waitcnt lgkmcnt(0)
	v_mul_f64 v[32:33], v[26:27], v[30:31]
	v_mul_f64 v[30:31], v[24:25], v[30:31]
	v_fma_f64 v[24:25], v[24:25], v[28:29], -v[32:33]
	v_fma_f64 v[26:27], v[26:27], v[28:29], v[30:31]
	v_add_f64 v[10:11], v[10:11], v[24:25]
	v_add_f64 v[12:13], v[12:13], v[26:27]
.LBB87_403:
	s_or_b64 exec, exec, s[12:13]
.LBB87_404:
	s_or_b64 exec, exec, s[10:11]
	s_and_saveexec_b64 s[8:9], s[38:39]
; %bb.405:
	v_xor_b32_e32 v25, 0x80000000, v11
	v_xor_b32_e32 v27, 0x80000000, v13
	v_mov_b32_e32 v24, v10
	v_mov_b32_e32 v26, v12
	ds_write_b128 v16, v[24:27]
; %bb.406:
	s_or_b64 exec, exec, s[8:9]
	s_waitcnt lgkmcnt(0)
	s_barrier
	s_and_saveexec_b64 s[8:9], s[36:37]
	s_cbranch_execz .LBB87_408
; %bb.407:
	v_mov_b32_e32 v21, 0
	ds_read_b128 v[24:27], v16
	ds_read_b128 v[28:31], v21 offset:2624
	s_waitcnt lgkmcnt(0)
	v_mul_f64 v[32:33], v[24:25], v[28:29]
	v_mul_f64 v[24:25], v[24:25], v[30:31]
	v_fma_f64 v[30:31], v[26:27], v[30:31], -v[32:33]
	v_fma_f64 v[24:25], v[26:27], v[28:29], v[24:25]
	v_add_f64 v[10:11], v[10:11], v[30:31]
	v_add_f64 v[12:13], v[12:13], -v[24:25]
.LBB87_408:
	s_or_b64 exec, exec, s[8:9]
	s_barrier
	s_and_saveexec_b64 s[8:9], s[36:37]
; %bb.409:
	v_xor_b32_e32 v25, 0x80000000, v11
	v_xor_b32_e32 v27, 0x80000000, v13
	v_mov_b32_e32 v24, v10
	v_mov_b32_e32 v26, v12
	ds_write_b128 v16, v[24:27]
; %bb.410:
	s_or_b64 exec, exec, s[8:9]
	s_waitcnt lgkmcnt(0)
	s_barrier
	s_barrier
	s_and_saveexec_b64 s[8:9], s[2:3]
; %bb.411:
	v_lshlrev_b32_e32 v21, 4, v14
	v_lshl_or_b32 v21, v15, 9, v21
	ds_write_b128 v21, v[10:13] offset:3136
; %bb.412:
	s_or_b64 exec, exec, s[8:9]
	s_waitcnt lgkmcnt(0)
	s_barrier
	s_barrier
	s_and_saveexec_b64 s[8:9], s[40:41]
	s_cbranch_execz .LBB87_414
; %bb.413:
	v_lshlrev_b32_e32 v21, 9, v0
	ds_read_b128 v[10:13], v21 offset:3136
	s_movk_i32 s10, 0xfe10
	v_mad_i32_i24 v24, v0, s10, v21
	s_waitcnt lgkmcnt(0)
	ds_write_b128 v24, v[10:13] offset:2144
	ds_read_b128 v[10:13], v21 offset:3152
	s_waitcnt lgkmcnt(0)
	ds_write_b128 v24, v[10:13] offset:2656
.LBB87_414:
	s_or_b64 exec, exec, s[8:9]
	s_waitcnt lgkmcnt(0)
	s_barrier
	s_and_saveexec_b64 s[8:9], vcc
	s_cbranch_execz .LBB87_416
; %bb.415:
	s_mov_b32 s12, 0
	v_mov_b32_e32 v21, 0
	ds_read_b128 v[10:13], v21 offset:2624
	s_mov_b32 s15, s12
	s_mov_b32 s13, 0x3ff00000
	;; [unrolled: 1-line block ×3, first 2 shown]
	v_mov_b32_e32 v27, s15
	v_mov_b32_e32 v26, s14
	;; [unrolled: 1-line block ×4, first 2 shown]
	ds_write_b128 v21, v[24:27] offset:2112
	ds_write_b128 v21, v[24:27] offset:2640
	s_waitcnt lgkmcnt(2)
	ds_write_b128 v21, v[10:13] offset:2128
.LBB87_416:
	s_or_b64 exec, exec, s[8:9]
	v_mov_b32_e32 v12, 0
	v_mov_b32_e32 v10, 0
	;; [unrolled: 1-line block ×4, first 2 shown]
	s_waitcnt lgkmcnt(0)
	s_barrier
	buffer_wbinvl1_vol
	s_and_saveexec_b64 s[10:11], s[16:17]
	s_cbranch_execz .LBB87_422
; %bb.417:
	v_lshlrev_b32_e32 v24, 9, v19
	v_lshlrev_b32_e32 v21, 4, v18
	ds_read_b128 v[10:13], v24 offset:2112
	ds_read_b128 v[25:28], v21 offset:2048
	v_cmp_gt_u32_e64 s[8:9], 12, v17
	s_waitcnt lgkmcnt(0)
	v_mul_f64 v[29:30], v[12:13], v[27:28]
	v_mul_f64 v[27:28], v[10:11], v[27:28]
	v_fma_f64 v[10:11], v[10:11], v[25:26], -v[29:30]
	v_fma_f64 v[12:13], v[12:13], v[25:26], v[27:28]
	v_add_f64 v[10:11], v[10:11], 0
	v_add_f64 v[12:13], v[12:13], 0
	s_and_saveexec_b64 s[12:13], s[8:9]
	s_cbranch_execnz .LBB87_541
; %bb.418:
	s_or_b64 exec, exec, s[12:13]
	v_cmp_gt_u32_e64 s[8:9], 8, v17
	s_and_saveexec_b64 s[12:13], s[8:9]
	s_cbranch_execnz .LBB87_542
.LBB87_419:
	s_or_b64 exec, exec, s[12:13]
	v_cmp_gt_u32_e64 s[8:9], 4, v17
	s_and_saveexec_b64 s[12:13], s[8:9]
	s_cbranch_execz .LBB87_421
.LBB87_420:
	v_mov_b32_e32 v24, 0
	v_lshlrev_b32_e32 v21, 4, v0
	ds_read_b128 v[24:27], v24 offset:3696
	ds_read_b128 v[28:31], v21 offset:3584
	s_waitcnt lgkmcnt(0)
	v_mul_f64 v[32:33], v[26:27], v[30:31]
	v_mul_f64 v[30:31], v[24:25], v[30:31]
	v_fma_f64 v[24:25], v[24:25], v[28:29], -v[32:33]
	v_fma_f64 v[26:27], v[26:27], v[28:29], v[30:31]
	v_add_f64 v[10:11], v[10:11], v[24:25]
	v_add_f64 v[12:13], v[12:13], v[26:27]
.LBB87_421:
	s_or_b64 exec, exec, s[12:13]
.LBB87_422:
	s_or_b64 exec, exec, s[10:11]
	s_and_saveexec_b64 s[8:9], s[44:45]
; %bb.423:
	v_xor_b32_e32 v27, 0x80000000, v13
	v_xor_b32_e32 v25, 0x80000000, v11
	v_mov_b32_e32 v24, v10
	v_mov_b32_e32 v26, v12
	ds_write_b128 v20, v[24:27]
; %bb.424:
	s_or_b64 exec, exec, s[8:9]
	s_waitcnt lgkmcnt(0)
	s_barrier
	s_and_saveexec_b64 s[8:9], s[46:47]
	s_load_dword s44, s[4:5], 0x74
	s_cbranch_execz .LBB87_426
; %bb.425:
	v_lshlrev_b32_e32 v21, 4, v18
	ds_read_b128 v[24:27], v20
	ds_read_b128 v[28:31], v21 offset:1536
	s_waitcnt lgkmcnt(0)
	v_mul_f64 v[32:33], v[26:27], v[30:31]
	v_mul_f64 v[30:31], v[24:25], v[30:31]
	v_fma_f64 v[24:25], v[24:25], v[28:29], -v[32:33]
	v_fma_f64 v[26:27], v[26:27], v[28:29], v[30:31]
	v_add_f64 v[10:11], v[10:11], -v[24:25]
	v_add_f64 v[12:13], v[12:13], -v[26:27]
.LBB87_426:
	s_or_b64 exec, exec, s[8:9]
	s_waitcnt lgkmcnt(0)
	s_barrier
	s_and_saveexec_b64 s[8:9], s[48:49]
; %bb.427:
	v_xor_b32_e32 v27, 0x80000000, v13
	v_xor_b32_e32 v25, 0x80000000, v11
	v_mov_b32_e32 v24, v10
	v_mov_b32_e32 v26, v12
	ds_write_b128 v20, v[24:27]
; %bb.428:
	s_or_b64 exec, exec, s[8:9]
	s_waitcnt lgkmcnt(0)
	s_barrier
	s_and_saveexec_b64 s[8:9], s[50:51]
	s_cbranch_execz .LBB87_430
; %bb.429:
	v_lshlrev_b32_e32 v21, 4, v18
	ds_read_b128 v[24:27], v20
	ds_read_b128 v[28:31], v21 offset:1024
	s_waitcnt lgkmcnt(0)
	v_mul_f64 v[32:33], v[26:27], v[30:31]
	v_mul_f64 v[30:31], v[24:25], v[30:31]
	v_fma_f64 v[24:25], v[24:25], v[28:29], -v[32:33]
	v_fma_f64 v[26:27], v[26:27], v[28:29], v[30:31]
	v_add_f64 v[10:11], v[10:11], -v[24:25]
	v_add_f64 v[12:13], v[12:13], -v[26:27]
.LBB87_430:
	s_or_b64 exec, exec, s[8:9]
	s_barrier
	s_and_saveexec_b64 s[8:9], s[52:53]
; %bb.431:
	v_xor_b32_e32 v27, 0x80000000, v13
	v_xor_b32_e32 v25, 0x80000000, v11
	v_mov_b32_e32 v24, v10
	v_mov_b32_e32 v26, v12
	ds_write_b128 v20, v[24:27]
; %bb.432:
	s_or_b64 exec, exec, s[8:9]
	s_waitcnt lgkmcnt(0)
	s_barrier
	s_and_saveexec_b64 s[8:9], s[42:43]
	s_cbranch_execz .LBB87_434
; %bb.433:
	v_mov_b32_e32 v21, 0
	ds_read_b128 v[24:27], v20
	ds_read_b128 v[28:31], v21 offset:512
	s_waitcnt lgkmcnt(0)
	v_mul_f64 v[32:33], v[26:27], v[30:31]
	v_mul_f64 v[30:31], v[24:25], v[30:31]
	v_fma_f64 v[24:25], v[24:25], v[28:29], -v[32:33]
	v_fma_f64 v[26:27], v[26:27], v[28:29], v[30:31]
	v_add_f64 v[10:11], v[10:11], -v[24:25]
	v_add_f64 v[12:13], v[12:13], -v[26:27]
.LBB87_434:
	s_or_b64 exec, exec, s[8:9]
	s_barrier
	s_and_saveexec_b64 s[8:9], s[42:43]
; %bb.435:
	v_xor_b32_e32 v27, 0x80000000, v13
	v_xor_b32_e32 v25, 0x80000000, v11
	v_mov_b32_e32 v24, v10
	v_mov_b32_e32 v26, v12
	ds_write_b128 v20, v[24:27]
; %bb.436:
	s_or_b64 exec, exec, s[8:9]
	s_waitcnt lgkmcnt(0)
	s_barrier
	s_barrier
	s_and_saveexec_b64 s[8:9], s[16:17]
; %bb.437:
	v_lshlrev_b32_e32 v18, 4, v18
	v_lshl_or_b32 v18, v19, 9, v18
	ds_write_b128 v18, v[10:13] offset:2048
; %bb.438:
	s_or_b64 exec, exec, s[8:9]
	s_waitcnt lgkmcnt(0)
	s_barrier
	s_barrier
	s_and_saveexec_b64 s[8:9], s[54:55]
	s_cbranch_execz .LBB87_440
; %bb.439:
	v_lshlrev_b32_e32 v18, 4, v0
	s_movk_i32 s10, 0x1f0
	v_mad_u32_u24 v19, v0, s10, v18
	ds_read_b128 v[10:13], v19 offset:2048
	s_waitcnt lgkmcnt(0)
	ds_write_b128 v18, v[10:13] offset:64
	ds_read_b128 v[10:13], v19 offset:2064
	s_waitcnt lgkmcnt(0)
	ds_write_b128 v18, v[10:13] offset:576
	;; [unrolled: 3-line block ×4, first 2 shown]
.LBB87_440:
	s_or_b64 exec, exec, s[8:9]
	s_waitcnt lgkmcnt(0)
	s_barrier
	s_and_saveexec_b64 s[8:9], vcc
	s_cbranch_execz .LBB87_442
; %bb.441:
	s_mov_b32 s12, 0
	v_mov_b32_e32 v24, 0
	ds_read_b128 v[10:13], v24 offset:1568
	s_mov_b32 s15, s12
	s_mov_b32 s13, 0x3ff00000
	;; [unrolled: 1-line block ×3, first 2 shown]
	v_mov_b32_e32 v21, s15
	v_mov_b32_e32 v20, s14
	;; [unrolled: 1-line block ×4, first 2 shown]
	ds_write_b128 v24, v[18:21] offset:1056
	ds_write_b128 v24, v[18:21] offset:1584
	s_waitcnt lgkmcnt(2)
	ds_write_b128 v24, v[10:13] offset:1072
.LBB87_442:
	s_or_b64 exec, exec, s[8:9]
	v_mov_b32_e32 v10, 0
	v_mov_b32_e32 v12, 0
	;; [unrolled: 1-line block ×4, first 2 shown]
	s_waitcnt lgkmcnt(0)
	s_barrier
	buffer_wbinvl1_vol
	s_and_saveexec_b64 s[10:11], s[2:3]
	s_cbranch_execz .LBB87_446
; %bb.443:
	v_lshlrev_b32_e32 v18, 4, v14
	v_lshlrev_b32_e32 v10, 9, v15
	ds_read_b128 v[10:13], v10 offset:1056
	ds_read_b128 v[18:21], v18 offset:1024
	v_cmp_gt_u32_e64 s[8:9], 2, v17
	s_waitcnt lgkmcnt(0)
	v_mul_f64 v[24:25], v[12:13], v[20:21]
	v_mul_f64 v[20:21], v[10:11], v[20:21]
	v_fma_f64 v[10:11], v[10:11], v[18:19], -v[24:25]
	v_fma_f64 v[12:13], v[12:13], v[18:19], v[20:21]
	v_add_f64 v[10:11], v[10:11], 0
	v_add_f64 v[12:13], v[12:13], 0
	s_and_saveexec_b64 s[12:13], s[8:9]
	s_cbranch_execz .LBB87_445
; %bb.444:
	v_mov_b32_e32 v17, 0
	v_lshlrev_b32_e32 v21, 4, v0
	ds_read_b128 v[17:20], v17 offset:1584
	ds_read_b128 v[24:27], v21 offset:1536
	s_waitcnt lgkmcnt(0)
	v_mul_f64 v[28:29], v[19:20], v[26:27]
	v_mul_f64 v[26:27], v[17:18], v[26:27]
	v_fma_f64 v[17:18], v[17:18], v[24:25], -v[28:29]
	v_fma_f64 v[19:20], v[19:20], v[24:25], v[26:27]
	v_add_f64 v[10:11], v[10:11], v[17:18]
	v_add_f64 v[12:13], v[12:13], v[19:20]
.LBB87_445:
	s_or_b64 exec, exec, s[12:13]
.LBB87_446:
	s_or_b64 exec, exec, s[10:11]
	s_and_saveexec_b64 s[8:9], s[38:39]
; %bb.447:
	v_xor_b32_e32 v18, 0x80000000, v11
	v_xor_b32_e32 v20, 0x80000000, v13
	v_mov_b32_e32 v17, v10
	v_mov_b32_e32 v19, v12
	ds_write_b128 v16, v[17:20]
; %bb.448:
	s_or_b64 exec, exec, s[8:9]
	s_waitcnt lgkmcnt(0)
	s_barrier
	s_and_saveexec_b64 s[8:9], s[36:37]
	s_cbranch_execz .LBB87_450
; %bb.449:
	v_mov_b32_e32 v21, 0
	ds_read_b128 v[17:20], v16
	ds_read_b128 v[24:27], v21 offset:512
	s_waitcnt lgkmcnt(0)
	v_mul_f64 v[28:29], v[17:18], v[24:25]
	v_mul_f64 v[17:18], v[17:18], v[26:27]
	v_fma_f64 v[26:27], v[19:20], v[26:27], -v[28:29]
	v_fma_f64 v[17:18], v[19:20], v[24:25], v[17:18]
	v_add_f64 v[10:11], v[10:11], v[26:27]
	v_add_f64 v[12:13], v[12:13], -v[17:18]
.LBB87_450:
	s_or_b64 exec, exec, s[8:9]
	s_barrier
	s_and_saveexec_b64 s[8:9], s[36:37]
; %bb.451:
	v_xor_b32_e32 v18, 0x80000000, v11
	v_xor_b32_e32 v20, 0x80000000, v13
	v_mov_b32_e32 v17, v10
	v_mov_b32_e32 v19, v12
	ds_write_b128 v16, v[17:20]
; %bb.452:
	s_or_b64 exec, exec, s[8:9]
	s_waitcnt lgkmcnt(0)
	s_barrier
	s_barrier
	s_and_saveexec_b64 s[8:9], s[2:3]
; %bb.453:
	v_lshlrev_b32_e32 v14, 4, v14
	v_lshl_or_b32 v14, v15, 9, v14
	ds_write_b128 v14, v[10:13] offset:1024
; %bb.454:
	s_or_b64 exec, exec, s[8:9]
	s_waitcnt lgkmcnt(0)
	s_barrier
	s_barrier
	s_and_saveexec_b64 s[2:3], s[40:41]
	s_cbranch_execz .LBB87_456
; %bb.455:
	v_lshlrev_b32_e32 v14, 9, v0
	ds_read_b128 v[10:13], v14 offset:1024
	s_movk_i32 s8, 0xfe10
	v_mad_i32_i24 v15, v0, s8, v14
	s_waitcnt lgkmcnt(0)
	ds_write_b128 v15, v[10:13] offset:32
	ds_read_b128 v[10:13], v14 offset:1040
	s_waitcnt lgkmcnt(0)
	ds_write_b128 v15, v[10:13] offset:544
.LBB87_456:
	s_or_b64 exec, exec, s[2:3]
	s_waitcnt lgkmcnt(0)
	s_barrier
	s_and_saveexec_b64 s[2:3], vcc
	s_cbranch_execz .LBB87_458
; %bb.457:
	s_mov_b32 s8, 0
	v_mov_b32_e32 v18, 0
	ds_read_b128 v[10:13], v18 offset:512
	s_mov_b32 s11, s8
	s_mov_b32 s9, 0x3ff00000
	s_mov_b32 s10, s8
	v_mov_b32_e32 v17, s11
	v_mov_b32_e32 v16, s10
	;; [unrolled: 1-line block ×4, first 2 shown]
	ds_write_b128 v18, v[14:17]
	ds_write_b128 v18, v[14:17] offset:528
	s_waitcnt lgkmcnt(2)
	ds_write_b128 v18, v[10:13] offset:16
.LBB87_458:
	s_or_b64 exec, exec, s[2:3]
.LBB87_459:
	s_load_dwordx4 s[16:19], s[4:5], 0x48
	s_load_dwordx2 s[14:15], s[4:5], 0x58
	v_cmp_le_i32_e32 vcc, s7, v0
	v_mov_b32_e32 v10, 0
	v_mov_b32_e32 v11, 0
	s_waitcnt lgkmcnt(0)
	s_mul_i32 s3, s19, s34
	s_mul_hi_u32 s4, s18, s34
	s_mul_i32 s2, s18, s34
	s_add_i32 s3, s4, s3
	s_lshl_b64 s[2:3], s[2:3], 4
	s_add_u32 s4, s28, s2
	s_addc_u32 s5, s29, s3
	s_lshl_b64 s[2:3], s[30:31], 4
	s_add_u32 s28, s4, s2
	s_addc_u32 s29, s5, s3
	s_and_b64 s[18:19], vcc, s[22:23]
	v_cmp_eq_u32_e64 s[2:3], 0, v1
	s_xor_b64 s[4:5], s[18:19], -1
	v_mov_b32_e32 v13, v11
	s_and_b64 s[8:9], s[2:3], s[4:5]
	v_lshl_add_u32 v14, s6, 5, v0
	v_mov_b32_e32 v12, v10
	s_barrier
	s_and_saveexec_b64 s[4:5], s[8:9]
	s_cbranch_execz .LBB87_461
; %bb.460:
	v_ashrrev_i32_e32 v12, 31, v14
	v_mul_lo_u32 v13, s17, v14
	v_mad_u64_u32 v[10:11], s[8:9], s16, v14, 0
	v_mul_lo_u32 v12, s16, v12
	v_add3_u32 v11, v11, v12, v13
	v_lshlrev_b64 v[10:11], 4, v[10:11]
	v_mov_b32_e32 v12, s29
	v_add_co_u32_e32 v10, vcc, s28, v10
	v_addc_co_u32_e32 v11, vcc, v12, v11, vcc
	global_load_dwordx4 v[15:18], v[10:11], off
	s_waitcnt vmcnt(0)
	v_mul_f64 v[10:11], s[24:25], v[15:16]
	v_mul_f64 v[12:13], s[24:25], v[17:18]
	v_fma_f64 v[10:11], s[26:27], v[17:18], -v[10:11]
	v_fma_f64 v[12:13], v[15:16], -s[26:27], -v[12:13]
.LBB87_461:
	s_or_b64 exec, exec, s[4:5]
	s_and_b32 s4, 0xffff, s44
	v_mad_u32_u24 v24, v1, s4, v0
	v_mov_b32_e32 v15, 0
	s_cmp_lt_i32 s6, 1
	v_cmp_eq_u32_e64 s[4:5], 0, v24
	s_cbranch_scc1 .LBB87_484
; %bb.462:
	v_mad_u64_u32 v[16:17], s[8:9], s20, v14, 0
	s_mov_b32 s26, 0
	v_cmp_gt_u32_e64 s[12:13], 32, v24
	v_mad_u64_u32 v[17:18], s[8:9], s21, v14, v[17:18]
	s_lshl_b64 s[8:9], s[34:35], 2
	s_add_u32 s20, s14, s8
	v_lshlrev_b64 v[16:17], 4, v[16:17]
	s_addc_u32 s21, s15, s9
	v_mov_b32_e32 v18, 0x6000
	v_cmp_gt_i32_e64 s[8:9], s33, v14
	v_mov_b32_e32 v14, s91
	v_add_co_u32_e32 v27, vcc, s90, v16
	v_lshl_add_u32 v25, v24, 4, v18
	v_lshl_or_b32 v26, v1, 4, v18
	s_add_i32 s27, s6, -1
	v_addc_co_u32_e32 v28, vcc, v14, v17, vcc
	v_mov_b32_e32 v29, -1
	s_branch .LBB87_465
.LBB87_463:                             ;   in Loop: Header=BB87_465 Depth=1
	ds_read_b128 v[30:33], v26 offset:256
	s_waitcnt vmcnt(0) lgkmcnt(0)
	v_mul_f64 v[16:17], v[20:21], v[32:33]
	v_mul_f64 v[20:21], v[20:21], v[30:31]
	v_fma_f64 v[16:17], v[18:19], v[30:31], v[16:17]
	v_fma_f64 v[18:19], v[18:19], v[32:33], -v[20:21]
	v_add_f64 v[10:11], v[10:11], v[16:17]
	v_add_f64 v[12:13], v[12:13], v[18:19]
.LBB87_464:                             ;   in Loop: Header=BB87_465 Depth=1
	s_or_b64 exec, exec, s[24:25]
	s_add_i32 s26, s26, 1
	s_cmp_eq_u32 s26, s6
	s_cbranch_scc1 .LBB87_484
.LBB87_465:                             ; =>This Loop Header: Depth=1
                                        ;     Child Loop BB87_467 Depth 2
	v_cmp_gt_i32_e32 vcc, s26, v29
	s_and_b64 s[24:25], s[4:5], vcc
	s_and_saveexec_b64 s[10:11], s[24:25]
	s_cbranch_execz .LBB87_468
; %bb.466:                              ;   in Loop: Header=BB87_465 Depth=1
	global_load_dword v29, v15, s[20:21]
	s_waitcnt vmcnt(0)
	v_cmp_le_i32_e32 vcc, s26, v29
	s_cbranch_vccnz .LBB87_468
.LBB87_467:                             ;   Parent Loop BB87_465 Depth=1
                                        ; =>  This Inner Loop Header: Depth=2
	buffer_wbinvl1_vol
	global_load_dword v29, v15, s[20:21]
	s_waitcnt vmcnt(0)
	v_cmp_gt_i32_e32 vcc, s26, v29
	s_cbranch_vccnz .LBB87_467
.LBB87_468:                             ;   in Loop: Header=BB87_465 Depth=1
	s_or_b64 exec, exec, s[10:11]
	s_lshl_b32 s30, s26, 5
	buffer_wbinvl1_vol
	s_barrier
	s_and_saveexec_b64 s[10:11], s[12:13]
	s_cbranch_execz .LBB87_473
; %bb.469:                              ;   in Loop: Header=BB87_465 Depth=1
	v_or_b32_e32 v14, s30, v24
	v_cmp_le_i32_e32 vcc, s33, v14
	s_and_saveexec_b64 s[24:25], vcc
	s_xor_b64 s[24:25], exec, s[24:25]
; %bb.470:                              ;   in Loop: Header=BB87_465 Depth=1
	v_mov_b32_e32 v14, v15
	v_mov_b32_e32 v16, v15
	;; [unrolled: 1-line block ×3, first 2 shown]
	ds_write_b128 v25, v[14:17]
                                        ; implicit-def: $vgpr14
; %bb.471:                              ;   in Loop: Header=BB87_465 Depth=1
	s_andn2_saveexec_b64 s[24:25], s[24:25]
	s_cbranch_execz .LBB87_473
; %bb.472:                              ;   in Loop: Header=BB87_465 Depth=1
	v_mad_u64_u32 v[16:17], s[24:25], s16, v14, 0
	v_mad_u64_u32 v[17:18], s[24:25], s17, v14, v[17:18]
	v_mov_b32_e32 v14, s29
	v_lshlrev_b64 v[16:17], 4, v[16:17]
	v_add_co_u32_e32 v16, vcc, s28, v16
	v_addc_co_u32_e32 v17, vcc, v14, v17, vcc
	global_load_dwordx4 v[16:19], v[16:17], off
	s_waitcnt vmcnt(0)
	ds_write2_b64 v25, v[16:17], v[18:19] offset1:1
.LBB87_473:                             ;   in Loop: Header=BB87_465 Depth=1
	s_or_b64 exec, exec, s[10:11]
	v_add_u32_e32 v14, s30, v1
	v_lshlrev_b64 v[16:17], 4, v[14:15]
	s_cmp_lg_u32 s26, s27
	v_add_co_u32_e32 v16, vcc, v27, v16
	s_cselect_b64 s[10:11], -1, 0
	v_addc_co_u32_e32 v17, vcc, v28, v17, vcc
	v_cmp_gt_i32_e32 vcc, s33, v14
	v_cndmask_b32_e64 v18, 0, 1, s[10:11]
	s_and_b64 s[30:31], vcc, s[8:9]
	v_cmp_ne_u32_e64 s[10:11], 1, v18
	s_waitcnt lgkmcnt(0)
	s_barrier
	s_and_saveexec_b64 s[24:25], s[30:31]
	s_cbranch_execz .LBB87_479
; %bb.474:                              ;   in Loop: Header=BB87_465 Depth=1
	v_mov_b32_e32 v19, v7
	s_and_b64 vcc, exec, s[10:11]
	v_mov_b32_e32 v18, v6
	s_cbranch_vccnz .LBB87_476
; %bb.475:                              ;   in Loop: Header=BB87_465 Depth=1
	global_load_dwordx2 v[18:19], v[16:17], off
.LBB87_476:                             ;   in Loop: Header=BB87_465 Depth=1
	v_mov_b32_e32 v21, v9
	s_and_b64 vcc, exec, s[10:11]
	v_mov_b32_e32 v20, v8
	s_cbranch_vccnz .LBB87_478
; %bb.477:                              ;   in Loop: Header=BB87_465 Depth=1
	global_load_dwordx2 v[20:21], v[16:17], off offset:8
.LBB87_478:                             ;   in Loop: Header=BB87_465 Depth=1
	ds_read_b128 v[30:33], v26
	s_waitcnt vmcnt(0) lgkmcnt(0)
	v_mul_f64 v[34:35], v[20:21], v[32:33]
	v_mul_f64 v[20:21], v[20:21], v[30:31]
	v_fma_f64 v[30:31], v[18:19], v[30:31], v[34:35]
	v_fma_f64 v[18:19], v[18:19], v[32:33], -v[20:21]
	v_add_f64 v[10:11], v[10:11], v[30:31]
	v_add_f64 v[12:13], v[12:13], v[18:19]
.LBB87_479:                             ;   in Loop: Header=BB87_465 Depth=1
	s_or_b64 exec, exec, s[24:25]
	v_add_u32_e32 v14, 16, v14
	v_cmp_gt_i32_e32 vcc, s33, v14
	s_and_b64 s[30:31], vcc, s[8:9]
	s_and_saveexec_b64 s[24:25], s[30:31]
	s_cbranch_execz .LBB87_464
; %bb.480:                              ;   in Loop: Header=BB87_465 Depth=1
	v_mov_b32_e32 v19, v3
	s_and_b64 vcc, exec, s[10:11]
	v_mov_b32_e32 v18, v2
	s_cbranch_vccnz .LBB87_482
; %bb.481:                              ;   in Loop: Header=BB87_465 Depth=1
	global_load_dwordx2 v[18:19], v[16:17], off offset:256
.LBB87_482:                             ;   in Loop: Header=BB87_465 Depth=1
	v_mov_b32_e32 v21, v5
	s_and_b64 vcc, exec, s[10:11]
	v_mov_b32_e32 v20, v4
	s_cbranch_vccnz .LBB87_463
; %bb.483:                              ;   in Loop: Header=BB87_465 Depth=1
	global_load_dwordx2 v[20:21], v[16:17], off offset:264
	s_branch .LBB87_463
.LBB87_484:
	s_xor_b64 s[4:5], s[22:23], -1
	v_lshlrev_b32_e32 v6, 4, v23
	ds_write_b128 v6, v[10:13] offset:16384
	s_waitcnt lgkmcnt(0)
	s_barrier
	s_and_saveexec_b64 s[8:9], s[2:3]
	s_cbranch_execz .LBB87_486
; %bb.485:
	v_lshlrev_b32_e32 v18, 4, v0
	ds_read_b128 v[2:5], v18 offset:16896
	ds_read_b128 v[14:17], v18 offset:17408
	s_waitcnt lgkmcnt(1)
	v_add_f64 v[2:3], v[10:11], v[2:3]
	v_add_f64 v[4:5], v[12:13], v[4:5]
	s_waitcnt lgkmcnt(0)
	v_add_f64 v[11:12], v[2:3], v[14:15]
	v_add_f64 v[13:14], v[4:5], v[16:17]
	ds_read_b128 v[2:5], v18 offset:17920
	ds_read_b128 v[7:10], v18 offset:18432
	s_waitcnt lgkmcnt(1)
	v_add_f64 v[2:3], v[11:12], v[2:3]
	v_add_f64 v[4:5], v[13:14], v[4:5]
	s_waitcnt lgkmcnt(0)
	v_add_f64 v[11:12], v[2:3], v[7:8]
	v_add_f64 v[13:14], v[4:5], v[9:10]
	;; [unrolled: 8-line block ×7, first 2 shown]
	ds_read_b128 v[2:5], v18 offset:24064
	s_waitcnt lgkmcnt(0)
	v_add_f64 v[2:3], v[7:8], v[2:3]
	v_add_f64 v[4:5], v[9:10], v[4:5]
	v_xor_b32_e32 v3, 0x80000000, v3
	v_xor_b32_e32 v5, 0x80000000, v5
	v_cndmask_b32_e64 v10, v2, 0, s[18:19]
	v_cndmask_b32_e64 v11, v3, 0, s[18:19]
	;; [unrolled: 1-line block ×4, first 2 shown]
.LBB87_486:
	s_or_b64 exec, exec, s[8:9]
	s_and_b64 vcc, exec, s[0:1]
	s_cbranch_vccnz .LBB87_495
; %bb.487:
	v_mov_b32_e32 v2, 0x6000
	v_lshl_or_b32 v7, v1, 4, v2
	s_and_saveexec_b64 s[0:1], s[2:3]
; %bb.488:
	v_lshl_add_u32 v2, v0, 4, v7
	ds_write_b128 v2, v[10:13]
; %bb.489:
	s_or_b64 exec, exec, s[0:1]
	v_mov_b32_e32 v2, 0
	v_mov_b32_e32 v4, 0
	;; [unrolled: 1-line block ×4, first 2 shown]
	v_cmp_le_u32_e32 vcc, v1, v0
	s_waitcnt lgkmcnt(0)
	s_barrier
	s_and_saveexec_b64 s[0:1], vcc
	s_cbranch_execz .LBB87_491
; %bb.490:
	ds_read_b128 v[2:5], v7
	ds_read_b128 v[14:17], v6
	s_waitcnt lgkmcnt(0)
	v_mul_f64 v[8:9], v[4:5], v[16:17]
	v_mul_f64 v[16:17], v[2:3], v[16:17]
	v_fma_f64 v[2:3], v[2:3], v[14:15], -v[8:9]
	v_fma_f64 v[4:5], v[4:5], v[14:15], v[16:17]
	v_add_f64 v[2:3], v[2:3], 0
	v_add_f64 v[4:5], v[4:5], 0
.LBB87_491:
	s_or_b64 exec, exec, s[0:1]
	v_add_u32_e32 v1, 16, v1
	v_add_u32_e32 v8, 0x4000, v6
	v_cmp_ge_u32_e32 vcc, v0, v1
	s_and_saveexec_b64 s[0:1], vcc
	s_cbranch_execz .LBB87_493
; %bb.492:
	ds_read_b128 v[14:17], v7 offset:256
	ds_read_b128 v[18:21], v6 offset:8192
	s_waitcnt lgkmcnt(0)
	v_mul_f64 v[6:7], v[16:17], v[20:21]
	v_mul_f64 v[20:21], v[14:15], v[20:21]
	v_fma_f64 v[6:7], v[14:15], v[18:19], -v[6:7]
	v_fma_f64 v[14:15], v[16:17], v[18:19], v[20:21]
	v_add_f64 v[2:3], v[2:3], v[6:7]
	v_add_f64 v[4:5], v[4:5], v[14:15]
.LBB87_493:
	s_or_b64 exec, exec, s[0:1]
	s_mov_b64 s[8:9], 0
	s_mov_b64 s[0:1], 0
	ds_write_b128 v8, v[2:5]
	s_waitcnt lgkmcnt(0)
	s_barrier
                                        ; implicit-def: $vgpr8_vgpr9
                                        ; implicit-def: $vgpr14_vgpr15
                                        ; implicit-def: $vgpr6_vgpr7
	s_and_saveexec_b64 s[10:11], s[2:3]
	s_cbranch_execz .LBB87_508
; %bb.494:
	v_lshlrev_b32_e32 v18, 4, v0
	ds_read_b128 v[6:9], v18 offset:16896
	ds_read_b128 v[14:17], v18 offset:17408
	s_mov_b64 s[0:1], exec
	s_waitcnt lgkmcnt(1)
	v_add_f64 v[1:2], v[2:3], v[6:7]
	v_add_f64 v[3:4], v[4:5], v[8:9]
	s_waitcnt lgkmcnt(0)
	v_add_f64 v[14:15], v[1:2], v[14:15]
	v_add_f64 v[16:17], v[3:4], v[16:17]
	ds_read_b128 v[1:4], v18 offset:17920
	ds_read_b128 v[5:8], v18 offset:18432
	s_waitcnt lgkmcnt(1)
	v_add_f64 v[1:2], v[14:15], v[1:2]
	v_add_f64 v[3:4], v[16:17], v[3:4]
	s_waitcnt lgkmcnt(0)
	v_add_f64 v[14:15], v[1:2], v[5:6]
	v_add_f64 v[16:17], v[3:4], v[7:8]
	ds_read_b128 v[1:4], v18 offset:18944
	ds_read_b128 v[5:8], v18 offset:19456
	;; [unrolled: 8-line block ×6, first 2 shown]
	s_waitcnt lgkmcnt(1)
	v_add_f64 v[1:2], v[14:15], v[1:2]
	v_add_f64 v[3:4], v[16:17], v[3:4]
	s_waitcnt lgkmcnt(0)
	v_add_f64 v[14:15], v[1:2], v[5:6]
	v_add_f64 v[8:9], v[3:4], v[7:8]
	ds_read_b128 v[1:4], v18 offset:24064
	v_lshl_add_u32 v5, s6, 5, v24
	v_mad_u64_u32 v[6:7], s[12:13], s16, v5, 0
	s_waitcnt lgkmcnt(0)
	v_add_f64 v[14:15], v[14:15], v[1:2]
	v_add_f64 v[8:9], v[8:9], v[3:4]
	v_mov_b32_e32 v1, v7
	v_mad_u64_u32 v[1:2], s[12:13], s17, v5, v[1:2]
	v_mov_b32_e32 v7, v1
	s_or_b64 exec, exec, s[10:11]
	s_and_b64 vcc, exec, s[8:9]
	s_cbranch_vccnz .LBB87_496
	s_branch .LBB87_509
.LBB87_495:
	s_mov_b64 s[0:1], 0
                                        ; implicit-def: $vgpr8_vgpr9
                                        ; implicit-def: $vgpr14_vgpr15
                                        ; implicit-def: $vgpr6_vgpr7
	s_cbranch_execz .LBB87_509
.LBB87_496:
	s_mov_b32 s10, 0
	v_mov_b32_e32 v1, 0
	v_mov_b32_e32 v2, v0
	s_branch .LBB87_498
.LBB87_497:                             ;   in Loop: Header=BB87_498 Depth=1
	s_or_b64 exec, exec, s[8:9]
	s_add_i32 s10, s10, 2
	v_add_u32_e32 v22, 0x400, v22
	s_cmp_lg_u32 s10, 32
	v_add_u32_e32 v2, -2, v2
	s_barrier
	s_cbranch_scc0 .LBB87_506
.LBB87_498:                             ; =>This Inner Loop Header: Depth=1
	v_cmp_eq_u32_e32 vcc, 0, v2
	s_and_b64 s[12:13], s[2:3], vcc
	s_and_saveexec_b64 s[8:9], s[12:13]
; %bb.499:                              ;   in Loop: Header=BB87_498 Depth=1
	ds_write_b128 v1, v[10:13] offset:25088
; %bb.500:                              ;   in Loop: Header=BB87_498 Depth=1
	s_or_b64 exec, exec, s[8:9]
	v_cmp_lt_u32_e32 vcc, s10, v0
	s_and_b64 s[12:13], s[2:3], vcc
	s_waitcnt lgkmcnt(0)
	s_barrier
	s_and_saveexec_b64 s[8:9], s[12:13]
	s_cbranch_execz .LBB87_502
; %bb.501:                              ;   in Loop: Header=BB87_498 Depth=1
	ds_read_b128 v[3:6], v1 offset:25088
	ds_read_b128 v[14:17], v22
	s_waitcnt lgkmcnt(0)
	v_mul_f64 v[7:8], v[5:6], v[16:17]
	v_mul_f64 v[16:17], v[3:4], v[16:17]
	v_fma_f64 v[3:4], v[3:4], v[14:15], -v[7:8]
	v_fma_f64 v[5:6], v[5:6], v[14:15], v[16:17]
	v_add_f64 v[10:11], v[10:11], v[3:4]
	v_add_f64 v[12:13], v[12:13], v[5:6]
.LBB87_502:                             ;   in Loop: Header=BB87_498 Depth=1
	s_or_b64 exec, exec, s[8:9]
	s_or_b32 s11, s10, 1
	v_cmp_eq_u32_e32 vcc, s11, v0
	s_and_b64 s[12:13], s[2:3], vcc
	s_barrier
	s_and_saveexec_b64 s[8:9], s[12:13]
; %bb.503:                              ;   in Loop: Header=BB87_498 Depth=1
	ds_write_b128 v1, v[10:13] offset:25088
; %bb.504:                              ;   in Loop: Header=BB87_498 Depth=1
	s_or_b64 exec, exec, s[8:9]
	v_cmp_lt_u32_e32 vcc, s11, v0
	s_and_b64 s[12:13], s[2:3], vcc
	s_waitcnt lgkmcnt(0)
	s_barrier
	s_and_saveexec_b64 s[8:9], s[12:13]
	s_cbranch_execz .LBB87_497
; %bb.505:                              ;   in Loop: Header=BB87_498 Depth=1
	ds_read_b128 v[3:6], v1 offset:25088
	ds_read_b128 v[14:17], v22 offset:512
	s_waitcnt lgkmcnt(0)
	v_mul_f64 v[7:8], v[5:6], v[16:17]
	v_mul_f64 v[16:17], v[3:4], v[16:17]
	v_fma_f64 v[3:4], v[3:4], v[14:15], -v[7:8]
	v_fma_f64 v[5:6], v[5:6], v[14:15], v[16:17]
	v_add_f64 v[10:11], v[10:11], v[3:4]
	v_add_f64 v[12:13], v[12:13], v[5:6]
	s_branch .LBB87_497
.LBB87_506:
	s_and_b64 vcc, exec, s[4:5]
	s_cbranch_vccz .LBB87_510
; %bb.507:
	s_and_b64 s[4:5], s[2:3], exec
	s_cbranch_execz .LBB87_511
	s_branch .LBB87_512
.LBB87_508:
	s_or_b64 exec, exec, s[10:11]
	s_and_b64 vcc, exec, s[8:9]
	s_cbranch_vccnz .LBB87_496
.LBB87_509:
	v_mov_b32_e32 v13, v9
	v_mov_b32_e32 v10, v14
	;; [unrolled: 1-line block ×4, first 2 shown]
	s_and_saveexec_b64 s[2:3], s[0:1]
	s_cbranch_execnz .LBB87_515
	s_branch .LBB87_516
.LBB87_510:
	s_mov_b64 s[4:5], 0
.LBB87_511:
	v_cmp_gt_i32_e32 vcc, s7, v0
	s_and_b64 s[2:3], s[2:3], vcc
	s_andn2_b64 s[4:5], s[4:5], exec
	s_and_b64 s[2:3], s[2:3], exec
	s_or_b64 s[4:5], s[4:5], s[2:3]
.LBB87_512:
                                        ; implicit-def: $vgpr6_vgpr7
	s_and_saveexec_b64 s[2:3], s[4:5]
	s_cbranch_execz .LBB87_514
; %bb.513:
	s_lshl_b32 s4, s6, 5
	s_ashr_i32 s5, s4, 31
	v_mov_b32_e32 v0, s5
	v_add_co_u32_e32 v1, vcc, s4, v24
	v_addc_co_u32_e32 v0, vcc, 0, v0, vcc
	v_mul_lo_u32 v0, v0, s16
	v_mul_lo_u32 v2, v1, s17
	v_mad_u64_u32 v[6:7], s[4:5], v1, s16, 0
	s_or_b64 s[0:1], s[0:1], exec
	v_add3_u32 v7, v7, v2, v0
.LBB87_514:
	s_or_b64 exec, exec, s[2:3]
	s_and_saveexec_b64 s[2:3], s[0:1]
	s_cbranch_execz .LBB87_516
.LBB87_515:
	v_lshlrev_b64 v[0:1], 4, v[6:7]
	v_mov_b32_e32 v2, s29
	v_add_co_u32_e32 v0, vcc, s28, v0
	v_addc_co_u32_e32 v1, vcc, v2, v1, vcc
	global_store_dwordx4 v[0:1], v[10:13], off
.LBB87_516:
	s_or_b64 exec, exec, s[2:3]
	v_cmp_eq_u32_e32 vcc, 0, v24
	s_waitcnt vmcnt(0)
	buffer_wbinvl1_vol
	s_barrier
	s_and_saveexec_b64 s[0:1], vcc
	s_cbranch_execz .LBB87_518
; %bb.517:
	s_lshl_b64 s[2:3], s[34:35], 2
	s_add_u32 s2, s14, s2
	s_addc_u32 s3, s15, s3
	v_mov_b32_e32 v0, 0
	global_load_dword v1, v0, s[2:3]
	s_waitcnt vmcnt(0)
	v_add_u32_e32 v1, 1, v1
	global_store_dword v0, v1, s[2:3]
.LBB87_518:
	s_or_b64 exec, exec, s[0:1]
	s_waitcnt vmcnt(0)
	buffer_wbinvl1_vol
	s_endpgm
.LBB87_519:
	ds_read_b128 v[25:28], v24 offset:14800
	ds_read_b128 v[29:32], v21 offset:15232
	s_waitcnt lgkmcnt(0)
	v_mul_f64 v[33:34], v[27:28], v[31:32]
	v_mul_f64 v[31:32], v[25:26], v[31:32]
	v_fma_f64 v[25:26], v[25:26], v[29:30], -v[33:34]
	v_fma_f64 v[27:28], v[27:28], v[29:30], v[31:32]
	v_add_f64 v[10:11], v[10:11], v[25:26]
	v_add_f64 v[12:13], v[12:13], v[27:28]
	s_or_b64 exec, exec, s[18:19]
	v_cmp_gt_u32_e64 s[12:13], 8, v17
	s_and_saveexec_b64 s[18:19], s[12:13]
	s_cbranch_execz .LBB87_57
.LBB87_520:
	ds_read_b128 v[24:27], v24 offset:14816
	ds_read_b128 v[28:31], v21 offset:15744
	s_waitcnt lgkmcnt(0)
	v_mul_f64 v[32:33], v[26:27], v[30:31]
	v_mul_f64 v[30:31], v[24:25], v[30:31]
	v_fma_f64 v[24:25], v[24:25], v[28:29], -v[32:33]
	v_fma_f64 v[26:27], v[26:27], v[28:29], v[30:31]
	v_add_f64 v[10:11], v[10:11], v[24:25]
	v_add_f64 v[12:13], v[12:13], v[26:27]
	s_or_b64 exec, exec, s[18:19]
	v_cmp_gt_u32_e64 s[12:13], 4, v17
	s_and_saveexec_b64 s[18:19], s[12:13]
	s_cbranch_execnz .LBB87_58
	s_branch .LBB87_59
.LBB87_521:
	ds_read_b128 v[28:31], v27 offset:12688
	ds_read_b128 v[32:35], v26 offset:13056
	s_waitcnt lgkmcnt(0)
	v_mul_f64 v[36:37], v[30:31], v[34:35]
	v_mul_f64 v[34:35], v[28:29], v[34:35]
	v_fma_f64 v[28:29], v[28:29], v[32:33], -v[36:37]
	v_fma_f64 v[30:31], v[30:31], v[32:33], v[34:35]
	v_add_f64 v[10:11], v[10:11], v[28:29]
	v_add_f64 v[12:13], v[12:13], v[30:31]
	s_or_b64 exec, exec, s[56:57]
	v_cmp_gt_u32_e64 s[14:15], 48, v17
	s_and_saveexec_b64 s[56:57], s[14:15]
	s_cbranch_execz .LBB87_99
.LBB87_522:
	ds_read_b128 v[28:31], v27 offset:12704
	ds_read_b128 v[32:35], v26 offset:13568
	s_waitcnt lgkmcnt(0)
	v_mul_f64 v[36:37], v[30:31], v[34:35]
	v_mul_f64 v[34:35], v[28:29], v[34:35]
	v_fma_f64 v[28:29], v[28:29], v[32:33], -v[36:37]
	v_fma_f64 v[30:31], v[30:31], v[32:33], v[34:35]
	v_add_f64 v[10:11], v[10:11], v[28:29]
	v_add_f64 v[12:13], v[12:13], v[30:31]
	s_or_b64 exec, exec, s[56:57]
	v_cmp_gt_u32_e64 s[14:15], 40, v17
	s_and_saveexec_b64 s[56:57], s[14:15]
	s_cbranch_execz .LBB87_100
.LBB87_523:
	ds_read_b128 v[28:31], v27 offset:12720
	ds_read_b128 v[32:35], v26 offset:14080
	s_waitcnt lgkmcnt(0)
	v_mul_f64 v[36:37], v[30:31], v[34:35]
	v_mul_f64 v[34:35], v[28:29], v[34:35]
	v_fma_f64 v[28:29], v[28:29], v[32:33], -v[36:37]
	v_fma_f64 v[30:31], v[30:31], v[32:33], v[34:35]
	v_add_f64 v[10:11], v[10:11], v[28:29]
	v_add_f64 v[12:13], v[12:13], v[30:31]
	s_or_b64 exec, exec, s[56:57]
	v_cmp_gt_u32_e64 s[14:15], 32, v17
	s_and_saveexec_b64 s[56:57], s[14:15]
	s_cbranch_execz .LBB87_101
.LBB87_524:
	ds_read_b128 v[28:31], v27 offset:12736
	ds_read_b128 v[32:35], v26 offset:14592
	s_waitcnt lgkmcnt(0)
	v_mul_f64 v[36:37], v[30:31], v[34:35]
	v_mul_f64 v[34:35], v[28:29], v[34:35]
	v_fma_f64 v[28:29], v[28:29], v[32:33], -v[36:37]
	v_fma_f64 v[30:31], v[30:31], v[32:33], v[34:35]
	v_add_f64 v[10:11], v[10:11], v[28:29]
	v_add_f64 v[12:13], v[12:13], v[30:31]
	s_or_b64 exec, exec, s[56:57]
	v_cmp_gt_u32_e64 s[14:15], 24, v17
	s_and_saveexec_b64 s[56:57], s[14:15]
	s_cbranch_execz .LBB87_102
.LBB87_525:
	ds_read_b128 v[28:31], v27 offset:12752
	ds_read_b128 v[32:35], v26 offset:15104
	s_waitcnt lgkmcnt(0)
	v_mul_f64 v[36:37], v[30:31], v[34:35]
	v_mul_f64 v[34:35], v[28:29], v[34:35]
	v_fma_f64 v[28:29], v[28:29], v[32:33], -v[36:37]
	v_fma_f64 v[30:31], v[30:31], v[32:33], v[34:35]
	v_add_f64 v[10:11], v[10:11], v[28:29]
	v_add_f64 v[12:13], v[12:13], v[30:31]
	s_or_b64 exec, exec, s[56:57]
	s_and_saveexec_b64 s[14:15], s[16:17]
	s_cbranch_execz .LBB87_103
.LBB87_526:
	ds_read_b128 v[27:30], v27 offset:12768
	ds_read_b128 v[31:34], v26 offset:15616
	s_waitcnt lgkmcnt(0)
	v_mul_f64 v[35:36], v[29:30], v[33:34]
	v_mul_f64 v[33:34], v[27:28], v[33:34]
	v_fma_f64 v[26:27], v[27:28], v[31:32], -v[35:36]
	v_fma_f64 v[28:29], v[29:30], v[31:32], v[33:34]
	v_add_f64 v[10:11], v[10:11], v[26:27]
	v_add_f64 v[12:13], v[12:13], v[28:29]
	s_or_b64 exec, exec, s[14:15]
	v_cmp_gt_u32_e64 s[14:15], 8, v17
	s_and_saveexec_b64 s[56:57], s[14:15]
	s_cbranch_execnz .LBB87_104
	s_branch .LBB87_105
.LBB87_527:
	ds_read_b128 v[28:31], v27 offset:10576
	ds_read_b128 v[32:35], v26 offset:11008
	s_waitcnt lgkmcnt(0)
	v_mul_f64 v[36:37], v[30:31], v[34:35]
	v_mul_f64 v[34:35], v[28:29], v[34:35]
	v_fma_f64 v[28:29], v[28:29], v[32:33], -v[36:37]
	v_fma_f64 v[30:31], v[30:31], v[32:33], v[34:35]
	v_add_f64 v[10:11], v[10:11], v[28:29]
	v_add_f64 v[12:13], v[12:13], v[30:31]
	s_or_b64 exec, exec, s[18:19]
	v_cmp_gt_u32_e64 s[12:13], 8, v17
	s_and_saveexec_b64 s[18:19], s[12:13]
	s_cbranch_execz .LBB87_161
.LBB87_528:
	ds_read_b128 v[27:30], v27 offset:10592
	ds_read_b128 v[31:34], v26 offset:11520
	s_waitcnt lgkmcnt(0)
	v_mul_f64 v[35:36], v[29:30], v[33:34]
	v_mul_f64 v[33:34], v[27:28], v[33:34]
	v_fma_f64 v[26:27], v[27:28], v[31:32], -v[35:36]
	v_fma_f64 v[28:29], v[29:30], v[31:32], v[33:34]
	v_add_f64 v[10:11], v[10:11], v[26:27]
	v_add_f64 v[12:13], v[12:13], v[28:29]
	s_or_b64 exec, exec, s[18:19]
	v_cmp_gt_u32_e64 s[12:13], 4, v17
	s_and_saveexec_b64 s[18:19], s[12:13]
	s_cbranch_execnz .LBB87_162
	s_branch .LBB87_163
.LBB87_529:
	ds_read_b128 v[31:34], v30 offset:8624
	ds_read_b128 v[35:38], v29 offset:13824
	s_waitcnt lgkmcnt(0)
	v_mul_f64 v[39:40], v[33:34], v[37:38]
	v_mul_f64 v[37:38], v[31:32], v[37:38]
	v_fma_f64 v[31:32], v[31:32], v[35:36], -v[39:40]
	v_fma_f64 v[33:34], v[33:34], v[35:36], v[37:38]
	v_add_f64 v[10:11], v[10:11], v[31:32]
	v_add_f64 v[12:13], v[12:13], v[33:34]
	s_or_b64 exec, exec, s[88:89]
	s_and_saveexec_b64 s[18:19], s[8:9]
	s_cbranch_execz .LBB87_223
.LBB87_530:
	ds_read_b128 v[31:34], v30 offset:8640
	ds_read_b128 v[35:38], v29 offset:14336
	s_waitcnt lgkmcnt(0)
	v_mul_f64 v[39:40], v[33:34], v[37:38]
	v_mul_f64 v[37:38], v[31:32], v[37:38]
	v_fma_f64 v[31:32], v[31:32], v[35:36], -v[39:40]
	v_fma_f64 v[33:34], v[33:34], v[35:36], v[37:38]
	v_add_f64 v[10:11], v[10:11], v[31:32]
	v_add_f64 v[12:13], v[12:13], v[33:34]
	s_or_b64 exec, exec, s[18:19]
	v_cmp_gt_u32_e64 s[18:19], 48, v17
	s_and_saveexec_b64 s[88:89], s[18:19]
	s_cbranch_execz .LBB87_224
.LBB87_531:
	ds_read_b128 v[31:34], v30 offset:8656
	ds_read_b128 v[35:38], v29 offset:14848
	s_waitcnt lgkmcnt(0)
	v_mul_f64 v[39:40], v[33:34], v[37:38]
	v_mul_f64 v[37:38], v[31:32], v[37:38]
	v_fma_f64 v[31:32], v[31:32], v[35:36], -v[39:40]
	v_fma_f64 v[33:34], v[33:34], v[35:36], v[37:38]
	v_add_f64 v[10:11], v[10:11], v[31:32]
	v_add_f64 v[12:13], v[12:13], v[33:34]
	s_or_b64 exec, exec, s[88:89]
	v_cmp_gt_u32_e64 s[18:19], 32, v17
	s_and_saveexec_b64 s[88:89], s[18:19]
	s_cbranch_execz .LBB87_225
.LBB87_532:
	ds_read_b128 v[30:33], v30 offset:8672
	ds_read_b128 v[34:37], v29 offset:15360
	s_waitcnt lgkmcnt(0)
	v_mul_f64 v[38:39], v[32:33], v[36:37]
	v_mul_f64 v[36:37], v[30:31], v[36:37]
	v_fma_f64 v[29:30], v[30:31], v[34:35], -v[38:39]
	v_fma_f64 v[31:32], v[32:33], v[34:35], v[36:37]
	v_add_f64 v[10:11], v[10:11], v[29:30]
	v_add_f64 v[12:13], v[12:13], v[31:32]
	s_or_b64 exec, exec, s[88:89]
	v_cmp_gt_u32_e64 s[18:19], 16, v17
	s_and_saveexec_b64 s[88:89], s[18:19]
	s_cbranch_execnz .LBB87_226
	s_branch .LBB87_227
.LBB87_533:
	ds_read_b128 v[28:31], v27 offset:6352
	ds_read_b128 v[32:35], v26 offset:6784
	s_waitcnt lgkmcnt(0)
	v_mul_f64 v[36:37], v[30:31], v[34:35]
	v_mul_f64 v[34:35], v[28:29], v[34:35]
	v_fma_f64 v[28:29], v[28:29], v[32:33], -v[36:37]
	v_fma_f64 v[30:31], v[30:31], v[32:33], v[34:35]
	v_add_f64 v[10:11], v[10:11], v[28:29]
	v_add_f64 v[12:13], v[12:13], v[30:31]
	s_or_b64 exec, exec, s[14:15]
	v_cmp_gt_u32_e64 s[10:11], 8, v17
	s_and_saveexec_b64 s[14:15], s[10:11]
	s_cbranch_execz .LBB87_315
.LBB87_534:
	ds_read_b128 v[27:30], v27 offset:6368
	ds_read_b128 v[31:34], v26 offset:7296
	s_waitcnt lgkmcnt(0)
	v_mul_f64 v[35:36], v[29:30], v[33:34]
	v_mul_f64 v[33:34], v[27:28], v[33:34]
	v_fma_f64 v[26:27], v[27:28], v[31:32], -v[35:36]
	v_fma_f64 v[28:29], v[29:30], v[31:32], v[33:34]
	v_add_f64 v[10:11], v[10:11], v[26:27]
	v_add_f64 v[12:13], v[12:13], v[28:29]
	s_or_b64 exec, exec, s[14:15]
	v_cmp_gt_u32_e64 s[10:11], 4, v17
	s_and_saveexec_b64 s[14:15], s[10:11]
	s_cbranch_execnz .LBB87_316
	s_branch .LBB87_317
.LBB87_535:
	ds_read_b128 v[28:31], v27 offset:4240
	ds_read_b128 v[32:35], v26 offset:4608
	s_waitcnt lgkmcnt(0)
	v_mul_f64 v[36:37], v[30:31], v[34:35]
	v_mul_f64 v[34:35], v[28:29], v[34:35]
	v_fma_f64 v[28:29], v[28:29], v[32:33], -v[36:37]
	v_fma_f64 v[30:31], v[30:31], v[32:33], v[34:35]
	v_add_f64 v[10:11], v[10:11], v[28:29]
	v_add_f64 v[12:13], v[12:13], v[30:31]
	s_or_b64 exec, exec, s[14:15]
	v_cmp_gt_u32_e64 s[10:11], 48, v17
	s_and_saveexec_b64 s[14:15], s[10:11]
	s_cbranch_execz .LBB87_357
.LBB87_536:
	ds_read_b128 v[28:31], v27 offset:4256
	ds_read_b128 v[32:35], v26 offset:5120
	s_waitcnt lgkmcnt(0)
	v_mul_f64 v[36:37], v[30:31], v[34:35]
	v_mul_f64 v[34:35], v[28:29], v[34:35]
	v_fma_f64 v[28:29], v[28:29], v[32:33], -v[36:37]
	v_fma_f64 v[30:31], v[30:31], v[32:33], v[34:35]
	v_add_f64 v[10:11], v[10:11], v[28:29]
	v_add_f64 v[12:13], v[12:13], v[30:31]
	s_or_b64 exec, exec, s[14:15]
	v_cmp_gt_u32_e64 s[10:11], 40, v17
	s_and_saveexec_b64 s[14:15], s[10:11]
	s_cbranch_execz .LBB87_358
.LBB87_537:
	ds_read_b128 v[28:31], v27 offset:4272
	ds_read_b128 v[32:35], v26 offset:5632
	s_waitcnt lgkmcnt(0)
	v_mul_f64 v[36:37], v[30:31], v[34:35]
	v_mul_f64 v[34:35], v[28:29], v[34:35]
	v_fma_f64 v[28:29], v[28:29], v[32:33], -v[36:37]
	v_fma_f64 v[30:31], v[30:31], v[32:33], v[34:35]
	v_add_f64 v[10:11], v[10:11], v[28:29]
	v_add_f64 v[12:13], v[12:13], v[30:31]
	s_or_b64 exec, exec, s[14:15]
	v_cmp_gt_u32_e64 s[10:11], 32, v17
	s_and_saveexec_b64 s[14:15], s[10:11]
	s_cbranch_execz .LBB87_359
.LBB87_538:
	ds_read_b128 v[28:31], v27 offset:4288
	ds_read_b128 v[32:35], v26 offset:6144
	s_waitcnt lgkmcnt(0)
	v_mul_f64 v[36:37], v[30:31], v[34:35]
	v_mul_f64 v[34:35], v[28:29], v[34:35]
	v_fma_f64 v[28:29], v[28:29], v[32:33], -v[36:37]
	v_fma_f64 v[30:31], v[30:31], v[32:33], v[34:35]
	v_add_f64 v[10:11], v[10:11], v[28:29]
	v_add_f64 v[12:13], v[12:13], v[30:31]
	s_or_b64 exec, exec, s[14:15]
	v_cmp_gt_u32_e64 s[10:11], 24, v17
	s_and_saveexec_b64 s[14:15], s[10:11]
	s_cbranch_execz .LBB87_360
.LBB87_539:
	ds_read_b128 v[28:31], v27 offset:4304
	ds_read_b128 v[32:35], v26 offset:6656
	s_waitcnt lgkmcnt(0)
	v_mul_f64 v[36:37], v[30:31], v[34:35]
	v_mul_f64 v[34:35], v[28:29], v[34:35]
	v_fma_f64 v[28:29], v[28:29], v[32:33], -v[36:37]
	v_fma_f64 v[30:31], v[30:31], v[32:33], v[34:35]
	v_add_f64 v[10:11], v[10:11], v[28:29]
	v_add_f64 v[12:13], v[12:13], v[30:31]
	s_or_b64 exec, exec, s[14:15]
	s_and_saveexec_b64 s[10:11], s[16:17]
	s_cbranch_execz .LBB87_361
.LBB87_540:
	ds_read_b128 v[27:30], v27 offset:4320
	ds_read_b128 v[31:34], v26 offset:7168
	s_waitcnt lgkmcnt(0)
	v_mul_f64 v[35:36], v[29:30], v[33:34]
	v_mul_f64 v[33:34], v[27:28], v[33:34]
	v_fma_f64 v[26:27], v[27:28], v[31:32], -v[35:36]
	v_fma_f64 v[28:29], v[29:30], v[31:32], v[33:34]
	v_add_f64 v[10:11], v[10:11], v[26:27]
	v_add_f64 v[12:13], v[12:13], v[28:29]
	s_or_b64 exec, exec, s[10:11]
	v_cmp_gt_u32_e64 s[10:11], 8, v17
	s_and_saveexec_b64 s[14:15], s[10:11]
	s_cbranch_execnz .LBB87_362
	s_branch .LBB87_363
.LBB87_541:
	ds_read_b128 v[25:28], v24 offset:2128
	ds_read_b128 v[29:32], v21 offset:2560
	s_waitcnt lgkmcnt(0)
	v_mul_f64 v[33:34], v[27:28], v[31:32]
	v_mul_f64 v[31:32], v[25:26], v[31:32]
	v_fma_f64 v[25:26], v[25:26], v[29:30], -v[33:34]
	v_fma_f64 v[27:28], v[27:28], v[29:30], v[31:32]
	v_add_f64 v[10:11], v[10:11], v[25:26]
	v_add_f64 v[12:13], v[12:13], v[27:28]
	s_or_b64 exec, exec, s[12:13]
	v_cmp_gt_u32_e64 s[8:9], 8, v17
	s_and_saveexec_b64 s[12:13], s[8:9]
	s_cbranch_execz .LBB87_419
.LBB87_542:
	ds_read_b128 v[24:27], v24 offset:2144
	ds_read_b128 v[28:31], v21 offset:3072
	s_waitcnt lgkmcnt(0)
	v_mul_f64 v[32:33], v[26:27], v[30:31]
	v_mul_f64 v[30:31], v[24:25], v[30:31]
	v_fma_f64 v[24:25], v[24:25], v[28:29], -v[32:33]
	v_fma_f64 v[26:27], v[26:27], v[28:29], v[30:31]
	v_add_f64 v[10:11], v[10:11], v[24:25]
	v_add_f64 v[12:13], v[12:13], v[26:27]
	s_or_b64 exec, exec, s[12:13]
	v_cmp_gt_u32_e64 s[8:9], 4, v17
	s_and_saveexec_b64 s[12:13], s[8:9]
	s_cbranch_execnz .LBB87_420
	s_branch .LBB87_421
	.section	.rodata,"a",@progbits
	.p2align	6, 0x0
	.amdhsa_kernel _ZL19rocblas_trsv_deviceILi32ELi16ELb0ELb1ELb1ELb1E19rocblas_complex_numIdES1_PKS1_PS1_EviT7_lllT6_T8_lllPii
		.amdhsa_group_segment_fixed_size 25104
		.amdhsa_private_segment_fixed_size 0
		.amdhsa_kernarg_size 360
		.amdhsa_user_sgpr_count 6
		.amdhsa_user_sgpr_private_segment_buffer 1
		.amdhsa_user_sgpr_dispatch_ptr 0
		.amdhsa_user_sgpr_queue_ptr 0
		.amdhsa_user_sgpr_kernarg_segment_ptr 1
		.amdhsa_user_sgpr_dispatch_id 0
		.amdhsa_user_sgpr_flat_scratch_init 0
		.amdhsa_user_sgpr_private_segment_size 0
		.amdhsa_uses_dynamic_stack 0
		.amdhsa_system_sgpr_private_segment_wavefront_offset 0
		.amdhsa_system_sgpr_workgroup_id_x 1
		.amdhsa_system_sgpr_workgroup_id_y 0
		.amdhsa_system_sgpr_workgroup_id_z 1
		.amdhsa_system_sgpr_workgroup_info 0
		.amdhsa_system_vgpr_workitem_id 1
		.amdhsa_next_free_vgpr 49
		.amdhsa_next_free_sgpr 98
		.amdhsa_reserve_vcc 1
		.amdhsa_reserve_flat_scratch 0
		.amdhsa_float_round_mode_32 0
		.amdhsa_float_round_mode_16_64 0
		.amdhsa_float_denorm_mode_32 3
		.amdhsa_float_denorm_mode_16_64 3
		.amdhsa_dx10_clamp 1
		.amdhsa_ieee_mode 1
		.amdhsa_fp16_overflow 0
		.amdhsa_exception_fp_ieee_invalid_op 0
		.amdhsa_exception_fp_denorm_src 0
		.amdhsa_exception_fp_ieee_div_zero 0
		.amdhsa_exception_fp_ieee_overflow 0
		.amdhsa_exception_fp_ieee_underflow 0
		.amdhsa_exception_fp_ieee_inexact 0
		.amdhsa_exception_int_div_zero 0
	.end_amdhsa_kernel
	.section	.text._ZL19rocblas_trsv_deviceILi32ELi16ELb0ELb1ELb1ELb1E19rocblas_complex_numIdES1_PKS1_PS1_EviT7_lllT6_T8_lllPii,"axG",@progbits,_ZL19rocblas_trsv_deviceILi32ELi16ELb0ELb1ELb1ELb1E19rocblas_complex_numIdES1_PKS1_PS1_EviT7_lllT6_T8_lllPii,comdat
.Lfunc_end87:
	.size	_ZL19rocblas_trsv_deviceILi32ELi16ELb0ELb1ELb1ELb1E19rocblas_complex_numIdES1_PKS1_PS1_EviT7_lllT6_T8_lllPii, .Lfunc_end87-_ZL19rocblas_trsv_deviceILi32ELi16ELb0ELb1ELb1ELb1E19rocblas_complex_numIdES1_PKS1_PS1_EviT7_lllT6_T8_lllPii
                                        ; -- End function
	.set _ZL19rocblas_trsv_deviceILi32ELi16ELb0ELb1ELb1ELb1E19rocblas_complex_numIdES1_PKS1_PS1_EviT7_lllT6_T8_lllPii.num_vgpr, 41
	.set _ZL19rocblas_trsv_deviceILi32ELi16ELb0ELb1ELb1ELb1E19rocblas_complex_numIdES1_PKS1_PS1_EviT7_lllT6_T8_lllPii.num_agpr, 0
	.set _ZL19rocblas_trsv_deviceILi32ELi16ELb0ELb1ELb1ELb1E19rocblas_complex_numIdES1_PKS1_PS1_EviT7_lllT6_T8_lllPii.numbered_sgpr, 96
	.set _ZL19rocblas_trsv_deviceILi32ELi16ELb0ELb1ELb1ELb1E19rocblas_complex_numIdES1_PKS1_PS1_EviT7_lllT6_T8_lllPii.num_named_barrier, 0
	.set _ZL19rocblas_trsv_deviceILi32ELi16ELb0ELb1ELb1ELb1E19rocblas_complex_numIdES1_PKS1_PS1_EviT7_lllT6_T8_lllPii.private_seg_size, 0
	.set _ZL19rocblas_trsv_deviceILi32ELi16ELb0ELb1ELb1ELb1E19rocblas_complex_numIdES1_PKS1_PS1_EviT7_lllT6_T8_lllPii.uses_vcc, 1
	.set _ZL19rocblas_trsv_deviceILi32ELi16ELb0ELb1ELb1ELb1E19rocblas_complex_numIdES1_PKS1_PS1_EviT7_lllT6_T8_lllPii.uses_flat_scratch, 0
	.set _ZL19rocblas_trsv_deviceILi32ELi16ELb0ELb1ELb1ELb1E19rocblas_complex_numIdES1_PKS1_PS1_EviT7_lllT6_T8_lllPii.has_dyn_sized_stack, 0
	.set _ZL19rocblas_trsv_deviceILi32ELi16ELb0ELb1ELb1ELb1E19rocblas_complex_numIdES1_PKS1_PS1_EviT7_lllT6_T8_lllPii.has_recursion, 0
	.set _ZL19rocblas_trsv_deviceILi32ELi16ELb0ELb1ELb1ELb1E19rocblas_complex_numIdES1_PKS1_PS1_EviT7_lllT6_T8_lllPii.has_indirect_call, 0
	.section	.AMDGPU.csdata,"",@progbits
; Kernel info:
; codeLenInByte = 22948
; TotalNumSgprs: 100
; NumVgprs: 41
; ScratchSize: 0
; MemoryBound: 1
; FloatMode: 240
; IeeeMode: 1
; LDSByteSize: 25104 bytes/workgroup (compile time only)
; SGPRBlocks: 12
; VGPRBlocks: 12
; NumSGPRsForWavesPerEU: 102
; NumVGPRsForWavesPerEU: 49
; Occupancy: 4
; WaveLimiterHint : 0
; COMPUTE_PGM_RSRC2:SCRATCH_EN: 0
; COMPUTE_PGM_RSRC2:USER_SGPR: 6
; COMPUTE_PGM_RSRC2:TRAP_HANDLER: 0
; COMPUTE_PGM_RSRC2:TGID_X_EN: 1
; COMPUTE_PGM_RSRC2:TGID_Y_EN: 0
; COMPUTE_PGM_RSRC2:TGID_Z_EN: 1
; COMPUTE_PGM_RSRC2:TIDIG_COMP_CNT: 1
	.section	.text._ZL19rocblas_trsv_deviceILi32ELi16ELb0ELb0ELb0ELb0E19rocblas_complex_numIdES1_PKS1_PS1_EviT7_lllT6_T8_lllPii,"axG",@progbits,_ZL19rocblas_trsv_deviceILi32ELi16ELb0ELb0ELb0ELb0E19rocblas_complex_numIdES1_PKS1_PS1_EviT7_lllT6_T8_lllPii,comdat
	.globl	_ZL19rocblas_trsv_deviceILi32ELi16ELb0ELb0ELb0ELb0E19rocblas_complex_numIdES1_PKS1_PS1_EviT7_lllT6_T8_lllPii ; -- Begin function _ZL19rocblas_trsv_deviceILi32ELi16ELb0ELb0ELb0ELb0E19rocblas_complex_numIdES1_PKS1_PS1_EviT7_lllT6_T8_lllPii
	.p2align	8
	.type	_ZL19rocblas_trsv_deviceILi32ELi16ELb0ELb0ELb0ELb0E19rocblas_complex_numIdES1_PKS1_PS1_EviT7_lllT6_T8_lllPii,@function
_ZL19rocblas_trsv_deviceILi32ELi16ELb0ELb0ELb0ELb0E19rocblas_complex_numIdES1_PKS1_PS1_EviT7_lllT6_T8_lllPii: ; @_ZL19rocblas_trsv_deviceILi32ELi16ELb0ELb0ELb0ELb0E19rocblas_complex_numIdES1_PKS1_PS1_EviT7_lllT6_T8_lllPii
; %bb.0:
	s_load_dwordx16 s[12:27], s[4:5], 0x8
	s_load_dword s30, s[4:5], 0x0
	s_mov_b32 s28, s7
	v_mov_b32_e32 v2, v1
	s_mov_b32 s29, 0
	s_waitcnt lgkmcnt(0)
	s_mul_i32 s0, s19, s7
	s_mul_hi_u32 s1, s18, s7
	s_add_i32 s1, s1, s0
	s_mul_i32 s0, s18, s7
	s_load_dword s7, s[4:5], 0x68
	s_load_dword s89, s[4:5], 0x74
	s_lshl_b64 s[0:1], s[0:1], 4
	s_add_u32 s2, s12, s0
	s_addc_u32 s3, s13, s1
	s_lshl_b64 s[0:1], s[14:15], 4
	s_add_u32 s86, s2, s0
	s_addc_u32 s87, s3, s1
	s_waitcnt lgkmcnt(0)
	s_add_i32 s7, s7, -1
	s_sub_i32 s88, s7, s6
	s_cmp_lg_u32 s6, 0
	s_cbranch_scc0 .LBB88_515
; %bb.1:
	s_lshl_b32 s33, s88, 5
	v_add3_u32 v1, v2, s33, 32
	v_ashrrev_i32_e32 v3, 31, v1
	v_mul_lo_u32 v7, s16, v3
	v_mul_lo_u32 v8, s17, v1
	v_mad_u64_u32 v[3:4], s[0:1], s16, v1, 0
	v_add_u32_e32 v5, s33, v0
	v_ashrrev_i32_e32 v6, 31, v5
	v_add3_u32 v4, v4, v7, v8
	v_lshlrev_b64 v[3:4], 4, v[3:4]
	v_mov_b32_e32 v7, s87
	v_add_co_u32_e64 v8, s[0:1], s86, v3
	v_addc_co_u32_e64 v7, s[0:1], v7, v4, s[0:1]
	v_lshlrev_b64 v[3:4], 4, v[5:6]
	v_cmp_gt_i32_e32 vcc, s30, v5
	v_add_co_u32_e64 v11, s[0:1], v8, v3
	v_addc_co_u32_e64 v12, s[0:1], v7, v4, s[0:1]
	v_cmp_gt_i32_e64 s[0:1], s30, v1
	v_mov_b32_e32 v9, 0
	v_mov_b32_e32 v3, 0
	;; [unrolled: 1-line block ×6, first 2 shown]
	s_and_b64 s[2:3], vcc, s[0:1]
	s_barrier
	s_and_saveexec_b64 s[0:1], s[2:3]
	s_cbranch_execz .LBB88_3
; %bb.2:
	global_load_dwordx4 v[3:6], v[11:12], off
.LBB88_3:
	s_or_b64 exec, exec, s[0:1]
	v_add_u32_e32 v1, 16, v1
	v_cmp_gt_i32_e64 s[0:1], s30, v1
	v_mov_b32_e32 v7, 0
	v_mov_b32_e32 v8, 0
	s_and_b64 s[2:3], vcc, s[0:1]
	s_waitcnt vmcnt(0)
	s_barrier
	s_and_saveexec_b64 s[0:1], s[2:3]
	s_cbranch_execz .LBB88_5
; %bb.4:
	s_lshl_b64 s[2:3], s[16:17], 8
	v_mov_b32_e32 v1, s3
	v_add_co_u32_e32 v7, vcc, s2, v11
	v_addc_co_u32_e32 v8, vcc, v12, v1, vcc
	global_load_dwordx4 v[7:10], v[7:8], off
.LBB88_5:
	s_or_b64 exec, exec, s[0:1]
	s_branch .LBB88_7
.LBB88_6:
	s_lshl_b32 s33, s88, 5
                                        ; implicit-def: $vgpr3_vgpr4
                                        ; implicit-def: $vgpr7_vgpr8
.LBB88_7:
	s_ashr_i32 s31, s30, 31
	s_lshr_b32 s0, s31, 27
	s_add_i32 s0, s30, s0
	s_andn2_b32 s0, s0, 31
	s_sub_i32 s85, s30, s0
	s_add_i32 s0, s30, -1
	s_ashr_i32 s1, s0, 31
	s_lshr_b32 s1, s1, 27
	s_add_i32 s0, s0, s1
	s_ashr_i32 s0, s0, 5
	s_cmp_eq_u32 s0, s88
	s_cselect_b64 s[0:1], -1, 0
	s_cmp_lg_u32 s85, 0
	s_cselect_b64 s[2:3], -1, 0
	s_and_b64 s[18:19], s[2:3], s[0:1]
	s_ashr_i32 s84, s33, 31
	s_add_u32 s8, s16, 1
	v_mov_b32_e32 v1, 0
	v_mov_b32_e32 v11, s33
	v_mad_u64_u32 v[19:20], s[0:1], s8, v11, v[0:1]
	s_addc_u32 s9, s17, 0
	s_mul_i32 s0, s8, s84
	s_mul_i32 s9, s9, s33
	s_add_i32 s0, s0, s9
	s_mov_b64 s[2:3], -1
	v_add_u32_e32 v20, s0, v20
	s_and_b64 vcc, exec, s[18:19]
	v_cmp_le_u32_e64 s[0:1], v2, v0
	v_lshl_add_u32 v1, v2, 5, v0
	s_cbranch_vccnz .LBB88_37
; %bb.8:
	v_mad_u64_u32 v[11:12], s[2:3], s16, v2, v[19:20]
	v_mad_u64_u32 v[12:13], s[2:3], s17, v2, v[12:13]
	s_and_saveexec_b64 s[2:3], s[0:1]
	s_xor_b64 s[0:1], exec, s[2:3]
	s_cbranch_execz .LBB88_20
; %bb.9:
	v_cmp_ne_u32_e32 vcc, v0, v2
	s_and_saveexec_b64 s[2:3], vcc
	s_xor_b64 s[2:3], exec, s[2:3]
	s_cbranch_execz .LBB88_13
; %bb.10:
	v_or_b32_e32 v11, v2, v0
	v_cmp_gt_u32_e32 vcc, 32, v11
	s_and_saveexec_b64 s[8:9], vcc
	s_cbranch_execz .LBB88_12
; %bb.11:
	v_mov_b32_e32 v11, 0
	v_lshlrev_b32_e32 v15, 4, v1
	v_mov_b32_e32 v12, v11
	v_mov_b32_e32 v13, v11
	;; [unrolled: 1-line block ×3, first 2 shown]
	ds_write_b128 v15, v[11:14]
.LBB88_12:
	s_or_b64 exec, exec, s[8:9]
                                        ; implicit-def: $vgpr11_vgpr12
.LBB88_13:
	s_andn2_saveexec_b64 s[2:3], s[2:3]
	s_cbranch_execz .LBB88_19
; %bb.14:
	v_lshlrev_b64 v[11:12], 4, v[11:12]
	v_mov_b32_e32 v13, s87
	v_add_co_u32_e32 v11, vcc, s86, v11
	v_addc_co_u32_e32 v12, vcc, v13, v12, vcc
	global_load_dwordx4 v[11:14], v[11:12], off
                                        ; implicit-def: $vgpr15_vgpr16
	s_waitcnt vmcnt(0)
	v_cmp_ngt_f64_e64 s[8:9], |v[11:12]|, |v[13:14]|
	s_and_saveexec_b64 s[10:11], s[8:9]
	s_xor_b64 s[8:9], exec, s[10:11]
	s_cbranch_execz .LBB88_16
; %bb.15:
	v_div_scale_f64 v[15:16], s[10:11], v[13:14], v[13:14], v[11:12]
	v_rcp_f64_e32 v[17:18], v[15:16]
	v_fma_f64 v[21:22], -v[15:16], v[17:18], 1.0
	v_fma_f64 v[17:18], v[17:18], v[21:22], v[17:18]
	v_div_scale_f64 v[21:22], vcc, v[11:12], v[13:14], v[11:12]
	v_fma_f64 v[23:24], -v[15:16], v[17:18], 1.0
	v_fma_f64 v[17:18], v[17:18], v[23:24], v[17:18]
	v_mul_f64 v[23:24], v[21:22], v[17:18]
	v_fma_f64 v[15:16], -v[15:16], v[23:24], v[21:22]
	v_div_fmas_f64 v[15:16], v[15:16], v[17:18], v[23:24]
	v_div_fixup_f64 v[15:16], v[15:16], v[13:14], v[11:12]
	v_fma_f64 v[11:12], v[11:12], v[15:16], v[13:14]
	v_div_scale_f64 v[13:14], s[10:11], v[11:12], v[11:12], 1.0
	v_div_scale_f64 v[23:24], vcc, 1.0, v[11:12], 1.0
	v_rcp_f64_e32 v[17:18], v[13:14]
	v_fma_f64 v[21:22], -v[13:14], v[17:18], 1.0
	v_fma_f64 v[17:18], v[17:18], v[21:22], v[17:18]
	v_fma_f64 v[21:22], -v[13:14], v[17:18], 1.0
	v_fma_f64 v[17:18], v[17:18], v[21:22], v[17:18]
	v_mul_f64 v[21:22], v[23:24], v[17:18]
	v_fma_f64 v[13:14], -v[13:14], v[21:22], v[23:24]
	v_div_fmas_f64 v[13:14], v[13:14], v[17:18], v[21:22]
	v_div_fixup_f64 v[17:18], v[13:14], v[11:12], 1.0
                                        ; implicit-def: $vgpr11_vgpr12
	v_mul_f64 v[15:16], v[15:16], v[17:18]
	v_xor_b32_e32 v18, 0x80000000, v18
.LBB88_16:
	s_andn2_saveexec_b64 s[8:9], s[8:9]
	s_cbranch_execz .LBB88_18
; %bb.17:
	v_div_scale_f64 v[15:16], s[10:11], v[11:12], v[11:12], v[13:14]
	v_rcp_f64_e32 v[17:18], v[15:16]
	v_fma_f64 v[21:22], -v[15:16], v[17:18], 1.0
	v_fma_f64 v[17:18], v[17:18], v[21:22], v[17:18]
	v_div_scale_f64 v[21:22], vcc, v[13:14], v[11:12], v[13:14]
	v_fma_f64 v[23:24], -v[15:16], v[17:18], 1.0
	v_fma_f64 v[17:18], v[17:18], v[23:24], v[17:18]
	v_mul_f64 v[23:24], v[21:22], v[17:18]
	v_fma_f64 v[15:16], -v[15:16], v[23:24], v[21:22]
	v_div_fmas_f64 v[15:16], v[15:16], v[17:18], v[23:24]
	v_div_fixup_f64 v[17:18], v[15:16], v[11:12], v[13:14]
	v_fma_f64 v[11:12], v[13:14], v[17:18], v[11:12]
	v_div_scale_f64 v[13:14], s[10:11], v[11:12], v[11:12], 1.0
	v_div_scale_f64 v[23:24], vcc, 1.0, v[11:12], 1.0
	v_rcp_f64_e32 v[15:16], v[13:14]
	v_fma_f64 v[21:22], -v[13:14], v[15:16], 1.0
	v_fma_f64 v[15:16], v[15:16], v[21:22], v[15:16]
	v_fma_f64 v[21:22], -v[13:14], v[15:16], 1.0
	v_fma_f64 v[15:16], v[15:16], v[21:22], v[15:16]
	v_mul_f64 v[21:22], v[23:24], v[15:16]
	v_fma_f64 v[13:14], -v[13:14], v[21:22], v[23:24]
	v_div_fmas_f64 v[13:14], v[13:14], v[15:16], v[21:22]
	v_div_fixup_f64 v[15:16], v[13:14], v[11:12], 1.0
	v_mul_f64 v[17:18], v[17:18], -v[15:16]
.LBB88_18:
	s_or_b64 exec, exec, s[8:9]
	v_lshlrev_b32_e32 v11, 4, v1
	ds_write_b128 v11, v[15:18]
.LBB88_19:
	s_or_b64 exec, exec, s[2:3]
                                        ; implicit-def: $vgpr11_vgpr12
.LBB88_20:
	s_andn2_saveexec_b64 s[0:1], s[0:1]
	s_cbranch_execz .LBB88_22
; %bb.21:
	v_lshlrev_b64 v[11:12], 4, v[11:12]
	v_mov_b32_e32 v13, s87
	v_add_co_u32_e32 v11, vcc, s86, v11
	v_addc_co_u32_e32 v12, vcc, v13, v12, vcc
	global_load_dwordx4 v[11:14], v[11:12], off
	v_lshlrev_b32_e32 v15, 4, v1
	s_waitcnt vmcnt(0)
	v_xor_b32_e32 v12, 0x80000000, v12
	v_xor_b32_e32 v14, 0x80000000, v14
	ds_write_b128 v15, v[11:14]
.LBB88_22:
	s_or_b64 exec, exec, s[0:1]
	v_add_u32_e32 v13, 16, v2
	v_mad_u64_u32 v[11:12], s[0:1], s16, v13, v[19:20]
	v_lshl_add_u32 v21, v13, 5, v0
	v_cmp_le_u32_e32 vcc, v13, v0
	v_mad_u64_u32 v[14:15], s[0:1], s17, v13, v[12:13]
	v_mov_b32_e32 v12, v14
	s_and_saveexec_b64 s[0:1], vcc
	s_xor_b64 s[0:1], exec, s[0:1]
	s_cbranch_execz .LBB88_34
; %bb.23:
	v_cmp_ne_u32_e32 vcc, v0, v13
	s_and_saveexec_b64 s[2:3], vcc
	s_xor_b64 s[2:3], exec, s[2:3]
	s_cbranch_execz .LBB88_27
; %bb.24:
	v_or_b32_e32 v11, v13, v0
	v_cmp_gt_u32_e32 vcc, 32, v11
	s_and_saveexec_b64 s[8:9], vcc
	s_cbranch_execz .LBB88_26
; %bb.25:
	v_mov_b32_e32 v11, 0
	v_lshlrev_b32_e32 v15, 4, v21
	v_mov_b32_e32 v12, v11
	v_mov_b32_e32 v13, v11
	;; [unrolled: 1-line block ×3, first 2 shown]
	ds_write_b128 v15, v[11:14]
.LBB88_26:
	s_or_b64 exec, exec, s[8:9]
                                        ; implicit-def: $vgpr21
                                        ; implicit-def: $vgpr11_vgpr12
.LBB88_27:
	s_andn2_saveexec_b64 s[2:3], s[2:3]
	s_cbranch_execz .LBB88_33
; %bb.28:
	v_lshlrev_b64 v[11:12], 4, v[11:12]
	v_mov_b32_e32 v13, s87
	v_add_co_u32_e32 v11, vcc, s86, v11
	v_addc_co_u32_e32 v12, vcc, v13, v12, vcc
	global_load_dwordx4 v[11:14], v[11:12], off
                                        ; implicit-def: $vgpr15_vgpr16
	s_waitcnt vmcnt(0)
	v_cmp_ngt_f64_e64 s[8:9], |v[11:12]|, |v[13:14]|
	s_and_saveexec_b64 s[10:11], s[8:9]
	s_xor_b64 s[8:9], exec, s[10:11]
	s_cbranch_execz .LBB88_30
; %bb.29:
	v_div_scale_f64 v[15:16], s[10:11], v[13:14], v[13:14], v[11:12]
	v_rcp_f64_e32 v[17:18], v[15:16]
	v_fma_f64 v[22:23], -v[15:16], v[17:18], 1.0
	v_fma_f64 v[17:18], v[17:18], v[22:23], v[17:18]
	v_div_scale_f64 v[22:23], vcc, v[11:12], v[13:14], v[11:12]
	v_fma_f64 v[24:25], -v[15:16], v[17:18], 1.0
	v_fma_f64 v[17:18], v[17:18], v[24:25], v[17:18]
	v_mul_f64 v[24:25], v[22:23], v[17:18]
	v_fma_f64 v[15:16], -v[15:16], v[24:25], v[22:23]
	v_div_fmas_f64 v[15:16], v[15:16], v[17:18], v[24:25]
	v_div_fixup_f64 v[15:16], v[15:16], v[13:14], v[11:12]
	v_fma_f64 v[11:12], v[11:12], v[15:16], v[13:14]
	v_div_scale_f64 v[13:14], s[10:11], v[11:12], v[11:12], 1.0
	v_div_scale_f64 v[24:25], vcc, 1.0, v[11:12], 1.0
	v_rcp_f64_e32 v[17:18], v[13:14]
	v_fma_f64 v[22:23], -v[13:14], v[17:18], 1.0
	v_fma_f64 v[17:18], v[17:18], v[22:23], v[17:18]
	v_fma_f64 v[22:23], -v[13:14], v[17:18], 1.0
	v_fma_f64 v[17:18], v[17:18], v[22:23], v[17:18]
	v_mul_f64 v[22:23], v[24:25], v[17:18]
	v_fma_f64 v[13:14], -v[13:14], v[22:23], v[24:25]
	v_div_fmas_f64 v[13:14], v[13:14], v[17:18], v[22:23]
	v_div_fixup_f64 v[17:18], v[13:14], v[11:12], 1.0
                                        ; implicit-def: $vgpr11_vgpr12
	v_mul_f64 v[15:16], v[15:16], v[17:18]
	v_xor_b32_e32 v18, 0x80000000, v18
.LBB88_30:
	s_andn2_saveexec_b64 s[8:9], s[8:9]
	s_cbranch_execz .LBB88_32
; %bb.31:
	v_div_scale_f64 v[15:16], s[10:11], v[11:12], v[11:12], v[13:14]
	v_rcp_f64_e32 v[17:18], v[15:16]
	v_fma_f64 v[22:23], -v[15:16], v[17:18], 1.0
	v_fma_f64 v[17:18], v[17:18], v[22:23], v[17:18]
	v_div_scale_f64 v[22:23], vcc, v[13:14], v[11:12], v[13:14]
	v_fma_f64 v[24:25], -v[15:16], v[17:18], 1.0
	v_fma_f64 v[17:18], v[17:18], v[24:25], v[17:18]
	v_mul_f64 v[24:25], v[22:23], v[17:18]
	v_fma_f64 v[15:16], -v[15:16], v[24:25], v[22:23]
	v_div_fmas_f64 v[15:16], v[15:16], v[17:18], v[24:25]
	v_div_fixup_f64 v[17:18], v[15:16], v[11:12], v[13:14]
	v_fma_f64 v[11:12], v[13:14], v[17:18], v[11:12]
	v_div_scale_f64 v[13:14], s[10:11], v[11:12], v[11:12], 1.0
	v_div_scale_f64 v[24:25], vcc, 1.0, v[11:12], 1.0
	v_rcp_f64_e32 v[15:16], v[13:14]
	v_fma_f64 v[22:23], -v[13:14], v[15:16], 1.0
	v_fma_f64 v[15:16], v[15:16], v[22:23], v[15:16]
	v_fma_f64 v[22:23], -v[13:14], v[15:16], 1.0
	v_fma_f64 v[15:16], v[15:16], v[22:23], v[15:16]
	v_mul_f64 v[22:23], v[24:25], v[15:16]
	v_fma_f64 v[13:14], -v[13:14], v[22:23], v[24:25]
	v_div_fmas_f64 v[13:14], v[13:14], v[15:16], v[22:23]
	v_div_fixup_f64 v[15:16], v[13:14], v[11:12], 1.0
	v_mul_f64 v[17:18], v[17:18], -v[15:16]
.LBB88_32:
	s_or_b64 exec, exec, s[8:9]
	v_lshlrev_b32_e32 v11, 4, v21
	ds_write_b128 v11, v[15:18]
.LBB88_33:
	s_or_b64 exec, exec, s[2:3]
                                        ; implicit-def: $vgpr11_vgpr12
                                        ; implicit-def: $vgpr21
.LBB88_34:
	s_andn2_saveexec_b64 s[0:1], s[0:1]
	s_cbranch_execz .LBB88_36
; %bb.35:
	v_lshlrev_b64 v[11:12], 4, v[11:12]
	v_mov_b32_e32 v13, s87
	v_add_co_u32_e32 v11, vcc, s86, v11
	v_addc_co_u32_e32 v12, vcc, v13, v12, vcc
	global_load_dwordx4 v[11:14], v[11:12], off
	v_lshlrev_b32_e32 v15, 4, v21
	s_waitcnt vmcnt(0)
	v_xor_b32_e32 v12, 0x80000000, v12
	v_xor_b32_e32 v14, 0x80000000, v14
	ds_write_b128 v15, v[11:14]
.LBB88_36:
	s_or_b64 exec, exec, s[0:1]
	s_mov_b64 s[2:3], 0
.LBB88_37:
	s_and_b64 vcc, exec, s[2:3]
	s_cbranch_vccz .LBB88_67
; %bb.38:
	v_mad_u64_u32 v[11:12], s[0:1], s16, v2, v[19:20]
	v_cmp_le_u32_e32 vcc, v2, v0
	v_cmp_gt_i32_e64 s[0:1], s85, v0
	v_mad_u64_u32 v[12:13], s[2:3], s17, v2, v[12:13]
	v_max_i32_e32 v13, v2, v0
	v_cmp_le_i32_e64 s[2:3], s85, v13
	s_or_b64 s[2:3], s[2:3], vcc
	s_and_saveexec_b64 s[8:9], s[2:3]
	s_xor_b64 s[2:3], exec, s[8:9]
	s_cbranch_execz .LBB88_50
; %bb.39:
	v_cmp_ne_u32_e32 vcc, v0, v2
	s_xor_b64 s[8:9], s[0:1], -1
	s_or_b64 s[8:9], s[8:9], vcc
	s_and_saveexec_b64 s[10:11], s[8:9]
	s_xor_b64 s[8:9], exec, s[10:11]
	s_cbranch_execz .LBB88_43
; %bb.40:
	v_or_b32_e32 v11, v2, v0
	v_cmp_gt_u32_e32 vcc, 32, v11
	s_and_saveexec_b64 s[10:11], vcc
	s_cbranch_execz .LBB88_42
; %bb.41:
	v_mov_b32_e32 v11, 0
	v_lshlrev_b32_e32 v15, 4, v1
	v_mov_b32_e32 v12, v11
	v_mov_b32_e32 v13, v11
	;; [unrolled: 1-line block ×3, first 2 shown]
	ds_write_b128 v15, v[11:14]
.LBB88_42:
	s_or_b64 exec, exec, s[10:11]
                                        ; implicit-def: $vgpr11_vgpr12
.LBB88_43:
	s_andn2_saveexec_b64 s[8:9], s[8:9]
	s_cbranch_execz .LBB88_49
; %bb.44:
	v_lshlrev_b64 v[11:12], 4, v[11:12]
	v_mov_b32_e32 v13, s87
	v_add_co_u32_e32 v11, vcc, s86, v11
	v_addc_co_u32_e32 v12, vcc, v13, v12, vcc
	global_load_dwordx4 v[11:14], v[11:12], off
                                        ; implicit-def: $vgpr15_vgpr16
	s_waitcnt vmcnt(0)
	v_cmp_ngt_f64_e64 s[10:11], |v[11:12]|, |v[13:14]|
	s_and_saveexec_b64 s[12:13], s[10:11]
	s_xor_b64 s[10:11], exec, s[12:13]
	s_cbranch_execz .LBB88_46
; %bb.45:
	v_div_scale_f64 v[15:16], s[12:13], v[13:14], v[13:14], v[11:12]
	v_rcp_f64_e32 v[17:18], v[15:16]
	v_fma_f64 v[21:22], -v[15:16], v[17:18], 1.0
	v_fma_f64 v[17:18], v[17:18], v[21:22], v[17:18]
	v_div_scale_f64 v[21:22], vcc, v[11:12], v[13:14], v[11:12]
	v_fma_f64 v[23:24], -v[15:16], v[17:18], 1.0
	v_fma_f64 v[17:18], v[17:18], v[23:24], v[17:18]
	v_mul_f64 v[23:24], v[21:22], v[17:18]
	v_fma_f64 v[15:16], -v[15:16], v[23:24], v[21:22]
	v_div_fmas_f64 v[15:16], v[15:16], v[17:18], v[23:24]
	v_div_fixup_f64 v[15:16], v[15:16], v[13:14], v[11:12]
	v_fma_f64 v[11:12], v[11:12], v[15:16], v[13:14]
	v_div_scale_f64 v[13:14], s[12:13], v[11:12], v[11:12], 1.0
	v_div_scale_f64 v[23:24], vcc, 1.0, v[11:12], 1.0
	v_rcp_f64_e32 v[17:18], v[13:14]
	v_fma_f64 v[21:22], -v[13:14], v[17:18], 1.0
	v_fma_f64 v[17:18], v[17:18], v[21:22], v[17:18]
	v_fma_f64 v[21:22], -v[13:14], v[17:18], 1.0
	v_fma_f64 v[17:18], v[17:18], v[21:22], v[17:18]
	v_mul_f64 v[21:22], v[23:24], v[17:18]
	v_fma_f64 v[13:14], -v[13:14], v[21:22], v[23:24]
	v_div_fmas_f64 v[13:14], v[13:14], v[17:18], v[21:22]
	v_div_fixup_f64 v[17:18], v[13:14], v[11:12], 1.0
                                        ; implicit-def: $vgpr11_vgpr12
	v_mul_f64 v[15:16], v[15:16], v[17:18]
	v_xor_b32_e32 v18, 0x80000000, v18
.LBB88_46:
	s_andn2_saveexec_b64 s[10:11], s[10:11]
	s_cbranch_execz .LBB88_48
; %bb.47:
	v_div_scale_f64 v[15:16], s[12:13], v[11:12], v[11:12], v[13:14]
	v_rcp_f64_e32 v[17:18], v[15:16]
	v_fma_f64 v[21:22], -v[15:16], v[17:18], 1.0
	v_fma_f64 v[17:18], v[17:18], v[21:22], v[17:18]
	v_div_scale_f64 v[21:22], vcc, v[13:14], v[11:12], v[13:14]
	v_fma_f64 v[23:24], -v[15:16], v[17:18], 1.0
	v_fma_f64 v[17:18], v[17:18], v[23:24], v[17:18]
	v_mul_f64 v[23:24], v[21:22], v[17:18]
	v_fma_f64 v[15:16], -v[15:16], v[23:24], v[21:22]
	v_div_fmas_f64 v[15:16], v[15:16], v[17:18], v[23:24]
	v_div_fixup_f64 v[17:18], v[15:16], v[11:12], v[13:14]
	v_fma_f64 v[11:12], v[13:14], v[17:18], v[11:12]
	v_div_scale_f64 v[13:14], s[12:13], v[11:12], v[11:12], 1.0
	v_div_scale_f64 v[23:24], vcc, 1.0, v[11:12], 1.0
	v_rcp_f64_e32 v[15:16], v[13:14]
	v_fma_f64 v[21:22], -v[13:14], v[15:16], 1.0
	v_fma_f64 v[15:16], v[15:16], v[21:22], v[15:16]
	v_fma_f64 v[21:22], -v[13:14], v[15:16], 1.0
	v_fma_f64 v[15:16], v[15:16], v[21:22], v[15:16]
	v_mul_f64 v[21:22], v[23:24], v[15:16]
	v_fma_f64 v[13:14], -v[13:14], v[21:22], v[23:24]
	v_div_fmas_f64 v[13:14], v[13:14], v[15:16], v[21:22]
	v_div_fixup_f64 v[15:16], v[13:14], v[11:12], 1.0
	v_mul_f64 v[17:18], v[17:18], -v[15:16]
.LBB88_48:
	s_or_b64 exec, exec, s[10:11]
	v_lshlrev_b32_e32 v11, 4, v1
	ds_write_b128 v11, v[15:18]
.LBB88_49:
	s_or_b64 exec, exec, s[8:9]
                                        ; implicit-def: $vgpr11_vgpr12
.LBB88_50:
	s_andn2_saveexec_b64 s[2:3], s[2:3]
	s_cbranch_execz .LBB88_52
; %bb.51:
	v_lshlrev_b64 v[11:12], 4, v[11:12]
	v_mov_b32_e32 v13, s87
	v_add_co_u32_e32 v11, vcc, s86, v11
	v_addc_co_u32_e32 v12, vcc, v13, v12, vcc
	global_load_dwordx4 v[11:14], v[11:12], off
	v_lshlrev_b32_e32 v15, 4, v1
	s_waitcnt vmcnt(0)
	v_xor_b32_e32 v12, 0x80000000, v12
	v_xor_b32_e32 v14, 0x80000000, v14
	ds_write_b128 v15, v[11:14]
.LBB88_52:
	s_or_b64 exec, exec, s[2:3]
	v_add_u32_e32 v13, 16, v2
	v_mad_u64_u32 v[11:12], s[2:3], s16, v13, v[19:20]
	v_cmp_gt_u32_e32 vcc, v13, v0
	v_lshl_add_u32 v19, v13, 5, v0
	v_mad_u64_u32 v[14:15], s[2:3], s17, v13, v[12:13]
	v_cmp_gt_i32_e64 s[2:3], s85, v13
	s_and_b64 s[2:3], vcc, s[2:3]
	s_and_b64 s[2:3], s[0:1], s[2:3]
	v_mov_b32_e32 v12, v14
	s_xor_b64 s[2:3], s[2:3], -1
	s_and_saveexec_b64 s[8:9], s[2:3]
	s_xor_b64 s[2:3], exec, s[8:9]
	s_cbranch_execz .LBB88_64
; %bb.53:
	v_cmp_ne_u32_e32 vcc, v0, v13
	s_xor_b64 s[0:1], s[0:1], -1
	s_or_b64 s[0:1], s[0:1], vcc
	s_and_saveexec_b64 s[8:9], s[0:1]
	s_xor_b64 s[0:1], exec, s[8:9]
	s_cbranch_execz .LBB88_57
; %bb.54:
	v_or_b32_e32 v11, v13, v0
	v_cmp_gt_u32_e32 vcc, 32, v11
	s_and_saveexec_b64 s[8:9], vcc
	s_cbranch_execz .LBB88_56
; %bb.55:
	v_mov_b32_e32 v11, 0
	v_lshlrev_b32_e32 v15, 4, v19
	v_mov_b32_e32 v12, v11
	v_mov_b32_e32 v13, v11
	;; [unrolled: 1-line block ×3, first 2 shown]
	ds_write_b128 v15, v[11:14]
.LBB88_56:
	s_or_b64 exec, exec, s[8:9]
                                        ; implicit-def: $vgpr19
                                        ; implicit-def: $vgpr11_vgpr12
.LBB88_57:
	s_andn2_saveexec_b64 s[0:1], s[0:1]
	s_cbranch_execz .LBB88_63
; %bb.58:
	v_lshlrev_b64 v[11:12], 4, v[11:12]
	v_mov_b32_e32 v13, s87
	v_add_co_u32_e32 v11, vcc, s86, v11
	v_addc_co_u32_e32 v12, vcc, v13, v12, vcc
	global_load_dwordx4 v[11:14], v[11:12], off
                                        ; implicit-def: $vgpr15_vgpr16
	s_waitcnt vmcnt(0)
	v_cmp_ngt_f64_e64 s[8:9], |v[11:12]|, |v[13:14]|
	s_and_saveexec_b64 s[10:11], s[8:9]
	s_xor_b64 s[8:9], exec, s[10:11]
	s_cbranch_execz .LBB88_60
; %bb.59:
	v_div_scale_f64 v[15:16], s[10:11], v[13:14], v[13:14], v[11:12]
	v_rcp_f64_e32 v[17:18], v[15:16]
	v_fma_f64 v[20:21], -v[15:16], v[17:18], 1.0
	v_fma_f64 v[17:18], v[17:18], v[20:21], v[17:18]
	v_div_scale_f64 v[20:21], vcc, v[11:12], v[13:14], v[11:12]
	v_fma_f64 v[22:23], -v[15:16], v[17:18], 1.0
	v_fma_f64 v[17:18], v[17:18], v[22:23], v[17:18]
	v_mul_f64 v[22:23], v[20:21], v[17:18]
	v_fma_f64 v[15:16], -v[15:16], v[22:23], v[20:21]
	v_div_fmas_f64 v[15:16], v[15:16], v[17:18], v[22:23]
	v_div_fixup_f64 v[15:16], v[15:16], v[13:14], v[11:12]
	v_fma_f64 v[11:12], v[11:12], v[15:16], v[13:14]
	v_div_scale_f64 v[13:14], s[10:11], v[11:12], v[11:12], 1.0
	v_div_scale_f64 v[22:23], vcc, 1.0, v[11:12], 1.0
	v_rcp_f64_e32 v[17:18], v[13:14]
	v_fma_f64 v[20:21], -v[13:14], v[17:18], 1.0
	v_fma_f64 v[17:18], v[17:18], v[20:21], v[17:18]
	v_fma_f64 v[20:21], -v[13:14], v[17:18], 1.0
	v_fma_f64 v[17:18], v[17:18], v[20:21], v[17:18]
	v_mul_f64 v[20:21], v[22:23], v[17:18]
	v_fma_f64 v[13:14], -v[13:14], v[20:21], v[22:23]
	v_div_fmas_f64 v[13:14], v[13:14], v[17:18], v[20:21]
	v_div_fixup_f64 v[17:18], v[13:14], v[11:12], 1.0
                                        ; implicit-def: $vgpr11_vgpr12
	v_mul_f64 v[15:16], v[15:16], v[17:18]
	v_xor_b32_e32 v18, 0x80000000, v18
.LBB88_60:
	s_andn2_saveexec_b64 s[8:9], s[8:9]
	s_cbranch_execz .LBB88_62
; %bb.61:
	v_div_scale_f64 v[15:16], s[10:11], v[11:12], v[11:12], v[13:14]
	v_rcp_f64_e32 v[17:18], v[15:16]
	v_fma_f64 v[20:21], -v[15:16], v[17:18], 1.0
	v_fma_f64 v[17:18], v[17:18], v[20:21], v[17:18]
	v_div_scale_f64 v[20:21], vcc, v[13:14], v[11:12], v[13:14]
	v_fma_f64 v[22:23], -v[15:16], v[17:18], 1.0
	v_fma_f64 v[17:18], v[17:18], v[22:23], v[17:18]
	v_mul_f64 v[22:23], v[20:21], v[17:18]
	v_fma_f64 v[15:16], -v[15:16], v[22:23], v[20:21]
	v_div_fmas_f64 v[15:16], v[15:16], v[17:18], v[22:23]
	v_div_fixup_f64 v[17:18], v[15:16], v[11:12], v[13:14]
	v_fma_f64 v[11:12], v[13:14], v[17:18], v[11:12]
	v_div_scale_f64 v[13:14], s[10:11], v[11:12], v[11:12], 1.0
	v_div_scale_f64 v[22:23], vcc, 1.0, v[11:12], 1.0
	v_rcp_f64_e32 v[15:16], v[13:14]
	v_fma_f64 v[20:21], -v[13:14], v[15:16], 1.0
	v_fma_f64 v[15:16], v[15:16], v[20:21], v[15:16]
	v_fma_f64 v[20:21], -v[13:14], v[15:16], 1.0
	v_fma_f64 v[15:16], v[15:16], v[20:21], v[15:16]
	v_mul_f64 v[20:21], v[22:23], v[15:16]
	v_fma_f64 v[13:14], -v[13:14], v[20:21], v[22:23]
	v_div_fmas_f64 v[13:14], v[13:14], v[15:16], v[20:21]
	v_div_fixup_f64 v[15:16], v[13:14], v[11:12], 1.0
	v_mul_f64 v[17:18], v[17:18], -v[15:16]
.LBB88_62:
	s_or_b64 exec, exec, s[8:9]
	v_lshlrev_b32_e32 v11, 4, v19
	ds_write_b128 v11, v[15:18]
.LBB88_63:
	s_or_b64 exec, exec, s[0:1]
                                        ; implicit-def: $vgpr11_vgpr12
                                        ; implicit-def: $vgpr19
.LBB88_64:
	s_andn2_saveexec_b64 s[0:1], s[2:3]
	s_cbranch_execz .LBB88_66
; %bb.65:
	v_lshlrev_b64 v[11:12], 4, v[11:12]
	v_mov_b32_e32 v13, s87
	v_add_co_u32_e32 v11, vcc, s86, v11
	v_addc_co_u32_e32 v12, vcc, v13, v12, vcc
	global_load_dwordx4 v[11:14], v[11:12], off
	v_lshlrev_b32_e32 v15, 4, v19
	s_waitcnt vmcnt(0)
	v_xor_b32_e32 v12, 0x80000000, v12
	v_xor_b32_e32 v14, 0x80000000, v14
	ds_write_b128 v15, v[11:14]
.LBB88_66:
	s_or_b64 exec, exec, s[0:1]
.LBB88_67:
	s_cmp_lt_i32 s6, 5
	s_cselect_b64 s[0:1], -1, 0
	s_or_b64 s[34:35], s[0:1], s[18:19]
	s_and_b64 vcc, exec, s[34:35]
	s_waitcnt vmcnt(0) lgkmcnt(0)
	s_barrier
	s_cbranch_vccnz .LBB88_461
; %bb.68:
	v_or_b32_e32 v11, v0, v2
	v_cmp_eq_u32_e32 vcc, 0, v11
	s_and_saveexec_b64 s[0:1], vcc
	s_cbranch_execz .LBB88_70
; %bb.69:
	v_mov_b32_e32 v25, 0
	ds_read_b128 v[11:14], v25 offset:16368
	ds_read_b128 v[15:18], v25 offset:15840
	;; [unrolled: 1-line block ×3, first 2 shown]
	s_waitcnt lgkmcnt(1)
	v_mul_f64 v[23:24], v[11:12], v[17:18]
	v_mul_f64 v[17:18], v[13:14], v[17:18]
	v_fma_f64 v[13:14], v[13:14], v[15:16], v[23:24]
	v_fma_f64 v[11:12], v[11:12], v[15:16], -v[17:18]
	s_waitcnt lgkmcnt(0)
	v_mul_f64 v[15:16], v[13:14], v[21:22]
	v_mul_f64 v[17:18], v[11:12], v[21:22]
	v_fma_f64 v[11:12], v[19:20], v[11:12], -v[15:16]
	v_fma_f64 v[13:14], v[19:20], v[13:14], v[17:18]
	ds_write_b128 v25, v[11:14] offset:16352
.LBB88_70:
	s_or_b64 exec, exec, s[0:1]
	v_lshlrev_b32_e32 v11, 5, v2
	v_add_u32_e32 v18, v11, v0
	v_add_u16_e32 v11, v11, v0
	v_lshrrev_b16_e32 v17, 1, v11
	v_mov_b32_e32 v11, 0
	v_mov_b32_e32 v13, 0
	v_and_b32_e32 v15, 1, v0
	v_sub_u32_e32 v16, 1, v17
	v_cmp_lt_u32_e64 s[2:3], 3, v18
	v_mov_b32_e32 v12, 0
	v_mov_b32_e32 v14, 0
	v_cmp_gt_u32_e64 s[0:1], 4, v18
	s_waitcnt lgkmcnt(0)
	s_barrier
	buffer_wbinvl1_vol
	s_and_saveexec_b64 s[10:11], s[0:1]
	s_cbranch_execz .LBB88_74
; %bb.71:
	v_lshlrev_b32_e32 v19, 4, v15
	v_lshlrev_b32_e32 v11, 9, v16
	ds_read_b128 v[11:14], v11 offset:15840
	ds_read_b128 v[19:22], v19 offset:15808
	v_cmp_gt_u32_e64 s[8:9], 2, v18
	s_waitcnt lgkmcnt(0)
	v_mul_f64 v[23:24], v[13:14], v[21:22]
	v_mul_f64 v[21:22], v[11:12], v[21:22]
	v_fma_f64 v[11:12], v[11:12], v[19:20], -v[23:24]
	v_fma_f64 v[13:14], v[13:14], v[19:20], v[21:22]
	v_add_f64 v[11:12], v[11:12], 0
	v_add_f64 v[13:14], v[13:14], 0
	s_and_saveexec_b64 s[12:13], s[8:9]
	s_cbranch_execz .LBB88_73
; %bb.72:
	v_lshlrev_b32_e32 v23, 4, v0
	v_mov_b32_e32 v19, 0
	ds_read_b128 v[19:22], v19 offset:16368
	ds_read_b128 v[23:26], v23 offset:16320
	s_waitcnt lgkmcnt(0)
	v_mul_f64 v[27:28], v[21:22], v[25:26]
	v_mul_f64 v[25:26], v[19:20], v[25:26]
	v_fma_f64 v[19:20], v[19:20], v[23:24], -v[27:28]
	v_fma_f64 v[21:22], v[21:22], v[23:24], v[25:26]
	v_add_f64 v[11:12], v[11:12], v[19:20]
	v_add_f64 v[13:14], v[13:14], v[21:22]
.LBB88_73:
	s_or_b64 exec, exec, s[12:13]
.LBB88_74:
	s_or_b64 exec, exec, s[10:11]
	v_mov_b32_e32 v19, 0x4000
	v_cmp_ne_u32_e64 s[8:9], 0, v15
	s_xor_b64 s[10:11], s[2:3], -1
	v_lshl_add_u32 v17, v17, 4, v19
	s_and_b64 s[38:39], s[8:9], s[10:11]
	s_and_saveexec_b64 s[2:3], s[38:39]
	s_cbranch_execz .LBB88_76
; %bb.75:
	v_mov_b32_e32 v19, 0
	ds_read_b128 v[19:22], v19 offset:15312
	s_waitcnt lgkmcnt(0)
	v_mul_f64 v[23:24], v[13:14], v[21:22]
	v_mul_f64 v[21:22], v[11:12], v[21:22]
	v_fma_f64 v[11:12], v[11:12], v[19:20], -v[23:24]
	v_fma_f64 v[13:14], v[13:14], v[19:20], v[21:22]
	v_xor_b32_e32 v20, 0x80000000, v12
	v_xor_b32_e32 v22, 0x80000000, v14
	v_mov_b32_e32 v19, v11
	v_mov_b32_e32 v21, v13
	ds_write_b128 v17, v[19:22]
.LBB88_76:
	s_or_b64 exec, exec, s[2:3]
	v_cmp_eq_u32_e64 s[2:3], 0, v15
	s_and_b64 s[36:37], s[2:3], s[10:11]
	s_waitcnt lgkmcnt(0)
	s_barrier
	s_and_saveexec_b64 s[2:3], s[36:37]
	s_cbranch_execz .LBB88_78
; %bb.77:
	v_mov_b32_e32 v23, 0
	ds_read_b128 v[19:22], v17
	ds_read_b128 v[23:26], v23 offset:15296
	s_waitcnt lgkmcnt(0)
	v_mul_f64 v[27:28], v[21:22], v[25:26]
	v_mul_f64 v[25:26], v[19:20], v[25:26]
	v_fma_f64 v[19:20], v[19:20], v[23:24], -v[27:28]
	v_fma_f64 v[21:22], v[21:22], v[23:24], v[25:26]
	v_add_f64 v[11:12], v[11:12], -v[19:20]
	v_add_f64 v[13:14], v[13:14], -v[21:22]
.LBB88_78:
	s_or_b64 exec, exec, s[2:3]
	s_barrier
	s_and_saveexec_b64 s[2:3], s[36:37]
	s_cbranch_execz .LBB88_80
; %bb.79:
	v_mov_b32_e32 v19, 0
	ds_read_b128 v[19:22], v19 offset:14784
	s_waitcnt lgkmcnt(0)
	v_mul_f64 v[23:24], v[13:14], v[21:22]
	v_mul_f64 v[21:22], v[11:12], v[21:22]
	v_fma_f64 v[11:12], v[11:12], v[19:20], -v[23:24]
	v_fma_f64 v[13:14], v[13:14], v[19:20], v[21:22]
	v_xor_b32_e32 v20, 0x80000000, v12
	v_xor_b32_e32 v22, 0x80000000, v14
	v_mov_b32_e32 v19, v11
	v_mov_b32_e32 v21, v13
	ds_write_b128 v17, v[19:22]
.LBB88_80:
	s_or_b64 exec, exec, s[2:3]
	s_waitcnt lgkmcnt(0)
	s_barrier
	s_barrier
	s_and_saveexec_b64 s[2:3], s[0:1]
; %bb.81:
	v_lshlrev_b32_e32 v19, 4, v15
	v_lshl_or_b32 v19, v16, 9, v19
	ds_write_b128 v19, v[11:14] offset:15808
; %bb.82:
	s_or_b64 exec, exec, s[2:3]
	s_waitcnt lgkmcnt(0)
	s_barrier
	s_barrier
	s_and_saveexec_b64 s[2:3], vcc
	s_cbranch_execz .LBB88_84
; %bb.83:
	v_mov_b32_e32 v29, 0
	ds_read_b128 v[11:14], v29 offset:15312
	ds_read_b128 v[19:22], v29 offset:14784
	;; [unrolled: 1-line block ×3, first 2 shown]
	s_waitcnt lgkmcnt(1)
	v_mul_f64 v[27:28], v[11:12], v[21:22]
	v_mul_f64 v[21:22], v[13:14], v[21:22]
	v_fma_f64 v[13:14], v[13:14], v[19:20], v[27:28]
	v_fma_f64 v[11:12], v[11:12], v[19:20], -v[21:22]
	s_waitcnt lgkmcnt(0)
	v_mul_f64 v[19:20], v[13:14], v[25:26]
	v_mul_f64 v[21:22], v[11:12], v[25:26]
	v_fma_f64 v[11:12], v[23:24], v[11:12], -v[19:20]
	v_fma_f64 v[13:14], v[23:24], v[13:14], v[21:22]
	ds_write_b128 v29, v[11:14] offset:15296
.LBB88_84:
	s_or_b64 exec, exec, s[2:3]
	v_lshrrev_b32_e32 v21, 2, v18
	v_mov_b32_e32 v13, 0
	v_mov_b32_e32 v11, 0
	v_and_b32_e32 v19, 3, v0
	v_sub_u32_e32 v20, 3, v21
	v_cmp_lt_u32_e64 s[8:9], 15, v18
	v_mov_b32_e32 v14, 0
	v_mov_b32_e32 v12, 0
	v_cmp_gt_u32_e64 s[2:3], 16, v18
	s_waitcnt lgkmcnt(0)
	s_barrier
	buffer_wbinvl1_vol
	s_and_saveexec_b64 s[12:13], s[2:3]
	s_cbranch_execz .LBB88_90
; %bb.85:
	v_lshlrev_b32_e32 v23, 9, v20
	v_lshlrev_b32_e32 v22, 4, v19
	ds_read_b128 v[11:14], v23 offset:14784
	ds_read_b128 v[24:27], v22 offset:14720
	v_cmp_gt_u32_e64 s[10:11], 12, v18
	s_waitcnt lgkmcnt(0)
	v_mul_f64 v[28:29], v[13:14], v[26:27]
	v_mul_f64 v[26:27], v[11:12], v[26:27]
	v_fma_f64 v[11:12], v[11:12], v[24:25], -v[28:29]
	v_fma_f64 v[13:14], v[13:14], v[24:25], v[26:27]
	v_add_f64 v[11:12], v[11:12], 0
	v_add_f64 v[13:14], v[13:14], 0
	s_and_saveexec_b64 s[14:15], s[10:11]
	s_cbranch_execnz .LBB88_520
; %bb.86:
	s_or_b64 exec, exec, s[14:15]
	v_cmp_gt_u32_e64 s[10:11], 8, v18
	s_and_saveexec_b64 s[14:15], s[10:11]
	s_cbranch_execnz .LBB88_521
.LBB88_87:
	s_or_b64 exec, exec, s[14:15]
	v_cmp_gt_u32_e64 s[10:11], 4, v18
	s_and_saveexec_b64 s[14:15], s[10:11]
	s_cbranch_execz .LBB88_89
.LBB88_88:
	v_lshlrev_b32_e32 v26, 4, v0
	v_mov_b32_e32 v22, 0
	ds_read_b128 v[22:25], v22 offset:16368
	ds_read_b128 v[26:29], v26 offset:16256
	s_waitcnt lgkmcnt(0)
	v_mul_f64 v[30:31], v[24:25], v[28:29]
	v_mul_f64 v[28:29], v[22:23], v[28:29]
	v_fma_f64 v[22:23], v[22:23], v[26:27], -v[30:31]
	v_fma_f64 v[24:25], v[24:25], v[26:27], v[28:29]
	v_add_f64 v[11:12], v[11:12], v[22:23]
	v_add_f64 v[13:14], v[13:14], v[24:25]
.LBB88_89:
	s_or_b64 exec, exec, s[14:15]
.LBB88_90:
	s_or_b64 exec, exec, s[12:13]
	v_mov_b32_e32 v22, 0x4000
	v_cmp_eq_u32_e64 s[10:11], 3, v19
	s_xor_b64 s[12:13], s[8:9], -1
	v_lshl_add_u32 v21, v21, 4, v22
	s_and_b64 s[42:43], s[10:11], s[12:13]
	s_and_saveexec_b64 s[8:9], s[42:43]
	s_cbranch_execz .LBB88_92
; %bb.91:
	v_mov_b32_e32 v22, 0
	ds_read_b128 v[22:25], v22 offset:14256
	s_waitcnt lgkmcnt(0)
	v_mul_f64 v[26:27], v[13:14], v[24:25]
	v_mul_f64 v[24:25], v[11:12], v[24:25]
	v_fma_f64 v[11:12], v[11:12], v[22:23], -v[26:27]
	v_fma_f64 v[13:14], v[13:14], v[22:23], v[24:25]
	v_xor_b32_e32 v23, 0x80000000, v12
	v_xor_b32_e32 v25, 0x80000000, v14
	v_mov_b32_e32 v22, v11
	v_mov_b32_e32 v24, v13
	ds_write_b128 v21, v[22:25]
.LBB88_92:
	s_or_b64 exec, exec, s[8:9]
	v_cmp_ne_u32_e64 s[8:9], 3, v19
	s_and_b64 s[44:45], s[8:9], s[12:13]
	s_waitcnt lgkmcnt(0)
	s_barrier
	s_and_saveexec_b64 s[8:9], s[44:45]
	s_cbranch_execz .LBB88_94
; %bb.93:
	v_lshlrev_b32_e32 v26, 4, v19
	ds_read_b128 v[22:25], v21
	ds_read_b128 v[26:29], v26 offset:14208
	s_waitcnt lgkmcnt(0)
	v_mul_f64 v[30:31], v[24:25], v[28:29]
	v_mul_f64 v[28:29], v[22:23], v[28:29]
	v_fma_f64 v[22:23], v[22:23], v[26:27], -v[30:31]
	v_fma_f64 v[24:25], v[24:25], v[26:27], v[28:29]
	v_add_f64 v[11:12], v[11:12], -v[22:23]
	v_add_f64 v[13:14], v[13:14], -v[24:25]
.LBB88_94:
	s_or_b64 exec, exec, s[8:9]
	v_cmp_eq_u32_e64 s[8:9], 2, v19
	s_and_b64 s[46:47], s[8:9], s[12:13]
	s_barrier
	s_and_saveexec_b64 s[8:9], s[46:47]
	s_cbranch_execz .LBB88_96
; %bb.95:
	v_mov_b32_e32 v22, 0
	ds_read_b128 v[22:25], v22 offset:13728
	s_waitcnt lgkmcnt(0)
	v_mul_f64 v[26:27], v[13:14], v[24:25]
	v_mul_f64 v[24:25], v[11:12], v[24:25]
	v_fma_f64 v[11:12], v[11:12], v[22:23], -v[26:27]
	v_fma_f64 v[13:14], v[13:14], v[22:23], v[24:25]
	v_xor_b32_e32 v23, 0x80000000, v12
	v_xor_b32_e32 v25, 0x80000000, v14
	v_mov_b32_e32 v22, v11
	v_mov_b32_e32 v24, v13
	ds_write_b128 v21, v[22:25]
.LBB88_96:
	s_or_b64 exec, exec, s[8:9]
	v_cmp_gt_u32_e64 s[8:9], 2, v19
	s_and_b64 s[48:49], s[8:9], s[12:13]
	s_waitcnt lgkmcnt(0)
	s_barrier
	s_and_saveexec_b64 s[8:9], s[48:49]
	s_cbranch_execz .LBB88_98
; %bb.97:
	v_lshlrev_b32_e32 v26, 4, v19
	ds_read_b128 v[22:25], v21
	ds_read_b128 v[26:29], v26 offset:13696
	s_waitcnt lgkmcnt(0)
	v_mul_f64 v[30:31], v[24:25], v[28:29]
	v_mul_f64 v[28:29], v[22:23], v[28:29]
	v_fma_f64 v[22:23], v[22:23], v[26:27], -v[30:31]
	v_fma_f64 v[24:25], v[24:25], v[26:27], v[28:29]
	v_add_f64 v[11:12], v[11:12], -v[22:23]
	v_add_f64 v[13:14], v[13:14], -v[24:25]
.LBB88_98:
	s_or_b64 exec, exec, s[8:9]
	v_cmp_eq_u32_e64 s[8:9], 1, v19
	s_and_b64 s[50:51], s[8:9], s[12:13]
	s_barrier
	s_and_saveexec_b64 s[8:9], s[50:51]
	s_cbranch_execz .LBB88_100
; %bb.99:
	v_mov_b32_e32 v22, 0
	ds_read_b128 v[22:25], v22 offset:13200
	s_waitcnt lgkmcnt(0)
	v_mul_f64 v[26:27], v[13:14], v[24:25]
	v_mul_f64 v[24:25], v[11:12], v[24:25]
	v_fma_f64 v[11:12], v[11:12], v[22:23], -v[26:27]
	v_fma_f64 v[13:14], v[13:14], v[22:23], v[24:25]
	v_xor_b32_e32 v23, 0x80000000, v12
	v_xor_b32_e32 v25, 0x80000000, v14
	v_mov_b32_e32 v22, v11
	v_mov_b32_e32 v24, v13
	ds_write_b128 v21, v[22:25]
.LBB88_100:
	s_or_b64 exec, exec, s[8:9]
	v_cmp_eq_u32_e64 s[8:9], 0, v19
	s_and_b64 s[40:41], s[8:9], s[12:13]
	s_waitcnt lgkmcnt(0)
	s_barrier
	s_and_saveexec_b64 s[8:9], s[40:41]
	s_cbranch_execz .LBB88_102
; %bb.101:
	v_mov_b32_e32 v26, 0
	ds_read_b128 v[22:25], v21
	ds_read_b128 v[26:29], v26 offset:13184
	s_waitcnt lgkmcnt(0)
	v_mul_f64 v[30:31], v[24:25], v[28:29]
	v_mul_f64 v[28:29], v[22:23], v[28:29]
	v_fma_f64 v[22:23], v[22:23], v[26:27], -v[30:31]
	v_fma_f64 v[24:25], v[24:25], v[26:27], v[28:29]
	v_add_f64 v[11:12], v[11:12], -v[22:23]
	v_add_f64 v[13:14], v[13:14], -v[24:25]
.LBB88_102:
	s_or_b64 exec, exec, s[8:9]
	s_barrier
	s_and_saveexec_b64 s[8:9], s[40:41]
	s_cbranch_execz .LBB88_104
; %bb.103:
	v_mov_b32_e32 v22, 0
	ds_read_b128 v[22:25], v22 offset:12672
	s_waitcnt lgkmcnt(0)
	v_mul_f64 v[26:27], v[13:14], v[24:25]
	v_mul_f64 v[24:25], v[11:12], v[24:25]
	v_fma_f64 v[11:12], v[11:12], v[22:23], -v[26:27]
	v_fma_f64 v[13:14], v[13:14], v[22:23], v[24:25]
	v_xor_b32_e32 v23, 0x80000000, v12
	v_xor_b32_e32 v25, 0x80000000, v14
	v_mov_b32_e32 v22, v11
	v_mov_b32_e32 v24, v13
	ds_write_b128 v21, v[22:25]
.LBB88_104:
	s_or_b64 exec, exec, s[8:9]
	s_waitcnt lgkmcnt(0)
	s_barrier
	s_barrier
	s_and_saveexec_b64 s[8:9], s[2:3]
; %bb.105:
	v_lshlrev_b32_e32 v22, 4, v19
	v_lshl_or_b32 v22, v20, 9, v22
	ds_write_b128 v22, v[11:14] offset:14720
; %bb.106:
	s_or_b64 exec, exec, s[8:9]
	s_waitcnt lgkmcnt(0)
	s_barrier
	s_barrier
	s_and_saveexec_b64 s[8:9], vcc
	s_cbranch_execz .LBB88_108
; %bb.107:
	v_mov_b32_e32 v32, 0
	ds_read_b128 v[11:14], v32 offset:14256
	ds_read_b128 v[22:25], v32 offset:13728
	;; [unrolled: 1-line block ×3, first 2 shown]
	s_waitcnt lgkmcnt(1)
	v_mul_f64 v[30:31], v[11:12], v[24:25]
	v_mul_f64 v[24:25], v[13:14], v[24:25]
	v_fma_f64 v[13:14], v[13:14], v[22:23], v[30:31]
	v_fma_f64 v[11:12], v[11:12], v[22:23], -v[24:25]
	s_waitcnt lgkmcnt(0)
	v_mul_f64 v[22:23], v[13:14], v[28:29]
	v_mul_f64 v[24:25], v[11:12], v[28:29]
	v_fma_f64 v[11:12], v[26:27], v[11:12], -v[22:23]
	v_fma_f64 v[13:14], v[26:27], v[13:14], v[24:25]
	ds_write_b128 v32, v[11:14] offset:14240
.LBB88_108:
	s_or_b64 exec, exec, s[8:9]
	v_mov_b32_e32 v11, 0
	v_mov_b32_e32 v13, 0
	;; [unrolled: 1-line block ×4, first 2 shown]
	s_waitcnt lgkmcnt(0)
	s_barrier
	buffer_wbinvl1_vol
	s_and_saveexec_b64 s[10:11], s[0:1]
	s_cbranch_execz .LBB88_112
; %bb.109:
	v_lshlrev_b32_e32 v22, 4, v15
	v_lshlrev_b32_e32 v11, 9, v16
	ds_read_b128 v[11:14], v11 offset:13728
	ds_read_b128 v[22:25], v22 offset:13696
	v_cmp_gt_u32_e64 s[8:9], 2, v18
	s_waitcnt lgkmcnt(0)
	v_mul_f64 v[26:27], v[13:14], v[24:25]
	v_mul_f64 v[24:25], v[11:12], v[24:25]
	v_fma_f64 v[11:12], v[11:12], v[22:23], -v[26:27]
	v_fma_f64 v[13:14], v[13:14], v[22:23], v[24:25]
	v_add_f64 v[11:12], v[11:12], 0
	v_add_f64 v[13:14], v[13:14], 0
	s_and_saveexec_b64 s[12:13], s[8:9]
	s_cbranch_execz .LBB88_111
; %bb.110:
	v_lshlrev_b32_e32 v26, 4, v0
	v_mov_b32_e32 v22, 0
	ds_read_b128 v[22:25], v22 offset:14256
	ds_read_b128 v[26:29], v26 offset:14208
	s_waitcnt lgkmcnt(0)
	v_mul_f64 v[30:31], v[24:25], v[28:29]
	v_mul_f64 v[28:29], v[22:23], v[28:29]
	v_fma_f64 v[22:23], v[22:23], v[26:27], -v[30:31]
	v_fma_f64 v[24:25], v[24:25], v[26:27], v[28:29]
	v_add_f64 v[11:12], v[11:12], v[22:23]
	v_add_f64 v[13:14], v[13:14], v[24:25]
.LBB88_111:
	s_or_b64 exec, exec, s[12:13]
.LBB88_112:
	s_or_b64 exec, exec, s[10:11]
	s_and_saveexec_b64 s[8:9], s[38:39]
	s_cbranch_execz .LBB88_114
; %bb.113:
	v_mov_b32_e32 v22, 0
	ds_read_b128 v[22:25], v22 offset:13200
	s_waitcnt lgkmcnt(0)
	v_mul_f64 v[26:27], v[13:14], v[24:25]
	v_mul_f64 v[24:25], v[11:12], v[24:25]
	v_fma_f64 v[11:12], v[11:12], v[22:23], -v[26:27]
	v_fma_f64 v[13:14], v[13:14], v[22:23], v[24:25]
	v_xor_b32_e32 v23, 0x80000000, v12
	v_xor_b32_e32 v25, 0x80000000, v14
	v_mov_b32_e32 v22, v11
	v_mov_b32_e32 v24, v13
	ds_write_b128 v17, v[22:25]
.LBB88_114:
	s_or_b64 exec, exec, s[8:9]
	s_waitcnt lgkmcnt(0)
	s_barrier
	s_and_saveexec_b64 s[8:9], s[36:37]
	s_cbranch_execz .LBB88_116
; %bb.115:
	v_mov_b32_e32 v26, 0
	ds_read_b128 v[22:25], v17
	ds_read_b128 v[26:29], v26 offset:13184
	s_waitcnt lgkmcnt(0)
	v_mul_f64 v[30:31], v[24:25], v[28:29]
	v_mul_f64 v[28:29], v[22:23], v[28:29]
	v_fma_f64 v[22:23], v[22:23], v[26:27], -v[30:31]
	v_fma_f64 v[24:25], v[24:25], v[26:27], v[28:29]
	v_add_f64 v[11:12], v[11:12], -v[22:23]
	v_add_f64 v[13:14], v[13:14], -v[24:25]
.LBB88_116:
	s_or_b64 exec, exec, s[8:9]
	s_barrier
	s_and_saveexec_b64 s[8:9], s[36:37]
	s_cbranch_execz .LBB88_118
; %bb.117:
	v_mov_b32_e32 v22, 0
	ds_read_b128 v[22:25], v22 offset:12672
	s_waitcnt lgkmcnt(0)
	v_mul_f64 v[26:27], v[13:14], v[24:25]
	v_mul_f64 v[24:25], v[11:12], v[24:25]
	v_fma_f64 v[11:12], v[11:12], v[22:23], -v[26:27]
	v_fma_f64 v[13:14], v[13:14], v[22:23], v[24:25]
	v_xor_b32_e32 v23, 0x80000000, v12
	v_xor_b32_e32 v25, 0x80000000, v14
	v_mov_b32_e32 v22, v11
	v_mov_b32_e32 v24, v13
	ds_write_b128 v17, v[22:25]
.LBB88_118:
	s_or_b64 exec, exec, s[8:9]
	s_waitcnt lgkmcnt(0)
	s_barrier
	s_barrier
	s_and_saveexec_b64 s[8:9], s[0:1]
; %bb.119:
	v_lshlrev_b32_e32 v22, 4, v15
	v_lshl_or_b32 v22, v16, 9, v22
	ds_write_b128 v22, v[11:14] offset:13696
; %bb.120:
	s_or_b64 exec, exec, s[8:9]
	s_waitcnt lgkmcnt(0)
	s_barrier
	s_barrier
	s_and_saveexec_b64 s[8:9], vcc
	s_cbranch_execz .LBB88_122
; %bb.121:
	v_mov_b32_e32 v32, 0
	ds_read_b128 v[11:14], v32 offset:13200
	ds_read_b128 v[22:25], v32 offset:12672
	;; [unrolled: 1-line block ×3, first 2 shown]
	s_waitcnt lgkmcnt(1)
	v_mul_f64 v[30:31], v[11:12], v[24:25]
	v_mul_f64 v[24:25], v[13:14], v[24:25]
	v_fma_f64 v[13:14], v[13:14], v[22:23], v[30:31]
	v_fma_f64 v[11:12], v[11:12], v[22:23], -v[24:25]
	s_waitcnt lgkmcnt(0)
	v_mul_f64 v[22:23], v[13:14], v[28:29]
	v_mul_f64 v[24:25], v[11:12], v[28:29]
	v_fma_f64 v[11:12], v[26:27], v[11:12], -v[22:23]
	v_fma_f64 v[13:14], v[26:27], v[13:14], v[24:25]
	ds_write_b128 v32, v[11:14] offset:13184
.LBB88_122:
	s_or_b64 exec, exec, s[8:9]
	v_lshrrev_b32_e32 v24, 3, v18
	v_mov_b32_e32 v13, 0
	v_mov_b32_e32 v11, 0
	v_and_b32_e32 v22, 7, v0
	v_sub_u32_e32 v23, 7, v24
	v_cmp_lt_u32_e64 s[8:9], 63, v18
	v_mov_b32_e32 v14, 0
	v_mov_b32_e32 v12, 0
	v_cmp_gt_u32_e64 s[12:13], 64, v18
	s_waitcnt lgkmcnt(0)
	s_barrier
	buffer_wbinvl1_vol
	s_and_saveexec_b64 s[14:15], s[12:13]
	s_cbranch_execz .LBB88_132
; %bb.123:
	v_lshlrev_b32_e32 v26, 9, v23
	v_lshlrev_b32_e32 v25, 4, v22
	ds_read_b128 v[11:14], v26 offset:12672
	ds_read_b128 v[27:30], v25 offset:12544
	v_cmp_gt_u32_e64 s[10:11], 56, v18
	s_waitcnt lgkmcnt(0)
	v_mul_f64 v[31:32], v[13:14], v[29:30]
	v_mul_f64 v[29:30], v[11:12], v[29:30]
	v_fma_f64 v[11:12], v[11:12], v[27:28], -v[31:32]
	v_fma_f64 v[13:14], v[13:14], v[27:28], v[29:30]
	v_add_f64 v[11:12], v[11:12], 0
	v_add_f64 v[13:14], v[13:14], 0
	s_and_saveexec_b64 s[52:53], s[10:11]
	s_cbranch_execnz .LBB88_522
; %bb.124:
	s_or_b64 exec, exec, s[52:53]
	v_cmp_gt_u32_e64 s[10:11], 48, v18
	s_and_saveexec_b64 s[52:53], s[10:11]
	s_cbranch_execnz .LBB88_523
.LBB88_125:
	s_or_b64 exec, exec, s[52:53]
	v_cmp_gt_u32_e64 s[10:11], 40, v18
	s_and_saveexec_b64 s[52:53], s[10:11]
	s_cbranch_execnz .LBB88_524
.LBB88_126:
	s_or_b64 exec, exec, s[52:53]
	v_cmp_gt_u32_e64 s[10:11], 32, v18
	s_and_saveexec_b64 s[52:53], s[10:11]
	s_cbranch_execnz .LBB88_525
.LBB88_127:
	s_or_b64 exec, exec, s[52:53]
	v_cmp_gt_u32_e64 s[10:11], 24, v18
	s_and_saveexec_b64 s[52:53], s[10:11]
	s_cbranch_execnz .LBB88_526
.LBB88_128:
	s_or_b64 exec, exec, s[52:53]
	s_and_saveexec_b64 s[10:11], s[2:3]
	s_cbranch_execnz .LBB88_527
.LBB88_129:
	s_or_b64 exec, exec, s[10:11]
	v_cmp_gt_u32_e64 s[10:11], 8, v18
	s_and_saveexec_b64 s[52:53], s[10:11]
	s_cbranch_execz .LBB88_131
.LBB88_130:
	v_lshlrev_b32_e32 v29, 4, v0
	v_mov_b32_e32 v25, 0
	ds_read_b128 v[25:28], v25 offset:16368
	ds_read_b128 v[29:32], v29 offset:16128
	s_waitcnt lgkmcnt(0)
	v_mul_f64 v[33:34], v[27:28], v[31:32]
	v_mul_f64 v[31:32], v[25:26], v[31:32]
	v_fma_f64 v[25:26], v[25:26], v[29:30], -v[33:34]
	v_fma_f64 v[27:28], v[27:28], v[29:30], v[31:32]
	v_add_f64 v[11:12], v[11:12], v[25:26]
	v_add_f64 v[13:14], v[13:14], v[27:28]
.LBB88_131:
	s_or_b64 exec, exec, s[52:53]
.LBB88_132:
	s_or_b64 exec, exec, s[14:15]
	v_mov_b32_e32 v25, 0x4000
	v_cmp_eq_u32_e64 s[10:11], 7, v22
	s_xor_b64 s[14:15], s[8:9], -1
	v_lshl_add_u32 v24, v24, 4, v25
	s_and_b64 s[54:55], s[10:11], s[14:15]
	s_and_saveexec_b64 s[8:9], s[54:55]
	s_cbranch_execz .LBB88_134
; %bb.133:
	v_mov_b32_e32 v25, 0
	ds_read_b128 v[25:28], v25 offset:12144
	s_waitcnt lgkmcnt(0)
	v_mul_f64 v[29:30], v[13:14], v[27:28]
	v_mul_f64 v[27:28], v[11:12], v[27:28]
	v_fma_f64 v[11:12], v[11:12], v[25:26], -v[29:30]
	v_fma_f64 v[13:14], v[13:14], v[25:26], v[27:28]
	v_xor_b32_e32 v26, 0x80000000, v12
	v_xor_b32_e32 v28, 0x80000000, v14
	v_mov_b32_e32 v25, v11
	v_mov_b32_e32 v27, v13
	ds_write_b128 v24, v[25:28]
.LBB88_134:
	s_or_b64 exec, exec, s[8:9]
	v_cmp_ne_u32_e64 s[8:9], 7, v22
	s_and_b64 s[56:57], s[8:9], s[14:15]
	s_waitcnt lgkmcnt(0)
	s_barrier
	s_and_saveexec_b64 s[8:9], s[56:57]
	s_cbranch_execz .LBB88_136
; %bb.135:
	v_lshlrev_b32_e32 v29, 4, v22
	ds_read_b128 v[25:28], v24
	ds_read_b128 v[29:32], v29 offset:12032
	s_waitcnt lgkmcnt(0)
	v_mul_f64 v[33:34], v[27:28], v[31:32]
	v_mul_f64 v[31:32], v[25:26], v[31:32]
	v_fma_f64 v[25:26], v[25:26], v[29:30], -v[33:34]
	v_fma_f64 v[27:28], v[27:28], v[29:30], v[31:32]
	v_add_f64 v[11:12], v[11:12], -v[25:26]
	v_add_f64 v[13:14], v[13:14], -v[27:28]
.LBB88_136:
	s_or_b64 exec, exec, s[8:9]
	v_cmp_eq_u32_e64 s[8:9], 6, v22
	s_and_b64 s[58:59], s[8:9], s[14:15]
	s_barrier
	s_and_saveexec_b64 s[8:9], s[58:59]
	s_cbranch_execz .LBB88_138
; %bb.137:
	v_mov_b32_e32 v25, 0
	ds_read_b128 v[25:28], v25 offset:11616
	s_waitcnt lgkmcnt(0)
	v_mul_f64 v[29:30], v[13:14], v[27:28]
	v_mul_f64 v[27:28], v[11:12], v[27:28]
	v_fma_f64 v[11:12], v[11:12], v[25:26], -v[29:30]
	v_fma_f64 v[13:14], v[13:14], v[25:26], v[27:28]
	v_xor_b32_e32 v26, 0x80000000, v12
	v_xor_b32_e32 v28, 0x80000000, v14
	v_mov_b32_e32 v25, v11
	v_mov_b32_e32 v27, v13
	ds_write_b128 v24, v[25:28]
.LBB88_138:
	s_or_b64 exec, exec, s[8:9]
	v_cmp_gt_u32_e64 s[8:9], 6, v22
	s_and_b64 s[60:61], s[8:9], s[14:15]
	s_waitcnt lgkmcnt(0)
	s_barrier
	s_and_saveexec_b64 s[8:9], s[60:61]
	s_cbranch_execz .LBB88_140
; %bb.139:
	v_lshlrev_b32_e32 v29, 4, v22
	ds_read_b128 v[25:28], v24
	ds_read_b128 v[29:32], v29 offset:11520
	s_waitcnt lgkmcnt(0)
	v_mul_f64 v[33:34], v[27:28], v[31:32]
	v_mul_f64 v[31:32], v[25:26], v[31:32]
	v_fma_f64 v[25:26], v[25:26], v[29:30], -v[33:34]
	v_fma_f64 v[27:28], v[27:28], v[29:30], v[31:32]
	v_add_f64 v[11:12], v[11:12], -v[25:26]
	v_add_f64 v[13:14], v[13:14], -v[27:28]
.LBB88_140:
	s_or_b64 exec, exec, s[8:9]
	v_cmp_eq_u32_e64 s[8:9], 5, v22
	s_and_b64 s[62:63], s[8:9], s[14:15]
	s_barrier
	s_and_saveexec_b64 s[8:9], s[62:63]
	s_cbranch_execz .LBB88_142
; %bb.141:
	v_mov_b32_e32 v25, 0
	ds_read_b128 v[25:28], v25 offset:11088
	s_waitcnt lgkmcnt(0)
	v_mul_f64 v[29:30], v[13:14], v[27:28]
	v_mul_f64 v[27:28], v[11:12], v[27:28]
	v_fma_f64 v[11:12], v[11:12], v[25:26], -v[29:30]
	v_fma_f64 v[13:14], v[13:14], v[25:26], v[27:28]
	v_xor_b32_e32 v26, 0x80000000, v12
	v_xor_b32_e32 v28, 0x80000000, v14
	v_mov_b32_e32 v25, v11
	v_mov_b32_e32 v27, v13
	ds_write_b128 v24, v[25:28]
.LBB88_142:
	s_or_b64 exec, exec, s[8:9]
	v_cmp_gt_u32_e64 s[8:9], 5, v22
	;; [unrolled: 39-line block ×5, first 2 shown]
	s_and_b64 s[76:77], s[8:9], s[14:15]
	s_waitcnt lgkmcnt(0)
	s_barrier
	s_and_saveexec_b64 s[8:9], s[76:77]
	s_cbranch_execz .LBB88_156
; %bb.155:
	v_lshlrev_b32_e32 v29, 4, v22
	ds_read_b128 v[25:28], v24
	ds_read_b128 v[29:32], v29 offset:9472
	s_waitcnt lgkmcnt(0)
	v_mul_f64 v[33:34], v[27:28], v[31:32]
	v_mul_f64 v[31:32], v[25:26], v[31:32]
	v_fma_f64 v[25:26], v[25:26], v[29:30], -v[33:34]
	v_fma_f64 v[27:28], v[27:28], v[29:30], v[31:32]
	v_add_f64 v[11:12], v[11:12], -v[25:26]
	v_add_f64 v[13:14], v[13:14], -v[27:28]
.LBB88_156:
	s_or_b64 exec, exec, s[8:9]
	v_cmp_eq_u32_e64 s[8:9], 1, v22
	s_and_b64 s[78:79], s[8:9], s[14:15]
	s_barrier
	s_and_saveexec_b64 s[8:9], s[78:79]
	s_cbranch_execz .LBB88_158
; %bb.157:
	v_mov_b32_e32 v25, 0
	ds_read_b128 v[25:28], v25 offset:8976
	s_waitcnt lgkmcnt(0)
	v_mul_f64 v[29:30], v[13:14], v[27:28]
	v_mul_f64 v[27:28], v[11:12], v[27:28]
	v_fma_f64 v[11:12], v[11:12], v[25:26], -v[29:30]
	v_fma_f64 v[13:14], v[13:14], v[25:26], v[27:28]
	v_xor_b32_e32 v26, 0x80000000, v12
	v_xor_b32_e32 v28, 0x80000000, v14
	v_mov_b32_e32 v25, v11
	v_mov_b32_e32 v27, v13
	ds_write_b128 v24, v[25:28]
.LBB88_158:
	s_or_b64 exec, exec, s[8:9]
	v_cmp_eq_u32_e64 s[8:9], 0, v22
	s_and_b64 s[52:53], s[8:9], s[14:15]
	s_waitcnt lgkmcnt(0)
	s_barrier
	s_and_saveexec_b64 s[8:9], s[52:53]
	s_cbranch_execz .LBB88_160
; %bb.159:
	v_mov_b32_e32 v29, 0
	ds_read_b128 v[25:28], v24
	ds_read_b128 v[29:32], v29 offset:8960
	s_waitcnt lgkmcnt(0)
	v_mul_f64 v[33:34], v[27:28], v[31:32]
	v_mul_f64 v[31:32], v[25:26], v[31:32]
	v_fma_f64 v[25:26], v[25:26], v[29:30], -v[33:34]
	v_fma_f64 v[27:28], v[27:28], v[29:30], v[31:32]
	v_add_f64 v[11:12], v[11:12], -v[25:26]
	v_add_f64 v[13:14], v[13:14], -v[27:28]
.LBB88_160:
	s_or_b64 exec, exec, s[8:9]
	s_barrier
	s_and_saveexec_b64 s[8:9], s[52:53]
	s_cbranch_execz .LBB88_162
; %bb.161:
	v_mov_b32_e32 v25, 0
	ds_read_b128 v[25:28], v25 offset:8448
	s_waitcnt lgkmcnt(0)
	v_mul_f64 v[29:30], v[13:14], v[27:28]
	v_mul_f64 v[27:28], v[11:12], v[27:28]
	v_fma_f64 v[11:12], v[11:12], v[25:26], -v[29:30]
	v_fma_f64 v[13:14], v[13:14], v[25:26], v[27:28]
	v_xor_b32_e32 v26, 0x80000000, v12
	v_xor_b32_e32 v28, 0x80000000, v14
	v_mov_b32_e32 v25, v11
	v_mov_b32_e32 v27, v13
	ds_write_b128 v24, v[25:28]
.LBB88_162:
	s_or_b64 exec, exec, s[8:9]
	s_waitcnt lgkmcnt(0)
	s_barrier
	s_barrier
	s_and_saveexec_b64 s[8:9], s[12:13]
; %bb.163:
	v_lshlrev_b32_e32 v25, 4, v22
	v_lshl_or_b32 v25, v23, 9, v25
	ds_write_b128 v25, v[11:14] offset:12544
; %bb.164:
	s_or_b64 exec, exec, s[8:9]
	s_waitcnt lgkmcnt(0)
	s_barrier
	s_barrier
	s_and_saveexec_b64 s[8:9], vcc
	s_cbranch_execz .LBB88_166
; %bb.165:
	v_mov_b32_e32 v35, 0
	ds_read_b128 v[11:14], v35 offset:12144
	ds_read_b128 v[25:28], v35 offset:11616
	;; [unrolled: 1-line block ×3, first 2 shown]
	s_waitcnt lgkmcnt(1)
	v_mul_f64 v[33:34], v[11:12], v[27:28]
	v_mul_f64 v[27:28], v[13:14], v[27:28]
	v_fma_f64 v[13:14], v[13:14], v[25:26], v[33:34]
	v_fma_f64 v[11:12], v[11:12], v[25:26], -v[27:28]
	s_waitcnt lgkmcnt(0)
	v_mul_f64 v[25:26], v[13:14], v[31:32]
	v_mul_f64 v[27:28], v[11:12], v[31:32]
	v_fma_f64 v[11:12], v[29:30], v[11:12], -v[25:26]
	v_fma_f64 v[13:14], v[29:30], v[13:14], v[27:28]
	ds_write_b128 v35, v[11:14] offset:12128
.LBB88_166:
	s_or_b64 exec, exec, s[8:9]
	v_mov_b32_e32 v11, 0
	v_mov_b32_e32 v13, 0
	;; [unrolled: 1-line block ×4, first 2 shown]
	s_waitcnt lgkmcnt(0)
	s_barrier
	buffer_wbinvl1_vol
	s_and_saveexec_b64 s[10:11], s[0:1]
	s_cbranch_execz .LBB88_170
; %bb.167:
	v_lshlrev_b32_e32 v25, 4, v15
	v_lshlrev_b32_e32 v11, 9, v16
	ds_read_b128 v[11:14], v11 offset:11616
	ds_read_b128 v[25:28], v25 offset:11584
	v_cmp_gt_u32_e64 s[8:9], 2, v18
	s_waitcnt lgkmcnt(0)
	v_mul_f64 v[29:30], v[13:14], v[27:28]
	v_mul_f64 v[27:28], v[11:12], v[27:28]
	v_fma_f64 v[11:12], v[11:12], v[25:26], -v[29:30]
	v_fma_f64 v[13:14], v[13:14], v[25:26], v[27:28]
	v_add_f64 v[11:12], v[11:12], 0
	v_add_f64 v[13:14], v[13:14], 0
	s_and_saveexec_b64 s[14:15], s[8:9]
	s_cbranch_execz .LBB88_169
; %bb.168:
	v_lshlrev_b32_e32 v29, 4, v0
	v_mov_b32_e32 v25, 0
	ds_read_b128 v[25:28], v25 offset:12144
	ds_read_b128 v[29:32], v29 offset:12096
	s_waitcnt lgkmcnt(0)
	v_mul_f64 v[33:34], v[27:28], v[31:32]
	v_mul_f64 v[31:32], v[25:26], v[31:32]
	v_fma_f64 v[25:26], v[25:26], v[29:30], -v[33:34]
	v_fma_f64 v[27:28], v[27:28], v[29:30], v[31:32]
	v_add_f64 v[11:12], v[11:12], v[25:26]
	v_add_f64 v[13:14], v[13:14], v[27:28]
.LBB88_169:
	s_or_b64 exec, exec, s[14:15]
.LBB88_170:
	s_or_b64 exec, exec, s[10:11]
	s_and_saveexec_b64 s[8:9], s[38:39]
	s_cbranch_execz .LBB88_172
; %bb.171:
	v_mov_b32_e32 v25, 0
	ds_read_b128 v[25:28], v25 offset:11088
	s_waitcnt lgkmcnt(0)
	v_mul_f64 v[29:30], v[13:14], v[27:28]
	v_mul_f64 v[27:28], v[11:12], v[27:28]
	v_fma_f64 v[11:12], v[11:12], v[25:26], -v[29:30]
	v_fma_f64 v[13:14], v[13:14], v[25:26], v[27:28]
	v_xor_b32_e32 v26, 0x80000000, v12
	v_xor_b32_e32 v28, 0x80000000, v14
	v_mov_b32_e32 v25, v11
	v_mov_b32_e32 v27, v13
	ds_write_b128 v17, v[25:28]
.LBB88_172:
	s_or_b64 exec, exec, s[8:9]
	s_waitcnt lgkmcnt(0)
	s_barrier
	s_and_saveexec_b64 s[8:9], s[36:37]
	s_cbranch_execz .LBB88_174
; %bb.173:
	v_mov_b32_e32 v29, 0
	ds_read_b128 v[25:28], v17
	ds_read_b128 v[29:32], v29 offset:11072
	s_waitcnt lgkmcnt(0)
	v_mul_f64 v[33:34], v[27:28], v[31:32]
	v_mul_f64 v[31:32], v[25:26], v[31:32]
	v_fma_f64 v[25:26], v[25:26], v[29:30], -v[33:34]
	v_fma_f64 v[27:28], v[27:28], v[29:30], v[31:32]
	v_add_f64 v[11:12], v[11:12], -v[25:26]
	v_add_f64 v[13:14], v[13:14], -v[27:28]
.LBB88_174:
	s_or_b64 exec, exec, s[8:9]
	s_barrier
	s_and_saveexec_b64 s[8:9], s[36:37]
	s_cbranch_execz .LBB88_176
; %bb.175:
	v_mov_b32_e32 v25, 0
	ds_read_b128 v[25:28], v25 offset:10560
	s_waitcnt lgkmcnt(0)
	v_mul_f64 v[29:30], v[13:14], v[27:28]
	v_mul_f64 v[27:28], v[11:12], v[27:28]
	v_fma_f64 v[11:12], v[11:12], v[25:26], -v[29:30]
	v_fma_f64 v[13:14], v[13:14], v[25:26], v[27:28]
	v_xor_b32_e32 v26, 0x80000000, v12
	v_xor_b32_e32 v28, 0x80000000, v14
	v_mov_b32_e32 v25, v11
	v_mov_b32_e32 v27, v13
	ds_write_b128 v17, v[25:28]
.LBB88_176:
	s_or_b64 exec, exec, s[8:9]
	s_waitcnt lgkmcnt(0)
	s_barrier
	s_barrier
	s_and_saveexec_b64 s[8:9], s[0:1]
; %bb.177:
	v_lshlrev_b32_e32 v25, 4, v15
	v_lshl_or_b32 v25, v16, 9, v25
	ds_write_b128 v25, v[11:14] offset:11584
; %bb.178:
	s_or_b64 exec, exec, s[8:9]
	s_waitcnt lgkmcnt(0)
	s_barrier
	s_barrier
	s_and_saveexec_b64 s[8:9], vcc
	s_cbranch_execz .LBB88_180
; %bb.179:
	v_mov_b32_e32 v35, 0
	ds_read_b128 v[11:14], v35 offset:11088
	ds_read_b128 v[25:28], v35 offset:10560
	;; [unrolled: 1-line block ×3, first 2 shown]
	s_waitcnt lgkmcnt(1)
	v_mul_f64 v[33:34], v[11:12], v[27:28]
	v_mul_f64 v[27:28], v[13:14], v[27:28]
	v_fma_f64 v[13:14], v[13:14], v[25:26], v[33:34]
	v_fma_f64 v[11:12], v[11:12], v[25:26], -v[27:28]
	s_waitcnt lgkmcnt(0)
	v_mul_f64 v[25:26], v[13:14], v[31:32]
	v_mul_f64 v[27:28], v[11:12], v[31:32]
	v_fma_f64 v[11:12], v[29:30], v[11:12], -v[25:26]
	v_fma_f64 v[13:14], v[29:30], v[13:14], v[27:28]
	ds_write_b128 v35, v[11:14] offset:11072
.LBB88_180:
	s_or_b64 exec, exec, s[8:9]
	v_mov_b32_e32 v13, 0
	v_mov_b32_e32 v11, 0
	;; [unrolled: 1-line block ×4, first 2 shown]
	s_waitcnt lgkmcnt(0)
	s_barrier
	buffer_wbinvl1_vol
	s_and_saveexec_b64 s[10:11], s[2:3]
	s_cbranch_execz .LBB88_186
; %bb.181:
	v_lshlrev_b32_e32 v26, 9, v20
	v_lshlrev_b32_e32 v25, 4, v19
	ds_read_b128 v[11:14], v26 offset:10560
	ds_read_b128 v[27:30], v25 offset:10496
	v_cmp_gt_u32_e64 s[8:9], 12, v18
	s_waitcnt lgkmcnt(0)
	v_mul_f64 v[31:32], v[13:14], v[29:30]
	v_mul_f64 v[29:30], v[11:12], v[29:30]
	v_fma_f64 v[11:12], v[11:12], v[27:28], -v[31:32]
	v_fma_f64 v[13:14], v[13:14], v[27:28], v[29:30]
	v_add_f64 v[11:12], v[11:12], 0
	v_add_f64 v[13:14], v[13:14], 0
	s_and_saveexec_b64 s[14:15], s[8:9]
	s_cbranch_execnz .LBB88_528
; %bb.182:
	s_or_b64 exec, exec, s[14:15]
	v_cmp_gt_u32_e64 s[8:9], 8, v18
	s_and_saveexec_b64 s[14:15], s[8:9]
	s_cbranch_execnz .LBB88_529
.LBB88_183:
	s_or_b64 exec, exec, s[14:15]
	v_cmp_gt_u32_e64 s[8:9], 4, v18
	s_and_saveexec_b64 s[14:15], s[8:9]
	s_cbranch_execz .LBB88_185
.LBB88_184:
	v_lshlrev_b32_e32 v29, 4, v0
	v_mov_b32_e32 v25, 0
	ds_read_b128 v[25:28], v25 offset:12144
	ds_read_b128 v[29:32], v29 offset:12032
	s_waitcnt lgkmcnt(0)
	v_mul_f64 v[33:34], v[27:28], v[31:32]
	v_mul_f64 v[31:32], v[25:26], v[31:32]
	v_fma_f64 v[25:26], v[25:26], v[29:30], -v[33:34]
	v_fma_f64 v[27:28], v[27:28], v[29:30], v[31:32]
	v_add_f64 v[11:12], v[11:12], v[25:26]
	v_add_f64 v[13:14], v[13:14], v[27:28]
.LBB88_185:
	s_or_b64 exec, exec, s[14:15]
.LBB88_186:
	s_or_b64 exec, exec, s[10:11]
	s_and_saveexec_b64 s[8:9], s[42:43]
	s_cbranch_execz .LBB88_188
; %bb.187:
	v_mov_b32_e32 v25, 0
	ds_read_b128 v[25:28], v25 offset:10032
	s_waitcnt lgkmcnt(0)
	v_mul_f64 v[29:30], v[13:14], v[27:28]
	v_mul_f64 v[27:28], v[11:12], v[27:28]
	v_fma_f64 v[11:12], v[11:12], v[25:26], -v[29:30]
	v_fma_f64 v[13:14], v[13:14], v[25:26], v[27:28]
	v_xor_b32_e32 v26, 0x80000000, v12
	v_xor_b32_e32 v28, 0x80000000, v14
	v_mov_b32_e32 v25, v11
	v_mov_b32_e32 v27, v13
	ds_write_b128 v21, v[25:28]
.LBB88_188:
	s_or_b64 exec, exec, s[8:9]
	s_waitcnt lgkmcnt(0)
	s_barrier
	s_and_saveexec_b64 s[8:9], s[44:45]
	s_cbranch_execz .LBB88_190
; %bb.189:
	v_lshlrev_b32_e32 v29, 4, v19
	ds_read_b128 v[25:28], v21
	ds_read_b128 v[29:32], v29 offset:9984
	s_waitcnt lgkmcnt(0)
	v_mul_f64 v[33:34], v[27:28], v[31:32]
	v_mul_f64 v[31:32], v[25:26], v[31:32]
	v_fma_f64 v[25:26], v[25:26], v[29:30], -v[33:34]
	v_fma_f64 v[27:28], v[27:28], v[29:30], v[31:32]
	v_add_f64 v[11:12], v[11:12], -v[25:26]
	v_add_f64 v[13:14], v[13:14], -v[27:28]
.LBB88_190:
	s_or_b64 exec, exec, s[8:9]
	s_barrier
	s_and_saveexec_b64 s[8:9], s[46:47]
	s_cbranch_execz .LBB88_192
; %bb.191:
	v_mov_b32_e32 v25, 0
	ds_read_b128 v[25:28], v25 offset:9504
	s_waitcnt lgkmcnt(0)
	v_mul_f64 v[29:30], v[13:14], v[27:28]
	v_mul_f64 v[27:28], v[11:12], v[27:28]
	v_fma_f64 v[11:12], v[11:12], v[25:26], -v[29:30]
	v_fma_f64 v[13:14], v[13:14], v[25:26], v[27:28]
	v_xor_b32_e32 v26, 0x80000000, v12
	v_xor_b32_e32 v28, 0x80000000, v14
	v_mov_b32_e32 v25, v11
	v_mov_b32_e32 v27, v13
	ds_write_b128 v21, v[25:28]
.LBB88_192:
	s_or_b64 exec, exec, s[8:9]
	s_waitcnt lgkmcnt(0)
	s_barrier
	s_and_saveexec_b64 s[8:9], s[48:49]
	s_cbranch_execz .LBB88_194
; %bb.193:
	v_lshlrev_b32_e32 v29, 4, v19
	ds_read_b128 v[25:28], v21
	ds_read_b128 v[29:32], v29 offset:9472
	s_waitcnt lgkmcnt(0)
	v_mul_f64 v[33:34], v[27:28], v[31:32]
	v_mul_f64 v[31:32], v[25:26], v[31:32]
	v_fma_f64 v[25:26], v[25:26], v[29:30], -v[33:34]
	v_fma_f64 v[27:28], v[27:28], v[29:30], v[31:32]
	v_add_f64 v[11:12], v[11:12], -v[25:26]
	v_add_f64 v[13:14], v[13:14], -v[27:28]
.LBB88_194:
	s_or_b64 exec, exec, s[8:9]
	s_barrier
	s_and_saveexec_b64 s[8:9], s[50:51]
	s_cbranch_execz .LBB88_196
; %bb.195:
	v_mov_b32_e32 v25, 0
	ds_read_b128 v[25:28], v25 offset:8976
	s_waitcnt lgkmcnt(0)
	v_mul_f64 v[29:30], v[13:14], v[27:28]
	v_mul_f64 v[27:28], v[11:12], v[27:28]
	v_fma_f64 v[11:12], v[11:12], v[25:26], -v[29:30]
	v_fma_f64 v[13:14], v[13:14], v[25:26], v[27:28]
	v_xor_b32_e32 v26, 0x80000000, v12
	v_xor_b32_e32 v28, 0x80000000, v14
	v_mov_b32_e32 v25, v11
	v_mov_b32_e32 v27, v13
	ds_write_b128 v21, v[25:28]
.LBB88_196:
	s_or_b64 exec, exec, s[8:9]
	s_waitcnt lgkmcnt(0)
	s_barrier
	s_and_saveexec_b64 s[8:9], s[40:41]
	s_cbranch_execz .LBB88_198
; %bb.197:
	v_mov_b32_e32 v29, 0
	ds_read_b128 v[25:28], v21
	ds_read_b128 v[29:32], v29 offset:8960
	s_waitcnt lgkmcnt(0)
	v_mul_f64 v[33:34], v[27:28], v[31:32]
	v_mul_f64 v[31:32], v[25:26], v[31:32]
	v_fma_f64 v[25:26], v[25:26], v[29:30], -v[33:34]
	v_fma_f64 v[27:28], v[27:28], v[29:30], v[31:32]
	v_add_f64 v[11:12], v[11:12], -v[25:26]
	v_add_f64 v[13:14], v[13:14], -v[27:28]
.LBB88_198:
	s_or_b64 exec, exec, s[8:9]
	s_barrier
	s_and_saveexec_b64 s[8:9], s[40:41]
	s_cbranch_execz .LBB88_200
; %bb.199:
	v_mov_b32_e32 v25, 0
	ds_read_b128 v[25:28], v25 offset:8448
	s_waitcnt lgkmcnt(0)
	v_mul_f64 v[29:30], v[13:14], v[27:28]
	v_mul_f64 v[27:28], v[11:12], v[27:28]
	v_fma_f64 v[11:12], v[11:12], v[25:26], -v[29:30]
	v_fma_f64 v[13:14], v[13:14], v[25:26], v[27:28]
	v_xor_b32_e32 v26, 0x80000000, v12
	v_xor_b32_e32 v28, 0x80000000, v14
	v_mov_b32_e32 v25, v11
	v_mov_b32_e32 v27, v13
	ds_write_b128 v21, v[25:28]
.LBB88_200:
	s_or_b64 exec, exec, s[8:9]
	s_waitcnt lgkmcnt(0)
	s_barrier
	s_barrier
	s_and_saveexec_b64 s[8:9], s[2:3]
; %bb.201:
	v_lshlrev_b32_e32 v25, 4, v19
	v_lshl_or_b32 v25, v20, 9, v25
	ds_write_b128 v25, v[11:14] offset:10496
; %bb.202:
	s_or_b64 exec, exec, s[8:9]
	s_waitcnt lgkmcnt(0)
	s_barrier
	s_barrier
	s_and_saveexec_b64 s[8:9], vcc
	s_cbranch_execz .LBB88_204
; %bb.203:
	v_mov_b32_e32 v35, 0
	ds_read_b128 v[11:14], v35 offset:10032
	ds_read_b128 v[25:28], v35 offset:9504
	;; [unrolled: 1-line block ×3, first 2 shown]
	s_waitcnt lgkmcnt(1)
	v_mul_f64 v[33:34], v[11:12], v[27:28]
	v_mul_f64 v[27:28], v[13:14], v[27:28]
	v_fma_f64 v[13:14], v[13:14], v[25:26], v[33:34]
	v_fma_f64 v[11:12], v[11:12], v[25:26], -v[27:28]
	s_waitcnt lgkmcnt(0)
	v_mul_f64 v[25:26], v[13:14], v[31:32]
	v_mul_f64 v[27:28], v[11:12], v[31:32]
	v_fma_f64 v[11:12], v[29:30], v[11:12], -v[25:26]
	v_fma_f64 v[13:14], v[29:30], v[13:14], v[27:28]
	ds_write_b128 v35, v[11:14] offset:10016
.LBB88_204:
	s_or_b64 exec, exec, s[8:9]
	v_mov_b32_e32 v11, 0
	v_mov_b32_e32 v13, 0
	;; [unrolled: 1-line block ×4, first 2 shown]
	s_waitcnt lgkmcnt(0)
	s_barrier
	buffer_wbinvl1_vol
	s_and_saveexec_b64 s[10:11], s[0:1]
	s_cbranch_execz .LBB88_208
; %bb.205:
	v_lshlrev_b32_e32 v25, 4, v15
	v_lshlrev_b32_e32 v11, 9, v16
	ds_read_b128 v[11:14], v11 offset:9504
	ds_read_b128 v[25:28], v25 offset:9472
	v_cmp_gt_u32_e64 s[8:9], 2, v18
	s_waitcnt lgkmcnt(0)
	v_mul_f64 v[29:30], v[13:14], v[27:28]
	v_mul_f64 v[27:28], v[11:12], v[27:28]
	v_fma_f64 v[11:12], v[11:12], v[25:26], -v[29:30]
	v_fma_f64 v[13:14], v[13:14], v[25:26], v[27:28]
	v_add_f64 v[11:12], v[11:12], 0
	v_add_f64 v[13:14], v[13:14], 0
	s_and_saveexec_b64 s[14:15], s[8:9]
	s_cbranch_execz .LBB88_207
; %bb.206:
	v_lshlrev_b32_e32 v29, 4, v0
	v_mov_b32_e32 v25, 0
	ds_read_b128 v[25:28], v25 offset:10032
	ds_read_b128 v[29:32], v29 offset:9984
	s_waitcnt lgkmcnt(0)
	v_mul_f64 v[33:34], v[27:28], v[31:32]
	v_mul_f64 v[31:32], v[25:26], v[31:32]
	v_fma_f64 v[25:26], v[25:26], v[29:30], -v[33:34]
	v_fma_f64 v[27:28], v[27:28], v[29:30], v[31:32]
	v_add_f64 v[11:12], v[11:12], v[25:26]
	v_add_f64 v[13:14], v[13:14], v[27:28]
.LBB88_207:
	s_or_b64 exec, exec, s[14:15]
.LBB88_208:
	s_or_b64 exec, exec, s[10:11]
	s_and_saveexec_b64 s[8:9], s[38:39]
	s_cbranch_execz .LBB88_210
; %bb.209:
	v_mov_b32_e32 v25, 0
	ds_read_b128 v[25:28], v25 offset:8976
	s_waitcnt lgkmcnt(0)
	v_mul_f64 v[29:30], v[13:14], v[27:28]
	v_mul_f64 v[27:28], v[11:12], v[27:28]
	v_fma_f64 v[11:12], v[11:12], v[25:26], -v[29:30]
	v_fma_f64 v[13:14], v[13:14], v[25:26], v[27:28]
	v_xor_b32_e32 v26, 0x80000000, v12
	v_xor_b32_e32 v28, 0x80000000, v14
	v_mov_b32_e32 v25, v11
	v_mov_b32_e32 v27, v13
	ds_write_b128 v17, v[25:28]
.LBB88_210:
	s_or_b64 exec, exec, s[8:9]
	s_waitcnt lgkmcnt(0)
	s_barrier
	s_and_saveexec_b64 s[8:9], s[36:37]
	s_cbranch_execz .LBB88_212
; %bb.211:
	v_mov_b32_e32 v29, 0
	ds_read_b128 v[25:28], v17
	ds_read_b128 v[29:32], v29 offset:8960
	s_waitcnt lgkmcnt(0)
	v_mul_f64 v[33:34], v[27:28], v[31:32]
	v_mul_f64 v[31:32], v[25:26], v[31:32]
	v_fma_f64 v[25:26], v[25:26], v[29:30], -v[33:34]
	v_fma_f64 v[27:28], v[27:28], v[29:30], v[31:32]
	v_add_f64 v[11:12], v[11:12], -v[25:26]
	v_add_f64 v[13:14], v[13:14], -v[27:28]
.LBB88_212:
	s_or_b64 exec, exec, s[8:9]
	s_barrier
	s_and_saveexec_b64 s[8:9], s[36:37]
	s_cbranch_execz .LBB88_214
; %bb.213:
	v_mov_b32_e32 v25, 0
	ds_read_b128 v[25:28], v25 offset:8448
	s_waitcnt lgkmcnt(0)
	v_mul_f64 v[29:30], v[13:14], v[27:28]
	v_mul_f64 v[27:28], v[11:12], v[27:28]
	v_fma_f64 v[11:12], v[11:12], v[25:26], -v[29:30]
	v_fma_f64 v[13:14], v[13:14], v[25:26], v[27:28]
	v_xor_b32_e32 v26, 0x80000000, v12
	v_xor_b32_e32 v28, 0x80000000, v14
	v_mov_b32_e32 v25, v11
	v_mov_b32_e32 v27, v13
	ds_write_b128 v17, v[25:28]
.LBB88_214:
	s_or_b64 exec, exec, s[8:9]
	s_waitcnt lgkmcnt(0)
	s_barrier
	s_barrier
	s_and_saveexec_b64 s[8:9], s[0:1]
; %bb.215:
	v_lshlrev_b32_e32 v25, 4, v15
	v_lshl_or_b32 v25, v16, 9, v25
	ds_write_b128 v25, v[11:14] offset:9472
; %bb.216:
	s_or_b64 exec, exec, s[8:9]
	s_waitcnt lgkmcnt(0)
	s_barrier
	s_barrier
	s_and_saveexec_b64 s[8:9], vcc
	s_cbranch_execz .LBB88_218
; %bb.217:
	v_mov_b32_e32 v35, 0
	ds_read_b128 v[11:14], v35 offset:8976
	ds_read_b128 v[25:28], v35 offset:8448
	;; [unrolled: 1-line block ×3, first 2 shown]
	s_waitcnt lgkmcnt(1)
	v_mul_f64 v[33:34], v[11:12], v[27:28]
	v_mul_f64 v[27:28], v[13:14], v[27:28]
	v_fma_f64 v[13:14], v[13:14], v[25:26], v[33:34]
	v_fma_f64 v[11:12], v[11:12], v[25:26], -v[27:28]
	s_waitcnt lgkmcnt(0)
	v_mul_f64 v[25:26], v[13:14], v[31:32]
	v_mul_f64 v[27:28], v[11:12], v[31:32]
	v_fma_f64 v[11:12], v[29:30], v[11:12], -v[25:26]
	v_fma_f64 v[13:14], v[29:30], v[13:14], v[27:28]
	ds_write_b128 v35, v[11:14] offset:8960
.LBB88_218:
	s_or_b64 exec, exec, s[8:9]
	s_movk_i32 s8, 0xff
	v_lshrrev_b32_e32 v27, 4, v18
	v_cmp_lt_u32_e64 s[10:11], s8, v18
	s_movk_i32 s8, 0x100
	v_mov_b32_e32 v13, 0
	v_mov_b32_e32 v11, 0
	v_and_b32_e32 v25, 15, v0
	v_sub_u32_e32 v26, 15, v27
	v_mov_b32_e32 v14, 0
	v_mov_b32_e32 v12, 0
	v_cmp_gt_u32_e64 s[8:9], s8, v18
	s_waitcnt lgkmcnt(0)
	s_barrier
	buffer_wbinvl1_vol
	s_and_saveexec_b64 s[80:81], s[8:9]
	s_cbranch_execz .LBB88_246
; %bb.219:
	v_lshlrev_b32_e32 v29, 9, v26
	v_lshlrev_b32_e32 v28, 4, v25
	ds_read_b128 v[11:14], v29 offset:8448
	ds_read_b128 v[30:33], v28 offset:8192
	s_movk_i32 s14, 0xf0
	v_cmp_gt_u32_e64 s[14:15], s14, v18
	s_waitcnt lgkmcnt(0)
	v_mul_f64 v[34:35], v[13:14], v[32:33]
	v_mul_f64 v[32:33], v[11:12], v[32:33]
	v_fma_f64 v[11:12], v[11:12], v[30:31], -v[34:35]
	v_fma_f64 v[13:14], v[13:14], v[30:31], v[32:33]
	v_add_f64 v[11:12], v[11:12], 0
	v_add_f64 v[13:14], v[13:14], 0
	s_and_saveexec_b64 s[82:83], s[14:15]
	s_cbranch_execz .LBB88_221
; %bb.220:
	ds_read_b128 v[30:33], v29 offset:8464
	ds_read_b128 v[34:37], v28 offset:8704
	s_waitcnt lgkmcnt(0)
	v_mul_f64 v[38:39], v[32:33], v[36:37]
	v_mul_f64 v[36:37], v[30:31], v[36:37]
	v_fma_f64 v[30:31], v[30:31], v[34:35], -v[38:39]
	v_fma_f64 v[32:33], v[32:33], v[34:35], v[36:37]
	v_add_f64 v[11:12], v[11:12], v[30:31]
	v_add_f64 v[13:14], v[13:14], v[32:33]
.LBB88_221:
	s_or_b64 exec, exec, s[82:83]
	s_movk_i32 s14, 0xe0
	v_cmp_gt_u32_e64 s[14:15], s14, v18
	s_and_saveexec_b64 s[82:83], s[14:15]
	s_cbranch_execz .LBB88_223
; %bb.222:
	ds_read_b128 v[30:33], v29 offset:8480
	ds_read_b128 v[34:37], v28 offset:9216
	s_waitcnt lgkmcnt(0)
	v_mul_f64 v[38:39], v[32:33], v[36:37]
	v_mul_f64 v[36:37], v[30:31], v[36:37]
	v_fma_f64 v[30:31], v[30:31], v[34:35], -v[38:39]
	v_fma_f64 v[32:33], v[32:33], v[34:35], v[36:37]
	v_add_f64 v[11:12], v[11:12], v[30:31]
	v_add_f64 v[13:14], v[13:14], v[32:33]
.LBB88_223:
	s_or_b64 exec, exec, s[82:83]
	s_movk_i32 s14, 0xd0
	v_cmp_gt_u32_e64 s[14:15], s14, v18
	;; [unrolled: 16-line block ×10, first 2 shown]
	s_and_saveexec_b64 s[82:83], s[14:15]
	s_cbranch_execnz .LBB88_530
; %bb.240:
	s_or_b64 exec, exec, s[82:83]
	s_and_saveexec_b64 s[14:15], s[12:13]
	s_cbranch_execnz .LBB88_531
.LBB88_241:
	s_or_b64 exec, exec, s[14:15]
	v_cmp_gt_u32_e64 s[14:15], 48, v18
	s_and_saveexec_b64 s[82:83], s[14:15]
	s_cbranch_execnz .LBB88_532
.LBB88_242:
	s_or_b64 exec, exec, s[82:83]
	v_cmp_gt_u32_e64 s[14:15], 32, v18
	s_and_saveexec_b64 s[82:83], s[14:15]
	s_cbranch_execnz .LBB88_533
.LBB88_243:
	s_or_b64 exec, exec, s[82:83]
	v_cmp_gt_u32_e64 s[14:15], 16, v18
	s_and_saveexec_b64 s[82:83], s[14:15]
	s_cbranch_execz .LBB88_245
.LBB88_244:
	v_lshlrev_b32_e32 v32, 4, v0
	v_mov_b32_e32 v28, 0
	ds_read_b128 v[28:31], v28 offset:16368
	ds_read_b128 v[32:35], v32 offset:15872
	s_waitcnt lgkmcnt(0)
	v_mul_f64 v[36:37], v[30:31], v[34:35]
	v_mul_f64 v[34:35], v[28:29], v[34:35]
	v_fma_f64 v[28:29], v[28:29], v[32:33], -v[36:37]
	v_fma_f64 v[30:31], v[30:31], v[32:33], v[34:35]
	v_add_f64 v[11:12], v[11:12], v[28:29]
	v_add_f64 v[13:14], v[13:14], v[30:31]
.LBB88_245:
	s_or_b64 exec, exec, s[82:83]
.LBB88_246:
	s_or_b64 exec, exec, s[80:81]
	v_mov_b32_e32 v28, 0x4000
	v_cmp_eq_u32_e64 s[14:15], 15, v25
	s_xor_b64 s[80:81], s[10:11], -1
	v_lshl_add_u32 v27, v27, 4, v28
	s_and_b64 s[14:15], s[14:15], s[80:81]
	s_and_saveexec_b64 s[10:11], s[14:15]
	s_cbranch_execz .LBB88_248
; %bb.247:
	v_mov_b32_e32 v28, 0
	ds_read_b128 v[28:31], v28 offset:7920
	s_waitcnt lgkmcnt(0)
	v_mul_f64 v[32:33], v[13:14], v[30:31]
	v_mul_f64 v[30:31], v[11:12], v[30:31]
	v_fma_f64 v[11:12], v[11:12], v[28:29], -v[32:33]
	v_fma_f64 v[13:14], v[13:14], v[28:29], v[30:31]
	v_xor_b32_e32 v29, 0x80000000, v12
	v_xor_b32_e32 v31, 0x80000000, v14
	v_mov_b32_e32 v28, v11
	v_mov_b32_e32 v30, v13
	ds_write_b128 v27, v[28:31]
.LBB88_248:
	s_or_b64 exec, exec, s[10:11]
	v_cmp_ne_u32_e64 s[10:11], 15, v25
	s_and_b64 s[14:15], s[10:11], s[80:81]
	s_waitcnt lgkmcnt(0)
	s_barrier
	s_and_saveexec_b64 s[10:11], s[14:15]
	s_cbranch_execz .LBB88_250
; %bb.249:
	v_lshlrev_b32_e32 v32, 4, v25
	ds_read_b128 v[28:31], v27
	ds_read_b128 v[32:35], v32 offset:7680
	s_waitcnt lgkmcnt(0)
	v_mul_f64 v[36:37], v[30:31], v[34:35]
	v_mul_f64 v[34:35], v[28:29], v[34:35]
	v_fma_f64 v[28:29], v[28:29], v[32:33], -v[36:37]
	v_fma_f64 v[30:31], v[30:31], v[32:33], v[34:35]
	v_add_f64 v[11:12], v[11:12], -v[28:29]
	v_add_f64 v[13:14], v[13:14], -v[30:31]
.LBB88_250:
	s_or_b64 exec, exec, s[10:11]
	v_cmp_eq_u32_e64 s[10:11], 14, v25
	s_and_b64 s[14:15], s[10:11], s[80:81]
	s_barrier
	s_and_saveexec_b64 s[10:11], s[14:15]
	s_cbranch_execz .LBB88_252
; %bb.251:
	v_mov_b32_e32 v28, 0
	ds_read_b128 v[28:31], v28 offset:7392
	s_waitcnt lgkmcnt(0)
	v_mul_f64 v[32:33], v[13:14], v[30:31]
	v_mul_f64 v[30:31], v[11:12], v[30:31]
	v_fma_f64 v[11:12], v[11:12], v[28:29], -v[32:33]
	v_fma_f64 v[13:14], v[13:14], v[28:29], v[30:31]
	v_xor_b32_e32 v29, 0x80000000, v12
	v_xor_b32_e32 v31, 0x80000000, v14
	v_mov_b32_e32 v28, v11
	v_mov_b32_e32 v30, v13
	ds_write_b128 v27, v[28:31]
.LBB88_252:
	s_or_b64 exec, exec, s[10:11]
	v_cmp_gt_u32_e64 s[10:11], 14, v25
	s_and_b64 s[14:15], s[10:11], s[80:81]
	s_waitcnt lgkmcnt(0)
	s_barrier
	s_and_saveexec_b64 s[10:11], s[14:15]
	s_cbranch_execz .LBB88_254
; %bb.253:
	v_lshlrev_b32_e32 v32, 4, v25
	ds_read_b128 v[28:31], v27
	ds_read_b128 v[32:35], v32 offset:7168
	s_waitcnt lgkmcnt(0)
	v_mul_f64 v[36:37], v[30:31], v[34:35]
	v_mul_f64 v[34:35], v[28:29], v[34:35]
	v_fma_f64 v[28:29], v[28:29], v[32:33], -v[36:37]
	v_fma_f64 v[30:31], v[30:31], v[32:33], v[34:35]
	v_add_f64 v[11:12], v[11:12], -v[28:29]
	v_add_f64 v[13:14], v[13:14], -v[30:31]
.LBB88_254:
	s_or_b64 exec, exec, s[10:11]
	v_cmp_eq_u32_e64 s[10:11], 13, v25
	s_and_b64 s[14:15], s[10:11], s[80:81]
	s_barrier
	s_and_saveexec_b64 s[10:11], s[14:15]
	s_cbranch_execz .LBB88_256
; %bb.255:
	v_mov_b32_e32 v28, 0
	ds_read_b128 v[28:31], v28 offset:6864
	s_waitcnt lgkmcnt(0)
	v_mul_f64 v[32:33], v[13:14], v[30:31]
	v_mul_f64 v[30:31], v[11:12], v[30:31]
	v_fma_f64 v[11:12], v[11:12], v[28:29], -v[32:33]
	v_fma_f64 v[13:14], v[13:14], v[28:29], v[30:31]
	v_xor_b32_e32 v29, 0x80000000, v12
	v_xor_b32_e32 v31, 0x80000000, v14
	v_mov_b32_e32 v28, v11
	v_mov_b32_e32 v30, v13
	ds_write_b128 v27, v[28:31]
.LBB88_256:
	s_or_b64 exec, exec, s[10:11]
	v_cmp_gt_u32_e64 s[10:11], 13, v25
	s_and_b64 s[14:15], s[10:11], s[80:81]
	s_waitcnt lgkmcnt(0)
	s_barrier
	s_and_saveexec_b64 s[10:11], s[14:15]
	s_cbranch_execz .LBB88_258
; %bb.257:
	v_lshlrev_b32_e32 v32, 4, v25
	ds_read_b128 v[28:31], v27
	ds_read_b128 v[32:35], v32 offset:6656
	s_waitcnt lgkmcnt(0)
	v_mul_f64 v[36:37], v[30:31], v[34:35]
	v_mul_f64 v[34:35], v[28:29], v[34:35]
	v_fma_f64 v[28:29], v[28:29], v[32:33], -v[36:37]
	v_fma_f64 v[30:31], v[30:31], v[32:33], v[34:35]
	v_add_f64 v[11:12], v[11:12], -v[28:29]
	v_add_f64 v[13:14], v[13:14], -v[30:31]
.LBB88_258:
	s_or_b64 exec, exec, s[10:11]
	v_cmp_eq_u32_e64 s[10:11], 12, v25
	s_and_b64 s[14:15], s[10:11], s[80:81]
	s_barrier
	s_and_saveexec_b64 s[10:11], s[14:15]
	s_cbranch_execz .LBB88_260
; %bb.259:
	v_mov_b32_e32 v28, 0
	ds_read_b128 v[28:31], v28 offset:6336
	s_waitcnt lgkmcnt(0)
	v_mul_f64 v[32:33], v[13:14], v[30:31]
	v_mul_f64 v[30:31], v[11:12], v[30:31]
	v_fma_f64 v[11:12], v[11:12], v[28:29], -v[32:33]
	v_fma_f64 v[13:14], v[13:14], v[28:29], v[30:31]
	v_xor_b32_e32 v29, 0x80000000, v12
	v_xor_b32_e32 v31, 0x80000000, v14
	v_mov_b32_e32 v28, v11
	v_mov_b32_e32 v30, v13
	ds_write_b128 v27, v[28:31]
.LBB88_260:
	s_or_b64 exec, exec, s[10:11]
	v_cmp_gt_u32_e64 s[10:11], 12, v25
	s_and_b64 s[14:15], s[10:11], s[80:81]
	s_waitcnt lgkmcnt(0)
	s_barrier
	s_and_saveexec_b64 s[10:11], s[14:15]
	s_cbranch_execz .LBB88_262
; %bb.261:
	v_lshlrev_b32_e32 v32, 4, v25
	ds_read_b128 v[28:31], v27
	ds_read_b128 v[32:35], v32 offset:6144
	s_waitcnt lgkmcnt(0)
	v_mul_f64 v[36:37], v[30:31], v[34:35]
	v_mul_f64 v[34:35], v[28:29], v[34:35]
	v_fma_f64 v[28:29], v[28:29], v[32:33], -v[36:37]
	v_fma_f64 v[30:31], v[30:31], v[32:33], v[34:35]
	v_add_f64 v[11:12], v[11:12], -v[28:29]
	v_add_f64 v[13:14], v[13:14], -v[30:31]
.LBB88_262:
	s_or_b64 exec, exec, s[10:11]
	v_cmp_eq_u32_e64 s[10:11], 11, v25
	s_and_b64 s[14:15], s[10:11], s[80:81]
	s_barrier
	s_and_saveexec_b64 s[10:11], s[14:15]
	s_cbranch_execz .LBB88_264
; %bb.263:
	v_mov_b32_e32 v28, 0
	ds_read_b128 v[28:31], v28 offset:5808
	s_waitcnt lgkmcnt(0)
	v_mul_f64 v[32:33], v[13:14], v[30:31]
	v_mul_f64 v[30:31], v[11:12], v[30:31]
	v_fma_f64 v[11:12], v[11:12], v[28:29], -v[32:33]
	v_fma_f64 v[13:14], v[13:14], v[28:29], v[30:31]
	v_xor_b32_e32 v29, 0x80000000, v12
	v_xor_b32_e32 v31, 0x80000000, v14
	v_mov_b32_e32 v28, v11
	v_mov_b32_e32 v30, v13
	ds_write_b128 v27, v[28:31]
.LBB88_264:
	s_or_b64 exec, exec, s[10:11]
	v_cmp_gt_u32_e64 s[10:11], 11, v25
	s_and_b64 s[14:15], s[10:11], s[80:81]
	s_waitcnt lgkmcnt(0)
	s_barrier
	s_and_saveexec_b64 s[10:11], s[14:15]
	s_cbranch_execz .LBB88_266
; %bb.265:
	v_lshlrev_b32_e32 v32, 4, v25
	ds_read_b128 v[28:31], v27
	ds_read_b128 v[32:35], v32 offset:5632
	s_waitcnt lgkmcnt(0)
	v_mul_f64 v[36:37], v[30:31], v[34:35]
	v_mul_f64 v[34:35], v[28:29], v[34:35]
	v_fma_f64 v[28:29], v[28:29], v[32:33], -v[36:37]
	v_fma_f64 v[30:31], v[30:31], v[32:33], v[34:35]
	v_add_f64 v[11:12], v[11:12], -v[28:29]
	v_add_f64 v[13:14], v[13:14], -v[30:31]
.LBB88_266:
	s_or_b64 exec, exec, s[10:11]
	v_cmp_eq_u32_e64 s[10:11], 10, v25
	s_and_b64 s[14:15], s[10:11], s[80:81]
	s_barrier
	s_and_saveexec_b64 s[10:11], s[14:15]
	s_cbranch_execz .LBB88_268
; %bb.267:
	v_mov_b32_e32 v28, 0
	ds_read_b128 v[28:31], v28 offset:5280
	s_waitcnt lgkmcnt(0)
	v_mul_f64 v[32:33], v[13:14], v[30:31]
	v_mul_f64 v[30:31], v[11:12], v[30:31]
	v_fma_f64 v[11:12], v[11:12], v[28:29], -v[32:33]
	v_fma_f64 v[13:14], v[13:14], v[28:29], v[30:31]
	v_xor_b32_e32 v29, 0x80000000, v12
	v_xor_b32_e32 v31, 0x80000000, v14
	v_mov_b32_e32 v28, v11
	v_mov_b32_e32 v30, v13
	ds_write_b128 v27, v[28:31]
.LBB88_268:
	s_or_b64 exec, exec, s[10:11]
	v_cmp_gt_u32_e64 s[10:11], 10, v25
	s_and_b64 s[14:15], s[10:11], s[80:81]
	s_waitcnt lgkmcnt(0)
	s_barrier
	s_and_saveexec_b64 s[10:11], s[14:15]
	s_cbranch_execz .LBB88_270
; %bb.269:
	v_lshlrev_b32_e32 v32, 4, v25
	ds_read_b128 v[28:31], v27
	ds_read_b128 v[32:35], v32 offset:5120
	s_waitcnt lgkmcnt(0)
	v_mul_f64 v[36:37], v[30:31], v[34:35]
	v_mul_f64 v[34:35], v[28:29], v[34:35]
	v_fma_f64 v[28:29], v[28:29], v[32:33], -v[36:37]
	v_fma_f64 v[30:31], v[30:31], v[32:33], v[34:35]
	v_add_f64 v[11:12], v[11:12], -v[28:29]
	v_add_f64 v[13:14], v[13:14], -v[30:31]
.LBB88_270:
	s_or_b64 exec, exec, s[10:11]
	v_cmp_eq_u32_e64 s[10:11], 9, v25
	s_and_b64 s[14:15], s[10:11], s[80:81]
	s_barrier
	s_and_saveexec_b64 s[10:11], s[14:15]
	s_cbranch_execz .LBB88_272
; %bb.271:
	v_mov_b32_e32 v28, 0
	ds_read_b128 v[28:31], v28 offset:4752
	s_waitcnt lgkmcnt(0)
	v_mul_f64 v[32:33], v[13:14], v[30:31]
	v_mul_f64 v[30:31], v[11:12], v[30:31]
	v_fma_f64 v[11:12], v[11:12], v[28:29], -v[32:33]
	v_fma_f64 v[13:14], v[13:14], v[28:29], v[30:31]
	v_xor_b32_e32 v29, 0x80000000, v12
	v_xor_b32_e32 v31, 0x80000000, v14
	v_mov_b32_e32 v28, v11
	v_mov_b32_e32 v30, v13
	ds_write_b128 v27, v[28:31]
.LBB88_272:
	s_or_b64 exec, exec, s[10:11]
	v_cmp_gt_u32_e64 s[10:11], 9, v25
	s_and_b64 s[14:15], s[10:11], s[80:81]
	s_waitcnt lgkmcnt(0)
	s_barrier
	s_and_saveexec_b64 s[10:11], s[14:15]
	s_cbranch_execz .LBB88_274
; %bb.273:
	v_lshlrev_b32_e32 v32, 4, v25
	ds_read_b128 v[28:31], v27
	ds_read_b128 v[32:35], v32 offset:4608
	s_waitcnt lgkmcnt(0)
	v_mul_f64 v[36:37], v[30:31], v[34:35]
	v_mul_f64 v[34:35], v[28:29], v[34:35]
	v_fma_f64 v[28:29], v[28:29], v[32:33], -v[36:37]
	v_fma_f64 v[30:31], v[30:31], v[32:33], v[34:35]
	v_add_f64 v[11:12], v[11:12], -v[28:29]
	v_add_f64 v[13:14], v[13:14], -v[30:31]
.LBB88_274:
	s_or_b64 exec, exec, s[10:11]
	v_cmp_eq_u32_e64 s[10:11], 8, v25
	s_and_b64 s[14:15], s[10:11], s[80:81]
	s_barrier
	s_and_saveexec_b64 s[10:11], s[14:15]
	s_cbranch_execz .LBB88_276
; %bb.275:
	v_mov_b32_e32 v28, 0
	ds_read_b128 v[28:31], v28 offset:4224
	s_waitcnt lgkmcnt(0)
	v_mul_f64 v[32:33], v[13:14], v[30:31]
	v_mul_f64 v[30:31], v[11:12], v[30:31]
	v_fma_f64 v[11:12], v[11:12], v[28:29], -v[32:33]
	v_fma_f64 v[13:14], v[13:14], v[28:29], v[30:31]
	v_xor_b32_e32 v29, 0x80000000, v12
	v_xor_b32_e32 v31, 0x80000000, v14
	v_mov_b32_e32 v28, v11
	v_mov_b32_e32 v30, v13
	ds_write_b128 v27, v[28:31]
.LBB88_276:
	s_or_b64 exec, exec, s[10:11]
	v_cmp_gt_u32_e64 s[10:11], 8, v25
	s_and_b64 s[14:15], s[10:11], s[80:81]
	s_waitcnt lgkmcnt(0)
	s_barrier
	s_and_saveexec_b64 s[10:11], s[14:15]
	s_cbranch_execz .LBB88_278
; %bb.277:
	v_lshlrev_b32_e32 v32, 4, v25
	ds_read_b128 v[28:31], v27
	ds_read_b128 v[32:35], v32 offset:4096
	s_waitcnt lgkmcnt(0)
	v_mul_f64 v[36:37], v[30:31], v[34:35]
	v_mul_f64 v[34:35], v[28:29], v[34:35]
	v_fma_f64 v[28:29], v[28:29], v[32:33], -v[36:37]
	v_fma_f64 v[30:31], v[30:31], v[32:33], v[34:35]
	v_add_f64 v[11:12], v[11:12], -v[28:29]
	v_add_f64 v[13:14], v[13:14], -v[30:31]
.LBB88_278:
	s_or_b64 exec, exec, s[10:11]
	v_cmp_eq_u32_e64 s[10:11], 7, v25
	s_and_b64 s[14:15], s[10:11], s[80:81]
	s_barrier
	s_and_saveexec_b64 s[10:11], s[14:15]
	s_cbranch_execz .LBB88_280
; %bb.279:
	v_mov_b32_e32 v28, 0
	ds_read_b128 v[28:31], v28 offset:3696
	s_waitcnt lgkmcnt(0)
	v_mul_f64 v[32:33], v[13:14], v[30:31]
	v_mul_f64 v[30:31], v[11:12], v[30:31]
	v_fma_f64 v[11:12], v[11:12], v[28:29], -v[32:33]
	v_fma_f64 v[13:14], v[13:14], v[28:29], v[30:31]
	v_xor_b32_e32 v29, 0x80000000, v12
	v_xor_b32_e32 v31, 0x80000000, v14
	v_mov_b32_e32 v28, v11
	v_mov_b32_e32 v30, v13
	ds_write_b128 v27, v[28:31]
.LBB88_280:
	s_or_b64 exec, exec, s[10:11]
	v_cmp_gt_u32_e64 s[10:11], 7, v25
	s_and_b64 s[14:15], s[10:11], s[80:81]
	s_waitcnt lgkmcnt(0)
	s_barrier
	s_and_saveexec_b64 s[10:11], s[14:15]
	s_cbranch_execz .LBB88_282
; %bb.281:
	v_lshlrev_b32_e32 v32, 4, v25
	ds_read_b128 v[28:31], v27
	ds_read_b128 v[32:35], v32 offset:3584
	s_waitcnt lgkmcnt(0)
	v_mul_f64 v[36:37], v[30:31], v[34:35]
	v_mul_f64 v[34:35], v[28:29], v[34:35]
	v_fma_f64 v[28:29], v[28:29], v[32:33], -v[36:37]
	v_fma_f64 v[30:31], v[30:31], v[32:33], v[34:35]
	v_add_f64 v[11:12], v[11:12], -v[28:29]
	v_add_f64 v[13:14], v[13:14], -v[30:31]
.LBB88_282:
	s_or_b64 exec, exec, s[10:11]
	v_cmp_eq_u32_e64 s[10:11], 6, v25
	s_and_b64 s[14:15], s[10:11], s[80:81]
	s_barrier
	s_and_saveexec_b64 s[10:11], s[14:15]
	s_cbranch_execz .LBB88_284
; %bb.283:
	v_mov_b32_e32 v28, 0
	ds_read_b128 v[28:31], v28 offset:3168
	s_waitcnt lgkmcnt(0)
	v_mul_f64 v[32:33], v[13:14], v[30:31]
	v_mul_f64 v[30:31], v[11:12], v[30:31]
	v_fma_f64 v[11:12], v[11:12], v[28:29], -v[32:33]
	v_fma_f64 v[13:14], v[13:14], v[28:29], v[30:31]
	v_xor_b32_e32 v29, 0x80000000, v12
	v_xor_b32_e32 v31, 0x80000000, v14
	v_mov_b32_e32 v28, v11
	v_mov_b32_e32 v30, v13
	ds_write_b128 v27, v[28:31]
.LBB88_284:
	s_or_b64 exec, exec, s[10:11]
	v_cmp_gt_u32_e64 s[10:11], 6, v25
	s_and_b64 s[14:15], s[10:11], s[80:81]
	s_waitcnt lgkmcnt(0)
	s_barrier
	s_and_saveexec_b64 s[10:11], s[14:15]
	s_cbranch_execz .LBB88_286
; %bb.285:
	v_lshlrev_b32_e32 v32, 4, v25
	ds_read_b128 v[28:31], v27
	ds_read_b128 v[32:35], v32 offset:3072
	s_waitcnt lgkmcnt(0)
	v_mul_f64 v[36:37], v[30:31], v[34:35]
	v_mul_f64 v[34:35], v[28:29], v[34:35]
	v_fma_f64 v[28:29], v[28:29], v[32:33], -v[36:37]
	v_fma_f64 v[30:31], v[30:31], v[32:33], v[34:35]
	v_add_f64 v[11:12], v[11:12], -v[28:29]
	v_add_f64 v[13:14], v[13:14], -v[30:31]
.LBB88_286:
	s_or_b64 exec, exec, s[10:11]
	v_cmp_eq_u32_e64 s[10:11], 5, v25
	s_and_b64 s[14:15], s[10:11], s[80:81]
	s_barrier
	s_and_saveexec_b64 s[10:11], s[14:15]
	s_cbranch_execz .LBB88_288
; %bb.287:
	v_mov_b32_e32 v28, 0
	ds_read_b128 v[28:31], v28 offset:2640
	s_waitcnt lgkmcnt(0)
	v_mul_f64 v[32:33], v[13:14], v[30:31]
	v_mul_f64 v[30:31], v[11:12], v[30:31]
	v_fma_f64 v[11:12], v[11:12], v[28:29], -v[32:33]
	v_fma_f64 v[13:14], v[13:14], v[28:29], v[30:31]
	v_xor_b32_e32 v29, 0x80000000, v12
	v_xor_b32_e32 v31, 0x80000000, v14
	v_mov_b32_e32 v28, v11
	v_mov_b32_e32 v30, v13
	ds_write_b128 v27, v[28:31]
.LBB88_288:
	s_or_b64 exec, exec, s[10:11]
	v_cmp_gt_u32_e64 s[10:11], 5, v25
	s_and_b64 s[14:15], s[10:11], s[80:81]
	s_waitcnt lgkmcnt(0)
	s_barrier
	s_and_saveexec_b64 s[10:11], s[14:15]
	s_cbranch_execz .LBB88_290
; %bb.289:
	v_lshlrev_b32_e32 v32, 4, v25
	ds_read_b128 v[28:31], v27
	ds_read_b128 v[32:35], v32 offset:2560
	s_waitcnt lgkmcnt(0)
	v_mul_f64 v[36:37], v[30:31], v[34:35]
	v_mul_f64 v[34:35], v[28:29], v[34:35]
	v_fma_f64 v[28:29], v[28:29], v[32:33], -v[36:37]
	v_fma_f64 v[30:31], v[30:31], v[32:33], v[34:35]
	v_add_f64 v[11:12], v[11:12], -v[28:29]
	v_add_f64 v[13:14], v[13:14], -v[30:31]
.LBB88_290:
	s_or_b64 exec, exec, s[10:11]
	v_cmp_eq_u32_e64 s[10:11], 4, v25
	s_and_b64 s[14:15], s[10:11], s[80:81]
	s_barrier
	s_and_saveexec_b64 s[10:11], s[14:15]
	s_cbranch_execz .LBB88_292
; %bb.291:
	v_mov_b32_e32 v28, 0
	ds_read_b128 v[28:31], v28 offset:2112
	s_waitcnt lgkmcnt(0)
	v_mul_f64 v[32:33], v[13:14], v[30:31]
	v_mul_f64 v[30:31], v[11:12], v[30:31]
	v_fma_f64 v[11:12], v[11:12], v[28:29], -v[32:33]
	v_fma_f64 v[13:14], v[13:14], v[28:29], v[30:31]
	v_xor_b32_e32 v29, 0x80000000, v12
	v_xor_b32_e32 v31, 0x80000000, v14
	v_mov_b32_e32 v28, v11
	v_mov_b32_e32 v30, v13
	ds_write_b128 v27, v[28:31]
.LBB88_292:
	s_or_b64 exec, exec, s[10:11]
	v_cmp_gt_u32_e64 s[10:11], 4, v25
	s_and_b64 s[14:15], s[10:11], s[80:81]
	s_waitcnt lgkmcnt(0)
	s_barrier
	s_and_saveexec_b64 s[10:11], s[14:15]
	s_cbranch_execz .LBB88_294
; %bb.293:
	v_lshlrev_b32_e32 v32, 4, v25
	ds_read_b128 v[28:31], v27
	ds_read_b128 v[32:35], v32 offset:2048
	s_waitcnt lgkmcnt(0)
	v_mul_f64 v[36:37], v[30:31], v[34:35]
	v_mul_f64 v[34:35], v[28:29], v[34:35]
	v_fma_f64 v[28:29], v[28:29], v[32:33], -v[36:37]
	v_fma_f64 v[30:31], v[30:31], v[32:33], v[34:35]
	v_add_f64 v[11:12], v[11:12], -v[28:29]
	v_add_f64 v[13:14], v[13:14], -v[30:31]
.LBB88_294:
	s_or_b64 exec, exec, s[10:11]
	v_cmp_eq_u32_e64 s[10:11], 3, v25
	s_and_b64 s[14:15], s[10:11], s[80:81]
	s_barrier
	s_and_saveexec_b64 s[10:11], s[14:15]
	s_cbranch_execz .LBB88_296
; %bb.295:
	v_mov_b32_e32 v28, 0
	ds_read_b128 v[28:31], v28 offset:1584
	s_waitcnt lgkmcnt(0)
	v_mul_f64 v[32:33], v[13:14], v[30:31]
	v_mul_f64 v[30:31], v[11:12], v[30:31]
	v_fma_f64 v[11:12], v[11:12], v[28:29], -v[32:33]
	v_fma_f64 v[13:14], v[13:14], v[28:29], v[30:31]
	v_xor_b32_e32 v29, 0x80000000, v12
	v_xor_b32_e32 v31, 0x80000000, v14
	v_mov_b32_e32 v28, v11
	v_mov_b32_e32 v30, v13
	ds_write_b128 v27, v[28:31]
.LBB88_296:
	s_or_b64 exec, exec, s[10:11]
	v_cmp_gt_u32_e64 s[10:11], 3, v25
	s_and_b64 s[14:15], s[10:11], s[80:81]
	s_waitcnt lgkmcnt(0)
	s_barrier
	s_and_saveexec_b64 s[10:11], s[14:15]
	s_cbranch_execz .LBB88_298
; %bb.297:
	v_lshlrev_b32_e32 v32, 4, v25
	ds_read_b128 v[28:31], v27
	ds_read_b128 v[32:35], v32 offset:1536
	s_waitcnt lgkmcnt(0)
	v_mul_f64 v[36:37], v[30:31], v[34:35]
	v_mul_f64 v[34:35], v[28:29], v[34:35]
	v_fma_f64 v[28:29], v[28:29], v[32:33], -v[36:37]
	v_fma_f64 v[30:31], v[30:31], v[32:33], v[34:35]
	v_add_f64 v[11:12], v[11:12], -v[28:29]
	v_add_f64 v[13:14], v[13:14], -v[30:31]
.LBB88_298:
	s_or_b64 exec, exec, s[10:11]
	v_cmp_eq_u32_e64 s[10:11], 2, v25
	s_and_b64 s[14:15], s[10:11], s[80:81]
	s_barrier
	s_and_saveexec_b64 s[10:11], s[14:15]
	s_cbranch_execz .LBB88_300
; %bb.299:
	v_mov_b32_e32 v28, 0
	ds_read_b128 v[28:31], v28 offset:1056
	s_waitcnt lgkmcnt(0)
	v_mul_f64 v[32:33], v[13:14], v[30:31]
	v_mul_f64 v[30:31], v[11:12], v[30:31]
	v_fma_f64 v[11:12], v[11:12], v[28:29], -v[32:33]
	v_fma_f64 v[13:14], v[13:14], v[28:29], v[30:31]
	v_xor_b32_e32 v29, 0x80000000, v12
	v_xor_b32_e32 v31, 0x80000000, v14
	v_mov_b32_e32 v28, v11
	v_mov_b32_e32 v30, v13
	ds_write_b128 v27, v[28:31]
.LBB88_300:
	s_or_b64 exec, exec, s[10:11]
	v_cmp_gt_u32_e64 s[10:11], 2, v25
	s_and_b64 s[14:15], s[10:11], s[80:81]
	s_waitcnt lgkmcnt(0)
	s_barrier
	s_and_saveexec_b64 s[10:11], s[14:15]
	s_cbranch_execz .LBB88_302
; %bb.301:
	v_lshlrev_b32_e32 v32, 4, v25
	ds_read_b128 v[28:31], v27
	ds_read_b128 v[32:35], v32 offset:1024
	s_waitcnt lgkmcnt(0)
	v_mul_f64 v[36:37], v[30:31], v[34:35]
	v_mul_f64 v[34:35], v[28:29], v[34:35]
	v_fma_f64 v[28:29], v[28:29], v[32:33], -v[36:37]
	v_fma_f64 v[30:31], v[30:31], v[32:33], v[34:35]
	v_add_f64 v[11:12], v[11:12], -v[28:29]
	v_add_f64 v[13:14], v[13:14], -v[30:31]
.LBB88_302:
	s_or_b64 exec, exec, s[10:11]
	v_cmp_eq_u32_e64 s[10:11], 1, v25
	s_and_b64 s[14:15], s[10:11], s[80:81]
	s_barrier
	s_and_saveexec_b64 s[10:11], s[14:15]
	s_cbranch_execz .LBB88_304
; %bb.303:
	v_mov_b32_e32 v28, 0
	ds_read_b128 v[28:31], v28 offset:528
	s_waitcnt lgkmcnt(0)
	v_mul_f64 v[32:33], v[13:14], v[30:31]
	v_mul_f64 v[30:31], v[11:12], v[30:31]
	v_fma_f64 v[11:12], v[11:12], v[28:29], -v[32:33]
	v_fma_f64 v[13:14], v[13:14], v[28:29], v[30:31]
	v_xor_b32_e32 v29, 0x80000000, v12
	v_xor_b32_e32 v31, 0x80000000, v14
	v_mov_b32_e32 v28, v11
	v_mov_b32_e32 v30, v13
	ds_write_b128 v27, v[28:31]
.LBB88_304:
	s_or_b64 exec, exec, s[10:11]
	v_cmp_eq_u32_e64 s[10:11], 0, v25
	s_and_b64 s[10:11], s[10:11], s[80:81]
	s_waitcnt lgkmcnt(0)
	s_barrier
	s_and_saveexec_b64 s[14:15], s[10:11]
	s_cbranch_execz .LBB88_306
; %bb.305:
	v_mov_b32_e32 v32, 0
	ds_read_b128 v[28:31], v27
	ds_read_b128 v[32:35], v32 offset:512
	s_waitcnt lgkmcnt(0)
	v_mul_f64 v[36:37], v[30:31], v[34:35]
	v_mul_f64 v[34:35], v[28:29], v[34:35]
	v_fma_f64 v[28:29], v[28:29], v[32:33], -v[36:37]
	v_fma_f64 v[30:31], v[30:31], v[32:33], v[34:35]
	v_add_f64 v[11:12], v[11:12], -v[28:29]
	v_add_f64 v[13:14], v[13:14], -v[30:31]
.LBB88_306:
	s_or_b64 exec, exec, s[14:15]
	s_barrier
	s_and_saveexec_b64 s[14:15], s[10:11]
	s_cbranch_execz .LBB88_308
; %bb.307:
	v_mov_b32_e32 v28, 0
	ds_read_b128 v[28:31], v28
	s_waitcnt lgkmcnt(0)
	v_mul_f64 v[32:33], v[13:14], v[30:31]
	v_mul_f64 v[30:31], v[11:12], v[30:31]
	v_fma_f64 v[11:12], v[11:12], v[28:29], -v[32:33]
	v_fma_f64 v[13:14], v[13:14], v[28:29], v[30:31]
	v_xor_b32_e32 v29, 0x80000000, v12
	v_xor_b32_e32 v31, 0x80000000, v14
	v_mov_b32_e32 v28, v11
	v_mov_b32_e32 v30, v13
	ds_write_b128 v27, v[28:31]
.LBB88_308:
	s_or_b64 exec, exec, s[14:15]
	s_waitcnt lgkmcnt(0)
	s_barrier
	s_barrier
	s_and_saveexec_b64 s[10:11], s[8:9]
; %bb.309:
	v_lshlrev_b32_e32 v25, 4, v25
	v_lshl_or_b32 v25, v26, 9, v25
	ds_write_b128 v25, v[11:14] offset:8192
; %bb.310:
	s_or_b64 exec, exec, s[10:11]
	s_waitcnt lgkmcnt(0)
	s_barrier
	s_barrier
	s_and_saveexec_b64 s[8:9], vcc
	s_cbranch_execz .LBB88_312
; %bb.311:
	v_mov_b32_e32 v35, 0
	ds_read_b128 v[11:14], v35 offset:7920
	ds_read_b128 v[25:28], v35 offset:7392
	;; [unrolled: 1-line block ×3, first 2 shown]
	s_waitcnt lgkmcnt(1)
	v_mul_f64 v[33:34], v[11:12], v[27:28]
	v_mul_f64 v[27:28], v[13:14], v[27:28]
	v_fma_f64 v[13:14], v[13:14], v[25:26], v[33:34]
	v_fma_f64 v[11:12], v[11:12], v[25:26], -v[27:28]
	s_waitcnt lgkmcnt(0)
	v_mul_f64 v[25:26], v[13:14], v[31:32]
	v_mul_f64 v[27:28], v[11:12], v[31:32]
	v_fma_f64 v[11:12], v[29:30], v[11:12], -v[25:26]
	v_fma_f64 v[13:14], v[29:30], v[13:14], v[27:28]
	ds_write_b128 v35, v[11:14] offset:7904
.LBB88_312:
	s_or_b64 exec, exec, s[8:9]
	v_mov_b32_e32 v11, 0
	v_mov_b32_e32 v13, 0
	;; [unrolled: 1-line block ×4, first 2 shown]
	s_waitcnt lgkmcnt(0)
	s_barrier
	buffer_wbinvl1_vol
	s_and_saveexec_b64 s[10:11], s[0:1]
	s_cbranch_execz .LBB88_316
; %bb.313:
	v_lshlrev_b32_e32 v25, 4, v15
	v_lshlrev_b32_e32 v11, 9, v16
	ds_read_b128 v[11:14], v11 offset:7392
	ds_read_b128 v[25:28], v25 offset:7360
	v_cmp_gt_u32_e64 s[8:9], 2, v18
	s_waitcnt lgkmcnt(0)
	v_mul_f64 v[29:30], v[13:14], v[27:28]
	v_mul_f64 v[27:28], v[11:12], v[27:28]
	v_fma_f64 v[11:12], v[11:12], v[25:26], -v[29:30]
	v_fma_f64 v[13:14], v[13:14], v[25:26], v[27:28]
	v_add_f64 v[11:12], v[11:12], 0
	v_add_f64 v[13:14], v[13:14], 0
	s_and_saveexec_b64 s[14:15], s[8:9]
	s_cbranch_execz .LBB88_315
; %bb.314:
	v_lshlrev_b32_e32 v29, 4, v0
	v_mov_b32_e32 v25, 0
	ds_read_b128 v[25:28], v25 offset:7920
	ds_read_b128 v[29:32], v29 offset:7872
	s_waitcnt lgkmcnt(0)
	v_mul_f64 v[33:34], v[27:28], v[31:32]
	v_mul_f64 v[31:32], v[25:26], v[31:32]
	v_fma_f64 v[25:26], v[25:26], v[29:30], -v[33:34]
	v_fma_f64 v[27:28], v[27:28], v[29:30], v[31:32]
	v_add_f64 v[11:12], v[11:12], v[25:26]
	v_add_f64 v[13:14], v[13:14], v[27:28]
.LBB88_315:
	s_or_b64 exec, exec, s[14:15]
.LBB88_316:
	s_or_b64 exec, exec, s[10:11]
	s_and_saveexec_b64 s[8:9], s[38:39]
	s_cbranch_execz .LBB88_318
; %bb.317:
	v_mov_b32_e32 v25, 0
	ds_read_b128 v[25:28], v25 offset:6864
	s_waitcnt lgkmcnt(0)
	v_mul_f64 v[29:30], v[13:14], v[27:28]
	v_mul_f64 v[27:28], v[11:12], v[27:28]
	v_fma_f64 v[11:12], v[11:12], v[25:26], -v[29:30]
	v_fma_f64 v[13:14], v[13:14], v[25:26], v[27:28]
	v_xor_b32_e32 v26, 0x80000000, v12
	v_xor_b32_e32 v28, 0x80000000, v14
	v_mov_b32_e32 v25, v11
	v_mov_b32_e32 v27, v13
	ds_write_b128 v17, v[25:28]
.LBB88_318:
	s_or_b64 exec, exec, s[8:9]
	s_waitcnt lgkmcnt(0)
	s_barrier
	s_and_saveexec_b64 s[8:9], s[36:37]
	s_cbranch_execz .LBB88_320
; %bb.319:
	v_mov_b32_e32 v29, 0
	ds_read_b128 v[25:28], v17
	ds_read_b128 v[29:32], v29 offset:6848
	s_waitcnt lgkmcnt(0)
	v_mul_f64 v[33:34], v[27:28], v[31:32]
	v_mul_f64 v[31:32], v[25:26], v[31:32]
	v_fma_f64 v[25:26], v[25:26], v[29:30], -v[33:34]
	v_fma_f64 v[27:28], v[27:28], v[29:30], v[31:32]
	v_add_f64 v[11:12], v[11:12], -v[25:26]
	v_add_f64 v[13:14], v[13:14], -v[27:28]
.LBB88_320:
	s_or_b64 exec, exec, s[8:9]
	s_barrier
	s_and_saveexec_b64 s[8:9], s[36:37]
	s_cbranch_execz .LBB88_322
; %bb.321:
	v_mov_b32_e32 v25, 0
	ds_read_b128 v[25:28], v25 offset:6336
	s_waitcnt lgkmcnt(0)
	v_mul_f64 v[29:30], v[13:14], v[27:28]
	v_mul_f64 v[27:28], v[11:12], v[27:28]
	v_fma_f64 v[11:12], v[11:12], v[25:26], -v[29:30]
	v_fma_f64 v[13:14], v[13:14], v[25:26], v[27:28]
	v_xor_b32_e32 v26, 0x80000000, v12
	v_xor_b32_e32 v28, 0x80000000, v14
	v_mov_b32_e32 v25, v11
	v_mov_b32_e32 v27, v13
	ds_write_b128 v17, v[25:28]
.LBB88_322:
	s_or_b64 exec, exec, s[8:9]
	s_waitcnt lgkmcnt(0)
	s_barrier
	s_barrier
	s_and_saveexec_b64 s[8:9], s[0:1]
; %bb.323:
	v_lshlrev_b32_e32 v25, 4, v15
	v_lshl_or_b32 v25, v16, 9, v25
	ds_write_b128 v25, v[11:14] offset:7360
; %bb.324:
	s_or_b64 exec, exec, s[8:9]
	s_waitcnt lgkmcnt(0)
	s_barrier
	s_barrier
	s_and_saveexec_b64 s[8:9], vcc
	s_cbranch_execz .LBB88_326
; %bb.325:
	v_mov_b32_e32 v35, 0
	ds_read_b128 v[11:14], v35 offset:6864
	ds_read_b128 v[25:28], v35 offset:6336
	;; [unrolled: 1-line block ×3, first 2 shown]
	s_waitcnt lgkmcnt(1)
	v_mul_f64 v[33:34], v[11:12], v[27:28]
	v_mul_f64 v[27:28], v[13:14], v[27:28]
	v_fma_f64 v[13:14], v[13:14], v[25:26], v[33:34]
	v_fma_f64 v[11:12], v[11:12], v[25:26], -v[27:28]
	s_waitcnt lgkmcnt(0)
	v_mul_f64 v[25:26], v[13:14], v[31:32]
	v_mul_f64 v[27:28], v[11:12], v[31:32]
	v_fma_f64 v[11:12], v[29:30], v[11:12], -v[25:26]
	v_fma_f64 v[13:14], v[29:30], v[13:14], v[27:28]
	ds_write_b128 v35, v[11:14] offset:6848
.LBB88_326:
	s_or_b64 exec, exec, s[8:9]
	v_mov_b32_e32 v13, 0
	v_mov_b32_e32 v11, 0
	;; [unrolled: 1-line block ×4, first 2 shown]
	s_waitcnt lgkmcnt(0)
	s_barrier
	buffer_wbinvl1_vol
	s_and_saveexec_b64 s[10:11], s[2:3]
	s_cbranch_execz .LBB88_332
; %bb.327:
	v_lshlrev_b32_e32 v26, 9, v20
	v_lshlrev_b32_e32 v25, 4, v19
	ds_read_b128 v[11:14], v26 offset:6336
	ds_read_b128 v[27:30], v25 offset:6272
	v_cmp_gt_u32_e64 s[8:9], 12, v18
	s_waitcnt lgkmcnt(0)
	v_mul_f64 v[31:32], v[13:14], v[29:30]
	v_mul_f64 v[29:30], v[11:12], v[29:30]
	v_fma_f64 v[11:12], v[11:12], v[27:28], -v[31:32]
	v_fma_f64 v[13:14], v[13:14], v[27:28], v[29:30]
	v_add_f64 v[11:12], v[11:12], 0
	v_add_f64 v[13:14], v[13:14], 0
	s_and_saveexec_b64 s[14:15], s[8:9]
	s_cbranch_execnz .LBB88_534
; %bb.328:
	s_or_b64 exec, exec, s[14:15]
	v_cmp_gt_u32_e64 s[8:9], 8, v18
	s_and_saveexec_b64 s[14:15], s[8:9]
	s_cbranch_execnz .LBB88_535
.LBB88_329:
	s_or_b64 exec, exec, s[14:15]
	v_cmp_gt_u32_e64 s[8:9], 4, v18
	s_and_saveexec_b64 s[14:15], s[8:9]
	s_cbranch_execz .LBB88_331
.LBB88_330:
	v_lshlrev_b32_e32 v29, 4, v0
	v_mov_b32_e32 v25, 0
	ds_read_b128 v[25:28], v25 offset:7920
	ds_read_b128 v[29:32], v29 offset:7808
	s_waitcnt lgkmcnt(0)
	v_mul_f64 v[33:34], v[27:28], v[31:32]
	v_mul_f64 v[31:32], v[25:26], v[31:32]
	v_fma_f64 v[25:26], v[25:26], v[29:30], -v[33:34]
	v_fma_f64 v[27:28], v[27:28], v[29:30], v[31:32]
	v_add_f64 v[11:12], v[11:12], v[25:26]
	v_add_f64 v[13:14], v[13:14], v[27:28]
.LBB88_331:
	s_or_b64 exec, exec, s[14:15]
.LBB88_332:
	s_or_b64 exec, exec, s[10:11]
	s_and_saveexec_b64 s[8:9], s[42:43]
	s_cbranch_execz .LBB88_334
; %bb.333:
	v_mov_b32_e32 v25, 0
	ds_read_b128 v[25:28], v25 offset:5808
	s_waitcnt lgkmcnt(0)
	v_mul_f64 v[29:30], v[13:14], v[27:28]
	v_mul_f64 v[27:28], v[11:12], v[27:28]
	v_fma_f64 v[11:12], v[11:12], v[25:26], -v[29:30]
	v_fma_f64 v[13:14], v[13:14], v[25:26], v[27:28]
	v_xor_b32_e32 v26, 0x80000000, v12
	v_xor_b32_e32 v28, 0x80000000, v14
	v_mov_b32_e32 v25, v11
	v_mov_b32_e32 v27, v13
	ds_write_b128 v21, v[25:28]
.LBB88_334:
	s_or_b64 exec, exec, s[8:9]
	s_waitcnt lgkmcnt(0)
	s_barrier
	s_and_saveexec_b64 s[8:9], s[44:45]
	s_cbranch_execz .LBB88_336
; %bb.335:
	v_lshlrev_b32_e32 v29, 4, v19
	ds_read_b128 v[25:28], v21
	ds_read_b128 v[29:32], v29 offset:5760
	s_waitcnt lgkmcnt(0)
	v_mul_f64 v[33:34], v[27:28], v[31:32]
	v_mul_f64 v[31:32], v[25:26], v[31:32]
	v_fma_f64 v[25:26], v[25:26], v[29:30], -v[33:34]
	v_fma_f64 v[27:28], v[27:28], v[29:30], v[31:32]
	v_add_f64 v[11:12], v[11:12], -v[25:26]
	v_add_f64 v[13:14], v[13:14], -v[27:28]
.LBB88_336:
	s_or_b64 exec, exec, s[8:9]
	s_barrier
	s_and_saveexec_b64 s[8:9], s[46:47]
	s_cbranch_execz .LBB88_338
; %bb.337:
	v_mov_b32_e32 v25, 0
	ds_read_b128 v[25:28], v25 offset:5280
	s_waitcnt lgkmcnt(0)
	v_mul_f64 v[29:30], v[13:14], v[27:28]
	v_mul_f64 v[27:28], v[11:12], v[27:28]
	v_fma_f64 v[11:12], v[11:12], v[25:26], -v[29:30]
	v_fma_f64 v[13:14], v[13:14], v[25:26], v[27:28]
	v_xor_b32_e32 v26, 0x80000000, v12
	v_xor_b32_e32 v28, 0x80000000, v14
	v_mov_b32_e32 v25, v11
	v_mov_b32_e32 v27, v13
	ds_write_b128 v21, v[25:28]
.LBB88_338:
	s_or_b64 exec, exec, s[8:9]
	s_waitcnt lgkmcnt(0)
	s_barrier
	s_and_saveexec_b64 s[8:9], s[48:49]
	s_cbranch_execz .LBB88_340
; %bb.339:
	v_lshlrev_b32_e32 v29, 4, v19
	ds_read_b128 v[25:28], v21
	ds_read_b128 v[29:32], v29 offset:5248
	s_waitcnt lgkmcnt(0)
	v_mul_f64 v[33:34], v[27:28], v[31:32]
	v_mul_f64 v[31:32], v[25:26], v[31:32]
	v_fma_f64 v[25:26], v[25:26], v[29:30], -v[33:34]
	v_fma_f64 v[27:28], v[27:28], v[29:30], v[31:32]
	v_add_f64 v[11:12], v[11:12], -v[25:26]
	v_add_f64 v[13:14], v[13:14], -v[27:28]
.LBB88_340:
	s_or_b64 exec, exec, s[8:9]
	s_barrier
	s_and_saveexec_b64 s[8:9], s[50:51]
	s_cbranch_execz .LBB88_342
; %bb.341:
	v_mov_b32_e32 v25, 0
	ds_read_b128 v[25:28], v25 offset:4752
	s_waitcnt lgkmcnt(0)
	v_mul_f64 v[29:30], v[13:14], v[27:28]
	v_mul_f64 v[27:28], v[11:12], v[27:28]
	v_fma_f64 v[11:12], v[11:12], v[25:26], -v[29:30]
	v_fma_f64 v[13:14], v[13:14], v[25:26], v[27:28]
	v_xor_b32_e32 v26, 0x80000000, v12
	v_xor_b32_e32 v28, 0x80000000, v14
	v_mov_b32_e32 v25, v11
	v_mov_b32_e32 v27, v13
	ds_write_b128 v21, v[25:28]
.LBB88_342:
	s_or_b64 exec, exec, s[8:9]
	s_waitcnt lgkmcnt(0)
	s_barrier
	s_and_saveexec_b64 s[8:9], s[40:41]
	s_cbranch_execz .LBB88_344
; %bb.343:
	v_mov_b32_e32 v29, 0
	ds_read_b128 v[25:28], v21
	ds_read_b128 v[29:32], v29 offset:4736
	s_waitcnt lgkmcnt(0)
	v_mul_f64 v[33:34], v[27:28], v[31:32]
	v_mul_f64 v[31:32], v[25:26], v[31:32]
	v_fma_f64 v[25:26], v[25:26], v[29:30], -v[33:34]
	v_fma_f64 v[27:28], v[27:28], v[29:30], v[31:32]
	v_add_f64 v[11:12], v[11:12], -v[25:26]
	v_add_f64 v[13:14], v[13:14], -v[27:28]
.LBB88_344:
	s_or_b64 exec, exec, s[8:9]
	s_barrier
	s_and_saveexec_b64 s[8:9], s[40:41]
	s_cbranch_execz .LBB88_346
; %bb.345:
	v_mov_b32_e32 v25, 0
	ds_read_b128 v[25:28], v25 offset:4224
	s_waitcnt lgkmcnt(0)
	v_mul_f64 v[29:30], v[13:14], v[27:28]
	v_mul_f64 v[27:28], v[11:12], v[27:28]
	v_fma_f64 v[11:12], v[11:12], v[25:26], -v[29:30]
	v_fma_f64 v[13:14], v[13:14], v[25:26], v[27:28]
	v_xor_b32_e32 v26, 0x80000000, v12
	v_xor_b32_e32 v28, 0x80000000, v14
	v_mov_b32_e32 v25, v11
	v_mov_b32_e32 v27, v13
	ds_write_b128 v21, v[25:28]
.LBB88_346:
	s_or_b64 exec, exec, s[8:9]
	s_waitcnt lgkmcnt(0)
	s_barrier
	s_barrier
	s_and_saveexec_b64 s[8:9], s[2:3]
; %bb.347:
	v_lshlrev_b32_e32 v25, 4, v19
	v_lshl_or_b32 v25, v20, 9, v25
	ds_write_b128 v25, v[11:14] offset:6272
; %bb.348:
	s_or_b64 exec, exec, s[8:9]
	s_waitcnt lgkmcnt(0)
	s_barrier
	s_barrier
	s_and_saveexec_b64 s[8:9], vcc
	s_cbranch_execz .LBB88_350
; %bb.349:
	v_mov_b32_e32 v35, 0
	ds_read_b128 v[11:14], v35 offset:5808
	ds_read_b128 v[25:28], v35 offset:5280
	;; [unrolled: 1-line block ×3, first 2 shown]
	s_waitcnt lgkmcnt(1)
	v_mul_f64 v[33:34], v[11:12], v[27:28]
	v_mul_f64 v[27:28], v[13:14], v[27:28]
	v_fma_f64 v[13:14], v[13:14], v[25:26], v[33:34]
	v_fma_f64 v[11:12], v[11:12], v[25:26], -v[27:28]
	s_waitcnt lgkmcnt(0)
	v_mul_f64 v[25:26], v[13:14], v[31:32]
	v_mul_f64 v[27:28], v[11:12], v[31:32]
	v_fma_f64 v[11:12], v[29:30], v[11:12], -v[25:26]
	v_fma_f64 v[13:14], v[29:30], v[13:14], v[27:28]
	ds_write_b128 v35, v[11:14] offset:5792
.LBB88_350:
	s_or_b64 exec, exec, s[8:9]
	v_mov_b32_e32 v11, 0
	v_mov_b32_e32 v13, 0
	;; [unrolled: 1-line block ×4, first 2 shown]
	s_waitcnt lgkmcnt(0)
	s_barrier
	buffer_wbinvl1_vol
	s_and_saveexec_b64 s[10:11], s[0:1]
	s_cbranch_execz .LBB88_354
; %bb.351:
	v_lshlrev_b32_e32 v25, 4, v15
	v_lshlrev_b32_e32 v11, 9, v16
	ds_read_b128 v[11:14], v11 offset:5280
	ds_read_b128 v[25:28], v25 offset:5248
	v_cmp_gt_u32_e64 s[8:9], 2, v18
	s_waitcnt lgkmcnt(0)
	v_mul_f64 v[29:30], v[13:14], v[27:28]
	v_mul_f64 v[27:28], v[11:12], v[27:28]
	v_fma_f64 v[11:12], v[11:12], v[25:26], -v[29:30]
	v_fma_f64 v[13:14], v[13:14], v[25:26], v[27:28]
	v_add_f64 v[11:12], v[11:12], 0
	v_add_f64 v[13:14], v[13:14], 0
	s_and_saveexec_b64 s[14:15], s[8:9]
	s_cbranch_execz .LBB88_353
; %bb.352:
	v_lshlrev_b32_e32 v29, 4, v0
	v_mov_b32_e32 v25, 0
	ds_read_b128 v[25:28], v25 offset:5808
	ds_read_b128 v[29:32], v29 offset:5760
	s_waitcnt lgkmcnt(0)
	v_mul_f64 v[33:34], v[27:28], v[31:32]
	v_mul_f64 v[31:32], v[25:26], v[31:32]
	v_fma_f64 v[25:26], v[25:26], v[29:30], -v[33:34]
	v_fma_f64 v[27:28], v[27:28], v[29:30], v[31:32]
	v_add_f64 v[11:12], v[11:12], v[25:26]
	v_add_f64 v[13:14], v[13:14], v[27:28]
.LBB88_353:
	s_or_b64 exec, exec, s[14:15]
.LBB88_354:
	s_or_b64 exec, exec, s[10:11]
	s_and_saveexec_b64 s[8:9], s[38:39]
	s_cbranch_execz .LBB88_356
; %bb.355:
	v_mov_b32_e32 v25, 0
	ds_read_b128 v[25:28], v25 offset:4752
	s_waitcnt lgkmcnt(0)
	v_mul_f64 v[29:30], v[13:14], v[27:28]
	v_mul_f64 v[27:28], v[11:12], v[27:28]
	v_fma_f64 v[11:12], v[11:12], v[25:26], -v[29:30]
	v_fma_f64 v[13:14], v[13:14], v[25:26], v[27:28]
	v_xor_b32_e32 v26, 0x80000000, v12
	v_xor_b32_e32 v28, 0x80000000, v14
	v_mov_b32_e32 v25, v11
	v_mov_b32_e32 v27, v13
	ds_write_b128 v17, v[25:28]
.LBB88_356:
	s_or_b64 exec, exec, s[8:9]
	s_waitcnt lgkmcnt(0)
	s_barrier
	s_and_saveexec_b64 s[8:9], s[36:37]
	s_cbranch_execz .LBB88_358
; %bb.357:
	v_mov_b32_e32 v29, 0
	ds_read_b128 v[25:28], v17
	ds_read_b128 v[29:32], v29 offset:4736
	s_waitcnt lgkmcnt(0)
	v_mul_f64 v[33:34], v[27:28], v[31:32]
	v_mul_f64 v[31:32], v[25:26], v[31:32]
	v_fma_f64 v[25:26], v[25:26], v[29:30], -v[33:34]
	v_fma_f64 v[27:28], v[27:28], v[29:30], v[31:32]
	v_add_f64 v[11:12], v[11:12], -v[25:26]
	v_add_f64 v[13:14], v[13:14], -v[27:28]
.LBB88_358:
	s_or_b64 exec, exec, s[8:9]
	s_barrier
	s_and_saveexec_b64 s[8:9], s[36:37]
	s_cbranch_execz .LBB88_360
; %bb.359:
	v_mov_b32_e32 v25, 0
	ds_read_b128 v[25:28], v25 offset:4224
	s_waitcnt lgkmcnt(0)
	v_mul_f64 v[29:30], v[13:14], v[27:28]
	v_mul_f64 v[27:28], v[11:12], v[27:28]
	v_fma_f64 v[11:12], v[11:12], v[25:26], -v[29:30]
	v_fma_f64 v[13:14], v[13:14], v[25:26], v[27:28]
	v_xor_b32_e32 v26, 0x80000000, v12
	v_xor_b32_e32 v28, 0x80000000, v14
	v_mov_b32_e32 v25, v11
	v_mov_b32_e32 v27, v13
	ds_write_b128 v17, v[25:28]
.LBB88_360:
	s_or_b64 exec, exec, s[8:9]
	s_waitcnt lgkmcnt(0)
	s_barrier
	s_barrier
	s_and_saveexec_b64 s[8:9], s[0:1]
; %bb.361:
	v_lshlrev_b32_e32 v25, 4, v15
	v_lshl_or_b32 v25, v16, 9, v25
	ds_write_b128 v25, v[11:14] offset:5248
; %bb.362:
	s_or_b64 exec, exec, s[8:9]
	s_waitcnt lgkmcnt(0)
	s_barrier
	s_barrier
	s_and_saveexec_b64 s[8:9], vcc
	s_cbranch_execz .LBB88_364
; %bb.363:
	v_mov_b32_e32 v35, 0
	ds_read_b128 v[11:14], v35 offset:4752
	ds_read_b128 v[25:28], v35 offset:4224
	ds_read_b128 v[29:32], v35 offset:4736
	s_waitcnt lgkmcnt(1)
	v_mul_f64 v[33:34], v[11:12], v[27:28]
	v_mul_f64 v[27:28], v[13:14], v[27:28]
	v_fma_f64 v[13:14], v[13:14], v[25:26], v[33:34]
	v_fma_f64 v[11:12], v[11:12], v[25:26], -v[27:28]
	s_waitcnt lgkmcnt(0)
	v_mul_f64 v[25:26], v[13:14], v[31:32]
	v_mul_f64 v[27:28], v[11:12], v[31:32]
	v_fma_f64 v[11:12], v[29:30], v[11:12], -v[25:26]
	v_fma_f64 v[13:14], v[29:30], v[13:14], v[27:28]
	ds_write_b128 v35, v[11:14] offset:4736
.LBB88_364:
	s_or_b64 exec, exec, s[8:9]
	v_mov_b32_e32 v13, 0
	v_mov_b32_e32 v11, 0
	;; [unrolled: 1-line block ×4, first 2 shown]
	s_waitcnt lgkmcnt(0)
	s_barrier
	buffer_wbinvl1_vol
	s_and_saveexec_b64 s[10:11], s[12:13]
	s_cbranch_execz .LBB88_374
; %bb.365:
	v_lshlrev_b32_e32 v26, 9, v23
	v_lshlrev_b32_e32 v25, 4, v22
	ds_read_b128 v[11:14], v26 offset:4224
	ds_read_b128 v[27:30], v25 offset:4096
	v_cmp_gt_u32_e64 s[8:9], 56, v18
	s_waitcnt lgkmcnt(0)
	v_mul_f64 v[31:32], v[13:14], v[29:30]
	v_mul_f64 v[29:30], v[11:12], v[29:30]
	v_fma_f64 v[11:12], v[11:12], v[27:28], -v[31:32]
	v_fma_f64 v[13:14], v[13:14], v[27:28], v[29:30]
	v_add_f64 v[11:12], v[11:12], 0
	v_add_f64 v[13:14], v[13:14], 0
	s_and_saveexec_b64 s[14:15], s[8:9]
	s_cbranch_execnz .LBB88_536
; %bb.366:
	s_or_b64 exec, exec, s[14:15]
	v_cmp_gt_u32_e64 s[8:9], 48, v18
	s_and_saveexec_b64 s[14:15], s[8:9]
	s_cbranch_execnz .LBB88_537
.LBB88_367:
	s_or_b64 exec, exec, s[14:15]
	v_cmp_gt_u32_e64 s[8:9], 40, v18
	s_and_saveexec_b64 s[14:15], s[8:9]
	s_cbranch_execnz .LBB88_538
.LBB88_368:
	s_or_b64 exec, exec, s[14:15]
	v_cmp_gt_u32_e64 s[8:9], 32, v18
	s_and_saveexec_b64 s[14:15], s[8:9]
	s_cbranch_execnz .LBB88_539
.LBB88_369:
	s_or_b64 exec, exec, s[14:15]
	v_cmp_gt_u32_e64 s[8:9], 24, v18
	s_and_saveexec_b64 s[14:15], s[8:9]
	s_cbranch_execnz .LBB88_540
.LBB88_370:
	s_or_b64 exec, exec, s[14:15]
	s_and_saveexec_b64 s[8:9], s[2:3]
	s_cbranch_execnz .LBB88_541
.LBB88_371:
	s_or_b64 exec, exec, s[8:9]
	v_cmp_gt_u32_e64 s[8:9], 8, v18
	s_and_saveexec_b64 s[14:15], s[8:9]
	s_cbranch_execz .LBB88_373
.LBB88_372:
	v_lshlrev_b32_e32 v29, 4, v0
	v_mov_b32_e32 v25, 0
	ds_read_b128 v[25:28], v25 offset:7920
	ds_read_b128 v[29:32], v29 offset:7680
	s_waitcnt lgkmcnt(0)
	v_mul_f64 v[33:34], v[27:28], v[31:32]
	v_mul_f64 v[31:32], v[25:26], v[31:32]
	v_fma_f64 v[25:26], v[25:26], v[29:30], -v[33:34]
	v_fma_f64 v[27:28], v[27:28], v[29:30], v[31:32]
	v_add_f64 v[11:12], v[11:12], v[25:26]
	v_add_f64 v[13:14], v[13:14], v[27:28]
.LBB88_373:
	s_or_b64 exec, exec, s[14:15]
.LBB88_374:
	s_or_b64 exec, exec, s[10:11]
	s_and_saveexec_b64 s[8:9], s[54:55]
	s_cbranch_execz .LBB88_376
; %bb.375:
	v_mov_b32_e32 v25, 0
	ds_read_b128 v[25:28], v25 offset:3696
	s_waitcnt lgkmcnt(0)
	v_mul_f64 v[29:30], v[13:14], v[27:28]
	v_mul_f64 v[27:28], v[11:12], v[27:28]
	v_fma_f64 v[11:12], v[11:12], v[25:26], -v[29:30]
	v_fma_f64 v[13:14], v[13:14], v[25:26], v[27:28]
	v_xor_b32_e32 v26, 0x80000000, v12
	v_xor_b32_e32 v28, 0x80000000, v14
	v_mov_b32_e32 v25, v11
	v_mov_b32_e32 v27, v13
	ds_write_b128 v24, v[25:28]
.LBB88_376:
	s_or_b64 exec, exec, s[8:9]
	s_waitcnt lgkmcnt(0)
	s_barrier
	s_and_saveexec_b64 s[8:9], s[56:57]
	s_cbranch_execz .LBB88_378
; %bb.377:
	v_lshlrev_b32_e32 v29, 4, v22
	ds_read_b128 v[25:28], v24
	ds_read_b128 v[29:32], v29 offset:3584
	s_waitcnt lgkmcnt(0)
	v_mul_f64 v[33:34], v[27:28], v[31:32]
	v_mul_f64 v[31:32], v[25:26], v[31:32]
	v_fma_f64 v[25:26], v[25:26], v[29:30], -v[33:34]
	v_fma_f64 v[27:28], v[27:28], v[29:30], v[31:32]
	v_add_f64 v[11:12], v[11:12], -v[25:26]
	v_add_f64 v[13:14], v[13:14], -v[27:28]
.LBB88_378:
	s_or_b64 exec, exec, s[8:9]
	s_barrier
	s_and_saveexec_b64 s[8:9], s[58:59]
	s_cbranch_execz .LBB88_380
; %bb.379:
	v_mov_b32_e32 v25, 0
	ds_read_b128 v[25:28], v25 offset:3168
	s_waitcnt lgkmcnt(0)
	v_mul_f64 v[29:30], v[13:14], v[27:28]
	v_mul_f64 v[27:28], v[11:12], v[27:28]
	v_fma_f64 v[11:12], v[11:12], v[25:26], -v[29:30]
	v_fma_f64 v[13:14], v[13:14], v[25:26], v[27:28]
	v_xor_b32_e32 v26, 0x80000000, v12
	v_xor_b32_e32 v28, 0x80000000, v14
	v_mov_b32_e32 v25, v11
	v_mov_b32_e32 v27, v13
	ds_write_b128 v24, v[25:28]
.LBB88_380:
	s_or_b64 exec, exec, s[8:9]
	s_waitcnt lgkmcnt(0)
	s_barrier
	s_and_saveexec_b64 s[8:9], s[60:61]
	s_cbranch_execz .LBB88_382
; %bb.381:
	v_lshlrev_b32_e32 v29, 4, v22
	ds_read_b128 v[25:28], v24
	ds_read_b128 v[29:32], v29 offset:3072
	s_waitcnt lgkmcnt(0)
	v_mul_f64 v[33:34], v[27:28], v[31:32]
	v_mul_f64 v[31:32], v[25:26], v[31:32]
	v_fma_f64 v[25:26], v[25:26], v[29:30], -v[33:34]
	v_fma_f64 v[27:28], v[27:28], v[29:30], v[31:32]
	v_add_f64 v[11:12], v[11:12], -v[25:26]
	v_add_f64 v[13:14], v[13:14], -v[27:28]
.LBB88_382:
	s_or_b64 exec, exec, s[8:9]
	s_barrier
	;; [unrolled: 35-line block ×6, first 2 shown]
	s_and_saveexec_b64 s[8:9], s[78:79]
	s_cbranch_execz .LBB88_400
; %bb.399:
	v_mov_b32_e32 v25, 0
	ds_read_b128 v[25:28], v25 offset:528
	s_waitcnt lgkmcnt(0)
	v_mul_f64 v[29:30], v[13:14], v[27:28]
	v_mul_f64 v[27:28], v[11:12], v[27:28]
	v_fma_f64 v[11:12], v[11:12], v[25:26], -v[29:30]
	v_fma_f64 v[13:14], v[13:14], v[25:26], v[27:28]
	v_xor_b32_e32 v26, 0x80000000, v12
	v_xor_b32_e32 v28, 0x80000000, v14
	v_mov_b32_e32 v25, v11
	v_mov_b32_e32 v27, v13
	ds_write_b128 v24, v[25:28]
.LBB88_400:
	s_or_b64 exec, exec, s[8:9]
	s_waitcnt lgkmcnt(0)
	s_barrier
	s_and_saveexec_b64 s[8:9], s[52:53]
	s_cbranch_execz .LBB88_402
; %bb.401:
	v_mov_b32_e32 v29, 0
	ds_read_b128 v[25:28], v24
	ds_read_b128 v[29:32], v29 offset:512
	s_waitcnt lgkmcnt(0)
	v_mul_f64 v[33:34], v[27:28], v[31:32]
	v_mul_f64 v[31:32], v[25:26], v[31:32]
	v_fma_f64 v[25:26], v[25:26], v[29:30], -v[33:34]
	v_fma_f64 v[27:28], v[27:28], v[29:30], v[31:32]
	v_add_f64 v[11:12], v[11:12], -v[25:26]
	v_add_f64 v[13:14], v[13:14], -v[27:28]
.LBB88_402:
	s_or_b64 exec, exec, s[8:9]
	s_barrier
	s_and_saveexec_b64 s[8:9], s[52:53]
	s_cbranch_execz .LBB88_404
; %bb.403:
	v_mov_b32_e32 v25, 0
	ds_read_b128 v[25:28], v25
	s_waitcnt lgkmcnt(0)
	v_mul_f64 v[29:30], v[13:14], v[27:28]
	v_mul_f64 v[27:28], v[11:12], v[27:28]
	v_fma_f64 v[11:12], v[11:12], v[25:26], -v[29:30]
	v_fma_f64 v[13:14], v[13:14], v[25:26], v[27:28]
	v_xor_b32_e32 v26, 0x80000000, v12
	v_xor_b32_e32 v28, 0x80000000, v14
	v_mov_b32_e32 v25, v11
	v_mov_b32_e32 v27, v13
	ds_write_b128 v24, v[25:28]
.LBB88_404:
	s_or_b64 exec, exec, s[8:9]
	s_waitcnt lgkmcnt(0)
	s_barrier
	s_barrier
	s_and_saveexec_b64 s[8:9], s[12:13]
; %bb.405:
	v_lshlrev_b32_e32 v22, 4, v22
	v_lshl_or_b32 v22, v23, 9, v22
	ds_write_b128 v22, v[11:14] offset:4096
; %bb.406:
	s_or_b64 exec, exec, s[8:9]
	s_waitcnt lgkmcnt(0)
	s_barrier
	s_barrier
	s_and_saveexec_b64 s[8:9], vcc
	s_cbranch_execz .LBB88_408
; %bb.407:
	v_mov_b32_e32 v32, 0
	ds_read_b128 v[11:14], v32 offset:3696
	ds_read_b128 v[22:25], v32 offset:3168
	;; [unrolled: 1-line block ×3, first 2 shown]
	s_waitcnt lgkmcnt(1)
	v_mul_f64 v[30:31], v[11:12], v[24:25]
	v_mul_f64 v[24:25], v[13:14], v[24:25]
	v_fma_f64 v[13:14], v[13:14], v[22:23], v[30:31]
	v_fma_f64 v[11:12], v[11:12], v[22:23], -v[24:25]
	s_waitcnt lgkmcnt(0)
	v_mul_f64 v[22:23], v[13:14], v[28:29]
	v_mul_f64 v[24:25], v[11:12], v[28:29]
	v_fma_f64 v[11:12], v[26:27], v[11:12], -v[22:23]
	v_fma_f64 v[13:14], v[26:27], v[13:14], v[24:25]
	ds_write_b128 v32, v[11:14] offset:3680
.LBB88_408:
	s_or_b64 exec, exec, s[8:9]
	v_mov_b32_e32 v11, 0
	v_mov_b32_e32 v13, 0
	;; [unrolled: 1-line block ×4, first 2 shown]
	s_waitcnt lgkmcnt(0)
	s_barrier
	buffer_wbinvl1_vol
	s_and_saveexec_b64 s[10:11], s[0:1]
	s_cbranch_execz .LBB88_412
; %bb.409:
	v_lshlrev_b32_e32 v22, 4, v15
	v_lshlrev_b32_e32 v11, 9, v16
	ds_read_b128 v[11:14], v11 offset:3168
	ds_read_b128 v[22:25], v22 offset:3136
	v_cmp_gt_u32_e64 s[8:9], 2, v18
	s_waitcnt lgkmcnt(0)
	v_mul_f64 v[26:27], v[13:14], v[24:25]
	v_mul_f64 v[24:25], v[11:12], v[24:25]
	v_fma_f64 v[11:12], v[11:12], v[22:23], -v[26:27]
	v_fma_f64 v[13:14], v[13:14], v[22:23], v[24:25]
	v_add_f64 v[11:12], v[11:12], 0
	v_add_f64 v[13:14], v[13:14], 0
	s_and_saveexec_b64 s[12:13], s[8:9]
	s_cbranch_execz .LBB88_411
; %bb.410:
	v_lshlrev_b32_e32 v26, 4, v0
	v_mov_b32_e32 v22, 0
	ds_read_b128 v[22:25], v22 offset:3696
	ds_read_b128 v[26:29], v26 offset:3648
	s_waitcnt lgkmcnt(0)
	v_mul_f64 v[30:31], v[24:25], v[28:29]
	v_mul_f64 v[28:29], v[22:23], v[28:29]
	v_fma_f64 v[22:23], v[22:23], v[26:27], -v[30:31]
	v_fma_f64 v[24:25], v[24:25], v[26:27], v[28:29]
	v_add_f64 v[11:12], v[11:12], v[22:23]
	v_add_f64 v[13:14], v[13:14], v[24:25]
.LBB88_411:
	s_or_b64 exec, exec, s[12:13]
.LBB88_412:
	s_or_b64 exec, exec, s[10:11]
	s_and_saveexec_b64 s[8:9], s[38:39]
	s_cbranch_execz .LBB88_414
; %bb.413:
	v_mov_b32_e32 v22, 0
	ds_read_b128 v[22:25], v22 offset:2640
	s_waitcnt lgkmcnt(0)
	v_mul_f64 v[26:27], v[13:14], v[24:25]
	v_mul_f64 v[24:25], v[11:12], v[24:25]
	v_fma_f64 v[11:12], v[11:12], v[22:23], -v[26:27]
	v_fma_f64 v[13:14], v[13:14], v[22:23], v[24:25]
	v_xor_b32_e32 v23, 0x80000000, v12
	v_xor_b32_e32 v25, 0x80000000, v14
	v_mov_b32_e32 v22, v11
	v_mov_b32_e32 v24, v13
	ds_write_b128 v17, v[22:25]
.LBB88_414:
	s_or_b64 exec, exec, s[8:9]
	s_waitcnt lgkmcnt(0)
	s_barrier
	s_and_saveexec_b64 s[8:9], s[36:37]
	s_cbranch_execz .LBB88_416
; %bb.415:
	v_mov_b32_e32 v26, 0
	ds_read_b128 v[22:25], v17
	ds_read_b128 v[26:29], v26 offset:2624
	s_waitcnt lgkmcnt(0)
	v_mul_f64 v[30:31], v[24:25], v[28:29]
	v_mul_f64 v[28:29], v[22:23], v[28:29]
	v_fma_f64 v[22:23], v[22:23], v[26:27], -v[30:31]
	v_fma_f64 v[24:25], v[24:25], v[26:27], v[28:29]
	v_add_f64 v[11:12], v[11:12], -v[22:23]
	v_add_f64 v[13:14], v[13:14], -v[24:25]
.LBB88_416:
	s_or_b64 exec, exec, s[8:9]
	s_barrier
	s_and_saveexec_b64 s[8:9], s[36:37]
	s_cbranch_execz .LBB88_418
; %bb.417:
	v_mov_b32_e32 v22, 0
	ds_read_b128 v[22:25], v22 offset:2112
	s_waitcnt lgkmcnt(0)
	v_mul_f64 v[26:27], v[13:14], v[24:25]
	v_mul_f64 v[24:25], v[11:12], v[24:25]
	v_fma_f64 v[11:12], v[11:12], v[22:23], -v[26:27]
	v_fma_f64 v[13:14], v[13:14], v[22:23], v[24:25]
	v_xor_b32_e32 v23, 0x80000000, v12
	v_xor_b32_e32 v25, 0x80000000, v14
	v_mov_b32_e32 v22, v11
	v_mov_b32_e32 v24, v13
	ds_write_b128 v17, v[22:25]
.LBB88_418:
	s_or_b64 exec, exec, s[8:9]
	s_waitcnt lgkmcnt(0)
	s_barrier
	s_barrier
	s_and_saveexec_b64 s[8:9], s[0:1]
; %bb.419:
	v_lshlrev_b32_e32 v22, 4, v15
	v_lshl_or_b32 v22, v16, 9, v22
	ds_write_b128 v22, v[11:14] offset:3136
; %bb.420:
	s_or_b64 exec, exec, s[8:9]
	s_waitcnt lgkmcnt(0)
	s_barrier
	s_barrier
	s_and_saveexec_b64 s[8:9], vcc
	s_cbranch_execz .LBB88_422
; %bb.421:
	v_mov_b32_e32 v32, 0
	ds_read_b128 v[11:14], v32 offset:2640
	ds_read_b128 v[22:25], v32 offset:2112
	;; [unrolled: 1-line block ×3, first 2 shown]
	s_waitcnt lgkmcnt(1)
	v_mul_f64 v[30:31], v[11:12], v[24:25]
	v_mul_f64 v[24:25], v[13:14], v[24:25]
	v_fma_f64 v[13:14], v[13:14], v[22:23], v[30:31]
	v_fma_f64 v[11:12], v[11:12], v[22:23], -v[24:25]
	s_waitcnt lgkmcnt(0)
	v_mul_f64 v[22:23], v[13:14], v[28:29]
	v_mul_f64 v[24:25], v[11:12], v[28:29]
	v_fma_f64 v[11:12], v[26:27], v[11:12], -v[22:23]
	v_fma_f64 v[13:14], v[26:27], v[13:14], v[24:25]
	ds_write_b128 v32, v[11:14] offset:2624
.LBB88_422:
	s_or_b64 exec, exec, s[8:9]
	v_mov_b32_e32 v13, 0
	v_mov_b32_e32 v11, 0
	;; [unrolled: 1-line block ×4, first 2 shown]
	s_waitcnt lgkmcnt(0)
	s_barrier
	buffer_wbinvl1_vol
	s_and_saveexec_b64 s[10:11], s[2:3]
	s_cbranch_execz .LBB88_428
; %bb.423:
	v_lshlrev_b32_e32 v23, 9, v20
	v_lshlrev_b32_e32 v22, 4, v19
	ds_read_b128 v[11:14], v23 offset:2112
	ds_read_b128 v[24:27], v22 offset:2048
	v_cmp_gt_u32_e64 s[8:9], 12, v18
	s_waitcnt lgkmcnt(0)
	v_mul_f64 v[28:29], v[13:14], v[26:27]
	v_mul_f64 v[26:27], v[11:12], v[26:27]
	v_fma_f64 v[11:12], v[11:12], v[24:25], -v[28:29]
	v_fma_f64 v[13:14], v[13:14], v[24:25], v[26:27]
	v_add_f64 v[11:12], v[11:12], 0
	v_add_f64 v[13:14], v[13:14], 0
	s_and_saveexec_b64 s[12:13], s[8:9]
	s_cbranch_execnz .LBB88_542
; %bb.424:
	s_or_b64 exec, exec, s[12:13]
	v_cmp_gt_u32_e64 s[8:9], 8, v18
	s_and_saveexec_b64 s[12:13], s[8:9]
	s_cbranch_execnz .LBB88_543
.LBB88_425:
	s_or_b64 exec, exec, s[12:13]
	v_cmp_gt_u32_e64 s[8:9], 4, v18
	s_and_saveexec_b64 s[12:13], s[8:9]
	s_cbranch_execz .LBB88_427
.LBB88_426:
	v_lshlrev_b32_e32 v26, 4, v0
	v_mov_b32_e32 v22, 0
	ds_read_b128 v[22:25], v22 offset:3696
	ds_read_b128 v[26:29], v26 offset:3584
	s_waitcnt lgkmcnt(0)
	v_mul_f64 v[30:31], v[24:25], v[28:29]
	v_mul_f64 v[28:29], v[22:23], v[28:29]
	v_fma_f64 v[22:23], v[22:23], v[26:27], -v[30:31]
	v_fma_f64 v[24:25], v[24:25], v[26:27], v[28:29]
	v_add_f64 v[11:12], v[11:12], v[22:23]
	v_add_f64 v[13:14], v[13:14], v[24:25]
.LBB88_427:
	s_or_b64 exec, exec, s[12:13]
.LBB88_428:
	s_or_b64 exec, exec, s[10:11]
	s_and_saveexec_b64 s[8:9], s[42:43]
	s_cbranch_execz .LBB88_430
; %bb.429:
	v_mov_b32_e32 v22, 0
	ds_read_b128 v[22:25], v22 offset:1584
	s_waitcnt lgkmcnt(0)
	v_mul_f64 v[26:27], v[13:14], v[24:25]
	v_mul_f64 v[24:25], v[11:12], v[24:25]
	v_fma_f64 v[11:12], v[11:12], v[22:23], -v[26:27]
	v_fma_f64 v[13:14], v[13:14], v[22:23], v[24:25]
	v_xor_b32_e32 v23, 0x80000000, v12
	v_xor_b32_e32 v25, 0x80000000, v14
	v_mov_b32_e32 v22, v11
	v_mov_b32_e32 v24, v13
	ds_write_b128 v21, v[22:25]
.LBB88_430:
	s_or_b64 exec, exec, s[8:9]
	s_waitcnt lgkmcnt(0)
	s_barrier
	s_and_saveexec_b64 s[8:9], s[44:45]
	s_cbranch_execz .LBB88_432
; %bb.431:
	v_lshlrev_b32_e32 v26, 4, v19
	ds_read_b128 v[22:25], v21
	ds_read_b128 v[26:29], v26 offset:1536
	s_waitcnt lgkmcnt(0)
	v_mul_f64 v[30:31], v[24:25], v[28:29]
	v_mul_f64 v[28:29], v[22:23], v[28:29]
	v_fma_f64 v[22:23], v[22:23], v[26:27], -v[30:31]
	v_fma_f64 v[24:25], v[24:25], v[26:27], v[28:29]
	v_add_f64 v[11:12], v[11:12], -v[22:23]
	v_add_f64 v[13:14], v[13:14], -v[24:25]
.LBB88_432:
	s_or_b64 exec, exec, s[8:9]
	s_barrier
	s_and_saveexec_b64 s[8:9], s[46:47]
	s_cbranch_execz .LBB88_434
; %bb.433:
	v_mov_b32_e32 v22, 0
	ds_read_b128 v[22:25], v22 offset:1056
	s_waitcnt lgkmcnt(0)
	v_mul_f64 v[26:27], v[13:14], v[24:25]
	v_mul_f64 v[24:25], v[11:12], v[24:25]
	v_fma_f64 v[11:12], v[11:12], v[22:23], -v[26:27]
	v_fma_f64 v[13:14], v[13:14], v[22:23], v[24:25]
	v_xor_b32_e32 v23, 0x80000000, v12
	v_xor_b32_e32 v25, 0x80000000, v14
	v_mov_b32_e32 v22, v11
	v_mov_b32_e32 v24, v13
	ds_write_b128 v21, v[22:25]
.LBB88_434:
	s_or_b64 exec, exec, s[8:9]
	s_waitcnt lgkmcnt(0)
	s_barrier
	s_and_saveexec_b64 s[8:9], s[48:49]
	s_cbranch_execz .LBB88_436
; %bb.435:
	v_lshlrev_b32_e32 v26, 4, v19
	ds_read_b128 v[22:25], v21
	ds_read_b128 v[26:29], v26 offset:1024
	s_waitcnt lgkmcnt(0)
	v_mul_f64 v[30:31], v[24:25], v[28:29]
	v_mul_f64 v[28:29], v[22:23], v[28:29]
	v_fma_f64 v[22:23], v[22:23], v[26:27], -v[30:31]
	v_fma_f64 v[24:25], v[24:25], v[26:27], v[28:29]
	v_add_f64 v[11:12], v[11:12], -v[22:23]
	v_add_f64 v[13:14], v[13:14], -v[24:25]
.LBB88_436:
	s_or_b64 exec, exec, s[8:9]
	s_barrier
	s_and_saveexec_b64 s[8:9], s[50:51]
	s_cbranch_execz .LBB88_438
; %bb.437:
	v_mov_b32_e32 v22, 0
	ds_read_b128 v[22:25], v22 offset:528
	s_waitcnt lgkmcnt(0)
	v_mul_f64 v[26:27], v[13:14], v[24:25]
	v_mul_f64 v[24:25], v[11:12], v[24:25]
	v_fma_f64 v[11:12], v[11:12], v[22:23], -v[26:27]
	v_fma_f64 v[13:14], v[13:14], v[22:23], v[24:25]
	v_xor_b32_e32 v23, 0x80000000, v12
	v_xor_b32_e32 v25, 0x80000000, v14
	v_mov_b32_e32 v22, v11
	v_mov_b32_e32 v24, v13
	ds_write_b128 v21, v[22:25]
.LBB88_438:
	s_or_b64 exec, exec, s[8:9]
	s_waitcnt lgkmcnt(0)
	s_barrier
	s_and_saveexec_b64 s[8:9], s[40:41]
	s_cbranch_execz .LBB88_440
; %bb.439:
	v_mov_b32_e32 v26, 0
	ds_read_b128 v[22:25], v21
	ds_read_b128 v[26:29], v26 offset:512
	s_waitcnt lgkmcnt(0)
	v_mul_f64 v[30:31], v[24:25], v[28:29]
	v_mul_f64 v[28:29], v[22:23], v[28:29]
	v_fma_f64 v[22:23], v[22:23], v[26:27], -v[30:31]
	v_fma_f64 v[24:25], v[24:25], v[26:27], v[28:29]
	v_add_f64 v[11:12], v[11:12], -v[22:23]
	v_add_f64 v[13:14], v[13:14], -v[24:25]
.LBB88_440:
	s_or_b64 exec, exec, s[8:9]
	s_barrier
	s_and_saveexec_b64 s[8:9], s[40:41]
	s_cbranch_execz .LBB88_442
; %bb.441:
	v_mov_b32_e32 v22, 0
	ds_read_b128 v[22:25], v22
	s_waitcnt lgkmcnt(0)
	v_mul_f64 v[26:27], v[13:14], v[24:25]
	v_mul_f64 v[24:25], v[11:12], v[24:25]
	v_fma_f64 v[11:12], v[11:12], v[22:23], -v[26:27]
	v_fma_f64 v[13:14], v[13:14], v[22:23], v[24:25]
	v_xor_b32_e32 v23, 0x80000000, v12
	v_xor_b32_e32 v25, 0x80000000, v14
	v_mov_b32_e32 v22, v11
	v_mov_b32_e32 v24, v13
	ds_write_b128 v21, v[22:25]
.LBB88_442:
	s_or_b64 exec, exec, s[8:9]
	s_waitcnt lgkmcnt(0)
	s_barrier
	s_barrier
	s_and_saveexec_b64 s[8:9], s[2:3]
; %bb.443:
	v_lshlrev_b32_e32 v19, 4, v19
	v_lshl_or_b32 v19, v20, 9, v19
	ds_write_b128 v19, v[11:14] offset:2048
; %bb.444:
	s_or_b64 exec, exec, s[8:9]
	s_waitcnt lgkmcnt(0)
	s_barrier
	s_barrier
	s_and_saveexec_b64 s[2:3], vcc
	s_cbranch_execz .LBB88_446
; %bb.445:
	v_mov_b32_e32 v29, 0
	ds_read_b128 v[11:14], v29 offset:1584
	ds_read_b128 v[19:22], v29 offset:1056
	;; [unrolled: 1-line block ×3, first 2 shown]
	s_waitcnt lgkmcnt(1)
	v_mul_f64 v[27:28], v[11:12], v[21:22]
	v_mul_f64 v[21:22], v[13:14], v[21:22]
	v_fma_f64 v[13:14], v[13:14], v[19:20], v[27:28]
	v_fma_f64 v[11:12], v[11:12], v[19:20], -v[21:22]
	s_waitcnt lgkmcnt(0)
	v_mul_f64 v[19:20], v[13:14], v[25:26]
	v_mul_f64 v[21:22], v[11:12], v[25:26]
	v_fma_f64 v[11:12], v[23:24], v[11:12], -v[19:20]
	v_fma_f64 v[13:14], v[23:24], v[13:14], v[21:22]
	ds_write_b128 v29, v[11:14] offset:1568
.LBB88_446:
	s_or_b64 exec, exec, s[2:3]
	v_mov_b32_e32 v11, 0
	v_mov_b32_e32 v13, 0
	;; [unrolled: 1-line block ×4, first 2 shown]
	s_waitcnt lgkmcnt(0)
	s_barrier
	buffer_wbinvl1_vol
	s_and_saveexec_b64 s[8:9], s[0:1]
	s_cbranch_execz .LBB88_450
; %bb.447:
	v_lshlrev_b32_e32 v19, 4, v15
	v_lshlrev_b32_e32 v11, 9, v16
	ds_read_b128 v[11:14], v11 offset:1056
	ds_read_b128 v[19:22], v19 offset:1024
	v_cmp_gt_u32_e64 s[2:3], 2, v18
	s_waitcnt lgkmcnt(0)
	v_mul_f64 v[23:24], v[13:14], v[21:22]
	v_mul_f64 v[21:22], v[11:12], v[21:22]
	v_fma_f64 v[11:12], v[11:12], v[19:20], -v[23:24]
	v_fma_f64 v[13:14], v[13:14], v[19:20], v[21:22]
	v_add_f64 v[11:12], v[11:12], 0
	v_add_f64 v[13:14], v[13:14], 0
	s_and_saveexec_b64 s[10:11], s[2:3]
	s_cbranch_execz .LBB88_449
; %bb.448:
	v_lshlrev_b32_e32 v22, 4, v0
	v_mov_b32_e32 v18, 0
	ds_read_b128 v[18:21], v18 offset:1584
	ds_read_b128 v[22:25], v22 offset:1536
	s_waitcnt lgkmcnt(0)
	v_mul_f64 v[26:27], v[20:21], v[24:25]
	v_mul_f64 v[24:25], v[18:19], v[24:25]
	v_fma_f64 v[18:19], v[18:19], v[22:23], -v[26:27]
	v_fma_f64 v[20:21], v[20:21], v[22:23], v[24:25]
	v_add_f64 v[11:12], v[11:12], v[18:19]
	v_add_f64 v[13:14], v[13:14], v[20:21]
.LBB88_449:
	s_or_b64 exec, exec, s[10:11]
.LBB88_450:
	s_or_b64 exec, exec, s[8:9]
	s_and_saveexec_b64 s[2:3], s[38:39]
	s_cbranch_execz .LBB88_452
; %bb.451:
	v_mov_b32_e32 v18, 0
	ds_read_b128 v[18:21], v18 offset:528
	s_waitcnt lgkmcnt(0)
	v_mul_f64 v[22:23], v[13:14], v[20:21]
	v_mul_f64 v[20:21], v[11:12], v[20:21]
	v_fma_f64 v[11:12], v[11:12], v[18:19], -v[22:23]
	v_fma_f64 v[13:14], v[13:14], v[18:19], v[20:21]
	v_xor_b32_e32 v19, 0x80000000, v12
	v_xor_b32_e32 v21, 0x80000000, v14
	v_mov_b32_e32 v18, v11
	v_mov_b32_e32 v20, v13
	ds_write_b128 v17, v[18:21]
.LBB88_452:
	s_or_b64 exec, exec, s[2:3]
	s_waitcnt lgkmcnt(0)
	s_barrier
	s_and_saveexec_b64 s[2:3], s[36:37]
	s_cbranch_execz .LBB88_454
; %bb.453:
	v_mov_b32_e32 v22, 0
	ds_read_b128 v[18:21], v17
	ds_read_b128 v[22:25], v22 offset:512
	s_waitcnt lgkmcnt(0)
	v_mul_f64 v[26:27], v[20:21], v[24:25]
	v_mul_f64 v[24:25], v[18:19], v[24:25]
	v_fma_f64 v[18:19], v[18:19], v[22:23], -v[26:27]
	v_fma_f64 v[20:21], v[20:21], v[22:23], v[24:25]
	v_add_f64 v[11:12], v[11:12], -v[18:19]
	v_add_f64 v[13:14], v[13:14], -v[20:21]
.LBB88_454:
	s_or_b64 exec, exec, s[2:3]
	s_barrier
	s_and_saveexec_b64 s[2:3], s[36:37]
	s_cbranch_execz .LBB88_456
; %bb.455:
	v_mov_b32_e32 v18, 0
	ds_read_b128 v[18:21], v18
	s_waitcnt lgkmcnt(0)
	v_mul_f64 v[22:23], v[13:14], v[20:21]
	v_mul_f64 v[20:21], v[11:12], v[20:21]
	v_fma_f64 v[11:12], v[11:12], v[18:19], -v[22:23]
	v_fma_f64 v[13:14], v[13:14], v[18:19], v[20:21]
	v_xor_b32_e32 v19, 0x80000000, v12
	v_xor_b32_e32 v21, 0x80000000, v14
	v_mov_b32_e32 v18, v11
	v_mov_b32_e32 v20, v13
	ds_write_b128 v17, v[18:21]
.LBB88_456:
	s_or_b64 exec, exec, s[2:3]
	s_waitcnt lgkmcnt(0)
	s_barrier
	s_barrier
	s_and_saveexec_b64 s[2:3], s[0:1]
; %bb.457:
	v_lshlrev_b32_e32 v15, 4, v15
	v_lshl_or_b32 v15, v16, 9, v15
	ds_write_b128 v15, v[11:14] offset:1024
; %bb.458:
	s_or_b64 exec, exec, s[2:3]
	s_waitcnt lgkmcnt(0)
	s_barrier
	s_barrier
	s_and_saveexec_b64 s[0:1], vcc
	s_cbranch_execz .LBB88_460
; %bb.459:
	v_mov_b32_e32 v25, 0
	ds_read_b128 v[11:14], v25 offset:528
	ds_read_b128 v[15:18], v25
	ds_read_b128 v[19:22], v25 offset:512
	s_waitcnt lgkmcnt(1)
	v_mul_f64 v[23:24], v[11:12], v[17:18]
	v_mul_f64 v[17:18], v[13:14], v[17:18]
	v_fma_f64 v[13:14], v[13:14], v[15:16], v[23:24]
	v_fma_f64 v[11:12], v[11:12], v[15:16], -v[17:18]
	s_waitcnt lgkmcnt(0)
	v_mul_f64 v[15:16], v[13:14], v[21:22]
	v_mul_f64 v[17:18], v[11:12], v[21:22]
	v_fma_f64 v[11:12], v[19:20], v[11:12], -v[15:16]
	v_fma_f64 v[13:14], v[19:20], v[13:14], v[17:18]
	ds_write_b128 v25, v[11:14] offset:512
.LBB88_460:
	s_or_b64 exec, exec, s[0:1]
.LBB88_461:
	s_load_dwordx4 s[12:15], s[4:5], 0x48
	s_load_dwordx2 s[36:37], s[4:5], 0x58
	v_cmp_le_i32_e32 vcc, s85, v0
	v_mov_b32_e32 v13, 0
	v_mov_b32_e32 v11, 0
	s_waitcnt lgkmcnt(0)
	s_mul_i32 s1, s15, s28
	s_mul_hi_u32 s2, s14, s28
	s_mul_i32 s0, s14, s28
	s_add_i32 s1, s2, s1
	s_lshl_b64 s[0:1], s[0:1], 4
	s_add_u32 s2, s24, s0
	s_addc_u32 s3, s25, s1
	s_lshl_b64 s[0:1], s[26:27], 4
	s_add_u32 s26, s2, s0
	s_addc_u32 s27, s3, s1
	s_and_b64 s[14:15], vcc, s[18:19]
	v_cmp_eq_u32_e64 s[0:1], 0, v2
	s_xor_b64 s[2:3], s[14:15], -1
	s_and_b64 s[4:5], s[0:1], s[2:3]
	v_mov_b32_e32 v14, 0
	v_mov_b32_e32 v12, 0
	v_add_u32_e32 v16, s33, v0
	s_barrier
	s_and_saveexec_b64 s[2:3], s[4:5]
	s_cbranch_execz .LBB88_463
; %bb.462:
	v_ashrrev_i32_e32 v13, 31, v16
	v_mul_lo_u32 v14, s13, v16
	v_mad_u64_u32 v[11:12], s[4:5], s12, v16, 0
	v_mul_lo_u32 v13, s12, v13
	v_add3_u32 v12, v12, v13, v14
	v_lshlrev_b64 v[11:12], 4, v[11:12]
	v_mov_b32_e32 v13, s27
	v_add_co_u32_e32 v11, vcc, s26, v11
	v_addc_co_u32_e32 v12, vcc, v13, v12, vcc
	global_load_dwordx4 v[11:14], v[11:12], off
	s_waitcnt vmcnt(0)
	v_mul_f64 v[17:18], s[20:21], v[11:12]
	v_mul_f64 v[19:20], s[20:21], v[13:14]
	v_fma_f64 v[13:14], s[22:23], v[13:14], -v[17:18]
	v_fma_f64 v[11:12], v[11:12], -s[22:23], -v[19:20]
.LBB88_463:
	s_or_b64 exec, exec, s[2:3]
	s_and_b32 s2, 0xffff, s89
	v_mad_u32_u24 v22, v2, s2, v0
	v_mov_b32_e32 v15, 0
	s_cmp_lt_i32 s6, 1
	v_cmp_eq_u32_e64 s[2:3], 0, v22
	s_cbranch_scc1 .LBB88_486
; %bb.464:
	v_ashrrev_i32_e32 v17, 31, v16
	v_cmp_gt_i32_e64 s[10:11], s30, v16
	v_lshlrev_b64 v[16:17], 4, v[16:17]
	s_lshl_b64 s[4:5], s[28:29], 2
	v_mov_b32_e32 v18, 0x6000
	s_add_u32 s20, s36, s4
	v_lshl_add_u32 v23, v22, 4, v18
	v_lshl_or_b32 v24, v2, 4, v18
	v_mov_b32_e32 v18, s87
	v_add_co_u32_e32 v25, vcc, s86, v16
	s_mov_b32 s38, 0
	s_addc_u32 s21, s37, s5
	v_cmp_gt_u32_e64 s[4:5], 32, v22
	s_add_i32 s88, s88, 1
	v_addc_co_u32_e32 v26, vcc, v18, v17, vcc
	s_lshl_b64 s[22:23], s[16:17], 8
	v_mov_b32_e32 v27, -1
	s_branch .LBB88_467
.LBB88_465:                             ;   in Loop: Header=BB88_467 Depth=1
	ds_read_b128 v[28:31], v24 offset:256
	s_waitcnt vmcnt(0) lgkmcnt(0)
	v_mul_f64 v[18:19], v[20:21], v[30:31]
	v_mul_f64 v[30:31], v[16:17], v[30:31]
	v_fma_f64 v[16:17], v[16:17], v[28:29], -v[18:19]
	v_fma_f64 v[18:19], v[20:21], v[28:29], v[30:31]
	v_add_f64 v[13:14], v[13:14], v[16:17]
	v_add_f64 v[11:12], v[11:12], v[18:19]
.LBB88_466:                             ;   in Loop: Header=BB88_467 Depth=1
	s_or_b64 exec, exec, s[24:25]
	s_add_i32 s38, s38, 1
	s_cmp_eq_u32 s38, s6
	s_cbranch_scc1 .LBB88_486
.LBB88_467:                             ; =>This Loop Header: Depth=1
                                        ;     Child Loop BB88_469 Depth 2
	v_cmp_gt_i32_e32 vcc, s38, v27
	s_and_b64 s[24:25], s[2:3], vcc
	s_and_saveexec_b64 s[8:9], s[24:25]
	s_cbranch_execz .LBB88_470
; %bb.468:                              ;   in Loop: Header=BB88_467 Depth=1
	global_load_dword v27, v15, s[20:21]
	s_waitcnt vmcnt(0)
	v_cmp_le_i32_e32 vcc, s38, v27
	s_cbranch_vccnz .LBB88_470
.LBB88_469:                             ;   Parent Loop BB88_467 Depth=1
                                        ; =>  This Inner Loop Header: Depth=2
	buffer_wbinvl1_vol
	global_load_dword v27, v15, s[20:21]
	s_waitcnt vmcnt(0)
	v_cmp_gt_i32_e32 vcc, s38, v27
	s_cbranch_vccnz .LBB88_469
.LBB88_470:                             ;   in Loop: Header=BB88_467 Depth=1
	s_or_b64 exec, exec, s[8:9]
	s_sub_i32 s39, s7, s38
	s_lshl_b32 s40, s39, 5
	buffer_wbinvl1_vol
	s_barrier
	s_and_saveexec_b64 s[8:9], s[4:5]
	s_cbranch_execz .LBB88_475
; %bb.471:                              ;   in Loop: Header=BB88_467 Depth=1
	s_ashr_i32 s24, s40, 31
	v_mov_b32_e32 v17, s24
	v_or_b32_e32 v16, s40, v22
	v_cmp_le_i64_e32 vcc, s[30:31], v[16:17]
	s_and_saveexec_b64 s[24:25], vcc
	s_xor_b64 s[24:25], exec, s[24:25]
; %bb.472:                              ;   in Loop: Header=BB88_467 Depth=1
	v_mov_b32_e32 v16, v15
	v_mov_b32_e32 v17, v15
	;; [unrolled: 1-line block ×3, first 2 shown]
	ds_write_b128 v23, v[15:18]
                                        ; implicit-def: $vgpr16_vgpr17
; %bb.473:                              ;   in Loop: Header=BB88_467 Depth=1
	s_andn2_saveexec_b64 s[24:25], s[24:25]
	s_cbranch_execz .LBB88_475
; %bb.474:                              ;   in Loop: Header=BB88_467 Depth=1
	v_mul_lo_u32 v18, v17, s12
	v_mul_lo_u32 v19, v16, s13
	v_mad_u64_u32 v[16:17], s[24:25], v16, s12, 0
	v_add3_u32 v17, v17, v19, v18
	v_lshlrev_b64 v[16:17], 4, v[16:17]
	v_mov_b32_e32 v18, s27
	v_add_co_u32_e32 v16, vcc, s26, v16
	v_addc_co_u32_e32 v17, vcc, v18, v17, vcc
	global_load_dwordx4 v[16:19], v[16:17], off
	s_waitcnt vmcnt(0)
	ds_write2_b64 v23, v[16:17], v[18:19] offset1:1
.LBB88_475:                             ;   in Loop: Header=BB88_467 Depth=1
	s_or_b64 exec, exec, s[8:9]
	v_add_u32_e32 v28, s40, v2
	v_ashrrev_i32_e32 v18, 31, v28
	v_mul_lo_u32 v19, s17, v28
	v_mad_u64_u32 v[16:17], s[8:9], s16, v28, 0
	v_mul_lo_u32 v18, s16, v18
	s_cmp_lg_u32 s39, s88
	s_cselect_b64 s[8:9], -1, 0
	s_waitcnt lgkmcnt(0)
	v_add3_u32 v17, v17, v18, v19
	v_lshlrev_b64 v[16:17], 4, v[16:17]
	v_cndmask_b32_e64 v18, 0, 1, s[8:9]
	v_add_co_u32_e32 v16, vcc, v25, v16
	v_addc_co_u32_e32 v17, vcc, v26, v17, vcc
	v_cmp_gt_i32_e32 vcc, s30, v28
	s_and_b64 s[40:41], s[10:11], vcc
	v_cmp_ne_u32_e64 s[8:9], 1, v18
	s_barrier
	s_and_saveexec_b64 s[24:25], s[40:41]
	s_cbranch_execz .LBB88_481
; %bb.476:                              ;   in Loop: Header=BB88_467 Depth=1
	v_mov_b32_e32 v19, v4
	s_and_b64 vcc, exec, s[8:9]
	v_mov_b32_e32 v18, v3
	s_cbranch_vccnz .LBB88_478
; %bb.477:                              ;   in Loop: Header=BB88_467 Depth=1
	global_load_dwordx2 v[18:19], v[16:17], off
.LBB88_478:                             ;   in Loop: Header=BB88_467 Depth=1
	v_mov_b32_e32 v21, v6
	s_and_b64 vcc, exec, s[8:9]
	v_mov_b32_e32 v20, v5
	s_cbranch_vccnz .LBB88_480
; %bb.479:                              ;   in Loop: Header=BB88_467 Depth=1
	global_load_dwordx2 v[20:21], v[16:17], off offset:8
.LBB88_480:                             ;   in Loop: Header=BB88_467 Depth=1
	ds_read_b128 v[29:32], v24
	s_waitcnt vmcnt(0) lgkmcnt(0)
	v_mul_f64 v[33:34], v[20:21], v[31:32]
	v_mul_f64 v[31:32], v[18:19], v[31:32]
	v_fma_f64 v[18:19], v[18:19], v[29:30], -v[33:34]
	v_fma_f64 v[20:21], v[20:21], v[29:30], v[31:32]
	v_add_f64 v[13:14], v[13:14], v[18:19]
	v_add_f64 v[11:12], v[11:12], v[20:21]
.LBB88_481:                             ;   in Loop: Header=BB88_467 Depth=1
	s_or_b64 exec, exec, s[24:25]
	v_add_u32_e32 v18, 16, v28
	v_cmp_gt_i32_e32 vcc, s30, v18
	s_and_b64 s[40:41], s[10:11], vcc
	s_and_saveexec_b64 s[24:25], s[40:41]
	s_cbranch_execz .LBB88_466
; %bb.482:                              ;   in Loop: Header=BB88_467 Depth=1
	v_mov_b32_e32 v19, s23
	v_add_co_u32_e32 v18, vcc, s22, v16
	v_addc_co_u32_e32 v19, vcc, v17, v19, vcc
	v_mov_b32_e32 v17, v8
	s_and_b64 vcc, exec, s[8:9]
	v_mov_b32_e32 v16, v7
	s_cbranch_vccnz .LBB88_484
; %bb.483:                              ;   in Loop: Header=BB88_467 Depth=1
	global_load_dwordx2 v[16:17], v[18:19], off
.LBB88_484:                             ;   in Loop: Header=BB88_467 Depth=1
	v_mov_b32_e32 v21, v10
	s_and_b64 vcc, exec, s[8:9]
	v_mov_b32_e32 v20, v9
	s_cbranch_vccnz .LBB88_465
; %bb.485:                              ;   in Loop: Header=BB88_467 Depth=1
	global_load_dwordx2 v[20:21], v[18:19], off offset:8
	s_branch .LBB88_465
.LBB88_486:
	s_xor_b64 s[2:3], s[18:19], -1
	s_xor_b64 s[4:5], s[34:35], -1
	v_lshlrev_b32_e32 v1, 4, v1
	v_mov_b32_e32 v15, v11
	v_mov_b32_e32 v16, v12
	ds_write_b128 v1, v[13:16] offset:16384
	s_waitcnt lgkmcnt(0)
	s_barrier
	s_and_saveexec_b64 s[6:7], s[0:1]
	s_cbranch_execz .LBB88_488
; %bb.487:
	v_lshlrev_b32_e32 v15, 4, v0
	ds_read_b128 v[3:6], v15 offset:16896
	ds_read_b128 v[7:10], v15 offset:17408
	s_waitcnt lgkmcnt(1)
	v_add_f64 v[3:4], v[13:14], v[3:4]
	v_add_f64 v[5:6], v[11:12], v[5:6]
	s_waitcnt lgkmcnt(0)
	v_add_f64 v[11:12], v[3:4], v[7:8]
	v_add_f64 v[13:14], v[5:6], v[9:10]
	ds_read_b128 v[3:6], v15 offset:17920
	ds_read_b128 v[7:10], v15 offset:18432
	s_waitcnt lgkmcnt(1)
	v_add_f64 v[3:4], v[11:12], v[3:4]
	v_add_f64 v[5:6], v[13:14], v[5:6]
	s_waitcnt lgkmcnt(0)
	v_add_f64 v[11:12], v[3:4], v[7:8]
	v_add_f64 v[13:14], v[5:6], v[9:10]
	;; [unrolled: 8-line block ×7, first 2 shown]
	ds_read_b128 v[3:6], v15 offset:24064
	s_waitcnt lgkmcnt(0)
	v_add_f64 v[3:4], v[7:8], v[3:4]
	v_add_f64 v[5:6], v[9:10], v[5:6]
	v_xor_b32_e32 v4, 0x80000000, v4
	v_xor_b32_e32 v6, 0x80000000, v6
	v_cndmask_b32_e64 v13, v3, 0, s[14:15]
	v_cndmask_b32_e64 v14, v4, 0, s[14:15]
	;; [unrolled: 1-line block ×4, first 2 shown]
.LBB88_488:
	s_or_b64 exec, exec, s[6:7]
	s_andn2_b64 vcc, exec, s[4:5]
	s_cbranch_vccnz .LBB88_497
; %bb.489:
	v_mov_b32_e32 v3, 0x6000
	v_lshl_or_b32 v7, v2, 4, v3
	s_and_saveexec_b64 s[4:5], s[0:1]
; %bb.490:
	v_lshl_add_u32 v3, v0, 4, v7
	v_mov_b32_e32 v15, v11
	v_mov_b32_e32 v16, v12
	ds_write_b128 v3, v[13:16]
; %bb.491:
	s_or_b64 exec, exec, s[4:5]
	v_mov_b32_e32 v3, 0
	v_mov_b32_e32 v5, 0
	;; [unrolled: 1-line block ×4, first 2 shown]
	v_cmp_le_u32_e32 vcc, v0, v2
	s_waitcnt lgkmcnt(0)
	s_barrier
	s_and_saveexec_b64 s[4:5], vcc
	s_cbranch_execz .LBB88_493
; %bb.492:
	ds_read_b128 v[3:6], v7
	ds_read_b128 v[15:18], v1
	s_waitcnt lgkmcnt(0)
	v_mul_f64 v[8:9], v[5:6], v[17:18]
	v_mul_f64 v[17:18], v[3:4], v[17:18]
	v_fma_f64 v[3:4], v[3:4], v[15:16], -v[8:9]
	v_fma_f64 v[5:6], v[5:6], v[15:16], v[17:18]
	v_add_f64 v[3:4], v[3:4], 0
	v_add_f64 v[5:6], v[5:6], 0
.LBB88_493:
	s_or_b64 exec, exec, s[4:5]
	v_add_u32_e32 v2, 16, v2
	v_add_u32_e32 v8, 0x4000, v1
	v_cmp_le_u32_e32 vcc, v0, v2
	s_and_saveexec_b64 s[4:5], vcc
	s_cbranch_execz .LBB88_495
; %bb.494:
	ds_read_b128 v[15:18], v7 offset:256
	ds_read_b128 v[23:26], v1 offset:8192
	s_waitcnt lgkmcnt(0)
	v_mul_f64 v[1:2], v[17:18], v[25:26]
	v_mul_f64 v[9:10], v[15:16], v[25:26]
	v_fma_f64 v[1:2], v[15:16], v[23:24], -v[1:2]
	v_fma_f64 v[9:10], v[17:18], v[23:24], v[9:10]
	v_add_f64 v[3:4], v[3:4], v[1:2]
	v_add_f64 v[5:6], v[5:6], v[9:10]
.LBB88_495:
	s_or_b64 exec, exec, s[4:5]
	s_mov_b64 s[6:7], 0
	s_mov_b64 s[4:5], 0
	ds_write_b128 v8, v[3:6]
	s_waitcnt lgkmcnt(0)
	s_barrier
                                        ; implicit-def: $vgpr1_vgpr2
                                        ; implicit-def: $vgpr7_vgpr8
	s_and_saveexec_b64 s[8:9], s[0:1]
	s_cbranch_execz .LBB88_516
; %bb.496:
	v_lshlrev_b32_e32 v19, 4, v0
	ds_read_b128 v[7:10], v19 offset:16896
	ds_read_b128 v[15:18], v19 offset:17408
	s_mov_b64 s[4:5], exec
	s_waitcnt lgkmcnt(1)
	v_add_f64 v[1:2], v[3:4], v[7:8]
	v_add_f64 v[3:4], v[5:6], v[9:10]
	s_waitcnt lgkmcnt(0)
	v_add_f64 v[9:10], v[1:2], v[15:16]
	v_add_f64 v[15:16], v[3:4], v[17:18]
	ds_read_b128 v[1:4], v19 offset:17920
	ds_read_b128 v[5:8], v19 offset:18432
	s_waitcnt lgkmcnt(1)
	v_add_f64 v[1:2], v[9:10], v[1:2]
	v_add_f64 v[3:4], v[15:16], v[3:4]
	s_waitcnt lgkmcnt(0)
	v_add_f64 v[9:10], v[1:2], v[5:6]
	v_add_f64 v[15:16], v[3:4], v[7:8]
	ds_read_b128 v[1:4], v19 offset:18944
	ds_read_b128 v[5:8], v19 offset:19456
	;; [unrolled: 8-line block ×6, first 2 shown]
	s_waitcnt lgkmcnt(1)
	v_add_f64 v[1:2], v[9:10], v[1:2]
	v_add_f64 v[3:4], v[15:16], v[3:4]
	s_waitcnt lgkmcnt(0)
	v_add_f64 v[5:6], v[1:2], v[5:6]
	v_add_f64 v[9:10], v[3:4], v[7:8]
	ds_read_b128 v[1:4], v19 offset:24064
	s_waitcnt lgkmcnt(0)
	v_add_f64 v[7:8], v[5:6], v[1:2]
	v_add_f64 v[1:2], v[9:10], v[3:4]
	s_or_b64 exec, exec, s[8:9]
	s_and_b64 vcc, exec, s[6:7]
	s_cbranch_vccnz .LBB88_498
	s_branch .LBB88_517
.LBB88_497:
	s_mov_b64 s[4:5], 0
                                        ; implicit-def: $vgpr1_vgpr2
                                        ; implicit-def: $vgpr7_vgpr8
	s_cbranch_execz .LBB88_517
.LBB88_498:
	s_movk_i32 s6, 0x210
	v_lshlrev_b32_e32 v2, 9, v0
	v_mov_b32_e32 v3, 0x3c00
	v_mul_u32_u24_e32 v1, 0x210, v0
	v_sub_u32_e32 v2, 0, v2
	v_mad_u32_u24 v3, v0, s6, v3
	s_mov_b32 s8, 31
	s_movk_i32 s9, 0xc200
	v_mov_b32_e32 v4, 0
	s_branch .LBB88_500
.LBB88_499:                             ;   in Loop: Header=BB88_500 Depth=1
	s_or_b64 exec, exec, s[6:7]
	s_add_i32 s8, s8, -2
	s_cmp_lg_u32 s10, 0
	v_add_u32_e32 v2, 0xfffffc00, v2
	s_barrier
	s_cbranch_scc0 .LBB88_508
.LBB88_500:                             ; =>This Inner Loop Header: Depth=1
	v_cmp_eq_u32_e32 vcc, s9, v2
	s_and_b64 s[10:11], s[0:1], vcc
	s_and_saveexec_b64 s[6:7], s[10:11]
	s_cbranch_execz .LBB88_502
; %bb.501:                              ;   in Loop: Header=BB88_500 Depth=1
	ds_read_b128 v[5:8], v1
	s_waitcnt lgkmcnt(0)
	v_mul_f64 v[9:10], v[11:12], v[7:8]
	v_mul_f64 v[7:8], v[13:14], v[7:8]
	v_fma_f64 v[9:10], v[13:14], v[5:6], -v[9:10]
	v_fma_f64 v[11:12], v[11:12], v[5:6], v[7:8]
	v_mov_b32_e32 v14, v10
	v_mov_b32_e32 v13, v9
	ds_write_b128 v4, v[9:12] offset:25088
.LBB88_502:                             ;   in Loop: Header=BB88_500 Depth=1
	s_or_b64 exec, exec, s[6:7]
	v_cmp_gt_u32_e32 vcc, s8, v0
	s_and_b64 s[10:11], s[0:1], vcc
	v_add_u32_e32 v5, v3, v2
	s_waitcnt lgkmcnt(0)
	s_barrier
	s_and_saveexec_b64 s[6:7], s[10:11]
	s_cbranch_execz .LBB88_504
; %bb.503:                              ;   in Loop: Header=BB88_500 Depth=1
	ds_read_b128 v[6:9], v4 offset:25088
	ds_read_b128 v[15:18], v5 offset:512
	s_waitcnt lgkmcnt(0)
	v_mul_f64 v[19:20], v[8:9], v[17:18]
	v_mul_f64 v[17:18], v[6:7], v[17:18]
	v_fma_f64 v[6:7], v[6:7], v[15:16], -v[19:20]
	v_fma_f64 v[8:9], v[8:9], v[15:16], v[17:18]
	v_add_f64 v[13:14], v[13:14], v[6:7]
	v_add_f64 v[11:12], v[11:12], v[8:9]
.LBB88_504:                             ;   in Loop: Header=BB88_500 Depth=1
	s_or_b64 exec, exec, s[6:7]
	s_add_i32 s10, s8, -1
	v_cmp_eq_u32_e32 vcc, s10, v0
	s_and_b64 s[14:15], s[0:1], vcc
	s_barrier
	s_and_saveexec_b64 s[6:7], s[14:15]
	s_cbranch_execz .LBB88_506
; %bb.505:                              ;   in Loop: Header=BB88_500 Depth=1
	ds_read_b128 v[6:9], v1
	s_waitcnt lgkmcnt(0)
	v_mul_f64 v[15:16], v[11:12], v[8:9]
	v_mul_f64 v[17:18], v[13:14], v[8:9]
	v_fma_f64 v[9:10], v[13:14], v[6:7], -v[15:16]
	v_fma_f64 v[11:12], v[11:12], v[6:7], v[17:18]
	v_mov_b32_e32 v14, v10
	v_mov_b32_e32 v13, v9
	ds_write_b128 v4, v[9:12] offset:25088
.LBB88_506:                             ;   in Loop: Header=BB88_500 Depth=1
	s_or_b64 exec, exec, s[6:7]
	v_cmp_gt_u32_e32 vcc, s10, v0
	s_and_b64 s[14:15], s[0:1], vcc
	s_waitcnt lgkmcnt(0)
	s_barrier
	s_and_saveexec_b64 s[6:7], s[14:15]
	s_cbranch_execz .LBB88_499
; %bb.507:                              ;   in Loop: Header=BB88_500 Depth=1
	ds_read_b128 v[6:9], v4 offset:25088
	ds_read_b128 v[15:18], v5
	s_waitcnt lgkmcnt(0)
	v_mul_f64 v[19:20], v[8:9], v[17:18]
	v_mul_f64 v[17:18], v[6:7], v[17:18]
	v_fma_f64 v[5:6], v[6:7], v[15:16], -v[19:20]
	v_fma_f64 v[7:8], v[8:9], v[15:16], v[17:18]
	v_add_f64 v[13:14], v[13:14], v[5:6]
	v_add_f64 v[11:12], v[11:12], v[7:8]
	s_branch .LBB88_499
.LBB88_508:
	s_mov_b64 s[6:7], -1
	s_and_b64 vcc, exec, s[2:3]
	s_cbranch_vccnz .LBB88_518
; %bb.509:
	s_andn2_b64 vcc, exec, s[6:7]
	s_cbranch_vccz .LBB88_519
.LBB88_510:
	s_and_saveexec_b64 s[0:1], s[4:5]
	s_cbranch_execz .LBB88_512
.LBB88_511:
	v_mov_b32_e32 v0, s84
	v_add_co_u32_e32 v1, vcc, s33, v22
	v_addc_co_u32_e32 v0, vcc, 0, v0, vcc
	v_mul_lo_u32 v2, v0, s12
	v_mul_lo_u32 v3, v1, s13
	v_mad_u64_u32 v[0:1], s[2:3], v1, s12, 0
	v_mov_b32_e32 v15, v11
	v_mov_b32_e32 v16, v12
	v_add3_u32 v1, v1, v3, v2
	v_lshlrev_b64 v[0:1], 4, v[0:1]
	v_mov_b32_e32 v2, s27
	v_add_co_u32_e32 v0, vcc, s26, v0
	v_addc_co_u32_e32 v1, vcc, v2, v1, vcc
	global_store_dwordx4 v[0:1], v[13:16], off
.LBB88_512:
	s_or_b64 exec, exec, s[0:1]
	v_cmp_eq_u32_e32 vcc, 0, v22
	s_waitcnt vmcnt(0)
	buffer_wbinvl1_vol
	s_barrier
	s_and_saveexec_b64 s[0:1], vcc
	s_cbranch_execz .LBB88_514
; %bb.513:
	s_lshl_b64 s[2:3], s[28:29], 2
	s_add_u32 s2, s36, s2
	s_addc_u32 s3, s37, s3
	v_mov_b32_e32 v0, 0
	global_load_dword v1, v0, s[2:3]
	s_waitcnt vmcnt(0)
	v_add_u32_e32 v1, 1, v1
	global_store_dword v0, v1, s[2:3]
.LBB88_514:
	s_or_b64 exec, exec, s[0:1]
	s_waitcnt vmcnt(0)
	buffer_wbinvl1_vol
	s_endpgm
.LBB88_515:
                                        ; implicit-def: $vgpr9_vgpr10
                                        ; implicit-def: $vgpr5_vgpr6
                                        ; implicit-def: $sgpr33
	s_cbranch_execnz .LBB88_6
	s_branch .LBB88_7
.LBB88_516:
	s_or_b64 exec, exec, s[8:9]
	s_and_b64 vcc, exec, s[6:7]
	s_cbranch_vccnz .LBB88_498
.LBB88_517:
	v_mov_b32_e32 v12, v2
	v_mov_b32_e32 v14, v8
	;; [unrolled: 1-line block ×4, first 2 shown]
	s_and_saveexec_b64 s[0:1], s[4:5]
	s_cbranch_execnz .LBB88_511
	s_branch .LBB88_512
.LBB88_518:
	s_andn2_b64 s[2:3], s[4:5], exec
	s_and_b64 s[4:5], s[0:1], exec
	s_or_b64 s[4:5], s[2:3], s[4:5]
	s_cbranch_execnz .LBB88_510
.LBB88_519:
	v_cmp_gt_i32_e32 vcc, s85, v0
	s_and_b64 s[0:1], s[0:1], vcc
	s_andn2_b64 s[2:3], s[4:5], exec
	s_and_b64 s[0:1], s[0:1], exec
	s_or_b64 s[4:5], s[2:3], s[0:1]
	s_and_saveexec_b64 s[0:1], s[4:5]
	s_cbranch_execnz .LBB88_511
	s_branch .LBB88_512
.LBB88_520:
	ds_read_b128 v[24:27], v23 offset:14800
	ds_read_b128 v[28:31], v22 offset:15232
	s_waitcnt lgkmcnt(0)
	v_mul_f64 v[32:33], v[26:27], v[30:31]
	v_mul_f64 v[30:31], v[24:25], v[30:31]
	v_fma_f64 v[24:25], v[24:25], v[28:29], -v[32:33]
	v_fma_f64 v[26:27], v[26:27], v[28:29], v[30:31]
	v_add_f64 v[11:12], v[11:12], v[24:25]
	v_add_f64 v[13:14], v[13:14], v[26:27]
	s_or_b64 exec, exec, s[14:15]
	v_cmp_gt_u32_e64 s[10:11], 8, v18
	s_and_saveexec_b64 s[14:15], s[10:11]
	s_cbranch_execz .LBB88_87
.LBB88_521:
	ds_read_b128 v[23:26], v23 offset:14816
	ds_read_b128 v[27:30], v22 offset:15744
	s_waitcnt lgkmcnt(0)
	v_mul_f64 v[31:32], v[25:26], v[29:30]
	v_mul_f64 v[29:30], v[23:24], v[29:30]
	v_fma_f64 v[22:23], v[23:24], v[27:28], -v[31:32]
	v_fma_f64 v[24:25], v[25:26], v[27:28], v[29:30]
	v_add_f64 v[11:12], v[11:12], v[22:23]
	v_add_f64 v[13:14], v[13:14], v[24:25]
	s_or_b64 exec, exec, s[14:15]
	v_cmp_gt_u32_e64 s[10:11], 4, v18
	s_and_saveexec_b64 s[14:15], s[10:11]
	s_cbranch_execnz .LBB88_88
	s_branch .LBB88_89
.LBB88_522:
	ds_read_b128 v[27:30], v26 offset:12688
	ds_read_b128 v[31:34], v25 offset:13056
	s_waitcnt lgkmcnt(0)
	v_mul_f64 v[35:36], v[29:30], v[33:34]
	v_mul_f64 v[33:34], v[27:28], v[33:34]
	v_fma_f64 v[27:28], v[27:28], v[31:32], -v[35:36]
	v_fma_f64 v[29:30], v[29:30], v[31:32], v[33:34]
	v_add_f64 v[11:12], v[11:12], v[27:28]
	v_add_f64 v[13:14], v[13:14], v[29:30]
	s_or_b64 exec, exec, s[52:53]
	v_cmp_gt_u32_e64 s[10:11], 48, v18
	s_and_saveexec_b64 s[52:53], s[10:11]
	s_cbranch_execz .LBB88_125
.LBB88_523:
	ds_read_b128 v[27:30], v26 offset:12704
	ds_read_b128 v[31:34], v25 offset:13568
	s_waitcnt lgkmcnt(0)
	v_mul_f64 v[35:36], v[29:30], v[33:34]
	v_mul_f64 v[33:34], v[27:28], v[33:34]
	v_fma_f64 v[27:28], v[27:28], v[31:32], -v[35:36]
	v_fma_f64 v[29:30], v[29:30], v[31:32], v[33:34]
	v_add_f64 v[11:12], v[11:12], v[27:28]
	v_add_f64 v[13:14], v[13:14], v[29:30]
	s_or_b64 exec, exec, s[52:53]
	v_cmp_gt_u32_e64 s[10:11], 40, v18
	s_and_saveexec_b64 s[52:53], s[10:11]
	s_cbranch_execz .LBB88_126
.LBB88_524:
	ds_read_b128 v[27:30], v26 offset:12720
	ds_read_b128 v[31:34], v25 offset:14080
	s_waitcnt lgkmcnt(0)
	v_mul_f64 v[35:36], v[29:30], v[33:34]
	v_mul_f64 v[33:34], v[27:28], v[33:34]
	v_fma_f64 v[27:28], v[27:28], v[31:32], -v[35:36]
	v_fma_f64 v[29:30], v[29:30], v[31:32], v[33:34]
	v_add_f64 v[11:12], v[11:12], v[27:28]
	v_add_f64 v[13:14], v[13:14], v[29:30]
	s_or_b64 exec, exec, s[52:53]
	v_cmp_gt_u32_e64 s[10:11], 32, v18
	s_and_saveexec_b64 s[52:53], s[10:11]
	s_cbranch_execz .LBB88_127
.LBB88_525:
	ds_read_b128 v[27:30], v26 offset:12736
	ds_read_b128 v[31:34], v25 offset:14592
	s_waitcnt lgkmcnt(0)
	v_mul_f64 v[35:36], v[29:30], v[33:34]
	v_mul_f64 v[33:34], v[27:28], v[33:34]
	v_fma_f64 v[27:28], v[27:28], v[31:32], -v[35:36]
	v_fma_f64 v[29:30], v[29:30], v[31:32], v[33:34]
	v_add_f64 v[11:12], v[11:12], v[27:28]
	v_add_f64 v[13:14], v[13:14], v[29:30]
	s_or_b64 exec, exec, s[52:53]
	v_cmp_gt_u32_e64 s[10:11], 24, v18
	s_and_saveexec_b64 s[52:53], s[10:11]
	s_cbranch_execz .LBB88_128
.LBB88_526:
	ds_read_b128 v[27:30], v26 offset:12752
	ds_read_b128 v[31:34], v25 offset:15104
	s_waitcnt lgkmcnt(0)
	v_mul_f64 v[35:36], v[29:30], v[33:34]
	v_mul_f64 v[33:34], v[27:28], v[33:34]
	v_fma_f64 v[27:28], v[27:28], v[31:32], -v[35:36]
	v_fma_f64 v[29:30], v[29:30], v[31:32], v[33:34]
	v_add_f64 v[11:12], v[11:12], v[27:28]
	v_add_f64 v[13:14], v[13:14], v[29:30]
	s_or_b64 exec, exec, s[52:53]
	s_and_saveexec_b64 s[10:11], s[2:3]
	s_cbranch_execz .LBB88_129
.LBB88_527:
	ds_read_b128 v[26:29], v26 offset:12768
	ds_read_b128 v[30:33], v25 offset:15616
	s_waitcnt lgkmcnt(0)
	v_mul_f64 v[34:35], v[28:29], v[32:33]
	v_mul_f64 v[32:33], v[26:27], v[32:33]
	v_fma_f64 v[25:26], v[26:27], v[30:31], -v[34:35]
	v_fma_f64 v[27:28], v[28:29], v[30:31], v[32:33]
	v_add_f64 v[11:12], v[11:12], v[25:26]
	v_add_f64 v[13:14], v[13:14], v[27:28]
	s_or_b64 exec, exec, s[10:11]
	v_cmp_gt_u32_e64 s[10:11], 8, v18
	s_and_saveexec_b64 s[52:53], s[10:11]
	s_cbranch_execnz .LBB88_130
	s_branch .LBB88_131
.LBB88_528:
	ds_read_b128 v[27:30], v26 offset:10576
	ds_read_b128 v[31:34], v25 offset:11008
	s_waitcnt lgkmcnt(0)
	v_mul_f64 v[35:36], v[29:30], v[33:34]
	v_mul_f64 v[33:34], v[27:28], v[33:34]
	v_fma_f64 v[27:28], v[27:28], v[31:32], -v[35:36]
	v_fma_f64 v[29:30], v[29:30], v[31:32], v[33:34]
	v_add_f64 v[11:12], v[11:12], v[27:28]
	v_add_f64 v[13:14], v[13:14], v[29:30]
	s_or_b64 exec, exec, s[14:15]
	v_cmp_gt_u32_e64 s[8:9], 8, v18
	s_and_saveexec_b64 s[14:15], s[8:9]
	s_cbranch_execz .LBB88_183
.LBB88_529:
	ds_read_b128 v[26:29], v26 offset:10592
	ds_read_b128 v[30:33], v25 offset:11520
	s_waitcnt lgkmcnt(0)
	v_mul_f64 v[34:35], v[28:29], v[32:33]
	v_mul_f64 v[32:33], v[26:27], v[32:33]
	v_fma_f64 v[25:26], v[26:27], v[30:31], -v[34:35]
	v_fma_f64 v[27:28], v[28:29], v[30:31], v[32:33]
	v_add_f64 v[11:12], v[11:12], v[25:26]
	v_add_f64 v[13:14], v[13:14], v[27:28]
	s_or_b64 exec, exec, s[14:15]
	v_cmp_gt_u32_e64 s[8:9], 4, v18
	s_and_saveexec_b64 s[14:15], s[8:9]
	s_cbranch_execnz .LBB88_184
	s_branch .LBB88_185
.LBB88_530:
	ds_read_b128 v[30:33], v29 offset:8624
	ds_read_b128 v[34:37], v28 offset:13824
	s_waitcnt lgkmcnt(0)
	v_mul_f64 v[38:39], v[32:33], v[36:37]
	v_mul_f64 v[36:37], v[30:31], v[36:37]
	v_fma_f64 v[30:31], v[30:31], v[34:35], -v[38:39]
	v_fma_f64 v[32:33], v[32:33], v[34:35], v[36:37]
	v_add_f64 v[11:12], v[11:12], v[30:31]
	v_add_f64 v[13:14], v[13:14], v[32:33]
	s_or_b64 exec, exec, s[82:83]
	s_and_saveexec_b64 s[14:15], s[12:13]
	s_cbranch_execz .LBB88_241
.LBB88_531:
	ds_read_b128 v[30:33], v29 offset:8640
	ds_read_b128 v[34:37], v28 offset:14336
	s_waitcnt lgkmcnt(0)
	v_mul_f64 v[38:39], v[32:33], v[36:37]
	v_mul_f64 v[36:37], v[30:31], v[36:37]
	v_fma_f64 v[30:31], v[30:31], v[34:35], -v[38:39]
	v_fma_f64 v[32:33], v[32:33], v[34:35], v[36:37]
	v_add_f64 v[11:12], v[11:12], v[30:31]
	v_add_f64 v[13:14], v[13:14], v[32:33]
	s_or_b64 exec, exec, s[14:15]
	v_cmp_gt_u32_e64 s[14:15], 48, v18
	s_and_saveexec_b64 s[82:83], s[14:15]
	s_cbranch_execz .LBB88_242
.LBB88_532:
	ds_read_b128 v[30:33], v29 offset:8656
	ds_read_b128 v[34:37], v28 offset:14848
	s_waitcnt lgkmcnt(0)
	v_mul_f64 v[38:39], v[32:33], v[36:37]
	v_mul_f64 v[36:37], v[30:31], v[36:37]
	v_fma_f64 v[30:31], v[30:31], v[34:35], -v[38:39]
	v_fma_f64 v[32:33], v[32:33], v[34:35], v[36:37]
	v_add_f64 v[11:12], v[11:12], v[30:31]
	v_add_f64 v[13:14], v[13:14], v[32:33]
	s_or_b64 exec, exec, s[82:83]
	v_cmp_gt_u32_e64 s[14:15], 32, v18
	s_and_saveexec_b64 s[82:83], s[14:15]
	s_cbranch_execz .LBB88_243
.LBB88_533:
	ds_read_b128 v[29:32], v29 offset:8672
	ds_read_b128 v[33:36], v28 offset:15360
	s_waitcnt lgkmcnt(0)
	v_mul_f64 v[37:38], v[31:32], v[35:36]
	v_mul_f64 v[35:36], v[29:30], v[35:36]
	v_fma_f64 v[28:29], v[29:30], v[33:34], -v[37:38]
	v_fma_f64 v[30:31], v[31:32], v[33:34], v[35:36]
	v_add_f64 v[11:12], v[11:12], v[28:29]
	v_add_f64 v[13:14], v[13:14], v[30:31]
	s_or_b64 exec, exec, s[82:83]
	v_cmp_gt_u32_e64 s[14:15], 16, v18
	s_and_saveexec_b64 s[82:83], s[14:15]
	s_cbranch_execnz .LBB88_244
	s_branch .LBB88_245
.LBB88_534:
	ds_read_b128 v[27:30], v26 offset:6352
	ds_read_b128 v[31:34], v25 offset:6784
	s_waitcnt lgkmcnt(0)
	v_mul_f64 v[35:36], v[29:30], v[33:34]
	v_mul_f64 v[33:34], v[27:28], v[33:34]
	v_fma_f64 v[27:28], v[27:28], v[31:32], -v[35:36]
	v_fma_f64 v[29:30], v[29:30], v[31:32], v[33:34]
	v_add_f64 v[11:12], v[11:12], v[27:28]
	v_add_f64 v[13:14], v[13:14], v[29:30]
	s_or_b64 exec, exec, s[14:15]
	v_cmp_gt_u32_e64 s[8:9], 8, v18
	s_and_saveexec_b64 s[14:15], s[8:9]
	s_cbranch_execz .LBB88_329
.LBB88_535:
	ds_read_b128 v[26:29], v26 offset:6368
	ds_read_b128 v[30:33], v25 offset:7296
	s_waitcnt lgkmcnt(0)
	v_mul_f64 v[34:35], v[28:29], v[32:33]
	v_mul_f64 v[32:33], v[26:27], v[32:33]
	v_fma_f64 v[25:26], v[26:27], v[30:31], -v[34:35]
	v_fma_f64 v[27:28], v[28:29], v[30:31], v[32:33]
	v_add_f64 v[11:12], v[11:12], v[25:26]
	v_add_f64 v[13:14], v[13:14], v[27:28]
	s_or_b64 exec, exec, s[14:15]
	v_cmp_gt_u32_e64 s[8:9], 4, v18
	s_and_saveexec_b64 s[14:15], s[8:9]
	s_cbranch_execnz .LBB88_330
	s_branch .LBB88_331
.LBB88_536:
	ds_read_b128 v[27:30], v26 offset:4240
	ds_read_b128 v[31:34], v25 offset:4608
	s_waitcnt lgkmcnt(0)
	v_mul_f64 v[35:36], v[29:30], v[33:34]
	v_mul_f64 v[33:34], v[27:28], v[33:34]
	v_fma_f64 v[27:28], v[27:28], v[31:32], -v[35:36]
	v_fma_f64 v[29:30], v[29:30], v[31:32], v[33:34]
	v_add_f64 v[11:12], v[11:12], v[27:28]
	v_add_f64 v[13:14], v[13:14], v[29:30]
	s_or_b64 exec, exec, s[14:15]
	v_cmp_gt_u32_e64 s[8:9], 48, v18
	s_and_saveexec_b64 s[14:15], s[8:9]
	s_cbranch_execz .LBB88_367
.LBB88_537:
	ds_read_b128 v[27:30], v26 offset:4256
	ds_read_b128 v[31:34], v25 offset:5120
	s_waitcnt lgkmcnt(0)
	v_mul_f64 v[35:36], v[29:30], v[33:34]
	v_mul_f64 v[33:34], v[27:28], v[33:34]
	v_fma_f64 v[27:28], v[27:28], v[31:32], -v[35:36]
	v_fma_f64 v[29:30], v[29:30], v[31:32], v[33:34]
	v_add_f64 v[11:12], v[11:12], v[27:28]
	v_add_f64 v[13:14], v[13:14], v[29:30]
	s_or_b64 exec, exec, s[14:15]
	v_cmp_gt_u32_e64 s[8:9], 40, v18
	s_and_saveexec_b64 s[14:15], s[8:9]
	s_cbranch_execz .LBB88_368
.LBB88_538:
	ds_read_b128 v[27:30], v26 offset:4272
	ds_read_b128 v[31:34], v25 offset:5632
	s_waitcnt lgkmcnt(0)
	v_mul_f64 v[35:36], v[29:30], v[33:34]
	v_mul_f64 v[33:34], v[27:28], v[33:34]
	v_fma_f64 v[27:28], v[27:28], v[31:32], -v[35:36]
	v_fma_f64 v[29:30], v[29:30], v[31:32], v[33:34]
	v_add_f64 v[11:12], v[11:12], v[27:28]
	v_add_f64 v[13:14], v[13:14], v[29:30]
	s_or_b64 exec, exec, s[14:15]
	v_cmp_gt_u32_e64 s[8:9], 32, v18
	s_and_saveexec_b64 s[14:15], s[8:9]
	s_cbranch_execz .LBB88_369
.LBB88_539:
	ds_read_b128 v[27:30], v26 offset:4288
	ds_read_b128 v[31:34], v25 offset:6144
	s_waitcnt lgkmcnt(0)
	v_mul_f64 v[35:36], v[29:30], v[33:34]
	v_mul_f64 v[33:34], v[27:28], v[33:34]
	v_fma_f64 v[27:28], v[27:28], v[31:32], -v[35:36]
	v_fma_f64 v[29:30], v[29:30], v[31:32], v[33:34]
	v_add_f64 v[11:12], v[11:12], v[27:28]
	v_add_f64 v[13:14], v[13:14], v[29:30]
	s_or_b64 exec, exec, s[14:15]
	v_cmp_gt_u32_e64 s[8:9], 24, v18
	s_and_saveexec_b64 s[14:15], s[8:9]
	s_cbranch_execz .LBB88_370
.LBB88_540:
	ds_read_b128 v[27:30], v26 offset:4304
	ds_read_b128 v[31:34], v25 offset:6656
	s_waitcnt lgkmcnt(0)
	v_mul_f64 v[35:36], v[29:30], v[33:34]
	v_mul_f64 v[33:34], v[27:28], v[33:34]
	v_fma_f64 v[27:28], v[27:28], v[31:32], -v[35:36]
	v_fma_f64 v[29:30], v[29:30], v[31:32], v[33:34]
	v_add_f64 v[11:12], v[11:12], v[27:28]
	v_add_f64 v[13:14], v[13:14], v[29:30]
	s_or_b64 exec, exec, s[14:15]
	s_and_saveexec_b64 s[8:9], s[2:3]
	s_cbranch_execz .LBB88_371
.LBB88_541:
	ds_read_b128 v[26:29], v26 offset:4320
	ds_read_b128 v[30:33], v25 offset:7168
	s_waitcnt lgkmcnt(0)
	v_mul_f64 v[34:35], v[28:29], v[32:33]
	v_mul_f64 v[32:33], v[26:27], v[32:33]
	v_fma_f64 v[25:26], v[26:27], v[30:31], -v[34:35]
	v_fma_f64 v[27:28], v[28:29], v[30:31], v[32:33]
	v_add_f64 v[11:12], v[11:12], v[25:26]
	v_add_f64 v[13:14], v[13:14], v[27:28]
	s_or_b64 exec, exec, s[8:9]
	v_cmp_gt_u32_e64 s[8:9], 8, v18
	s_and_saveexec_b64 s[14:15], s[8:9]
	s_cbranch_execnz .LBB88_372
	s_branch .LBB88_373
.LBB88_542:
	ds_read_b128 v[24:27], v23 offset:2128
	ds_read_b128 v[28:31], v22 offset:2560
	s_waitcnt lgkmcnt(0)
	v_mul_f64 v[32:33], v[26:27], v[30:31]
	v_mul_f64 v[30:31], v[24:25], v[30:31]
	v_fma_f64 v[24:25], v[24:25], v[28:29], -v[32:33]
	v_fma_f64 v[26:27], v[26:27], v[28:29], v[30:31]
	v_add_f64 v[11:12], v[11:12], v[24:25]
	v_add_f64 v[13:14], v[13:14], v[26:27]
	s_or_b64 exec, exec, s[12:13]
	v_cmp_gt_u32_e64 s[8:9], 8, v18
	s_and_saveexec_b64 s[12:13], s[8:9]
	s_cbranch_execz .LBB88_425
.LBB88_543:
	ds_read_b128 v[23:26], v23 offset:2144
	ds_read_b128 v[27:30], v22 offset:3072
	s_waitcnt lgkmcnt(0)
	v_mul_f64 v[31:32], v[25:26], v[29:30]
	v_mul_f64 v[29:30], v[23:24], v[29:30]
	v_fma_f64 v[22:23], v[23:24], v[27:28], -v[31:32]
	v_fma_f64 v[24:25], v[25:26], v[27:28], v[29:30]
	v_add_f64 v[11:12], v[11:12], v[22:23]
	v_add_f64 v[13:14], v[13:14], v[24:25]
	s_or_b64 exec, exec, s[12:13]
	v_cmp_gt_u32_e64 s[8:9], 4, v18
	s_and_saveexec_b64 s[12:13], s[8:9]
	s_cbranch_execnz .LBB88_426
	s_branch .LBB88_427
	.section	.rodata,"a",@progbits
	.p2align	6, 0x0
	.amdhsa_kernel _ZL19rocblas_trsv_deviceILi32ELi16ELb0ELb0ELb0ELb0E19rocblas_complex_numIdES1_PKS1_PS1_EviT7_lllT6_T8_lllPii
		.amdhsa_group_segment_fixed_size 25104
		.amdhsa_private_segment_fixed_size 0
		.amdhsa_kernarg_size 360
		.amdhsa_user_sgpr_count 6
		.amdhsa_user_sgpr_private_segment_buffer 1
		.amdhsa_user_sgpr_dispatch_ptr 0
		.amdhsa_user_sgpr_queue_ptr 0
		.amdhsa_user_sgpr_kernarg_segment_ptr 1
		.amdhsa_user_sgpr_dispatch_id 0
		.amdhsa_user_sgpr_flat_scratch_init 0
		.amdhsa_user_sgpr_private_segment_size 0
		.amdhsa_uses_dynamic_stack 0
		.amdhsa_system_sgpr_private_segment_wavefront_offset 0
		.amdhsa_system_sgpr_workgroup_id_x 1
		.amdhsa_system_sgpr_workgroup_id_y 0
		.amdhsa_system_sgpr_workgroup_id_z 1
		.amdhsa_system_sgpr_workgroup_info 0
		.amdhsa_system_vgpr_workitem_id 1
		.amdhsa_next_free_vgpr 49
		.amdhsa_next_free_sgpr 98
		.amdhsa_reserve_vcc 1
		.amdhsa_reserve_flat_scratch 0
		.amdhsa_float_round_mode_32 0
		.amdhsa_float_round_mode_16_64 0
		.amdhsa_float_denorm_mode_32 3
		.amdhsa_float_denorm_mode_16_64 3
		.amdhsa_dx10_clamp 1
		.amdhsa_ieee_mode 1
		.amdhsa_fp16_overflow 0
		.amdhsa_exception_fp_ieee_invalid_op 0
		.amdhsa_exception_fp_denorm_src 0
		.amdhsa_exception_fp_ieee_div_zero 0
		.amdhsa_exception_fp_ieee_overflow 0
		.amdhsa_exception_fp_ieee_underflow 0
		.amdhsa_exception_fp_ieee_inexact 0
		.amdhsa_exception_int_div_zero 0
	.end_amdhsa_kernel
	.section	.text._ZL19rocblas_trsv_deviceILi32ELi16ELb0ELb0ELb0ELb0E19rocblas_complex_numIdES1_PKS1_PS1_EviT7_lllT6_T8_lllPii,"axG",@progbits,_ZL19rocblas_trsv_deviceILi32ELi16ELb0ELb0ELb0ELb0E19rocblas_complex_numIdES1_PKS1_PS1_EviT7_lllT6_T8_lllPii,comdat
.Lfunc_end88:
	.size	_ZL19rocblas_trsv_deviceILi32ELi16ELb0ELb0ELb0ELb0E19rocblas_complex_numIdES1_PKS1_PS1_EviT7_lllT6_T8_lllPii, .Lfunc_end88-_ZL19rocblas_trsv_deviceILi32ELi16ELb0ELb0ELb0ELb0E19rocblas_complex_numIdES1_PKS1_PS1_EviT7_lllT6_T8_lllPii
                                        ; -- End function
	.set _ZL19rocblas_trsv_deviceILi32ELi16ELb0ELb0ELb0ELb0E19rocblas_complex_numIdES1_PKS1_PS1_EviT7_lllT6_T8_lllPii.num_vgpr, 40
	.set _ZL19rocblas_trsv_deviceILi32ELi16ELb0ELb0ELb0ELb0E19rocblas_complex_numIdES1_PKS1_PS1_EviT7_lllT6_T8_lllPii.num_agpr, 0
	.set _ZL19rocblas_trsv_deviceILi32ELi16ELb0ELb0ELb0ELb0E19rocblas_complex_numIdES1_PKS1_PS1_EviT7_lllT6_T8_lllPii.numbered_sgpr, 90
	.set _ZL19rocblas_trsv_deviceILi32ELi16ELb0ELb0ELb0ELb0E19rocblas_complex_numIdES1_PKS1_PS1_EviT7_lllT6_T8_lllPii.num_named_barrier, 0
	.set _ZL19rocblas_trsv_deviceILi32ELi16ELb0ELb0ELb0ELb0E19rocblas_complex_numIdES1_PKS1_PS1_EviT7_lllT6_T8_lllPii.private_seg_size, 0
	.set _ZL19rocblas_trsv_deviceILi32ELi16ELb0ELb0ELb0ELb0E19rocblas_complex_numIdES1_PKS1_PS1_EviT7_lllT6_T8_lllPii.uses_vcc, 1
	.set _ZL19rocblas_trsv_deviceILi32ELi16ELb0ELb0ELb0ELb0E19rocblas_complex_numIdES1_PKS1_PS1_EviT7_lllT6_T8_lllPii.uses_flat_scratch, 0
	.set _ZL19rocblas_trsv_deviceILi32ELi16ELb0ELb0ELb0ELb0E19rocblas_complex_numIdES1_PKS1_PS1_EviT7_lllT6_T8_lllPii.has_dyn_sized_stack, 0
	.set _ZL19rocblas_trsv_deviceILi32ELi16ELb0ELb0ELb0ELb0E19rocblas_complex_numIdES1_PKS1_PS1_EviT7_lllT6_T8_lllPii.has_recursion, 0
	.set _ZL19rocblas_trsv_deviceILi32ELi16ELb0ELb0ELb0ELb0E19rocblas_complex_numIdES1_PKS1_PS1_EviT7_lllT6_T8_lllPii.has_indirect_call, 0
	.section	.AMDGPU.csdata,"",@progbits
; Kernel info:
; codeLenInByte = 26972
; TotalNumSgprs: 94
; NumVgprs: 40
; ScratchSize: 0
; MemoryBound: 1
; FloatMode: 240
; IeeeMode: 1
; LDSByteSize: 25104 bytes/workgroup (compile time only)
; SGPRBlocks: 12
; VGPRBlocks: 12
; NumSGPRsForWavesPerEU: 102
; NumVGPRsForWavesPerEU: 49
; Occupancy: 4
; WaveLimiterHint : 0
; COMPUTE_PGM_RSRC2:SCRATCH_EN: 0
; COMPUTE_PGM_RSRC2:USER_SGPR: 6
; COMPUTE_PGM_RSRC2:TRAP_HANDLER: 0
; COMPUTE_PGM_RSRC2:TGID_X_EN: 1
; COMPUTE_PGM_RSRC2:TGID_Y_EN: 0
; COMPUTE_PGM_RSRC2:TGID_Z_EN: 1
; COMPUTE_PGM_RSRC2:TIDIG_COMP_CNT: 1
	.section	.text._ZL19rocblas_trsv_deviceILi32ELi16ELb0ELb1ELb0ELb0E19rocblas_complex_numIdES1_PKS1_PS1_EviT7_lllT6_T8_lllPii,"axG",@progbits,_ZL19rocblas_trsv_deviceILi32ELi16ELb0ELb1ELb0ELb0E19rocblas_complex_numIdES1_PKS1_PS1_EviT7_lllT6_T8_lllPii,comdat
	.globl	_ZL19rocblas_trsv_deviceILi32ELi16ELb0ELb1ELb0ELb0E19rocblas_complex_numIdES1_PKS1_PS1_EviT7_lllT6_T8_lllPii ; -- Begin function _ZL19rocblas_trsv_deviceILi32ELi16ELb0ELb1ELb0ELb0E19rocblas_complex_numIdES1_PKS1_PS1_EviT7_lllT6_T8_lllPii
	.p2align	8
	.type	_ZL19rocblas_trsv_deviceILi32ELi16ELb0ELb1ELb0ELb0E19rocblas_complex_numIdES1_PKS1_PS1_EviT7_lllT6_T8_lllPii,@function
_ZL19rocblas_trsv_deviceILi32ELi16ELb0ELb1ELb0ELb0E19rocblas_complex_numIdES1_PKS1_PS1_EviT7_lllT6_T8_lllPii: ; @_ZL19rocblas_trsv_deviceILi32ELi16ELb0ELb1ELb0ELb0E19rocblas_complex_numIdES1_PKS1_PS1_EviT7_lllT6_T8_lllPii
; %bb.0:
	s_mov_b32 s34, s7
	s_load_dwordx16 s[16:31], s[4:5], 0x8
	s_load_dword s7, s[4:5], 0x0
	s_load_dword s94, s[4:5], 0x74
	v_mov_b32_e32 v2, v1
	s_mov_b32 s35, 0
	s_waitcnt lgkmcnt(0)
	s_mul_i32 s0, s23, s34
	s_mul_hi_u32 s1, s22, s34
	s_add_i32 s1, s1, s0
	s_mul_i32 s0, s22, s34
	s_lshl_b64 s[0:1], s[0:1], 4
	s_add_u32 s2, s16, s0
	s_addc_u32 s3, s17, s1
	s_lshl_b64 s[0:1], s[18:19], 4
	s_add_u32 s92, s2, s0
	s_addc_u32 s93, s3, s1
	s_cmp_eq_u32 s6, 0
	s_cbranch_scc1 .LBB89_6
; %bb.1:
	s_lshl_b32 s33, s6, 5
	v_add_u32_e32 v1, s33, v0
	v_ashrrev_i32_e32 v3, 31, v1
	v_mul_lo_u32 v7, s20, v3
	v_mul_lo_u32 v8, s21, v1
	v_mad_u64_u32 v[5:6], s[0:1], s20, v1, 0
	v_add_u32_e32 v3, s33, v2
	v_subrev_u32_e32 v3, 32, v3
	v_add3_u32 v6, v6, v7, v8
	v_lshlrev_b64 v[5:6], 4, v[5:6]
	v_ashrrev_i32_e32 v4, 31, v3
	v_cmp_gt_i32_e32 vcc, s7, v1
	v_mov_b32_e32 v1, s93
	v_add_co_u32_e64 v7, s[0:1], s92, v5
	v_lshlrev_b64 v[4:5], 4, v[3:4]
	v_addc_co_u32_e64 v1, s[0:1], v1, v6, s[0:1]
	v_add_co_u32_e64 v11, s[0:1], v7, v4
	v_addc_co_u32_e64 v12, s[0:1], v1, v5, s[0:1]
	v_cmp_gt_i32_e64 s[0:1], s7, v3
	v_mov_b32_e32 v5, 0
	v_mov_b32_e32 v7, 0
	;; [unrolled: 1-line block ×6, first 2 shown]
	s_and_b64 s[2:3], s[0:1], vcc
	s_barrier
	s_and_saveexec_b64 s[0:1], s[2:3]
	s_cbranch_execz .LBB89_3
; %bb.2:
	global_load_dwordx4 v[7:10], v[11:12], off
.LBB89_3:
	s_or_b64 exec, exec, s[0:1]
	v_add_u32_e32 v1, 16, v3
	v_cmp_gt_i32_e64 s[0:1], s7, v1
	v_mov_b32_e32 v3, 0
	v_mov_b32_e32 v4, 0
	s_and_b64 s[2:3], s[0:1], vcc
	s_waitcnt vmcnt(0)
	s_barrier
	s_and_saveexec_b64 s[0:1], s[2:3]
	s_cbranch_execz .LBB89_5
; %bb.4:
	global_load_dwordx4 v[3:6], v[11:12], off offset:256
.LBB89_5:
	s_or_b64 exec, exec, s[0:1]
	s_branch .LBB89_7
.LBB89_6:
                                        ; implicit-def: $vgpr5_vgpr6
                                        ; implicit-def: $vgpr9_vgpr10
	s_mov_b32 s33, s35
.LBB89_7:
	s_ashr_i32 s0, s7, 31
	s_lshr_b32 s0, s0, 27
	s_add_i32 s0, s7, s0
	s_andn2_b32 s0, s0, 31
	s_sub_i32 s91, s7, s0
	s_add_i32 s0, s7, -1
	s_ashr_i32 s1, s0, 31
	s_lshr_b32 s1, s1, 27
	s_add_i32 s0, s0, s1
	s_ashr_i32 s0, s0, 5
	s_cmp_eq_u32 s0, s6
	s_cselect_b64 s[0:1], -1, 0
	s_cmp_lg_u32 s91, 0
	s_cselect_b64 s[2:3], -1, 0
	s_and_b64 s[22:23], s[2:3], s[0:1]
	s_cmp_lt_i32 s6, 5
	s_cselect_b64 s[2:3], -1, 0
	s_or_b64 s[0:1], s[2:3], s[22:23]
	s_ashr_i32 s90, s33, 31
	s_add_u32 s10, s20, 1
	v_mov_b32_e32 v1, 0
	v_mov_b32_e32 v11, s33
	v_mad_u64_u32 v[19:20], s[8:9], s10, v11, v[0:1]
	s_addc_u32 s11, s21, 0
	s_mul_i32 s8, s10, s90
	s_mul_i32 s11, s11, s33
	v_lshlrev_b32_e32 v21, 5, v0
	s_add_i32 s8, s8, s11
	s_mov_b64 s[12:13], -1
	v_add_u32_e32 v20, s8, v20
	s_and_b64 vcc, exec, s[22:23]
	v_add_u32_e32 v22, v2, v21
	v_cmp_le_u32_e64 s[8:9], v2, v0
	v_lshl_add_u32 v1, v2, 5, v0
	s_cbranch_vccnz .LBB89_37
; %bb.8:
	v_mad_u64_u32 v[11:12], s[10:11], s20, v2, v[19:20]
	v_cndmask_b32_e64 v23, v1, v22, s[2:3]
	v_mad_u64_u32 v[12:13], s[10:11], s21, v2, v[12:13]
	s_and_saveexec_b64 s[2:3], s[8:9]
	s_xor_b64 s[2:3], exec, s[2:3]
	s_cbranch_execz .LBB89_20
; %bb.9:
	v_cmp_ne_u32_e32 vcc, v0, v2
	s_and_saveexec_b64 s[8:9], vcc
	s_xor_b64 s[8:9], exec, s[8:9]
	s_cbranch_execz .LBB89_13
; %bb.10:
	v_or_b32_e32 v11, v2, v0
	v_cmp_gt_u32_e32 vcc, 32, v11
	s_and_saveexec_b64 s[10:11], vcc
	s_cbranch_execz .LBB89_12
; %bb.11:
	v_mov_b32_e32 v11, 0
	v_lshlrev_b32_e32 v15, 4, v23
	v_mov_b32_e32 v12, v11
	v_mov_b32_e32 v13, v11
	;; [unrolled: 1-line block ×3, first 2 shown]
	ds_write_b128 v15, v[11:14]
.LBB89_12:
	s_or_b64 exec, exec, s[10:11]
                                        ; implicit-def: $vgpr23
                                        ; implicit-def: $vgpr11_vgpr12
.LBB89_13:
	s_andn2_saveexec_b64 s[8:9], s[8:9]
	s_cbranch_execz .LBB89_19
; %bb.14:
	v_lshlrev_b64 v[11:12], 4, v[11:12]
	v_mov_b32_e32 v13, s93
	v_add_co_u32_e32 v11, vcc, s92, v11
	v_addc_co_u32_e32 v12, vcc, v13, v12, vcc
	global_load_dwordx4 v[11:14], v[11:12], off
                                        ; implicit-def: $vgpr15_vgpr16
	s_waitcnt vmcnt(0)
	v_cmp_ngt_f64_e64 s[10:11], |v[11:12]|, |v[13:14]|
	s_and_saveexec_b64 s[12:13], s[10:11]
	s_xor_b64 s[10:11], exec, s[12:13]
	s_cbranch_execz .LBB89_16
; %bb.15:
	v_div_scale_f64 v[15:16], s[12:13], v[13:14], v[13:14], v[11:12]
	v_rcp_f64_e32 v[17:18], v[15:16]
	v_fma_f64 v[24:25], -v[15:16], v[17:18], 1.0
	v_fma_f64 v[17:18], v[17:18], v[24:25], v[17:18]
	v_div_scale_f64 v[24:25], vcc, v[11:12], v[13:14], v[11:12]
	v_fma_f64 v[26:27], -v[15:16], v[17:18], 1.0
	v_fma_f64 v[17:18], v[17:18], v[26:27], v[17:18]
	v_mul_f64 v[26:27], v[24:25], v[17:18]
	v_fma_f64 v[15:16], -v[15:16], v[26:27], v[24:25]
	v_div_fmas_f64 v[15:16], v[15:16], v[17:18], v[26:27]
	v_div_fixup_f64 v[15:16], v[15:16], v[13:14], v[11:12]
	v_fma_f64 v[11:12], v[11:12], v[15:16], v[13:14]
	v_div_scale_f64 v[13:14], s[12:13], v[11:12], v[11:12], 1.0
	v_div_scale_f64 v[26:27], vcc, 1.0, v[11:12], 1.0
	v_rcp_f64_e32 v[17:18], v[13:14]
	v_fma_f64 v[24:25], -v[13:14], v[17:18], 1.0
	v_fma_f64 v[17:18], v[17:18], v[24:25], v[17:18]
	v_fma_f64 v[24:25], -v[13:14], v[17:18], 1.0
	v_fma_f64 v[17:18], v[17:18], v[24:25], v[17:18]
	v_mul_f64 v[24:25], v[26:27], v[17:18]
	v_fma_f64 v[13:14], -v[13:14], v[24:25], v[26:27]
	v_div_fmas_f64 v[13:14], v[13:14], v[17:18], v[24:25]
	v_div_fixup_f64 v[17:18], v[13:14], v[11:12], 1.0
                                        ; implicit-def: $vgpr11_vgpr12
	v_mul_f64 v[15:16], v[15:16], v[17:18]
	v_xor_b32_e32 v18, 0x80000000, v18
.LBB89_16:
	s_andn2_saveexec_b64 s[10:11], s[10:11]
	s_cbranch_execz .LBB89_18
; %bb.17:
	v_div_scale_f64 v[15:16], s[12:13], v[11:12], v[11:12], v[13:14]
	v_rcp_f64_e32 v[17:18], v[15:16]
	v_fma_f64 v[24:25], -v[15:16], v[17:18], 1.0
	v_fma_f64 v[17:18], v[17:18], v[24:25], v[17:18]
	v_div_scale_f64 v[24:25], vcc, v[13:14], v[11:12], v[13:14]
	v_fma_f64 v[26:27], -v[15:16], v[17:18], 1.0
	v_fma_f64 v[17:18], v[17:18], v[26:27], v[17:18]
	v_mul_f64 v[26:27], v[24:25], v[17:18]
	v_fma_f64 v[15:16], -v[15:16], v[26:27], v[24:25]
	v_div_fmas_f64 v[15:16], v[15:16], v[17:18], v[26:27]
	v_div_fixup_f64 v[17:18], v[15:16], v[11:12], v[13:14]
	v_fma_f64 v[11:12], v[13:14], v[17:18], v[11:12]
	v_div_scale_f64 v[13:14], s[12:13], v[11:12], v[11:12], 1.0
	v_div_scale_f64 v[26:27], vcc, 1.0, v[11:12], 1.0
	v_rcp_f64_e32 v[15:16], v[13:14]
	v_fma_f64 v[24:25], -v[13:14], v[15:16], 1.0
	v_fma_f64 v[15:16], v[15:16], v[24:25], v[15:16]
	v_fma_f64 v[24:25], -v[13:14], v[15:16], 1.0
	v_fma_f64 v[15:16], v[15:16], v[24:25], v[15:16]
	v_mul_f64 v[24:25], v[26:27], v[15:16]
	v_fma_f64 v[13:14], -v[13:14], v[24:25], v[26:27]
	v_div_fmas_f64 v[13:14], v[13:14], v[15:16], v[24:25]
	v_div_fixup_f64 v[15:16], v[13:14], v[11:12], 1.0
	v_mul_f64 v[17:18], v[17:18], -v[15:16]
.LBB89_18:
	s_or_b64 exec, exec, s[10:11]
	v_lshlrev_b32_e32 v11, 4, v23
	ds_write_b128 v11, v[15:18]
.LBB89_19:
	s_or_b64 exec, exec, s[8:9]
                                        ; implicit-def: $vgpr11_vgpr12
                                        ; implicit-def: $vgpr23
.LBB89_20:
	s_andn2_saveexec_b64 s[2:3], s[2:3]
	s_cbranch_execz .LBB89_22
; %bb.21:
	v_lshlrev_b64 v[11:12], 4, v[11:12]
	v_mov_b32_e32 v13, s93
	v_add_co_u32_e32 v11, vcc, s92, v11
	v_addc_co_u32_e32 v12, vcc, v13, v12, vcc
	global_load_dwordx4 v[11:14], v[11:12], off
	v_lshlrev_b32_e32 v15, 4, v23
	s_waitcnt vmcnt(0)
	v_xor_b32_e32 v12, 0x80000000, v12
	v_xor_b32_e32 v14, 0x80000000, v14
	ds_write_b128 v15, v[11:14]
.LBB89_22:
	s_or_b64 exec, exec, s[2:3]
	v_add_u32_e32 v13, 16, v2
	v_mad_u64_u32 v[11:12], s[2:3], s20, v13, v[19:20]
	v_cmp_le_u32_e32 vcc, v13, v0
	v_mad_u64_u32 v[14:15], s[2:3], s21, v13, v[12:13]
	v_add_u32_e32 v12, v13, v21
	v_lshl_add_u32 v15, v13, 5, v0
	v_cndmask_b32_e64 v23, v15, v12, s[0:1]
	v_mov_b32_e32 v12, v14
	s_and_saveexec_b64 s[2:3], vcc
	s_xor_b64 s[2:3], exec, s[2:3]
	s_cbranch_execz .LBB89_34
; %bb.23:
	v_cmp_ne_u32_e32 vcc, v0, v13
	s_and_saveexec_b64 s[8:9], vcc
	s_xor_b64 s[8:9], exec, s[8:9]
	s_cbranch_execz .LBB89_27
; %bb.24:
	v_or_b32_e32 v11, v13, v0
	v_cmp_gt_u32_e32 vcc, 32, v11
	s_and_saveexec_b64 s[10:11], vcc
	s_cbranch_execz .LBB89_26
; %bb.25:
	v_mov_b32_e32 v11, 0
	v_lshlrev_b32_e32 v15, 4, v23
	v_mov_b32_e32 v12, v11
	v_mov_b32_e32 v13, v11
	;; [unrolled: 1-line block ×3, first 2 shown]
	ds_write_b128 v15, v[11:14]
.LBB89_26:
	s_or_b64 exec, exec, s[10:11]
                                        ; implicit-def: $vgpr23
                                        ; implicit-def: $vgpr11_vgpr12
.LBB89_27:
	s_andn2_saveexec_b64 s[8:9], s[8:9]
	s_cbranch_execz .LBB89_33
; %bb.28:
	v_lshlrev_b64 v[11:12], 4, v[11:12]
	v_mov_b32_e32 v13, s93
	v_add_co_u32_e32 v11, vcc, s92, v11
	v_addc_co_u32_e32 v12, vcc, v13, v12, vcc
	global_load_dwordx4 v[11:14], v[11:12], off
                                        ; implicit-def: $vgpr15_vgpr16
	s_waitcnt vmcnt(0)
	v_cmp_ngt_f64_e64 s[10:11], |v[11:12]|, |v[13:14]|
	s_and_saveexec_b64 s[12:13], s[10:11]
	s_xor_b64 s[10:11], exec, s[12:13]
	s_cbranch_execz .LBB89_30
; %bb.29:
	v_div_scale_f64 v[15:16], s[12:13], v[13:14], v[13:14], v[11:12]
	v_rcp_f64_e32 v[17:18], v[15:16]
	v_fma_f64 v[24:25], -v[15:16], v[17:18], 1.0
	v_fma_f64 v[17:18], v[17:18], v[24:25], v[17:18]
	v_div_scale_f64 v[24:25], vcc, v[11:12], v[13:14], v[11:12]
	v_fma_f64 v[26:27], -v[15:16], v[17:18], 1.0
	v_fma_f64 v[17:18], v[17:18], v[26:27], v[17:18]
	v_mul_f64 v[26:27], v[24:25], v[17:18]
	v_fma_f64 v[15:16], -v[15:16], v[26:27], v[24:25]
	v_div_fmas_f64 v[15:16], v[15:16], v[17:18], v[26:27]
	v_div_fixup_f64 v[15:16], v[15:16], v[13:14], v[11:12]
	v_fma_f64 v[11:12], v[11:12], v[15:16], v[13:14]
	v_div_scale_f64 v[13:14], s[12:13], v[11:12], v[11:12], 1.0
	v_div_scale_f64 v[26:27], vcc, 1.0, v[11:12], 1.0
	v_rcp_f64_e32 v[17:18], v[13:14]
	v_fma_f64 v[24:25], -v[13:14], v[17:18], 1.0
	v_fma_f64 v[17:18], v[17:18], v[24:25], v[17:18]
	v_fma_f64 v[24:25], -v[13:14], v[17:18], 1.0
	v_fma_f64 v[17:18], v[17:18], v[24:25], v[17:18]
	v_mul_f64 v[24:25], v[26:27], v[17:18]
	v_fma_f64 v[13:14], -v[13:14], v[24:25], v[26:27]
	v_div_fmas_f64 v[13:14], v[13:14], v[17:18], v[24:25]
	v_div_fixup_f64 v[17:18], v[13:14], v[11:12], 1.0
                                        ; implicit-def: $vgpr11_vgpr12
	v_mul_f64 v[15:16], v[15:16], v[17:18]
	v_xor_b32_e32 v18, 0x80000000, v18
.LBB89_30:
	s_andn2_saveexec_b64 s[10:11], s[10:11]
	s_cbranch_execz .LBB89_32
; %bb.31:
	v_div_scale_f64 v[15:16], s[12:13], v[11:12], v[11:12], v[13:14]
	v_rcp_f64_e32 v[17:18], v[15:16]
	v_fma_f64 v[24:25], -v[15:16], v[17:18], 1.0
	v_fma_f64 v[17:18], v[17:18], v[24:25], v[17:18]
	v_div_scale_f64 v[24:25], vcc, v[13:14], v[11:12], v[13:14]
	v_fma_f64 v[26:27], -v[15:16], v[17:18], 1.0
	v_fma_f64 v[17:18], v[17:18], v[26:27], v[17:18]
	v_mul_f64 v[26:27], v[24:25], v[17:18]
	v_fma_f64 v[15:16], -v[15:16], v[26:27], v[24:25]
	v_div_fmas_f64 v[15:16], v[15:16], v[17:18], v[26:27]
	v_div_fixup_f64 v[17:18], v[15:16], v[11:12], v[13:14]
	v_fma_f64 v[11:12], v[13:14], v[17:18], v[11:12]
	v_div_scale_f64 v[13:14], s[12:13], v[11:12], v[11:12], 1.0
	v_div_scale_f64 v[26:27], vcc, 1.0, v[11:12], 1.0
	v_rcp_f64_e32 v[15:16], v[13:14]
	v_fma_f64 v[24:25], -v[13:14], v[15:16], 1.0
	v_fma_f64 v[15:16], v[15:16], v[24:25], v[15:16]
	v_fma_f64 v[24:25], -v[13:14], v[15:16], 1.0
	v_fma_f64 v[15:16], v[15:16], v[24:25], v[15:16]
	v_mul_f64 v[24:25], v[26:27], v[15:16]
	v_fma_f64 v[13:14], -v[13:14], v[24:25], v[26:27]
	v_div_fmas_f64 v[13:14], v[13:14], v[15:16], v[24:25]
	v_div_fixup_f64 v[15:16], v[13:14], v[11:12], 1.0
	v_mul_f64 v[17:18], v[17:18], -v[15:16]
.LBB89_32:
	s_or_b64 exec, exec, s[10:11]
	v_lshlrev_b32_e32 v11, 4, v23
	ds_write_b128 v11, v[15:18]
.LBB89_33:
	s_or_b64 exec, exec, s[8:9]
                                        ; implicit-def: $vgpr11_vgpr12
                                        ; implicit-def: $vgpr23
.LBB89_34:
	s_andn2_saveexec_b64 s[2:3], s[2:3]
	s_cbranch_execz .LBB89_36
; %bb.35:
	v_lshlrev_b64 v[11:12], 4, v[11:12]
	v_mov_b32_e32 v13, s93
	v_add_co_u32_e32 v11, vcc, s92, v11
	v_addc_co_u32_e32 v12, vcc, v13, v12, vcc
	global_load_dwordx4 v[11:14], v[11:12], off
	v_lshlrev_b32_e32 v15, 4, v23
	s_waitcnt vmcnt(0)
	v_xor_b32_e32 v12, 0x80000000, v12
	v_xor_b32_e32 v14, 0x80000000, v14
	ds_write_b128 v15, v[11:14]
.LBB89_36:
	s_or_b64 exec, exec, s[2:3]
	s_mov_b64 s[12:13], 0
.LBB89_37:
	s_xor_b64 s[10:11], s[0:1], -1
	s_and_b64 vcc, exec, s[12:13]
	s_cbranch_vccz .LBB89_67
; %bb.38:
	v_mad_u64_u32 v[11:12], s[2:3], s20, v2, v[19:20]
	v_cmp_le_u32_e32 vcc, v2, v0
	v_cmp_gt_i32_e64 s[2:3], s91, v0
	v_mad_u64_u32 v[12:13], s[8:9], s21, v2, v[12:13]
	v_max_i32_e32 v13, v2, v0
	v_cmp_le_i32_e64 s[8:9], s91, v13
	s_or_b64 s[8:9], s[8:9], vcc
	s_and_saveexec_b64 s[12:13], s[8:9]
	s_xor_b64 s[8:9], exec, s[12:13]
	s_cbranch_execz .LBB89_50
; %bb.39:
	v_cmp_ne_u32_e32 vcc, v0, v2
	s_xor_b64 s[12:13], s[2:3], -1
	s_or_b64 s[12:13], s[12:13], vcc
	s_and_saveexec_b64 s[14:15], s[12:13]
	s_xor_b64 s[12:13], exec, s[14:15]
	s_cbranch_execz .LBB89_43
; %bb.40:
	v_or_b32_e32 v11, v2, v0
	v_cmp_gt_u32_e32 vcc, 32, v11
	s_and_saveexec_b64 s[14:15], vcc
	s_cbranch_execz .LBB89_42
; %bb.41:
	v_mov_b32_e32 v11, 0
	v_lshlrev_b32_e32 v15, 4, v22
	v_mov_b32_e32 v12, v11
	v_mov_b32_e32 v13, v11
	;; [unrolled: 1-line block ×3, first 2 shown]
	ds_write_b128 v15, v[11:14]
.LBB89_42:
	s_or_b64 exec, exec, s[14:15]
                                        ; implicit-def: $vgpr22
                                        ; implicit-def: $vgpr11_vgpr12
.LBB89_43:
	s_andn2_saveexec_b64 s[12:13], s[12:13]
	s_cbranch_execz .LBB89_49
; %bb.44:
	v_lshlrev_b64 v[11:12], 4, v[11:12]
	v_mov_b32_e32 v13, s93
	v_add_co_u32_e32 v11, vcc, s92, v11
	v_addc_co_u32_e32 v12, vcc, v13, v12, vcc
	global_load_dwordx4 v[11:14], v[11:12], off
                                        ; implicit-def: $vgpr15_vgpr16
	s_waitcnt vmcnt(0)
	v_cmp_ngt_f64_e64 s[14:15], |v[11:12]|, |v[13:14]|
	s_and_saveexec_b64 s[16:17], s[14:15]
	s_xor_b64 s[14:15], exec, s[16:17]
	s_cbranch_execz .LBB89_46
; %bb.45:
	v_div_scale_f64 v[15:16], s[16:17], v[13:14], v[13:14], v[11:12]
	v_rcp_f64_e32 v[17:18], v[15:16]
	v_fma_f64 v[23:24], -v[15:16], v[17:18], 1.0
	v_fma_f64 v[17:18], v[17:18], v[23:24], v[17:18]
	v_div_scale_f64 v[23:24], vcc, v[11:12], v[13:14], v[11:12]
	v_fma_f64 v[25:26], -v[15:16], v[17:18], 1.0
	v_fma_f64 v[17:18], v[17:18], v[25:26], v[17:18]
	v_mul_f64 v[25:26], v[23:24], v[17:18]
	v_fma_f64 v[15:16], -v[15:16], v[25:26], v[23:24]
	v_div_fmas_f64 v[15:16], v[15:16], v[17:18], v[25:26]
	v_div_fixup_f64 v[15:16], v[15:16], v[13:14], v[11:12]
	v_fma_f64 v[11:12], v[11:12], v[15:16], v[13:14]
	v_div_scale_f64 v[13:14], s[16:17], v[11:12], v[11:12], 1.0
	v_div_scale_f64 v[25:26], vcc, 1.0, v[11:12], 1.0
	v_rcp_f64_e32 v[17:18], v[13:14]
	v_fma_f64 v[23:24], -v[13:14], v[17:18], 1.0
	v_fma_f64 v[17:18], v[17:18], v[23:24], v[17:18]
	v_fma_f64 v[23:24], -v[13:14], v[17:18], 1.0
	v_fma_f64 v[17:18], v[17:18], v[23:24], v[17:18]
	v_mul_f64 v[23:24], v[25:26], v[17:18]
	v_fma_f64 v[13:14], -v[13:14], v[23:24], v[25:26]
	v_div_fmas_f64 v[13:14], v[13:14], v[17:18], v[23:24]
	v_div_fixup_f64 v[17:18], v[13:14], v[11:12], 1.0
                                        ; implicit-def: $vgpr11_vgpr12
	v_mul_f64 v[15:16], v[15:16], v[17:18]
	v_xor_b32_e32 v18, 0x80000000, v18
.LBB89_46:
	s_andn2_saveexec_b64 s[14:15], s[14:15]
	s_cbranch_execz .LBB89_48
; %bb.47:
	v_div_scale_f64 v[15:16], s[16:17], v[11:12], v[11:12], v[13:14]
	v_rcp_f64_e32 v[17:18], v[15:16]
	v_fma_f64 v[23:24], -v[15:16], v[17:18], 1.0
	v_fma_f64 v[17:18], v[17:18], v[23:24], v[17:18]
	v_div_scale_f64 v[23:24], vcc, v[13:14], v[11:12], v[13:14]
	v_fma_f64 v[25:26], -v[15:16], v[17:18], 1.0
	v_fma_f64 v[17:18], v[17:18], v[25:26], v[17:18]
	v_mul_f64 v[25:26], v[23:24], v[17:18]
	v_fma_f64 v[15:16], -v[15:16], v[25:26], v[23:24]
	v_div_fmas_f64 v[15:16], v[15:16], v[17:18], v[25:26]
	v_div_fixup_f64 v[17:18], v[15:16], v[11:12], v[13:14]
	v_fma_f64 v[11:12], v[13:14], v[17:18], v[11:12]
	v_div_scale_f64 v[13:14], s[16:17], v[11:12], v[11:12], 1.0
	v_div_scale_f64 v[25:26], vcc, 1.0, v[11:12], 1.0
	v_rcp_f64_e32 v[15:16], v[13:14]
	v_fma_f64 v[23:24], -v[13:14], v[15:16], 1.0
	v_fma_f64 v[15:16], v[15:16], v[23:24], v[15:16]
	v_fma_f64 v[23:24], -v[13:14], v[15:16], 1.0
	v_fma_f64 v[15:16], v[15:16], v[23:24], v[15:16]
	v_mul_f64 v[23:24], v[25:26], v[15:16]
	v_fma_f64 v[13:14], -v[13:14], v[23:24], v[25:26]
	v_div_fmas_f64 v[13:14], v[13:14], v[15:16], v[23:24]
	v_div_fixup_f64 v[15:16], v[13:14], v[11:12], 1.0
	v_mul_f64 v[17:18], v[17:18], -v[15:16]
.LBB89_48:
	s_or_b64 exec, exec, s[14:15]
	v_lshlrev_b32_e32 v11, 4, v22
	ds_write_b128 v11, v[15:18]
.LBB89_49:
	s_or_b64 exec, exec, s[12:13]
                                        ; implicit-def: $vgpr11_vgpr12
                                        ; implicit-def: $vgpr22
.LBB89_50:
	s_andn2_saveexec_b64 s[8:9], s[8:9]
	s_cbranch_execz .LBB89_52
; %bb.51:
	v_lshlrev_b64 v[11:12], 4, v[11:12]
	v_mov_b32_e32 v13, s93
	v_add_co_u32_e32 v11, vcc, s92, v11
	v_addc_co_u32_e32 v12, vcc, v13, v12, vcc
	global_load_dwordx4 v[11:14], v[11:12], off
	v_lshlrev_b32_e32 v15, 4, v22
	s_waitcnt vmcnt(0)
	v_xor_b32_e32 v12, 0x80000000, v12
	v_xor_b32_e32 v14, 0x80000000, v14
	ds_write_b128 v15, v[11:14]
.LBB89_52:
	s_or_b64 exec, exec, s[8:9]
	v_add_u32_e32 v13, 16, v2
	v_mad_u64_u32 v[11:12], s[8:9], s20, v13, v[19:20]
	v_add_u32_e32 v16, v13, v21
	v_cmp_gt_u32_e32 vcc, v13, v0
	v_mad_u64_u32 v[14:15], s[8:9], s21, v13, v[12:13]
	v_lshl_add_u32 v12, v13, 5, v0
	v_cndmask_b32_e64 v19, v12, v16, s[0:1]
	v_cmp_gt_i32_e64 s[0:1], s91, v13
	s_and_b64 s[0:1], vcc, s[0:1]
	s_and_b64 s[0:1], s[2:3], s[0:1]
	v_mov_b32_e32 v12, v14
	s_xor_b64 s[0:1], s[0:1], -1
	s_and_saveexec_b64 s[8:9], s[0:1]
	s_xor_b64 s[0:1], exec, s[8:9]
	s_cbranch_execz .LBB89_64
; %bb.53:
	v_cmp_ne_u32_e32 vcc, v0, v13
	s_xor_b64 s[2:3], s[2:3], -1
	s_or_b64 s[2:3], s[2:3], vcc
	s_and_saveexec_b64 s[8:9], s[2:3]
	s_xor_b64 s[2:3], exec, s[8:9]
	s_cbranch_execz .LBB89_57
; %bb.54:
	v_or_b32_e32 v11, v13, v0
	v_cmp_gt_u32_e32 vcc, 32, v11
	s_and_saveexec_b64 s[8:9], vcc
	s_cbranch_execz .LBB89_56
; %bb.55:
	v_mov_b32_e32 v11, 0
	v_lshlrev_b32_e32 v15, 4, v19
	v_mov_b32_e32 v12, v11
	v_mov_b32_e32 v13, v11
	;; [unrolled: 1-line block ×3, first 2 shown]
	ds_write_b128 v15, v[11:14]
.LBB89_56:
	s_or_b64 exec, exec, s[8:9]
                                        ; implicit-def: $vgpr19
                                        ; implicit-def: $vgpr11_vgpr12
.LBB89_57:
	s_andn2_saveexec_b64 s[2:3], s[2:3]
	s_cbranch_execz .LBB89_63
; %bb.58:
	v_lshlrev_b64 v[11:12], 4, v[11:12]
	v_mov_b32_e32 v13, s93
	v_add_co_u32_e32 v11, vcc, s92, v11
	v_addc_co_u32_e32 v12, vcc, v13, v12, vcc
	global_load_dwordx4 v[11:14], v[11:12], off
                                        ; implicit-def: $vgpr15_vgpr16
	s_waitcnt vmcnt(0)
	v_cmp_ngt_f64_e64 s[8:9], |v[11:12]|, |v[13:14]|
	s_and_saveexec_b64 s[12:13], s[8:9]
	s_xor_b64 s[8:9], exec, s[12:13]
	s_cbranch_execz .LBB89_60
; %bb.59:
	v_div_scale_f64 v[15:16], s[12:13], v[13:14], v[13:14], v[11:12]
	v_rcp_f64_e32 v[17:18], v[15:16]
	v_fma_f64 v[20:21], -v[15:16], v[17:18], 1.0
	v_fma_f64 v[17:18], v[17:18], v[20:21], v[17:18]
	v_div_scale_f64 v[20:21], vcc, v[11:12], v[13:14], v[11:12]
	v_fma_f64 v[22:23], -v[15:16], v[17:18], 1.0
	v_fma_f64 v[17:18], v[17:18], v[22:23], v[17:18]
	v_mul_f64 v[22:23], v[20:21], v[17:18]
	v_fma_f64 v[15:16], -v[15:16], v[22:23], v[20:21]
	v_div_fmas_f64 v[15:16], v[15:16], v[17:18], v[22:23]
	v_div_fixup_f64 v[15:16], v[15:16], v[13:14], v[11:12]
	v_fma_f64 v[11:12], v[11:12], v[15:16], v[13:14]
	v_div_scale_f64 v[13:14], s[12:13], v[11:12], v[11:12], 1.0
	v_div_scale_f64 v[22:23], vcc, 1.0, v[11:12], 1.0
	v_rcp_f64_e32 v[17:18], v[13:14]
	v_fma_f64 v[20:21], -v[13:14], v[17:18], 1.0
	v_fma_f64 v[17:18], v[17:18], v[20:21], v[17:18]
	v_fma_f64 v[20:21], -v[13:14], v[17:18], 1.0
	v_fma_f64 v[17:18], v[17:18], v[20:21], v[17:18]
	v_mul_f64 v[20:21], v[22:23], v[17:18]
	v_fma_f64 v[13:14], -v[13:14], v[20:21], v[22:23]
	v_div_fmas_f64 v[13:14], v[13:14], v[17:18], v[20:21]
	v_div_fixup_f64 v[17:18], v[13:14], v[11:12], 1.0
                                        ; implicit-def: $vgpr11_vgpr12
	v_mul_f64 v[15:16], v[15:16], v[17:18]
	v_xor_b32_e32 v18, 0x80000000, v18
.LBB89_60:
	s_andn2_saveexec_b64 s[8:9], s[8:9]
	s_cbranch_execz .LBB89_62
; %bb.61:
	v_div_scale_f64 v[15:16], s[12:13], v[11:12], v[11:12], v[13:14]
	v_rcp_f64_e32 v[17:18], v[15:16]
	v_fma_f64 v[20:21], -v[15:16], v[17:18], 1.0
	v_fma_f64 v[17:18], v[17:18], v[20:21], v[17:18]
	v_div_scale_f64 v[20:21], vcc, v[13:14], v[11:12], v[13:14]
	v_fma_f64 v[22:23], -v[15:16], v[17:18], 1.0
	v_fma_f64 v[17:18], v[17:18], v[22:23], v[17:18]
	v_mul_f64 v[22:23], v[20:21], v[17:18]
	v_fma_f64 v[15:16], -v[15:16], v[22:23], v[20:21]
	v_div_fmas_f64 v[15:16], v[15:16], v[17:18], v[22:23]
	v_div_fixup_f64 v[17:18], v[15:16], v[11:12], v[13:14]
	v_fma_f64 v[11:12], v[13:14], v[17:18], v[11:12]
	v_div_scale_f64 v[13:14], s[12:13], v[11:12], v[11:12], 1.0
	v_div_scale_f64 v[22:23], vcc, 1.0, v[11:12], 1.0
	v_rcp_f64_e32 v[15:16], v[13:14]
	v_fma_f64 v[20:21], -v[13:14], v[15:16], 1.0
	v_fma_f64 v[15:16], v[15:16], v[20:21], v[15:16]
	v_fma_f64 v[20:21], -v[13:14], v[15:16], 1.0
	v_fma_f64 v[15:16], v[15:16], v[20:21], v[15:16]
	v_mul_f64 v[20:21], v[22:23], v[15:16]
	v_fma_f64 v[13:14], -v[13:14], v[20:21], v[22:23]
	v_div_fmas_f64 v[13:14], v[13:14], v[15:16], v[20:21]
	v_div_fixup_f64 v[15:16], v[13:14], v[11:12], 1.0
	v_mul_f64 v[17:18], v[17:18], -v[15:16]
.LBB89_62:
	s_or_b64 exec, exec, s[8:9]
	v_lshlrev_b32_e32 v11, 4, v19
	ds_write_b128 v11, v[15:18]
.LBB89_63:
	s_or_b64 exec, exec, s[2:3]
                                        ; implicit-def: $vgpr11_vgpr12
                                        ; implicit-def: $vgpr19
.LBB89_64:
	s_andn2_saveexec_b64 s[0:1], s[0:1]
	s_cbranch_execz .LBB89_66
; %bb.65:
	v_lshlrev_b64 v[11:12], 4, v[11:12]
	v_mov_b32_e32 v13, s93
	v_add_co_u32_e32 v11, vcc, s92, v11
	v_addc_co_u32_e32 v12, vcc, v13, v12, vcc
	global_load_dwordx4 v[11:14], v[11:12], off
	v_lshlrev_b32_e32 v15, 4, v19
	s_waitcnt vmcnt(0)
	v_xor_b32_e32 v12, 0x80000000, v12
	v_xor_b32_e32 v14, 0x80000000, v14
	ds_write_b128 v15, v[11:14]
.LBB89_66:
	s_or_b64 exec, exec, s[0:1]
.LBB89_67:
	v_cndmask_b32_e64 v11, 0, 1, s[10:11]
	v_cmp_ne_u32_e64 s[0:1], 1, v11
	s_andn2_b64 vcc, exec, s[10:11]
	s_waitcnt vmcnt(0) lgkmcnt(0)
	s_barrier
	s_cbranch_vccnz .LBB89_491
; %bb.68:
	v_or_b32_e32 v11, v0, v2
	v_cmp_eq_u32_e32 vcc, 0, v11
	s_and_saveexec_b64 s[2:3], vcc
	s_cbranch_execz .LBB89_70
; %bb.69:
	v_mov_b32_e32 v25, 0
	ds_read_b128 v[11:14], v25 offset:16368
	ds_read_b128 v[15:18], v25 offset:15840
	;; [unrolled: 1-line block ×3, first 2 shown]
	s_waitcnt lgkmcnt(1)
	v_mul_f64 v[23:24], v[11:12], v[17:18]
	v_mul_f64 v[17:18], v[13:14], v[17:18]
	v_fma_f64 v[13:14], v[13:14], v[15:16], v[23:24]
	v_fma_f64 v[11:12], v[11:12], v[15:16], -v[17:18]
	s_waitcnt lgkmcnt(0)
	v_mul_f64 v[15:16], v[13:14], v[21:22]
	v_mul_f64 v[17:18], v[11:12], v[21:22]
	v_fma_f64 v[11:12], v[19:20], v[11:12], -v[15:16]
	v_fma_f64 v[13:14], v[19:20], v[13:14], v[17:18]
	ds_write_b128 v25, v[11:14] offset:16352
	ds_write_b128 v25, v[11:14] offset:15856
.LBB89_70:
	s_or_b64 exec, exec, s[2:3]
	v_lshlrev_b32_e32 v11, 5, v2
	v_add_u32_e32 v18, v11, v0
	v_add_u16_e32 v11, v11, v0
	v_lshrrev_b16_e32 v17, 1, v11
	v_mov_b32_e32 v11, 0
	v_mov_b32_e32 v13, 0
	v_and_b32_e32 v15, 1, v0
	v_sub_u32_e32 v16, 1, v17
	v_cmp_lt_u32_e64 s[8:9], 3, v18
	v_mov_b32_e32 v12, 0
	v_mov_b32_e32 v14, 0
	v_cmp_gt_u32_e64 s[2:3], 4, v18
	s_waitcnt lgkmcnt(0)
	s_barrier
	buffer_wbinvl1_vol
	s_and_saveexec_b64 s[12:13], s[2:3]
	s_cbranch_execz .LBB89_74
; %bb.71:
	v_lshlrev_b32_e32 v19, 4, v15
	v_lshlrev_b32_e32 v11, 9, v16
	ds_read_b128 v[11:14], v11 offset:15840
	ds_read_b128 v[19:22], v19 offset:15808
	v_cmp_gt_u32_e64 s[10:11], 2, v18
	s_waitcnt lgkmcnt(0)
	v_mul_f64 v[23:24], v[13:14], v[21:22]
	v_mul_f64 v[21:22], v[11:12], v[21:22]
	v_fma_f64 v[11:12], v[11:12], v[19:20], -v[23:24]
	v_fma_f64 v[13:14], v[13:14], v[19:20], v[21:22]
	v_add_f64 v[11:12], v[11:12], 0
	v_add_f64 v[13:14], v[13:14], 0
	s_and_saveexec_b64 s[14:15], s[10:11]
	s_cbranch_execz .LBB89_73
; %bb.72:
	v_lshlrev_b32_e32 v23, 4, v0
	v_mov_b32_e32 v19, 0
	ds_read_b128 v[19:22], v19 offset:16368
	ds_read_b128 v[23:26], v23 offset:16320
	s_waitcnt lgkmcnt(0)
	v_mul_f64 v[27:28], v[21:22], v[25:26]
	v_mul_f64 v[25:26], v[19:20], v[25:26]
	v_fma_f64 v[19:20], v[19:20], v[23:24], -v[27:28]
	v_fma_f64 v[21:22], v[21:22], v[23:24], v[25:26]
	v_add_f64 v[11:12], v[11:12], v[19:20]
	v_add_f64 v[13:14], v[13:14], v[21:22]
.LBB89_73:
	s_or_b64 exec, exec, s[14:15]
.LBB89_74:
	s_or_b64 exec, exec, s[12:13]
	v_mov_b32_e32 v19, 0x4000
	v_cmp_ne_u32_e64 s[10:11], 0, v15
	s_xor_b64 s[12:13], s[8:9], -1
	v_lshl_add_u32 v17, v17, 4, v19
	s_and_b64 s[38:39], s[10:11], s[12:13]
	s_and_saveexec_b64 s[8:9], s[38:39]
	s_cbranch_execz .LBB89_76
; %bb.75:
	v_mov_b32_e32 v19, 0
	ds_read_b128 v[19:22], v19 offset:15312
	s_waitcnt lgkmcnt(0)
	v_mul_f64 v[23:24], v[13:14], v[21:22]
	v_mul_f64 v[21:22], v[11:12], v[21:22]
	v_fma_f64 v[11:12], v[11:12], v[19:20], -v[23:24]
	v_fma_f64 v[13:14], v[13:14], v[19:20], v[21:22]
	v_xor_b32_e32 v20, 0x80000000, v12
	v_xor_b32_e32 v22, 0x80000000, v14
	v_mov_b32_e32 v19, v11
	v_mov_b32_e32 v21, v13
	ds_write_b128 v17, v[19:22]
.LBB89_76:
	s_or_b64 exec, exec, s[8:9]
	v_cmp_eq_u32_e64 s[8:9], 0, v15
	s_and_b64 s[36:37], s[8:9], s[12:13]
	s_waitcnt lgkmcnt(0)
	s_barrier
	s_and_saveexec_b64 s[8:9], s[36:37]
	s_cbranch_execz .LBB89_78
; %bb.77:
	v_mov_b32_e32 v23, 0
	ds_read_b128 v[19:22], v17
	ds_read_b128 v[23:26], v23 offset:15296
	s_waitcnt lgkmcnt(0)
	v_mul_f64 v[27:28], v[21:22], v[25:26]
	v_mul_f64 v[25:26], v[19:20], v[25:26]
	v_fma_f64 v[19:20], v[19:20], v[23:24], -v[27:28]
	v_fma_f64 v[21:22], v[21:22], v[23:24], v[25:26]
	v_add_f64 v[11:12], v[11:12], -v[19:20]
	v_add_f64 v[13:14], v[13:14], -v[21:22]
.LBB89_78:
	s_or_b64 exec, exec, s[8:9]
	s_barrier
	s_and_saveexec_b64 s[8:9], s[36:37]
	s_cbranch_execz .LBB89_80
; %bb.79:
	v_mov_b32_e32 v19, 0
	ds_read_b128 v[19:22], v19 offset:14784
	s_waitcnt lgkmcnt(0)
	v_mul_f64 v[23:24], v[13:14], v[21:22]
	v_mul_f64 v[21:22], v[11:12], v[21:22]
	v_fma_f64 v[11:12], v[11:12], v[19:20], -v[23:24]
	v_fma_f64 v[13:14], v[13:14], v[19:20], v[21:22]
	v_xor_b32_e32 v20, 0x80000000, v12
	v_xor_b32_e32 v22, 0x80000000, v14
	v_mov_b32_e32 v19, v11
	v_mov_b32_e32 v21, v13
	ds_write_b128 v17, v[19:22]
.LBB89_80:
	s_or_b64 exec, exec, s[8:9]
	s_waitcnt lgkmcnt(0)
	s_barrier
	s_barrier
	s_and_saveexec_b64 s[8:9], s[2:3]
; %bb.81:
	v_lshlrev_b32_e32 v19, 4, v15
	v_lshl_or_b32 v19, v16, 9, v19
	ds_write_b128 v19, v[11:14] offset:15808
; %bb.82:
	s_or_b64 exec, exec, s[8:9]
	v_cmp_eq_u32_e64 s[10:11], 0, v2
	v_cmp_gt_u32_e64 s[8:9], 2, v0
	s_and_b64 s[40:41], s[10:11], s[8:9]
	s_waitcnt lgkmcnt(0)
	s_barrier
	s_barrier
	s_and_saveexec_b64 s[8:9], s[40:41]
	s_cbranch_execz .LBB89_84
; %bb.83:
	v_lshlrev_b32_e32 v19, 9, v0
	ds_read_b128 v[11:14], v19 offset:15808
	s_movk_i32 s12, 0xfe10
	v_mad_i32_i24 v20, v0, s12, v19
	s_waitcnt lgkmcnt(0)
	ds_write_b128 v20, v[11:14] offset:14816
	ds_read_b128 v[11:14], v19 offset:15824
	s_waitcnt lgkmcnt(0)
	ds_write_b128 v20, v[11:14] offset:15328
.LBB89_84:
	s_or_b64 exec, exec, s[8:9]
	s_waitcnt lgkmcnt(0)
	s_barrier
	s_and_saveexec_b64 s[8:9], vcc
	s_cbranch_execz .LBB89_86
; %bb.85:
	v_mov_b32_e32 v29, 0
	ds_read_b128 v[11:14], v29 offset:15312
	ds_read_b128 v[19:22], v29 offset:14784
	;; [unrolled: 1-line block ×3, first 2 shown]
	s_waitcnt lgkmcnt(1)
	v_mul_f64 v[27:28], v[11:12], v[21:22]
	v_mul_f64 v[21:22], v[13:14], v[21:22]
	v_fma_f64 v[13:14], v[13:14], v[19:20], v[27:28]
	v_fma_f64 v[11:12], v[11:12], v[19:20], -v[21:22]
	s_waitcnt lgkmcnt(0)
	v_mul_f64 v[19:20], v[13:14], v[25:26]
	v_mul_f64 v[21:22], v[11:12], v[25:26]
	v_fma_f64 v[11:12], v[23:24], v[11:12], -v[19:20]
	v_fma_f64 v[13:14], v[23:24], v[13:14], v[21:22]
	ds_write_b128 v29, v[11:14] offset:15296
	ds_write_b128 v29, v[11:14] offset:14800
.LBB89_86:
	s_or_b64 exec, exec, s[8:9]
	v_lshrrev_b32_e32 v21, 2, v18
	v_mov_b32_e32 v13, 0
	v_mov_b32_e32 v11, 0
	v_and_b32_e32 v19, 3, v0
	v_sub_u32_e32 v20, 3, v21
	v_cmp_lt_u32_e64 s[8:9], 15, v18
	v_mov_b32_e32 v14, 0
	v_mov_b32_e32 v12, 0
	v_cmp_gt_u32_e64 s[16:17], 16, v18
	s_waitcnt lgkmcnt(0)
	s_barrier
	buffer_wbinvl1_vol
	s_and_saveexec_b64 s[14:15], s[16:17]
	s_cbranch_execz .LBB89_92
; %bb.87:
	v_lshlrev_b32_e32 v23, 9, v20
	v_lshlrev_b32_e32 v22, 4, v19
	ds_read_b128 v[11:14], v23 offset:14784
	ds_read_b128 v[24:27], v22 offset:14720
	v_cmp_gt_u32_e64 s[12:13], 12, v18
	s_waitcnt lgkmcnt(0)
	v_mul_f64 v[28:29], v[13:14], v[26:27]
	v_mul_f64 v[26:27], v[11:12], v[26:27]
	v_fma_f64 v[11:12], v[11:12], v[24:25], -v[28:29]
	v_fma_f64 v[13:14], v[13:14], v[24:25], v[26:27]
	v_add_f64 v[11:12], v[11:12], 0
	v_add_f64 v[13:14], v[13:14], 0
	s_and_saveexec_b64 s[18:19], s[12:13]
	s_cbranch_execnz .LBB89_551
; %bb.88:
	s_or_b64 exec, exec, s[18:19]
	v_cmp_gt_u32_e64 s[12:13], 8, v18
	s_and_saveexec_b64 s[18:19], s[12:13]
	s_cbranch_execnz .LBB89_552
.LBB89_89:
	s_or_b64 exec, exec, s[18:19]
	v_cmp_gt_u32_e64 s[12:13], 4, v18
	s_and_saveexec_b64 s[18:19], s[12:13]
	s_cbranch_execz .LBB89_91
.LBB89_90:
	v_lshlrev_b32_e32 v26, 4, v0
	v_mov_b32_e32 v22, 0
	ds_read_b128 v[22:25], v22 offset:16368
	ds_read_b128 v[26:29], v26 offset:16256
	s_waitcnt lgkmcnt(0)
	v_mul_f64 v[30:31], v[24:25], v[28:29]
	v_mul_f64 v[28:29], v[22:23], v[28:29]
	v_fma_f64 v[22:23], v[22:23], v[26:27], -v[30:31]
	v_fma_f64 v[24:25], v[24:25], v[26:27], v[28:29]
	v_add_f64 v[11:12], v[11:12], v[22:23]
	v_add_f64 v[13:14], v[13:14], v[24:25]
.LBB89_91:
	s_or_b64 exec, exec, s[18:19]
.LBB89_92:
	s_or_b64 exec, exec, s[14:15]
	v_mov_b32_e32 v22, 0x4000
	v_cmp_eq_u32_e64 s[12:13], 3, v19
	s_xor_b64 s[14:15], s[8:9], -1
	v_lshl_add_u32 v21, v21, 4, v22
	s_and_b64 s[44:45], s[12:13], s[14:15]
	s_and_saveexec_b64 s[8:9], s[44:45]
	s_cbranch_execz .LBB89_94
; %bb.93:
	v_mov_b32_e32 v22, 0
	ds_read_b128 v[22:25], v22 offset:14256
	s_waitcnt lgkmcnt(0)
	v_mul_f64 v[26:27], v[13:14], v[24:25]
	v_mul_f64 v[24:25], v[11:12], v[24:25]
	v_fma_f64 v[11:12], v[11:12], v[22:23], -v[26:27]
	v_fma_f64 v[13:14], v[13:14], v[22:23], v[24:25]
	v_xor_b32_e32 v23, 0x80000000, v12
	v_xor_b32_e32 v25, 0x80000000, v14
	v_mov_b32_e32 v22, v11
	v_mov_b32_e32 v24, v13
	ds_write_b128 v21, v[22:25]
.LBB89_94:
	s_or_b64 exec, exec, s[8:9]
	v_cmp_ne_u32_e64 s[8:9], 3, v19
	s_and_b64 s[46:47], s[8:9], s[14:15]
	s_waitcnt lgkmcnt(0)
	s_barrier
	s_and_saveexec_b64 s[8:9], s[46:47]
	s_cbranch_execz .LBB89_96
; %bb.95:
	v_lshlrev_b32_e32 v26, 4, v19
	ds_read_b128 v[22:25], v21
	ds_read_b128 v[26:29], v26 offset:14208
	s_waitcnt lgkmcnt(0)
	v_mul_f64 v[30:31], v[24:25], v[28:29]
	v_mul_f64 v[28:29], v[22:23], v[28:29]
	v_fma_f64 v[22:23], v[22:23], v[26:27], -v[30:31]
	v_fma_f64 v[24:25], v[24:25], v[26:27], v[28:29]
	v_add_f64 v[11:12], v[11:12], -v[22:23]
	v_add_f64 v[13:14], v[13:14], -v[24:25]
.LBB89_96:
	s_or_b64 exec, exec, s[8:9]
	v_cmp_eq_u32_e64 s[8:9], 2, v19
	s_and_b64 s[48:49], s[8:9], s[14:15]
	s_barrier
	s_and_saveexec_b64 s[8:9], s[48:49]
	s_cbranch_execz .LBB89_98
; %bb.97:
	v_mov_b32_e32 v22, 0
	ds_read_b128 v[22:25], v22 offset:13728
	s_waitcnt lgkmcnt(0)
	v_mul_f64 v[26:27], v[13:14], v[24:25]
	v_mul_f64 v[24:25], v[11:12], v[24:25]
	v_fma_f64 v[11:12], v[11:12], v[22:23], -v[26:27]
	v_fma_f64 v[13:14], v[13:14], v[22:23], v[24:25]
	v_xor_b32_e32 v23, 0x80000000, v12
	v_xor_b32_e32 v25, 0x80000000, v14
	v_mov_b32_e32 v22, v11
	v_mov_b32_e32 v24, v13
	ds_write_b128 v21, v[22:25]
.LBB89_98:
	s_or_b64 exec, exec, s[8:9]
	v_cmp_gt_u32_e64 s[8:9], 2, v19
	s_and_b64 s[50:51], s[8:9], s[14:15]
	s_waitcnt lgkmcnt(0)
	s_barrier
	s_and_saveexec_b64 s[8:9], s[50:51]
	s_cbranch_execz .LBB89_100
; %bb.99:
	v_lshlrev_b32_e32 v26, 4, v19
	ds_read_b128 v[22:25], v21
	ds_read_b128 v[26:29], v26 offset:13696
	s_waitcnt lgkmcnt(0)
	v_mul_f64 v[30:31], v[24:25], v[28:29]
	v_mul_f64 v[28:29], v[22:23], v[28:29]
	v_fma_f64 v[22:23], v[22:23], v[26:27], -v[30:31]
	v_fma_f64 v[24:25], v[24:25], v[26:27], v[28:29]
	v_add_f64 v[11:12], v[11:12], -v[22:23]
	v_add_f64 v[13:14], v[13:14], -v[24:25]
.LBB89_100:
	s_or_b64 exec, exec, s[8:9]
	v_cmp_eq_u32_e64 s[8:9], 1, v19
	s_and_b64 s[52:53], s[8:9], s[14:15]
	s_barrier
	s_and_saveexec_b64 s[8:9], s[52:53]
	s_cbranch_execz .LBB89_102
; %bb.101:
	v_mov_b32_e32 v22, 0
	ds_read_b128 v[22:25], v22 offset:13200
	s_waitcnt lgkmcnt(0)
	v_mul_f64 v[26:27], v[13:14], v[24:25]
	v_mul_f64 v[24:25], v[11:12], v[24:25]
	v_fma_f64 v[11:12], v[11:12], v[22:23], -v[26:27]
	v_fma_f64 v[13:14], v[13:14], v[22:23], v[24:25]
	v_xor_b32_e32 v23, 0x80000000, v12
	v_xor_b32_e32 v25, 0x80000000, v14
	v_mov_b32_e32 v22, v11
	v_mov_b32_e32 v24, v13
	ds_write_b128 v21, v[22:25]
.LBB89_102:
	s_or_b64 exec, exec, s[8:9]
	v_cmp_eq_u32_e64 s[8:9], 0, v19
	s_and_b64 s[42:43], s[8:9], s[14:15]
	s_waitcnt lgkmcnt(0)
	s_barrier
	s_and_saveexec_b64 s[8:9], s[42:43]
	s_cbranch_execz .LBB89_104
; %bb.103:
	v_mov_b32_e32 v26, 0
	ds_read_b128 v[22:25], v21
	ds_read_b128 v[26:29], v26 offset:13184
	s_waitcnt lgkmcnt(0)
	v_mul_f64 v[30:31], v[24:25], v[28:29]
	v_mul_f64 v[28:29], v[22:23], v[28:29]
	v_fma_f64 v[22:23], v[22:23], v[26:27], -v[30:31]
	v_fma_f64 v[24:25], v[24:25], v[26:27], v[28:29]
	v_add_f64 v[11:12], v[11:12], -v[22:23]
	v_add_f64 v[13:14], v[13:14], -v[24:25]
.LBB89_104:
	s_or_b64 exec, exec, s[8:9]
	s_barrier
	s_and_saveexec_b64 s[8:9], s[42:43]
	s_cbranch_execz .LBB89_106
; %bb.105:
	v_mov_b32_e32 v22, 0
	ds_read_b128 v[22:25], v22 offset:12672
	s_waitcnt lgkmcnt(0)
	v_mul_f64 v[26:27], v[13:14], v[24:25]
	v_mul_f64 v[24:25], v[11:12], v[24:25]
	v_fma_f64 v[11:12], v[11:12], v[22:23], -v[26:27]
	v_fma_f64 v[13:14], v[13:14], v[22:23], v[24:25]
	v_xor_b32_e32 v23, 0x80000000, v12
	v_xor_b32_e32 v25, 0x80000000, v14
	v_mov_b32_e32 v22, v11
	v_mov_b32_e32 v24, v13
	ds_write_b128 v21, v[22:25]
.LBB89_106:
	s_or_b64 exec, exec, s[8:9]
	s_waitcnt lgkmcnt(0)
	s_barrier
	s_barrier
	s_and_saveexec_b64 s[8:9], s[16:17]
; %bb.107:
	v_lshlrev_b32_e32 v22, 4, v19
	v_lshl_or_b32 v22, v20, 9, v22
	ds_write_b128 v22, v[11:14] offset:14720
; %bb.108:
	s_or_b64 exec, exec, s[8:9]
	v_cmp_gt_u32_e64 s[8:9], 4, v0
	s_and_b64 s[54:55], s[10:11], s[8:9]
	s_waitcnt lgkmcnt(0)
	s_barrier
	s_barrier
	s_and_saveexec_b64 s[8:9], s[54:55]
	s_cbranch_execz .LBB89_110
; %bb.109:
	v_lshlrev_b32_e32 v22, 4, v0
	s_movk_i32 s12, 0x1f0
	v_mad_u32_u24 v23, v0, s12, v22
	ds_read_b128 v[11:14], v23 offset:14720
	s_waitcnt lgkmcnt(0)
	ds_write_b128 v22, v[11:14] offset:12736
	ds_read_b128 v[11:14], v23 offset:14736
	s_waitcnt lgkmcnt(0)
	ds_write_b128 v22, v[11:14] offset:13248
	;; [unrolled: 3-line block ×4, first 2 shown]
.LBB89_110:
	s_or_b64 exec, exec, s[8:9]
	s_waitcnt lgkmcnt(0)
	s_barrier
	s_and_saveexec_b64 s[8:9], vcc
	s_cbranch_execz .LBB89_112
; %bb.111:
	v_mov_b32_e32 v32, 0
	ds_read_b128 v[11:14], v32 offset:14256
	ds_read_b128 v[22:25], v32 offset:13728
	;; [unrolled: 1-line block ×3, first 2 shown]
	s_waitcnt lgkmcnt(1)
	v_mul_f64 v[30:31], v[11:12], v[24:25]
	v_mul_f64 v[24:25], v[13:14], v[24:25]
	v_fma_f64 v[13:14], v[13:14], v[22:23], v[30:31]
	v_fma_f64 v[11:12], v[11:12], v[22:23], -v[24:25]
	s_waitcnt lgkmcnt(0)
	v_mul_f64 v[22:23], v[13:14], v[28:29]
	v_mul_f64 v[24:25], v[11:12], v[28:29]
	v_fma_f64 v[11:12], v[26:27], v[11:12], -v[22:23]
	v_fma_f64 v[13:14], v[26:27], v[13:14], v[24:25]
	ds_write_b128 v32, v[11:14] offset:14240
	ds_write_b128 v32, v[11:14] offset:13744
.LBB89_112:
	s_or_b64 exec, exec, s[8:9]
	v_mov_b32_e32 v11, 0
	v_mov_b32_e32 v13, 0
	;; [unrolled: 1-line block ×4, first 2 shown]
	s_waitcnt lgkmcnt(0)
	s_barrier
	buffer_wbinvl1_vol
	s_and_saveexec_b64 s[12:13], s[2:3]
	s_cbranch_execz .LBB89_116
; %bb.113:
	v_lshlrev_b32_e32 v22, 4, v15
	v_lshlrev_b32_e32 v11, 9, v16
	ds_read_b128 v[11:14], v11 offset:13728
	ds_read_b128 v[22:25], v22 offset:13696
	v_cmp_gt_u32_e64 s[8:9], 2, v18
	s_waitcnt lgkmcnt(0)
	v_mul_f64 v[26:27], v[13:14], v[24:25]
	v_mul_f64 v[24:25], v[11:12], v[24:25]
	v_fma_f64 v[11:12], v[11:12], v[22:23], -v[26:27]
	v_fma_f64 v[13:14], v[13:14], v[22:23], v[24:25]
	v_add_f64 v[11:12], v[11:12], 0
	v_add_f64 v[13:14], v[13:14], 0
	s_and_saveexec_b64 s[14:15], s[8:9]
	s_cbranch_execz .LBB89_115
; %bb.114:
	v_lshlrev_b32_e32 v26, 4, v0
	v_mov_b32_e32 v22, 0
	ds_read_b128 v[22:25], v22 offset:14256
	ds_read_b128 v[26:29], v26 offset:14208
	s_waitcnt lgkmcnt(0)
	v_mul_f64 v[30:31], v[24:25], v[28:29]
	v_mul_f64 v[28:29], v[22:23], v[28:29]
	v_fma_f64 v[22:23], v[22:23], v[26:27], -v[30:31]
	v_fma_f64 v[24:25], v[24:25], v[26:27], v[28:29]
	v_add_f64 v[11:12], v[11:12], v[22:23]
	v_add_f64 v[13:14], v[13:14], v[24:25]
.LBB89_115:
	s_or_b64 exec, exec, s[14:15]
.LBB89_116:
	s_or_b64 exec, exec, s[12:13]
	s_and_saveexec_b64 s[8:9], s[38:39]
	s_cbranch_execz .LBB89_118
; %bb.117:
	v_mov_b32_e32 v22, 0
	ds_read_b128 v[22:25], v22 offset:13200
	s_waitcnt lgkmcnt(0)
	v_mul_f64 v[26:27], v[13:14], v[24:25]
	v_mul_f64 v[24:25], v[11:12], v[24:25]
	v_fma_f64 v[11:12], v[11:12], v[22:23], -v[26:27]
	v_fma_f64 v[13:14], v[13:14], v[22:23], v[24:25]
	v_xor_b32_e32 v23, 0x80000000, v12
	v_xor_b32_e32 v25, 0x80000000, v14
	v_mov_b32_e32 v22, v11
	v_mov_b32_e32 v24, v13
	ds_write_b128 v17, v[22:25]
.LBB89_118:
	s_or_b64 exec, exec, s[8:9]
	s_waitcnt lgkmcnt(0)
	s_barrier
	s_and_saveexec_b64 s[8:9], s[36:37]
	s_cbranch_execz .LBB89_120
; %bb.119:
	v_mov_b32_e32 v26, 0
	ds_read_b128 v[22:25], v17
	ds_read_b128 v[26:29], v26 offset:13184
	s_waitcnt lgkmcnt(0)
	v_mul_f64 v[30:31], v[24:25], v[28:29]
	v_mul_f64 v[28:29], v[22:23], v[28:29]
	v_fma_f64 v[22:23], v[22:23], v[26:27], -v[30:31]
	v_fma_f64 v[24:25], v[24:25], v[26:27], v[28:29]
	v_add_f64 v[11:12], v[11:12], -v[22:23]
	v_add_f64 v[13:14], v[13:14], -v[24:25]
.LBB89_120:
	s_or_b64 exec, exec, s[8:9]
	s_barrier
	s_and_saveexec_b64 s[8:9], s[36:37]
	s_cbranch_execz .LBB89_122
; %bb.121:
	v_mov_b32_e32 v22, 0
	ds_read_b128 v[22:25], v22 offset:12672
	s_waitcnt lgkmcnt(0)
	v_mul_f64 v[26:27], v[13:14], v[24:25]
	v_mul_f64 v[24:25], v[11:12], v[24:25]
	v_fma_f64 v[11:12], v[11:12], v[22:23], -v[26:27]
	v_fma_f64 v[13:14], v[13:14], v[22:23], v[24:25]
	v_xor_b32_e32 v23, 0x80000000, v12
	v_xor_b32_e32 v25, 0x80000000, v14
	v_mov_b32_e32 v22, v11
	v_mov_b32_e32 v24, v13
	ds_write_b128 v17, v[22:25]
.LBB89_122:
	s_or_b64 exec, exec, s[8:9]
	s_waitcnt lgkmcnt(0)
	s_barrier
	s_barrier
	s_and_saveexec_b64 s[8:9], s[2:3]
; %bb.123:
	v_lshlrev_b32_e32 v22, 4, v15
	v_lshl_or_b32 v22, v16, 9, v22
	ds_write_b128 v22, v[11:14] offset:13696
; %bb.124:
	s_or_b64 exec, exec, s[8:9]
	s_waitcnt lgkmcnt(0)
	s_barrier
	s_barrier
	s_and_saveexec_b64 s[8:9], s[40:41]
	s_cbranch_execz .LBB89_126
; %bb.125:
	v_lshlrev_b32_e32 v22, 9, v0
	ds_read_b128 v[11:14], v22 offset:13696
	s_movk_i32 s12, 0xfe10
	v_mad_i32_i24 v23, v0, s12, v22
	s_waitcnt lgkmcnt(0)
	ds_write_b128 v23, v[11:14] offset:12704
	ds_read_b128 v[11:14], v22 offset:13712
	s_waitcnt lgkmcnt(0)
	ds_write_b128 v23, v[11:14] offset:13216
.LBB89_126:
	s_or_b64 exec, exec, s[8:9]
	s_waitcnt lgkmcnt(0)
	s_barrier
	s_and_saveexec_b64 s[8:9], vcc
	s_cbranch_execz .LBB89_128
; %bb.127:
	v_mov_b32_e32 v32, 0
	ds_read_b128 v[11:14], v32 offset:13200
	ds_read_b128 v[22:25], v32 offset:12672
	;; [unrolled: 1-line block ×3, first 2 shown]
	s_waitcnt lgkmcnt(1)
	v_mul_f64 v[30:31], v[11:12], v[24:25]
	v_mul_f64 v[24:25], v[13:14], v[24:25]
	v_fma_f64 v[13:14], v[13:14], v[22:23], v[30:31]
	v_fma_f64 v[11:12], v[11:12], v[22:23], -v[24:25]
	s_waitcnt lgkmcnt(0)
	v_mul_f64 v[22:23], v[13:14], v[28:29]
	v_mul_f64 v[24:25], v[11:12], v[28:29]
	v_fma_f64 v[11:12], v[26:27], v[11:12], -v[22:23]
	v_fma_f64 v[13:14], v[26:27], v[13:14], v[24:25]
	ds_write_b128 v32, v[11:14] offset:13184
	ds_write_b128 v32, v[11:14] offset:12688
.LBB89_128:
	s_or_b64 exec, exec, s[8:9]
	v_lshrrev_b32_e32 v24, 3, v18
	v_mov_b32_e32 v13, 0
	v_mov_b32_e32 v11, 0
	v_and_b32_e32 v22, 7, v0
	v_sub_u32_e32 v23, 7, v24
	v_cmp_lt_u32_e64 s[12:13], 63, v18
	v_mov_b32_e32 v14, 0
	v_mov_b32_e32 v12, 0
	v_cmp_gt_u32_e64 s[8:9], 64, v18
	s_waitcnt lgkmcnt(0)
	s_barrier
	buffer_wbinvl1_vol
	s_and_saveexec_b64 s[18:19], s[8:9]
	s_cbranch_execz .LBB89_138
; %bb.129:
	v_lshlrev_b32_e32 v26, 9, v23
	v_lshlrev_b32_e32 v25, 4, v22
	ds_read_b128 v[11:14], v26 offset:12672
	ds_read_b128 v[27:30], v25 offset:12544
	v_cmp_gt_u32_e64 s[14:15], 56, v18
	s_waitcnt lgkmcnt(0)
	v_mul_f64 v[31:32], v[13:14], v[29:30]
	v_mul_f64 v[29:30], v[11:12], v[29:30]
	v_fma_f64 v[11:12], v[11:12], v[27:28], -v[31:32]
	v_fma_f64 v[13:14], v[13:14], v[27:28], v[29:30]
	v_add_f64 v[11:12], v[11:12], 0
	v_add_f64 v[13:14], v[13:14], 0
	s_and_saveexec_b64 s[56:57], s[14:15]
	s_cbranch_execnz .LBB89_553
; %bb.130:
	s_or_b64 exec, exec, s[56:57]
	v_cmp_gt_u32_e64 s[14:15], 48, v18
	s_and_saveexec_b64 s[56:57], s[14:15]
	s_cbranch_execnz .LBB89_554
.LBB89_131:
	s_or_b64 exec, exec, s[56:57]
	v_cmp_gt_u32_e64 s[14:15], 40, v18
	s_and_saveexec_b64 s[56:57], s[14:15]
	s_cbranch_execnz .LBB89_555
.LBB89_132:
	s_or_b64 exec, exec, s[56:57]
	v_cmp_gt_u32_e64 s[14:15], 32, v18
	s_and_saveexec_b64 s[56:57], s[14:15]
	s_cbranch_execnz .LBB89_556
.LBB89_133:
	s_or_b64 exec, exec, s[56:57]
	v_cmp_gt_u32_e64 s[14:15], 24, v18
	s_and_saveexec_b64 s[56:57], s[14:15]
	s_cbranch_execnz .LBB89_557
.LBB89_134:
	s_or_b64 exec, exec, s[56:57]
	s_and_saveexec_b64 s[14:15], s[16:17]
	s_cbranch_execnz .LBB89_558
.LBB89_135:
	s_or_b64 exec, exec, s[14:15]
	v_cmp_gt_u32_e64 s[14:15], 8, v18
	s_and_saveexec_b64 s[56:57], s[14:15]
	s_cbranch_execz .LBB89_137
.LBB89_136:
	v_lshlrev_b32_e32 v29, 4, v0
	v_mov_b32_e32 v25, 0
	ds_read_b128 v[25:28], v25 offset:16368
	ds_read_b128 v[29:32], v29 offset:16128
	s_waitcnt lgkmcnt(0)
	v_mul_f64 v[33:34], v[27:28], v[31:32]
	v_mul_f64 v[31:32], v[25:26], v[31:32]
	v_fma_f64 v[25:26], v[25:26], v[29:30], -v[33:34]
	v_fma_f64 v[27:28], v[27:28], v[29:30], v[31:32]
	v_add_f64 v[11:12], v[11:12], v[25:26]
	v_add_f64 v[13:14], v[13:14], v[27:28]
.LBB89_137:
	s_or_b64 exec, exec, s[56:57]
.LBB89_138:
	s_or_b64 exec, exec, s[18:19]
	v_mov_b32_e32 v25, 0x4000
	v_cmp_eq_u32_e64 s[14:15], 7, v22
	s_xor_b64 s[18:19], s[12:13], -1
	v_lshl_add_u32 v24, v24, 4, v25
	s_and_b64 s[58:59], s[14:15], s[18:19]
	s_and_saveexec_b64 s[12:13], s[58:59]
	s_cbranch_execz .LBB89_140
; %bb.139:
	v_mov_b32_e32 v25, 0
	ds_read_b128 v[25:28], v25 offset:12144
	s_waitcnt lgkmcnt(0)
	v_mul_f64 v[29:30], v[13:14], v[27:28]
	v_mul_f64 v[27:28], v[11:12], v[27:28]
	v_fma_f64 v[11:12], v[11:12], v[25:26], -v[29:30]
	v_fma_f64 v[13:14], v[13:14], v[25:26], v[27:28]
	v_xor_b32_e32 v26, 0x80000000, v12
	v_xor_b32_e32 v28, 0x80000000, v14
	v_mov_b32_e32 v25, v11
	v_mov_b32_e32 v27, v13
	ds_write_b128 v24, v[25:28]
.LBB89_140:
	s_or_b64 exec, exec, s[12:13]
	v_cmp_ne_u32_e64 s[12:13], 7, v22
	s_and_b64 s[60:61], s[12:13], s[18:19]
	s_waitcnt lgkmcnt(0)
	s_barrier
	s_and_saveexec_b64 s[12:13], s[60:61]
	s_cbranch_execz .LBB89_142
; %bb.141:
	v_lshlrev_b32_e32 v29, 4, v22
	ds_read_b128 v[25:28], v24
	ds_read_b128 v[29:32], v29 offset:12032
	s_waitcnt lgkmcnt(0)
	v_mul_f64 v[33:34], v[27:28], v[31:32]
	v_mul_f64 v[31:32], v[25:26], v[31:32]
	v_fma_f64 v[25:26], v[25:26], v[29:30], -v[33:34]
	v_fma_f64 v[27:28], v[27:28], v[29:30], v[31:32]
	v_add_f64 v[11:12], v[11:12], -v[25:26]
	v_add_f64 v[13:14], v[13:14], -v[27:28]
.LBB89_142:
	s_or_b64 exec, exec, s[12:13]
	v_cmp_eq_u32_e64 s[12:13], 6, v22
	s_and_b64 s[62:63], s[12:13], s[18:19]
	s_barrier
	s_and_saveexec_b64 s[12:13], s[62:63]
	s_cbranch_execz .LBB89_144
; %bb.143:
	v_mov_b32_e32 v25, 0
	ds_read_b128 v[25:28], v25 offset:11616
	s_waitcnt lgkmcnt(0)
	v_mul_f64 v[29:30], v[13:14], v[27:28]
	v_mul_f64 v[27:28], v[11:12], v[27:28]
	v_fma_f64 v[11:12], v[11:12], v[25:26], -v[29:30]
	v_fma_f64 v[13:14], v[13:14], v[25:26], v[27:28]
	v_xor_b32_e32 v26, 0x80000000, v12
	v_xor_b32_e32 v28, 0x80000000, v14
	v_mov_b32_e32 v25, v11
	v_mov_b32_e32 v27, v13
	ds_write_b128 v24, v[25:28]
.LBB89_144:
	s_or_b64 exec, exec, s[12:13]
	v_cmp_gt_u32_e64 s[12:13], 6, v22
	s_and_b64 s[64:65], s[12:13], s[18:19]
	s_waitcnt lgkmcnt(0)
	s_barrier
	s_and_saveexec_b64 s[12:13], s[64:65]
	s_cbranch_execz .LBB89_146
; %bb.145:
	v_lshlrev_b32_e32 v29, 4, v22
	ds_read_b128 v[25:28], v24
	ds_read_b128 v[29:32], v29 offset:11520
	s_waitcnt lgkmcnt(0)
	v_mul_f64 v[33:34], v[27:28], v[31:32]
	v_mul_f64 v[31:32], v[25:26], v[31:32]
	v_fma_f64 v[25:26], v[25:26], v[29:30], -v[33:34]
	v_fma_f64 v[27:28], v[27:28], v[29:30], v[31:32]
	v_add_f64 v[11:12], v[11:12], -v[25:26]
	v_add_f64 v[13:14], v[13:14], -v[27:28]
.LBB89_146:
	s_or_b64 exec, exec, s[12:13]
	v_cmp_eq_u32_e64 s[12:13], 5, v22
	s_and_b64 s[66:67], s[12:13], s[18:19]
	s_barrier
	s_and_saveexec_b64 s[12:13], s[66:67]
	s_cbranch_execz .LBB89_148
; %bb.147:
	v_mov_b32_e32 v25, 0
	ds_read_b128 v[25:28], v25 offset:11088
	s_waitcnt lgkmcnt(0)
	v_mul_f64 v[29:30], v[13:14], v[27:28]
	v_mul_f64 v[27:28], v[11:12], v[27:28]
	v_fma_f64 v[11:12], v[11:12], v[25:26], -v[29:30]
	v_fma_f64 v[13:14], v[13:14], v[25:26], v[27:28]
	v_xor_b32_e32 v26, 0x80000000, v12
	v_xor_b32_e32 v28, 0x80000000, v14
	v_mov_b32_e32 v25, v11
	v_mov_b32_e32 v27, v13
	ds_write_b128 v24, v[25:28]
.LBB89_148:
	s_or_b64 exec, exec, s[12:13]
	v_cmp_gt_u32_e64 s[12:13], 5, v22
	;; [unrolled: 39-line block ×5, first 2 shown]
	s_and_b64 s[80:81], s[12:13], s[18:19]
	s_waitcnt lgkmcnt(0)
	s_barrier
	s_and_saveexec_b64 s[12:13], s[80:81]
	s_cbranch_execz .LBB89_162
; %bb.161:
	v_lshlrev_b32_e32 v29, 4, v22
	ds_read_b128 v[25:28], v24
	ds_read_b128 v[29:32], v29 offset:9472
	s_waitcnt lgkmcnt(0)
	v_mul_f64 v[33:34], v[27:28], v[31:32]
	v_mul_f64 v[31:32], v[25:26], v[31:32]
	v_fma_f64 v[25:26], v[25:26], v[29:30], -v[33:34]
	v_fma_f64 v[27:28], v[27:28], v[29:30], v[31:32]
	v_add_f64 v[11:12], v[11:12], -v[25:26]
	v_add_f64 v[13:14], v[13:14], -v[27:28]
.LBB89_162:
	s_or_b64 exec, exec, s[12:13]
	v_cmp_eq_u32_e64 s[12:13], 1, v22
	s_and_b64 s[82:83], s[12:13], s[18:19]
	s_barrier
	s_and_saveexec_b64 s[12:13], s[82:83]
	s_cbranch_execz .LBB89_164
; %bb.163:
	v_mov_b32_e32 v25, 0
	ds_read_b128 v[25:28], v25 offset:8976
	s_waitcnt lgkmcnt(0)
	v_mul_f64 v[29:30], v[13:14], v[27:28]
	v_mul_f64 v[27:28], v[11:12], v[27:28]
	v_fma_f64 v[11:12], v[11:12], v[25:26], -v[29:30]
	v_fma_f64 v[13:14], v[13:14], v[25:26], v[27:28]
	v_xor_b32_e32 v26, 0x80000000, v12
	v_xor_b32_e32 v28, 0x80000000, v14
	v_mov_b32_e32 v25, v11
	v_mov_b32_e32 v27, v13
	ds_write_b128 v24, v[25:28]
.LBB89_164:
	s_or_b64 exec, exec, s[12:13]
	v_cmp_eq_u32_e64 s[12:13], 0, v22
	s_and_b64 s[56:57], s[12:13], s[18:19]
	s_waitcnt lgkmcnt(0)
	s_barrier
	s_and_saveexec_b64 s[12:13], s[56:57]
	s_cbranch_execz .LBB89_166
; %bb.165:
	v_mov_b32_e32 v29, 0
	ds_read_b128 v[25:28], v24
	ds_read_b128 v[29:32], v29 offset:8960
	s_waitcnt lgkmcnt(0)
	v_mul_f64 v[33:34], v[27:28], v[31:32]
	v_mul_f64 v[31:32], v[25:26], v[31:32]
	v_fma_f64 v[25:26], v[25:26], v[29:30], -v[33:34]
	v_fma_f64 v[27:28], v[27:28], v[29:30], v[31:32]
	v_add_f64 v[11:12], v[11:12], -v[25:26]
	v_add_f64 v[13:14], v[13:14], -v[27:28]
.LBB89_166:
	s_or_b64 exec, exec, s[12:13]
	s_barrier
	s_and_saveexec_b64 s[12:13], s[56:57]
	s_cbranch_execz .LBB89_168
; %bb.167:
	v_mov_b32_e32 v25, 0
	ds_read_b128 v[25:28], v25 offset:8448
	s_waitcnt lgkmcnt(0)
	v_mul_f64 v[29:30], v[13:14], v[27:28]
	v_mul_f64 v[27:28], v[11:12], v[27:28]
	v_fma_f64 v[11:12], v[11:12], v[25:26], -v[29:30]
	v_fma_f64 v[13:14], v[13:14], v[25:26], v[27:28]
	v_xor_b32_e32 v26, 0x80000000, v12
	v_xor_b32_e32 v28, 0x80000000, v14
	v_mov_b32_e32 v25, v11
	v_mov_b32_e32 v27, v13
	ds_write_b128 v24, v[25:28]
.LBB89_168:
	s_or_b64 exec, exec, s[12:13]
	s_waitcnt lgkmcnt(0)
	s_barrier
	s_barrier
	s_and_saveexec_b64 s[12:13], s[8:9]
; %bb.169:
	v_lshlrev_b32_e32 v25, 4, v22
	v_lshl_or_b32 v25, v23, 9, v25
	ds_write_b128 v25, v[11:14] offset:12544
; %bb.170:
	s_or_b64 exec, exec, s[12:13]
	v_cmp_gt_u32_e64 s[12:13], 8, v0
	s_and_b64 s[84:85], s[10:11], s[12:13]
	s_waitcnt lgkmcnt(0)
	s_barrier
	s_barrier
	s_and_saveexec_b64 s[12:13], s[84:85]
	s_cbranch_execz .LBB89_172
; %bb.171:
	v_lshlrev_b32_e32 v25, 9, v0
	ds_read_b128 v[11:14], v25 offset:12544
	s_movk_i32 s14, 0xfe10
	v_mad_i32_i24 v26, v0, s14, v25
	s_waitcnt lgkmcnt(0)
	ds_write_b128 v26, v[11:14] offset:8576
	ds_read_b128 v[11:14], v25 offset:12560
	s_waitcnt lgkmcnt(0)
	ds_write_b128 v26, v[11:14] offset:9088
	ds_read_b128 v[11:14], v25 offset:12576
	;; [unrolled: 3-line block ×7, first 2 shown]
	s_waitcnt lgkmcnt(0)
	ds_write_b128 v26, v[11:14] offset:12160
.LBB89_172:
	s_or_b64 exec, exec, s[12:13]
	s_waitcnt lgkmcnt(0)
	s_barrier
	s_and_saveexec_b64 s[12:13], vcc
	s_cbranch_execz .LBB89_174
; %bb.173:
	v_mov_b32_e32 v35, 0
	ds_read_b128 v[11:14], v35 offset:12144
	ds_read_b128 v[25:28], v35 offset:11616
	;; [unrolled: 1-line block ×3, first 2 shown]
	s_waitcnt lgkmcnt(1)
	v_mul_f64 v[33:34], v[11:12], v[27:28]
	v_mul_f64 v[27:28], v[13:14], v[27:28]
	v_fma_f64 v[13:14], v[13:14], v[25:26], v[33:34]
	v_fma_f64 v[11:12], v[11:12], v[25:26], -v[27:28]
	s_waitcnt lgkmcnt(0)
	v_mul_f64 v[25:26], v[13:14], v[31:32]
	v_mul_f64 v[27:28], v[11:12], v[31:32]
	v_fma_f64 v[11:12], v[29:30], v[11:12], -v[25:26]
	v_fma_f64 v[13:14], v[29:30], v[13:14], v[27:28]
	ds_write_b128 v35, v[11:14] offset:12128
	ds_write_b128 v35, v[11:14] offset:11632
.LBB89_174:
	s_or_b64 exec, exec, s[12:13]
	v_mov_b32_e32 v11, 0
	v_mov_b32_e32 v13, 0
	;; [unrolled: 1-line block ×4, first 2 shown]
	s_waitcnt lgkmcnt(0)
	s_barrier
	buffer_wbinvl1_vol
	s_and_saveexec_b64 s[14:15], s[2:3]
	s_cbranch_execz .LBB89_178
; %bb.175:
	v_lshlrev_b32_e32 v25, 4, v15
	v_lshlrev_b32_e32 v11, 9, v16
	ds_read_b128 v[11:14], v11 offset:11616
	ds_read_b128 v[25:28], v25 offset:11584
	v_cmp_gt_u32_e64 s[12:13], 2, v18
	s_waitcnt lgkmcnt(0)
	v_mul_f64 v[29:30], v[13:14], v[27:28]
	v_mul_f64 v[27:28], v[11:12], v[27:28]
	v_fma_f64 v[11:12], v[11:12], v[25:26], -v[29:30]
	v_fma_f64 v[13:14], v[13:14], v[25:26], v[27:28]
	v_add_f64 v[11:12], v[11:12], 0
	v_add_f64 v[13:14], v[13:14], 0
	s_and_saveexec_b64 s[18:19], s[12:13]
	s_cbranch_execz .LBB89_177
; %bb.176:
	v_lshlrev_b32_e32 v29, 4, v0
	v_mov_b32_e32 v25, 0
	ds_read_b128 v[25:28], v25 offset:12144
	ds_read_b128 v[29:32], v29 offset:12096
	s_waitcnt lgkmcnt(0)
	v_mul_f64 v[33:34], v[27:28], v[31:32]
	v_mul_f64 v[31:32], v[25:26], v[31:32]
	v_fma_f64 v[25:26], v[25:26], v[29:30], -v[33:34]
	v_fma_f64 v[27:28], v[27:28], v[29:30], v[31:32]
	v_add_f64 v[11:12], v[11:12], v[25:26]
	v_add_f64 v[13:14], v[13:14], v[27:28]
.LBB89_177:
	s_or_b64 exec, exec, s[18:19]
.LBB89_178:
	s_or_b64 exec, exec, s[14:15]
	s_and_saveexec_b64 s[12:13], s[38:39]
	s_cbranch_execz .LBB89_180
; %bb.179:
	v_mov_b32_e32 v25, 0
	ds_read_b128 v[25:28], v25 offset:11088
	s_waitcnt lgkmcnt(0)
	v_mul_f64 v[29:30], v[13:14], v[27:28]
	v_mul_f64 v[27:28], v[11:12], v[27:28]
	v_fma_f64 v[11:12], v[11:12], v[25:26], -v[29:30]
	v_fma_f64 v[13:14], v[13:14], v[25:26], v[27:28]
	v_xor_b32_e32 v26, 0x80000000, v12
	v_xor_b32_e32 v28, 0x80000000, v14
	v_mov_b32_e32 v25, v11
	v_mov_b32_e32 v27, v13
	ds_write_b128 v17, v[25:28]
.LBB89_180:
	s_or_b64 exec, exec, s[12:13]
	s_waitcnt lgkmcnt(0)
	s_barrier
	s_and_saveexec_b64 s[12:13], s[36:37]
	s_cbranch_execz .LBB89_182
; %bb.181:
	v_mov_b32_e32 v29, 0
	ds_read_b128 v[25:28], v17
	ds_read_b128 v[29:32], v29 offset:11072
	s_waitcnt lgkmcnt(0)
	v_mul_f64 v[33:34], v[27:28], v[31:32]
	v_mul_f64 v[31:32], v[25:26], v[31:32]
	v_fma_f64 v[25:26], v[25:26], v[29:30], -v[33:34]
	v_fma_f64 v[27:28], v[27:28], v[29:30], v[31:32]
	v_add_f64 v[11:12], v[11:12], -v[25:26]
	v_add_f64 v[13:14], v[13:14], -v[27:28]
.LBB89_182:
	s_or_b64 exec, exec, s[12:13]
	s_barrier
	s_and_saveexec_b64 s[12:13], s[36:37]
	s_cbranch_execz .LBB89_184
; %bb.183:
	v_mov_b32_e32 v25, 0
	ds_read_b128 v[25:28], v25 offset:10560
	s_waitcnt lgkmcnt(0)
	v_mul_f64 v[29:30], v[13:14], v[27:28]
	v_mul_f64 v[27:28], v[11:12], v[27:28]
	v_fma_f64 v[11:12], v[11:12], v[25:26], -v[29:30]
	v_fma_f64 v[13:14], v[13:14], v[25:26], v[27:28]
	v_xor_b32_e32 v26, 0x80000000, v12
	v_xor_b32_e32 v28, 0x80000000, v14
	v_mov_b32_e32 v25, v11
	v_mov_b32_e32 v27, v13
	ds_write_b128 v17, v[25:28]
.LBB89_184:
	s_or_b64 exec, exec, s[12:13]
	s_waitcnt lgkmcnt(0)
	s_barrier
	s_barrier
	s_and_saveexec_b64 s[12:13], s[2:3]
; %bb.185:
	v_lshlrev_b32_e32 v25, 4, v15
	v_lshl_or_b32 v25, v16, 9, v25
	ds_write_b128 v25, v[11:14] offset:11584
; %bb.186:
	s_or_b64 exec, exec, s[12:13]
	s_waitcnt lgkmcnt(0)
	s_barrier
	s_barrier
	s_and_saveexec_b64 s[12:13], s[40:41]
	s_cbranch_execz .LBB89_188
; %bb.187:
	v_lshlrev_b32_e32 v25, 9, v0
	ds_read_b128 v[11:14], v25 offset:11584
	s_movk_i32 s14, 0xfe10
	v_mad_i32_i24 v26, v0, s14, v25
	s_waitcnt lgkmcnt(0)
	ds_write_b128 v26, v[11:14] offset:10592
	ds_read_b128 v[11:14], v25 offset:11600
	s_waitcnt lgkmcnt(0)
	ds_write_b128 v26, v[11:14] offset:11104
.LBB89_188:
	s_or_b64 exec, exec, s[12:13]
	s_waitcnt lgkmcnt(0)
	s_barrier
	s_and_saveexec_b64 s[12:13], vcc
	s_cbranch_execz .LBB89_190
; %bb.189:
	v_mov_b32_e32 v35, 0
	ds_read_b128 v[11:14], v35 offset:11088
	ds_read_b128 v[25:28], v35 offset:10560
	;; [unrolled: 1-line block ×3, first 2 shown]
	s_waitcnt lgkmcnt(1)
	v_mul_f64 v[33:34], v[11:12], v[27:28]
	v_mul_f64 v[27:28], v[13:14], v[27:28]
	v_fma_f64 v[13:14], v[13:14], v[25:26], v[33:34]
	v_fma_f64 v[11:12], v[11:12], v[25:26], -v[27:28]
	s_waitcnt lgkmcnt(0)
	v_mul_f64 v[25:26], v[13:14], v[31:32]
	v_mul_f64 v[27:28], v[11:12], v[31:32]
	v_fma_f64 v[11:12], v[29:30], v[11:12], -v[25:26]
	v_fma_f64 v[13:14], v[29:30], v[13:14], v[27:28]
	ds_write_b128 v35, v[11:14] offset:11072
	ds_write_b128 v35, v[11:14] offset:10576
.LBB89_190:
	s_or_b64 exec, exec, s[12:13]
	v_mov_b32_e32 v13, 0
	v_mov_b32_e32 v11, 0
	;; [unrolled: 1-line block ×4, first 2 shown]
	s_waitcnt lgkmcnt(0)
	s_barrier
	buffer_wbinvl1_vol
	s_and_saveexec_b64 s[14:15], s[16:17]
	s_cbranch_execz .LBB89_196
; %bb.191:
	v_lshlrev_b32_e32 v26, 9, v20
	v_lshlrev_b32_e32 v25, 4, v19
	ds_read_b128 v[11:14], v26 offset:10560
	ds_read_b128 v[27:30], v25 offset:10496
	v_cmp_gt_u32_e64 s[12:13], 12, v18
	s_waitcnt lgkmcnt(0)
	v_mul_f64 v[31:32], v[13:14], v[29:30]
	v_mul_f64 v[29:30], v[11:12], v[29:30]
	v_fma_f64 v[11:12], v[11:12], v[27:28], -v[31:32]
	v_fma_f64 v[13:14], v[13:14], v[27:28], v[29:30]
	v_add_f64 v[11:12], v[11:12], 0
	v_add_f64 v[13:14], v[13:14], 0
	s_and_saveexec_b64 s[18:19], s[12:13]
	s_cbranch_execnz .LBB89_559
; %bb.192:
	s_or_b64 exec, exec, s[18:19]
	v_cmp_gt_u32_e64 s[12:13], 8, v18
	s_and_saveexec_b64 s[18:19], s[12:13]
	s_cbranch_execnz .LBB89_560
.LBB89_193:
	s_or_b64 exec, exec, s[18:19]
	v_cmp_gt_u32_e64 s[12:13], 4, v18
	s_and_saveexec_b64 s[18:19], s[12:13]
	s_cbranch_execz .LBB89_195
.LBB89_194:
	v_lshlrev_b32_e32 v29, 4, v0
	v_mov_b32_e32 v25, 0
	ds_read_b128 v[25:28], v25 offset:12144
	ds_read_b128 v[29:32], v29 offset:12032
	s_waitcnt lgkmcnt(0)
	v_mul_f64 v[33:34], v[27:28], v[31:32]
	v_mul_f64 v[31:32], v[25:26], v[31:32]
	v_fma_f64 v[25:26], v[25:26], v[29:30], -v[33:34]
	v_fma_f64 v[27:28], v[27:28], v[29:30], v[31:32]
	v_add_f64 v[11:12], v[11:12], v[25:26]
	v_add_f64 v[13:14], v[13:14], v[27:28]
.LBB89_195:
	s_or_b64 exec, exec, s[18:19]
.LBB89_196:
	s_or_b64 exec, exec, s[14:15]
	s_and_saveexec_b64 s[12:13], s[44:45]
	s_cbranch_execz .LBB89_198
; %bb.197:
	v_mov_b32_e32 v25, 0
	ds_read_b128 v[25:28], v25 offset:10032
	s_waitcnt lgkmcnt(0)
	v_mul_f64 v[29:30], v[13:14], v[27:28]
	v_mul_f64 v[27:28], v[11:12], v[27:28]
	v_fma_f64 v[11:12], v[11:12], v[25:26], -v[29:30]
	v_fma_f64 v[13:14], v[13:14], v[25:26], v[27:28]
	v_xor_b32_e32 v26, 0x80000000, v12
	v_xor_b32_e32 v28, 0x80000000, v14
	v_mov_b32_e32 v25, v11
	v_mov_b32_e32 v27, v13
	ds_write_b128 v21, v[25:28]
.LBB89_198:
	s_or_b64 exec, exec, s[12:13]
	s_waitcnt lgkmcnt(0)
	s_barrier
	s_and_saveexec_b64 s[12:13], s[46:47]
	s_cbranch_execz .LBB89_200
; %bb.199:
	v_lshlrev_b32_e32 v29, 4, v19
	ds_read_b128 v[25:28], v21
	ds_read_b128 v[29:32], v29 offset:9984
	s_waitcnt lgkmcnt(0)
	v_mul_f64 v[33:34], v[27:28], v[31:32]
	v_mul_f64 v[31:32], v[25:26], v[31:32]
	v_fma_f64 v[25:26], v[25:26], v[29:30], -v[33:34]
	v_fma_f64 v[27:28], v[27:28], v[29:30], v[31:32]
	v_add_f64 v[11:12], v[11:12], -v[25:26]
	v_add_f64 v[13:14], v[13:14], -v[27:28]
.LBB89_200:
	s_or_b64 exec, exec, s[12:13]
	s_barrier
	s_and_saveexec_b64 s[12:13], s[48:49]
	s_cbranch_execz .LBB89_202
; %bb.201:
	v_mov_b32_e32 v25, 0
	ds_read_b128 v[25:28], v25 offset:9504
	s_waitcnt lgkmcnt(0)
	v_mul_f64 v[29:30], v[13:14], v[27:28]
	v_mul_f64 v[27:28], v[11:12], v[27:28]
	v_fma_f64 v[11:12], v[11:12], v[25:26], -v[29:30]
	v_fma_f64 v[13:14], v[13:14], v[25:26], v[27:28]
	v_xor_b32_e32 v26, 0x80000000, v12
	v_xor_b32_e32 v28, 0x80000000, v14
	v_mov_b32_e32 v25, v11
	v_mov_b32_e32 v27, v13
	ds_write_b128 v21, v[25:28]
.LBB89_202:
	s_or_b64 exec, exec, s[12:13]
	s_waitcnt lgkmcnt(0)
	s_barrier
	s_and_saveexec_b64 s[12:13], s[50:51]
	s_cbranch_execz .LBB89_204
; %bb.203:
	v_lshlrev_b32_e32 v29, 4, v19
	ds_read_b128 v[25:28], v21
	ds_read_b128 v[29:32], v29 offset:9472
	s_waitcnt lgkmcnt(0)
	v_mul_f64 v[33:34], v[27:28], v[31:32]
	v_mul_f64 v[31:32], v[25:26], v[31:32]
	v_fma_f64 v[25:26], v[25:26], v[29:30], -v[33:34]
	v_fma_f64 v[27:28], v[27:28], v[29:30], v[31:32]
	v_add_f64 v[11:12], v[11:12], -v[25:26]
	v_add_f64 v[13:14], v[13:14], -v[27:28]
.LBB89_204:
	s_or_b64 exec, exec, s[12:13]
	s_barrier
	s_and_saveexec_b64 s[12:13], s[52:53]
	s_cbranch_execz .LBB89_206
; %bb.205:
	v_mov_b32_e32 v25, 0
	ds_read_b128 v[25:28], v25 offset:8976
	s_waitcnt lgkmcnt(0)
	v_mul_f64 v[29:30], v[13:14], v[27:28]
	v_mul_f64 v[27:28], v[11:12], v[27:28]
	v_fma_f64 v[11:12], v[11:12], v[25:26], -v[29:30]
	v_fma_f64 v[13:14], v[13:14], v[25:26], v[27:28]
	v_xor_b32_e32 v26, 0x80000000, v12
	v_xor_b32_e32 v28, 0x80000000, v14
	v_mov_b32_e32 v25, v11
	v_mov_b32_e32 v27, v13
	ds_write_b128 v21, v[25:28]
.LBB89_206:
	s_or_b64 exec, exec, s[12:13]
	s_waitcnt lgkmcnt(0)
	s_barrier
	s_and_saveexec_b64 s[12:13], s[42:43]
	s_cbranch_execz .LBB89_208
; %bb.207:
	v_mov_b32_e32 v29, 0
	ds_read_b128 v[25:28], v21
	ds_read_b128 v[29:32], v29 offset:8960
	s_waitcnt lgkmcnt(0)
	v_mul_f64 v[33:34], v[27:28], v[31:32]
	v_mul_f64 v[31:32], v[25:26], v[31:32]
	v_fma_f64 v[25:26], v[25:26], v[29:30], -v[33:34]
	v_fma_f64 v[27:28], v[27:28], v[29:30], v[31:32]
	v_add_f64 v[11:12], v[11:12], -v[25:26]
	v_add_f64 v[13:14], v[13:14], -v[27:28]
.LBB89_208:
	s_or_b64 exec, exec, s[12:13]
	s_barrier
	s_and_saveexec_b64 s[12:13], s[42:43]
	s_cbranch_execz .LBB89_210
; %bb.209:
	v_mov_b32_e32 v25, 0
	ds_read_b128 v[25:28], v25 offset:8448
	s_waitcnt lgkmcnt(0)
	v_mul_f64 v[29:30], v[13:14], v[27:28]
	v_mul_f64 v[27:28], v[11:12], v[27:28]
	v_fma_f64 v[11:12], v[11:12], v[25:26], -v[29:30]
	v_fma_f64 v[13:14], v[13:14], v[25:26], v[27:28]
	v_xor_b32_e32 v26, 0x80000000, v12
	v_xor_b32_e32 v28, 0x80000000, v14
	v_mov_b32_e32 v25, v11
	v_mov_b32_e32 v27, v13
	ds_write_b128 v21, v[25:28]
.LBB89_210:
	s_or_b64 exec, exec, s[12:13]
	s_waitcnt lgkmcnt(0)
	s_barrier
	s_barrier
	s_and_saveexec_b64 s[12:13], s[16:17]
; %bb.211:
	v_lshlrev_b32_e32 v25, 4, v19
	v_lshl_or_b32 v25, v20, 9, v25
	ds_write_b128 v25, v[11:14] offset:10496
; %bb.212:
	s_or_b64 exec, exec, s[12:13]
	s_waitcnt lgkmcnt(0)
	s_barrier
	s_barrier
	s_and_saveexec_b64 s[12:13], s[54:55]
	s_cbranch_execz .LBB89_214
; %bb.213:
	v_lshlrev_b32_e32 v25, 4, v0
	s_movk_i32 s14, 0x1f0
	v_mad_u32_u24 v26, v0, s14, v25
	ds_read_b128 v[11:14], v26 offset:10496
	s_waitcnt lgkmcnt(0)
	ds_write_b128 v25, v[11:14] offset:8512
	ds_read_b128 v[11:14], v26 offset:10512
	s_waitcnt lgkmcnt(0)
	ds_write_b128 v25, v[11:14] offset:9024
	;; [unrolled: 3-line block ×4, first 2 shown]
.LBB89_214:
	s_or_b64 exec, exec, s[12:13]
	s_waitcnt lgkmcnt(0)
	s_barrier
	s_and_saveexec_b64 s[12:13], vcc
	s_cbranch_execz .LBB89_216
; %bb.215:
	v_mov_b32_e32 v35, 0
	ds_read_b128 v[11:14], v35 offset:10032
	ds_read_b128 v[25:28], v35 offset:9504
	;; [unrolled: 1-line block ×3, first 2 shown]
	s_waitcnt lgkmcnt(1)
	v_mul_f64 v[33:34], v[11:12], v[27:28]
	v_mul_f64 v[27:28], v[13:14], v[27:28]
	v_fma_f64 v[13:14], v[13:14], v[25:26], v[33:34]
	v_fma_f64 v[11:12], v[11:12], v[25:26], -v[27:28]
	s_waitcnt lgkmcnt(0)
	v_mul_f64 v[25:26], v[13:14], v[31:32]
	v_mul_f64 v[27:28], v[11:12], v[31:32]
	v_fma_f64 v[11:12], v[29:30], v[11:12], -v[25:26]
	v_fma_f64 v[13:14], v[29:30], v[13:14], v[27:28]
	ds_write_b128 v35, v[11:14] offset:10016
	ds_write_b128 v35, v[11:14] offset:9520
.LBB89_216:
	s_or_b64 exec, exec, s[12:13]
	v_mov_b32_e32 v11, 0
	v_mov_b32_e32 v13, 0
	;; [unrolled: 1-line block ×4, first 2 shown]
	s_waitcnt lgkmcnt(0)
	s_barrier
	buffer_wbinvl1_vol
	s_and_saveexec_b64 s[14:15], s[2:3]
	s_cbranch_execz .LBB89_220
; %bb.217:
	v_lshlrev_b32_e32 v25, 4, v15
	v_lshlrev_b32_e32 v11, 9, v16
	ds_read_b128 v[11:14], v11 offset:9504
	ds_read_b128 v[25:28], v25 offset:9472
	v_cmp_gt_u32_e64 s[12:13], 2, v18
	s_waitcnt lgkmcnt(0)
	v_mul_f64 v[29:30], v[13:14], v[27:28]
	v_mul_f64 v[27:28], v[11:12], v[27:28]
	v_fma_f64 v[11:12], v[11:12], v[25:26], -v[29:30]
	v_fma_f64 v[13:14], v[13:14], v[25:26], v[27:28]
	v_add_f64 v[11:12], v[11:12], 0
	v_add_f64 v[13:14], v[13:14], 0
	s_and_saveexec_b64 s[18:19], s[12:13]
	s_cbranch_execz .LBB89_219
; %bb.218:
	v_lshlrev_b32_e32 v29, 4, v0
	v_mov_b32_e32 v25, 0
	ds_read_b128 v[25:28], v25 offset:10032
	ds_read_b128 v[29:32], v29 offset:9984
	s_waitcnt lgkmcnt(0)
	v_mul_f64 v[33:34], v[27:28], v[31:32]
	v_mul_f64 v[31:32], v[25:26], v[31:32]
	v_fma_f64 v[25:26], v[25:26], v[29:30], -v[33:34]
	v_fma_f64 v[27:28], v[27:28], v[29:30], v[31:32]
	v_add_f64 v[11:12], v[11:12], v[25:26]
	v_add_f64 v[13:14], v[13:14], v[27:28]
.LBB89_219:
	s_or_b64 exec, exec, s[18:19]
.LBB89_220:
	s_or_b64 exec, exec, s[14:15]
	s_and_saveexec_b64 s[12:13], s[38:39]
	s_cbranch_execz .LBB89_222
; %bb.221:
	v_mov_b32_e32 v25, 0
	ds_read_b128 v[25:28], v25 offset:8976
	s_waitcnt lgkmcnt(0)
	v_mul_f64 v[29:30], v[13:14], v[27:28]
	v_mul_f64 v[27:28], v[11:12], v[27:28]
	v_fma_f64 v[11:12], v[11:12], v[25:26], -v[29:30]
	v_fma_f64 v[13:14], v[13:14], v[25:26], v[27:28]
	v_xor_b32_e32 v26, 0x80000000, v12
	v_xor_b32_e32 v28, 0x80000000, v14
	v_mov_b32_e32 v25, v11
	v_mov_b32_e32 v27, v13
	ds_write_b128 v17, v[25:28]
.LBB89_222:
	s_or_b64 exec, exec, s[12:13]
	s_waitcnt lgkmcnt(0)
	s_barrier
	s_and_saveexec_b64 s[12:13], s[36:37]
	s_cbranch_execz .LBB89_224
; %bb.223:
	v_mov_b32_e32 v29, 0
	ds_read_b128 v[25:28], v17
	ds_read_b128 v[29:32], v29 offset:8960
	s_waitcnt lgkmcnt(0)
	v_mul_f64 v[33:34], v[27:28], v[31:32]
	v_mul_f64 v[31:32], v[25:26], v[31:32]
	v_fma_f64 v[25:26], v[25:26], v[29:30], -v[33:34]
	v_fma_f64 v[27:28], v[27:28], v[29:30], v[31:32]
	v_add_f64 v[11:12], v[11:12], -v[25:26]
	v_add_f64 v[13:14], v[13:14], -v[27:28]
.LBB89_224:
	s_or_b64 exec, exec, s[12:13]
	s_barrier
	s_and_saveexec_b64 s[12:13], s[36:37]
	s_cbranch_execz .LBB89_226
; %bb.225:
	v_mov_b32_e32 v25, 0
	ds_read_b128 v[25:28], v25 offset:8448
	s_waitcnt lgkmcnt(0)
	v_mul_f64 v[29:30], v[13:14], v[27:28]
	v_mul_f64 v[27:28], v[11:12], v[27:28]
	v_fma_f64 v[11:12], v[11:12], v[25:26], -v[29:30]
	v_fma_f64 v[13:14], v[13:14], v[25:26], v[27:28]
	v_xor_b32_e32 v26, 0x80000000, v12
	v_xor_b32_e32 v28, 0x80000000, v14
	v_mov_b32_e32 v25, v11
	v_mov_b32_e32 v27, v13
	ds_write_b128 v17, v[25:28]
.LBB89_226:
	s_or_b64 exec, exec, s[12:13]
	s_waitcnt lgkmcnt(0)
	s_barrier
	s_barrier
	s_and_saveexec_b64 s[12:13], s[2:3]
; %bb.227:
	v_lshlrev_b32_e32 v25, 4, v15
	v_lshl_or_b32 v25, v16, 9, v25
	ds_write_b128 v25, v[11:14] offset:9472
; %bb.228:
	s_or_b64 exec, exec, s[12:13]
	s_waitcnt lgkmcnt(0)
	s_barrier
	s_barrier
	s_and_saveexec_b64 s[12:13], s[40:41]
	s_cbranch_execz .LBB89_230
; %bb.229:
	v_lshlrev_b32_e32 v25, 9, v0
	ds_read_b128 v[11:14], v25 offset:9472
	s_movk_i32 s14, 0xfe10
	v_mad_i32_i24 v26, v0, s14, v25
	s_waitcnt lgkmcnt(0)
	ds_write_b128 v26, v[11:14] offset:8480
	ds_read_b128 v[11:14], v25 offset:9488
	s_waitcnt lgkmcnt(0)
	ds_write_b128 v26, v[11:14] offset:8992
.LBB89_230:
	s_or_b64 exec, exec, s[12:13]
	s_waitcnt lgkmcnt(0)
	s_barrier
	s_and_saveexec_b64 s[12:13], vcc
	s_cbranch_execz .LBB89_232
; %bb.231:
	v_mov_b32_e32 v35, 0
	ds_read_b128 v[11:14], v35 offset:8976
	ds_read_b128 v[25:28], v35 offset:8448
	;; [unrolled: 1-line block ×3, first 2 shown]
	s_waitcnt lgkmcnt(1)
	v_mul_f64 v[33:34], v[11:12], v[27:28]
	v_mul_f64 v[27:28], v[13:14], v[27:28]
	v_fma_f64 v[13:14], v[13:14], v[25:26], v[33:34]
	v_fma_f64 v[11:12], v[11:12], v[25:26], -v[27:28]
	s_waitcnt lgkmcnt(0)
	v_mul_f64 v[25:26], v[13:14], v[31:32]
	v_mul_f64 v[27:28], v[11:12], v[31:32]
	v_fma_f64 v[11:12], v[29:30], v[11:12], -v[25:26]
	v_fma_f64 v[13:14], v[29:30], v[13:14], v[27:28]
	ds_write_b128 v35, v[11:14] offset:8960
	ds_write_b128 v35, v[11:14] offset:8464
.LBB89_232:
	s_or_b64 exec, exec, s[12:13]
	s_movk_i32 s12, 0xff
	v_lshrrev_b32_e32 v27, 4, v18
	v_cmp_lt_u32_e64 s[14:15], s12, v18
	s_movk_i32 s12, 0x100
	v_mov_b32_e32 v13, 0
	v_mov_b32_e32 v11, 0
	v_and_b32_e32 v25, 15, v0
	v_sub_u32_e32 v26, 15, v27
	v_mov_b32_e32 v14, 0
	v_mov_b32_e32 v12, 0
	v_cmp_gt_u32_e64 s[12:13], s12, v18
	s_waitcnt lgkmcnt(0)
	s_barrier
	buffer_wbinvl1_vol
	s_and_saveexec_b64 s[86:87], s[12:13]
	s_cbranch_execz .LBB89_260
; %bb.233:
	v_lshlrev_b32_e32 v29, 9, v26
	v_lshlrev_b32_e32 v28, 4, v25
	ds_read_b128 v[11:14], v29 offset:8448
	ds_read_b128 v[30:33], v28 offset:8192
	s_movk_i32 s18, 0xf0
	v_cmp_gt_u32_e64 s[18:19], s18, v18
	s_waitcnt lgkmcnt(0)
	v_mul_f64 v[34:35], v[13:14], v[32:33]
	v_mul_f64 v[32:33], v[11:12], v[32:33]
	v_fma_f64 v[11:12], v[11:12], v[30:31], -v[34:35]
	v_fma_f64 v[13:14], v[13:14], v[30:31], v[32:33]
	v_add_f64 v[11:12], v[11:12], 0
	v_add_f64 v[13:14], v[13:14], 0
	s_and_saveexec_b64 s[88:89], s[18:19]
	s_cbranch_execz .LBB89_235
; %bb.234:
	ds_read_b128 v[30:33], v29 offset:8464
	ds_read_b128 v[34:37], v28 offset:8704
	s_waitcnt lgkmcnt(0)
	v_mul_f64 v[38:39], v[32:33], v[36:37]
	v_mul_f64 v[36:37], v[30:31], v[36:37]
	v_fma_f64 v[30:31], v[30:31], v[34:35], -v[38:39]
	v_fma_f64 v[32:33], v[32:33], v[34:35], v[36:37]
	v_add_f64 v[11:12], v[11:12], v[30:31]
	v_add_f64 v[13:14], v[13:14], v[32:33]
.LBB89_235:
	s_or_b64 exec, exec, s[88:89]
	s_movk_i32 s18, 0xe0
	v_cmp_gt_u32_e64 s[18:19], s18, v18
	s_and_saveexec_b64 s[88:89], s[18:19]
	s_cbranch_execz .LBB89_237
; %bb.236:
	ds_read_b128 v[30:33], v29 offset:8480
	ds_read_b128 v[34:37], v28 offset:9216
	s_waitcnt lgkmcnt(0)
	v_mul_f64 v[38:39], v[32:33], v[36:37]
	v_mul_f64 v[36:37], v[30:31], v[36:37]
	v_fma_f64 v[30:31], v[30:31], v[34:35], -v[38:39]
	v_fma_f64 v[32:33], v[32:33], v[34:35], v[36:37]
	v_add_f64 v[11:12], v[11:12], v[30:31]
	v_add_f64 v[13:14], v[13:14], v[32:33]
.LBB89_237:
	s_or_b64 exec, exec, s[88:89]
	s_movk_i32 s18, 0xd0
	v_cmp_gt_u32_e64 s[18:19], s18, v18
	;; [unrolled: 16-line block ×10, first 2 shown]
	s_and_saveexec_b64 s[88:89], s[18:19]
	s_cbranch_execnz .LBB89_561
; %bb.254:
	s_or_b64 exec, exec, s[88:89]
	s_and_saveexec_b64 s[18:19], s[8:9]
	s_cbranch_execnz .LBB89_562
.LBB89_255:
	s_or_b64 exec, exec, s[18:19]
	v_cmp_gt_u32_e64 s[18:19], 48, v18
	s_and_saveexec_b64 s[88:89], s[18:19]
	s_cbranch_execnz .LBB89_563
.LBB89_256:
	s_or_b64 exec, exec, s[88:89]
	v_cmp_gt_u32_e64 s[18:19], 32, v18
	s_and_saveexec_b64 s[88:89], s[18:19]
	s_cbranch_execnz .LBB89_564
.LBB89_257:
	s_or_b64 exec, exec, s[88:89]
	v_cmp_gt_u32_e64 s[18:19], 16, v18
	s_and_saveexec_b64 s[88:89], s[18:19]
	s_cbranch_execz .LBB89_259
.LBB89_258:
	v_lshlrev_b32_e32 v32, 4, v0
	v_mov_b32_e32 v28, 0
	ds_read_b128 v[28:31], v28 offset:16368
	ds_read_b128 v[32:35], v32 offset:15872
	s_waitcnt lgkmcnt(0)
	v_mul_f64 v[36:37], v[30:31], v[34:35]
	v_mul_f64 v[34:35], v[28:29], v[34:35]
	v_fma_f64 v[28:29], v[28:29], v[32:33], -v[36:37]
	v_fma_f64 v[30:31], v[30:31], v[32:33], v[34:35]
	v_add_f64 v[11:12], v[11:12], v[28:29]
	v_add_f64 v[13:14], v[13:14], v[30:31]
.LBB89_259:
	s_or_b64 exec, exec, s[88:89]
.LBB89_260:
	s_or_b64 exec, exec, s[86:87]
	v_mov_b32_e32 v28, 0x4000
	v_cmp_eq_u32_e64 s[18:19], 15, v25
	s_xor_b64 s[86:87], s[14:15], -1
	v_lshl_add_u32 v27, v27, 4, v28
	s_and_b64 s[18:19], s[18:19], s[86:87]
	s_and_saveexec_b64 s[14:15], s[18:19]
	s_cbranch_execz .LBB89_262
; %bb.261:
	v_mov_b32_e32 v28, 0
	ds_read_b128 v[28:31], v28 offset:7920
	s_waitcnt lgkmcnt(0)
	v_mul_f64 v[32:33], v[13:14], v[30:31]
	v_mul_f64 v[30:31], v[11:12], v[30:31]
	v_fma_f64 v[11:12], v[11:12], v[28:29], -v[32:33]
	v_fma_f64 v[13:14], v[13:14], v[28:29], v[30:31]
	v_xor_b32_e32 v29, 0x80000000, v12
	v_xor_b32_e32 v31, 0x80000000, v14
	v_mov_b32_e32 v28, v11
	v_mov_b32_e32 v30, v13
	ds_write_b128 v27, v[28:31]
.LBB89_262:
	s_or_b64 exec, exec, s[14:15]
	v_cmp_ne_u32_e64 s[14:15], 15, v25
	s_and_b64 s[18:19], s[14:15], s[86:87]
	s_waitcnt lgkmcnt(0)
	s_barrier
	s_and_saveexec_b64 s[14:15], s[18:19]
	s_cbranch_execz .LBB89_264
; %bb.263:
	v_lshlrev_b32_e32 v32, 4, v25
	ds_read_b128 v[28:31], v27
	ds_read_b128 v[32:35], v32 offset:7680
	s_waitcnt lgkmcnt(0)
	v_mul_f64 v[36:37], v[30:31], v[34:35]
	v_mul_f64 v[34:35], v[28:29], v[34:35]
	v_fma_f64 v[28:29], v[28:29], v[32:33], -v[36:37]
	v_fma_f64 v[30:31], v[30:31], v[32:33], v[34:35]
	v_add_f64 v[11:12], v[11:12], -v[28:29]
	v_add_f64 v[13:14], v[13:14], -v[30:31]
.LBB89_264:
	s_or_b64 exec, exec, s[14:15]
	v_cmp_eq_u32_e64 s[14:15], 14, v25
	s_and_b64 s[18:19], s[14:15], s[86:87]
	s_barrier
	s_and_saveexec_b64 s[14:15], s[18:19]
	s_cbranch_execz .LBB89_266
; %bb.265:
	v_mov_b32_e32 v28, 0
	ds_read_b128 v[28:31], v28 offset:7392
	s_waitcnt lgkmcnt(0)
	v_mul_f64 v[32:33], v[13:14], v[30:31]
	v_mul_f64 v[30:31], v[11:12], v[30:31]
	v_fma_f64 v[11:12], v[11:12], v[28:29], -v[32:33]
	v_fma_f64 v[13:14], v[13:14], v[28:29], v[30:31]
	v_xor_b32_e32 v29, 0x80000000, v12
	v_xor_b32_e32 v31, 0x80000000, v14
	v_mov_b32_e32 v28, v11
	v_mov_b32_e32 v30, v13
	ds_write_b128 v27, v[28:31]
.LBB89_266:
	s_or_b64 exec, exec, s[14:15]
	v_cmp_gt_u32_e64 s[14:15], 14, v25
	s_and_b64 s[18:19], s[14:15], s[86:87]
	s_waitcnt lgkmcnt(0)
	s_barrier
	s_and_saveexec_b64 s[14:15], s[18:19]
	s_cbranch_execz .LBB89_268
; %bb.267:
	v_lshlrev_b32_e32 v32, 4, v25
	ds_read_b128 v[28:31], v27
	ds_read_b128 v[32:35], v32 offset:7168
	s_waitcnt lgkmcnt(0)
	v_mul_f64 v[36:37], v[30:31], v[34:35]
	v_mul_f64 v[34:35], v[28:29], v[34:35]
	v_fma_f64 v[28:29], v[28:29], v[32:33], -v[36:37]
	v_fma_f64 v[30:31], v[30:31], v[32:33], v[34:35]
	v_add_f64 v[11:12], v[11:12], -v[28:29]
	v_add_f64 v[13:14], v[13:14], -v[30:31]
.LBB89_268:
	s_or_b64 exec, exec, s[14:15]
	v_cmp_eq_u32_e64 s[14:15], 13, v25
	s_and_b64 s[18:19], s[14:15], s[86:87]
	s_barrier
	s_and_saveexec_b64 s[14:15], s[18:19]
	s_cbranch_execz .LBB89_270
; %bb.269:
	v_mov_b32_e32 v28, 0
	ds_read_b128 v[28:31], v28 offset:6864
	s_waitcnt lgkmcnt(0)
	v_mul_f64 v[32:33], v[13:14], v[30:31]
	v_mul_f64 v[30:31], v[11:12], v[30:31]
	v_fma_f64 v[11:12], v[11:12], v[28:29], -v[32:33]
	v_fma_f64 v[13:14], v[13:14], v[28:29], v[30:31]
	v_xor_b32_e32 v29, 0x80000000, v12
	v_xor_b32_e32 v31, 0x80000000, v14
	v_mov_b32_e32 v28, v11
	v_mov_b32_e32 v30, v13
	ds_write_b128 v27, v[28:31]
.LBB89_270:
	s_or_b64 exec, exec, s[14:15]
	v_cmp_gt_u32_e64 s[14:15], 13, v25
	;; [unrolled: 39-line block ×13, first 2 shown]
	s_and_b64 s[18:19], s[14:15], s[86:87]
	s_waitcnt lgkmcnt(0)
	s_barrier
	s_and_saveexec_b64 s[14:15], s[18:19]
	s_cbranch_execz .LBB89_316
; %bb.315:
	v_lshlrev_b32_e32 v32, 4, v25
	ds_read_b128 v[28:31], v27
	ds_read_b128 v[32:35], v32 offset:1024
	s_waitcnt lgkmcnt(0)
	v_mul_f64 v[36:37], v[30:31], v[34:35]
	v_mul_f64 v[34:35], v[28:29], v[34:35]
	v_fma_f64 v[28:29], v[28:29], v[32:33], -v[36:37]
	v_fma_f64 v[30:31], v[30:31], v[32:33], v[34:35]
	v_add_f64 v[11:12], v[11:12], -v[28:29]
	v_add_f64 v[13:14], v[13:14], -v[30:31]
.LBB89_316:
	s_or_b64 exec, exec, s[14:15]
	v_cmp_eq_u32_e64 s[14:15], 1, v25
	s_and_b64 s[18:19], s[14:15], s[86:87]
	s_barrier
	s_and_saveexec_b64 s[14:15], s[18:19]
	s_cbranch_execz .LBB89_318
; %bb.317:
	v_mov_b32_e32 v28, 0
	ds_read_b128 v[28:31], v28 offset:528
	s_waitcnt lgkmcnt(0)
	v_mul_f64 v[32:33], v[13:14], v[30:31]
	v_mul_f64 v[30:31], v[11:12], v[30:31]
	v_fma_f64 v[11:12], v[11:12], v[28:29], -v[32:33]
	v_fma_f64 v[13:14], v[13:14], v[28:29], v[30:31]
	v_xor_b32_e32 v29, 0x80000000, v12
	v_xor_b32_e32 v31, 0x80000000, v14
	v_mov_b32_e32 v28, v11
	v_mov_b32_e32 v30, v13
	ds_write_b128 v27, v[28:31]
.LBB89_318:
	s_or_b64 exec, exec, s[14:15]
	v_cmp_eq_u32_e64 s[14:15], 0, v25
	s_and_b64 s[14:15], s[14:15], s[86:87]
	s_waitcnt lgkmcnt(0)
	s_barrier
	s_and_saveexec_b64 s[18:19], s[14:15]
	s_cbranch_execz .LBB89_320
; %bb.319:
	v_mov_b32_e32 v32, 0
	ds_read_b128 v[28:31], v27
	ds_read_b128 v[32:35], v32 offset:512
	s_waitcnt lgkmcnt(0)
	v_mul_f64 v[36:37], v[30:31], v[34:35]
	v_mul_f64 v[34:35], v[28:29], v[34:35]
	v_fma_f64 v[28:29], v[28:29], v[32:33], -v[36:37]
	v_fma_f64 v[30:31], v[30:31], v[32:33], v[34:35]
	v_add_f64 v[11:12], v[11:12], -v[28:29]
	v_add_f64 v[13:14], v[13:14], -v[30:31]
.LBB89_320:
	s_or_b64 exec, exec, s[18:19]
	s_barrier
	s_and_saveexec_b64 s[18:19], s[14:15]
	s_cbranch_execz .LBB89_322
; %bb.321:
	v_mov_b32_e32 v28, 0
	ds_read_b128 v[28:31], v28
	s_waitcnt lgkmcnt(0)
	v_mul_f64 v[32:33], v[13:14], v[30:31]
	v_mul_f64 v[30:31], v[11:12], v[30:31]
	v_fma_f64 v[11:12], v[11:12], v[28:29], -v[32:33]
	v_fma_f64 v[13:14], v[13:14], v[28:29], v[30:31]
	v_xor_b32_e32 v29, 0x80000000, v12
	v_xor_b32_e32 v31, 0x80000000, v14
	v_mov_b32_e32 v28, v11
	v_mov_b32_e32 v30, v13
	ds_write_b128 v27, v[28:31]
.LBB89_322:
	s_or_b64 exec, exec, s[18:19]
	s_waitcnt lgkmcnt(0)
	s_barrier
	s_barrier
	s_and_saveexec_b64 s[14:15], s[12:13]
; %bb.323:
	v_lshlrev_b32_e32 v25, 4, v25
	v_lshl_or_b32 v25, v26, 9, v25
	ds_write_b128 v25, v[11:14] offset:8192
; %bb.324:
	s_or_b64 exec, exec, s[14:15]
	v_cmp_gt_u32_e64 s[12:13], 16, v0
	s_and_b64 s[12:13], s[10:11], s[12:13]
	s_waitcnt lgkmcnt(0)
	s_barrier
	s_barrier
	s_and_saveexec_b64 s[10:11], s[12:13]
	s_cbranch_execz .LBB89_326
; %bb.325:
	v_lshlrev_b32_e32 v25, 9, v0
	ds_read_b128 v[11:14], v25 offset:8192
	s_movk_i32 s12, 0xfe10
	v_mad_i32_i24 v26, v0, s12, v25
	s_waitcnt lgkmcnt(0)
	ds_write_b128 v26, v[11:14] offset:256
	ds_read_b128 v[11:14], v25 offset:8208
	s_waitcnt lgkmcnt(0)
	ds_write_b128 v26, v[11:14] offset:768
	ds_read_b128 v[11:14], v25 offset:8224
	;; [unrolled: 3-line block ×15, first 2 shown]
	s_waitcnt lgkmcnt(0)
	ds_write_b128 v26, v[11:14] offset:7936
.LBB89_326:
	s_or_b64 exec, exec, s[10:11]
	s_waitcnt lgkmcnt(0)
	s_barrier
	s_and_saveexec_b64 s[10:11], vcc
	s_cbranch_execz .LBB89_328
; %bb.327:
	v_mov_b32_e32 v35, 0
	ds_read_b128 v[11:14], v35 offset:7920
	ds_read_b128 v[25:28], v35 offset:7392
	;; [unrolled: 1-line block ×3, first 2 shown]
	s_waitcnt lgkmcnt(1)
	v_mul_f64 v[33:34], v[11:12], v[27:28]
	v_mul_f64 v[27:28], v[13:14], v[27:28]
	v_fma_f64 v[13:14], v[13:14], v[25:26], v[33:34]
	v_fma_f64 v[11:12], v[11:12], v[25:26], -v[27:28]
	s_waitcnt lgkmcnt(0)
	v_mul_f64 v[25:26], v[13:14], v[31:32]
	v_mul_f64 v[27:28], v[11:12], v[31:32]
	v_fma_f64 v[11:12], v[29:30], v[11:12], -v[25:26]
	v_fma_f64 v[13:14], v[29:30], v[13:14], v[27:28]
	ds_write_b128 v35, v[11:14] offset:7904
	ds_write_b128 v35, v[11:14] offset:7408
.LBB89_328:
	s_or_b64 exec, exec, s[10:11]
	v_mov_b32_e32 v11, 0
	v_mov_b32_e32 v13, 0
	;; [unrolled: 1-line block ×4, first 2 shown]
	s_waitcnt lgkmcnt(0)
	s_barrier
	buffer_wbinvl1_vol
	s_and_saveexec_b64 s[12:13], s[2:3]
	s_cbranch_execz .LBB89_332
; %bb.329:
	v_lshlrev_b32_e32 v25, 4, v15
	v_lshlrev_b32_e32 v11, 9, v16
	ds_read_b128 v[11:14], v11 offset:7392
	ds_read_b128 v[25:28], v25 offset:7360
	v_cmp_gt_u32_e64 s[10:11], 2, v18
	s_waitcnt lgkmcnt(0)
	v_mul_f64 v[29:30], v[13:14], v[27:28]
	v_mul_f64 v[27:28], v[11:12], v[27:28]
	v_fma_f64 v[11:12], v[11:12], v[25:26], -v[29:30]
	v_fma_f64 v[13:14], v[13:14], v[25:26], v[27:28]
	v_add_f64 v[11:12], v[11:12], 0
	v_add_f64 v[13:14], v[13:14], 0
	s_and_saveexec_b64 s[14:15], s[10:11]
	s_cbranch_execz .LBB89_331
; %bb.330:
	v_lshlrev_b32_e32 v29, 4, v0
	v_mov_b32_e32 v25, 0
	ds_read_b128 v[25:28], v25 offset:7920
	ds_read_b128 v[29:32], v29 offset:7872
	s_waitcnt lgkmcnt(0)
	v_mul_f64 v[33:34], v[27:28], v[31:32]
	v_mul_f64 v[31:32], v[25:26], v[31:32]
	v_fma_f64 v[25:26], v[25:26], v[29:30], -v[33:34]
	v_fma_f64 v[27:28], v[27:28], v[29:30], v[31:32]
	v_add_f64 v[11:12], v[11:12], v[25:26]
	v_add_f64 v[13:14], v[13:14], v[27:28]
.LBB89_331:
	s_or_b64 exec, exec, s[14:15]
.LBB89_332:
	s_or_b64 exec, exec, s[12:13]
	s_and_saveexec_b64 s[10:11], s[38:39]
	s_cbranch_execz .LBB89_334
; %bb.333:
	v_mov_b32_e32 v25, 0
	ds_read_b128 v[25:28], v25 offset:6864
	s_waitcnt lgkmcnt(0)
	v_mul_f64 v[29:30], v[13:14], v[27:28]
	v_mul_f64 v[27:28], v[11:12], v[27:28]
	v_fma_f64 v[11:12], v[11:12], v[25:26], -v[29:30]
	v_fma_f64 v[13:14], v[13:14], v[25:26], v[27:28]
	v_xor_b32_e32 v26, 0x80000000, v12
	v_xor_b32_e32 v28, 0x80000000, v14
	v_mov_b32_e32 v25, v11
	v_mov_b32_e32 v27, v13
	ds_write_b128 v17, v[25:28]
.LBB89_334:
	s_or_b64 exec, exec, s[10:11]
	s_waitcnt lgkmcnt(0)
	s_barrier
	s_and_saveexec_b64 s[10:11], s[36:37]
	s_cbranch_execz .LBB89_336
; %bb.335:
	v_mov_b32_e32 v29, 0
	ds_read_b128 v[25:28], v17
	ds_read_b128 v[29:32], v29 offset:6848
	s_waitcnt lgkmcnt(0)
	v_mul_f64 v[33:34], v[27:28], v[31:32]
	v_mul_f64 v[31:32], v[25:26], v[31:32]
	v_fma_f64 v[25:26], v[25:26], v[29:30], -v[33:34]
	v_fma_f64 v[27:28], v[27:28], v[29:30], v[31:32]
	v_add_f64 v[11:12], v[11:12], -v[25:26]
	v_add_f64 v[13:14], v[13:14], -v[27:28]
.LBB89_336:
	s_or_b64 exec, exec, s[10:11]
	s_barrier
	s_and_saveexec_b64 s[10:11], s[36:37]
	s_cbranch_execz .LBB89_338
; %bb.337:
	v_mov_b32_e32 v25, 0
	ds_read_b128 v[25:28], v25 offset:6336
	s_waitcnt lgkmcnt(0)
	v_mul_f64 v[29:30], v[13:14], v[27:28]
	v_mul_f64 v[27:28], v[11:12], v[27:28]
	v_fma_f64 v[11:12], v[11:12], v[25:26], -v[29:30]
	v_fma_f64 v[13:14], v[13:14], v[25:26], v[27:28]
	v_xor_b32_e32 v26, 0x80000000, v12
	v_xor_b32_e32 v28, 0x80000000, v14
	v_mov_b32_e32 v25, v11
	v_mov_b32_e32 v27, v13
	ds_write_b128 v17, v[25:28]
.LBB89_338:
	s_or_b64 exec, exec, s[10:11]
	s_waitcnt lgkmcnt(0)
	s_barrier
	s_barrier
	s_and_saveexec_b64 s[10:11], s[2:3]
; %bb.339:
	v_lshlrev_b32_e32 v25, 4, v15
	v_lshl_or_b32 v25, v16, 9, v25
	ds_write_b128 v25, v[11:14] offset:7360
; %bb.340:
	s_or_b64 exec, exec, s[10:11]
	s_waitcnt lgkmcnt(0)
	s_barrier
	s_barrier
	s_and_saveexec_b64 s[10:11], s[40:41]
	s_cbranch_execz .LBB89_342
; %bb.341:
	v_lshlrev_b32_e32 v25, 9, v0
	ds_read_b128 v[11:14], v25 offset:7360
	s_movk_i32 s12, 0xfe10
	v_mad_i32_i24 v26, v0, s12, v25
	s_waitcnt lgkmcnt(0)
	ds_write_b128 v26, v[11:14] offset:6368
	ds_read_b128 v[11:14], v25 offset:7376
	s_waitcnt lgkmcnt(0)
	ds_write_b128 v26, v[11:14] offset:6880
.LBB89_342:
	s_or_b64 exec, exec, s[10:11]
	s_waitcnt lgkmcnt(0)
	s_barrier
	s_and_saveexec_b64 s[10:11], vcc
	s_cbranch_execz .LBB89_344
; %bb.343:
	v_mov_b32_e32 v35, 0
	ds_read_b128 v[11:14], v35 offset:6864
	ds_read_b128 v[25:28], v35 offset:6336
	;; [unrolled: 1-line block ×3, first 2 shown]
	s_waitcnt lgkmcnt(1)
	v_mul_f64 v[33:34], v[11:12], v[27:28]
	v_mul_f64 v[27:28], v[13:14], v[27:28]
	v_fma_f64 v[13:14], v[13:14], v[25:26], v[33:34]
	v_fma_f64 v[11:12], v[11:12], v[25:26], -v[27:28]
	s_waitcnt lgkmcnt(0)
	v_mul_f64 v[25:26], v[13:14], v[31:32]
	v_mul_f64 v[27:28], v[11:12], v[31:32]
	v_fma_f64 v[11:12], v[29:30], v[11:12], -v[25:26]
	v_fma_f64 v[13:14], v[29:30], v[13:14], v[27:28]
	ds_write_b128 v35, v[11:14] offset:6848
	ds_write_b128 v35, v[11:14] offset:6352
.LBB89_344:
	s_or_b64 exec, exec, s[10:11]
	v_mov_b32_e32 v13, 0
	v_mov_b32_e32 v11, 0
	;; [unrolled: 1-line block ×4, first 2 shown]
	s_waitcnt lgkmcnt(0)
	s_barrier
	buffer_wbinvl1_vol
	s_and_saveexec_b64 s[12:13], s[16:17]
	s_cbranch_execz .LBB89_350
; %bb.345:
	v_lshlrev_b32_e32 v26, 9, v20
	v_lshlrev_b32_e32 v25, 4, v19
	ds_read_b128 v[11:14], v26 offset:6336
	ds_read_b128 v[27:30], v25 offset:6272
	v_cmp_gt_u32_e64 s[10:11], 12, v18
	s_waitcnt lgkmcnt(0)
	v_mul_f64 v[31:32], v[13:14], v[29:30]
	v_mul_f64 v[29:30], v[11:12], v[29:30]
	v_fma_f64 v[11:12], v[11:12], v[27:28], -v[31:32]
	v_fma_f64 v[13:14], v[13:14], v[27:28], v[29:30]
	v_add_f64 v[11:12], v[11:12], 0
	v_add_f64 v[13:14], v[13:14], 0
	s_and_saveexec_b64 s[14:15], s[10:11]
	s_cbranch_execnz .LBB89_565
; %bb.346:
	s_or_b64 exec, exec, s[14:15]
	v_cmp_gt_u32_e64 s[10:11], 8, v18
	s_and_saveexec_b64 s[14:15], s[10:11]
	s_cbranch_execnz .LBB89_566
.LBB89_347:
	s_or_b64 exec, exec, s[14:15]
	v_cmp_gt_u32_e64 s[10:11], 4, v18
	s_and_saveexec_b64 s[14:15], s[10:11]
	s_cbranch_execz .LBB89_349
.LBB89_348:
	v_lshlrev_b32_e32 v29, 4, v0
	v_mov_b32_e32 v25, 0
	ds_read_b128 v[25:28], v25 offset:7920
	ds_read_b128 v[29:32], v29 offset:7808
	s_waitcnt lgkmcnt(0)
	v_mul_f64 v[33:34], v[27:28], v[31:32]
	v_mul_f64 v[31:32], v[25:26], v[31:32]
	v_fma_f64 v[25:26], v[25:26], v[29:30], -v[33:34]
	v_fma_f64 v[27:28], v[27:28], v[29:30], v[31:32]
	v_add_f64 v[11:12], v[11:12], v[25:26]
	v_add_f64 v[13:14], v[13:14], v[27:28]
.LBB89_349:
	s_or_b64 exec, exec, s[14:15]
.LBB89_350:
	s_or_b64 exec, exec, s[12:13]
	s_and_saveexec_b64 s[10:11], s[44:45]
	s_cbranch_execz .LBB89_352
; %bb.351:
	v_mov_b32_e32 v25, 0
	ds_read_b128 v[25:28], v25 offset:5808
	s_waitcnt lgkmcnt(0)
	v_mul_f64 v[29:30], v[13:14], v[27:28]
	v_mul_f64 v[27:28], v[11:12], v[27:28]
	v_fma_f64 v[11:12], v[11:12], v[25:26], -v[29:30]
	v_fma_f64 v[13:14], v[13:14], v[25:26], v[27:28]
	v_xor_b32_e32 v26, 0x80000000, v12
	v_xor_b32_e32 v28, 0x80000000, v14
	v_mov_b32_e32 v25, v11
	v_mov_b32_e32 v27, v13
	ds_write_b128 v21, v[25:28]
.LBB89_352:
	s_or_b64 exec, exec, s[10:11]
	s_waitcnt lgkmcnt(0)
	s_barrier
	s_and_saveexec_b64 s[10:11], s[46:47]
	s_cbranch_execz .LBB89_354
; %bb.353:
	v_lshlrev_b32_e32 v29, 4, v19
	ds_read_b128 v[25:28], v21
	ds_read_b128 v[29:32], v29 offset:5760
	s_waitcnt lgkmcnt(0)
	v_mul_f64 v[33:34], v[27:28], v[31:32]
	v_mul_f64 v[31:32], v[25:26], v[31:32]
	v_fma_f64 v[25:26], v[25:26], v[29:30], -v[33:34]
	v_fma_f64 v[27:28], v[27:28], v[29:30], v[31:32]
	v_add_f64 v[11:12], v[11:12], -v[25:26]
	v_add_f64 v[13:14], v[13:14], -v[27:28]
.LBB89_354:
	s_or_b64 exec, exec, s[10:11]
	s_barrier
	s_and_saveexec_b64 s[10:11], s[48:49]
	s_cbranch_execz .LBB89_356
; %bb.355:
	v_mov_b32_e32 v25, 0
	ds_read_b128 v[25:28], v25 offset:5280
	s_waitcnt lgkmcnt(0)
	v_mul_f64 v[29:30], v[13:14], v[27:28]
	v_mul_f64 v[27:28], v[11:12], v[27:28]
	v_fma_f64 v[11:12], v[11:12], v[25:26], -v[29:30]
	v_fma_f64 v[13:14], v[13:14], v[25:26], v[27:28]
	v_xor_b32_e32 v26, 0x80000000, v12
	v_xor_b32_e32 v28, 0x80000000, v14
	v_mov_b32_e32 v25, v11
	v_mov_b32_e32 v27, v13
	ds_write_b128 v21, v[25:28]
.LBB89_356:
	s_or_b64 exec, exec, s[10:11]
	s_waitcnt lgkmcnt(0)
	s_barrier
	s_and_saveexec_b64 s[10:11], s[50:51]
	s_cbranch_execz .LBB89_358
; %bb.357:
	v_lshlrev_b32_e32 v29, 4, v19
	ds_read_b128 v[25:28], v21
	ds_read_b128 v[29:32], v29 offset:5248
	s_waitcnt lgkmcnt(0)
	v_mul_f64 v[33:34], v[27:28], v[31:32]
	v_mul_f64 v[31:32], v[25:26], v[31:32]
	v_fma_f64 v[25:26], v[25:26], v[29:30], -v[33:34]
	v_fma_f64 v[27:28], v[27:28], v[29:30], v[31:32]
	v_add_f64 v[11:12], v[11:12], -v[25:26]
	v_add_f64 v[13:14], v[13:14], -v[27:28]
.LBB89_358:
	s_or_b64 exec, exec, s[10:11]
	s_barrier
	s_and_saveexec_b64 s[10:11], s[52:53]
	s_cbranch_execz .LBB89_360
; %bb.359:
	v_mov_b32_e32 v25, 0
	ds_read_b128 v[25:28], v25 offset:4752
	s_waitcnt lgkmcnt(0)
	v_mul_f64 v[29:30], v[13:14], v[27:28]
	v_mul_f64 v[27:28], v[11:12], v[27:28]
	v_fma_f64 v[11:12], v[11:12], v[25:26], -v[29:30]
	v_fma_f64 v[13:14], v[13:14], v[25:26], v[27:28]
	v_xor_b32_e32 v26, 0x80000000, v12
	v_xor_b32_e32 v28, 0x80000000, v14
	v_mov_b32_e32 v25, v11
	v_mov_b32_e32 v27, v13
	ds_write_b128 v21, v[25:28]
.LBB89_360:
	s_or_b64 exec, exec, s[10:11]
	s_waitcnt lgkmcnt(0)
	s_barrier
	s_and_saveexec_b64 s[10:11], s[42:43]
	s_cbranch_execz .LBB89_362
; %bb.361:
	v_mov_b32_e32 v29, 0
	ds_read_b128 v[25:28], v21
	ds_read_b128 v[29:32], v29 offset:4736
	s_waitcnt lgkmcnt(0)
	v_mul_f64 v[33:34], v[27:28], v[31:32]
	v_mul_f64 v[31:32], v[25:26], v[31:32]
	v_fma_f64 v[25:26], v[25:26], v[29:30], -v[33:34]
	v_fma_f64 v[27:28], v[27:28], v[29:30], v[31:32]
	v_add_f64 v[11:12], v[11:12], -v[25:26]
	v_add_f64 v[13:14], v[13:14], -v[27:28]
.LBB89_362:
	s_or_b64 exec, exec, s[10:11]
	s_barrier
	s_and_saveexec_b64 s[10:11], s[42:43]
	s_cbranch_execz .LBB89_364
; %bb.363:
	v_mov_b32_e32 v25, 0
	ds_read_b128 v[25:28], v25 offset:4224
	s_waitcnt lgkmcnt(0)
	v_mul_f64 v[29:30], v[13:14], v[27:28]
	v_mul_f64 v[27:28], v[11:12], v[27:28]
	v_fma_f64 v[11:12], v[11:12], v[25:26], -v[29:30]
	v_fma_f64 v[13:14], v[13:14], v[25:26], v[27:28]
	v_xor_b32_e32 v26, 0x80000000, v12
	v_xor_b32_e32 v28, 0x80000000, v14
	v_mov_b32_e32 v25, v11
	v_mov_b32_e32 v27, v13
	ds_write_b128 v21, v[25:28]
.LBB89_364:
	s_or_b64 exec, exec, s[10:11]
	s_waitcnt lgkmcnt(0)
	s_barrier
	s_barrier
	s_and_saveexec_b64 s[10:11], s[16:17]
; %bb.365:
	v_lshlrev_b32_e32 v25, 4, v19
	v_lshl_or_b32 v25, v20, 9, v25
	ds_write_b128 v25, v[11:14] offset:6272
; %bb.366:
	s_or_b64 exec, exec, s[10:11]
	s_waitcnt lgkmcnt(0)
	s_barrier
	s_barrier
	s_and_saveexec_b64 s[10:11], s[54:55]
	s_cbranch_execz .LBB89_368
; %bb.367:
	v_lshlrev_b32_e32 v25, 4, v0
	s_movk_i32 s12, 0x1f0
	v_mad_u32_u24 v26, v0, s12, v25
	ds_read_b128 v[11:14], v26 offset:6272
	s_waitcnt lgkmcnt(0)
	ds_write_b128 v25, v[11:14] offset:4288
	ds_read_b128 v[11:14], v26 offset:6288
	s_waitcnt lgkmcnt(0)
	ds_write_b128 v25, v[11:14] offset:4800
	;; [unrolled: 3-line block ×4, first 2 shown]
.LBB89_368:
	s_or_b64 exec, exec, s[10:11]
	s_waitcnt lgkmcnt(0)
	s_barrier
	s_and_saveexec_b64 s[10:11], vcc
	s_cbranch_execz .LBB89_370
; %bb.369:
	v_mov_b32_e32 v35, 0
	ds_read_b128 v[11:14], v35 offset:5808
	ds_read_b128 v[25:28], v35 offset:5280
	;; [unrolled: 1-line block ×3, first 2 shown]
	s_waitcnt lgkmcnt(1)
	v_mul_f64 v[33:34], v[11:12], v[27:28]
	v_mul_f64 v[27:28], v[13:14], v[27:28]
	v_fma_f64 v[13:14], v[13:14], v[25:26], v[33:34]
	v_fma_f64 v[11:12], v[11:12], v[25:26], -v[27:28]
	s_waitcnt lgkmcnt(0)
	v_mul_f64 v[25:26], v[13:14], v[31:32]
	v_mul_f64 v[27:28], v[11:12], v[31:32]
	v_fma_f64 v[11:12], v[29:30], v[11:12], -v[25:26]
	v_fma_f64 v[13:14], v[29:30], v[13:14], v[27:28]
	ds_write_b128 v35, v[11:14] offset:5792
	ds_write_b128 v35, v[11:14] offset:5296
.LBB89_370:
	s_or_b64 exec, exec, s[10:11]
	v_mov_b32_e32 v11, 0
	v_mov_b32_e32 v13, 0
	;; [unrolled: 1-line block ×4, first 2 shown]
	s_waitcnt lgkmcnt(0)
	s_barrier
	buffer_wbinvl1_vol
	s_and_saveexec_b64 s[12:13], s[2:3]
	s_cbranch_execz .LBB89_374
; %bb.371:
	v_lshlrev_b32_e32 v25, 4, v15
	v_lshlrev_b32_e32 v11, 9, v16
	ds_read_b128 v[11:14], v11 offset:5280
	ds_read_b128 v[25:28], v25 offset:5248
	v_cmp_gt_u32_e64 s[10:11], 2, v18
	s_waitcnt lgkmcnt(0)
	v_mul_f64 v[29:30], v[13:14], v[27:28]
	v_mul_f64 v[27:28], v[11:12], v[27:28]
	v_fma_f64 v[11:12], v[11:12], v[25:26], -v[29:30]
	v_fma_f64 v[13:14], v[13:14], v[25:26], v[27:28]
	v_add_f64 v[11:12], v[11:12], 0
	v_add_f64 v[13:14], v[13:14], 0
	s_and_saveexec_b64 s[14:15], s[10:11]
	s_cbranch_execz .LBB89_373
; %bb.372:
	v_lshlrev_b32_e32 v29, 4, v0
	v_mov_b32_e32 v25, 0
	ds_read_b128 v[25:28], v25 offset:5808
	ds_read_b128 v[29:32], v29 offset:5760
	s_waitcnt lgkmcnt(0)
	v_mul_f64 v[33:34], v[27:28], v[31:32]
	v_mul_f64 v[31:32], v[25:26], v[31:32]
	v_fma_f64 v[25:26], v[25:26], v[29:30], -v[33:34]
	v_fma_f64 v[27:28], v[27:28], v[29:30], v[31:32]
	v_add_f64 v[11:12], v[11:12], v[25:26]
	v_add_f64 v[13:14], v[13:14], v[27:28]
.LBB89_373:
	s_or_b64 exec, exec, s[14:15]
.LBB89_374:
	s_or_b64 exec, exec, s[12:13]
	s_and_saveexec_b64 s[10:11], s[38:39]
	s_cbranch_execz .LBB89_376
; %bb.375:
	v_mov_b32_e32 v25, 0
	ds_read_b128 v[25:28], v25 offset:4752
	s_waitcnt lgkmcnt(0)
	v_mul_f64 v[29:30], v[13:14], v[27:28]
	v_mul_f64 v[27:28], v[11:12], v[27:28]
	v_fma_f64 v[11:12], v[11:12], v[25:26], -v[29:30]
	v_fma_f64 v[13:14], v[13:14], v[25:26], v[27:28]
	v_xor_b32_e32 v26, 0x80000000, v12
	v_xor_b32_e32 v28, 0x80000000, v14
	v_mov_b32_e32 v25, v11
	v_mov_b32_e32 v27, v13
	ds_write_b128 v17, v[25:28]
.LBB89_376:
	s_or_b64 exec, exec, s[10:11]
	s_waitcnt lgkmcnt(0)
	s_barrier
	s_and_saveexec_b64 s[10:11], s[36:37]
	s_cbranch_execz .LBB89_378
; %bb.377:
	v_mov_b32_e32 v29, 0
	ds_read_b128 v[25:28], v17
	ds_read_b128 v[29:32], v29 offset:4736
	s_waitcnt lgkmcnt(0)
	v_mul_f64 v[33:34], v[27:28], v[31:32]
	v_mul_f64 v[31:32], v[25:26], v[31:32]
	v_fma_f64 v[25:26], v[25:26], v[29:30], -v[33:34]
	v_fma_f64 v[27:28], v[27:28], v[29:30], v[31:32]
	v_add_f64 v[11:12], v[11:12], -v[25:26]
	v_add_f64 v[13:14], v[13:14], -v[27:28]
.LBB89_378:
	s_or_b64 exec, exec, s[10:11]
	s_barrier
	s_and_saveexec_b64 s[10:11], s[36:37]
	s_cbranch_execz .LBB89_380
; %bb.379:
	v_mov_b32_e32 v25, 0
	ds_read_b128 v[25:28], v25 offset:4224
	s_waitcnt lgkmcnt(0)
	v_mul_f64 v[29:30], v[13:14], v[27:28]
	v_mul_f64 v[27:28], v[11:12], v[27:28]
	v_fma_f64 v[11:12], v[11:12], v[25:26], -v[29:30]
	v_fma_f64 v[13:14], v[13:14], v[25:26], v[27:28]
	v_xor_b32_e32 v26, 0x80000000, v12
	v_xor_b32_e32 v28, 0x80000000, v14
	v_mov_b32_e32 v25, v11
	v_mov_b32_e32 v27, v13
	ds_write_b128 v17, v[25:28]
.LBB89_380:
	s_or_b64 exec, exec, s[10:11]
	s_waitcnt lgkmcnt(0)
	s_barrier
	s_barrier
	s_and_saveexec_b64 s[10:11], s[2:3]
; %bb.381:
	v_lshlrev_b32_e32 v25, 4, v15
	v_lshl_or_b32 v25, v16, 9, v25
	ds_write_b128 v25, v[11:14] offset:5248
; %bb.382:
	s_or_b64 exec, exec, s[10:11]
	s_waitcnt lgkmcnt(0)
	s_barrier
	s_barrier
	s_and_saveexec_b64 s[10:11], s[40:41]
	s_cbranch_execz .LBB89_384
; %bb.383:
	v_lshlrev_b32_e32 v25, 9, v0
	ds_read_b128 v[11:14], v25 offset:5248
	s_movk_i32 s12, 0xfe10
	v_mad_i32_i24 v26, v0, s12, v25
	s_waitcnt lgkmcnt(0)
	ds_write_b128 v26, v[11:14] offset:4256
	ds_read_b128 v[11:14], v25 offset:5264
	s_waitcnt lgkmcnt(0)
	ds_write_b128 v26, v[11:14] offset:4768
.LBB89_384:
	s_or_b64 exec, exec, s[10:11]
	s_waitcnt lgkmcnt(0)
	s_barrier
	s_and_saveexec_b64 s[10:11], vcc
	s_cbranch_execz .LBB89_386
; %bb.385:
	v_mov_b32_e32 v35, 0
	ds_read_b128 v[11:14], v35 offset:4752
	ds_read_b128 v[25:28], v35 offset:4224
	;; [unrolled: 1-line block ×3, first 2 shown]
	s_waitcnt lgkmcnt(1)
	v_mul_f64 v[33:34], v[11:12], v[27:28]
	v_mul_f64 v[27:28], v[13:14], v[27:28]
	v_fma_f64 v[13:14], v[13:14], v[25:26], v[33:34]
	v_fma_f64 v[11:12], v[11:12], v[25:26], -v[27:28]
	s_waitcnt lgkmcnt(0)
	v_mul_f64 v[25:26], v[13:14], v[31:32]
	v_mul_f64 v[27:28], v[11:12], v[31:32]
	v_fma_f64 v[11:12], v[29:30], v[11:12], -v[25:26]
	v_fma_f64 v[13:14], v[29:30], v[13:14], v[27:28]
	ds_write_b128 v35, v[11:14] offset:4736
	ds_write_b128 v35, v[11:14] offset:4240
.LBB89_386:
	s_or_b64 exec, exec, s[10:11]
	v_mov_b32_e32 v13, 0
	v_mov_b32_e32 v11, 0
	;; [unrolled: 1-line block ×4, first 2 shown]
	s_waitcnt lgkmcnt(0)
	s_barrier
	buffer_wbinvl1_vol
	s_and_saveexec_b64 s[12:13], s[8:9]
	s_cbranch_execz .LBB89_396
; %bb.387:
	v_lshlrev_b32_e32 v26, 9, v23
	v_lshlrev_b32_e32 v25, 4, v22
	ds_read_b128 v[11:14], v26 offset:4224
	ds_read_b128 v[27:30], v25 offset:4096
	v_cmp_gt_u32_e64 s[10:11], 56, v18
	s_waitcnt lgkmcnt(0)
	v_mul_f64 v[31:32], v[13:14], v[29:30]
	v_mul_f64 v[29:30], v[11:12], v[29:30]
	v_fma_f64 v[11:12], v[11:12], v[27:28], -v[31:32]
	v_fma_f64 v[13:14], v[13:14], v[27:28], v[29:30]
	v_add_f64 v[11:12], v[11:12], 0
	v_add_f64 v[13:14], v[13:14], 0
	s_and_saveexec_b64 s[14:15], s[10:11]
	s_cbranch_execnz .LBB89_567
; %bb.388:
	s_or_b64 exec, exec, s[14:15]
	v_cmp_gt_u32_e64 s[10:11], 48, v18
	s_and_saveexec_b64 s[14:15], s[10:11]
	s_cbranch_execnz .LBB89_568
.LBB89_389:
	s_or_b64 exec, exec, s[14:15]
	v_cmp_gt_u32_e64 s[10:11], 40, v18
	s_and_saveexec_b64 s[14:15], s[10:11]
	s_cbranch_execnz .LBB89_569
.LBB89_390:
	s_or_b64 exec, exec, s[14:15]
	v_cmp_gt_u32_e64 s[10:11], 32, v18
	s_and_saveexec_b64 s[14:15], s[10:11]
	s_cbranch_execnz .LBB89_570
.LBB89_391:
	s_or_b64 exec, exec, s[14:15]
	v_cmp_gt_u32_e64 s[10:11], 24, v18
	s_and_saveexec_b64 s[14:15], s[10:11]
	s_cbranch_execnz .LBB89_571
.LBB89_392:
	s_or_b64 exec, exec, s[14:15]
	s_and_saveexec_b64 s[10:11], s[16:17]
	s_cbranch_execnz .LBB89_572
.LBB89_393:
	s_or_b64 exec, exec, s[10:11]
	v_cmp_gt_u32_e64 s[10:11], 8, v18
	s_and_saveexec_b64 s[14:15], s[10:11]
	s_cbranch_execz .LBB89_395
.LBB89_394:
	v_lshlrev_b32_e32 v29, 4, v0
	v_mov_b32_e32 v25, 0
	ds_read_b128 v[25:28], v25 offset:7920
	ds_read_b128 v[29:32], v29 offset:7680
	s_waitcnt lgkmcnt(0)
	v_mul_f64 v[33:34], v[27:28], v[31:32]
	v_mul_f64 v[31:32], v[25:26], v[31:32]
	v_fma_f64 v[25:26], v[25:26], v[29:30], -v[33:34]
	v_fma_f64 v[27:28], v[27:28], v[29:30], v[31:32]
	v_add_f64 v[11:12], v[11:12], v[25:26]
	v_add_f64 v[13:14], v[13:14], v[27:28]
.LBB89_395:
	s_or_b64 exec, exec, s[14:15]
.LBB89_396:
	s_or_b64 exec, exec, s[12:13]
	s_and_saveexec_b64 s[10:11], s[58:59]
	s_cbranch_execz .LBB89_398
; %bb.397:
	v_mov_b32_e32 v25, 0
	ds_read_b128 v[25:28], v25 offset:3696
	s_waitcnt lgkmcnt(0)
	v_mul_f64 v[29:30], v[13:14], v[27:28]
	v_mul_f64 v[27:28], v[11:12], v[27:28]
	v_fma_f64 v[11:12], v[11:12], v[25:26], -v[29:30]
	v_fma_f64 v[13:14], v[13:14], v[25:26], v[27:28]
	v_xor_b32_e32 v26, 0x80000000, v12
	v_xor_b32_e32 v28, 0x80000000, v14
	v_mov_b32_e32 v25, v11
	v_mov_b32_e32 v27, v13
	ds_write_b128 v24, v[25:28]
.LBB89_398:
	s_or_b64 exec, exec, s[10:11]
	s_waitcnt lgkmcnt(0)
	s_barrier
	s_and_saveexec_b64 s[10:11], s[60:61]
	s_cbranch_execz .LBB89_400
; %bb.399:
	v_lshlrev_b32_e32 v29, 4, v22
	ds_read_b128 v[25:28], v24
	ds_read_b128 v[29:32], v29 offset:3584
	s_waitcnt lgkmcnt(0)
	v_mul_f64 v[33:34], v[27:28], v[31:32]
	v_mul_f64 v[31:32], v[25:26], v[31:32]
	v_fma_f64 v[25:26], v[25:26], v[29:30], -v[33:34]
	v_fma_f64 v[27:28], v[27:28], v[29:30], v[31:32]
	v_add_f64 v[11:12], v[11:12], -v[25:26]
	v_add_f64 v[13:14], v[13:14], -v[27:28]
.LBB89_400:
	s_or_b64 exec, exec, s[10:11]
	s_barrier
	s_and_saveexec_b64 s[10:11], s[62:63]
	s_cbranch_execz .LBB89_402
; %bb.401:
	v_mov_b32_e32 v25, 0
	ds_read_b128 v[25:28], v25 offset:3168
	s_waitcnt lgkmcnt(0)
	v_mul_f64 v[29:30], v[13:14], v[27:28]
	v_mul_f64 v[27:28], v[11:12], v[27:28]
	v_fma_f64 v[11:12], v[11:12], v[25:26], -v[29:30]
	v_fma_f64 v[13:14], v[13:14], v[25:26], v[27:28]
	v_xor_b32_e32 v26, 0x80000000, v12
	v_xor_b32_e32 v28, 0x80000000, v14
	v_mov_b32_e32 v25, v11
	v_mov_b32_e32 v27, v13
	ds_write_b128 v24, v[25:28]
.LBB89_402:
	s_or_b64 exec, exec, s[10:11]
	s_waitcnt lgkmcnt(0)
	s_barrier
	s_and_saveexec_b64 s[10:11], s[64:65]
	s_cbranch_execz .LBB89_404
; %bb.403:
	v_lshlrev_b32_e32 v29, 4, v22
	ds_read_b128 v[25:28], v24
	ds_read_b128 v[29:32], v29 offset:3072
	s_waitcnt lgkmcnt(0)
	v_mul_f64 v[33:34], v[27:28], v[31:32]
	v_mul_f64 v[31:32], v[25:26], v[31:32]
	v_fma_f64 v[25:26], v[25:26], v[29:30], -v[33:34]
	v_fma_f64 v[27:28], v[27:28], v[29:30], v[31:32]
	v_add_f64 v[11:12], v[11:12], -v[25:26]
	v_add_f64 v[13:14], v[13:14], -v[27:28]
.LBB89_404:
	s_or_b64 exec, exec, s[10:11]
	s_barrier
	;; [unrolled: 35-line block ×6, first 2 shown]
	s_and_saveexec_b64 s[10:11], s[82:83]
	s_cbranch_execz .LBB89_422
; %bb.421:
	v_mov_b32_e32 v25, 0
	ds_read_b128 v[25:28], v25 offset:528
	s_waitcnt lgkmcnt(0)
	v_mul_f64 v[29:30], v[13:14], v[27:28]
	v_mul_f64 v[27:28], v[11:12], v[27:28]
	v_fma_f64 v[11:12], v[11:12], v[25:26], -v[29:30]
	v_fma_f64 v[13:14], v[13:14], v[25:26], v[27:28]
	v_xor_b32_e32 v26, 0x80000000, v12
	v_xor_b32_e32 v28, 0x80000000, v14
	v_mov_b32_e32 v25, v11
	v_mov_b32_e32 v27, v13
	ds_write_b128 v24, v[25:28]
.LBB89_422:
	s_or_b64 exec, exec, s[10:11]
	s_waitcnt lgkmcnt(0)
	s_barrier
	s_and_saveexec_b64 s[10:11], s[56:57]
	s_cbranch_execz .LBB89_424
; %bb.423:
	v_mov_b32_e32 v29, 0
	ds_read_b128 v[25:28], v24
	ds_read_b128 v[29:32], v29 offset:512
	s_waitcnt lgkmcnt(0)
	v_mul_f64 v[33:34], v[27:28], v[31:32]
	v_mul_f64 v[31:32], v[25:26], v[31:32]
	v_fma_f64 v[25:26], v[25:26], v[29:30], -v[33:34]
	v_fma_f64 v[27:28], v[27:28], v[29:30], v[31:32]
	v_add_f64 v[11:12], v[11:12], -v[25:26]
	v_add_f64 v[13:14], v[13:14], -v[27:28]
.LBB89_424:
	s_or_b64 exec, exec, s[10:11]
	s_barrier
	s_and_saveexec_b64 s[10:11], s[56:57]
	s_cbranch_execz .LBB89_426
; %bb.425:
	v_mov_b32_e32 v25, 0
	ds_read_b128 v[25:28], v25
	s_waitcnt lgkmcnt(0)
	v_mul_f64 v[29:30], v[13:14], v[27:28]
	v_mul_f64 v[27:28], v[11:12], v[27:28]
	v_fma_f64 v[11:12], v[11:12], v[25:26], -v[29:30]
	v_fma_f64 v[13:14], v[13:14], v[25:26], v[27:28]
	v_xor_b32_e32 v26, 0x80000000, v12
	v_xor_b32_e32 v28, 0x80000000, v14
	v_mov_b32_e32 v25, v11
	v_mov_b32_e32 v27, v13
	ds_write_b128 v24, v[25:28]
.LBB89_426:
	s_or_b64 exec, exec, s[10:11]
	s_waitcnt lgkmcnt(0)
	s_barrier
	s_barrier
	s_and_saveexec_b64 s[10:11], s[8:9]
; %bb.427:
	v_lshlrev_b32_e32 v22, 4, v22
	v_lshl_or_b32 v22, v23, 9, v22
	ds_write_b128 v22, v[11:14] offset:4096
; %bb.428:
	s_or_b64 exec, exec, s[10:11]
	s_waitcnt lgkmcnt(0)
	s_barrier
	s_barrier
	s_and_saveexec_b64 s[8:9], s[84:85]
	s_cbranch_execz .LBB89_430
; %bb.429:
	v_lshlrev_b32_e32 v22, 9, v0
	ds_read_b128 v[11:14], v22 offset:4096
	s_movk_i32 s10, 0xfe10
	v_mad_i32_i24 v23, v0, s10, v22
	s_waitcnt lgkmcnt(0)
	ds_write_b128 v23, v[11:14] offset:128
	ds_read_b128 v[11:14], v22 offset:4112
	s_waitcnt lgkmcnt(0)
	ds_write_b128 v23, v[11:14] offset:640
	ds_read_b128 v[11:14], v22 offset:4128
	;; [unrolled: 3-line block ×7, first 2 shown]
	s_waitcnt lgkmcnt(0)
	ds_write_b128 v23, v[11:14] offset:3712
.LBB89_430:
	s_or_b64 exec, exec, s[8:9]
	s_waitcnt lgkmcnt(0)
	s_barrier
	s_and_saveexec_b64 s[8:9], vcc
	s_cbranch_execz .LBB89_432
; %bb.431:
	v_mov_b32_e32 v32, 0
	ds_read_b128 v[11:14], v32 offset:3696
	ds_read_b128 v[22:25], v32 offset:3168
	;; [unrolled: 1-line block ×3, first 2 shown]
	s_waitcnt lgkmcnt(1)
	v_mul_f64 v[30:31], v[11:12], v[24:25]
	v_mul_f64 v[24:25], v[13:14], v[24:25]
	v_fma_f64 v[13:14], v[13:14], v[22:23], v[30:31]
	v_fma_f64 v[11:12], v[11:12], v[22:23], -v[24:25]
	s_waitcnt lgkmcnt(0)
	v_mul_f64 v[22:23], v[13:14], v[28:29]
	v_mul_f64 v[24:25], v[11:12], v[28:29]
	v_fma_f64 v[11:12], v[26:27], v[11:12], -v[22:23]
	v_fma_f64 v[13:14], v[26:27], v[13:14], v[24:25]
	ds_write_b128 v32, v[11:14] offset:3680
	ds_write_b128 v32, v[11:14] offset:3184
.LBB89_432:
	s_or_b64 exec, exec, s[8:9]
	v_mov_b32_e32 v11, 0
	v_mov_b32_e32 v13, 0
	v_mov_b32_e32 v12, 0
	v_mov_b32_e32 v14, 0
	s_waitcnt lgkmcnt(0)
	s_barrier
	buffer_wbinvl1_vol
	s_and_saveexec_b64 s[10:11], s[2:3]
	s_cbranch_execz .LBB89_436
; %bb.433:
	v_lshlrev_b32_e32 v22, 4, v15
	v_lshlrev_b32_e32 v11, 9, v16
	ds_read_b128 v[11:14], v11 offset:3168
	ds_read_b128 v[22:25], v22 offset:3136
	v_cmp_gt_u32_e64 s[8:9], 2, v18
	s_waitcnt lgkmcnt(0)
	v_mul_f64 v[26:27], v[13:14], v[24:25]
	v_mul_f64 v[24:25], v[11:12], v[24:25]
	v_fma_f64 v[11:12], v[11:12], v[22:23], -v[26:27]
	v_fma_f64 v[13:14], v[13:14], v[22:23], v[24:25]
	v_add_f64 v[11:12], v[11:12], 0
	v_add_f64 v[13:14], v[13:14], 0
	s_and_saveexec_b64 s[12:13], s[8:9]
	s_cbranch_execz .LBB89_435
; %bb.434:
	v_lshlrev_b32_e32 v26, 4, v0
	v_mov_b32_e32 v22, 0
	ds_read_b128 v[22:25], v22 offset:3696
	ds_read_b128 v[26:29], v26 offset:3648
	s_waitcnt lgkmcnt(0)
	v_mul_f64 v[30:31], v[24:25], v[28:29]
	v_mul_f64 v[28:29], v[22:23], v[28:29]
	v_fma_f64 v[22:23], v[22:23], v[26:27], -v[30:31]
	v_fma_f64 v[24:25], v[24:25], v[26:27], v[28:29]
	v_add_f64 v[11:12], v[11:12], v[22:23]
	v_add_f64 v[13:14], v[13:14], v[24:25]
.LBB89_435:
	s_or_b64 exec, exec, s[12:13]
.LBB89_436:
	s_or_b64 exec, exec, s[10:11]
	s_and_saveexec_b64 s[8:9], s[38:39]
	s_cbranch_execz .LBB89_438
; %bb.437:
	v_mov_b32_e32 v22, 0
	ds_read_b128 v[22:25], v22 offset:2640
	s_waitcnt lgkmcnt(0)
	v_mul_f64 v[26:27], v[13:14], v[24:25]
	v_mul_f64 v[24:25], v[11:12], v[24:25]
	v_fma_f64 v[11:12], v[11:12], v[22:23], -v[26:27]
	v_fma_f64 v[13:14], v[13:14], v[22:23], v[24:25]
	v_xor_b32_e32 v23, 0x80000000, v12
	v_xor_b32_e32 v25, 0x80000000, v14
	v_mov_b32_e32 v22, v11
	v_mov_b32_e32 v24, v13
	ds_write_b128 v17, v[22:25]
.LBB89_438:
	s_or_b64 exec, exec, s[8:9]
	s_waitcnt lgkmcnt(0)
	s_barrier
	s_and_saveexec_b64 s[8:9], s[36:37]
	s_cbranch_execz .LBB89_440
; %bb.439:
	v_mov_b32_e32 v26, 0
	ds_read_b128 v[22:25], v17
	ds_read_b128 v[26:29], v26 offset:2624
	s_waitcnt lgkmcnt(0)
	v_mul_f64 v[30:31], v[24:25], v[28:29]
	v_mul_f64 v[28:29], v[22:23], v[28:29]
	v_fma_f64 v[22:23], v[22:23], v[26:27], -v[30:31]
	v_fma_f64 v[24:25], v[24:25], v[26:27], v[28:29]
	v_add_f64 v[11:12], v[11:12], -v[22:23]
	v_add_f64 v[13:14], v[13:14], -v[24:25]
.LBB89_440:
	s_or_b64 exec, exec, s[8:9]
	s_barrier
	s_and_saveexec_b64 s[8:9], s[36:37]
	s_cbranch_execz .LBB89_442
; %bb.441:
	v_mov_b32_e32 v22, 0
	ds_read_b128 v[22:25], v22 offset:2112
	s_waitcnt lgkmcnt(0)
	v_mul_f64 v[26:27], v[13:14], v[24:25]
	v_mul_f64 v[24:25], v[11:12], v[24:25]
	v_fma_f64 v[11:12], v[11:12], v[22:23], -v[26:27]
	v_fma_f64 v[13:14], v[13:14], v[22:23], v[24:25]
	v_xor_b32_e32 v23, 0x80000000, v12
	v_xor_b32_e32 v25, 0x80000000, v14
	v_mov_b32_e32 v22, v11
	v_mov_b32_e32 v24, v13
	ds_write_b128 v17, v[22:25]
.LBB89_442:
	s_or_b64 exec, exec, s[8:9]
	s_waitcnt lgkmcnt(0)
	s_barrier
	s_barrier
	s_and_saveexec_b64 s[8:9], s[2:3]
; %bb.443:
	v_lshlrev_b32_e32 v22, 4, v15
	v_lshl_or_b32 v22, v16, 9, v22
	ds_write_b128 v22, v[11:14] offset:3136
; %bb.444:
	s_or_b64 exec, exec, s[8:9]
	s_waitcnt lgkmcnt(0)
	s_barrier
	s_barrier
	s_and_saveexec_b64 s[8:9], s[40:41]
	s_cbranch_execz .LBB89_446
; %bb.445:
	v_lshlrev_b32_e32 v22, 9, v0
	ds_read_b128 v[11:14], v22 offset:3136
	s_movk_i32 s10, 0xfe10
	v_mad_i32_i24 v23, v0, s10, v22
	s_waitcnt lgkmcnt(0)
	ds_write_b128 v23, v[11:14] offset:2144
	ds_read_b128 v[11:14], v22 offset:3152
	s_waitcnt lgkmcnt(0)
	ds_write_b128 v23, v[11:14] offset:2656
.LBB89_446:
	s_or_b64 exec, exec, s[8:9]
	s_waitcnt lgkmcnt(0)
	s_barrier
	s_and_saveexec_b64 s[8:9], vcc
	s_cbranch_execz .LBB89_448
; %bb.447:
	v_mov_b32_e32 v32, 0
	ds_read_b128 v[11:14], v32 offset:2640
	ds_read_b128 v[22:25], v32 offset:2112
	;; [unrolled: 1-line block ×3, first 2 shown]
	s_waitcnt lgkmcnt(1)
	v_mul_f64 v[30:31], v[11:12], v[24:25]
	v_mul_f64 v[24:25], v[13:14], v[24:25]
	v_fma_f64 v[13:14], v[13:14], v[22:23], v[30:31]
	v_fma_f64 v[11:12], v[11:12], v[22:23], -v[24:25]
	s_waitcnt lgkmcnt(0)
	v_mul_f64 v[22:23], v[13:14], v[28:29]
	v_mul_f64 v[24:25], v[11:12], v[28:29]
	v_fma_f64 v[11:12], v[26:27], v[11:12], -v[22:23]
	v_fma_f64 v[13:14], v[26:27], v[13:14], v[24:25]
	ds_write_b128 v32, v[11:14] offset:2624
	ds_write_b128 v32, v[11:14] offset:2128
.LBB89_448:
	s_or_b64 exec, exec, s[8:9]
	v_mov_b32_e32 v13, 0
	v_mov_b32_e32 v11, 0
	;; [unrolled: 1-line block ×4, first 2 shown]
	s_waitcnt lgkmcnt(0)
	s_barrier
	buffer_wbinvl1_vol
	s_and_saveexec_b64 s[10:11], s[16:17]
	s_cbranch_execz .LBB89_454
; %bb.449:
	v_lshlrev_b32_e32 v23, 9, v20
	v_lshlrev_b32_e32 v22, 4, v19
	ds_read_b128 v[11:14], v23 offset:2112
	ds_read_b128 v[24:27], v22 offset:2048
	v_cmp_gt_u32_e64 s[8:9], 12, v18
	s_waitcnt lgkmcnt(0)
	v_mul_f64 v[28:29], v[13:14], v[26:27]
	v_mul_f64 v[26:27], v[11:12], v[26:27]
	v_fma_f64 v[11:12], v[11:12], v[24:25], -v[28:29]
	v_fma_f64 v[13:14], v[13:14], v[24:25], v[26:27]
	v_add_f64 v[11:12], v[11:12], 0
	v_add_f64 v[13:14], v[13:14], 0
	s_and_saveexec_b64 s[12:13], s[8:9]
	s_cbranch_execnz .LBB89_573
; %bb.450:
	s_or_b64 exec, exec, s[12:13]
	v_cmp_gt_u32_e64 s[8:9], 8, v18
	s_and_saveexec_b64 s[12:13], s[8:9]
	s_cbranch_execnz .LBB89_574
.LBB89_451:
	s_or_b64 exec, exec, s[12:13]
	v_cmp_gt_u32_e64 s[8:9], 4, v18
	s_and_saveexec_b64 s[12:13], s[8:9]
	s_cbranch_execz .LBB89_453
.LBB89_452:
	v_lshlrev_b32_e32 v26, 4, v0
	v_mov_b32_e32 v22, 0
	ds_read_b128 v[22:25], v22 offset:3696
	ds_read_b128 v[26:29], v26 offset:3584
	s_waitcnt lgkmcnt(0)
	v_mul_f64 v[30:31], v[24:25], v[28:29]
	v_mul_f64 v[28:29], v[22:23], v[28:29]
	v_fma_f64 v[22:23], v[22:23], v[26:27], -v[30:31]
	v_fma_f64 v[24:25], v[24:25], v[26:27], v[28:29]
	v_add_f64 v[11:12], v[11:12], v[22:23]
	v_add_f64 v[13:14], v[13:14], v[24:25]
.LBB89_453:
	s_or_b64 exec, exec, s[12:13]
.LBB89_454:
	s_or_b64 exec, exec, s[10:11]
	s_and_saveexec_b64 s[8:9], s[44:45]
	s_cbranch_execz .LBB89_456
; %bb.455:
	v_mov_b32_e32 v22, 0
	ds_read_b128 v[22:25], v22 offset:1584
	s_waitcnt lgkmcnt(0)
	v_mul_f64 v[26:27], v[13:14], v[24:25]
	v_mul_f64 v[24:25], v[11:12], v[24:25]
	v_fma_f64 v[11:12], v[11:12], v[22:23], -v[26:27]
	v_fma_f64 v[13:14], v[13:14], v[22:23], v[24:25]
	v_xor_b32_e32 v23, 0x80000000, v12
	v_xor_b32_e32 v25, 0x80000000, v14
	v_mov_b32_e32 v22, v11
	v_mov_b32_e32 v24, v13
	ds_write_b128 v21, v[22:25]
.LBB89_456:
	s_or_b64 exec, exec, s[8:9]
	s_waitcnt lgkmcnt(0)
	s_barrier
	s_and_saveexec_b64 s[8:9], s[46:47]
	s_cbranch_execz .LBB89_458
; %bb.457:
	v_lshlrev_b32_e32 v26, 4, v19
	ds_read_b128 v[22:25], v21
	ds_read_b128 v[26:29], v26 offset:1536
	s_waitcnt lgkmcnt(0)
	v_mul_f64 v[30:31], v[24:25], v[28:29]
	v_mul_f64 v[28:29], v[22:23], v[28:29]
	v_fma_f64 v[22:23], v[22:23], v[26:27], -v[30:31]
	v_fma_f64 v[24:25], v[24:25], v[26:27], v[28:29]
	v_add_f64 v[11:12], v[11:12], -v[22:23]
	v_add_f64 v[13:14], v[13:14], -v[24:25]
.LBB89_458:
	s_or_b64 exec, exec, s[8:9]
	s_barrier
	s_and_saveexec_b64 s[8:9], s[48:49]
	s_cbranch_execz .LBB89_460
; %bb.459:
	v_mov_b32_e32 v22, 0
	ds_read_b128 v[22:25], v22 offset:1056
	s_waitcnt lgkmcnt(0)
	v_mul_f64 v[26:27], v[13:14], v[24:25]
	v_mul_f64 v[24:25], v[11:12], v[24:25]
	v_fma_f64 v[11:12], v[11:12], v[22:23], -v[26:27]
	v_fma_f64 v[13:14], v[13:14], v[22:23], v[24:25]
	v_xor_b32_e32 v23, 0x80000000, v12
	v_xor_b32_e32 v25, 0x80000000, v14
	v_mov_b32_e32 v22, v11
	v_mov_b32_e32 v24, v13
	ds_write_b128 v21, v[22:25]
.LBB89_460:
	s_or_b64 exec, exec, s[8:9]
	s_waitcnt lgkmcnt(0)
	s_barrier
	s_and_saveexec_b64 s[8:9], s[50:51]
	s_cbranch_execz .LBB89_462
; %bb.461:
	v_lshlrev_b32_e32 v26, 4, v19
	ds_read_b128 v[22:25], v21
	ds_read_b128 v[26:29], v26 offset:1024
	s_waitcnt lgkmcnt(0)
	v_mul_f64 v[30:31], v[24:25], v[28:29]
	v_mul_f64 v[28:29], v[22:23], v[28:29]
	v_fma_f64 v[22:23], v[22:23], v[26:27], -v[30:31]
	v_fma_f64 v[24:25], v[24:25], v[26:27], v[28:29]
	v_add_f64 v[11:12], v[11:12], -v[22:23]
	v_add_f64 v[13:14], v[13:14], -v[24:25]
.LBB89_462:
	s_or_b64 exec, exec, s[8:9]
	s_barrier
	s_and_saveexec_b64 s[8:9], s[52:53]
	s_cbranch_execz .LBB89_464
; %bb.463:
	v_mov_b32_e32 v22, 0
	ds_read_b128 v[22:25], v22 offset:528
	s_waitcnt lgkmcnt(0)
	v_mul_f64 v[26:27], v[13:14], v[24:25]
	v_mul_f64 v[24:25], v[11:12], v[24:25]
	v_fma_f64 v[11:12], v[11:12], v[22:23], -v[26:27]
	v_fma_f64 v[13:14], v[13:14], v[22:23], v[24:25]
	v_xor_b32_e32 v23, 0x80000000, v12
	v_xor_b32_e32 v25, 0x80000000, v14
	v_mov_b32_e32 v22, v11
	v_mov_b32_e32 v24, v13
	ds_write_b128 v21, v[22:25]
.LBB89_464:
	s_or_b64 exec, exec, s[8:9]
	s_waitcnt lgkmcnt(0)
	s_barrier
	s_and_saveexec_b64 s[8:9], s[42:43]
	s_cbranch_execz .LBB89_466
; %bb.465:
	v_mov_b32_e32 v26, 0
	ds_read_b128 v[22:25], v21
	ds_read_b128 v[26:29], v26 offset:512
	s_waitcnt lgkmcnt(0)
	v_mul_f64 v[30:31], v[24:25], v[28:29]
	v_mul_f64 v[28:29], v[22:23], v[28:29]
	v_fma_f64 v[22:23], v[22:23], v[26:27], -v[30:31]
	v_fma_f64 v[24:25], v[24:25], v[26:27], v[28:29]
	v_add_f64 v[11:12], v[11:12], -v[22:23]
	v_add_f64 v[13:14], v[13:14], -v[24:25]
.LBB89_466:
	s_or_b64 exec, exec, s[8:9]
	s_barrier
	s_and_saveexec_b64 s[8:9], s[42:43]
	s_cbranch_execz .LBB89_468
; %bb.467:
	v_mov_b32_e32 v22, 0
	ds_read_b128 v[22:25], v22
	s_waitcnt lgkmcnt(0)
	v_mul_f64 v[26:27], v[13:14], v[24:25]
	v_mul_f64 v[24:25], v[11:12], v[24:25]
	v_fma_f64 v[11:12], v[11:12], v[22:23], -v[26:27]
	v_fma_f64 v[13:14], v[13:14], v[22:23], v[24:25]
	v_xor_b32_e32 v23, 0x80000000, v12
	v_xor_b32_e32 v25, 0x80000000, v14
	v_mov_b32_e32 v22, v11
	v_mov_b32_e32 v24, v13
	ds_write_b128 v21, v[22:25]
.LBB89_468:
	s_or_b64 exec, exec, s[8:9]
	s_waitcnt lgkmcnt(0)
	s_barrier
	s_barrier
	s_and_saveexec_b64 s[8:9], s[16:17]
; %bb.469:
	v_lshlrev_b32_e32 v19, 4, v19
	v_lshl_or_b32 v19, v20, 9, v19
	ds_write_b128 v19, v[11:14] offset:2048
; %bb.470:
	s_or_b64 exec, exec, s[8:9]
	s_waitcnt lgkmcnt(0)
	s_barrier
	s_barrier
	s_and_saveexec_b64 s[8:9], s[54:55]
	s_cbranch_execz .LBB89_472
; %bb.471:
	v_lshlrev_b32_e32 v19, 4, v0
	s_movk_i32 s10, 0x1f0
	v_mad_u32_u24 v20, v0, s10, v19
	ds_read_b128 v[11:14], v20 offset:2048
	s_waitcnt lgkmcnt(0)
	ds_write_b128 v19, v[11:14] offset:64
	ds_read_b128 v[11:14], v20 offset:2064
	s_waitcnt lgkmcnt(0)
	ds_write_b128 v19, v[11:14] offset:576
	;; [unrolled: 3-line block ×4, first 2 shown]
.LBB89_472:
	s_or_b64 exec, exec, s[8:9]
	s_waitcnt lgkmcnt(0)
	s_barrier
	s_and_saveexec_b64 s[8:9], vcc
	s_cbranch_execz .LBB89_474
; %bb.473:
	v_mov_b32_e32 v29, 0
	ds_read_b128 v[11:14], v29 offset:1584
	ds_read_b128 v[19:22], v29 offset:1056
	ds_read_b128 v[23:26], v29 offset:1568
	s_waitcnt lgkmcnt(1)
	v_mul_f64 v[27:28], v[11:12], v[21:22]
	v_mul_f64 v[21:22], v[13:14], v[21:22]
	v_fma_f64 v[13:14], v[13:14], v[19:20], v[27:28]
	v_fma_f64 v[11:12], v[11:12], v[19:20], -v[21:22]
	s_waitcnt lgkmcnt(0)
	v_mul_f64 v[19:20], v[13:14], v[25:26]
	v_mul_f64 v[21:22], v[11:12], v[25:26]
	v_fma_f64 v[11:12], v[23:24], v[11:12], -v[19:20]
	v_fma_f64 v[13:14], v[23:24], v[13:14], v[21:22]
	ds_write_b128 v29, v[11:14] offset:1568
	ds_write_b128 v29, v[11:14] offset:1072
.LBB89_474:
	s_or_b64 exec, exec, s[8:9]
	v_mov_b32_e32 v11, 0
	v_mov_b32_e32 v13, 0
	;; [unrolled: 1-line block ×4, first 2 shown]
	s_waitcnt lgkmcnt(0)
	s_barrier
	buffer_wbinvl1_vol
	s_and_saveexec_b64 s[10:11], s[2:3]
	s_cbranch_execz .LBB89_478
; %bb.475:
	v_lshlrev_b32_e32 v19, 4, v15
	v_lshlrev_b32_e32 v11, 9, v16
	ds_read_b128 v[11:14], v11 offset:1056
	ds_read_b128 v[19:22], v19 offset:1024
	v_cmp_gt_u32_e64 s[8:9], 2, v18
	s_waitcnt lgkmcnt(0)
	v_mul_f64 v[23:24], v[13:14], v[21:22]
	v_mul_f64 v[21:22], v[11:12], v[21:22]
	v_fma_f64 v[11:12], v[11:12], v[19:20], -v[23:24]
	v_fma_f64 v[13:14], v[13:14], v[19:20], v[21:22]
	v_add_f64 v[11:12], v[11:12], 0
	v_add_f64 v[13:14], v[13:14], 0
	s_and_saveexec_b64 s[12:13], s[8:9]
	s_cbranch_execz .LBB89_477
; %bb.476:
	v_lshlrev_b32_e32 v22, 4, v0
	v_mov_b32_e32 v18, 0
	ds_read_b128 v[18:21], v18 offset:1584
	ds_read_b128 v[22:25], v22 offset:1536
	s_waitcnt lgkmcnt(0)
	v_mul_f64 v[26:27], v[20:21], v[24:25]
	v_mul_f64 v[24:25], v[18:19], v[24:25]
	v_fma_f64 v[18:19], v[18:19], v[22:23], -v[26:27]
	v_fma_f64 v[20:21], v[20:21], v[22:23], v[24:25]
	v_add_f64 v[11:12], v[11:12], v[18:19]
	v_add_f64 v[13:14], v[13:14], v[20:21]
.LBB89_477:
	s_or_b64 exec, exec, s[12:13]
.LBB89_478:
	s_or_b64 exec, exec, s[10:11]
	s_and_saveexec_b64 s[8:9], s[38:39]
	s_cbranch_execz .LBB89_480
; %bb.479:
	v_mov_b32_e32 v18, 0
	ds_read_b128 v[18:21], v18 offset:528
	s_waitcnt lgkmcnt(0)
	v_mul_f64 v[22:23], v[13:14], v[20:21]
	v_mul_f64 v[20:21], v[11:12], v[20:21]
	v_fma_f64 v[11:12], v[11:12], v[18:19], -v[22:23]
	v_fma_f64 v[13:14], v[13:14], v[18:19], v[20:21]
	v_xor_b32_e32 v19, 0x80000000, v12
	v_xor_b32_e32 v21, 0x80000000, v14
	v_mov_b32_e32 v18, v11
	v_mov_b32_e32 v20, v13
	ds_write_b128 v17, v[18:21]
.LBB89_480:
	s_or_b64 exec, exec, s[8:9]
	s_waitcnt lgkmcnt(0)
	s_barrier
	s_and_saveexec_b64 s[8:9], s[36:37]
	s_cbranch_execz .LBB89_482
; %bb.481:
	v_mov_b32_e32 v22, 0
	ds_read_b128 v[18:21], v17
	ds_read_b128 v[22:25], v22 offset:512
	s_waitcnt lgkmcnt(0)
	v_mul_f64 v[26:27], v[20:21], v[24:25]
	v_mul_f64 v[24:25], v[18:19], v[24:25]
	v_fma_f64 v[18:19], v[18:19], v[22:23], -v[26:27]
	v_fma_f64 v[20:21], v[20:21], v[22:23], v[24:25]
	v_add_f64 v[11:12], v[11:12], -v[18:19]
	v_add_f64 v[13:14], v[13:14], -v[20:21]
.LBB89_482:
	s_or_b64 exec, exec, s[8:9]
	s_barrier
	s_and_saveexec_b64 s[8:9], s[36:37]
	s_cbranch_execz .LBB89_484
; %bb.483:
	v_mov_b32_e32 v18, 0
	ds_read_b128 v[18:21], v18
	s_waitcnt lgkmcnt(0)
	v_mul_f64 v[22:23], v[13:14], v[20:21]
	v_mul_f64 v[20:21], v[11:12], v[20:21]
	v_fma_f64 v[11:12], v[11:12], v[18:19], -v[22:23]
	v_fma_f64 v[13:14], v[13:14], v[18:19], v[20:21]
	v_xor_b32_e32 v19, 0x80000000, v12
	v_xor_b32_e32 v21, 0x80000000, v14
	v_mov_b32_e32 v18, v11
	v_mov_b32_e32 v20, v13
	ds_write_b128 v17, v[18:21]
.LBB89_484:
	s_or_b64 exec, exec, s[8:9]
	s_waitcnt lgkmcnt(0)
	s_barrier
	s_barrier
	s_and_saveexec_b64 s[8:9], s[2:3]
; %bb.485:
	v_lshlrev_b32_e32 v15, 4, v15
	v_lshl_or_b32 v15, v16, 9, v15
	ds_write_b128 v15, v[11:14] offset:1024
; %bb.486:
	s_or_b64 exec, exec, s[8:9]
	s_waitcnt lgkmcnt(0)
	s_barrier
	s_barrier
	s_and_saveexec_b64 s[2:3], s[40:41]
	s_cbranch_execz .LBB89_488
; %bb.487:
	v_lshlrev_b32_e32 v15, 9, v0
	ds_read_b128 v[11:14], v15 offset:1024
	s_movk_i32 s8, 0xfe10
	v_mad_i32_i24 v16, v0, s8, v15
	s_waitcnt lgkmcnt(0)
	ds_write_b128 v16, v[11:14] offset:32
	ds_read_b128 v[11:14], v15 offset:1040
	s_waitcnt lgkmcnt(0)
	ds_write_b128 v16, v[11:14] offset:544
.LBB89_488:
	s_or_b64 exec, exec, s[2:3]
	s_waitcnt lgkmcnt(0)
	s_barrier
	s_and_saveexec_b64 s[2:3], vcc
	s_cbranch_execz .LBB89_490
; %bb.489:
	v_mov_b32_e32 v25, 0
	ds_read_b128 v[11:14], v25 offset:528
	ds_read_b128 v[15:18], v25
	ds_read_b128 v[19:22], v25 offset:512
	s_waitcnt lgkmcnt(1)
	v_mul_f64 v[23:24], v[11:12], v[17:18]
	v_mul_f64 v[17:18], v[13:14], v[17:18]
	v_fma_f64 v[13:14], v[13:14], v[15:16], v[23:24]
	v_fma_f64 v[11:12], v[11:12], v[15:16], -v[17:18]
	s_waitcnt lgkmcnt(0)
	v_mul_f64 v[15:16], v[13:14], v[21:22]
	v_mul_f64 v[17:18], v[11:12], v[21:22]
	v_fma_f64 v[11:12], v[19:20], v[11:12], -v[15:16]
	v_fma_f64 v[13:14], v[19:20], v[13:14], v[17:18]
	ds_write_b128 v25, v[11:14] offset:512
	ds_write_b128 v25, v[11:14] offset:16
.LBB89_490:
	s_or_b64 exec, exec, s[2:3]
.LBB89_491:
	s_load_dwordx4 s[16:19], s[4:5], 0x48
	s_load_dwordx2 s[14:15], s[4:5], 0x58
	v_cmp_le_i32_e32 vcc, s91, v0
	v_mov_b32_e32 v13, 0
	v_mov_b32_e32 v11, 0
	s_waitcnt lgkmcnt(0)
	s_mul_i32 s3, s19, s34
	s_mul_hi_u32 s4, s18, s34
	s_mul_i32 s2, s18, s34
	s_add_i32 s3, s4, s3
	s_lshl_b64 s[2:3], s[2:3], 4
	s_add_u32 s4, s28, s2
	s_addc_u32 s5, s29, s3
	s_lshl_b64 s[2:3], s[30:31], 4
	s_add_u32 s28, s4, s2
	s_addc_u32 s29, s5, s3
	s_and_b64 s[18:19], vcc, s[22:23]
	v_cmp_eq_u32_e64 s[2:3], 0, v2
	s_xor_b64 s[4:5], s[18:19], -1
	s_and_b64 s[8:9], s[2:3], s[4:5]
	v_mov_b32_e32 v14, 0
	v_mov_b32_e32 v12, 0
	v_add_u32_e32 v15, s33, v0
	s_barrier
	s_and_saveexec_b64 s[4:5], s[8:9]
	s_cbranch_execz .LBB89_493
; %bb.492:
	v_ashrrev_i32_e32 v13, 31, v15
	v_mul_lo_u32 v14, s17, v15
	v_mad_u64_u32 v[11:12], s[8:9], s16, v15, 0
	v_mul_lo_u32 v13, s16, v13
	v_add3_u32 v12, v12, v13, v14
	v_lshlrev_b64 v[11:12], 4, v[11:12]
	v_mov_b32_e32 v13, s29
	v_add_co_u32_e32 v11, vcc, s28, v11
	v_addc_co_u32_e32 v12, vcc, v13, v12, vcc
	global_load_dwordx4 v[11:14], v[11:12], off
	s_waitcnt vmcnt(0)
	v_mul_f64 v[16:17], s[24:25], v[11:12]
	v_mul_f64 v[18:19], s[24:25], v[13:14]
	v_fma_f64 v[13:14], s[26:27], v[13:14], -v[16:17]
	v_fma_f64 v[11:12], v[11:12], -s[26:27], -v[18:19]
.LBB89_493:
	s_or_b64 exec, exec, s[4:5]
	s_and_b32 s4, 0xffff, s94
	v_mad_u32_u24 v23, v2, s4, v0
	v_mov_b32_e32 v16, 0
	s_cmp_lt_i32 s6, 1
	v_cmp_eq_u32_e64 s[4:5], 0, v23
	s_cbranch_scc1 .LBB89_516
; %bb.494:
	v_mad_u64_u32 v[17:18], s[8:9], s20, v15, 0
	s_mov_b32 s26, 0
	v_cmp_gt_u32_e64 s[12:13], 32, v23
	v_mad_u64_u32 v[18:19], s[8:9], s21, v15, v[18:19]
	s_lshl_b64 s[8:9], s[34:35], 2
	s_add_u32 s20, s14, s8
	v_lshlrev_b64 v[17:18], 4, v[17:18]
	s_addc_u32 s21, s15, s9
	v_mov_b32_e32 v19, 0x6000
	v_cmp_gt_i32_e64 s[8:9], s7, v15
	v_mov_b32_e32 v15, s93
	v_add_co_u32_e32 v26, vcc, s92, v17
	v_lshl_add_u32 v24, v23, 4, v19
	v_lshl_or_b32 v25, v2, 4, v19
	s_add_i32 s27, s6, -1
	v_addc_co_u32_e32 v27, vcc, v15, v18, vcc
	v_mov_b32_e32 v28, -1
	s_branch .LBB89_497
.LBB89_495:                             ;   in Loop: Header=BB89_497 Depth=1
	ds_read_b128 v[29:32], v25 offset:256
	s_waitcnt vmcnt(0) lgkmcnt(0)
	v_mul_f64 v[17:18], v[21:22], v[31:32]
	v_mul_f64 v[31:32], v[19:20], v[31:32]
	v_fma_f64 v[17:18], v[19:20], v[29:30], -v[17:18]
	v_fma_f64 v[19:20], v[21:22], v[29:30], v[31:32]
	v_add_f64 v[13:14], v[13:14], v[17:18]
	v_add_f64 v[11:12], v[11:12], v[19:20]
.LBB89_496:                             ;   in Loop: Header=BB89_497 Depth=1
	s_or_b64 exec, exec, s[24:25]
	s_add_i32 s26, s26, 1
	s_cmp_eq_u32 s26, s6
	s_cbranch_scc1 .LBB89_516
.LBB89_497:                             ; =>This Loop Header: Depth=1
                                        ;     Child Loop BB89_499 Depth 2
	v_cmp_gt_i32_e32 vcc, s26, v28
	s_and_b64 s[24:25], s[4:5], vcc
	s_and_saveexec_b64 s[10:11], s[24:25]
	s_cbranch_execz .LBB89_500
; %bb.498:                              ;   in Loop: Header=BB89_497 Depth=1
	global_load_dword v28, v16, s[20:21]
	s_waitcnt vmcnt(0)
	v_cmp_le_i32_e32 vcc, s26, v28
	s_cbranch_vccnz .LBB89_500
.LBB89_499:                             ;   Parent Loop BB89_497 Depth=1
                                        ; =>  This Inner Loop Header: Depth=2
	buffer_wbinvl1_vol
	global_load_dword v28, v16, s[20:21]
	s_waitcnt vmcnt(0)
	v_cmp_gt_i32_e32 vcc, s26, v28
	s_cbranch_vccnz .LBB89_499
.LBB89_500:                             ;   in Loop: Header=BB89_497 Depth=1
	s_or_b64 exec, exec, s[10:11]
	s_lshl_b32 s30, s26, 5
	buffer_wbinvl1_vol
	s_barrier
	s_and_saveexec_b64 s[10:11], s[12:13]
	s_cbranch_execz .LBB89_505
; %bb.501:                              ;   in Loop: Header=BB89_497 Depth=1
	v_or_b32_e32 v15, s30, v23
	v_cmp_le_i32_e32 vcc, s7, v15
	s_and_saveexec_b64 s[24:25], vcc
	s_xor_b64 s[24:25], exec, s[24:25]
; %bb.502:                              ;   in Loop: Header=BB89_497 Depth=1
	v_mov_b32_e32 v15, v16
	v_mov_b32_e32 v17, v16
	;; [unrolled: 1-line block ×3, first 2 shown]
	ds_write_b128 v24, v[15:18]
                                        ; implicit-def: $vgpr15
; %bb.503:                              ;   in Loop: Header=BB89_497 Depth=1
	s_andn2_saveexec_b64 s[24:25], s[24:25]
	s_cbranch_execz .LBB89_505
; %bb.504:                              ;   in Loop: Header=BB89_497 Depth=1
	v_mad_u64_u32 v[17:18], s[24:25], s16, v15, 0
	v_mad_u64_u32 v[18:19], s[24:25], s17, v15, v[18:19]
	v_mov_b32_e32 v15, s29
	v_lshlrev_b64 v[17:18], 4, v[17:18]
	v_add_co_u32_e32 v17, vcc, s28, v17
	v_addc_co_u32_e32 v18, vcc, v15, v18, vcc
	global_load_dwordx4 v[17:20], v[17:18], off
	s_waitcnt vmcnt(0)
	ds_write2_b64 v24, v[17:18], v[19:20] offset1:1
.LBB89_505:                             ;   in Loop: Header=BB89_497 Depth=1
	s_or_b64 exec, exec, s[10:11]
	v_add_u32_e32 v15, s30, v2
	v_lshlrev_b64 v[17:18], 4, v[15:16]
	s_cmp_lg_u32 s26, s27
	v_add_co_u32_e32 v17, vcc, v26, v17
	s_cselect_b64 s[10:11], -1, 0
	v_addc_co_u32_e32 v18, vcc, v27, v18, vcc
	v_cmp_gt_i32_e32 vcc, s7, v15
	v_cndmask_b32_e64 v19, 0, 1, s[10:11]
	s_and_b64 s[30:31], vcc, s[8:9]
	v_cmp_ne_u32_e64 s[10:11], 1, v19
	s_waitcnt lgkmcnt(0)
	s_barrier
	s_and_saveexec_b64 s[24:25], s[30:31]
	s_cbranch_execz .LBB89_511
; %bb.506:                              ;   in Loop: Header=BB89_497 Depth=1
	v_mov_b32_e32 v20, v8
	s_and_b64 vcc, exec, s[10:11]
	v_mov_b32_e32 v19, v7
	s_cbranch_vccnz .LBB89_508
; %bb.507:                              ;   in Loop: Header=BB89_497 Depth=1
	global_load_dwordx2 v[19:20], v[17:18], off
.LBB89_508:                             ;   in Loop: Header=BB89_497 Depth=1
	v_mov_b32_e32 v22, v10
	s_and_b64 vcc, exec, s[10:11]
	v_mov_b32_e32 v21, v9
	s_cbranch_vccnz .LBB89_510
; %bb.509:                              ;   in Loop: Header=BB89_497 Depth=1
	global_load_dwordx2 v[21:22], v[17:18], off offset:8
.LBB89_510:                             ;   in Loop: Header=BB89_497 Depth=1
	ds_read_b128 v[29:32], v25
	s_waitcnt vmcnt(0) lgkmcnt(0)
	v_mul_f64 v[33:34], v[21:22], v[31:32]
	v_mul_f64 v[31:32], v[19:20], v[31:32]
	v_fma_f64 v[19:20], v[19:20], v[29:30], -v[33:34]
	v_fma_f64 v[21:22], v[21:22], v[29:30], v[31:32]
	v_add_f64 v[13:14], v[13:14], v[19:20]
	v_add_f64 v[11:12], v[11:12], v[21:22]
.LBB89_511:                             ;   in Loop: Header=BB89_497 Depth=1
	s_or_b64 exec, exec, s[24:25]
	v_add_u32_e32 v15, 16, v15
	v_cmp_gt_i32_e32 vcc, s7, v15
	s_and_b64 s[30:31], vcc, s[8:9]
	s_and_saveexec_b64 s[24:25], s[30:31]
	s_cbranch_execz .LBB89_496
; %bb.512:                              ;   in Loop: Header=BB89_497 Depth=1
	v_mov_b32_e32 v20, v4
	s_and_b64 vcc, exec, s[10:11]
	v_mov_b32_e32 v19, v3
	s_cbranch_vccnz .LBB89_514
; %bb.513:                              ;   in Loop: Header=BB89_497 Depth=1
	global_load_dwordx2 v[19:20], v[17:18], off offset:256
.LBB89_514:                             ;   in Loop: Header=BB89_497 Depth=1
	v_mov_b32_e32 v22, v6
	s_and_b64 vcc, exec, s[10:11]
	v_mov_b32_e32 v21, v5
	s_cbranch_vccnz .LBB89_495
; %bb.515:                              ;   in Loop: Header=BB89_497 Depth=1
	global_load_dwordx2 v[21:22], v[17:18], off offset:264
	s_branch .LBB89_495
.LBB89_516:
	s_xor_b64 s[4:5], s[22:23], -1
	v_lshlrev_b32_e32 v1, 4, v1
	v_mov_b32_e32 v15, v11
	v_mov_b32_e32 v16, v12
	ds_write_b128 v1, v[13:16] offset:16384
	s_waitcnt lgkmcnt(0)
	s_barrier
	s_and_saveexec_b64 s[6:7], s[2:3]
	s_cbranch_execz .LBB89_518
; %bb.517:
	v_lshlrev_b32_e32 v15, 4, v0
	ds_read_b128 v[3:6], v15 offset:16896
	ds_read_b128 v[7:10], v15 offset:17408
	s_waitcnt lgkmcnt(1)
	v_add_f64 v[3:4], v[13:14], v[3:4]
	v_add_f64 v[5:6], v[11:12], v[5:6]
	s_waitcnt lgkmcnt(0)
	v_add_f64 v[11:12], v[3:4], v[7:8]
	v_add_f64 v[13:14], v[5:6], v[9:10]
	ds_read_b128 v[3:6], v15 offset:17920
	ds_read_b128 v[7:10], v15 offset:18432
	s_waitcnt lgkmcnt(1)
	v_add_f64 v[3:4], v[11:12], v[3:4]
	v_add_f64 v[5:6], v[13:14], v[5:6]
	s_waitcnt lgkmcnt(0)
	v_add_f64 v[11:12], v[3:4], v[7:8]
	v_add_f64 v[13:14], v[5:6], v[9:10]
	ds_read_b128 v[3:6], v15 offset:18944
	ds_read_b128 v[7:10], v15 offset:19456
	s_waitcnt lgkmcnt(1)
	v_add_f64 v[3:4], v[11:12], v[3:4]
	v_add_f64 v[5:6], v[13:14], v[5:6]
	s_waitcnt lgkmcnt(0)
	v_add_f64 v[11:12], v[3:4], v[7:8]
	v_add_f64 v[13:14], v[5:6], v[9:10]
	ds_read_b128 v[3:6], v15 offset:19968
	ds_read_b128 v[7:10], v15 offset:20480
	s_waitcnt lgkmcnt(1)
	v_add_f64 v[3:4], v[11:12], v[3:4]
	v_add_f64 v[5:6], v[13:14], v[5:6]
	s_waitcnt lgkmcnt(0)
	v_add_f64 v[11:12], v[3:4], v[7:8]
	v_add_f64 v[13:14], v[5:6], v[9:10]
	ds_read_b128 v[3:6], v15 offset:20992
	ds_read_b128 v[7:10], v15 offset:21504
	s_waitcnt lgkmcnt(1)
	v_add_f64 v[3:4], v[11:12], v[3:4]
	v_add_f64 v[5:6], v[13:14], v[5:6]
	s_waitcnt lgkmcnt(0)
	v_add_f64 v[11:12], v[3:4], v[7:8]
	v_add_f64 v[13:14], v[5:6], v[9:10]
	ds_read_b128 v[3:6], v15 offset:22016
	ds_read_b128 v[7:10], v15 offset:22528
	s_waitcnt lgkmcnt(1)
	v_add_f64 v[3:4], v[11:12], v[3:4]
	v_add_f64 v[5:6], v[13:14], v[5:6]
	s_waitcnt lgkmcnt(0)
	v_add_f64 v[11:12], v[3:4], v[7:8]
	v_add_f64 v[13:14], v[5:6], v[9:10]
	ds_read_b128 v[3:6], v15 offset:23040
	ds_read_b128 v[7:10], v15 offset:23552
	s_waitcnt lgkmcnt(1)
	v_add_f64 v[3:4], v[11:12], v[3:4]
	v_add_f64 v[5:6], v[13:14], v[5:6]
	s_waitcnt lgkmcnt(0)
	v_add_f64 v[7:8], v[3:4], v[7:8]
	v_add_f64 v[9:10], v[5:6], v[9:10]
	ds_read_b128 v[3:6], v15 offset:24064
	s_waitcnt lgkmcnt(0)
	v_add_f64 v[3:4], v[7:8], v[3:4]
	v_add_f64 v[5:6], v[9:10], v[5:6]
	v_xor_b32_e32 v4, 0x80000000, v4
	v_xor_b32_e32 v6, 0x80000000, v6
	v_cndmask_b32_e64 v13, v3, 0, s[18:19]
	v_cndmask_b32_e64 v14, v4, 0, s[18:19]
	;; [unrolled: 1-line block ×4, first 2 shown]
.LBB89_518:
	s_or_b64 exec, exec, s[6:7]
	s_and_b64 vcc, exec, s[0:1]
	s_cbranch_vccnz .LBB89_527
; %bb.519:
	v_mov_b32_e32 v3, 0x6000
	v_lshl_or_b32 v7, v2, 4, v3
	s_and_saveexec_b64 s[0:1], s[2:3]
; %bb.520:
	v_lshl_add_u32 v3, v0, 4, v7
	v_mov_b32_e32 v15, v11
	v_mov_b32_e32 v16, v12
	ds_write_b128 v3, v[13:16]
; %bb.521:
	s_or_b64 exec, exec, s[0:1]
	v_mov_b32_e32 v3, 0
	v_mov_b32_e32 v5, 0
	;; [unrolled: 1-line block ×4, first 2 shown]
	v_cmp_le_u32_e32 vcc, v2, v0
	s_waitcnt lgkmcnt(0)
	s_barrier
	s_and_saveexec_b64 s[0:1], vcc
	s_cbranch_execz .LBB89_523
; %bb.522:
	ds_read_b128 v[3:6], v7
	ds_read_b128 v[15:18], v1
	s_waitcnt lgkmcnt(0)
	v_mul_f64 v[8:9], v[5:6], v[17:18]
	v_mul_f64 v[17:18], v[3:4], v[17:18]
	v_fma_f64 v[3:4], v[3:4], v[15:16], -v[8:9]
	v_fma_f64 v[5:6], v[5:6], v[15:16], v[17:18]
	v_add_f64 v[3:4], v[3:4], 0
	v_add_f64 v[5:6], v[5:6], 0
.LBB89_523:
	s_or_b64 exec, exec, s[0:1]
	v_add_u32_e32 v2, 16, v2
	v_add_u32_e32 v8, 0x4000, v1
	v_cmp_ge_u32_e32 vcc, v0, v2
	s_and_saveexec_b64 s[0:1], vcc
	s_cbranch_execz .LBB89_525
; %bb.524:
	ds_read_b128 v[15:18], v7 offset:256
	ds_read_b128 v[19:22], v1 offset:8192
	s_waitcnt lgkmcnt(0)
	v_mul_f64 v[1:2], v[17:18], v[21:22]
	v_mul_f64 v[9:10], v[15:16], v[21:22]
	v_fma_f64 v[1:2], v[15:16], v[19:20], -v[1:2]
	v_fma_f64 v[9:10], v[17:18], v[19:20], v[9:10]
	v_add_f64 v[3:4], v[3:4], v[1:2]
	v_add_f64 v[5:6], v[5:6], v[9:10]
.LBB89_525:
	s_or_b64 exec, exec, s[0:1]
	s_mov_b64 s[6:7], 0
	s_mov_b64 s[0:1], 0
	ds_write_b128 v8, v[3:6]
	s_waitcnt lgkmcnt(0)
	s_barrier
                                        ; implicit-def: $vgpr7_vgpr8
                                        ; implicit-def: $vgpr9_vgpr10
                                        ; implicit-def: $vgpr1_vgpr2
	s_and_saveexec_b64 s[8:9], s[2:3]
	s_cbranch_execz .LBB89_540
; %bb.526:
	v_lshlrev_b32_e32 v19, 4, v0
	ds_read_b128 v[7:10], v19 offset:16896
	ds_read_b128 v[15:18], v19 offset:17408
	s_mov_b64 s[0:1], exec
	s_waitcnt lgkmcnt(1)
	v_add_f64 v[1:2], v[3:4], v[7:8]
	v_add_f64 v[3:4], v[5:6], v[9:10]
	s_waitcnt lgkmcnt(0)
	v_add_f64 v[9:10], v[1:2], v[15:16]
	v_add_f64 v[15:16], v[3:4], v[17:18]
	ds_read_b128 v[1:4], v19 offset:17920
	ds_read_b128 v[5:8], v19 offset:18432
	s_waitcnt lgkmcnt(1)
	v_add_f64 v[1:2], v[9:10], v[1:2]
	v_add_f64 v[3:4], v[15:16], v[3:4]
	s_waitcnt lgkmcnt(0)
	v_add_f64 v[9:10], v[1:2], v[5:6]
	v_add_f64 v[15:16], v[3:4], v[7:8]
	ds_read_b128 v[1:4], v19 offset:18944
	ds_read_b128 v[5:8], v19 offset:19456
	;; [unrolled: 8-line block ×6, first 2 shown]
	s_waitcnt lgkmcnt(1)
	v_add_f64 v[1:2], v[9:10], v[1:2]
	v_add_f64 v[3:4], v[15:16], v[3:4]
	v_add_u32_e32 v15, s33, v23
	s_waitcnt lgkmcnt(0)
	v_add_f64 v[9:10], v[1:2], v[5:6]
	v_add_f64 v[7:8], v[3:4], v[7:8]
	ds_read_b128 v[3:6], v19 offset:24064
	v_mad_u64_u32 v[1:2], s[10:11], s16, v15, 0
	s_waitcnt lgkmcnt(0)
	v_add_f64 v[9:10], v[9:10], v[3:4]
	v_add_f64 v[7:8], v[7:8], v[5:6]
	v_mad_u64_u32 v[2:3], s[10:11], s17, v15, v[2:3]
	s_or_b64 exec, exec, s[8:9]
	s_and_b64 vcc, exec, s[6:7]
	s_cbranch_vccnz .LBB89_528
	s_branch .LBB89_541
.LBB89_527:
	s_mov_b64 s[0:1], 0
                                        ; implicit-def: $vgpr7_vgpr8
                                        ; implicit-def: $vgpr9_vgpr10
                                        ; implicit-def: $vgpr1_vgpr2
	s_cbranch_execz .LBB89_541
.LBB89_528:
	v_mul_u32_u24_e32 v1, 0x210, v0
	v_lshlrev_b32_e32 v2, 9, v0
	v_sub_u32_e32 v2, v1, v2
	s_mov_b32 s8, 0
	v_mov_b32_e32 v3, 0
	v_mov_b32_e32 v4, v0
	s_branch .LBB89_530
.LBB89_529:                             ;   in Loop: Header=BB89_530 Depth=1
	s_or_b64 exec, exec, s[6:7]
	s_add_i32 s8, s8, 2
	v_add_u32_e32 v2, 0x400, v2
	s_cmp_lg_u32 s8, 32
	v_add_u32_e32 v4, -2, v4
	s_barrier
	s_cbranch_scc0 .LBB89_538
.LBB89_530:                             ; =>This Inner Loop Header: Depth=1
	v_cmp_eq_u32_e32 vcc, 0, v4
	s_and_b64 s[10:11], s[2:3], vcc
	s_and_saveexec_b64 s[6:7], s[10:11]
	s_cbranch_execz .LBB89_532
; %bb.531:                              ;   in Loop: Header=BB89_530 Depth=1
	ds_read_b128 v[5:8], v1
	s_waitcnt lgkmcnt(0)
	v_mul_f64 v[9:10], v[11:12], v[7:8]
	v_mul_f64 v[7:8], v[13:14], v[7:8]
	v_fma_f64 v[9:10], v[13:14], v[5:6], -v[9:10]
	v_fma_f64 v[11:12], v[11:12], v[5:6], v[7:8]
	v_mov_b32_e32 v14, v10
	v_mov_b32_e32 v13, v9
	ds_write_b128 v3, v[9:12] offset:25088
.LBB89_532:                             ;   in Loop: Header=BB89_530 Depth=1
	s_or_b64 exec, exec, s[6:7]
	v_cmp_lt_u32_e32 vcc, s8, v0
	s_and_b64 s[10:11], s[2:3], vcc
	s_waitcnt lgkmcnt(0)
	s_barrier
	s_and_saveexec_b64 s[6:7], s[10:11]
	s_cbranch_execz .LBB89_534
; %bb.533:                              ;   in Loop: Header=BB89_530 Depth=1
	ds_read_b128 v[5:8], v3 offset:25088
	ds_read_b128 v[15:18], v2
	s_waitcnt lgkmcnt(0)
	v_mul_f64 v[9:10], v[7:8], v[17:18]
	v_mul_f64 v[17:18], v[5:6], v[17:18]
	v_fma_f64 v[5:6], v[5:6], v[15:16], -v[9:10]
	v_fma_f64 v[7:8], v[7:8], v[15:16], v[17:18]
	v_add_f64 v[13:14], v[13:14], v[5:6]
	v_add_f64 v[11:12], v[11:12], v[7:8]
.LBB89_534:                             ;   in Loop: Header=BB89_530 Depth=1
	s_or_b64 exec, exec, s[6:7]
	s_or_b32 s9, s8, 1
	v_cmp_eq_u32_e32 vcc, s9, v0
	s_and_b64 s[10:11], s[2:3], vcc
	s_barrier
	s_and_saveexec_b64 s[6:7], s[10:11]
	s_cbranch_execz .LBB89_536
; %bb.535:                              ;   in Loop: Header=BB89_530 Depth=1
	ds_read_b128 v[5:8], v1
	s_waitcnt lgkmcnt(0)
	v_mul_f64 v[9:10], v[11:12], v[7:8]
	v_mul_f64 v[7:8], v[13:14], v[7:8]
	v_fma_f64 v[9:10], v[13:14], v[5:6], -v[9:10]
	v_fma_f64 v[11:12], v[11:12], v[5:6], v[7:8]
	v_mov_b32_e32 v14, v10
	v_mov_b32_e32 v13, v9
	ds_write_b128 v3, v[9:12] offset:25088
.LBB89_536:                             ;   in Loop: Header=BB89_530 Depth=1
	s_or_b64 exec, exec, s[6:7]
	v_cmp_lt_u32_e32 vcc, s9, v0
	s_and_b64 s[10:11], s[2:3], vcc
	s_waitcnt lgkmcnt(0)
	s_barrier
	s_and_saveexec_b64 s[6:7], s[10:11]
	s_cbranch_execz .LBB89_529
; %bb.537:                              ;   in Loop: Header=BB89_530 Depth=1
	ds_read_b128 v[5:8], v3 offset:25088
	ds_read_b128 v[15:18], v2 offset:512
	s_waitcnt lgkmcnt(0)
	v_mul_f64 v[9:10], v[7:8], v[17:18]
	v_mul_f64 v[17:18], v[5:6], v[17:18]
	v_fma_f64 v[5:6], v[5:6], v[15:16], -v[9:10]
	v_fma_f64 v[7:8], v[7:8], v[15:16], v[17:18]
	v_add_f64 v[13:14], v[13:14], v[5:6]
	v_add_f64 v[11:12], v[11:12], v[7:8]
	s_branch .LBB89_529
.LBB89_538:
	s_and_b64 vcc, exec, s[4:5]
	s_cbranch_vccz .LBB89_542
; %bb.539:
	s_and_b64 s[4:5], s[2:3], exec
	s_cbranch_execz .LBB89_543
	s_branch .LBB89_544
.LBB89_540:
	s_or_b64 exec, exec, s[8:9]
	s_and_b64 vcc, exec, s[6:7]
	s_cbranch_vccnz .LBB89_528
.LBB89_541:
	v_mov_b32_e32 v12, v8
	v_mov_b32_e32 v14, v10
	;; [unrolled: 1-line block ×4, first 2 shown]
	s_and_saveexec_b64 s[2:3], s[0:1]
	s_cbranch_execnz .LBB89_547
	s_branch .LBB89_548
.LBB89_542:
	s_mov_b64 s[4:5], 0
.LBB89_543:
	v_cmp_gt_i32_e32 vcc, s91, v0
	s_and_b64 s[2:3], s[2:3], vcc
	s_andn2_b64 s[4:5], s[4:5], exec
	s_and_b64 s[2:3], s[2:3], exec
	s_or_b64 s[4:5], s[4:5], s[2:3]
.LBB89_544:
                                        ; implicit-def: $vgpr1_vgpr2
	s_and_saveexec_b64 s[2:3], s[4:5]
	s_cbranch_execz .LBB89_546
; %bb.545:
	v_mov_b32_e32 v0, s90
	v_add_co_u32_e32 v1, vcc, s33, v23
	v_addc_co_u32_e32 v0, vcc, 0, v0, vcc
	v_mul_lo_u32 v0, v0, s16
	v_mul_lo_u32 v3, v1, s17
	v_mad_u64_u32 v[1:2], s[4:5], v1, s16, 0
	s_or_b64 s[0:1], s[0:1], exec
	v_add3_u32 v2, v2, v3, v0
.LBB89_546:
	s_or_b64 exec, exec, s[2:3]
	s_and_saveexec_b64 s[2:3], s[0:1]
	s_cbranch_execz .LBB89_548
.LBB89_547:
	v_lshlrev_b64 v[0:1], 4, v[1:2]
	v_mov_b32_e32 v2, s29
	v_add_co_u32_e32 v0, vcc, s28, v0
	v_addc_co_u32_e32 v1, vcc, v2, v1, vcc
	v_mov_b32_e32 v15, v11
	v_mov_b32_e32 v16, v12
	global_store_dwordx4 v[0:1], v[13:16], off
.LBB89_548:
	s_or_b64 exec, exec, s[2:3]
	v_cmp_eq_u32_e32 vcc, 0, v23
	s_waitcnt vmcnt(0)
	buffer_wbinvl1_vol
	s_barrier
	s_and_saveexec_b64 s[0:1], vcc
	s_cbranch_execz .LBB89_550
; %bb.549:
	s_lshl_b64 s[2:3], s[34:35], 2
	s_add_u32 s2, s14, s2
	s_addc_u32 s3, s15, s3
	v_mov_b32_e32 v0, 0
	global_load_dword v1, v0, s[2:3]
	s_waitcnt vmcnt(0)
	v_add_u32_e32 v1, 1, v1
	global_store_dword v0, v1, s[2:3]
.LBB89_550:
	s_or_b64 exec, exec, s[0:1]
	s_waitcnt vmcnt(0)
	buffer_wbinvl1_vol
	s_endpgm
.LBB89_551:
	ds_read_b128 v[24:27], v23 offset:14800
	ds_read_b128 v[28:31], v22 offset:15232
	s_waitcnt lgkmcnt(0)
	v_mul_f64 v[32:33], v[26:27], v[30:31]
	v_mul_f64 v[30:31], v[24:25], v[30:31]
	v_fma_f64 v[24:25], v[24:25], v[28:29], -v[32:33]
	v_fma_f64 v[26:27], v[26:27], v[28:29], v[30:31]
	v_add_f64 v[11:12], v[11:12], v[24:25]
	v_add_f64 v[13:14], v[13:14], v[26:27]
	s_or_b64 exec, exec, s[18:19]
	v_cmp_gt_u32_e64 s[12:13], 8, v18
	s_and_saveexec_b64 s[18:19], s[12:13]
	s_cbranch_execz .LBB89_89
.LBB89_552:
	ds_read_b128 v[23:26], v23 offset:14816
	ds_read_b128 v[27:30], v22 offset:15744
	s_waitcnt lgkmcnt(0)
	v_mul_f64 v[31:32], v[25:26], v[29:30]
	v_mul_f64 v[29:30], v[23:24], v[29:30]
	v_fma_f64 v[22:23], v[23:24], v[27:28], -v[31:32]
	v_fma_f64 v[24:25], v[25:26], v[27:28], v[29:30]
	v_add_f64 v[11:12], v[11:12], v[22:23]
	v_add_f64 v[13:14], v[13:14], v[24:25]
	s_or_b64 exec, exec, s[18:19]
	v_cmp_gt_u32_e64 s[12:13], 4, v18
	s_and_saveexec_b64 s[18:19], s[12:13]
	s_cbranch_execnz .LBB89_90
	s_branch .LBB89_91
.LBB89_553:
	ds_read_b128 v[27:30], v26 offset:12688
	ds_read_b128 v[31:34], v25 offset:13056
	s_waitcnt lgkmcnt(0)
	v_mul_f64 v[35:36], v[29:30], v[33:34]
	v_mul_f64 v[33:34], v[27:28], v[33:34]
	v_fma_f64 v[27:28], v[27:28], v[31:32], -v[35:36]
	v_fma_f64 v[29:30], v[29:30], v[31:32], v[33:34]
	v_add_f64 v[11:12], v[11:12], v[27:28]
	v_add_f64 v[13:14], v[13:14], v[29:30]
	s_or_b64 exec, exec, s[56:57]
	v_cmp_gt_u32_e64 s[14:15], 48, v18
	s_and_saveexec_b64 s[56:57], s[14:15]
	s_cbranch_execz .LBB89_131
.LBB89_554:
	ds_read_b128 v[27:30], v26 offset:12704
	ds_read_b128 v[31:34], v25 offset:13568
	s_waitcnt lgkmcnt(0)
	v_mul_f64 v[35:36], v[29:30], v[33:34]
	v_mul_f64 v[33:34], v[27:28], v[33:34]
	v_fma_f64 v[27:28], v[27:28], v[31:32], -v[35:36]
	v_fma_f64 v[29:30], v[29:30], v[31:32], v[33:34]
	v_add_f64 v[11:12], v[11:12], v[27:28]
	v_add_f64 v[13:14], v[13:14], v[29:30]
	s_or_b64 exec, exec, s[56:57]
	v_cmp_gt_u32_e64 s[14:15], 40, v18
	s_and_saveexec_b64 s[56:57], s[14:15]
	s_cbranch_execz .LBB89_132
.LBB89_555:
	ds_read_b128 v[27:30], v26 offset:12720
	ds_read_b128 v[31:34], v25 offset:14080
	s_waitcnt lgkmcnt(0)
	v_mul_f64 v[35:36], v[29:30], v[33:34]
	v_mul_f64 v[33:34], v[27:28], v[33:34]
	v_fma_f64 v[27:28], v[27:28], v[31:32], -v[35:36]
	v_fma_f64 v[29:30], v[29:30], v[31:32], v[33:34]
	v_add_f64 v[11:12], v[11:12], v[27:28]
	v_add_f64 v[13:14], v[13:14], v[29:30]
	s_or_b64 exec, exec, s[56:57]
	v_cmp_gt_u32_e64 s[14:15], 32, v18
	s_and_saveexec_b64 s[56:57], s[14:15]
	s_cbranch_execz .LBB89_133
.LBB89_556:
	ds_read_b128 v[27:30], v26 offset:12736
	ds_read_b128 v[31:34], v25 offset:14592
	s_waitcnt lgkmcnt(0)
	v_mul_f64 v[35:36], v[29:30], v[33:34]
	v_mul_f64 v[33:34], v[27:28], v[33:34]
	v_fma_f64 v[27:28], v[27:28], v[31:32], -v[35:36]
	v_fma_f64 v[29:30], v[29:30], v[31:32], v[33:34]
	v_add_f64 v[11:12], v[11:12], v[27:28]
	v_add_f64 v[13:14], v[13:14], v[29:30]
	s_or_b64 exec, exec, s[56:57]
	v_cmp_gt_u32_e64 s[14:15], 24, v18
	s_and_saveexec_b64 s[56:57], s[14:15]
	s_cbranch_execz .LBB89_134
.LBB89_557:
	ds_read_b128 v[27:30], v26 offset:12752
	ds_read_b128 v[31:34], v25 offset:15104
	s_waitcnt lgkmcnt(0)
	v_mul_f64 v[35:36], v[29:30], v[33:34]
	v_mul_f64 v[33:34], v[27:28], v[33:34]
	v_fma_f64 v[27:28], v[27:28], v[31:32], -v[35:36]
	v_fma_f64 v[29:30], v[29:30], v[31:32], v[33:34]
	v_add_f64 v[11:12], v[11:12], v[27:28]
	v_add_f64 v[13:14], v[13:14], v[29:30]
	s_or_b64 exec, exec, s[56:57]
	s_and_saveexec_b64 s[14:15], s[16:17]
	s_cbranch_execz .LBB89_135
.LBB89_558:
	ds_read_b128 v[26:29], v26 offset:12768
	ds_read_b128 v[30:33], v25 offset:15616
	s_waitcnt lgkmcnt(0)
	v_mul_f64 v[34:35], v[28:29], v[32:33]
	v_mul_f64 v[32:33], v[26:27], v[32:33]
	v_fma_f64 v[25:26], v[26:27], v[30:31], -v[34:35]
	v_fma_f64 v[27:28], v[28:29], v[30:31], v[32:33]
	v_add_f64 v[11:12], v[11:12], v[25:26]
	v_add_f64 v[13:14], v[13:14], v[27:28]
	s_or_b64 exec, exec, s[14:15]
	v_cmp_gt_u32_e64 s[14:15], 8, v18
	s_and_saveexec_b64 s[56:57], s[14:15]
	s_cbranch_execnz .LBB89_136
	s_branch .LBB89_137
.LBB89_559:
	ds_read_b128 v[27:30], v26 offset:10576
	ds_read_b128 v[31:34], v25 offset:11008
	s_waitcnt lgkmcnt(0)
	v_mul_f64 v[35:36], v[29:30], v[33:34]
	v_mul_f64 v[33:34], v[27:28], v[33:34]
	v_fma_f64 v[27:28], v[27:28], v[31:32], -v[35:36]
	v_fma_f64 v[29:30], v[29:30], v[31:32], v[33:34]
	v_add_f64 v[11:12], v[11:12], v[27:28]
	v_add_f64 v[13:14], v[13:14], v[29:30]
	s_or_b64 exec, exec, s[18:19]
	v_cmp_gt_u32_e64 s[12:13], 8, v18
	s_and_saveexec_b64 s[18:19], s[12:13]
	s_cbranch_execz .LBB89_193
.LBB89_560:
	ds_read_b128 v[26:29], v26 offset:10592
	ds_read_b128 v[30:33], v25 offset:11520
	s_waitcnt lgkmcnt(0)
	v_mul_f64 v[34:35], v[28:29], v[32:33]
	v_mul_f64 v[32:33], v[26:27], v[32:33]
	v_fma_f64 v[25:26], v[26:27], v[30:31], -v[34:35]
	v_fma_f64 v[27:28], v[28:29], v[30:31], v[32:33]
	v_add_f64 v[11:12], v[11:12], v[25:26]
	v_add_f64 v[13:14], v[13:14], v[27:28]
	s_or_b64 exec, exec, s[18:19]
	v_cmp_gt_u32_e64 s[12:13], 4, v18
	s_and_saveexec_b64 s[18:19], s[12:13]
	s_cbranch_execnz .LBB89_194
	s_branch .LBB89_195
.LBB89_561:
	ds_read_b128 v[30:33], v29 offset:8624
	ds_read_b128 v[34:37], v28 offset:13824
	s_waitcnt lgkmcnt(0)
	v_mul_f64 v[38:39], v[32:33], v[36:37]
	v_mul_f64 v[36:37], v[30:31], v[36:37]
	v_fma_f64 v[30:31], v[30:31], v[34:35], -v[38:39]
	v_fma_f64 v[32:33], v[32:33], v[34:35], v[36:37]
	v_add_f64 v[11:12], v[11:12], v[30:31]
	v_add_f64 v[13:14], v[13:14], v[32:33]
	s_or_b64 exec, exec, s[88:89]
	s_and_saveexec_b64 s[18:19], s[8:9]
	s_cbranch_execz .LBB89_255
.LBB89_562:
	ds_read_b128 v[30:33], v29 offset:8640
	ds_read_b128 v[34:37], v28 offset:14336
	s_waitcnt lgkmcnt(0)
	v_mul_f64 v[38:39], v[32:33], v[36:37]
	v_mul_f64 v[36:37], v[30:31], v[36:37]
	v_fma_f64 v[30:31], v[30:31], v[34:35], -v[38:39]
	v_fma_f64 v[32:33], v[32:33], v[34:35], v[36:37]
	v_add_f64 v[11:12], v[11:12], v[30:31]
	v_add_f64 v[13:14], v[13:14], v[32:33]
	s_or_b64 exec, exec, s[18:19]
	v_cmp_gt_u32_e64 s[18:19], 48, v18
	s_and_saveexec_b64 s[88:89], s[18:19]
	s_cbranch_execz .LBB89_256
.LBB89_563:
	ds_read_b128 v[30:33], v29 offset:8656
	ds_read_b128 v[34:37], v28 offset:14848
	s_waitcnt lgkmcnt(0)
	v_mul_f64 v[38:39], v[32:33], v[36:37]
	v_mul_f64 v[36:37], v[30:31], v[36:37]
	v_fma_f64 v[30:31], v[30:31], v[34:35], -v[38:39]
	v_fma_f64 v[32:33], v[32:33], v[34:35], v[36:37]
	v_add_f64 v[11:12], v[11:12], v[30:31]
	v_add_f64 v[13:14], v[13:14], v[32:33]
	s_or_b64 exec, exec, s[88:89]
	v_cmp_gt_u32_e64 s[18:19], 32, v18
	s_and_saveexec_b64 s[88:89], s[18:19]
	s_cbranch_execz .LBB89_257
.LBB89_564:
	ds_read_b128 v[29:32], v29 offset:8672
	ds_read_b128 v[33:36], v28 offset:15360
	s_waitcnt lgkmcnt(0)
	v_mul_f64 v[37:38], v[31:32], v[35:36]
	v_mul_f64 v[35:36], v[29:30], v[35:36]
	v_fma_f64 v[28:29], v[29:30], v[33:34], -v[37:38]
	v_fma_f64 v[30:31], v[31:32], v[33:34], v[35:36]
	v_add_f64 v[11:12], v[11:12], v[28:29]
	v_add_f64 v[13:14], v[13:14], v[30:31]
	s_or_b64 exec, exec, s[88:89]
	v_cmp_gt_u32_e64 s[18:19], 16, v18
	s_and_saveexec_b64 s[88:89], s[18:19]
	s_cbranch_execnz .LBB89_258
	s_branch .LBB89_259
.LBB89_565:
	ds_read_b128 v[27:30], v26 offset:6352
	ds_read_b128 v[31:34], v25 offset:6784
	s_waitcnt lgkmcnt(0)
	v_mul_f64 v[35:36], v[29:30], v[33:34]
	v_mul_f64 v[33:34], v[27:28], v[33:34]
	v_fma_f64 v[27:28], v[27:28], v[31:32], -v[35:36]
	v_fma_f64 v[29:30], v[29:30], v[31:32], v[33:34]
	v_add_f64 v[11:12], v[11:12], v[27:28]
	v_add_f64 v[13:14], v[13:14], v[29:30]
	s_or_b64 exec, exec, s[14:15]
	v_cmp_gt_u32_e64 s[10:11], 8, v18
	s_and_saveexec_b64 s[14:15], s[10:11]
	s_cbranch_execz .LBB89_347
.LBB89_566:
	ds_read_b128 v[26:29], v26 offset:6368
	ds_read_b128 v[30:33], v25 offset:7296
	s_waitcnt lgkmcnt(0)
	v_mul_f64 v[34:35], v[28:29], v[32:33]
	v_mul_f64 v[32:33], v[26:27], v[32:33]
	v_fma_f64 v[25:26], v[26:27], v[30:31], -v[34:35]
	v_fma_f64 v[27:28], v[28:29], v[30:31], v[32:33]
	v_add_f64 v[11:12], v[11:12], v[25:26]
	v_add_f64 v[13:14], v[13:14], v[27:28]
	s_or_b64 exec, exec, s[14:15]
	v_cmp_gt_u32_e64 s[10:11], 4, v18
	s_and_saveexec_b64 s[14:15], s[10:11]
	s_cbranch_execnz .LBB89_348
	s_branch .LBB89_349
.LBB89_567:
	ds_read_b128 v[27:30], v26 offset:4240
	ds_read_b128 v[31:34], v25 offset:4608
	s_waitcnt lgkmcnt(0)
	v_mul_f64 v[35:36], v[29:30], v[33:34]
	v_mul_f64 v[33:34], v[27:28], v[33:34]
	v_fma_f64 v[27:28], v[27:28], v[31:32], -v[35:36]
	v_fma_f64 v[29:30], v[29:30], v[31:32], v[33:34]
	v_add_f64 v[11:12], v[11:12], v[27:28]
	v_add_f64 v[13:14], v[13:14], v[29:30]
	s_or_b64 exec, exec, s[14:15]
	v_cmp_gt_u32_e64 s[10:11], 48, v18
	s_and_saveexec_b64 s[14:15], s[10:11]
	s_cbranch_execz .LBB89_389
.LBB89_568:
	ds_read_b128 v[27:30], v26 offset:4256
	ds_read_b128 v[31:34], v25 offset:5120
	s_waitcnt lgkmcnt(0)
	v_mul_f64 v[35:36], v[29:30], v[33:34]
	v_mul_f64 v[33:34], v[27:28], v[33:34]
	v_fma_f64 v[27:28], v[27:28], v[31:32], -v[35:36]
	v_fma_f64 v[29:30], v[29:30], v[31:32], v[33:34]
	v_add_f64 v[11:12], v[11:12], v[27:28]
	v_add_f64 v[13:14], v[13:14], v[29:30]
	s_or_b64 exec, exec, s[14:15]
	v_cmp_gt_u32_e64 s[10:11], 40, v18
	s_and_saveexec_b64 s[14:15], s[10:11]
	s_cbranch_execz .LBB89_390
.LBB89_569:
	ds_read_b128 v[27:30], v26 offset:4272
	ds_read_b128 v[31:34], v25 offset:5632
	s_waitcnt lgkmcnt(0)
	v_mul_f64 v[35:36], v[29:30], v[33:34]
	v_mul_f64 v[33:34], v[27:28], v[33:34]
	v_fma_f64 v[27:28], v[27:28], v[31:32], -v[35:36]
	v_fma_f64 v[29:30], v[29:30], v[31:32], v[33:34]
	v_add_f64 v[11:12], v[11:12], v[27:28]
	v_add_f64 v[13:14], v[13:14], v[29:30]
	s_or_b64 exec, exec, s[14:15]
	v_cmp_gt_u32_e64 s[10:11], 32, v18
	s_and_saveexec_b64 s[14:15], s[10:11]
	s_cbranch_execz .LBB89_391
.LBB89_570:
	ds_read_b128 v[27:30], v26 offset:4288
	ds_read_b128 v[31:34], v25 offset:6144
	s_waitcnt lgkmcnt(0)
	v_mul_f64 v[35:36], v[29:30], v[33:34]
	v_mul_f64 v[33:34], v[27:28], v[33:34]
	v_fma_f64 v[27:28], v[27:28], v[31:32], -v[35:36]
	v_fma_f64 v[29:30], v[29:30], v[31:32], v[33:34]
	v_add_f64 v[11:12], v[11:12], v[27:28]
	v_add_f64 v[13:14], v[13:14], v[29:30]
	s_or_b64 exec, exec, s[14:15]
	v_cmp_gt_u32_e64 s[10:11], 24, v18
	s_and_saveexec_b64 s[14:15], s[10:11]
	s_cbranch_execz .LBB89_392
.LBB89_571:
	ds_read_b128 v[27:30], v26 offset:4304
	ds_read_b128 v[31:34], v25 offset:6656
	s_waitcnt lgkmcnt(0)
	v_mul_f64 v[35:36], v[29:30], v[33:34]
	v_mul_f64 v[33:34], v[27:28], v[33:34]
	v_fma_f64 v[27:28], v[27:28], v[31:32], -v[35:36]
	v_fma_f64 v[29:30], v[29:30], v[31:32], v[33:34]
	v_add_f64 v[11:12], v[11:12], v[27:28]
	v_add_f64 v[13:14], v[13:14], v[29:30]
	s_or_b64 exec, exec, s[14:15]
	s_and_saveexec_b64 s[10:11], s[16:17]
	s_cbranch_execz .LBB89_393
.LBB89_572:
	ds_read_b128 v[26:29], v26 offset:4320
	ds_read_b128 v[30:33], v25 offset:7168
	s_waitcnt lgkmcnt(0)
	v_mul_f64 v[34:35], v[28:29], v[32:33]
	v_mul_f64 v[32:33], v[26:27], v[32:33]
	v_fma_f64 v[25:26], v[26:27], v[30:31], -v[34:35]
	v_fma_f64 v[27:28], v[28:29], v[30:31], v[32:33]
	v_add_f64 v[11:12], v[11:12], v[25:26]
	v_add_f64 v[13:14], v[13:14], v[27:28]
	s_or_b64 exec, exec, s[10:11]
	v_cmp_gt_u32_e64 s[10:11], 8, v18
	s_and_saveexec_b64 s[14:15], s[10:11]
	s_cbranch_execnz .LBB89_394
	s_branch .LBB89_395
.LBB89_573:
	ds_read_b128 v[24:27], v23 offset:2128
	ds_read_b128 v[28:31], v22 offset:2560
	s_waitcnt lgkmcnt(0)
	v_mul_f64 v[32:33], v[26:27], v[30:31]
	v_mul_f64 v[30:31], v[24:25], v[30:31]
	v_fma_f64 v[24:25], v[24:25], v[28:29], -v[32:33]
	v_fma_f64 v[26:27], v[26:27], v[28:29], v[30:31]
	v_add_f64 v[11:12], v[11:12], v[24:25]
	v_add_f64 v[13:14], v[13:14], v[26:27]
	s_or_b64 exec, exec, s[12:13]
	v_cmp_gt_u32_e64 s[8:9], 8, v18
	s_and_saveexec_b64 s[12:13], s[8:9]
	s_cbranch_execz .LBB89_451
.LBB89_574:
	ds_read_b128 v[23:26], v23 offset:2144
	ds_read_b128 v[27:30], v22 offset:3072
	s_waitcnt lgkmcnt(0)
	v_mul_f64 v[31:32], v[25:26], v[29:30]
	v_mul_f64 v[29:30], v[23:24], v[29:30]
	v_fma_f64 v[22:23], v[23:24], v[27:28], -v[31:32]
	v_fma_f64 v[24:25], v[25:26], v[27:28], v[29:30]
	v_add_f64 v[11:12], v[11:12], v[22:23]
	v_add_f64 v[13:14], v[13:14], v[24:25]
	s_or_b64 exec, exec, s[12:13]
	v_cmp_gt_u32_e64 s[8:9], 4, v18
	s_and_saveexec_b64 s[12:13], s[8:9]
	s_cbranch_execnz .LBB89_452
	s_branch .LBB89_453
	.section	.rodata,"a",@progbits
	.p2align	6, 0x0
	.amdhsa_kernel _ZL19rocblas_trsv_deviceILi32ELi16ELb0ELb1ELb0ELb0E19rocblas_complex_numIdES1_PKS1_PS1_EviT7_lllT6_T8_lllPii
		.amdhsa_group_segment_fixed_size 25104
		.amdhsa_private_segment_fixed_size 0
		.amdhsa_kernarg_size 360
		.amdhsa_user_sgpr_count 6
		.amdhsa_user_sgpr_private_segment_buffer 1
		.amdhsa_user_sgpr_dispatch_ptr 0
		.amdhsa_user_sgpr_queue_ptr 0
		.amdhsa_user_sgpr_kernarg_segment_ptr 1
		.amdhsa_user_sgpr_dispatch_id 0
		.amdhsa_user_sgpr_flat_scratch_init 0
		.amdhsa_user_sgpr_private_segment_size 0
		.amdhsa_uses_dynamic_stack 0
		.amdhsa_system_sgpr_private_segment_wavefront_offset 0
		.amdhsa_system_sgpr_workgroup_id_x 1
		.amdhsa_system_sgpr_workgroup_id_y 0
		.amdhsa_system_sgpr_workgroup_id_z 1
		.amdhsa_system_sgpr_workgroup_info 0
		.amdhsa_system_vgpr_workitem_id 1
		.amdhsa_next_free_vgpr 49
		.amdhsa_next_free_sgpr 98
		.amdhsa_reserve_vcc 1
		.amdhsa_reserve_flat_scratch 0
		.amdhsa_float_round_mode_32 0
		.amdhsa_float_round_mode_16_64 0
		.amdhsa_float_denorm_mode_32 3
		.amdhsa_float_denorm_mode_16_64 3
		.amdhsa_dx10_clamp 1
		.amdhsa_ieee_mode 1
		.amdhsa_fp16_overflow 0
		.amdhsa_exception_fp_ieee_invalid_op 0
		.amdhsa_exception_fp_denorm_src 0
		.amdhsa_exception_fp_ieee_div_zero 0
		.amdhsa_exception_fp_ieee_overflow 0
		.amdhsa_exception_fp_ieee_underflow 0
		.amdhsa_exception_fp_ieee_inexact 0
		.amdhsa_exception_int_div_zero 0
	.end_amdhsa_kernel
	.section	.text._ZL19rocblas_trsv_deviceILi32ELi16ELb0ELb1ELb0ELb0E19rocblas_complex_numIdES1_PKS1_PS1_EviT7_lllT6_T8_lllPii,"axG",@progbits,_ZL19rocblas_trsv_deviceILi32ELi16ELb0ELb1ELb0ELb0E19rocblas_complex_numIdES1_PKS1_PS1_EviT7_lllT6_T8_lllPii,comdat
.Lfunc_end89:
	.size	_ZL19rocblas_trsv_deviceILi32ELi16ELb0ELb1ELb0ELb0E19rocblas_complex_numIdES1_PKS1_PS1_EviT7_lllT6_T8_lllPii, .Lfunc_end89-_ZL19rocblas_trsv_deviceILi32ELi16ELb0ELb1ELb0ELb0E19rocblas_complex_numIdES1_PKS1_PS1_EviT7_lllT6_T8_lllPii
                                        ; -- End function
	.set _ZL19rocblas_trsv_deviceILi32ELi16ELb0ELb1ELb0ELb0E19rocblas_complex_numIdES1_PKS1_PS1_EviT7_lllT6_T8_lllPii.num_vgpr, 40
	.set _ZL19rocblas_trsv_deviceILi32ELi16ELb0ELb1ELb0ELb0E19rocblas_complex_numIdES1_PKS1_PS1_EviT7_lllT6_T8_lllPii.num_agpr, 0
	.set _ZL19rocblas_trsv_deviceILi32ELi16ELb0ELb1ELb0ELb0E19rocblas_complex_numIdES1_PKS1_PS1_EviT7_lllT6_T8_lllPii.numbered_sgpr, 95
	.set _ZL19rocblas_trsv_deviceILi32ELi16ELb0ELb1ELb0ELb0E19rocblas_complex_numIdES1_PKS1_PS1_EviT7_lllT6_T8_lllPii.num_named_barrier, 0
	.set _ZL19rocblas_trsv_deviceILi32ELi16ELb0ELb1ELb0ELb0E19rocblas_complex_numIdES1_PKS1_PS1_EviT7_lllT6_T8_lllPii.private_seg_size, 0
	.set _ZL19rocblas_trsv_deviceILi32ELi16ELb0ELb1ELb0ELb0E19rocblas_complex_numIdES1_PKS1_PS1_EviT7_lllT6_T8_lllPii.uses_vcc, 1
	.set _ZL19rocblas_trsv_deviceILi32ELi16ELb0ELb1ELb0ELb0E19rocblas_complex_numIdES1_PKS1_PS1_EviT7_lllT6_T8_lllPii.uses_flat_scratch, 0
	.set _ZL19rocblas_trsv_deviceILi32ELi16ELb0ELb1ELb0ELb0E19rocblas_complex_numIdES1_PKS1_PS1_EviT7_lllT6_T8_lllPii.has_dyn_sized_stack, 0
	.set _ZL19rocblas_trsv_deviceILi32ELi16ELb0ELb1ELb0ELb0E19rocblas_complex_numIdES1_PKS1_PS1_EviT7_lllT6_T8_lllPii.has_recursion, 0
	.set _ZL19rocblas_trsv_deviceILi32ELi16ELb0ELb1ELb0ELb0E19rocblas_complex_numIdES1_PKS1_PS1_EviT7_lllT6_T8_lllPii.has_indirect_call, 0
	.section	.AMDGPU.csdata,"",@progbits
; Kernel info:
; codeLenInByte = 28912
; TotalNumSgprs: 99
; NumVgprs: 40
; ScratchSize: 0
; MemoryBound: 1
; FloatMode: 240
; IeeeMode: 1
; LDSByteSize: 25104 bytes/workgroup (compile time only)
; SGPRBlocks: 12
; VGPRBlocks: 12
; NumSGPRsForWavesPerEU: 102
; NumVGPRsForWavesPerEU: 49
; Occupancy: 4
; WaveLimiterHint : 0
; COMPUTE_PGM_RSRC2:SCRATCH_EN: 0
; COMPUTE_PGM_RSRC2:USER_SGPR: 6
; COMPUTE_PGM_RSRC2:TRAP_HANDLER: 0
; COMPUTE_PGM_RSRC2:TGID_X_EN: 1
; COMPUTE_PGM_RSRC2:TGID_Y_EN: 0
; COMPUTE_PGM_RSRC2:TGID_Z_EN: 1
; COMPUTE_PGM_RSRC2:TIDIG_COMP_CNT: 1
	.section	.text._ZL19rocblas_trsv_deviceILi32ELi16ELb0ELb1ELb1ELb0E19rocblas_complex_numIdES1_PKS1_PS1_EviT7_lllT6_T8_lllPii,"axG",@progbits,_ZL19rocblas_trsv_deviceILi32ELi16ELb0ELb1ELb1ELb0E19rocblas_complex_numIdES1_PKS1_PS1_EviT7_lllT6_T8_lllPii,comdat
	.globl	_ZL19rocblas_trsv_deviceILi32ELi16ELb0ELb1ELb1ELb0E19rocblas_complex_numIdES1_PKS1_PS1_EviT7_lllT6_T8_lllPii ; -- Begin function _ZL19rocblas_trsv_deviceILi32ELi16ELb0ELb1ELb1ELb0E19rocblas_complex_numIdES1_PKS1_PS1_EviT7_lllT6_T8_lllPii
	.p2align	8
	.type	_ZL19rocblas_trsv_deviceILi32ELi16ELb0ELb1ELb1ELb0E19rocblas_complex_numIdES1_PKS1_PS1_EviT7_lllT6_T8_lllPii,@function
_ZL19rocblas_trsv_deviceILi32ELi16ELb0ELb1ELb1ELb0E19rocblas_complex_numIdES1_PKS1_PS1_EviT7_lllT6_T8_lllPii: ; @_ZL19rocblas_trsv_deviceILi32ELi16ELb0ELb1ELb1ELb0E19rocblas_complex_numIdES1_PKS1_PS1_EviT7_lllT6_T8_lllPii
; %bb.0:
	s_mov_b32 s34, s7
	s_load_dwordx16 s[16:31], s[4:5], 0x8
	s_load_dword s7, s[4:5], 0x0
	s_load_dword s94, s[4:5], 0x74
	v_mov_b32_e32 v2, v1
	s_mov_b32 s35, 0
	s_waitcnt lgkmcnt(0)
	s_mul_i32 s0, s23, s34
	s_mul_hi_u32 s1, s22, s34
	s_add_i32 s1, s1, s0
	s_mul_i32 s0, s22, s34
	s_lshl_b64 s[0:1], s[0:1], 4
	s_add_u32 s2, s16, s0
	s_addc_u32 s3, s17, s1
	s_lshl_b64 s[0:1], s[18:19], 4
	s_add_u32 s92, s2, s0
	s_addc_u32 s93, s3, s1
	s_cmp_eq_u32 s6, 0
	s_cbranch_scc1 .LBB90_6
; %bb.1:
	s_lshl_b32 s33, s6, 5
	v_add_u32_e32 v1, s33, v0
	v_ashrrev_i32_e32 v3, 31, v1
	v_mul_lo_u32 v7, s20, v3
	v_mul_lo_u32 v8, s21, v1
	v_mad_u64_u32 v[5:6], s[0:1], s20, v1, 0
	v_add_u32_e32 v3, s33, v2
	v_subrev_u32_e32 v3, 32, v3
	v_add3_u32 v6, v6, v7, v8
	v_lshlrev_b64 v[5:6], 4, v[5:6]
	v_ashrrev_i32_e32 v4, 31, v3
	v_cmp_gt_i32_e32 vcc, s7, v1
	v_mov_b32_e32 v1, s93
	v_add_co_u32_e64 v7, s[0:1], s92, v5
	v_lshlrev_b64 v[4:5], 4, v[3:4]
	v_addc_co_u32_e64 v1, s[0:1], v1, v6, s[0:1]
	v_add_co_u32_e64 v11, s[0:1], v7, v4
	v_addc_co_u32_e64 v12, s[0:1], v1, v5, s[0:1]
	v_cmp_gt_i32_e64 s[0:1], s7, v3
	v_mov_b32_e32 v5, 0
	v_mov_b32_e32 v7, 0
	;; [unrolled: 1-line block ×6, first 2 shown]
	s_and_b64 s[2:3], s[0:1], vcc
	s_barrier
	s_and_saveexec_b64 s[0:1], s[2:3]
	s_cbranch_execz .LBB90_3
; %bb.2:
	global_load_dwordx4 v[7:10], v[11:12], off
.LBB90_3:
	s_or_b64 exec, exec, s[0:1]
	v_add_u32_e32 v1, 16, v3
	v_cmp_gt_i32_e64 s[0:1], s7, v1
	v_mov_b32_e32 v3, 0
	v_mov_b32_e32 v4, 0
	s_and_b64 s[2:3], s[0:1], vcc
	s_waitcnt vmcnt(0)
	s_barrier
	s_and_saveexec_b64 s[0:1], s[2:3]
	s_cbranch_execz .LBB90_5
; %bb.4:
	global_load_dwordx4 v[3:6], v[11:12], off offset:256
.LBB90_5:
	s_or_b64 exec, exec, s[0:1]
	s_branch .LBB90_7
.LBB90_6:
                                        ; implicit-def: $vgpr5_vgpr6
                                        ; implicit-def: $vgpr9_vgpr10
	s_mov_b32 s33, s35
.LBB90_7:
	s_ashr_i32 s0, s7, 31
	s_lshr_b32 s0, s0, 27
	s_add_i32 s0, s7, s0
	s_andn2_b32 s0, s0, 31
	s_sub_i32 s91, s7, s0
	s_add_i32 s0, s7, -1
	s_ashr_i32 s1, s0, 31
	s_lshr_b32 s1, s1, 27
	s_add_i32 s0, s0, s1
	s_ashr_i32 s0, s0, 5
	s_cmp_eq_u32 s0, s6
	s_cselect_b64 s[0:1], -1, 0
	s_cmp_lg_u32 s91, 0
	s_cselect_b64 s[2:3], -1, 0
	s_and_b64 s[22:23], s[2:3], s[0:1]
	s_cmp_lt_i32 s6, 5
	s_cselect_b64 s[2:3], -1, 0
	s_or_b64 s[0:1], s[2:3], s[22:23]
	s_ashr_i32 s90, s33, 31
	s_add_u32 s10, s20, 1
	v_mov_b32_e32 v1, 0
	v_mov_b32_e32 v11, s33
	v_mad_u64_u32 v[19:20], s[8:9], s10, v11, v[0:1]
	s_addc_u32 s11, s21, 0
	s_mul_i32 s8, s10, s90
	s_mul_i32 s11, s11, s33
	v_lshlrev_b32_e32 v21, 5, v0
	s_add_i32 s8, s8, s11
	s_mov_b64 s[12:13], -1
	v_add_u32_e32 v20, s8, v20
	s_and_b64 vcc, exec, s[22:23]
	v_add_u32_e32 v22, v2, v21
	v_cmp_le_u32_e64 s[8:9], v2, v0
	v_lshl_add_u32 v1, v2, 5, v0
	s_cbranch_vccnz .LBB90_37
; %bb.8:
	v_mad_u64_u32 v[11:12], s[10:11], s20, v2, v[19:20]
	v_cndmask_b32_e64 v23, v1, v22, s[2:3]
	v_mad_u64_u32 v[12:13], s[10:11], s21, v2, v[12:13]
	s_and_saveexec_b64 s[2:3], s[8:9]
	s_xor_b64 s[2:3], exec, s[2:3]
	s_cbranch_execz .LBB90_20
; %bb.9:
	v_cmp_ne_u32_e32 vcc, v0, v2
	s_and_saveexec_b64 s[8:9], vcc
	s_xor_b64 s[8:9], exec, s[8:9]
	s_cbranch_execz .LBB90_13
; %bb.10:
	v_or_b32_e32 v11, v2, v0
	v_cmp_gt_u32_e32 vcc, 32, v11
	s_and_saveexec_b64 s[10:11], vcc
	s_cbranch_execz .LBB90_12
; %bb.11:
	v_mov_b32_e32 v11, 0
	v_lshlrev_b32_e32 v15, 4, v23
	v_mov_b32_e32 v12, v11
	v_mov_b32_e32 v13, v11
	;; [unrolled: 1-line block ×3, first 2 shown]
	ds_write_b128 v15, v[11:14]
.LBB90_12:
	s_or_b64 exec, exec, s[10:11]
                                        ; implicit-def: $vgpr23
                                        ; implicit-def: $vgpr11_vgpr12
.LBB90_13:
	s_andn2_saveexec_b64 s[8:9], s[8:9]
	s_cbranch_execz .LBB90_19
; %bb.14:
	v_lshlrev_b64 v[11:12], 4, v[11:12]
	v_mov_b32_e32 v13, s93
	v_add_co_u32_e32 v11, vcc, s92, v11
	v_addc_co_u32_e32 v12, vcc, v13, v12, vcc
	global_load_dwordx4 v[11:14], v[11:12], off
                                        ; implicit-def: $vgpr15_vgpr16
	s_waitcnt vmcnt(0)
	v_cmp_ngt_f64_e64 s[10:11], |v[11:12]|, |v[13:14]|
	s_and_saveexec_b64 s[12:13], s[10:11]
	s_xor_b64 s[10:11], exec, s[12:13]
	s_cbranch_execz .LBB90_16
; %bb.15:
	v_div_scale_f64 v[15:16], s[12:13], -v[13:14], -v[13:14], v[11:12]
	v_rcp_f64_e32 v[17:18], v[15:16]
	v_fma_f64 v[24:25], -v[15:16], v[17:18], 1.0
	v_fma_f64 v[17:18], v[17:18], v[24:25], v[17:18]
	v_div_scale_f64 v[24:25], vcc, v[11:12], -v[13:14], v[11:12]
	v_fma_f64 v[26:27], -v[15:16], v[17:18], 1.0
	v_fma_f64 v[17:18], v[17:18], v[26:27], v[17:18]
	v_mul_f64 v[26:27], v[24:25], v[17:18]
	v_fma_f64 v[15:16], -v[15:16], v[26:27], v[24:25]
	v_div_fmas_f64 v[15:16], v[15:16], v[17:18], v[26:27]
	v_div_fixup_f64 v[15:16], v[15:16], -v[13:14], v[11:12]
	v_fma_f64 v[11:12], v[11:12], v[15:16], -v[13:14]
	v_div_scale_f64 v[13:14], s[12:13], v[11:12], v[11:12], 1.0
	v_div_scale_f64 v[26:27], vcc, 1.0, v[11:12], 1.0
	v_rcp_f64_e32 v[17:18], v[13:14]
	v_fma_f64 v[24:25], -v[13:14], v[17:18], 1.0
	v_fma_f64 v[17:18], v[17:18], v[24:25], v[17:18]
	v_fma_f64 v[24:25], -v[13:14], v[17:18], 1.0
	v_fma_f64 v[17:18], v[17:18], v[24:25], v[17:18]
	v_mul_f64 v[24:25], v[26:27], v[17:18]
	v_fma_f64 v[13:14], -v[13:14], v[24:25], v[26:27]
	v_div_fmas_f64 v[13:14], v[13:14], v[17:18], v[24:25]
	v_div_fixup_f64 v[17:18], v[13:14], v[11:12], 1.0
                                        ; implicit-def: $vgpr11_vgpr12
	v_mul_f64 v[15:16], v[15:16], v[17:18]
	v_xor_b32_e32 v18, 0x80000000, v18
.LBB90_16:
	s_andn2_saveexec_b64 s[10:11], s[10:11]
	s_cbranch_execz .LBB90_18
; %bb.17:
	v_div_scale_f64 v[15:16], s[12:13], v[11:12], v[11:12], -v[13:14]
	v_rcp_f64_e32 v[17:18], v[15:16]
	v_fma_f64 v[24:25], -v[15:16], v[17:18], 1.0
	v_fma_f64 v[17:18], v[17:18], v[24:25], v[17:18]
	v_div_scale_f64 v[24:25], vcc, -v[13:14], v[11:12], -v[13:14]
	v_fma_f64 v[26:27], -v[15:16], v[17:18], 1.0
	v_fma_f64 v[17:18], v[17:18], v[26:27], v[17:18]
	v_mul_f64 v[26:27], v[24:25], v[17:18]
	v_fma_f64 v[15:16], -v[15:16], v[26:27], v[24:25]
	v_div_fmas_f64 v[15:16], v[15:16], v[17:18], v[26:27]
	v_div_fixup_f64 v[17:18], v[15:16], v[11:12], -v[13:14]
	v_fma_f64 v[11:12], -v[13:14], v[17:18], v[11:12]
	v_div_scale_f64 v[13:14], s[12:13], v[11:12], v[11:12], 1.0
	v_div_scale_f64 v[26:27], vcc, 1.0, v[11:12], 1.0
	v_rcp_f64_e32 v[15:16], v[13:14]
	v_fma_f64 v[24:25], -v[13:14], v[15:16], 1.0
	v_fma_f64 v[15:16], v[15:16], v[24:25], v[15:16]
	v_fma_f64 v[24:25], -v[13:14], v[15:16], 1.0
	v_fma_f64 v[15:16], v[15:16], v[24:25], v[15:16]
	v_mul_f64 v[24:25], v[26:27], v[15:16]
	v_fma_f64 v[13:14], -v[13:14], v[24:25], v[26:27]
	v_div_fmas_f64 v[13:14], v[13:14], v[15:16], v[24:25]
	v_div_fixup_f64 v[15:16], v[13:14], v[11:12], 1.0
	v_mul_f64 v[17:18], v[17:18], -v[15:16]
.LBB90_18:
	s_or_b64 exec, exec, s[10:11]
	v_lshlrev_b32_e32 v11, 4, v23
	ds_write_b128 v11, v[15:18]
.LBB90_19:
	s_or_b64 exec, exec, s[8:9]
                                        ; implicit-def: $vgpr11_vgpr12
                                        ; implicit-def: $vgpr23
.LBB90_20:
	s_andn2_saveexec_b64 s[2:3], s[2:3]
	s_cbranch_execz .LBB90_22
; %bb.21:
	v_lshlrev_b64 v[11:12], 4, v[11:12]
	v_mov_b32_e32 v13, s93
	v_add_co_u32_e32 v11, vcc, s92, v11
	v_addc_co_u32_e32 v12, vcc, v13, v12, vcc
	global_load_dwordx4 v[11:14], v[11:12], off
	v_lshlrev_b32_e32 v15, 4, v23
	s_waitcnt vmcnt(0)
	v_xor_b32_e32 v12, 0x80000000, v12
	ds_write_b128 v15, v[11:14]
.LBB90_22:
	s_or_b64 exec, exec, s[2:3]
	v_add_u32_e32 v13, 16, v2
	v_mad_u64_u32 v[11:12], s[2:3], s20, v13, v[19:20]
	v_cmp_le_u32_e32 vcc, v13, v0
	v_mad_u64_u32 v[14:15], s[2:3], s21, v13, v[12:13]
	v_add_u32_e32 v12, v13, v21
	v_lshl_add_u32 v15, v13, 5, v0
	v_cndmask_b32_e64 v23, v15, v12, s[0:1]
	v_mov_b32_e32 v12, v14
	s_and_saveexec_b64 s[2:3], vcc
	s_xor_b64 s[2:3], exec, s[2:3]
	s_cbranch_execz .LBB90_34
; %bb.23:
	v_cmp_ne_u32_e32 vcc, v0, v13
	s_and_saveexec_b64 s[8:9], vcc
	s_xor_b64 s[8:9], exec, s[8:9]
	s_cbranch_execz .LBB90_27
; %bb.24:
	v_or_b32_e32 v11, v13, v0
	v_cmp_gt_u32_e32 vcc, 32, v11
	s_and_saveexec_b64 s[10:11], vcc
	s_cbranch_execz .LBB90_26
; %bb.25:
	v_mov_b32_e32 v11, 0
	v_lshlrev_b32_e32 v15, 4, v23
	v_mov_b32_e32 v12, v11
	v_mov_b32_e32 v13, v11
	;; [unrolled: 1-line block ×3, first 2 shown]
	ds_write_b128 v15, v[11:14]
.LBB90_26:
	s_or_b64 exec, exec, s[10:11]
                                        ; implicit-def: $vgpr23
                                        ; implicit-def: $vgpr11_vgpr12
.LBB90_27:
	s_andn2_saveexec_b64 s[8:9], s[8:9]
	s_cbranch_execz .LBB90_33
; %bb.28:
	v_lshlrev_b64 v[11:12], 4, v[11:12]
	v_mov_b32_e32 v13, s93
	v_add_co_u32_e32 v11, vcc, s92, v11
	v_addc_co_u32_e32 v12, vcc, v13, v12, vcc
	global_load_dwordx4 v[11:14], v[11:12], off
                                        ; implicit-def: $vgpr15_vgpr16
	s_waitcnt vmcnt(0)
	v_cmp_ngt_f64_e64 s[10:11], |v[11:12]|, |v[13:14]|
	s_and_saveexec_b64 s[12:13], s[10:11]
	s_xor_b64 s[10:11], exec, s[12:13]
	s_cbranch_execz .LBB90_30
; %bb.29:
	v_div_scale_f64 v[15:16], s[12:13], -v[13:14], -v[13:14], v[11:12]
	v_rcp_f64_e32 v[17:18], v[15:16]
	v_fma_f64 v[24:25], -v[15:16], v[17:18], 1.0
	v_fma_f64 v[17:18], v[17:18], v[24:25], v[17:18]
	v_div_scale_f64 v[24:25], vcc, v[11:12], -v[13:14], v[11:12]
	v_fma_f64 v[26:27], -v[15:16], v[17:18], 1.0
	v_fma_f64 v[17:18], v[17:18], v[26:27], v[17:18]
	v_mul_f64 v[26:27], v[24:25], v[17:18]
	v_fma_f64 v[15:16], -v[15:16], v[26:27], v[24:25]
	v_div_fmas_f64 v[15:16], v[15:16], v[17:18], v[26:27]
	v_div_fixup_f64 v[15:16], v[15:16], -v[13:14], v[11:12]
	v_fma_f64 v[11:12], v[11:12], v[15:16], -v[13:14]
	v_div_scale_f64 v[13:14], s[12:13], v[11:12], v[11:12], 1.0
	v_div_scale_f64 v[26:27], vcc, 1.0, v[11:12], 1.0
	v_rcp_f64_e32 v[17:18], v[13:14]
	v_fma_f64 v[24:25], -v[13:14], v[17:18], 1.0
	v_fma_f64 v[17:18], v[17:18], v[24:25], v[17:18]
	v_fma_f64 v[24:25], -v[13:14], v[17:18], 1.0
	v_fma_f64 v[17:18], v[17:18], v[24:25], v[17:18]
	v_mul_f64 v[24:25], v[26:27], v[17:18]
	v_fma_f64 v[13:14], -v[13:14], v[24:25], v[26:27]
	v_div_fmas_f64 v[13:14], v[13:14], v[17:18], v[24:25]
	v_div_fixup_f64 v[17:18], v[13:14], v[11:12], 1.0
                                        ; implicit-def: $vgpr11_vgpr12
	v_mul_f64 v[15:16], v[15:16], v[17:18]
	v_xor_b32_e32 v18, 0x80000000, v18
.LBB90_30:
	s_andn2_saveexec_b64 s[10:11], s[10:11]
	s_cbranch_execz .LBB90_32
; %bb.31:
	v_div_scale_f64 v[15:16], s[12:13], v[11:12], v[11:12], -v[13:14]
	v_rcp_f64_e32 v[17:18], v[15:16]
	v_fma_f64 v[24:25], -v[15:16], v[17:18], 1.0
	v_fma_f64 v[17:18], v[17:18], v[24:25], v[17:18]
	v_div_scale_f64 v[24:25], vcc, -v[13:14], v[11:12], -v[13:14]
	v_fma_f64 v[26:27], -v[15:16], v[17:18], 1.0
	v_fma_f64 v[17:18], v[17:18], v[26:27], v[17:18]
	v_mul_f64 v[26:27], v[24:25], v[17:18]
	v_fma_f64 v[15:16], -v[15:16], v[26:27], v[24:25]
	v_div_fmas_f64 v[15:16], v[15:16], v[17:18], v[26:27]
	v_div_fixup_f64 v[17:18], v[15:16], v[11:12], -v[13:14]
	v_fma_f64 v[11:12], -v[13:14], v[17:18], v[11:12]
	v_div_scale_f64 v[13:14], s[12:13], v[11:12], v[11:12], 1.0
	v_div_scale_f64 v[26:27], vcc, 1.0, v[11:12], 1.0
	v_rcp_f64_e32 v[15:16], v[13:14]
	v_fma_f64 v[24:25], -v[13:14], v[15:16], 1.0
	v_fma_f64 v[15:16], v[15:16], v[24:25], v[15:16]
	v_fma_f64 v[24:25], -v[13:14], v[15:16], 1.0
	v_fma_f64 v[15:16], v[15:16], v[24:25], v[15:16]
	v_mul_f64 v[24:25], v[26:27], v[15:16]
	v_fma_f64 v[13:14], -v[13:14], v[24:25], v[26:27]
	v_div_fmas_f64 v[13:14], v[13:14], v[15:16], v[24:25]
	v_div_fixup_f64 v[15:16], v[13:14], v[11:12], 1.0
	v_mul_f64 v[17:18], v[17:18], -v[15:16]
.LBB90_32:
	s_or_b64 exec, exec, s[10:11]
	v_lshlrev_b32_e32 v11, 4, v23
	ds_write_b128 v11, v[15:18]
.LBB90_33:
	s_or_b64 exec, exec, s[8:9]
                                        ; implicit-def: $vgpr11_vgpr12
                                        ; implicit-def: $vgpr23
.LBB90_34:
	s_andn2_saveexec_b64 s[2:3], s[2:3]
	s_cbranch_execz .LBB90_36
; %bb.35:
	v_lshlrev_b64 v[11:12], 4, v[11:12]
	v_mov_b32_e32 v13, s93
	v_add_co_u32_e32 v11, vcc, s92, v11
	v_addc_co_u32_e32 v12, vcc, v13, v12, vcc
	global_load_dwordx4 v[11:14], v[11:12], off
	v_lshlrev_b32_e32 v15, 4, v23
	s_waitcnt vmcnt(0)
	v_xor_b32_e32 v12, 0x80000000, v12
	ds_write_b128 v15, v[11:14]
.LBB90_36:
	s_or_b64 exec, exec, s[2:3]
	s_mov_b64 s[12:13], 0
.LBB90_37:
	s_xor_b64 s[10:11], s[0:1], -1
	s_and_b64 vcc, exec, s[12:13]
	s_cbranch_vccz .LBB90_67
; %bb.38:
	v_mad_u64_u32 v[11:12], s[2:3], s20, v2, v[19:20]
	v_cmp_le_u32_e32 vcc, v2, v0
	v_cmp_gt_i32_e64 s[2:3], s91, v0
	v_mad_u64_u32 v[12:13], s[8:9], s21, v2, v[12:13]
	v_max_i32_e32 v13, v2, v0
	v_cmp_le_i32_e64 s[8:9], s91, v13
	s_or_b64 s[8:9], s[8:9], vcc
	s_and_saveexec_b64 s[12:13], s[8:9]
	s_xor_b64 s[8:9], exec, s[12:13]
	s_cbranch_execz .LBB90_50
; %bb.39:
	v_cmp_ne_u32_e32 vcc, v0, v2
	s_xor_b64 s[12:13], s[2:3], -1
	s_or_b64 s[12:13], s[12:13], vcc
	s_and_saveexec_b64 s[14:15], s[12:13]
	s_xor_b64 s[12:13], exec, s[14:15]
	s_cbranch_execz .LBB90_43
; %bb.40:
	v_or_b32_e32 v11, v2, v0
	v_cmp_gt_u32_e32 vcc, 32, v11
	s_and_saveexec_b64 s[14:15], vcc
	s_cbranch_execz .LBB90_42
; %bb.41:
	v_mov_b32_e32 v11, 0
	v_lshlrev_b32_e32 v15, 4, v22
	v_mov_b32_e32 v12, v11
	v_mov_b32_e32 v13, v11
	;; [unrolled: 1-line block ×3, first 2 shown]
	ds_write_b128 v15, v[11:14]
.LBB90_42:
	s_or_b64 exec, exec, s[14:15]
                                        ; implicit-def: $vgpr22
                                        ; implicit-def: $vgpr11_vgpr12
.LBB90_43:
	s_andn2_saveexec_b64 s[12:13], s[12:13]
	s_cbranch_execz .LBB90_49
; %bb.44:
	v_lshlrev_b64 v[11:12], 4, v[11:12]
	v_mov_b32_e32 v13, s93
	v_add_co_u32_e32 v11, vcc, s92, v11
	v_addc_co_u32_e32 v12, vcc, v13, v12, vcc
	global_load_dwordx4 v[11:14], v[11:12], off
                                        ; implicit-def: $vgpr15_vgpr16
	s_waitcnt vmcnt(0)
	v_cmp_ngt_f64_e64 s[14:15], |v[11:12]|, |v[13:14]|
	s_and_saveexec_b64 s[16:17], s[14:15]
	s_xor_b64 s[14:15], exec, s[16:17]
	s_cbranch_execz .LBB90_46
; %bb.45:
	v_div_scale_f64 v[15:16], s[16:17], -v[13:14], -v[13:14], v[11:12]
	v_rcp_f64_e32 v[17:18], v[15:16]
	v_fma_f64 v[23:24], -v[15:16], v[17:18], 1.0
	v_fma_f64 v[17:18], v[17:18], v[23:24], v[17:18]
	v_div_scale_f64 v[23:24], vcc, v[11:12], -v[13:14], v[11:12]
	v_fma_f64 v[25:26], -v[15:16], v[17:18], 1.0
	v_fma_f64 v[17:18], v[17:18], v[25:26], v[17:18]
	v_mul_f64 v[25:26], v[23:24], v[17:18]
	v_fma_f64 v[15:16], -v[15:16], v[25:26], v[23:24]
	v_div_fmas_f64 v[15:16], v[15:16], v[17:18], v[25:26]
	v_div_fixup_f64 v[15:16], v[15:16], -v[13:14], v[11:12]
	v_fma_f64 v[11:12], v[11:12], v[15:16], -v[13:14]
	v_div_scale_f64 v[13:14], s[16:17], v[11:12], v[11:12], 1.0
	v_div_scale_f64 v[25:26], vcc, 1.0, v[11:12], 1.0
	v_rcp_f64_e32 v[17:18], v[13:14]
	v_fma_f64 v[23:24], -v[13:14], v[17:18], 1.0
	v_fma_f64 v[17:18], v[17:18], v[23:24], v[17:18]
	v_fma_f64 v[23:24], -v[13:14], v[17:18], 1.0
	v_fma_f64 v[17:18], v[17:18], v[23:24], v[17:18]
	v_mul_f64 v[23:24], v[25:26], v[17:18]
	v_fma_f64 v[13:14], -v[13:14], v[23:24], v[25:26]
	v_div_fmas_f64 v[13:14], v[13:14], v[17:18], v[23:24]
	v_div_fixup_f64 v[17:18], v[13:14], v[11:12], 1.0
                                        ; implicit-def: $vgpr11_vgpr12
	v_mul_f64 v[15:16], v[15:16], v[17:18]
	v_xor_b32_e32 v18, 0x80000000, v18
.LBB90_46:
	s_andn2_saveexec_b64 s[14:15], s[14:15]
	s_cbranch_execz .LBB90_48
; %bb.47:
	v_div_scale_f64 v[15:16], s[16:17], v[11:12], v[11:12], -v[13:14]
	v_rcp_f64_e32 v[17:18], v[15:16]
	v_fma_f64 v[23:24], -v[15:16], v[17:18], 1.0
	v_fma_f64 v[17:18], v[17:18], v[23:24], v[17:18]
	v_div_scale_f64 v[23:24], vcc, -v[13:14], v[11:12], -v[13:14]
	v_fma_f64 v[25:26], -v[15:16], v[17:18], 1.0
	v_fma_f64 v[17:18], v[17:18], v[25:26], v[17:18]
	v_mul_f64 v[25:26], v[23:24], v[17:18]
	v_fma_f64 v[15:16], -v[15:16], v[25:26], v[23:24]
	v_div_fmas_f64 v[15:16], v[15:16], v[17:18], v[25:26]
	v_div_fixup_f64 v[17:18], v[15:16], v[11:12], -v[13:14]
	v_fma_f64 v[11:12], -v[13:14], v[17:18], v[11:12]
	v_div_scale_f64 v[13:14], s[16:17], v[11:12], v[11:12], 1.0
	v_div_scale_f64 v[25:26], vcc, 1.0, v[11:12], 1.0
	v_rcp_f64_e32 v[15:16], v[13:14]
	v_fma_f64 v[23:24], -v[13:14], v[15:16], 1.0
	v_fma_f64 v[15:16], v[15:16], v[23:24], v[15:16]
	v_fma_f64 v[23:24], -v[13:14], v[15:16], 1.0
	v_fma_f64 v[15:16], v[15:16], v[23:24], v[15:16]
	v_mul_f64 v[23:24], v[25:26], v[15:16]
	v_fma_f64 v[13:14], -v[13:14], v[23:24], v[25:26]
	v_div_fmas_f64 v[13:14], v[13:14], v[15:16], v[23:24]
	v_div_fixup_f64 v[15:16], v[13:14], v[11:12], 1.0
	v_mul_f64 v[17:18], v[17:18], -v[15:16]
.LBB90_48:
	s_or_b64 exec, exec, s[14:15]
	v_lshlrev_b32_e32 v11, 4, v22
	ds_write_b128 v11, v[15:18]
.LBB90_49:
	s_or_b64 exec, exec, s[12:13]
                                        ; implicit-def: $vgpr11_vgpr12
                                        ; implicit-def: $vgpr22
.LBB90_50:
	s_andn2_saveexec_b64 s[8:9], s[8:9]
	s_cbranch_execz .LBB90_52
; %bb.51:
	v_lshlrev_b64 v[11:12], 4, v[11:12]
	v_mov_b32_e32 v13, s93
	v_add_co_u32_e32 v11, vcc, s92, v11
	v_addc_co_u32_e32 v12, vcc, v13, v12, vcc
	global_load_dwordx4 v[11:14], v[11:12], off
	v_lshlrev_b32_e32 v15, 4, v22
	s_waitcnt vmcnt(0)
	v_xor_b32_e32 v12, 0x80000000, v12
	ds_write_b128 v15, v[11:14]
.LBB90_52:
	s_or_b64 exec, exec, s[8:9]
	v_add_u32_e32 v13, 16, v2
	v_mad_u64_u32 v[11:12], s[8:9], s20, v13, v[19:20]
	v_add_u32_e32 v16, v13, v21
	v_cmp_gt_u32_e32 vcc, v13, v0
	v_mad_u64_u32 v[14:15], s[8:9], s21, v13, v[12:13]
	v_lshl_add_u32 v12, v13, 5, v0
	v_cndmask_b32_e64 v19, v12, v16, s[0:1]
	v_cmp_gt_i32_e64 s[0:1], s91, v13
	s_and_b64 s[0:1], vcc, s[0:1]
	s_and_b64 s[0:1], s[2:3], s[0:1]
	v_mov_b32_e32 v12, v14
	s_xor_b64 s[0:1], s[0:1], -1
	s_and_saveexec_b64 s[8:9], s[0:1]
	s_xor_b64 s[0:1], exec, s[8:9]
	s_cbranch_execz .LBB90_64
; %bb.53:
	v_cmp_ne_u32_e32 vcc, v0, v13
	s_xor_b64 s[2:3], s[2:3], -1
	s_or_b64 s[2:3], s[2:3], vcc
	s_and_saveexec_b64 s[8:9], s[2:3]
	s_xor_b64 s[2:3], exec, s[8:9]
	s_cbranch_execz .LBB90_57
; %bb.54:
	v_or_b32_e32 v11, v13, v0
	v_cmp_gt_u32_e32 vcc, 32, v11
	s_and_saveexec_b64 s[8:9], vcc
	s_cbranch_execz .LBB90_56
; %bb.55:
	v_mov_b32_e32 v11, 0
	v_lshlrev_b32_e32 v15, 4, v19
	v_mov_b32_e32 v12, v11
	v_mov_b32_e32 v13, v11
	;; [unrolled: 1-line block ×3, first 2 shown]
	ds_write_b128 v15, v[11:14]
.LBB90_56:
	s_or_b64 exec, exec, s[8:9]
                                        ; implicit-def: $vgpr19
                                        ; implicit-def: $vgpr11_vgpr12
.LBB90_57:
	s_andn2_saveexec_b64 s[2:3], s[2:3]
	s_cbranch_execz .LBB90_63
; %bb.58:
	v_lshlrev_b64 v[11:12], 4, v[11:12]
	v_mov_b32_e32 v13, s93
	v_add_co_u32_e32 v11, vcc, s92, v11
	v_addc_co_u32_e32 v12, vcc, v13, v12, vcc
	global_load_dwordx4 v[11:14], v[11:12], off
                                        ; implicit-def: $vgpr15_vgpr16
	s_waitcnt vmcnt(0)
	v_cmp_ngt_f64_e64 s[8:9], |v[11:12]|, |v[13:14]|
	s_and_saveexec_b64 s[12:13], s[8:9]
	s_xor_b64 s[8:9], exec, s[12:13]
	s_cbranch_execz .LBB90_60
; %bb.59:
	v_div_scale_f64 v[15:16], s[12:13], -v[13:14], -v[13:14], v[11:12]
	v_rcp_f64_e32 v[17:18], v[15:16]
	v_fma_f64 v[20:21], -v[15:16], v[17:18], 1.0
	v_fma_f64 v[17:18], v[17:18], v[20:21], v[17:18]
	v_div_scale_f64 v[20:21], vcc, v[11:12], -v[13:14], v[11:12]
	v_fma_f64 v[22:23], -v[15:16], v[17:18], 1.0
	v_fma_f64 v[17:18], v[17:18], v[22:23], v[17:18]
	v_mul_f64 v[22:23], v[20:21], v[17:18]
	v_fma_f64 v[15:16], -v[15:16], v[22:23], v[20:21]
	v_div_fmas_f64 v[15:16], v[15:16], v[17:18], v[22:23]
	v_div_fixup_f64 v[15:16], v[15:16], -v[13:14], v[11:12]
	v_fma_f64 v[11:12], v[11:12], v[15:16], -v[13:14]
	v_div_scale_f64 v[13:14], s[12:13], v[11:12], v[11:12], 1.0
	v_div_scale_f64 v[22:23], vcc, 1.0, v[11:12], 1.0
	v_rcp_f64_e32 v[17:18], v[13:14]
	v_fma_f64 v[20:21], -v[13:14], v[17:18], 1.0
	v_fma_f64 v[17:18], v[17:18], v[20:21], v[17:18]
	v_fma_f64 v[20:21], -v[13:14], v[17:18], 1.0
	v_fma_f64 v[17:18], v[17:18], v[20:21], v[17:18]
	v_mul_f64 v[20:21], v[22:23], v[17:18]
	v_fma_f64 v[13:14], -v[13:14], v[20:21], v[22:23]
	v_div_fmas_f64 v[13:14], v[13:14], v[17:18], v[20:21]
	v_div_fixup_f64 v[17:18], v[13:14], v[11:12], 1.0
                                        ; implicit-def: $vgpr11_vgpr12
	v_mul_f64 v[15:16], v[15:16], v[17:18]
	v_xor_b32_e32 v18, 0x80000000, v18
.LBB90_60:
	s_andn2_saveexec_b64 s[8:9], s[8:9]
	s_cbranch_execz .LBB90_62
; %bb.61:
	v_div_scale_f64 v[15:16], s[12:13], v[11:12], v[11:12], -v[13:14]
	v_rcp_f64_e32 v[17:18], v[15:16]
	v_fma_f64 v[20:21], -v[15:16], v[17:18], 1.0
	v_fma_f64 v[17:18], v[17:18], v[20:21], v[17:18]
	v_div_scale_f64 v[20:21], vcc, -v[13:14], v[11:12], -v[13:14]
	v_fma_f64 v[22:23], -v[15:16], v[17:18], 1.0
	v_fma_f64 v[17:18], v[17:18], v[22:23], v[17:18]
	v_mul_f64 v[22:23], v[20:21], v[17:18]
	v_fma_f64 v[15:16], -v[15:16], v[22:23], v[20:21]
	v_div_fmas_f64 v[15:16], v[15:16], v[17:18], v[22:23]
	v_div_fixup_f64 v[17:18], v[15:16], v[11:12], -v[13:14]
	v_fma_f64 v[11:12], -v[13:14], v[17:18], v[11:12]
	v_div_scale_f64 v[13:14], s[12:13], v[11:12], v[11:12], 1.0
	v_div_scale_f64 v[22:23], vcc, 1.0, v[11:12], 1.0
	v_rcp_f64_e32 v[15:16], v[13:14]
	v_fma_f64 v[20:21], -v[13:14], v[15:16], 1.0
	v_fma_f64 v[15:16], v[15:16], v[20:21], v[15:16]
	v_fma_f64 v[20:21], -v[13:14], v[15:16], 1.0
	v_fma_f64 v[15:16], v[15:16], v[20:21], v[15:16]
	v_mul_f64 v[20:21], v[22:23], v[15:16]
	v_fma_f64 v[13:14], -v[13:14], v[20:21], v[22:23]
	v_div_fmas_f64 v[13:14], v[13:14], v[15:16], v[20:21]
	v_div_fixup_f64 v[15:16], v[13:14], v[11:12], 1.0
	v_mul_f64 v[17:18], v[17:18], -v[15:16]
.LBB90_62:
	s_or_b64 exec, exec, s[8:9]
	v_lshlrev_b32_e32 v11, 4, v19
	ds_write_b128 v11, v[15:18]
.LBB90_63:
	s_or_b64 exec, exec, s[2:3]
                                        ; implicit-def: $vgpr11_vgpr12
                                        ; implicit-def: $vgpr19
.LBB90_64:
	s_andn2_saveexec_b64 s[0:1], s[0:1]
	s_cbranch_execz .LBB90_66
; %bb.65:
	v_lshlrev_b64 v[11:12], 4, v[11:12]
	v_mov_b32_e32 v13, s93
	v_add_co_u32_e32 v11, vcc, s92, v11
	v_addc_co_u32_e32 v12, vcc, v13, v12, vcc
	global_load_dwordx4 v[11:14], v[11:12], off
	v_lshlrev_b32_e32 v15, 4, v19
	s_waitcnt vmcnt(0)
	v_xor_b32_e32 v12, 0x80000000, v12
	ds_write_b128 v15, v[11:14]
.LBB90_66:
	s_or_b64 exec, exec, s[0:1]
.LBB90_67:
	v_cndmask_b32_e64 v11, 0, 1, s[10:11]
	v_cmp_ne_u32_e64 s[0:1], 1, v11
	s_andn2_b64 vcc, exec, s[10:11]
	s_waitcnt vmcnt(0) lgkmcnt(0)
	s_barrier
	s_cbranch_vccnz .LBB90_491
; %bb.68:
	v_or_b32_e32 v11, v0, v2
	v_cmp_eq_u32_e32 vcc, 0, v11
	s_and_saveexec_b64 s[2:3], vcc
	s_cbranch_execz .LBB90_70
; %bb.69:
	v_mov_b32_e32 v25, 0
	ds_read_b128 v[11:14], v25 offset:16368
	ds_read_b128 v[15:18], v25 offset:15840
	;; [unrolled: 1-line block ×3, first 2 shown]
	s_waitcnt lgkmcnt(1)
	v_mul_f64 v[23:24], v[11:12], v[17:18]
	v_mul_f64 v[17:18], v[13:14], v[17:18]
	v_fma_f64 v[13:14], v[13:14], v[15:16], v[23:24]
	v_fma_f64 v[11:12], v[11:12], v[15:16], -v[17:18]
	s_waitcnt lgkmcnt(0)
	v_mul_f64 v[15:16], v[13:14], v[21:22]
	v_mul_f64 v[17:18], v[11:12], v[21:22]
	v_fma_f64 v[11:12], v[19:20], v[11:12], -v[15:16]
	v_fma_f64 v[13:14], v[19:20], v[13:14], v[17:18]
	ds_write_b128 v25, v[11:14] offset:16352
	ds_write_b128 v25, v[11:14] offset:15856
.LBB90_70:
	s_or_b64 exec, exec, s[2:3]
	v_lshlrev_b32_e32 v11, 5, v2
	v_add_u32_e32 v18, v11, v0
	v_add_u16_e32 v11, v11, v0
	v_lshrrev_b16_e32 v17, 1, v11
	v_mov_b32_e32 v11, 0
	v_mov_b32_e32 v13, 0
	v_and_b32_e32 v15, 1, v0
	v_sub_u32_e32 v16, 1, v17
	v_cmp_lt_u32_e64 s[8:9], 3, v18
	v_mov_b32_e32 v12, 0
	v_mov_b32_e32 v14, 0
	v_cmp_gt_u32_e64 s[2:3], 4, v18
	s_waitcnt lgkmcnt(0)
	s_barrier
	buffer_wbinvl1_vol
	s_and_saveexec_b64 s[12:13], s[2:3]
	s_cbranch_execz .LBB90_74
; %bb.71:
	v_lshlrev_b32_e32 v19, 4, v15
	v_lshlrev_b32_e32 v11, 9, v16
	ds_read_b128 v[11:14], v11 offset:15840
	ds_read_b128 v[19:22], v19 offset:15808
	v_cmp_gt_u32_e64 s[10:11], 2, v18
	s_waitcnt lgkmcnt(0)
	v_mul_f64 v[23:24], v[13:14], v[21:22]
	v_mul_f64 v[21:22], v[11:12], v[21:22]
	v_fma_f64 v[11:12], v[11:12], v[19:20], -v[23:24]
	v_fma_f64 v[13:14], v[13:14], v[19:20], v[21:22]
	v_add_f64 v[11:12], v[11:12], 0
	v_add_f64 v[13:14], v[13:14], 0
	s_and_saveexec_b64 s[14:15], s[10:11]
	s_cbranch_execz .LBB90_73
; %bb.72:
	v_lshlrev_b32_e32 v23, 4, v0
	v_mov_b32_e32 v19, 0
	ds_read_b128 v[19:22], v19 offset:16368
	ds_read_b128 v[23:26], v23 offset:16320
	s_waitcnt lgkmcnt(0)
	v_mul_f64 v[27:28], v[21:22], v[25:26]
	v_mul_f64 v[25:26], v[19:20], v[25:26]
	v_fma_f64 v[19:20], v[19:20], v[23:24], -v[27:28]
	v_fma_f64 v[21:22], v[21:22], v[23:24], v[25:26]
	v_add_f64 v[11:12], v[11:12], v[19:20]
	v_add_f64 v[13:14], v[13:14], v[21:22]
.LBB90_73:
	s_or_b64 exec, exec, s[14:15]
.LBB90_74:
	s_or_b64 exec, exec, s[12:13]
	v_mov_b32_e32 v19, 0x4000
	v_cmp_ne_u32_e64 s[10:11], 0, v15
	s_xor_b64 s[12:13], s[8:9], -1
	v_lshl_add_u32 v17, v17, 4, v19
	s_and_b64 s[38:39], s[10:11], s[12:13]
	s_and_saveexec_b64 s[8:9], s[38:39]
	s_cbranch_execz .LBB90_76
; %bb.75:
	v_mov_b32_e32 v19, 0
	ds_read_b128 v[19:22], v19 offset:15312
	s_waitcnt lgkmcnt(0)
	v_mul_f64 v[23:24], v[13:14], v[21:22]
	v_mul_f64 v[21:22], v[11:12], v[21:22]
	v_fma_f64 v[11:12], v[11:12], v[19:20], -v[23:24]
	v_fma_f64 v[13:14], v[13:14], v[19:20], v[21:22]
	v_xor_b32_e32 v20, 0x80000000, v12
	v_xor_b32_e32 v22, 0x80000000, v14
	v_mov_b32_e32 v19, v11
	v_mov_b32_e32 v21, v13
	ds_write_b128 v17, v[19:22]
.LBB90_76:
	s_or_b64 exec, exec, s[8:9]
	v_cmp_eq_u32_e64 s[8:9], 0, v15
	s_and_b64 s[36:37], s[8:9], s[12:13]
	s_waitcnt lgkmcnt(0)
	s_barrier
	s_and_saveexec_b64 s[8:9], s[36:37]
	s_cbranch_execz .LBB90_78
; %bb.77:
	v_mov_b32_e32 v23, 0
	ds_read_b128 v[19:22], v17
	ds_read_b128 v[23:26], v23 offset:15296
	s_waitcnt lgkmcnt(0)
	v_mul_f64 v[27:28], v[21:22], v[25:26]
	v_mul_f64 v[25:26], v[19:20], v[25:26]
	v_fma_f64 v[19:20], v[19:20], v[23:24], -v[27:28]
	v_fma_f64 v[21:22], v[21:22], v[23:24], v[25:26]
	v_add_f64 v[11:12], v[11:12], -v[19:20]
	v_add_f64 v[13:14], v[13:14], -v[21:22]
.LBB90_78:
	s_or_b64 exec, exec, s[8:9]
	s_barrier
	s_and_saveexec_b64 s[8:9], s[36:37]
	s_cbranch_execz .LBB90_80
; %bb.79:
	v_mov_b32_e32 v19, 0
	ds_read_b128 v[19:22], v19 offset:14784
	s_waitcnt lgkmcnt(0)
	v_mul_f64 v[23:24], v[13:14], v[21:22]
	v_mul_f64 v[21:22], v[11:12], v[21:22]
	v_fma_f64 v[11:12], v[11:12], v[19:20], -v[23:24]
	v_fma_f64 v[13:14], v[13:14], v[19:20], v[21:22]
	v_xor_b32_e32 v20, 0x80000000, v12
	v_xor_b32_e32 v22, 0x80000000, v14
	v_mov_b32_e32 v19, v11
	v_mov_b32_e32 v21, v13
	ds_write_b128 v17, v[19:22]
.LBB90_80:
	s_or_b64 exec, exec, s[8:9]
	s_waitcnt lgkmcnt(0)
	s_barrier
	s_barrier
	s_and_saveexec_b64 s[8:9], s[2:3]
; %bb.81:
	v_lshlrev_b32_e32 v19, 4, v15
	v_lshl_or_b32 v19, v16, 9, v19
	ds_write_b128 v19, v[11:14] offset:15808
; %bb.82:
	s_or_b64 exec, exec, s[8:9]
	v_cmp_eq_u32_e64 s[10:11], 0, v2
	v_cmp_gt_u32_e64 s[8:9], 2, v0
	s_and_b64 s[40:41], s[10:11], s[8:9]
	s_waitcnt lgkmcnt(0)
	s_barrier
	s_barrier
	s_and_saveexec_b64 s[8:9], s[40:41]
	s_cbranch_execz .LBB90_84
; %bb.83:
	v_lshlrev_b32_e32 v19, 9, v0
	ds_read_b128 v[11:14], v19 offset:15808
	s_movk_i32 s12, 0xfe10
	v_mad_i32_i24 v20, v0, s12, v19
	s_waitcnt lgkmcnt(0)
	ds_write_b128 v20, v[11:14] offset:14816
	ds_read_b128 v[11:14], v19 offset:15824
	s_waitcnt lgkmcnt(0)
	ds_write_b128 v20, v[11:14] offset:15328
.LBB90_84:
	s_or_b64 exec, exec, s[8:9]
	s_waitcnt lgkmcnt(0)
	s_barrier
	s_and_saveexec_b64 s[8:9], vcc
	s_cbranch_execz .LBB90_86
; %bb.85:
	v_mov_b32_e32 v29, 0
	ds_read_b128 v[11:14], v29 offset:15312
	ds_read_b128 v[19:22], v29 offset:14784
	;; [unrolled: 1-line block ×3, first 2 shown]
	s_waitcnt lgkmcnt(1)
	v_mul_f64 v[27:28], v[11:12], v[21:22]
	v_mul_f64 v[21:22], v[13:14], v[21:22]
	v_fma_f64 v[13:14], v[13:14], v[19:20], v[27:28]
	v_fma_f64 v[11:12], v[11:12], v[19:20], -v[21:22]
	s_waitcnt lgkmcnt(0)
	v_mul_f64 v[19:20], v[13:14], v[25:26]
	v_mul_f64 v[21:22], v[11:12], v[25:26]
	v_fma_f64 v[11:12], v[23:24], v[11:12], -v[19:20]
	v_fma_f64 v[13:14], v[23:24], v[13:14], v[21:22]
	ds_write_b128 v29, v[11:14] offset:15296
	ds_write_b128 v29, v[11:14] offset:14800
.LBB90_86:
	s_or_b64 exec, exec, s[8:9]
	v_lshrrev_b32_e32 v21, 2, v18
	v_mov_b32_e32 v13, 0
	v_mov_b32_e32 v11, 0
	v_and_b32_e32 v19, 3, v0
	v_sub_u32_e32 v20, 3, v21
	v_cmp_lt_u32_e64 s[8:9], 15, v18
	v_mov_b32_e32 v14, 0
	v_mov_b32_e32 v12, 0
	v_cmp_gt_u32_e64 s[16:17], 16, v18
	s_waitcnt lgkmcnt(0)
	s_barrier
	buffer_wbinvl1_vol
	s_and_saveexec_b64 s[14:15], s[16:17]
	s_cbranch_execz .LBB90_92
; %bb.87:
	v_lshlrev_b32_e32 v23, 9, v20
	v_lshlrev_b32_e32 v22, 4, v19
	ds_read_b128 v[11:14], v23 offset:14784
	ds_read_b128 v[24:27], v22 offset:14720
	v_cmp_gt_u32_e64 s[12:13], 12, v18
	s_waitcnt lgkmcnt(0)
	v_mul_f64 v[28:29], v[13:14], v[26:27]
	v_mul_f64 v[26:27], v[11:12], v[26:27]
	v_fma_f64 v[11:12], v[11:12], v[24:25], -v[28:29]
	v_fma_f64 v[13:14], v[13:14], v[24:25], v[26:27]
	v_add_f64 v[11:12], v[11:12], 0
	v_add_f64 v[13:14], v[13:14], 0
	s_and_saveexec_b64 s[18:19], s[12:13]
	s_cbranch_execnz .LBB90_551
; %bb.88:
	s_or_b64 exec, exec, s[18:19]
	v_cmp_gt_u32_e64 s[12:13], 8, v18
	s_and_saveexec_b64 s[18:19], s[12:13]
	s_cbranch_execnz .LBB90_552
.LBB90_89:
	s_or_b64 exec, exec, s[18:19]
	v_cmp_gt_u32_e64 s[12:13], 4, v18
	s_and_saveexec_b64 s[18:19], s[12:13]
	s_cbranch_execz .LBB90_91
.LBB90_90:
	v_lshlrev_b32_e32 v26, 4, v0
	v_mov_b32_e32 v22, 0
	ds_read_b128 v[22:25], v22 offset:16368
	ds_read_b128 v[26:29], v26 offset:16256
	s_waitcnt lgkmcnt(0)
	v_mul_f64 v[30:31], v[24:25], v[28:29]
	v_mul_f64 v[28:29], v[22:23], v[28:29]
	v_fma_f64 v[22:23], v[22:23], v[26:27], -v[30:31]
	v_fma_f64 v[24:25], v[24:25], v[26:27], v[28:29]
	v_add_f64 v[11:12], v[11:12], v[22:23]
	v_add_f64 v[13:14], v[13:14], v[24:25]
.LBB90_91:
	s_or_b64 exec, exec, s[18:19]
.LBB90_92:
	s_or_b64 exec, exec, s[14:15]
	v_mov_b32_e32 v22, 0x4000
	v_cmp_eq_u32_e64 s[12:13], 3, v19
	s_xor_b64 s[14:15], s[8:9], -1
	v_lshl_add_u32 v21, v21, 4, v22
	s_and_b64 s[44:45], s[12:13], s[14:15]
	s_and_saveexec_b64 s[8:9], s[44:45]
	s_cbranch_execz .LBB90_94
; %bb.93:
	v_mov_b32_e32 v22, 0
	ds_read_b128 v[22:25], v22 offset:14256
	s_waitcnt lgkmcnt(0)
	v_mul_f64 v[26:27], v[13:14], v[24:25]
	v_mul_f64 v[24:25], v[11:12], v[24:25]
	v_fma_f64 v[11:12], v[11:12], v[22:23], -v[26:27]
	v_fma_f64 v[13:14], v[13:14], v[22:23], v[24:25]
	v_xor_b32_e32 v23, 0x80000000, v12
	v_xor_b32_e32 v25, 0x80000000, v14
	v_mov_b32_e32 v22, v11
	v_mov_b32_e32 v24, v13
	ds_write_b128 v21, v[22:25]
.LBB90_94:
	s_or_b64 exec, exec, s[8:9]
	v_cmp_ne_u32_e64 s[8:9], 3, v19
	s_and_b64 s[46:47], s[8:9], s[14:15]
	s_waitcnt lgkmcnt(0)
	s_barrier
	s_and_saveexec_b64 s[8:9], s[46:47]
	s_cbranch_execz .LBB90_96
; %bb.95:
	v_lshlrev_b32_e32 v26, 4, v19
	ds_read_b128 v[22:25], v21
	ds_read_b128 v[26:29], v26 offset:14208
	s_waitcnt lgkmcnt(0)
	v_mul_f64 v[30:31], v[24:25], v[28:29]
	v_mul_f64 v[28:29], v[22:23], v[28:29]
	v_fma_f64 v[22:23], v[22:23], v[26:27], -v[30:31]
	v_fma_f64 v[24:25], v[24:25], v[26:27], v[28:29]
	v_add_f64 v[11:12], v[11:12], -v[22:23]
	v_add_f64 v[13:14], v[13:14], -v[24:25]
.LBB90_96:
	s_or_b64 exec, exec, s[8:9]
	v_cmp_eq_u32_e64 s[8:9], 2, v19
	s_and_b64 s[48:49], s[8:9], s[14:15]
	s_barrier
	s_and_saveexec_b64 s[8:9], s[48:49]
	s_cbranch_execz .LBB90_98
; %bb.97:
	v_mov_b32_e32 v22, 0
	ds_read_b128 v[22:25], v22 offset:13728
	s_waitcnt lgkmcnt(0)
	v_mul_f64 v[26:27], v[13:14], v[24:25]
	v_mul_f64 v[24:25], v[11:12], v[24:25]
	v_fma_f64 v[11:12], v[11:12], v[22:23], -v[26:27]
	v_fma_f64 v[13:14], v[13:14], v[22:23], v[24:25]
	v_xor_b32_e32 v23, 0x80000000, v12
	v_xor_b32_e32 v25, 0x80000000, v14
	v_mov_b32_e32 v22, v11
	v_mov_b32_e32 v24, v13
	ds_write_b128 v21, v[22:25]
.LBB90_98:
	s_or_b64 exec, exec, s[8:9]
	v_cmp_gt_u32_e64 s[8:9], 2, v19
	s_and_b64 s[50:51], s[8:9], s[14:15]
	s_waitcnt lgkmcnt(0)
	s_barrier
	s_and_saveexec_b64 s[8:9], s[50:51]
	s_cbranch_execz .LBB90_100
; %bb.99:
	v_lshlrev_b32_e32 v26, 4, v19
	ds_read_b128 v[22:25], v21
	ds_read_b128 v[26:29], v26 offset:13696
	s_waitcnt lgkmcnt(0)
	v_mul_f64 v[30:31], v[24:25], v[28:29]
	v_mul_f64 v[28:29], v[22:23], v[28:29]
	v_fma_f64 v[22:23], v[22:23], v[26:27], -v[30:31]
	v_fma_f64 v[24:25], v[24:25], v[26:27], v[28:29]
	v_add_f64 v[11:12], v[11:12], -v[22:23]
	v_add_f64 v[13:14], v[13:14], -v[24:25]
.LBB90_100:
	s_or_b64 exec, exec, s[8:9]
	v_cmp_eq_u32_e64 s[8:9], 1, v19
	s_and_b64 s[52:53], s[8:9], s[14:15]
	s_barrier
	s_and_saveexec_b64 s[8:9], s[52:53]
	s_cbranch_execz .LBB90_102
; %bb.101:
	v_mov_b32_e32 v22, 0
	ds_read_b128 v[22:25], v22 offset:13200
	s_waitcnt lgkmcnt(0)
	v_mul_f64 v[26:27], v[13:14], v[24:25]
	v_mul_f64 v[24:25], v[11:12], v[24:25]
	v_fma_f64 v[11:12], v[11:12], v[22:23], -v[26:27]
	v_fma_f64 v[13:14], v[13:14], v[22:23], v[24:25]
	v_xor_b32_e32 v23, 0x80000000, v12
	v_xor_b32_e32 v25, 0x80000000, v14
	v_mov_b32_e32 v22, v11
	v_mov_b32_e32 v24, v13
	ds_write_b128 v21, v[22:25]
.LBB90_102:
	s_or_b64 exec, exec, s[8:9]
	v_cmp_eq_u32_e64 s[8:9], 0, v19
	s_and_b64 s[42:43], s[8:9], s[14:15]
	s_waitcnt lgkmcnt(0)
	s_barrier
	s_and_saveexec_b64 s[8:9], s[42:43]
	s_cbranch_execz .LBB90_104
; %bb.103:
	v_mov_b32_e32 v26, 0
	ds_read_b128 v[22:25], v21
	ds_read_b128 v[26:29], v26 offset:13184
	s_waitcnt lgkmcnt(0)
	v_mul_f64 v[30:31], v[24:25], v[28:29]
	v_mul_f64 v[28:29], v[22:23], v[28:29]
	v_fma_f64 v[22:23], v[22:23], v[26:27], -v[30:31]
	v_fma_f64 v[24:25], v[24:25], v[26:27], v[28:29]
	v_add_f64 v[11:12], v[11:12], -v[22:23]
	v_add_f64 v[13:14], v[13:14], -v[24:25]
.LBB90_104:
	s_or_b64 exec, exec, s[8:9]
	s_barrier
	s_and_saveexec_b64 s[8:9], s[42:43]
	s_cbranch_execz .LBB90_106
; %bb.105:
	v_mov_b32_e32 v22, 0
	ds_read_b128 v[22:25], v22 offset:12672
	s_waitcnt lgkmcnt(0)
	v_mul_f64 v[26:27], v[13:14], v[24:25]
	v_mul_f64 v[24:25], v[11:12], v[24:25]
	v_fma_f64 v[11:12], v[11:12], v[22:23], -v[26:27]
	v_fma_f64 v[13:14], v[13:14], v[22:23], v[24:25]
	v_xor_b32_e32 v23, 0x80000000, v12
	v_xor_b32_e32 v25, 0x80000000, v14
	v_mov_b32_e32 v22, v11
	v_mov_b32_e32 v24, v13
	ds_write_b128 v21, v[22:25]
.LBB90_106:
	s_or_b64 exec, exec, s[8:9]
	s_waitcnt lgkmcnt(0)
	s_barrier
	s_barrier
	s_and_saveexec_b64 s[8:9], s[16:17]
; %bb.107:
	v_lshlrev_b32_e32 v22, 4, v19
	v_lshl_or_b32 v22, v20, 9, v22
	ds_write_b128 v22, v[11:14] offset:14720
; %bb.108:
	s_or_b64 exec, exec, s[8:9]
	v_cmp_gt_u32_e64 s[8:9], 4, v0
	s_and_b64 s[54:55], s[10:11], s[8:9]
	s_waitcnt lgkmcnt(0)
	s_barrier
	s_barrier
	s_and_saveexec_b64 s[8:9], s[54:55]
	s_cbranch_execz .LBB90_110
; %bb.109:
	v_lshlrev_b32_e32 v22, 4, v0
	s_movk_i32 s12, 0x1f0
	v_mad_u32_u24 v23, v0, s12, v22
	ds_read_b128 v[11:14], v23 offset:14720
	s_waitcnt lgkmcnt(0)
	ds_write_b128 v22, v[11:14] offset:12736
	ds_read_b128 v[11:14], v23 offset:14736
	s_waitcnt lgkmcnt(0)
	ds_write_b128 v22, v[11:14] offset:13248
	;; [unrolled: 3-line block ×4, first 2 shown]
.LBB90_110:
	s_or_b64 exec, exec, s[8:9]
	s_waitcnt lgkmcnt(0)
	s_barrier
	s_and_saveexec_b64 s[8:9], vcc
	s_cbranch_execz .LBB90_112
; %bb.111:
	v_mov_b32_e32 v32, 0
	ds_read_b128 v[11:14], v32 offset:14256
	ds_read_b128 v[22:25], v32 offset:13728
	;; [unrolled: 1-line block ×3, first 2 shown]
	s_waitcnt lgkmcnt(1)
	v_mul_f64 v[30:31], v[11:12], v[24:25]
	v_mul_f64 v[24:25], v[13:14], v[24:25]
	v_fma_f64 v[13:14], v[13:14], v[22:23], v[30:31]
	v_fma_f64 v[11:12], v[11:12], v[22:23], -v[24:25]
	s_waitcnt lgkmcnt(0)
	v_mul_f64 v[22:23], v[13:14], v[28:29]
	v_mul_f64 v[24:25], v[11:12], v[28:29]
	v_fma_f64 v[11:12], v[26:27], v[11:12], -v[22:23]
	v_fma_f64 v[13:14], v[26:27], v[13:14], v[24:25]
	ds_write_b128 v32, v[11:14] offset:14240
	ds_write_b128 v32, v[11:14] offset:13744
.LBB90_112:
	s_or_b64 exec, exec, s[8:9]
	v_mov_b32_e32 v11, 0
	v_mov_b32_e32 v13, 0
	;; [unrolled: 1-line block ×4, first 2 shown]
	s_waitcnt lgkmcnt(0)
	s_barrier
	buffer_wbinvl1_vol
	s_and_saveexec_b64 s[12:13], s[2:3]
	s_cbranch_execz .LBB90_116
; %bb.113:
	v_lshlrev_b32_e32 v22, 4, v15
	v_lshlrev_b32_e32 v11, 9, v16
	ds_read_b128 v[11:14], v11 offset:13728
	ds_read_b128 v[22:25], v22 offset:13696
	v_cmp_gt_u32_e64 s[8:9], 2, v18
	s_waitcnt lgkmcnt(0)
	v_mul_f64 v[26:27], v[13:14], v[24:25]
	v_mul_f64 v[24:25], v[11:12], v[24:25]
	v_fma_f64 v[11:12], v[11:12], v[22:23], -v[26:27]
	v_fma_f64 v[13:14], v[13:14], v[22:23], v[24:25]
	v_add_f64 v[11:12], v[11:12], 0
	v_add_f64 v[13:14], v[13:14], 0
	s_and_saveexec_b64 s[14:15], s[8:9]
	s_cbranch_execz .LBB90_115
; %bb.114:
	v_lshlrev_b32_e32 v26, 4, v0
	v_mov_b32_e32 v22, 0
	ds_read_b128 v[22:25], v22 offset:14256
	ds_read_b128 v[26:29], v26 offset:14208
	s_waitcnt lgkmcnt(0)
	v_mul_f64 v[30:31], v[24:25], v[28:29]
	v_mul_f64 v[28:29], v[22:23], v[28:29]
	v_fma_f64 v[22:23], v[22:23], v[26:27], -v[30:31]
	v_fma_f64 v[24:25], v[24:25], v[26:27], v[28:29]
	v_add_f64 v[11:12], v[11:12], v[22:23]
	v_add_f64 v[13:14], v[13:14], v[24:25]
.LBB90_115:
	s_or_b64 exec, exec, s[14:15]
.LBB90_116:
	s_or_b64 exec, exec, s[12:13]
	s_and_saveexec_b64 s[8:9], s[38:39]
	s_cbranch_execz .LBB90_118
; %bb.117:
	v_mov_b32_e32 v22, 0
	ds_read_b128 v[22:25], v22 offset:13200
	s_waitcnt lgkmcnt(0)
	v_mul_f64 v[26:27], v[13:14], v[24:25]
	v_mul_f64 v[24:25], v[11:12], v[24:25]
	v_fma_f64 v[11:12], v[11:12], v[22:23], -v[26:27]
	v_fma_f64 v[13:14], v[13:14], v[22:23], v[24:25]
	v_xor_b32_e32 v23, 0x80000000, v12
	v_xor_b32_e32 v25, 0x80000000, v14
	v_mov_b32_e32 v22, v11
	v_mov_b32_e32 v24, v13
	ds_write_b128 v17, v[22:25]
.LBB90_118:
	s_or_b64 exec, exec, s[8:9]
	s_waitcnt lgkmcnt(0)
	s_barrier
	s_and_saveexec_b64 s[8:9], s[36:37]
	s_cbranch_execz .LBB90_120
; %bb.119:
	v_mov_b32_e32 v26, 0
	ds_read_b128 v[22:25], v17
	ds_read_b128 v[26:29], v26 offset:13184
	s_waitcnt lgkmcnt(0)
	v_mul_f64 v[30:31], v[24:25], v[28:29]
	v_mul_f64 v[28:29], v[22:23], v[28:29]
	v_fma_f64 v[22:23], v[22:23], v[26:27], -v[30:31]
	v_fma_f64 v[24:25], v[24:25], v[26:27], v[28:29]
	v_add_f64 v[11:12], v[11:12], -v[22:23]
	v_add_f64 v[13:14], v[13:14], -v[24:25]
.LBB90_120:
	s_or_b64 exec, exec, s[8:9]
	s_barrier
	s_and_saveexec_b64 s[8:9], s[36:37]
	s_cbranch_execz .LBB90_122
; %bb.121:
	v_mov_b32_e32 v22, 0
	ds_read_b128 v[22:25], v22 offset:12672
	s_waitcnt lgkmcnt(0)
	v_mul_f64 v[26:27], v[13:14], v[24:25]
	v_mul_f64 v[24:25], v[11:12], v[24:25]
	v_fma_f64 v[11:12], v[11:12], v[22:23], -v[26:27]
	v_fma_f64 v[13:14], v[13:14], v[22:23], v[24:25]
	v_xor_b32_e32 v23, 0x80000000, v12
	v_xor_b32_e32 v25, 0x80000000, v14
	v_mov_b32_e32 v22, v11
	v_mov_b32_e32 v24, v13
	ds_write_b128 v17, v[22:25]
.LBB90_122:
	s_or_b64 exec, exec, s[8:9]
	s_waitcnt lgkmcnt(0)
	s_barrier
	s_barrier
	s_and_saveexec_b64 s[8:9], s[2:3]
; %bb.123:
	v_lshlrev_b32_e32 v22, 4, v15
	v_lshl_or_b32 v22, v16, 9, v22
	ds_write_b128 v22, v[11:14] offset:13696
; %bb.124:
	s_or_b64 exec, exec, s[8:9]
	s_waitcnt lgkmcnt(0)
	s_barrier
	s_barrier
	s_and_saveexec_b64 s[8:9], s[40:41]
	s_cbranch_execz .LBB90_126
; %bb.125:
	v_lshlrev_b32_e32 v22, 9, v0
	ds_read_b128 v[11:14], v22 offset:13696
	s_movk_i32 s12, 0xfe10
	v_mad_i32_i24 v23, v0, s12, v22
	s_waitcnt lgkmcnt(0)
	ds_write_b128 v23, v[11:14] offset:12704
	ds_read_b128 v[11:14], v22 offset:13712
	s_waitcnt lgkmcnt(0)
	ds_write_b128 v23, v[11:14] offset:13216
.LBB90_126:
	s_or_b64 exec, exec, s[8:9]
	s_waitcnt lgkmcnt(0)
	s_barrier
	s_and_saveexec_b64 s[8:9], vcc
	s_cbranch_execz .LBB90_128
; %bb.127:
	v_mov_b32_e32 v32, 0
	ds_read_b128 v[11:14], v32 offset:13200
	ds_read_b128 v[22:25], v32 offset:12672
	;; [unrolled: 1-line block ×3, first 2 shown]
	s_waitcnt lgkmcnt(1)
	v_mul_f64 v[30:31], v[11:12], v[24:25]
	v_mul_f64 v[24:25], v[13:14], v[24:25]
	v_fma_f64 v[13:14], v[13:14], v[22:23], v[30:31]
	v_fma_f64 v[11:12], v[11:12], v[22:23], -v[24:25]
	s_waitcnt lgkmcnt(0)
	v_mul_f64 v[22:23], v[13:14], v[28:29]
	v_mul_f64 v[24:25], v[11:12], v[28:29]
	v_fma_f64 v[11:12], v[26:27], v[11:12], -v[22:23]
	v_fma_f64 v[13:14], v[26:27], v[13:14], v[24:25]
	ds_write_b128 v32, v[11:14] offset:13184
	ds_write_b128 v32, v[11:14] offset:12688
.LBB90_128:
	s_or_b64 exec, exec, s[8:9]
	v_lshrrev_b32_e32 v24, 3, v18
	v_mov_b32_e32 v13, 0
	v_mov_b32_e32 v11, 0
	v_and_b32_e32 v22, 7, v0
	v_sub_u32_e32 v23, 7, v24
	v_cmp_lt_u32_e64 s[12:13], 63, v18
	v_mov_b32_e32 v14, 0
	v_mov_b32_e32 v12, 0
	v_cmp_gt_u32_e64 s[8:9], 64, v18
	s_waitcnt lgkmcnt(0)
	s_barrier
	buffer_wbinvl1_vol
	s_and_saveexec_b64 s[18:19], s[8:9]
	s_cbranch_execz .LBB90_138
; %bb.129:
	v_lshlrev_b32_e32 v26, 9, v23
	v_lshlrev_b32_e32 v25, 4, v22
	ds_read_b128 v[11:14], v26 offset:12672
	ds_read_b128 v[27:30], v25 offset:12544
	v_cmp_gt_u32_e64 s[14:15], 56, v18
	s_waitcnt lgkmcnt(0)
	v_mul_f64 v[31:32], v[13:14], v[29:30]
	v_mul_f64 v[29:30], v[11:12], v[29:30]
	v_fma_f64 v[11:12], v[11:12], v[27:28], -v[31:32]
	v_fma_f64 v[13:14], v[13:14], v[27:28], v[29:30]
	v_add_f64 v[11:12], v[11:12], 0
	v_add_f64 v[13:14], v[13:14], 0
	s_and_saveexec_b64 s[56:57], s[14:15]
	s_cbranch_execnz .LBB90_553
; %bb.130:
	s_or_b64 exec, exec, s[56:57]
	v_cmp_gt_u32_e64 s[14:15], 48, v18
	s_and_saveexec_b64 s[56:57], s[14:15]
	s_cbranch_execnz .LBB90_554
.LBB90_131:
	s_or_b64 exec, exec, s[56:57]
	v_cmp_gt_u32_e64 s[14:15], 40, v18
	s_and_saveexec_b64 s[56:57], s[14:15]
	s_cbranch_execnz .LBB90_555
.LBB90_132:
	s_or_b64 exec, exec, s[56:57]
	v_cmp_gt_u32_e64 s[14:15], 32, v18
	s_and_saveexec_b64 s[56:57], s[14:15]
	s_cbranch_execnz .LBB90_556
.LBB90_133:
	s_or_b64 exec, exec, s[56:57]
	v_cmp_gt_u32_e64 s[14:15], 24, v18
	s_and_saveexec_b64 s[56:57], s[14:15]
	s_cbranch_execnz .LBB90_557
.LBB90_134:
	s_or_b64 exec, exec, s[56:57]
	s_and_saveexec_b64 s[14:15], s[16:17]
	s_cbranch_execnz .LBB90_558
.LBB90_135:
	s_or_b64 exec, exec, s[14:15]
	v_cmp_gt_u32_e64 s[14:15], 8, v18
	s_and_saveexec_b64 s[56:57], s[14:15]
	s_cbranch_execz .LBB90_137
.LBB90_136:
	v_lshlrev_b32_e32 v29, 4, v0
	v_mov_b32_e32 v25, 0
	ds_read_b128 v[25:28], v25 offset:16368
	ds_read_b128 v[29:32], v29 offset:16128
	s_waitcnt lgkmcnt(0)
	v_mul_f64 v[33:34], v[27:28], v[31:32]
	v_mul_f64 v[31:32], v[25:26], v[31:32]
	v_fma_f64 v[25:26], v[25:26], v[29:30], -v[33:34]
	v_fma_f64 v[27:28], v[27:28], v[29:30], v[31:32]
	v_add_f64 v[11:12], v[11:12], v[25:26]
	v_add_f64 v[13:14], v[13:14], v[27:28]
.LBB90_137:
	s_or_b64 exec, exec, s[56:57]
.LBB90_138:
	s_or_b64 exec, exec, s[18:19]
	v_mov_b32_e32 v25, 0x4000
	v_cmp_eq_u32_e64 s[14:15], 7, v22
	s_xor_b64 s[18:19], s[12:13], -1
	v_lshl_add_u32 v24, v24, 4, v25
	s_and_b64 s[58:59], s[14:15], s[18:19]
	s_and_saveexec_b64 s[12:13], s[58:59]
	s_cbranch_execz .LBB90_140
; %bb.139:
	v_mov_b32_e32 v25, 0
	ds_read_b128 v[25:28], v25 offset:12144
	s_waitcnt lgkmcnt(0)
	v_mul_f64 v[29:30], v[13:14], v[27:28]
	v_mul_f64 v[27:28], v[11:12], v[27:28]
	v_fma_f64 v[11:12], v[11:12], v[25:26], -v[29:30]
	v_fma_f64 v[13:14], v[13:14], v[25:26], v[27:28]
	v_xor_b32_e32 v26, 0x80000000, v12
	v_xor_b32_e32 v28, 0x80000000, v14
	v_mov_b32_e32 v25, v11
	v_mov_b32_e32 v27, v13
	ds_write_b128 v24, v[25:28]
.LBB90_140:
	s_or_b64 exec, exec, s[12:13]
	v_cmp_ne_u32_e64 s[12:13], 7, v22
	s_and_b64 s[60:61], s[12:13], s[18:19]
	s_waitcnt lgkmcnt(0)
	s_barrier
	s_and_saveexec_b64 s[12:13], s[60:61]
	s_cbranch_execz .LBB90_142
; %bb.141:
	v_lshlrev_b32_e32 v29, 4, v22
	ds_read_b128 v[25:28], v24
	ds_read_b128 v[29:32], v29 offset:12032
	s_waitcnt lgkmcnt(0)
	v_mul_f64 v[33:34], v[27:28], v[31:32]
	v_mul_f64 v[31:32], v[25:26], v[31:32]
	v_fma_f64 v[25:26], v[25:26], v[29:30], -v[33:34]
	v_fma_f64 v[27:28], v[27:28], v[29:30], v[31:32]
	v_add_f64 v[11:12], v[11:12], -v[25:26]
	v_add_f64 v[13:14], v[13:14], -v[27:28]
.LBB90_142:
	s_or_b64 exec, exec, s[12:13]
	v_cmp_eq_u32_e64 s[12:13], 6, v22
	s_and_b64 s[62:63], s[12:13], s[18:19]
	s_barrier
	s_and_saveexec_b64 s[12:13], s[62:63]
	s_cbranch_execz .LBB90_144
; %bb.143:
	v_mov_b32_e32 v25, 0
	ds_read_b128 v[25:28], v25 offset:11616
	s_waitcnt lgkmcnt(0)
	v_mul_f64 v[29:30], v[13:14], v[27:28]
	v_mul_f64 v[27:28], v[11:12], v[27:28]
	v_fma_f64 v[11:12], v[11:12], v[25:26], -v[29:30]
	v_fma_f64 v[13:14], v[13:14], v[25:26], v[27:28]
	v_xor_b32_e32 v26, 0x80000000, v12
	v_xor_b32_e32 v28, 0x80000000, v14
	v_mov_b32_e32 v25, v11
	v_mov_b32_e32 v27, v13
	ds_write_b128 v24, v[25:28]
.LBB90_144:
	s_or_b64 exec, exec, s[12:13]
	v_cmp_gt_u32_e64 s[12:13], 6, v22
	s_and_b64 s[64:65], s[12:13], s[18:19]
	s_waitcnt lgkmcnt(0)
	s_barrier
	s_and_saveexec_b64 s[12:13], s[64:65]
	s_cbranch_execz .LBB90_146
; %bb.145:
	v_lshlrev_b32_e32 v29, 4, v22
	ds_read_b128 v[25:28], v24
	ds_read_b128 v[29:32], v29 offset:11520
	s_waitcnt lgkmcnt(0)
	v_mul_f64 v[33:34], v[27:28], v[31:32]
	v_mul_f64 v[31:32], v[25:26], v[31:32]
	v_fma_f64 v[25:26], v[25:26], v[29:30], -v[33:34]
	v_fma_f64 v[27:28], v[27:28], v[29:30], v[31:32]
	v_add_f64 v[11:12], v[11:12], -v[25:26]
	v_add_f64 v[13:14], v[13:14], -v[27:28]
.LBB90_146:
	s_or_b64 exec, exec, s[12:13]
	v_cmp_eq_u32_e64 s[12:13], 5, v22
	s_and_b64 s[66:67], s[12:13], s[18:19]
	s_barrier
	s_and_saveexec_b64 s[12:13], s[66:67]
	s_cbranch_execz .LBB90_148
; %bb.147:
	v_mov_b32_e32 v25, 0
	ds_read_b128 v[25:28], v25 offset:11088
	s_waitcnt lgkmcnt(0)
	v_mul_f64 v[29:30], v[13:14], v[27:28]
	v_mul_f64 v[27:28], v[11:12], v[27:28]
	v_fma_f64 v[11:12], v[11:12], v[25:26], -v[29:30]
	v_fma_f64 v[13:14], v[13:14], v[25:26], v[27:28]
	v_xor_b32_e32 v26, 0x80000000, v12
	v_xor_b32_e32 v28, 0x80000000, v14
	v_mov_b32_e32 v25, v11
	v_mov_b32_e32 v27, v13
	ds_write_b128 v24, v[25:28]
.LBB90_148:
	s_or_b64 exec, exec, s[12:13]
	v_cmp_gt_u32_e64 s[12:13], 5, v22
	;; [unrolled: 39-line block ×5, first 2 shown]
	s_and_b64 s[80:81], s[12:13], s[18:19]
	s_waitcnt lgkmcnt(0)
	s_barrier
	s_and_saveexec_b64 s[12:13], s[80:81]
	s_cbranch_execz .LBB90_162
; %bb.161:
	v_lshlrev_b32_e32 v29, 4, v22
	ds_read_b128 v[25:28], v24
	ds_read_b128 v[29:32], v29 offset:9472
	s_waitcnt lgkmcnt(0)
	v_mul_f64 v[33:34], v[27:28], v[31:32]
	v_mul_f64 v[31:32], v[25:26], v[31:32]
	v_fma_f64 v[25:26], v[25:26], v[29:30], -v[33:34]
	v_fma_f64 v[27:28], v[27:28], v[29:30], v[31:32]
	v_add_f64 v[11:12], v[11:12], -v[25:26]
	v_add_f64 v[13:14], v[13:14], -v[27:28]
.LBB90_162:
	s_or_b64 exec, exec, s[12:13]
	v_cmp_eq_u32_e64 s[12:13], 1, v22
	s_and_b64 s[82:83], s[12:13], s[18:19]
	s_barrier
	s_and_saveexec_b64 s[12:13], s[82:83]
	s_cbranch_execz .LBB90_164
; %bb.163:
	v_mov_b32_e32 v25, 0
	ds_read_b128 v[25:28], v25 offset:8976
	s_waitcnt lgkmcnt(0)
	v_mul_f64 v[29:30], v[13:14], v[27:28]
	v_mul_f64 v[27:28], v[11:12], v[27:28]
	v_fma_f64 v[11:12], v[11:12], v[25:26], -v[29:30]
	v_fma_f64 v[13:14], v[13:14], v[25:26], v[27:28]
	v_xor_b32_e32 v26, 0x80000000, v12
	v_xor_b32_e32 v28, 0x80000000, v14
	v_mov_b32_e32 v25, v11
	v_mov_b32_e32 v27, v13
	ds_write_b128 v24, v[25:28]
.LBB90_164:
	s_or_b64 exec, exec, s[12:13]
	v_cmp_eq_u32_e64 s[12:13], 0, v22
	s_and_b64 s[56:57], s[12:13], s[18:19]
	s_waitcnt lgkmcnt(0)
	s_barrier
	s_and_saveexec_b64 s[12:13], s[56:57]
	s_cbranch_execz .LBB90_166
; %bb.165:
	v_mov_b32_e32 v29, 0
	ds_read_b128 v[25:28], v24
	ds_read_b128 v[29:32], v29 offset:8960
	s_waitcnt lgkmcnt(0)
	v_mul_f64 v[33:34], v[27:28], v[31:32]
	v_mul_f64 v[31:32], v[25:26], v[31:32]
	v_fma_f64 v[25:26], v[25:26], v[29:30], -v[33:34]
	v_fma_f64 v[27:28], v[27:28], v[29:30], v[31:32]
	v_add_f64 v[11:12], v[11:12], -v[25:26]
	v_add_f64 v[13:14], v[13:14], -v[27:28]
.LBB90_166:
	s_or_b64 exec, exec, s[12:13]
	s_barrier
	s_and_saveexec_b64 s[12:13], s[56:57]
	s_cbranch_execz .LBB90_168
; %bb.167:
	v_mov_b32_e32 v25, 0
	ds_read_b128 v[25:28], v25 offset:8448
	s_waitcnt lgkmcnt(0)
	v_mul_f64 v[29:30], v[13:14], v[27:28]
	v_mul_f64 v[27:28], v[11:12], v[27:28]
	v_fma_f64 v[11:12], v[11:12], v[25:26], -v[29:30]
	v_fma_f64 v[13:14], v[13:14], v[25:26], v[27:28]
	v_xor_b32_e32 v26, 0x80000000, v12
	v_xor_b32_e32 v28, 0x80000000, v14
	v_mov_b32_e32 v25, v11
	v_mov_b32_e32 v27, v13
	ds_write_b128 v24, v[25:28]
.LBB90_168:
	s_or_b64 exec, exec, s[12:13]
	s_waitcnt lgkmcnt(0)
	s_barrier
	s_barrier
	s_and_saveexec_b64 s[12:13], s[8:9]
; %bb.169:
	v_lshlrev_b32_e32 v25, 4, v22
	v_lshl_or_b32 v25, v23, 9, v25
	ds_write_b128 v25, v[11:14] offset:12544
; %bb.170:
	s_or_b64 exec, exec, s[12:13]
	v_cmp_gt_u32_e64 s[12:13], 8, v0
	s_and_b64 s[84:85], s[10:11], s[12:13]
	s_waitcnt lgkmcnt(0)
	s_barrier
	s_barrier
	s_and_saveexec_b64 s[12:13], s[84:85]
	s_cbranch_execz .LBB90_172
; %bb.171:
	v_lshlrev_b32_e32 v25, 9, v0
	ds_read_b128 v[11:14], v25 offset:12544
	s_movk_i32 s14, 0xfe10
	v_mad_i32_i24 v26, v0, s14, v25
	s_waitcnt lgkmcnt(0)
	ds_write_b128 v26, v[11:14] offset:8576
	ds_read_b128 v[11:14], v25 offset:12560
	s_waitcnt lgkmcnt(0)
	ds_write_b128 v26, v[11:14] offset:9088
	ds_read_b128 v[11:14], v25 offset:12576
	;; [unrolled: 3-line block ×7, first 2 shown]
	s_waitcnt lgkmcnt(0)
	ds_write_b128 v26, v[11:14] offset:12160
.LBB90_172:
	s_or_b64 exec, exec, s[12:13]
	s_waitcnt lgkmcnt(0)
	s_barrier
	s_and_saveexec_b64 s[12:13], vcc
	s_cbranch_execz .LBB90_174
; %bb.173:
	v_mov_b32_e32 v35, 0
	ds_read_b128 v[11:14], v35 offset:12144
	ds_read_b128 v[25:28], v35 offset:11616
	;; [unrolled: 1-line block ×3, first 2 shown]
	s_waitcnt lgkmcnt(1)
	v_mul_f64 v[33:34], v[11:12], v[27:28]
	v_mul_f64 v[27:28], v[13:14], v[27:28]
	v_fma_f64 v[13:14], v[13:14], v[25:26], v[33:34]
	v_fma_f64 v[11:12], v[11:12], v[25:26], -v[27:28]
	s_waitcnt lgkmcnt(0)
	v_mul_f64 v[25:26], v[13:14], v[31:32]
	v_mul_f64 v[27:28], v[11:12], v[31:32]
	v_fma_f64 v[11:12], v[29:30], v[11:12], -v[25:26]
	v_fma_f64 v[13:14], v[29:30], v[13:14], v[27:28]
	ds_write_b128 v35, v[11:14] offset:12128
	ds_write_b128 v35, v[11:14] offset:11632
.LBB90_174:
	s_or_b64 exec, exec, s[12:13]
	v_mov_b32_e32 v11, 0
	v_mov_b32_e32 v13, 0
	;; [unrolled: 1-line block ×4, first 2 shown]
	s_waitcnt lgkmcnt(0)
	s_barrier
	buffer_wbinvl1_vol
	s_and_saveexec_b64 s[14:15], s[2:3]
	s_cbranch_execz .LBB90_178
; %bb.175:
	v_lshlrev_b32_e32 v25, 4, v15
	v_lshlrev_b32_e32 v11, 9, v16
	ds_read_b128 v[11:14], v11 offset:11616
	ds_read_b128 v[25:28], v25 offset:11584
	v_cmp_gt_u32_e64 s[12:13], 2, v18
	s_waitcnt lgkmcnt(0)
	v_mul_f64 v[29:30], v[13:14], v[27:28]
	v_mul_f64 v[27:28], v[11:12], v[27:28]
	v_fma_f64 v[11:12], v[11:12], v[25:26], -v[29:30]
	v_fma_f64 v[13:14], v[13:14], v[25:26], v[27:28]
	v_add_f64 v[11:12], v[11:12], 0
	v_add_f64 v[13:14], v[13:14], 0
	s_and_saveexec_b64 s[18:19], s[12:13]
	s_cbranch_execz .LBB90_177
; %bb.176:
	v_lshlrev_b32_e32 v29, 4, v0
	v_mov_b32_e32 v25, 0
	ds_read_b128 v[25:28], v25 offset:12144
	ds_read_b128 v[29:32], v29 offset:12096
	s_waitcnt lgkmcnt(0)
	v_mul_f64 v[33:34], v[27:28], v[31:32]
	v_mul_f64 v[31:32], v[25:26], v[31:32]
	v_fma_f64 v[25:26], v[25:26], v[29:30], -v[33:34]
	v_fma_f64 v[27:28], v[27:28], v[29:30], v[31:32]
	v_add_f64 v[11:12], v[11:12], v[25:26]
	v_add_f64 v[13:14], v[13:14], v[27:28]
.LBB90_177:
	s_or_b64 exec, exec, s[18:19]
.LBB90_178:
	s_or_b64 exec, exec, s[14:15]
	s_and_saveexec_b64 s[12:13], s[38:39]
	s_cbranch_execz .LBB90_180
; %bb.179:
	v_mov_b32_e32 v25, 0
	ds_read_b128 v[25:28], v25 offset:11088
	s_waitcnt lgkmcnt(0)
	v_mul_f64 v[29:30], v[13:14], v[27:28]
	v_mul_f64 v[27:28], v[11:12], v[27:28]
	v_fma_f64 v[11:12], v[11:12], v[25:26], -v[29:30]
	v_fma_f64 v[13:14], v[13:14], v[25:26], v[27:28]
	v_xor_b32_e32 v26, 0x80000000, v12
	v_xor_b32_e32 v28, 0x80000000, v14
	v_mov_b32_e32 v25, v11
	v_mov_b32_e32 v27, v13
	ds_write_b128 v17, v[25:28]
.LBB90_180:
	s_or_b64 exec, exec, s[12:13]
	s_waitcnt lgkmcnt(0)
	s_barrier
	s_and_saveexec_b64 s[12:13], s[36:37]
	s_cbranch_execz .LBB90_182
; %bb.181:
	v_mov_b32_e32 v29, 0
	ds_read_b128 v[25:28], v17
	ds_read_b128 v[29:32], v29 offset:11072
	s_waitcnt lgkmcnt(0)
	v_mul_f64 v[33:34], v[27:28], v[31:32]
	v_mul_f64 v[31:32], v[25:26], v[31:32]
	v_fma_f64 v[25:26], v[25:26], v[29:30], -v[33:34]
	v_fma_f64 v[27:28], v[27:28], v[29:30], v[31:32]
	v_add_f64 v[11:12], v[11:12], -v[25:26]
	v_add_f64 v[13:14], v[13:14], -v[27:28]
.LBB90_182:
	s_or_b64 exec, exec, s[12:13]
	s_barrier
	s_and_saveexec_b64 s[12:13], s[36:37]
	s_cbranch_execz .LBB90_184
; %bb.183:
	v_mov_b32_e32 v25, 0
	ds_read_b128 v[25:28], v25 offset:10560
	s_waitcnt lgkmcnt(0)
	v_mul_f64 v[29:30], v[13:14], v[27:28]
	v_mul_f64 v[27:28], v[11:12], v[27:28]
	v_fma_f64 v[11:12], v[11:12], v[25:26], -v[29:30]
	v_fma_f64 v[13:14], v[13:14], v[25:26], v[27:28]
	v_xor_b32_e32 v26, 0x80000000, v12
	v_xor_b32_e32 v28, 0x80000000, v14
	v_mov_b32_e32 v25, v11
	v_mov_b32_e32 v27, v13
	ds_write_b128 v17, v[25:28]
.LBB90_184:
	s_or_b64 exec, exec, s[12:13]
	s_waitcnt lgkmcnt(0)
	s_barrier
	s_barrier
	s_and_saveexec_b64 s[12:13], s[2:3]
; %bb.185:
	v_lshlrev_b32_e32 v25, 4, v15
	v_lshl_or_b32 v25, v16, 9, v25
	ds_write_b128 v25, v[11:14] offset:11584
; %bb.186:
	s_or_b64 exec, exec, s[12:13]
	s_waitcnt lgkmcnt(0)
	s_barrier
	s_barrier
	s_and_saveexec_b64 s[12:13], s[40:41]
	s_cbranch_execz .LBB90_188
; %bb.187:
	v_lshlrev_b32_e32 v25, 9, v0
	ds_read_b128 v[11:14], v25 offset:11584
	s_movk_i32 s14, 0xfe10
	v_mad_i32_i24 v26, v0, s14, v25
	s_waitcnt lgkmcnt(0)
	ds_write_b128 v26, v[11:14] offset:10592
	ds_read_b128 v[11:14], v25 offset:11600
	s_waitcnt lgkmcnt(0)
	ds_write_b128 v26, v[11:14] offset:11104
.LBB90_188:
	s_or_b64 exec, exec, s[12:13]
	s_waitcnt lgkmcnt(0)
	s_barrier
	s_and_saveexec_b64 s[12:13], vcc
	s_cbranch_execz .LBB90_190
; %bb.189:
	v_mov_b32_e32 v35, 0
	ds_read_b128 v[11:14], v35 offset:11088
	ds_read_b128 v[25:28], v35 offset:10560
	ds_read_b128 v[29:32], v35 offset:11072
	s_waitcnt lgkmcnt(1)
	v_mul_f64 v[33:34], v[11:12], v[27:28]
	v_mul_f64 v[27:28], v[13:14], v[27:28]
	v_fma_f64 v[13:14], v[13:14], v[25:26], v[33:34]
	v_fma_f64 v[11:12], v[11:12], v[25:26], -v[27:28]
	s_waitcnt lgkmcnt(0)
	v_mul_f64 v[25:26], v[13:14], v[31:32]
	v_mul_f64 v[27:28], v[11:12], v[31:32]
	v_fma_f64 v[11:12], v[29:30], v[11:12], -v[25:26]
	v_fma_f64 v[13:14], v[29:30], v[13:14], v[27:28]
	ds_write_b128 v35, v[11:14] offset:11072
	ds_write_b128 v35, v[11:14] offset:10576
.LBB90_190:
	s_or_b64 exec, exec, s[12:13]
	v_mov_b32_e32 v13, 0
	v_mov_b32_e32 v11, 0
	;; [unrolled: 1-line block ×4, first 2 shown]
	s_waitcnt lgkmcnt(0)
	s_barrier
	buffer_wbinvl1_vol
	s_and_saveexec_b64 s[14:15], s[16:17]
	s_cbranch_execz .LBB90_196
; %bb.191:
	v_lshlrev_b32_e32 v26, 9, v20
	v_lshlrev_b32_e32 v25, 4, v19
	ds_read_b128 v[11:14], v26 offset:10560
	ds_read_b128 v[27:30], v25 offset:10496
	v_cmp_gt_u32_e64 s[12:13], 12, v18
	s_waitcnt lgkmcnt(0)
	v_mul_f64 v[31:32], v[13:14], v[29:30]
	v_mul_f64 v[29:30], v[11:12], v[29:30]
	v_fma_f64 v[11:12], v[11:12], v[27:28], -v[31:32]
	v_fma_f64 v[13:14], v[13:14], v[27:28], v[29:30]
	v_add_f64 v[11:12], v[11:12], 0
	v_add_f64 v[13:14], v[13:14], 0
	s_and_saveexec_b64 s[18:19], s[12:13]
	s_cbranch_execnz .LBB90_559
; %bb.192:
	s_or_b64 exec, exec, s[18:19]
	v_cmp_gt_u32_e64 s[12:13], 8, v18
	s_and_saveexec_b64 s[18:19], s[12:13]
	s_cbranch_execnz .LBB90_560
.LBB90_193:
	s_or_b64 exec, exec, s[18:19]
	v_cmp_gt_u32_e64 s[12:13], 4, v18
	s_and_saveexec_b64 s[18:19], s[12:13]
	s_cbranch_execz .LBB90_195
.LBB90_194:
	v_lshlrev_b32_e32 v29, 4, v0
	v_mov_b32_e32 v25, 0
	ds_read_b128 v[25:28], v25 offset:12144
	ds_read_b128 v[29:32], v29 offset:12032
	s_waitcnt lgkmcnt(0)
	v_mul_f64 v[33:34], v[27:28], v[31:32]
	v_mul_f64 v[31:32], v[25:26], v[31:32]
	v_fma_f64 v[25:26], v[25:26], v[29:30], -v[33:34]
	v_fma_f64 v[27:28], v[27:28], v[29:30], v[31:32]
	v_add_f64 v[11:12], v[11:12], v[25:26]
	v_add_f64 v[13:14], v[13:14], v[27:28]
.LBB90_195:
	s_or_b64 exec, exec, s[18:19]
.LBB90_196:
	s_or_b64 exec, exec, s[14:15]
	s_and_saveexec_b64 s[12:13], s[44:45]
	s_cbranch_execz .LBB90_198
; %bb.197:
	v_mov_b32_e32 v25, 0
	ds_read_b128 v[25:28], v25 offset:10032
	s_waitcnt lgkmcnt(0)
	v_mul_f64 v[29:30], v[13:14], v[27:28]
	v_mul_f64 v[27:28], v[11:12], v[27:28]
	v_fma_f64 v[11:12], v[11:12], v[25:26], -v[29:30]
	v_fma_f64 v[13:14], v[13:14], v[25:26], v[27:28]
	v_xor_b32_e32 v26, 0x80000000, v12
	v_xor_b32_e32 v28, 0x80000000, v14
	v_mov_b32_e32 v25, v11
	v_mov_b32_e32 v27, v13
	ds_write_b128 v21, v[25:28]
.LBB90_198:
	s_or_b64 exec, exec, s[12:13]
	s_waitcnt lgkmcnt(0)
	s_barrier
	s_and_saveexec_b64 s[12:13], s[46:47]
	s_cbranch_execz .LBB90_200
; %bb.199:
	v_lshlrev_b32_e32 v29, 4, v19
	ds_read_b128 v[25:28], v21
	ds_read_b128 v[29:32], v29 offset:9984
	s_waitcnt lgkmcnt(0)
	v_mul_f64 v[33:34], v[27:28], v[31:32]
	v_mul_f64 v[31:32], v[25:26], v[31:32]
	v_fma_f64 v[25:26], v[25:26], v[29:30], -v[33:34]
	v_fma_f64 v[27:28], v[27:28], v[29:30], v[31:32]
	v_add_f64 v[11:12], v[11:12], -v[25:26]
	v_add_f64 v[13:14], v[13:14], -v[27:28]
.LBB90_200:
	s_or_b64 exec, exec, s[12:13]
	s_barrier
	s_and_saveexec_b64 s[12:13], s[48:49]
	s_cbranch_execz .LBB90_202
; %bb.201:
	v_mov_b32_e32 v25, 0
	ds_read_b128 v[25:28], v25 offset:9504
	s_waitcnt lgkmcnt(0)
	v_mul_f64 v[29:30], v[13:14], v[27:28]
	v_mul_f64 v[27:28], v[11:12], v[27:28]
	v_fma_f64 v[11:12], v[11:12], v[25:26], -v[29:30]
	v_fma_f64 v[13:14], v[13:14], v[25:26], v[27:28]
	v_xor_b32_e32 v26, 0x80000000, v12
	v_xor_b32_e32 v28, 0x80000000, v14
	v_mov_b32_e32 v25, v11
	v_mov_b32_e32 v27, v13
	ds_write_b128 v21, v[25:28]
.LBB90_202:
	s_or_b64 exec, exec, s[12:13]
	s_waitcnt lgkmcnt(0)
	s_barrier
	s_and_saveexec_b64 s[12:13], s[50:51]
	s_cbranch_execz .LBB90_204
; %bb.203:
	v_lshlrev_b32_e32 v29, 4, v19
	ds_read_b128 v[25:28], v21
	ds_read_b128 v[29:32], v29 offset:9472
	s_waitcnt lgkmcnt(0)
	v_mul_f64 v[33:34], v[27:28], v[31:32]
	v_mul_f64 v[31:32], v[25:26], v[31:32]
	v_fma_f64 v[25:26], v[25:26], v[29:30], -v[33:34]
	v_fma_f64 v[27:28], v[27:28], v[29:30], v[31:32]
	v_add_f64 v[11:12], v[11:12], -v[25:26]
	v_add_f64 v[13:14], v[13:14], -v[27:28]
.LBB90_204:
	s_or_b64 exec, exec, s[12:13]
	s_barrier
	s_and_saveexec_b64 s[12:13], s[52:53]
	s_cbranch_execz .LBB90_206
; %bb.205:
	v_mov_b32_e32 v25, 0
	ds_read_b128 v[25:28], v25 offset:8976
	s_waitcnt lgkmcnt(0)
	v_mul_f64 v[29:30], v[13:14], v[27:28]
	v_mul_f64 v[27:28], v[11:12], v[27:28]
	v_fma_f64 v[11:12], v[11:12], v[25:26], -v[29:30]
	v_fma_f64 v[13:14], v[13:14], v[25:26], v[27:28]
	v_xor_b32_e32 v26, 0x80000000, v12
	v_xor_b32_e32 v28, 0x80000000, v14
	v_mov_b32_e32 v25, v11
	v_mov_b32_e32 v27, v13
	ds_write_b128 v21, v[25:28]
.LBB90_206:
	s_or_b64 exec, exec, s[12:13]
	s_waitcnt lgkmcnt(0)
	s_barrier
	s_and_saveexec_b64 s[12:13], s[42:43]
	s_cbranch_execz .LBB90_208
; %bb.207:
	v_mov_b32_e32 v29, 0
	ds_read_b128 v[25:28], v21
	ds_read_b128 v[29:32], v29 offset:8960
	s_waitcnt lgkmcnt(0)
	v_mul_f64 v[33:34], v[27:28], v[31:32]
	v_mul_f64 v[31:32], v[25:26], v[31:32]
	v_fma_f64 v[25:26], v[25:26], v[29:30], -v[33:34]
	v_fma_f64 v[27:28], v[27:28], v[29:30], v[31:32]
	v_add_f64 v[11:12], v[11:12], -v[25:26]
	v_add_f64 v[13:14], v[13:14], -v[27:28]
.LBB90_208:
	s_or_b64 exec, exec, s[12:13]
	s_barrier
	s_and_saveexec_b64 s[12:13], s[42:43]
	s_cbranch_execz .LBB90_210
; %bb.209:
	v_mov_b32_e32 v25, 0
	ds_read_b128 v[25:28], v25 offset:8448
	s_waitcnt lgkmcnt(0)
	v_mul_f64 v[29:30], v[13:14], v[27:28]
	v_mul_f64 v[27:28], v[11:12], v[27:28]
	v_fma_f64 v[11:12], v[11:12], v[25:26], -v[29:30]
	v_fma_f64 v[13:14], v[13:14], v[25:26], v[27:28]
	v_xor_b32_e32 v26, 0x80000000, v12
	v_xor_b32_e32 v28, 0x80000000, v14
	v_mov_b32_e32 v25, v11
	v_mov_b32_e32 v27, v13
	ds_write_b128 v21, v[25:28]
.LBB90_210:
	s_or_b64 exec, exec, s[12:13]
	s_waitcnt lgkmcnt(0)
	s_barrier
	s_barrier
	s_and_saveexec_b64 s[12:13], s[16:17]
; %bb.211:
	v_lshlrev_b32_e32 v25, 4, v19
	v_lshl_or_b32 v25, v20, 9, v25
	ds_write_b128 v25, v[11:14] offset:10496
; %bb.212:
	s_or_b64 exec, exec, s[12:13]
	s_waitcnt lgkmcnt(0)
	s_barrier
	s_barrier
	s_and_saveexec_b64 s[12:13], s[54:55]
	s_cbranch_execz .LBB90_214
; %bb.213:
	v_lshlrev_b32_e32 v25, 4, v0
	s_movk_i32 s14, 0x1f0
	v_mad_u32_u24 v26, v0, s14, v25
	ds_read_b128 v[11:14], v26 offset:10496
	s_waitcnt lgkmcnt(0)
	ds_write_b128 v25, v[11:14] offset:8512
	ds_read_b128 v[11:14], v26 offset:10512
	s_waitcnt lgkmcnt(0)
	ds_write_b128 v25, v[11:14] offset:9024
	;; [unrolled: 3-line block ×4, first 2 shown]
.LBB90_214:
	s_or_b64 exec, exec, s[12:13]
	s_waitcnt lgkmcnt(0)
	s_barrier
	s_and_saveexec_b64 s[12:13], vcc
	s_cbranch_execz .LBB90_216
; %bb.215:
	v_mov_b32_e32 v35, 0
	ds_read_b128 v[11:14], v35 offset:10032
	ds_read_b128 v[25:28], v35 offset:9504
	ds_read_b128 v[29:32], v35 offset:10016
	s_waitcnt lgkmcnt(1)
	v_mul_f64 v[33:34], v[11:12], v[27:28]
	v_mul_f64 v[27:28], v[13:14], v[27:28]
	v_fma_f64 v[13:14], v[13:14], v[25:26], v[33:34]
	v_fma_f64 v[11:12], v[11:12], v[25:26], -v[27:28]
	s_waitcnt lgkmcnt(0)
	v_mul_f64 v[25:26], v[13:14], v[31:32]
	v_mul_f64 v[27:28], v[11:12], v[31:32]
	v_fma_f64 v[11:12], v[29:30], v[11:12], -v[25:26]
	v_fma_f64 v[13:14], v[29:30], v[13:14], v[27:28]
	ds_write_b128 v35, v[11:14] offset:10016
	ds_write_b128 v35, v[11:14] offset:9520
.LBB90_216:
	s_or_b64 exec, exec, s[12:13]
	v_mov_b32_e32 v11, 0
	v_mov_b32_e32 v13, 0
	v_mov_b32_e32 v12, 0
	v_mov_b32_e32 v14, 0
	s_waitcnt lgkmcnt(0)
	s_barrier
	buffer_wbinvl1_vol
	s_and_saveexec_b64 s[14:15], s[2:3]
	s_cbranch_execz .LBB90_220
; %bb.217:
	v_lshlrev_b32_e32 v25, 4, v15
	v_lshlrev_b32_e32 v11, 9, v16
	ds_read_b128 v[11:14], v11 offset:9504
	ds_read_b128 v[25:28], v25 offset:9472
	v_cmp_gt_u32_e64 s[12:13], 2, v18
	s_waitcnt lgkmcnt(0)
	v_mul_f64 v[29:30], v[13:14], v[27:28]
	v_mul_f64 v[27:28], v[11:12], v[27:28]
	v_fma_f64 v[11:12], v[11:12], v[25:26], -v[29:30]
	v_fma_f64 v[13:14], v[13:14], v[25:26], v[27:28]
	v_add_f64 v[11:12], v[11:12], 0
	v_add_f64 v[13:14], v[13:14], 0
	s_and_saveexec_b64 s[18:19], s[12:13]
	s_cbranch_execz .LBB90_219
; %bb.218:
	v_lshlrev_b32_e32 v29, 4, v0
	v_mov_b32_e32 v25, 0
	ds_read_b128 v[25:28], v25 offset:10032
	ds_read_b128 v[29:32], v29 offset:9984
	s_waitcnt lgkmcnt(0)
	v_mul_f64 v[33:34], v[27:28], v[31:32]
	v_mul_f64 v[31:32], v[25:26], v[31:32]
	v_fma_f64 v[25:26], v[25:26], v[29:30], -v[33:34]
	v_fma_f64 v[27:28], v[27:28], v[29:30], v[31:32]
	v_add_f64 v[11:12], v[11:12], v[25:26]
	v_add_f64 v[13:14], v[13:14], v[27:28]
.LBB90_219:
	s_or_b64 exec, exec, s[18:19]
.LBB90_220:
	s_or_b64 exec, exec, s[14:15]
	s_and_saveexec_b64 s[12:13], s[38:39]
	s_cbranch_execz .LBB90_222
; %bb.221:
	v_mov_b32_e32 v25, 0
	ds_read_b128 v[25:28], v25 offset:8976
	s_waitcnt lgkmcnt(0)
	v_mul_f64 v[29:30], v[13:14], v[27:28]
	v_mul_f64 v[27:28], v[11:12], v[27:28]
	v_fma_f64 v[11:12], v[11:12], v[25:26], -v[29:30]
	v_fma_f64 v[13:14], v[13:14], v[25:26], v[27:28]
	v_xor_b32_e32 v26, 0x80000000, v12
	v_xor_b32_e32 v28, 0x80000000, v14
	v_mov_b32_e32 v25, v11
	v_mov_b32_e32 v27, v13
	ds_write_b128 v17, v[25:28]
.LBB90_222:
	s_or_b64 exec, exec, s[12:13]
	s_waitcnt lgkmcnt(0)
	s_barrier
	s_and_saveexec_b64 s[12:13], s[36:37]
	s_cbranch_execz .LBB90_224
; %bb.223:
	v_mov_b32_e32 v29, 0
	ds_read_b128 v[25:28], v17
	ds_read_b128 v[29:32], v29 offset:8960
	s_waitcnt lgkmcnt(0)
	v_mul_f64 v[33:34], v[27:28], v[31:32]
	v_mul_f64 v[31:32], v[25:26], v[31:32]
	v_fma_f64 v[25:26], v[25:26], v[29:30], -v[33:34]
	v_fma_f64 v[27:28], v[27:28], v[29:30], v[31:32]
	v_add_f64 v[11:12], v[11:12], -v[25:26]
	v_add_f64 v[13:14], v[13:14], -v[27:28]
.LBB90_224:
	s_or_b64 exec, exec, s[12:13]
	s_barrier
	s_and_saveexec_b64 s[12:13], s[36:37]
	s_cbranch_execz .LBB90_226
; %bb.225:
	v_mov_b32_e32 v25, 0
	ds_read_b128 v[25:28], v25 offset:8448
	s_waitcnt lgkmcnt(0)
	v_mul_f64 v[29:30], v[13:14], v[27:28]
	v_mul_f64 v[27:28], v[11:12], v[27:28]
	v_fma_f64 v[11:12], v[11:12], v[25:26], -v[29:30]
	v_fma_f64 v[13:14], v[13:14], v[25:26], v[27:28]
	v_xor_b32_e32 v26, 0x80000000, v12
	v_xor_b32_e32 v28, 0x80000000, v14
	v_mov_b32_e32 v25, v11
	v_mov_b32_e32 v27, v13
	ds_write_b128 v17, v[25:28]
.LBB90_226:
	s_or_b64 exec, exec, s[12:13]
	s_waitcnt lgkmcnt(0)
	s_barrier
	s_barrier
	s_and_saveexec_b64 s[12:13], s[2:3]
; %bb.227:
	v_lshlrev_b32_e32 v25, 4, v15
	v_lshl_or_b32 v25, v16, 9, v25
	ds_write_b128 v25, v[11:14] offset:9472
; %bb.228:
	s_or_b64 exec, exec, s[12:13]
	s_waitcnt lgkmcnt(0)
	s_barrier
	s_barrier
	s_and_saveexec_b64 s[12:13], s[40:41]
	s_cbranch_execz .LBB90_230
; %bb.229:
	v_lshlrev_b32_e32 v25, 9, v0
	ds_read_b128 v[11:14], v25 offset:9472
	s_movk_i32 s14, 0xfe10
	v_mad_i32_i24 v26, v0, s14, v25
	s_waitcnt lgkmcnt(0)
	ds_write_b128 v26, v[11:14] offset:8480
	ds_read_b128 v[11:14], v25 offset:9488
	s_waitcnt lgkmcnt(0)
	ds_write_b128 v26, v[11:14] offset:8992
.LBB90_230:
	s_or_b64 exec, exec, s[12:13]
	s_waitcnt lgkmcnt(0)
	s_barrier
	s_and_saveexec_b64 s[12:13], vcc
	s_cbranch_execz .LBB90_232
; %bb.231:
	v_mov_b32_e32 v35, 0
	ds_read_b128 v[11:14], v35 offset:8976
	ds_read_b128 v[25:28], v35 offset:8448
	;; [unrolled: 1-line block ×3, first 2 shown]
	s_waitcnt lgkmcnt(1)
	v_mul_f64 v[33:34], v[11:12], v[27:28]
	v_mul_f64 v[27:28], v[13:14], v[27:28]
	v_fma_f64 v[13:14], v[13:14], v[25:26], v[33:34]
	v_fma_f64 v[11:12], v[11:12], v[25:26], -v[27:28]
	s_waitcnt lgkmcnt(0)
	v_mul_f64 v[25:26], v[13:14], v[31:32]
	v_mul_f64 v[27:28], v[11:12], v[31:32]
	v_fma_f64 v[11:12], v[29:30], v[11:12], -v[25:26]
	v_fma_f64 v[13:14], v[29:30], v[13:14], v[27:28]
	ds_write_b128 v35, v[11:14] offset:8960
	ds_write_b128 v35, v[11:14] offset:8464
.LBB90_232:
	s_or_b64 exec, exec, s[12:13]
	s_movk_i32 s12, 0xff
	v_lshrrev_b32_e32 v27, 4, v18
	v_cmp_lt_u32_e64 s[14:15], s12, v18
	s_movk_i32 s12, 0x100
	v_mov_b32_e32 v13, 0
	v_mov_b32_e32 v11, 0
	v_and_b32_e32 v25, 15, v0
	v_sub_u32_e32 v26, 15, v27
	v_mov_b32_e32 v14, 0
	v_mov_b32_e32 v12, 0
	v_cmp_gt_u32_e64 s[12:13], s12, v18
	s_waitcnt lgkmcnt(0)
	s_barrier
	buffer_wbinvl1_vol
	s_and_saveexec_b64 s[86:87], s[12:13]
	s_cbranch_execz .LBB90_260
; %bb.233:
	v_lshlrev_b32_e32 v29, 9, v26
	v_lshlrev_b32_e32 v28, 4, v25
	ds_read_b128 v[11:14], v29 offset:8448
	ds_read_b128 v[30:33], v28 offset:8192
	s_movk_i32 s18, 0xf0
	v_cmp_gt_u32_e64 s[18:19], s18, v18
	s_waitcnt lgkmcnt(0)
	v_mul_f64 v[34:35], v[13:14], v[32:33]
	v_mul_f64 v[32:33], v[11:12], v[32:33]
	v_fma_f64 v[11:12], v[11:12], v[30:31], -v[34:35]
	v_fma_f64 v[13:14], v[13:14], v[30:31], v[32:33]
	v_add_f64 v[11:12], v[11:12], 0
	v_add_f64 v[13:14], v[13:14], 0
	s_and_saveexec_b64 s[88:89], s[18:19]
	s_cbranch_execz .LBB90_235
; %bb.234:
	ds_read_b128 v[30:33], v29 offset:8464
	ds_read_b128 v[34:37], v28 offset:8704
	s_waitcnt lgkmcnt(0)
	v_mul_f64 v[38:39], v[32:33], v[36:37]
	v_mul_f64 v[36:37], v[30:31], v[36:37]
	v_fma_f64 v[30:31], v[30:31], v[34:35], -v[38:39]
	v_fma_f64 v[32:33], v[32:33], v[34:35], v[36:37]
	v_add_f64 v[11:12], v[11:12], v[30:31]
	v_add_f64 v[13:14], v[13:14], v[32:33]
.LBB90_235:
	s_or_b64 exec, exec, s[88:89]
	s_movk_i32 s18, 0xe0
	v_cmp_gt_u32_e64 s[18:19], s18, v18
	s_and_saveexec_b64 s[88:89], s[18:19]
	s_cbranch_execz .LBB90_237
; %bb.236:
	ds_read_b128 v[30:33], v29 offset:8480
	ds_read_b128 v[34:37], v28 offset:9216
	s_waitcnt lgkmcnt(0)
	v_mul_f64 v[38:39], v[32:33], v[36:37]
	v_mul_f64 v[36:37], v[30:31], v[36:37]
	v_fma_f64 v[30:31], v[30:31], v[34:35], -v[38:39]
	v_fma_f64 v[32:33], v[32:33], v[34:35], v[36:37]
	v_add_f64 v[11:12], v[11:12], v[30:31]
	v_add_f64 v[13:14], v[13:14], v[32:33]
.LBB90_237:
	s_or_b64 exec, exec, s[88:89]
	s_movk_i32 s18, 0xd0
	v_cmp_gt_u32_e64 s[18:19], s18, v18
	;; [unrolled: 16-line block ×10, first 2 shown]
	s_and_saveexec_b64 s[88:89], s[18:19]
	s_cbranch_execnz .LBB90_561
; %bb.254:
	s_or_b64 exec, exec, s[88:89]
	s_and_saveexec_b64 s[18:19], s[8:9]
	s_cbranch_execnz .LBB90_562
.LBB90_255:
	s_or_b64 exec, exec, s[18:19]
	v_cmp_gt_u32_e64 s[18:19], 48, v18
	s_and_saveexec_b64 s[88:89], s[18:19]
	s_cbranch_execnz .LBB90_563
.LBB90_256:
	s_or_b64 exec, exec, s[88:89]
	v_cmp_gt_u32_e64 s[18:19], 32, v18
	s_and_saveexec_b64 s[88:89], s[18:19]
	s_cbranch_execnz .LBB90_564
.LBB90_257:
	s_or_b64 exec, exec, s[88:89]
	v_cmp_gt_u32_e64 s[18:19], 16, v18
	s_and_saveexec_b64 s[88:89], s[18:19]
	s_cbranch_execz .LBB90_259
.LBB90_258:
	v_lshlrev_b32_e32 v32, 4, v0
	v_mov_b32_e32 v28, 0
	ds_read_b128 v[28:31], v28 offset:16368
	ds_read_b128 v[32:35], v32 offset:15872
	s_waitcnt lgkmcnt(0)
	v_mul_f64 v[36:37], v[30:31], v[34:35]
	v_mul_f64 v[34:35], v[28:29], v[34:35]
	v_fma_f64 v[28:29], v[28:29], v[32:33], -v[36:37]
	v_fma_f64 v[30:31], v[30:31], v[32:33], v[34:35]
	v_add_f64 v[11:12], v[11:12], v[28:29]
	v_add_f64 v[13:14], v[13:14], v[30:31]
.LBB90_259:
	s_or_b64 exec, exec, s[88:89]
.LBB90_260:
	s_or_b64 exec, exec, s[86:87]
	v_mov_b32_e32 v28, 0x4000
	v_cmp_eq_u32_e64 s[18:19], 15, v25
	s_xor_b64 s[86:87], s[14:15], -1
	v_lshl_add_u32 v27, v27, 4, v28
	s_and_b64 s[18:19], s[18:19], s[86:87]
	s_and_saveexec_b64 s[14:15], s[18:19]
	s_cbranch_execz .LBB90_262
; %bb.261:
	v_mov_b32_e32 v28, 0
	ds_read_b128 v[28:31], v28 offset:7920
	s_waitcnt lgkmcnt(0)
	v_mul_f64 v[32:33], v[13:14], v[30:31]
	v_mul_f64 v[30:31], v[11:12], v[30:31]
	v_fma_f64 v[11:12], v[11:12], v[28:29], -v[32:33]
	v_fma_f64 v[13:14], v[13:14], v[28:29], v[30:31]
	v_xor_b32_e32 v29, 0x80000000, v12
	v_xor_b32_e32 v31, 0x80000000, v14
	v_mov_b32_e32 v28, v11
	v_mov_b32_e32 v30, v13
	ds_write_b128 v27, v[28:31]
.LBB90_262:
	s_or_b64 exec, exec, s[14:15]
	v_cmp_ne_u32_e64 s[14:15], 15, v25
	s_and_b64 s[18:19], s[14:15], s[86:87]
	s_waitcnt lgkmcnt(0)
	s_barrier
	s_and_saveexec_b64 s[14:15], s[18:19]
	s_cbranch_execz .LBB90_264
; %bb.263:
	v_lshlrev_b32_e32 v32, 4, v25
	ds_read_b128 v[28:31], v27
	ds_read_b128 v[32:35], v32 offset:7680
	s_waitcnt lgkmcnt(0)
	v_mul_f64 v[36:37], v[30:31], v[34:35]
	v_mul_f64 v[34:35], v[28:29], v[34:35]
	v_fma_f64 v[28:29], v[28:29], v[32:33], -v[36:37]
	v_fma_f64 v[30:31], v[30:31], v[32:33], v[34:35]
	v_add_f64 v[11:12], v[11:12], -v[28:29]
	v_add_f64 v[13:14], v[13:14], -v[30:31]
.LBB90_264:
	s_or_b64 exec, exec, s[14:15]
	v_cmp_eq_u32_e64 s[14:15], 14, v25
	s_and_b64 s[18:19], s[14:15], s[86:87]
	s_barrier
	s_and_saveexec_b64 s[14:15], s[18:19]
	s_cbranch_execz .LBB90_266
; %bb.265:
	v_mov_b32_e32 v28, 0
	ds_read_b128 v[28:31], v28 offset:7392
	s_waitcnt lgkmcnt(0)
	v_mul_f64 v[32:33], v[13:14], v[30:31]
	v_mul_f64 v[30:31], v[11:12], v[30:31]
	v_fma_f64 v[11:12], v[11:12], v[28:29], -v[32:33]
	v_fma_f64 v[13:14], v[13:14], v[28:29], v[30:31]
	v_xor_b32_e32 v29, 0x80000000, v12
	v_xor_b32_e32 v31, 0x80000000, v14
	v_mov_b32_e32 v28, v11
	v_mov_b32_e32 v30, v13
	ds_write_b128 v27, v[28:31]
.LBB90_266:
	s_or_b64 exec, exec, s[14:15]
	v_cmp_gt_u32_e64 s[14:15], 14, v25
	s_and_b64 s[18:19], s[14:15], s[86:87]
	s_waitcnt lgkmcnt(0)
	s_barrier
	s_and_saveexec_b64 s[14:15], s[18:19]
	s_cbranch_execz .LBB90_268
; %bb.267:
	v_lshlrev_b32_e32 v32, 4, v25
	ds_read_b128 v[28:31], v27
	ds_read_b128 v[32:35], v32 offset:7168
	s_waitcnt lgkmcnt(0)
	v_mul_f64 v[36:37], v[30:31], v[34:35]
	v_mul_f64 v[34:35], v[28:29], v[34:35]
	v_fma_f64 v[28:29], v[28:29], v[32:33], -v[36:37]
	v_fma_f64 v[30:31], v[30:31], v[32:33], v[34:35]
	v_add_f64 v[11:12], v[11:12], -v[28:29]
	v_add_f64 v[13:14], v[13:14], -v[30:31]
.LBB90_268:
	s_or_b64 exec, exec, s[14:15]
	v_cmp_eq_u32_e64 s[14:15], 13, v25
	s_and_b64 s[18:19], s[14:15], s[86:87]
	s_barrier
	s_and_saveexec_b64 s[14:15], s[18:19]
	s_cbranch_execz .LBB90_270
; %bb.269:
	v_mov_b32_e32 v28, 0
	ds_read_b128 v[28:31], v28 offset:6864
	s_waitcnt lgkmcnt(0)
	v_mul_f64 v[32:33], v[13:14], v[30:31]
	v_mul_f64 v[30:31], v[11:12], v[30:31]
	v_fma_f64 v[11:12], v[11:12], v[28:29], -v[32:33]
	v_fma_f64 v[13:14], v[13:14], v[28:29], v[30:31]
	v_xor_b32_e32 v29, 0x80000000, v12
	v_xor_b32_e32 v31, 0x80000000, v14
	v_mov_b32_e32 v28, v11
	v_mov_b32_e32 v30, v13
	ds_write_b128 v27, v[28:31]
.LBB90_270:
	s_or_b64 exec, exec, s[14:15]
	v_cmp_gt_u32_e64 s[14:15], 13, v25
	;; [unrolled: 39-line block ×13, first 2 shown]
	s_and_b64 s[18:19], s[14:15], s[86:87]
	s_waitcnt lgkmcnt(0)
	s_barrier
	s_and_saveexec_b64 s[14:15], s[18:19]
	s_cbranch_execz .LBB90_316
; %bb.315:
	v_lshlrev_b32_e32 v32, 4, v25
	ds_read_b128 v[28:31], v27
	ds_read_b128 v[32:35], v32 offset:1024
	s_waitcnt lgkmcnt(0)
	v_mul_f64 v[36:37], v[30:31], v[34:35]
	v_mul_f64 v[34:35], v[28:29], v[34:35]
	v_fma_f64 v[28:29], v[28:29], v[32:33], -v[36:37]
	v_fma_f64 v[30:31], v[30:31], v[32:33], v[34:35]
	v_add_f64 v[11:12], v[11:12], -v[28:29]
	v_add_f64 v[13:14], v[13:14], -v[30:31]
.LBB90_316:
	s_or_b64 exec, exec, s[14:15]
	v_cmp_eq_u32_e64 s[14:15], 1, v25
	s_and_b64 s[18:19], s[14:15], s[86:87]
	s_barrier
	s_and_saveexec_b64 s[14:15], s[18:19]
	s_cbranch_execz .LBB90_318
; %bb.317:
	v_mov_b32_e32 v28, 0
	ds_read_b128 v[28:31], v28 offset:528
	s_waitcnt lgkmcnt(0)
	v_mul_f64 v[32:33], v[13:14], v[30:31]
	v_mul_f64 v[30:31], v[11:12], v[30:31]
	v_fma_f64 v[11:12], v[11:12], v[28:29], -v[32:33]
	v_fma_f64 v[13:14], v[13:14], v[28:29], v[30:31]
	v_xor_b32_e32 v29, 0x80000000, v12
	v_xor_b32_e32 v31, 0x80000000, v14
	v_mov_b32_e32 v28, v11
	v_mov_b32_e32 v30, v13
	ds_write_b128 v27, v[28:31]
.LBB90_318:
	s_or_b64 exec, exec, s[14:15]
	v_cmp_eq_u32_e64 s[14:15], 0, v25
	s_and_b64 s[14:15], s[14:15], s[86:87]
	s_waitcnt lgkmcnt(0)
	s_barrier
	s_and_saveexec_b64 s[18:19], s[14:15]
	s_cbranch_execz .LBB90_320
; %bb.319:
	v_mov_b32_e32 v32, 0
	ds_read_b128 v[28:31], v27
	ds_read_b128 v[32:35], v32 offset:512
	s_waitcnt lgkmcnt(0)
	v_mul_f64 v[36:37], v[30:31], v[34:35]
	v_mul_f64 v[34:35], v[28:29], v[34:35]
	v_fma_f64 v[28:29], v[28:29], v[32:33], -v[36:37]
	v_fma_f64 v[30:31], v[30:31], v[32:33], v[34:35]
	v_add_f64 v[11:12], v[11:12], -v[28:29]
	v_add_f64 v[13:14], v[13:14], -v[30:31]
.LBB90_320:
	s_or_b64 exec, exec, s[18:19]
	s_barrier
	s_and_saveexec_b64 s[18:19], s[14:15]
	s_cbranch_execz .LBB90_322
; %bb.321:
	v_mov_b32_e32 v28, 0
	ds_read_b128 v[28:31], v28
	s_waitcnt lgkmcnt(0)
	v_mul_f64 v[32:33], v[13:14], v[30:31]
	v_mul_f64 v[30:31], v[11:12], v[30:31]
	v_fma_f64 v[11:12], v[11:12], v[28:29], -v[32:33]
	v_fma_f64 v[13:14], v[13:14], v[28:29], v[30:31]
	v_xor_b32_e32 v29, 0x80000000, v12
	v_xor_b32_e32 v31, 0x80000000, v14
	v_mov_b32_e32 v28, v11
	v_mov_b32_e32 v30, v13
	ds_write_b128 v27, v[28:31]
.LBB90_322:
	s_or_b64 exec, exec, s[18:19]
	s_waitcnt lgkmcnt(0)
	s_barrier
	s_barrier
	s_and_saveexec_b64 s[14:15], s[12:13]
; %bb.323:
	v_lshlrev_b32_e32 v25, 4, v25
	v_lshl_or_b32 v25, v26, 9, v25
	ds_write_b128 v25, v[11:14] offset:8192
; %bb.324:
	s_or_b64 exec, exec, s[14:15]
	v_cmp_gt_u32_e64 s[12:13], 16, v0
	s_and_b64 s[12:13], s[10:11], s[12:13]
	s_waitcnt lgkmcnt(0)
	s_barrier
	s_barrier
	s_and_saveexec_b64 s[10:11], s[12:13]
	s_cbranch_execz .LBB90_326
; %bb.325:
	v_lshlrev_b32_e32 v25, 9, v0
	ds_read_b128 v[11:14], v25 offset:8192
	s_movk_i32 s12, 0xfe10
	v_mad_i32_i24 v26, v0, s12, v25
	s_waitcnt lgkmcnt(0)
	ds_write_b128 v26, v[11:14] offset:256
	ds_read_b128 v[11:14], v25 offset:8208
	s_waitcnt lgkmcnt(0)
	ds_write_b128 v26, v[11:14] offset:768
	ds_read_b128 v[11:14], v25 offset:8224
	;; [unrolled: 3-line block ×15, first 2 shown]
	s_waitcnt lgkmcnt(0)
	ds_write_b128 v26, v[11:14] offset:7936
.LBB90_326:
	s_or_b64 exec, exec, s[10:11]
	s_waitcnt lgkmcnt(0)
	s_barrier
	s_and_saveexec_b64 s[10:11], vcc
	s_cbranch_execz .LBB90_328
; %bb.327:
	v_mov_b32_e32 v35, 0
	ds_read_b128 v[11:14], v35 offset:7920
	ds_read_b128 v[25:28], v35 offset:7392
	ds_read_b128 v[29:32], v35 offset:7904
	s_waitcnt lgkmcnt(1)
	v_mul_f64 v[33:34], v[11:12], v[27:28]
	v_mul_f64 v[27:28], v[13:14], v[27:28]
	v_fma_f64 v[13:14], v[13:14], v[25:26], v[33:34]
	v_fma_f64 v[11:12], v[11:12], v[25:26], -v[27:28]
	s_waitcnt lgkmcnt(0)
	v_mul_f64 v[25:26], v[13:14], v[31:32]
	v_mul_f64 v[27:28], v[11:12], v[31:32]
	v_fma_f64 v[11:12], v[29:30], v[11:12], -v[25:26]
	v_fma_f64 v[13:14], v[29:30], v[13:14], v[27:28]
	ds_write_b128 v35, v[11:14] offset:7904
	ds_write_b128 v35, v[11:14] offset:7408
.LBB90_328:
	s_or_b64 exec, exec, s[10:11]
	v_mov_b32_e32 v11, 0
	v_mov_b32_e32 v13, 0
	;; [unrolled: 1-line block ×4, first 2 shown]
	s_waitcnt lgkmcnt(0)
	s_barrier
	buffer_wbinvl1_vol
	s_and_saveexec_b64 s[12:13], s[2:3]
	s_cbranch_execz .LBB90_332
; %bb.329:
	v_lshlrev_b32_e32 v25, 4, v15
	v_lshlrev_b32_e32 v11, 9, v16
	ds_read_b128 v[11:14], v11 offset:7392
	ds_read_b128 v[25:28], v25 offset:7360
	v_cmp_gt_u32_e64 s[10:11], 2, v18
	s_waitcnt lgkmcnt(0)
	v_mul_f64 v[29:30], v[13:14], v[27:28]
	v_mul_f64 v[27:28], v[11:12], v[27:28]
	v_fma_f64 v[11:12], v[11:12], v[25:26], -v[29:30]
	v_fma_f64 v[13:14], v[13:14], v[25:26], v[27:28]
	v_add_f64 v[11:12], v[11:12], 0
	v_add_f64 v[13:14], v[13:14], 0
	s_and_saveexec_b64 s[14:15], s[10:11]
	s_cbranch_execz .LBB90_331
; %bb.330:
	v_lshlrev_b32_e32 v29, 4, v0
	v_mov_b32_e32 v25, 0
	ds_read_b128 v[25:28], v25 offset:7920
	ds_read_b128 v[29:32], v29 offset:7872
	s_waitcnt lgkmcnt(0)
	v_mul_f64 v[33:34], v[27:28], v[31:32]
	v_mul_f64 v[31:32], v[25:26], v[31:32]
	v_fma_f64 v[25:26], v[25:26], v[29:30], -v[33:34]
	v_fma_f64 v[27:28], v[27:28], v[29:30], v[31:32]
	v_add_f64 v[11:12], v[11:12], v[25:26]
	v_add_f64 v[13:14], v[13:14], v[27:28]
.LBB90_331:
	s_or_b64 exec, exec, s[14:15]
.LBB90_332:
	s_or_b64 exec, exec, s[12:13]
	s_and_saveexec_b64 s[10:11], s[38:39]
	s_cbranch_execz .LBB90_334
; %bb.333:
	v_mov_b32_e32 v25, 0
	ds_read_b128 v[25:28], v25 offset:6864
	s_waitcnt lgkmcnt(0)
	v_mul_f64 v[29:30], v[13:14], v[27:28]
	v_mul_f64 v[27:28], v[11:12], v[27:28]
	v_fma_f64 v[11:12], v[11:12], v[25:26], -v[29:30]
	v_fma_f64 v[13:14], v[13:14], v[25:26], v[27:28]
	v_xor_b32_e32 v26, 0x80000000, v12
	v_xor_b32_e32 v28, 0x80000000, v14
	v_mov_b32_e32 v25, v11
	v_mov_b32_e32 v27, v13
	ds_write_b128 v17, v[25:28]
.LBB90_334:
	s_or_b64 exec, exec, s[10:11]
	s_waitcnt lgkmcnt(0)
	s_barrier
	s_and_saveexec_b64 s[10:11], s[36:37]
	s_cbranch_execz .LBB90_336
; %bb.335:
	v_mov_b32_e32 v29, 0
	ds_read_b128 v[25:28], v17
	ds_read_b128 v[29:32], v29 offset:6848
	s_waitcnt lgkmcnt(0)
	v_mul_f64 v[33:34], v[27:28], v[31:32]
	v_mul_f64 v[31:32], v[25:26], v[31:32]
	v_fma_f64 v[25:26], v[25:26], v[29:30], -v[33:34]
	v_fma_f64 v[27:28], v[27:28], v[29:30], v[31:32]
	v_add_f64 v[11:12], v[11:12], -v[25:26]
	v_add_f64 v[13:14], v[13:14], -v[27:28]
.LBB90_336:
	s_or_b64 exec, exec, s[10:11]
	s_barrier
	s_and_saveexec_b64 s[10:11], s[36:37]
	s_cbranch_execz .LBB90_338
; %bb.337:
	v_mov_b32_e32 v25, 0
	ds_read_b128 v[25:28], v25 offset:6336
	s_waitcnt lgkmcnt(0)
	v_mul_f64 v[29:30], v[13:14], v[27:28]
	v_mul_f64 v[27:28], v[11:12], v[27:28]
	v_fma_f64 v[11:12], v[11:12], v[25:26], -v[29:30]
	v_fma_f64 v[13:14], v[13:14], v[25:26], v[27:28]
	v_xor_b32_e32 v26, 0x80000000, v12
	v_xor_b32_e32 v28, 0x80000000, v14
	v_mov_b32_e32 v25, v11
	v_mov_b32_e32 v27, v13
	ds_write_b128 v17, v[25:28]
.LBB90_338:
	s_or_b64 exec, exec, s[10:11]
	s_waitcnt lgkmcnt(0)
	s_barrier
	s_barrier
	s_and_saveexec_b64 s[10:11], s[2:3]
; %bb.339:
	v_lshlrev_b32_e32 v25, 4, v15
	v_lshl_or_b32 v25, v16, 9, v25
	ds_write_b128 v25, v[11:14] offset:7360
; %bb.340:
	s_or_b64 exec, exec, s[10:11]
	s_waitcnt lgkmcnt(0)
	s_barrier
	s_barrier
	s_and_saveexec_b64 s[10:11], s[40:41]
	s_cbranch_execz .LBB90_342
; %bb.341:
	v_lshlrev_b32_e32 v25, 9, v0
	ds_read_b128 v[11:14], v25 offset:7360
	s_movk_i32 s12, 0xfe10
	v_mad_i32_i24 v26, v0, s12, v25
	s_waitcnt lgkmcnt(0)
	ds_write_b128 v26, v[11:14] offset:6368
	ds_read_b128 v[11:14], v25 offset:7376
	s_waitcnt lgkmcnt(0)
	ds_write_b128 v26, v[11:14] offset:6880
.LBB90_342:
	s_or_b64 exec, exec, s[10:11]
	s_waitcnt lgkmcnt(0)
	s_barrier
	s_and_saveexec_b64 s[10:11], vcc
	s_cbranch_execz .LBB90_344
; %bb.343:
	v_mov_b32_e32 v35, 0
	ds_read_b128 v[11:14], v35 offset:6864
	ds_read_b128 v[25:28], v35 offset:6336
	;; [unrolled: 1-line block ×3, first 2 shown]
	s_waitcnt lgkmcnt(1)
	v_mul_f64 v[33:34], v[11:12], v[27:28]
	v_mul_f64 v[27:28], v[13:14], v[27:28]
	v_fma_f64 v[13:14], v[13:14], v[25:26], v[33:34]
	v_fma_f64 v[11:12], v[11:12], v[25:26], -v[27:28]
	s_waitcnt lgkmcnt(0)
	v_mul_f64 v[25:26], v[13:14], v[31:32]
	v_mul_f64 v[27:28], v[11:12], v[31:32]
	v_fma_f64 v[11:12], v[29:30], v[11:12], -v[25:26]
	v_fma_f64 v[13:14], v[29:30], v[13:14], v[27:28]
	ds_write_b128 v35, v[11:14] offset:6848
	ds_write_b128 v35, v[11:14] offset:6352
.LBB90_344:
	s_or_b64 exec, exec, s[10:11]
	v_mov_b32_e32 v13, 0
	v_mov_b32_e32 v11, 0
	;; [unrolled: 1-line block ×4, first 2 shown]
	s_waitcnt lgkmcnt(0)
	s_barrier
	buffer_wbinvl1_vol
	s_and_saveexec_b64 s[12:13], s[16:17]
	s_cbranch_execz .LBB90_350
; %bb.345:
	v_lshlrev_b32_e32 v26, 9, v20
	v_lshlrev_b32_e32 v25, 4, v19
	ds_read_b128 v[11:14], v26 offset:6336
	ds_read_b128 v[27:30], v25 offset:6272
	v_cmp_gt_u32_e64 s[10:11], 12, v18
	s_waitcnt lgkmcnt(0)
	v_mul_f64 v[31:32], v[13:14], v[29:30]
	v_mul_f64 v[29:30], v[11:12], v[29:30]
	v_fma_f64 v[11:12], v[11:12], v[27:28], -v[31:32]
	v_fma_f64 v[13:14], v[13:14], v[27:28], v[29:30]
	v_add_f64 v[11:12], v[11:12], 0
	v_add_f64 v[13:14], v[13:14], 0
	s_and_saveexec_b64 s[14:15], s[10:11]
	s_cbranch_execnz .LBB90_565
; %bb.346:
	s_or_b64 exec, exec, s[14:15]
	v_cmp_gt_u32_e64 s[10:11], 8, v18
	s_and_saveexec_b64 s[14:15], s[10:11]
	s_cbranch_execnz .LBB90_566
.LBB90_347:
	s_or_b64 exec, exec, s[14:15]
	v_cmp_gt_u32_e64 s[10:11], 4, v18
	s_and_saveexec_b64 s[14:15], s[10:11]
	s_cbranch_execz .LBB90_349
.LBB90_348:
	v_lshlrev_b32_e32 v29, 4, v0
	v_mov_b32_e32 v25, 0
	ds_read_b128 v[25:28], v25 offset:7920
	ds_read_b128 v[29:32], v29 offset:7808
	s_waitcnt lgkmcnt(0)
	v_mul_f64 v[33:34], v[27:28], v[31:32]
	v_mul_f64 v[31:32], v[25:26], v[31:32]
	v_fma_f64 v[25:26], v[25:26], v[29:30], -v[33:34]
	v_fma_f64 v[27:28], v[27:28], v[29:30], v[31:32]
	v_add_f64 v[11:12], v[11:12], v[25:26]
	v_add_f64 v[13:14], v[13:14], v[27:28]
.LBB90_349:
	s_or_b64 exec, exec, s[14:15]
.LBB90_350:
	s_or_b64 exec, exec, s[12:13]
	s_and_saveexec_b64 s[10:11], s[44:45]
	s_cbranch_execz .LBB90_352
; %bb.351:
	v_mov_b32_e32 v25, 0
	ds_read_b128 v[25:28], v25 offset:5808
	s_waitcnt lgkmcnt(0)
	v_mul_f64 v[29:30], v[13:14], v[27:28]
	v_mul_f64 v[27:28], v[11:12], v[27:28]
	v_fma_f64 v[11:12], v[11:12], v[25:26], -v[29:30]
	v_fma_f64 v[13:14], v[13:14], v[25:26], v[27:28]
	v_xor_b32_e32 v26, 0x80000000, v12
	v_xor_b32_e32 v28, 0x80000000, v14
	v_mov_b32_e32 v25, v11
	v_mov_b32_e32 v27, v13
	ds_write_b128 v21, v[25:28]
.LBB90_352:
	s_or_b64 exec, exec, s[10:11]
	s_waitcnt lgkmcnt(0)
	s_barrier
	s_and_saveexec_b64 s[10:11], s[46:47]
	s_cbranch_execz .LBB90_354
; %bb.353:
	v_lshlrev_b32_e32 v29, 4, v19
	ds_read_b128 v[25:28], v21
	ds_read_b128 v[29:32], v29 offset:5760
	s_waitcnt lgkmcnt(0)
	v_mul_f64 v[33:34], v[27:28], v[31:32]
	v_mul_f64 v[31:32], v[25:26], v[31:32]
	v_fma_f64 v[25:26], v[25:26], v[29:30], -v[33:34]
	v_fma_f64 v[27:28], v[27:28], v[29:30], v[31:32]
	v_add_f64 v[11:12], v[11:12], -v[25:26]
	v_add_f64 v[13:14], v[13:14], -v[27:28]
.LBB90_354:
	s_or_b64 exec, exec, s[10:11]
	s_barrier
	s_and_saveexec_b64 s[10:11], s[48:49]
	s_cbranch_execz .LBB90_356
; %bb.355:
	v_mov_b32_e32 v25, 0
	ds_read_b128 v[25:28], v25 offset:5280
	s_waitcnt lgkmcnt(0)
	v_mul_f64 v[29:30], v[13:14], v[27:28]
	v_mul_f64 v[27:28], v[11:12], v[27:28]
	v_fma_f64 v[11:12], v[11:12], v[25:26], -v[29:30]
	v_fma_f64 v[13:14], v[13:14], v[25:26], v[27:28]
	v_xor_b32_e32 v26, 0x80000000, v12
	v_xor_b32_e32 v28, 0x80000000, v14
	v_mov_b32_e32 v25, v11
	v_mov_b32_e32 v27, v13
	ds_write_b128 v21, v[25:28]
.LBB90_356:
	s_or_b64 exec, exec, s[10:11]
	s_waitcnt lgkmcnt(0)
	s_barrier
	s_and_saveexec_b64 s[10:11], s[50:51]
	s_cbranch_execz .LBB90_358
; %bb.357:
	v_lshlrev_b32_e32 v29, 4, v19
	ds_read_b128 v[25:28], v21
	ds_read_b128 v[29:32], v29 offset:5248
	s_waitcnt lgkmcnt(0)
	v_mul_f64 v[33:34], v[27:28], v[31:32]
	v_mul_f64 v[31:32], v[25:26], v[31:32]
	v_fma_f64 v[25:26], v[25:26], v[29:30], -v[33:34]
	v_fma_f64 v[27:28], v[27:28], v[29:30], v[31:32]
	v_add_f64 v[11:12], v[11:12], -v[25:26]
	v_add_f64 v[13:14], v[13:14], -v[27:28]
.LBB90_358:
	s_or_b64 exec, exec, s[10:11]
	s_barrier
	s_and_saveexec_b64 s[10:11], s[52:53]
	s_cbranch_execz .LBB90_360
; %bb.359:
	v_mov_b32_e32 v25, 0
	ds_read_b128 v[25:28], v25 offset:4752
	s_waitcnt lgkmcnt(0)
	v_mul_f64 v[29:30], v[13:14], v[27:28]
	v_mul_f64 v[27:28], v[11:12], v[27:28]
	v_fma_f64 v[11:12], v[11:12], v[25:26], -v[29:30]
	v_fma_f64 v[13:14], v[13:14], v[25:26], v[27:28]
	v_xor_b32_e32 v26, 0x80000000, v12
	v_xor_b32_e32 v28, 0x80000000, v14
	v_mov_b32_e32 v25, v11
	v_mov_b32_e32 v27, v13
	ds_write_b128 v21, v[25:28]
.LBB90_360:
	s_or_b64 exec, exec, s[10:11]
	s_waitcnt lgkmcnt(0)
	s_barrier
	s_and_saveexec_b64 s[10:11], s[42:43]
	s_cbranch_execz .LBB90_362
; %bb.361:
	v_mov_b32_e32 v29, 0
	ds_read_b128 v[25:28], v21
	ds_read_b128 v[29:32], v29 offset:4736
	s_waitcnt lgkmcnt(0)
	v_mul_f64 v[33:34], v[27:28], v[31:32]
	v_mul_f64 v[31:32], v[25:26], v[31:32]
	v_fma_f64 v[25:26], v[25:26], v[29:30], -v[33:34]
	v_fma_f64 v[27:28], v[27:28], v[29:30], v[31:32]
	v_add_f64 v[11:12], v[11:12], -v[25:26]
	v_add_f64 v[13:14], v[13:14], -v[27:28]
.LBB90_362:
	s_or_b64 exec, exec, s[10:11]
	s_barrier
	s_and_saveexec_b64 s[10:11], s[42:43]
	s_cbranch_execz .LBB90_364
; %bb.363:
	v_mov_b32_e32 v25, 0
	ds_read_b128 v[25:28], v25 offset:4224
	s_waitcnt lgkmcnt(0)
	v_mul_f64 v[29:30], v[13:14], v[27:28]
	v_mul_f64 v[27:28], v[11:12], v[27:28]
	v_fma_f64 v[11:12], v[11:12], v[25:26], -v[29:30]
	v_fma_f64 v[13:14], v[13:14], v[25:26], v[27:28]
	v_xor_b32_e32 v26, 0x80000000, v12
	v_xor_b32_e32 v28, 0x80000000, v14
	v_mov_b32_e32 v25, v11
	v_mov_b32_e32 v27, v13
	ds_write_b128 v21, v[25:28]
.LBB90_364:
	s_or_b64 exec, exec, s[10:11]
	s_waitcnt lgkmcnt(0)
	s_barrier
	s_barrier
	s_and_saveexec_b64 s[10:11], s[16:17]
; %bb.365:
	v_lshlrev_b32_e32 v25, 4, v19
	v_lshl_or_b32 v25, v20, 9, v25
	ds_write_b128 v25, v[11:14] offset:6272
; %bb.366:
	s_or_b64 exec, exec, s[10:11]
	s_waitcnt lgkmcnt(0)
	s_barrier
	s_barrier
	s_and_saveexec_b64 s[10:11], s[54:55]
	s_cbranch_execz .LBB90_368
; %bb.367:
	v_lshlrev_b32_e32 v25, 4, v0
	s_movk_i32 s12, 0x1f0
	v_mad_u32_u24 v26, v0, s12, v25
	ds_read_b128 v[11:14], v26 offset:6272
	s_waitcnt lgkmcnt(0)
	ds_write_b128 v25, v[11:14] offset:4288
	ds_read_b128 v[11:14], v26 offset:6288
	s_waitcnt lgkmcnt(0)
	ds_write_b128 v25, v[11:14] offset:4800
	;; [unrolled: 3-line block ×4, first 2 shown]
.LBB90_368:
	s_or_b64 exec, exec, s[10:11]
	s_waitcnt lgkmcnt(0)
	s_barrier
	s_and_saveexec_b64 s[10:11], vcc
	s_cbranch_execz .LBB90_370
; %bb.369:
	v_mov_b32_e32 v35, 0
	ds_read_b128 v[11:14], v35 offset:5808
	ds_read_b128 v[25:28], v35 offset:5280
	;; [unrolled: 1-line block ×3, first 2 shown]
	s_waitcnt lgkmcnt(1)
	v_mul_f64 v[33:34], v[11:12], v[27:28]
	v_mul_f64 v[27:28], v[13:14], v[27:28]
	v_fma_f64 v[13:14], v[13:14], v[25:26], v[33:34]
	v_fma_f64 v[11:12], v[11:12], v[25:26], -v[27:28]
	s_waitcnt lgkmcnt(0)
	v_mul_f64 v[25:26], v[13:14], v[31:32]
	v_mul_f64 v[27:28], v[11:12], v[31:32]
	v_fma_f64 v[11:12], v[29:30], v[11:12], -v[25:26]
	v_fma_f64 v[13:14], v[29:30], v[13:14], v[27:28]
	ds_write_b128 v35, v[11:14] offset:5792
	ds_write_b128 v35, v[11:14] offset:5296
.LBB90_370:
	s_or_b64 exec, exec, s[10:11]
	v_mov_b32_e32 v11, 0
	v_mov_b32_e32 v13, 0
	;; [unrolled: 1-line block ×4, first 2 shown]
	s_waitcnt lgkmcnt(0)
	s_barrier
	buffer_wbinvl1_vol
	s_and_saveexec_b64 s[12:13], s[2:3]
	s_cbranch_execz .LBB90_374
; %bb.371:
	v_lshlrev_b32_e32 v25, 4, v15
	v_lshlrev_b32_e32 v11, 9, v16
	ds_read_b128 v[11:14], v11 offset:5280
	ds_read_b128 v[25:28], v25 offset:5248
	v_cmp_gt_u32_e64 s[10:11], 2, v18
	s_waitcnt lgkmcnt(0)
	v_mul_f64 v[29:30], v[13:14], v[27:28]
	v_mul_f64 v[27:28], v[11:12], v[27:28]
	v_fma_f64 v[11:12], v[11:12], v[25:26], -v[29:30]
	v_fma_f64 v[13:14], v[13:14], v[25:26], v[27:28]
	v_add_f64 v[11:12], v[11:12], 0
	v_add_f64 v[13:14], v[13:14], 0
	s_and_saveexec_b64 s[14:15], s[10:11]
	s_cbranch_execz .LBB90_373
; %bb.372:
	v_lshlrev_b32_e32 v29, 4, v0
	v_mov_b32_e32 v25, 0
	ds_read_b128 v[25:28], v25 offset:5808
	ds_read_b128 v[29:32], v29 offset:5760
	s_waitcnt lgkmcnt(0)
	v_mul_f64 v[33:34], v[27:28], v[31:32]
	v_mul_f64 v[31:32], v[25:26], v[31:32]
	v_fma_f64 v[25:26], v[25:26], v[29:30], -v[33:34]
	v_fma_f64 v[27:28], v[27:28], v[29:30], v[31:32]
	v_add_f64 v[11:12], v[11:12], v[25:26]
	v_add_f64 v[13:14], v[13:14], v[27:28]
.LBB90_373:
	s_or_b64 exec, exec, s[14:15]
.LBB90_374:
	s_or_b64 exec, exec, s[12:13]
	s_and_saveexec_b64 s[10:11], s[38:39]
	s_cbranch_execz .LBB90_376
; %bb.375:
	v_mov_b32_e32 v25, 0
	ds_read_b128 v[25:28], v25 offset:4752
	s_waitcnt lgkmcnt(0)
	v_mul_f64 v[29:30], v[13:14], v[27:28]
	v_mul_f64 v[27:28], v[11:12], v[27:28]
	v_fma_f64 v[11:12], v[11:12], v[25:26], -v[29:30]
	v_fma_f64 v[13:14], v[13:14], v[25:26], v[27:28]
	v_xor_b32_e32 v26, 0x80000000, v12
	v_xor_b32_e32 v28, 0x80000000, v14
	v_mov_b32_e32 v25, v11
	v_mov_b32_e32 v27, v13
	ds_write_b128 v17, v[25:28]
.LBB90_376:
	s_or_b64 exec, exec, s[10:11]
	s_waitcnt lgkmcnt(0)
	s_barrier
	s_and_saveexec_b64 s[10:11], s[36:37]
	s_cbranch_execz .LBB90_378
; %bb.377:
	v_mov_b32_e32 v29, 0
	ds_read_b128 v[25:28], v17
	ds_read_b128 v[29:32], v29 offset:4736
	s_waitcnt lgkmcnt(0)
	v_mul_f64 v[33:34], v[27:28], v[31:32]
	v_mul_f64 v[31:32], v[25:26], v[31:32]
	v_fma_f64 v[25:26], v[25:26], v[29:30], -v[33:34]
	v_fma_f64 v[27:28], v[27:28], v[29:30], v[31:32]
	v_add_f64 v[11:12], v[11:12], -v[25:26]
	v_add_f64 v[13:14], v[13:14], -v[27:28]
.LBB90_378:
	s_or_b64 exec, exec, s[10:11]
	s_barrier
	s_and_saveexec_b64 s[10:11], s[36:37]
	s_cbranch_execz .LBB90_380
; %bb.379:
	v_mov_b32_e32 v25, 0
	ds_read_b128 v[25:28], v25 offset:4224
	s_waitcnt lgkmcnt(0)
	v_mul_f64 v[29:30], v[13:14], v[27:28]
	v_mul_f64 v[27:28], v[11:12], v[27:28]
	v_fma_f64 v[11:12], v[11:12], v[25:26], -v[29:30]
	v_fma_f64 v[13:14], v[13:14], v[25:26], v[27:28]
	v_xor_b32_e32 v26, 0x80000000, v12
	v_xor_b32_e32 v28, 0x80000000, v14
	v_mov_b32_e32 v25, v11
	v_mov_b32_e32 v27, v13
	ds_write_b128 v17, v[25:28]
.LBB90_380:
	s_or_b64 exec, exec, s[10:11]
	s_waitcnt lgkmcnt(0)
	s_barrier
	s_barrier
	s_and_saveexec_b64 s[10:11], s[2:3]
; %bb.381:
	v_lshlrev_b32_e32 v25, 4, v15
	v_lshl_or_b32 v25, v16, 9, v25
	ds_write_b128 v25, v[11:14] offset:5248
; %bb.382:
	s_or_b64 exec, exec, s[10:11]
	s_waitcnt lgkmcnt(0)
	s_barrier
	s_barrier
	s_and_saveexec_b64 s[10:11], s[40:41]
	s_cbranch_execz .LBB90_384
; %bb.383:
	v_lshlrev_b32_e32 v25, 9, v0
	ds_read_b128 v[11:14], v25 offset:5248
	s_movk_i32 s12, 0xfe10
	v_mad_i32_i24 v26, v0, s12, v25
	s_waitcnt lgkmcnt(0)
	ds_write_b128 v26, v[11:14] offset:4256
	ds_read_b128 v[11:14], v25 offset:5264
	s_waitcnt lgkmcnt(0)
	ds_write_b128 v26, v[11:14] offset:4768
.LBB90_384:
	s_or_b64 exec, exec, s[10:11]
	s_waitcnt lgkmcnt(0)
	s_barrier
	s_and_saveexec_b64 s[10:11], vcc
	s_cbranch_execz .LBB90_386
; %bb.385:
	v_mov_b32_e32 v35, 0
	ds_read_b128 v[11:14], v35 offset:4752
	ds_read_b128 v[25:28], v35 offset:4224
	;; [unrolled: 1-line block ×3, first 2 shown]
	s_waitcnt lgkmcnt(1)
	v_mul_f64 v[33:34], v[11:12], v[27:28]
	v_mul_f64 v[27:28], v[13:14], v[27:28]
	v_fma_f64 v[13:14], v[13:14], v[25:26], v[33:34]
	v_fma_f64 v[11:12], v[11:12], v[25:26], -v[27:28]
	s_waitcnt lgkmcnt(0)
	v_mul_f64 v[25:26], v[13:14], v[31:32]
	v_mul_f64 v[27:28], v[11:12], v[31:32]
	v_fma_f64 v[11:12], v[29:30], v[11:12], -v[25:26]
	v_fma_f64 v[13:14], v[29:30], v[13:14], v[27:28]
	ds_write_b128 v35, v[11:14] offset:4736
	ds_write_b128 v35, v[11:14] offset:4240
.LBB90_386:
	s_or_b64 exec, exec, s[10:11]
	v_mov_b32_e32 v13, 0
	v_mov_b32_e32 v11, 0
	;; [unrolled: 1-line block ×4, first 2 shown]
	s_waitcnt lgkmcnt(0)
	s_barrier
	buffer_wbinvl1_vol
	s_and_saveexec_b64 s[12:13], s[8:9]
	s_cbranch_execz .LBB90_396
; %bb.387:
	v_lshlrev_b32_e32 v26, 9, v23
	v_lshlrev_b32_e32 v25, 4, v22
	ds_read_b128 v[11:14], v26 offset:4224
	ds_read_b128 v[27:30], v25 offset:4096
	v_cmp_gt_u32_e64 s[10:11], 56, v18
	s_waitcnt lgkmcnt(0)
	v_mul_f64 v[31:32], v[13:14], v[29:30]
	v_mul_f64 v[29:30], v[11:12], v[29:30]
	v_fma_f64 v[11:12], v[11:12], v[27:28], -v[31:32]
	v_fma_f64 v[13:14], v[13:14], v[27:28], v[29:30]
	v_add_f64 v[11:12], v[11:12], 0
	v_add_f64 v[13:14], v[13:14], 0
	s_and_saveexec_b64 s[14:15], s[10:11]
	s_cbranch_execnz .LBB90_567
; %bb.388:
	s_or_b64 exec, exec, s[14:15]
	v_cmp_gt_u32_e64 s[10:11], 48, v18
	s_and_saveexec_b64 s[14:15], s[10:11]
	s_cbranch_execnz .LBB90_568
.LBB90_389:
	s_or_b64 exec, exec, s[14:15]
	v_cmp_gt_u32_e64 s[10:11], 40, v18
	s_and_saveexec_b64 s[14:15], s[10:11]
	s_cbranch_execnz .LBB90_569
.LBB90_390:
	s_or_b64 exec, exec, s[14:15]
	v_cmp_gt_u32_e64 s[10:11], 32, v18
	s_and_saveexec_b64 s[14:15], s[10:11]
	s_cbranch_execnz .LBB90_570
.LBB90_391:
	s_or_b64 exec, exec, s[14:15]
	v_cmp_gt_u32_e64 s[10:11], 24, v18
	s_and_saveexec_b64 s[14:15], s[10:11]
	s_cbranch_execnz .LBB90_571
.LBB90_392:
	s_or_b64 exec, exec, s[14:15]
	s_and_saveexec_b64 s[10:11], s[16:17]
	s_cbranch_execnz .LBB90_572
.LBB90_393:
	s_or_b64 exec, exec, s[10:11]
	v_cmp_gt_u32_e64 s[10:11], 8, v18
	s_and_saveexec_b64 s[14:15], s[10:11]
	s_cbranch_execz .LBB90_395
.LBB90_394:
	v_lshlrev_b32_e32 v29, 4, v0
	v_mov_b32_e32 v25, 0
	ds_read_b128 v[25:28], v25 offset:7920
	ds_read_b128 v[29:32], v29 offset:7680
	s_waitcnt lgkmcnt(0)
	v_mul_f64 v[33:34], v[27:28], v[31:32]
	v_mul_f64 v[31:32], v[25:26], v[31:32]
	v_fma_f64 v[25:26], v[25:26], v[29:30], -v[33:34]
	v_fma_f64 v[27:28], v[27:28], v[29:30], v[31:32]
	v_add_f64 v[11:12], v[11:12], v[25:26]
	v_add_f64 v[13:14], v[13:14], v[27:28]
.LBB90_395:
	s_or_b64 exec, exec, s[14:15]
.LBB90_396:
	s_or_b64 exec, exec, s[12:13]
	s_and_saveexec_b64 s[10:11], s[58:59]
	s_cbranch_execz .LBB90_398
; %bb.397:
	v_mov_b32_e32 v25, 0
	ds_read_b128 v[25:28], v25 offset:3696
	s_waitcnt lgkmcnt(0)
	v_mul_f64 v[29:30], v[13:14], v[27:28]
	v_mul_f64 v[27:28], v[11:12], v[27:28]
	v_fma_f64 v[11:12], v[11:12], v[25:26], -v[29:30]
	v_fma_f64 v[13:14], v[13:14], v[25:26], v[27:28]
	v_xor_b32_e32 v26, 0x80000000, v12
	v_xor_b32_e32 v28, 0x80000000, v14
	v_mov_b32_e32 v25, v11
	v_mov_b32_e32 v27, v13
	ds_write_b128 v24, v[25:28]
.LBB90_398:
	s_or_b64 exec, exec, s[10:11]
	s_waitcnt lgkmcnt(0)
	s_barrier
	s_and_saveexec_b64 s[10:11], s[60:61]
	s_cbranch_execz .LBB90_400
; %bb.399:
	v_lshlrev_b32_e32 v29, 4, v22
	ds_read_b128 v[25:28], v24
	ds_read_b128 v[29:32], v29 offset:3584
	s_waitcnt lgkmcnt(0)
	v_mul_f64 v[33:34], v[27:28], v[31:32]
	v_mul_f64 v[31:32], v[25:26], v[31:32]
	v_fma_f64 v[25:26], v[25:26], v[29:30], -v[33:34]
	v_fma_f64 v[27:28], v[27:28], v[29:30], v[31:32]
	v_add_f64 v[11:12], v[11:12], -v[25:26]
	v_add_f64 v[13:14], v[13:14], -v[27:28]
.LBB90_400:
	s_or_b64 exec, exec, s[10:11]
	s_barrier
	s_and_saveexec_b64 s[10:11], s[62:63]
	s_cbranch_execz .LBB90_402
; %bb.401:
	v_mov_b32_e32 v25, 0
	ds_read_b128 v[25:28], v25 offset:3168
	s_waitcnt lgkmcnt(0)
	v_mul_f64 v[29:30], v[13:14], v[27:28]
	v_mul_f64 v[27:28], v[11:12], v[27:28]
	v_fma_f64 v[11:12], v[11:12], v[25:26], -v[29:30]
	v_fma_f64 v[13:14], v[13:14], v[25:26], v[27:28]
	v_xor_b32_e32 v26, 0x80000000, v12
	v_xor_b32_e32 v28, 0x80000000, v14
	v_mov_b32_e32 v25, v11
	v_mov_b32_e32 v27, v13
	ds_write_b128 v24, v[25:28]
.LBB90_402:
	s_or_b64 exec, exec, s[10:11]
	s_waitcnt lgkmcnt(0)
	s_barrier
	s_and_saveexec_b64 s[10:11], s[64:65]
	s_cbranch_execz .LBB90_404
; %bb.403:
	v_lshlrev_b32_e32 v29, 4, v22
	ds_read_b128 v[25:28], v24
	ds_read_b128 v[29:32], v29 offset:3072
	s_waitcnt lgkmcnt(0)
	v_mul_f64 v[33:34], v[27:28], v[31:32]
	v_mul_f64 v[31:32], v[25:26], v[31:32]
	v_fma_f64 v[25:26], v[25:26], v[29:30], -v[33:34]
	v_fma_f64 v[27:28], v[27:28], v[29:30], v[31:32]
	v_add_f64 v[11:12], v[11:12], -v[25:26]
	v_add_f64 v[13:14], v[13:14], -v[27:28]
.LBB90_404:
	s_or_b64 exec, exec, s[10:11]
	s_barrier
	;; [unrolled: 35-line block ×6, first 2 shown]
	s_and_saveexec_b64 s[10:11], s[82:83]
	s_cbranch_execz .LBB90_422
; %bb.421:
	v_mov_b32_e32 v25, 0
	ds_read_b128 v[25:28], v25 offset:528
	s_waitcnt lgkmcnt(0)
	v_mul_f64 v[29:30], v[13:14], v[27:28]
	v_mul_f64 v[27:28], v[11:12], v[27:28]
	v_fma_f64 v[11:12], v[11:12], v[25:26], -v[29:30]
	v_fma_f64 v[13:14], v[13:14], v[25:26], v[27:28]
	v_xor_b32_e32 v26, 0x80000000, v12
	v_xor_b32_e32 v28, 0x80000000, v14
	v_mov_b32_e32 v25, v11
	v_mov_b32_e32 v27, v13
	ds_write_b128 v24, v[25:28]
.LBB90_422:
	s_or_b64 exec, exec, s[10:11]
	s_waitcnt lgkmcnt(0)
	s_barrier
	s_and_saveexec_b64 s[10:11], s[56:57]
	s_cbranch_execz .LBB90_424
; %bb.423:
	v_mov_b32_e32 v29, 0
	ds_read_b128 v[25:28], v24
	ds_read_b128 v[29:32], v29 offset:512
	s_waitcnt lgkmcnt(0)
	v_mul_f64 v[33:34], v[27:28], v[31:32]
	v_mul_f64 v[31:32], v[25:26], v[31:32]
	v_fma_f64 v[25:26], v[25:26], v[29:30], -v[33:34]
	v_fma_f64 v[27:28], v[27:28], v[29:30], v[31:32]
	v_add_f64 v[11:12], v[11:12], -v[25:26]
	v_add_f64 v[13:14], v[13:14], -v[27:28]
.LBB90_424:
	s_or_b64 exec, exec, s[10:11]
	s_barrier
	s_and_saveexec_b64 s[10:11], s[56:57]
	s_cbranch_execz .LBB90_426
; %bb.425:
	v_mov_b32_e32 v25, 0
	ds_read_b128 v[25:28], v25
	s_waitcnt lgkmcnt(0)
	v_mul_f64 v[29:30], v[13:14], v[27:28]
	v_mul_f64 v[27:28], v[11:12], v[27:28]
	v_fma_f64 v[11:12], v[11:12], v[25:26], -v[29:30]
	v_fma_f64 v[13:14], v[13:14], v[25:26], v[27:28]
	v_xor_b32_e32 v26, 0x80000000, v12
	v_xor_b32_e32 v28, 0x80000000, v14
	v_mov_b32_e32 v25, v11
	v_mov_b32_e32 v27, v13
	ds_write_b128 v24, v[25:28]
.LBB90_426:
	s_or_b64 exec, exec, s[10:11]
	s_waitcnt lgkmcnt(0)
	s_barrier
	s_barrier
	s_and_saveexec_b64 s[10:11], s[8:9]
; %bb.427:
	v_lshlrev_b32_e32 v22, 4, v22
	v_lshl_or_b32 v22, v23, 9, v22
	ds_write_b128 v22, v[11:14] offset:4096
; %bb.428:
	s_or_b64 exec, exec, s[10:11]
	s_waitcnt lgkmcnt(0)
	s_barrier
	s_barrier
	s_and_saveexec_b64 s[8:9], s[84:85]
	s_cbranch_execz .LBB90_430
; %bb.429:
	v_lshlrev_b32_e32 v22, 9, v0
	ds_read_b128 v[11:14], v22 offset:4096
	s_movk_i32 s10, 0xfe10
	v_mad_i32_i24 v23, v0, s10, v22
	s_waitcnt lgkmcnt(0)
	ds_write_b128 v23, v[11:14] offset:128
	ds_read_b128 v[11:14], v22 offset:4112
	s_waitcnt lgkmcnt(0)
	ds_write_b128 v23, v[11:14] offset:640
	ds_read_b128 v[11:14], v22 offset:4128
	;; [unrolled: 3-line block ×7, first 2 shown]
	s_waitcnt lgkmcnt(0)
	ds_write_b128 v23, v[11:14] offset:3712
.LBB90_430:
	s_or_b64 exec, exec, s[8:9]
	s_waitcnt lgkmcnt(0)
	s_barrier
	s_and_saveexec_b64 s[8:9], vcc
	s_cbranch_execz .LBB90_432
; %bb.431:
	v_mov_b32_e32 v32, 0
	ds_read_b128 v[11:14], v32 offset:3696
	ds_read_b128 v[22:25], v32 offset:3168
	;; [unrolled: 1-line block ×3, first 2 shown]
	s_waitcnt lgkmcnt(1)
	v_mul_f64 v[30:31], v[11:12], v[24:25]
	v_mul_f64 v[24:25], v[13:14], v[24:25]
	v_fma_f64 v[13:14], v[13:14], v[22:23], v[30:31]
	v_fma_f64 v[11:12], v[11:12], v[22:23], -v[24:25]
	s_waitcnt lgkmcnt(0)
	v_mul_f64 v[22:23], v[13:14], v[28:29]
	v_mul_f64 v[24:25], v[11:12], v[28:29]
	v_fma_f64 v[11:12], v[26:27], v[11:12], -v[22:23]
	v_fma_f64 v[13:14], v[26:27], v[13:14], v[24:25]
	ds_write_b128 v32, v[11:14] offset:3680
	ds_write_b128 v32, v[11:14] offset:3184
.LBB90_432:
	s_or_b64 exec, exec, s[8:9]
	v_mov_b32_e32 v11, 0
	v_mov_b32_e32 v13, 0
	;; [unrolled: 1-line block ×4, first 2 shown]
	s_waitcnt lgkmcnt(0)
	s_barrier
	buffer_wbinvl1_vol
	s_and_saveexec_b64 s[10:11], s[2:3]
	s_cbranch_execz .LBB90_436
; %bb.433:
	v_lshlrev_b32_e32 v22, 4, v15
	v_lshlrev_b32_e32 v11, 9, v16
	ds_read_b128 v[11:14], v11 offset:3168
	ds_read_b128 v[22:25], v22 offset:3136
	v_cmp_gt_u32_e64 s[8:9], 2, v18
	s_waitcnt lgkmcnt(0)
	v_mul_f64 v[26:27], v[13:14], v[24:25]
	v_mul_f64 v[24:25], v[11:12], v[24:25]
	v_fma_f64 v[11:12], v[11:12], v[22:23], -v[26:27]
	v_fma_f64 v[13:14], v[13:14], v[22:23], v[24:25]
	v_add_f64 v[11:12], v[11:12], 0
	v_add_f64 v[13:14], v[13:14], 0
	s_and_saveexec_b64 s[12:13], s[8:9]
	s_cbranch_execz .LBB90_435
; %bb.434:
	v_lshlrev_b32_e32 v26, 4, v0
	v_mov_b32_e32 v22, 0
	ds_read_b128 v[22:25], v22 offset:3696
	ds_read_b128 v[26:29], v26 offset:3648
	s_waitcnt lgkmcnt(0)
	v_mul_f64 v[30:31], v[24:25], v[28:29]
	v_mul_f64 v[28:29], v[22:23], v[28:29]
	v_fma_f64 v[22:23], v[22:23], v[26:27], -v[30:31]
	v_fma_f64 v[24:25], v[24:25], v[26:27], v[28:29]
	v_add_f64 v[11:12], v[11:12], v[22:23]
	v_add_f64 v[13:14], v[13:14], v[24:25]
.LBB90_435:
	s_or_b64 exec, exec, s[12:13]
.LBB90_436:
	s_or_b64 exec, exec, s[10:11]
	s_and_saveexec_b64 s[8:9], s[38:39]
	s_cbranch_execz .LBB90_438
; %bb.437:
	v_mov_b32_e32 v22, 0
	ds_read_b128 v[22:25], v22 offset:2640
	s_waitcnt lgkmcnt(0)
	v_mul_f64 v[26:27], v[13:14], v[24:25]
	v_mul_f64 v[24:25], v[11:12], v[24:25]
	v_fma_f64 v[11:12], v[11:12], v[22:23], -v[26:27]
	v_fma_f64 v[13:14], v[13:14], v[22:23], v[24:25]
	v_xor_b32_e32 v23, 0x80000000, v12
	v_xor_b32_e32 v25, 0x80000000, v14
	v_mov_b32_e32 v22, v11
	v_mov_b32_e32 v24, v13
	ds_write_b128 v17, v[22:25]
.LBB90_438:
	s_or_b64 exec, exec, s[8:9]
	s_waitcnt lgkmcnt(0)
	s_barrier
	s_and_saveexec_b64 s[8:9], s[36:37]
	s_cbranch_execz .LBB90_440
; %bb.439:
	v_mov_b32_e32 v26, 0
	ds_read_b128 v[22:25], v17
	ds_read_b128 v[26:29], v26 offset:2624
	s_waitcnt lgkmcnt(0)
	v_mul_f64 v[30:31], v[24:25], v[28:29]
	v_mul_f64 v[28:29], v[22:23], v[28:29]
	v_fma_f64 v[22:23], v[22:23], v[26:27], -v[30:31]
	v_fma_f64 v[24:25], v[24:25], v[26:27], v[28:29]
	v_add_f64 v[11:12], v[11:12], -v[22:23]
	v_add_f64 v[13:14], v[13:14], -v[24:25]
.LBB90_440:
	s_or_b64 exec, exec, s[8:9]
	s_barrier
	s_and_saveexec_b64 s[8:9], s[36:37]
	s_cbranch_execz .LBB90_442
; %bb.441:
	v_mov_b32_e32 v22, 0
	ds_read_b128 v[22:25], v22 offset:2112
	s_waitcnt lgkmcnt(0)
	v_mul_f64 v[26:27], v[13:14], v[24:25]
	v_mul_f64 v[24:25], v[11:12], v[24:25]
	v_fma_f64 v[11:12], v[11:12], v[22:23], -v[26:27]
	v_fma_f64 v[13:14], v[13:14], v[22:23], v[24:25]
	v_xor_b32_e32 v23, 0x80000000, v12
	v_xor_b32_e32 v25, 0x80000000, v14
	v_mov_b32_e32 v22, v11
	v_mov_b32_e32 v24, v13
	ds_write_b128 v17, v[22:25]
.LBB90_442:
	s_or_b64 exec, exec, s[8:9]
	s_waitcnt lgkmcnt(0)
	s_barrier
	s_barrier
	s_and_saveexec_b64 s[8:9], s[2:3]
; %bb.443:
	v_lshlrev_b32_e32 v22, 4, v15
	v_lshl_or_b32 v22, v16, 9, v22
	ds_write_b128 v22, v[11:14] offset:3136
; %bb.444:
	s_or_b64 exec, exec, s[8:9]
	s_waitcnt lgkmcnt(0)
	s_barrier
	s_barrier
	s_and_saveexec_b64 s[8:9], s[40:41]
	s_cbranch_execz .LBB90_446
; %bb.445:
	v_lshlrev_b32_e32 v22, 9, v0
	ds_read_b128 v[11:14], v22 offset:3136
	s_movk_i32 s10, 0xfe10
	v_mad_i32_i24 v23, v0, s10, v22
	s_waitcnt lgkmcnt(0)
	ds_write_b128 v23, v[11:14] offset:2144
	ds_read_b128 v[11:14], v22 offset:3152
	s_waitcnt lgkmcnt(0)
	ds_write_b128 v23, v[11:14] offset:2656
.LBB90_446:
	s_or_b64 exec, exec, s[8:9]
	s_waitcnt lgkmcnt(0)
	s_barrier
	s_and_saveexec_b64 s[8:9], vcc
	s_cbranch_execz .LBB90_448
; %bb.447:
	v_mov_b32_e32 v32, 0
	ds_read_b128 v[11:14], v32 offset:2640
	ds_read_b128 v[22:25], v32 offset:2112
	;; [unrolled: 1-line block ×3, first 2 shown]
	s_waitcnt lgkmcnt(1)
	v_mul_f64 v[30:31], v[11:12], v[24:25]
	v_mul_f64 v[24:25], v[13:14], v[24:25]
	v_fma_f64 v[13:14], v[13:14], v[22:23], v[30:31]
	v_fma_f64 v[11:12], v[11:12], v[22:23], -v[24:25]
	s_waitcnt lgkmcnt(0)
	v_mul_f64 v[22:23], v[13:14], v[28:29]
	v_mul_f64 v[24:25], v[11:12], v[28:29]
	v_fma_f64 v[11:12], v[26:27], v[11:12], -v[22:23]
	v_fma_f64 v[13:14], v[26:27], v[13:14], v[24:25]
	ds_write_b128 v32, v[11:14] offset:2624
	ds_write_b128 v32, v[11:14] offset:2128
.LBB90_448:
	s_or_b64 exec, exec, s[8:9]
	v_mov_b32_e32 v13, 0
	v_mov_b32_e32 v11, 0
	;; [unrolled: 1-line block ×4, first 2 shown]
	s_waitcnt lgkmcnt(0)
	s_barrier
	buffer_wbinvl1_vol
	s_and_saveexec_b64 s[10:11], s[16:17]
	s_cbranch_execz .LBB90_454
; %bb.449:
	v_lshlrev_b32_e32 v23, 9, v20
	v_lshlrev_b32_e32 v22, 4, v19
	ds_read_b128 v[11:14], v23 offset:2112
	ds_read_b128 v[24:27], v22 offset:2048
	v_cmp_gt_u32_e64 s[8:9], 12, v18
	s_waitcnt lgkmcnt(0)
	v_mul_f64 v[28:29], v[13:14], v[26:27]
	v_mul_f64 v[26:27], v[11:12], v[26:27]
	v_fma_f64 v[11:12], v[11:12], v[24:25], -v[28:29]
	v_fma_f64 v[13:14], v[13:14], v[24:25], v[26:27]
	v_add_f64 v[11:12], v[11:12], 0
	v_add_f64 v[13:14], v[13:14], 0
	s_and_saveexec_b64 s[12:13], s[8:9]
	s_cbranch_execnz .LBB90_573
; %bb.450:
	s_or_b64 exec, exec, s[12:13]
	v_cmp_gt_u32_e64 s[8:9], 8, v18
	s_and_saveexec_b64 s[12:13], s[8:9]
	s_cbranch_execnz .LBB90_574
.LBB90_451:
	s_or_b64 exec, exec, s[12:13]
	v_cmp_gt_u32_e64 s[8:9], 4, v18
	s_and_saveexec_b64 s[12:13], s[8:9]
	s_cbranch_execz .LBB90_453
.LBB90_452:
	v_lshlrev_b32_e32 v26, 4, v0
	v_mov_b32_e32 v22, 0
	ds_read_b128 v[22:25], v22 offset:3696
	ds_read_b128 v[26:29], v26 offset:3584
	s_waitcnt lgkmcnt(0)
	v_mul_f64 v[30:31], v[24:25], v[28:29]
	v_mul_f64 v[28:29], v[22:23], v[28:29]
	v_fma_f64 v[22:23], v[22:23], v[26:27], -v[30:31]
	v_fma_f64 v[24:25], v[24:25], v[26:27], v[28:29]
	v_add_f64 v[11:12], v[11:12], v[22:23]
	v_add_f64 v[13:14], v[13:14], v[24:25]
.LBB90_453:
	s_or_b64 exec, exec, s[12:13]
.LBB90_454:
	s_or_b64 exec, exec, s[10:11]
	s_and_saveexec_b64 s[8:9], s[44:45]
	s_cbranch_execz .LBB90_456
; %bb.455:
	v_mov_b32_e32 v22, 0
	ds_read_b128 v[22:25], v22 offset:1584
	s_waitcnt lgkmcnt(0)
	v_mul_f64 v[26:27], v[13:14], v[24:25]
	v_mul_f64 v[24:25], v[11:12], v[24:25]
	v_fma_f64 v[11:12], v[11:12], v[22:23], -v[26:27]
	v_fma_f64 v[13:14], v[13:14], v[22:23], v[24:25]
	v_xor_b32_e32 v23, 0x80000000, v12
	v_xor_b32_e32 v25, 0x80000000, v14
	v_mov_b32_e32 v22, v11
	v_mov_b32_e32 v24, v13
	ds_write_b128 v21, v[22:25]
.LBB90_456:
	s_or_b64 exec, exec, s[8:9]
	s_waitcnt lgkmcnt(0)
	s_barrier
	s_and_saveexec_b64 s[8:9], s[46:47]
	s_cbranch_execz .LBB90_458
; %bb.457:
	v_lshlrev_b32_e32 v26, 4, v19
	ds_read_b128 v[22:25], v21
	ds_read_b128 v[26:29], v26 offset:1536
	s_waitcnt lgkmcnt(0)
	v_mul_f64 v[30:31], v[24:25], v[28:29]
	v_mul_f64 v[28:29], v[22:23], v[28:29]
	v_fma_f64 v[22:23], v[22:23], v[26:27], -v[30:31]
	v_fma_f64 v[24:25], v[24:25], v[26:27], v[28:29]
	v_add_f64 v[11:12], v[11:12], -v[22:23]
	v_add_f64 v[13:14], v[13:14], -v[24:25]
.LBB90_458:
	s_or_b64 exec, exec, s[8:9]
	s_barrier
	s_and_saveexec_b64 s[8:9], s[48:49]
	s_cbranch_execz .LBB90_460
; %bb.459:
	v_mov_b32_e32 v22, 0
	ds_read_b128 v[22:25], v22 offset:1056
	s_waitcnt lgkmcnt(0)
	v_mul_f64 v[26:27], v[13:14], v[24:25]
	v_mul_f64 v[24:25], v[11:12], v[24:25]
	v_fma_f64 v[11:12], v[11:12], v[22:23], -v[26:27]
	v_fma_f64 v[13:14], v[13:14], v[22:23], v[24:25]
	v_xor_b32_e32 v23, 0x80000000, v12
	v_xor_b32_e32 v25, 0x80000000, v14
	v_mov_b32_e32 v22, v11
	v_mov_b32_e32 v24, v13
	ds_write_b128 v21, v[22:25]
.LBB90_460:
	s_or_b64 exec, exec, s[8:9]
	s_waitcnt lgkmcnt(0)
	s_barrier
	s_and_saveexec_b64 s[8:9], s[50:51]
	s_cbranch_execz .LBB90_462
; %bb.461:
	v_lshlrev_b32_e32 v26, 4, v19
	ds_read_b128 v[22:25], v21
	ds_read_b128 v[26:29], v26 offset:1024
	s_waitcnt lgkmcnt(0)
	v_mul_f64 v[30:31], v[24:25], v[28:29]
	v_mul_f64 v[28:29], v[22:23], v[28:29]
	v_fma_f64 v[22:23], v[22:23], v[26:27], -v[30:31]
	v_fma_f64 v[24:25], v[24:25], v[26:27], v[28:29]
	v_add_f64 v[11:12], v[11:12], -v[22:23]
	v_add_f64 v[13:14], v[13:14], -v[24:25]
.LBB90_462:
	s_or_b64 exec, exec, s[8:9]
	s_barrier
	s_and_saveexec_b64 s[8:9], s[52:53]
	s_cbranch_execz .LBB90_464
; %bb.463:
	v_mov_b32_e32 v22, 0
	ds_read_b128 v[22:25], v22 offset:528
	s_waitcnt lgkmcnt(0)
	v_mul_f64 v[26:27], v[13:14], v[24:25]
	v_mul_f64 v[24:25], v[11:12], v[24:25]
	v_fma_f64 v[11:12], v[11:12], v[22:23], -v[26:27]
	v_fma_f64 v[13:14], v[13:14], v[22:23], v[24:25]
	v_xor_b32_e32 v23, 0x80000000, v12
	v_xor_b32_e32 v25, 0x80000000, v14
	v_mov_b32_e32 v22, v11
	v_mov_b32_e32 v24, v13
	ds_write_b128 v21, v[22:25]
.LBB90_464:
	s_or_b64 exec, exec, s[8:9]
	s_waitcnt lgkmcnt(0)
	s_barrier
	s_and_saveexec_b64 s[8:9], s[42:43]
	s_cbranch_execz .LBB90_466
; %bb.465:
	v_mov_b32_e32 v26, 0
	ds_read_b128 v[22:25], v21
	ds_read_b128 v[26:29], v26 offset:512
	s_waitcnt lgkmcnt(0)
	v_mul_f64 v[30:31], v[24:25], v[28:29]
	v_mul_f64 v[28:29], v[22:23], v[28:29]
	v_fma_f64 v[22:23], v[22:23], v[26:27], -v[30:31]
	v_fma_f64 v[24:25], v[24:25], v[26:27], v[28:29]
	v_add_f64 v[11:12], v[11:12], -v[22:23]
	v_add_f64 v[13:14], v[13:14], -v[24:25]
.LBB90_466:
	s_or_b64 exec, exec, s[8:9]
	s_barrier
	s_and_saveexec_b64 s[8:9], s[42:43]
	s_cbranch_execz .LBB90_468
; %bb.467:
	v_mov_b32_e32 v22, 0
	ds_read_b128 v[22:25], v22
	s_waitcnt lgkmcnt(0)
	v_mul_f64 v[26:27], v[13:14], v[24:25]
	v_mul_f64 v[24:25], v[11:12], v[24:25]
	v_fma_f64 v[11:12], v[11:12], v[22:23], -v[26:27]
	v_fma_f64 v[13:14], v[13:14], v[22:23], v[24:25]
	v_xor_b32_e32 v23, 0x80000000, v12
	v_xor_b32_e32 v25, 0x80000000, v14
	v_mov_b32_e32 v22, v11
	v_mov_b32_e32 v24, v13
	ds_write_b128 v21, v[22:25]
.LBB90_468:
	s_or_b64 exec, exec, s[8:9]
	s_waitcnt lgkmcnt(0)
	s_barrier
	s_barrier
	s_and_saveexec_b64 s[8:9], s[16:17]
; %bb.469:
	v_lshlrev_b32_e32 v19, 4, v19
	v_lshl_or_b32 v19, v20, 9, v19
	ds_write_b128 v19, v[11:14] offset:2048
; %bb.470:
	s_or_b64 exec, exec, s[8:9]
	s_waitcnt lgkmcnt(0)
	s_barrier
	s_barrier
	s_and_saveexec_b64 s[8:9], s[54:55]
	s_cbranch_execz .LBB90_472
; %bb.471:
	v_lshlrev_b32_e32 v19, 4, v0
	s_movk_i32 s10, 0x1f0
	v_mad_u32_u24 v20, v0, s10, v19
	ds_read_b128 v[11:14], v20 offset:2048
	s_waitcnt lgkmcnt(0)
	ds_write_b128 v19, v[11:14] offset:64
	ds_read_b128 v[11:14], v20 offset:2064
	s_waitcnt lgkmcnt(0)
	ds_write_b128 v19, v[11:14] offset:576
	;; [unrolled: 3-line block ×4, first 2 shown]
.LBB90_472:
	s_or_b64 exec, exec, s[8:9]
	s_waitcnt lgkmcnt(0)
	s_barrier
	s_and_saveexec_b64 s[8:9], vcc
	s_cbranch_execz .LBB90_474
; %bb.473:
	v_mov_b32_e32 v29, 0
	ds_read_b128 v[11:14], v29 offset:1584
	ds_read_b128 v[19:22], v29 offset:1056
	;; [unrolled: 1-line block ×3, first 2 shown]
	s_waitcnt lgkmcnt(1)
	v_mul_f64 v[27:28], v[11:12], v[21:22]
	v_mul_f64 v[21:22], v[13:14], v[21:22]
	v_fma_f64 v[13:14], v[13:14], v[19:20], v[27:28]
	v_fma_f64 v[11:12], v[11:12], v[19:20], -v[21:22]
	s_waitcnt lgkmcnt(0)
	v_mul_f64 v[19:20], v[13:14], v[25:26]
	v_mul_f64 v[21:22], v[11:12], v[25:26]
	v_fma_f64 v[11:12], v[23:24], v[11:12], -v[19:20]
	v_fma_f64 v[13:14], v[23:24], v[13:14], v[21:22]
	ds_write_b128 v29, v[11:14] offset:1568
	ds_write_b128 v29, v[11:14] offset:1072
.LBB90_474:
	s_or_b64 exec, exec, s[8:9]
	v_mov_b32_e32 v11, 0
	v_mov_b32_e32 v13, 0
	;; [unrolled: 1-line block ×4, first 2 shown]
	s_waitcnt lgkmcnt(0)
	s_barrier
	buffer_wbinvl1_vol
	s_and_saveexec_b64 s[10:11], s[2:3]
	s_cbranch_execz .LBB90_478
; %bb.475:
	v_lshlrev_b32_e32 v19, 4, v15
	v_lshlrev_b32_e32 v11, 9, v16
	ds_read_b128 v[11:14], v11 offset:1056
	ds_read_b128 v[19:22], v19 offset:1024
	v_cmp_gt_u32_e64 s[8:9], 2, v18
	s_waitcnt lgkmcnt(0)
	v_mul_f64 v[23:24], v[13:14], v[21:22]
	v_mul_f64 v[21:22], v[11:12], v[21:22]
	v_fma_f64 v[11:12], v[11:12], v[19:20], -v[23:24]
	v_fma_f64 v[13:14], v[13:14], v[19:20], v[21:22]
	v_add_f64 v[11:12], v[11:12], 0
	v_add_f64 v[13:14], v[13:14], 0
	s_and_saveexec_b64 s[12:13], s[8:9]
	s_cbranch_execz .LBB90_477
; %bb.476:
	v_lshlrev_b32_e32 v22, 4, v0
	v_mov_b32_e32 v18, 0
	ds_read_b128 v[18:21], v18 offset:1584
	ds_read_b128 v[22:25], v22 offset:1536
	s_waitcnt lgkmcnt(0)
	v_mul_f64 v[26:27], v[20:21], v[24:25]
	v_mul_f64 v[24:25], v[18:19], v[24:25]
	v_fma_f64 v[18:19], v[18:19], v[22:23], -v[26:27]
	v_fma_f64 v[20:21], v[20:21], v[22:23], v[24:25]
	v_add_f64 v[11:12], v[11:12], v[18:19]
	v_add_f64 v[13:14], v[13:14], v[20:21]
.LBB90_477:
	s_or_b64 exec, exec, s[12:13]
.LBB90_478:
	s_or_b64 exec, exec, s[10:11]
	s_and_saveexec_b64 s[8:9], s[38:39]
	s_cbranch_execz .LBB90_480
; %bb.479:
	v_mov_b32_e32 v18, 0
	ds_read_b128 v[18:21], v18 offset:528
	s_waitcnt lgkmcnt(0)
	v_mul_f64 v[22:23], v[13:14], v[20:21]
	v_mul_f64 v[20:21], v[11:12], v[20:21]
	v_fma_f64 v[11:12], v[11:12], v[18:19], -v[22:23]
	v_fma_f64 v[13:14], v[13:14], v[18:19], v[20:21]
	v_xor_b32_e32 v19, 0x80000000, v12
	v_xor_b32_e32 v21, 0x80000000, v14
	v_mov_b32_e32 v18, v11
	v_mov_b32_e32 v20, v13
	ds_write_b128 v17, v[18:21]
.LBB90_480:
	s_or_b64 exec, exec, s[8:9]
	s_waitcnt lgkmcnt(0)
	s_barrier
	s_and_saveexec_b64 s[8:9], s[36:37]
	s_cbranch_execz .LBB90_482
; %bb.481:
	v_mov_b32_e32 v22, 0
	ds_read_b128 v[18:21], v17
	ds_read_b128 v[22:25], v22 offset:512
	s_waitcnt lgkmcnt(0)
	v_mul_f64 v[26:27], v[20:21], v[24:25]
	v_mul_f64 v[24:25], v[18:19], v[24:25]
	v_fma_f64 v[18:19], v[18:19], v[22:23], -v[26:27]
	v_fma_f64 v[20:21], v[20:21], v[22:23], v[24:25]
	v_add_f64 v[11:12], v[11:12], -v[18:19]
	v_add_f64 v[13:14], v[13:14], -v[20:21]
.LBB90_482:
	s_or_b64 exec, exec, s[8:9]
	s_barrier
	s_and_saveexec_b64 s[8:9], s[36:37]
	s_cbranch_execz .LBB90_484
; %bb.483:
	v_mov_b32_e32 v18, 0
	ds_read_b128 v[18:21], v18
	s_waitcnt lgkmcnt(0)
	v_mul_f64 v[22:23], v[13:14], v[20:21]
	v_mul_f64 v[20:21], v[11:12], v[20:21]
	v_fma_f64 v[11:12], v[11:12], v[18:19], -v[22:23]
	v_fma_f64 v[13:14], v[13:14], v[18:19], v[20:21]
	v_xor_b32_e32 v19, 0x80000000, v12
	v_xor_b32_e32 v21, 0x80000000, v14
	v_mov_b32_e32 v18, v11
	v_mov_b32_e32 v20, v13
	ds_write_b128 v17, v[18:21]
.LBB90_484:
	s_or_b64 exec, exec, s[8:9]
	s_waitcnt lgkmcnt(0)
	s_barrier
	s_barrier
	s_and_saveexec_b64 s[8:9], s[2:3]
; %bb.485:
	v_lshlrev_b32_e32 v15, 4, v15
	v_lshl_or_b32 v15, v16, 9, v15
	ds_write_b128 v15, v[11:14] offset:1024
; %bb.486:
	s_or_b64 exec, exec, s[8:9]
	s_waitcnt lgkmcnt(0)
	s_barrier
	s_barrier
	s_and_saveexec_b64 s[2:3], s[40:41]
	s_cbranch_execz .LBB90_488
; %bb.487:
	v_lshlrev_b32_e32 v15, 9, v0
	ds_read_b128 v[11:14], v15 offset:1024
	s_movk_i32 s8, 0xfe10
	v_mad_i32_i24 v16, v0, s8, v15
	s_waitcnt lgkmcnt(0)
	ds_write_b128 v16, v[11:14] offset:32
	ds_read_b128 v[11:14], v15 offset:1040
	s_waitcnt lgkmcnt(0)
	ds_write_b128 v16, v[11:14] offset:544
.LBB90_488:
	s_or_b64 exec, exec, s[2:3]
	s_waitcnt lgkmcnt(0)
	s_barrier
	s_and_saveexec_b64 s[2:3], vcc
	s_cbranch_execz .LBB90_490
; %bb.489:
	v_mov_b32_e32 v25, 0
	ds_read_b128 v[11:14], v25 offset:528
	ds_read_b128 v[15:18], v25
	ds_read_b128 v[19:22], v25 offset:512
	s_waitcnt lgkmcnt(1)
	v_mul_f64 v[23:24], v[11:12], v[17:18]
	v_mul_f64 v[17:18], v[13:14], v[17:18]
	v_fma_f64 v[13:14], v[13:14], v[15:16], v[23:24]
	v_fma_f64 v[11:12], v[11:12], v[15:16], -v[17:18]
	s_waitcnt lgkmcnt(0)
	v_mul_f64 v[15:16], v[13:14], v[21:22]
	v_mul_f64 v[17:18], v[11:12], v[21:22]
	v_fma_f64 v[11:12], v[19:20], v[11:12], -v[15:16]
	v_fma_f64 v[13:14], v[19:20], v[13:14], v[17:18]
	ds_write_b128 v25, v[11:14] offset:512
	ds_write_b128 v25, v[11:14] offset:16
.LBB90_490:
	s_or_b64 exec, exec, s[2:3]
.LBB90_491:
	s_load_dwordx4 s[16:19], s[4:5], 0x48
	s_load_dwordx2 s[14:15], s[4:5], 0x58
	v_cmp_le_i32_e32 vcc, s91, v0
	v_mov_b32_e32 v13, 0
	v_mov_b32_e32 v11, 0
	s_waitcnt lgkmcnt(0)
	s_mul_i32 s3, s19, s34
	s_mul_hi_u32 s4, s18, s34
	s_mul_i32 s2, s18, s34
	s_add_i32 s3, s4, s3
	s_lshl_b64 s[2:3], s[2:3], 4
	s_add_u32 s4, s28, s2
	s_addc_u32 s5, s29, s3
	s_lshl_b64 s[2:3], s[30:31], 4
	s_add_u32 s28, s4, s2
	s_addc_u32 s29, s5, s3
	s_and_b64 s[18:19], vcc, s[22:23]
	v_cmp_eq_u32_e64 s[2:3], 0, v2
	s_xor_b64 s[4:5], s[18:19], -1
	s_and_b64 s[8:9], s[2:3], s[4:5]
	v_mov_b32_e32 v14, 0
	v_mov_b32_e32 v12, 0
	v_add_u32_e32 v15, s33, v0
	s_barrier
	s_and_saveexec_b64 s[4:5], s[8:9]
	s_cbranch_execz .LBB90_493
; %bb.492:
	v_ashrrev_i32_e32 v13, 31, v15
	v_mul_lo_u32 v14, s17, v15
	v_mad_u64_u32 v[11:12], s[8:9], s16, v15, 0
	v_mul_lo_u32 v13, s16, v13
	v_add3_u32 v12, v12, v13, v14
	v_lshlrev_b64 v[11:12], 4, v[11:12]
	v_mov_b32_e32 v13, s29
	v_add_co_u32_e32 v11, vcc, s28, v11
	v_addc_co_u32_e32 v12, vcc, v13, v12, vcc
	global_load_dwordx4 v[11:14], v[11:12], off
	s_waitcnt vmcnt(0)
	v_mul_f64 v[16:17], s[24:25], v[11:12]
	v_mul_f64 v[18:19], s[24:25], v[13:14]
	v_fma_f64 v[13:14], s[26:27], v[13:14], -v[16:17]
	v_fma_f64 v[11:12], v[11:12], -s[26:27], -v[18:19]
.LBB90_493:
	s_or_b64 exec, exec, s[4:5]
	s_and_b32 s4, 0xffff, s94
	v_mad_u32_u24 v23, v2, s4, v0
	v_mov_b32_e32 v16, 0
	s_cmp_lt_i32 s6, 1
	v_cmp_eq_u32_e64 s[4:5], 0, v23
	s_cbranch_scc1 .LBB90_516
; %bb.494:
	v_mad_u64_u32 v[17:18], s[8:9], s20, v15, 0
	s_mov_b32 s26, 0
	v_cmp_gt_u32_e64 s[12:13], 32, v23
	v_mad_u64_u32 v[18:19], s[8:9], s21, v15, v[18:19]
	s_lshl_b64 s[8:9], s[34:35], 2
	s_add_u32 s20, s14, s8
	v_lshlrev_b64 v[17:18], 4, v[17:18]
	s_addc_u32 s21, s15, s9
	v_mov_b32_e32 v19, 0x6000
	v_cmp_gt_i32_e64 s[8:9], s7, v15
	v_mov_b32_e32 v15, s93
	v_add_co_u32_e32 v26, vcc, s92, v17
	v_lshl_add_u32 v24, v23, 4, v19
	v_lshl_or_b32 v25, v2, 4, v19
	s_add_i32 s27, s6, -1
	v_addc_co_u32_e32 v27, vcc, v15, v18, vcc
	v_mov_b32_e32 v28, -1
	s_branch .LBB90_497
.LBB90_495:                             ;   in Loop: Header=BB90_497 Depth=1
	ds_read_b128 v[29:32], v25 offset:256
	s_waitcnt vmcnt(0) lgkmcnt(0)
	v_mul_f64 v[17:18], v[21:22], v[31:32]
	v_mul_f64 v[21:22], v[21:22], v[29:30]
	v_fma_f64 v[17:18], v[19:20], v[29:30], v[17:18]
	v_fma_f64 v[19:20], v[19:20], v[31:32], -v[21:22]
	v_add_f64 v[13:14], v[13:14], v[17:18]
	v_add_f64 v[11:12], v[11:12], v[19:20]
.LBB90_496:                             ;   in Loop: Header=BB90_497 Depth=1
	s_or_b64 exec, exec, s[24:25]
	s_add_i32 s26, s26, 1
	s_cmp_eq_u32 s26, s6
	s_cbranch_scc1 .LBB90_516
.LBB90_497:                             ; =>This Loop Header: Depth=1
                                        ;     Child Loop BB90_499 Depth 2
	v_cmp_gt_i32_e32 vcc, s26, v28
	s_and_b64 s[24:25], s[4:5], vcc
	s_and_saveexec_b64 s[10:11], s[24:25]
	s_cbranch_execz .LBB90_500
; %bb.498:                              ;   in Loop: Header=BB90_497 Depth=1
	global_load_dword v28, v16, s[20:21]
	s_waitcnt vmcnt(0)
	v_cmp_le_i32_e32 vcc, s26, v28
	s_cbranch_vccnz .LBB90_500
.LBB90_499:                             ;   Parent Loop BB90_497 Depth=1
                                        ; =>  This Inner Loop Header: Depth=2
	buffer_wbinvl1_vol
	global_load_dword v28, v16, s[20:21]
	s_waitcnt vmcnt(0)
	v_cmp_gt_i32_e32 vcc, s26, v28
	s_cbranch_vccnz .LBB90_499
.LBB90_500:                             ;   in Loop: Header=BB90_497 Depth=1
	s_or_b64 exec, exec, s[10:11]
	s_lshl_b32 s30, s26, 5
	buffer_wbinvl1_vol
	s_barrier
	s_and_saveexec_b64 s[10:11], s[12:13]
	s_cbranch_execz .LBB90_505
; %bb.501:                              ;   in Loop: Header=BB90_497 Depth=1
	v_or_b32_e32 v15, s30, v23
	v_cmp_le_i32_e32 vcc, s7, v15
	s_and_saveexec_b64 s[24:25], vcc
	s_xor_b64 s[24:25], exec, s[24:25]
; %bb.502:                              ;   in Loop: Header=BB90_497 Depth=1
	v_mov_b32_e32 v15, v16
	v_mov_b32_e32 v17, v16
	;; [unrolled: 1-line block ×3, first 2 shown]
	ds_write_b128 v24, v[15:18]
                                        ; implicit-def: $vgpr15
; %bb.503:                              ;   in Loop: Header=BB90_497 Depth=1
	s_andn2_saveexec_b64 s[24:25], s[24:25]
	s_cbranch_execz .LBB90_505
; %bb.504:                              ;   in Loop: Header=BB90_497 Depth=1
	v_mad_u64_u32 v[17:18], s[24:25], s16, v15, 0
	v_mad_u64_u32 v[18:19], s[24:25], s17, v15, v[18:19]
	v_mov_b32_e32 v15, s29
	v_lshlrev_b64 v[17:18], 4, v[17:18]
	v_add_co_u32_e32 v17, vcc, s28, v17
	v_addc_co_u32_e32 v18, vcc, v15, v18, vcc
	global_load_dwordx4 v[17:20], v[17:18], off
	s_waitcnt vmcnt(0)
	ds_write2_b64 v24, v[17:18], v[19:20] offset1:1
.LBB90_505:                             ;   in Loop: Header=BB90_497 Depth=1
	s_or_b64 exec, exec, s[10:11]
	v_add_u32_e32 v15, s30, v2
	v_lshlrev_b64 v[17:18], 4, v[15:16]
	s_cmp_lg_u32 s26, s27
	v_add_co_u32_e32 v17, vcc, v26, v17
	s_cselect_b64 s[10:11], -1, 0
	v_addc_co_u32_e32 v18, vcc, v27, v18, vcc
	v_cmp_gt_i32_e32 vcc, s7, v15
	v_cndmask_b32_e64 v19, 0, 1, s[10:11]
	s_and_b64 s[30:31], vcc, s[8:9]
	v_cmp_ne_u32_e64 s[10:11], 1, v19
	s_waitcnt lgkmcnt(0)
	s_barrier
	s_and_saveexec_b64 s[24:25], s[30:31]
	s_cbranch_execz .LBB90_511
; %bb.506:                              ;   in Loop: Header=BB90_497 Depth=1
	v_mov_b32_e32 v20, v8
	s_and_b64 vcc, exec, s[10:11]
	v_mov_b32_e32 v19, v7
	s_cbranch_vccnz .LBB90_508
; %bb.507:                              ;   in Loop: Header=BB90_497 Depth=1
	global_load_dwordx2 v[19:20], v[17:18], off
.LBB90_508:                             ;   in Loop: Header=BB90_497 Depth=1
	v_mov_b32_e32 v22, v10
	s_and_b64 vcc, exec, s[10:11]
	v_mov_b32_e32 v21, v9
	s_cbranch_vccnz .LBB90_510
; %bb.509:                              ;   in Loop: Header=BB90_497 Depth=1
	global_load_dwordx2 v[21:22], v[17:18], off offset:8
.LBB90_510:                             ;   in Loop: Header=BB90_497 Depth=1
	ds_read_b128 v[29:32], v25
	s_waitcnt vmcnt(0) lgkmcnt(0)
	v_mul_f64 v[33:34], v[21:22], v[31:32]
	v_mul_f64 v[21:22], v[21:22], v[29:30]
	v_fma_f64 v[29:30], v[19:20], v[29:30], v[33:34]
	v_fma_f64 v[19:20], v[19:20], v[31:32], -v[21:22]
	v_add_f64 v[13:14], v[13:14], v[29:30]
	v_add_f64 v[11:12], v[11:12], v[19:20]
.LBB90_511:                             ;   in Loop: Header=BB90_497 Depth=1
	s_or_b64 exec, exec, s[24:25]
	v_add_u32_e32 v15, 16, v15
	v_cmp_gt_i32_e32 vcc, s7, v15
	s_and_b64 s[30:31], vcc, s[8:9]
	s_and_saveexec_b64 s[24:25], s[30:31]
	s_cbranch_execz .LBB90_496
; %bb.512:                              ;   in Loop: Header=BB90_497 Depth=1
	v_mov_b32_e32 v20, v4
	s_and_b64 vcc, exec, s[10:11]
	v_mov_b32_e32 v19, v3
	s_cbranch_vccnz .LBB90_514
; %bb.513:                              ;   in Loop: Header=BB90_497 Depth=1
	global_load_dwordx2 v[19:20], v[17:18], off offset:256
.LBB90_514:                             ;   in Loop: Header=BB90_497 Depth=1
	v_mov_b32_e32 v22, v6
	s_and_b64 vcc, exec, s[10:11]
	v_mov_b32_e32 v21, v5
	s_cbranch_vccnz .LBB90_495
; %bb.515:                              ;   in Loop: Header=BB90_497 Depth=1
	global_load_dwordx2 v[21:22], v[17:18], off offset:264
	s_branch .LBB90_495
.LBB90_516:
	s_xor_b64 s[4:5], s[22:23], -1
	v_lshlrev_b32_e32 v1, 4, v1
	v_mov_b32_e32 v15, v11
	v_mov_b32_e32 v16, v12
	ds_write_b128 v1, v[13:16] offset:16384
	s_waitcnt lgkmcnt(0)
	s_barrier
	s_and_saveexec_b64 s[6:7], s[2:3]
	s_cbranch_execz .LBB90_518
; %bb.517:
	v_lshlrev_b32_e32 v15, 4, v0
	ds_read_b128 v[3:6], v15 offset:16896
	ds_read_b128 v[7:10], v15 offset:17408
	s_waitcnt lgkmcnt(1)
	v_add_f64 v[3:4], v[13:14], v[3:4]
	v_add_f64 v[5:6], v[11:12], v[5:6]
	s_waitcnt lgkmcnt(0)
	v_add_f64 v[11:12], v[3:4], v[7:8]
	v_add_f64 v[13:14], v[5:6], v[9:10]
	ds_read_b128 v[3:6], v15 offset:17920
	ds_read_b128 v[7:10], v15 offset:18432
	s_waitcnt lgkmcnt(1)
	v_add_f64 v[3:4], v[11:12], v[3:4]
	v_add_f64 v[5:6], v[13:14], v[5:6]
	s_waitcnt lgkmcnt(0)
	v_add_f64 v[11:12], v[3:4], v[7:8]
	v_add_f64 v[13:14], v[5:6], v[9:10]
	;; [unrolled: 8-line block ×7, first 2 shown]
	ds_read_b128 v[3:6], v15 offset:24064
	s_waitcnt lgkmcnt(0)
	v_add_f64 v[3:4], v[7:8], v[3:4]
	v_add_f64 v[5:6], v[9:10], v[5:6]
	v_xor_b32_e32 v4, 0x80000000, v4
	v_xor_b32_e32 v6, 0x80000000, v6
	v_cndmask_b32_e64 v13, v3, 0, s[18:19]
	v_cndmask_b32_e64 v14, v4, 0, s[18:19]
	;; [unrolled: 1-line block ×4, first 2 shown]
.LBB90_518:
	s_or_b64 exec, exec, s[6:7]
	s_and_b64 vcc, exec, s[0:1]
	s_cbranch_vccnz .LBB90_527
; %bb.519:
	v_mov_b32_e32 v3, 0x6000
	v_lshl_or_b32 v7, v2, 4, v3
	s_and_saveexec_b64 s[0:1], s[2:3]
; %bb.520:
	v_lshl_add_u32 v3, v0, 4, v7
	v_mov_b32_e32 v15, v11
	v_mov_b32_e32 v16, v12
	ds_write_b128 v3, v[13:16]
; %bb.521:
	s_or_b64 exec, exec, s[0:1]
	v_mov_b32_e32 v3, 0
	v_mov_b32_e32 v5, 0
	;; [unrolled: 1-line block ×4, first 2 shown]
	v_cmp_le_u32_e32 vcc, v2, v0
	s_waitcnt lgkmcnt(0)
	s_barrier
	s_and_saveexec_b64 s[0:1], vcc
	s_cbranch_execz .LBB90_523
; %bb.522:
	ds_read_b128 v[3:6], v7
	ds_read_b128 v[15:18], v1
	s_waitcnt lgkmcnt(0)
	v_mul_f64 v[8:9], v[5:6], v[17:18]
	v_mul_f64 v[17:18], v[3:4], v[17:18]
	v_fma_f64 v[3:4], v[3:4], v[15:16], -v[8:9]
	v_fma_f64 v[5:6], v[5:6], v[15:16], v[17:18]
	v_add_f64 v[3:4], v[3:4], 0
	v_add_f64 v[5:6], v[5:6], 0
.LBB90_523:
	s_or_b64 exec, exec, s[0:1]
	v_add_u32_e32 v2, 16, v2
	v_add_u32_e32 v8, 0x4000, v1
	v_cmp_ge_u32_e32 vcc, v0, v2
	s_and_saveexec_b64 s[0:1], vcc
	s_cbranch_execz .LBB90_525
; %bb.524:
	ds_read_b128 v[15:18], v7 offset:256
	ds_read_b128 v[19:22], v1 offset:8192
	s_waitcnt lgkmcnt(0)
	v_mul_f64 v[1:2], v[17:18], v[21:22]
	v_mul_f64 v[9:10], v[15:16], v[21:22]
	v_fma_f64 v[1:2], v[15:16], v[19:20], -v[1:2]
	v_fma_f64 v[9:10], v[17:18], v[19:20], v[9:10]
	v_add_f64 v[3:4], v[3:4], v[1:2]
	v_add_f64 v[5:6], v[5:6], v[9:10]
.LBB90_525:
	s_or_b64 exec, exec, s[0:1]
	s_mov_b64 s[6:7], 0
	s_mov_b64 s[0:1], 0
	ds_write_b128 v8, v[3:6]
	s_waitcnt lgkmcnt(0)
	s_barrier
                                        ; implicit-def: $vgpr7_vgpr8
                                        ; implicit-def: $vgpr9_vgpr10
                                        ; implicit-def: $vgpr1_vgpr2
	s_and_saveexec_b64 s[8:9], s[2:3]
	s_cbranch_execz .LBB90_540
; %bb.526:
	v_lshlrev_b32_e32 v19, 4, v0
	ds_read_b128 v[7:10], v19 offset:16896
	ds_read_b128 v[15:18], v19 offset:17408
	s_mov_b64 s[0:1], exec
	s_waitcnt lgkmcnt(1)
	v_add_f64 v[1:2], v[3:4], v[7:8]
	v_add_f64 v[3:4], v[5:6], v[9:10]
	s_waitcnt lgkmcnt(0)
	v_add_f64 v[9:10], v[1:2], v[15:16]
	v_add_f64 v[15:16], v[3:4], v[17:18]
	ds_read_b128 v[1:4], v19 offset:17920
	ds_read_b128 v[5:8], v19 offset:18432
	s_waitcnt lgkmcnt(1)
	v_add_f64 v[1:2], v[9:10], v[1:2]
	v_add_f64 v[3:4], v[15:16], v[3:4]
	s_waitcnt lgkmcnt(0)
	v_add_f64 v[9:10], v[1:2], v[5:6]
	v_add_f64 v[15:16], v[3:4], v[7:8]
	ds_read_b128 v[1:4], v19 offset:18944
	ds_read_b128 v[5:8], v19 offset:19456
	;; [unrolled: 8-line block ×6, first 2 shown]
	s_waitcnt lgkmcnt(1)
	v_add_f64 v[1:2], v[9:10], v[1:2]
	v_add_f64 v[3:4], v[15:16], v[3:4]
	v_add_u32_e32 v15, s33, v23
	s_waitcnt lgkmcnt(0)
	v_add_f64 v[9:10], v[1:2], v[5:6]
	v_add_f64 v[7:8], v[3:4], v[7:8]
	ds_read_b128 v[3:6], v19 offset:24064
	v_mad_u64_u32 v[1:2], s[10:11], s16, v15, 0
	s_waitcnt lgkmcnt(0)
	v_add_f64 v[9:10], v[9:10], v[3:4]
	v_add_f64 v[7:8], v[7:8], v[5:6]
	v_mad_u64_u32 v[2:3], s[10:11], s17, v15, v[2:3]
	s_or_b64 exec, exec, s[8:9]
	s_and_b64 vcc, exec, s[6:7]
	s_cbranch_vccnz .LBB90_528
	s_branch .LBB90_541
.LBB90_527:
	s_mov_b64 s[0:1], 0
                                        ; implicit-def: $vgpr7_vgpr8
                                        ; implicit-def: $vgpr9_vgpr10
                                        ; implicit-def: $vgpr1_vgpr2
	s_cbranch_execz .LBB90_541
.LBB90_528:
	v_mul_u32_u24_e32 v1, 0x210, v0
	v_lshlrev_b32_e32 v2, 9, v0
	v_sub_u32_e32 v2, v1, v2
	s_mov_b32 s8, 0
	v_mov_b32_e32 v3, 0
	v_mov_b32_e32 v4, v0
	s_branch .LBB90_530
.LBB90_529:                             ;   in Loop: Header=BB90_530 Depth=1
	s_or_b64 exec, exec, s[6:7]
	s_add_i32 s8, s8, 2
	v_add_u32_e32 v2, 0x400, v2
	s_cmp_lg_u32 s8, 32
	v_add_u32_e32 v4, -2, v4
	s_barrier
	s_cbranch_scc0 .LBB90_538
.LBB90_530:                             ; =>This Inner Loop Header: Depth=1
	v_cmp_eq_u32_e32 vcc, 0, v4
	s_and_b64 s[10:11], s[2:3], vcc
	s_and_saveexec_b64 s[6:7], s[10:11]
	s_cbranch_execz .LBB90_532
; %bb.531:                              ;   in Loop: Header=BB90_530 Depth=1
	ds_read_b128 v[5:8], v1
	s_waitcnt lgkmcnt(0)
	v_mul_f64 v[9:10], v[11:12], v[7:8]
	v_mul_f64 v[7:8], v[13:14], v[7:8]
	v_fma_f64 v[9:10], v[13:14], v[5:6], -v[9:10]
	v_fma_f64 v[11:12], v[11:12], v[5:6], v[7:8]
	v_mov_b32_e32 v14, v10
	v_mov_b32_e32 v13, v9
	ds_write_b128 v3, v[9:12] offset:25088
.LBB90_532:                             ;   in Loop: Header=BB90_530 Depth=1
	s_or_b64 exec, exec, s[6:7]
	v_cmp_lt_u32_e32 vcc, s8, v0
	s_and_b64 s[10:11], s[2:3], vcc
	s_waitcnt lgkmcnt(0)
	s_barrier
	s_and_saveexec_b64 s[6:7], s[10:11]
	s_cbranch_execz .LBB90_534
; %bb.533:                              ;   in Loop: Header=BB90_530 Depth=1
	ds_read_b128 v[5:8], v3 offset:25088
	ds_read_b128 v[15:18], v2
	s_waitcnt lgkmcnt(0)
	v_mul_f64 v[9:10], v[7:8], v[17:18]
	v_mul_f64 v[17:18], v[5:6], v[17:18]
	v_fma_f64 v[5:6], v[5:6], v[15:16], -v[9:10]
	v_fma_f64 v[7:8], v[7:8], v[15:16], v[17:18]
	v_add_f64 v[13:14], v[13:14], v[5:6]
	v_add_f64 v[11:12], v[11:12], v[7:8]
.LBB90_534:                             ;   in Loop: Header=BB90_530 Depth=1
	s_or_b64 exec, exec, s[6:7]
	s_or_b32 s9, s8, 1
	v_cmp_eq_u32_e32 vcc, s9, v0
	s_and_b64 s[10:11], s[2:3], vcc
	s_barrier
	s_and_saveexec_b64 s[6:7], s[10:11]
	s_cbranch_execz .LBB90_536
; %bb.535:                              ;   in Loop: Header=BB90_530 Depth=1
	ds_read_b128 v[5:8], v1
	s_waitcnt lgkmcnt(0)
	v_mul_f64 v[9:10], v[11:12], v[7:8]
	v_mul_f64 v[7:8], v[13:14], v[7:8]
	v_fma_f64 v[9:10], v[13:14], v[5:6], -v[9:10]
	v_fma_f64 v[11:12], v[11:12], v[5:6], v[7:8]
	v_mov_b32_e32 v14, v10
	v_mov_b32_e32 v13, v9
	ds_write_b128 v3, v[9:12] offset:25088
.LBB90_536:                             ;   in Loop: Header=BB90_530 Depth=1
	s_or_b64 exec, exec, s[6:7]
	v_cmp_lt_u32_e32 vcc, s9, v0
	s_and_b64 s[10:11], s[2:3], vcc
	s_waitcnt lgkmcnt(0)
	s_barrier
	s_and_saveexec_b64 s[6:7], s[10:11]
	s_cbranch_execz .LBB90_529
; %bb.537:                              ;   in Loop: Header=BB90_530 Depth=1
	ds_read_b128 v[5:8], v3 offset:25088
	ds_read_b128 v[15:18], v2 offset:512
	s_waitcnt lgkmcnt(0)
	v_mul_f64 v[9:10], v[7:8], v[17:18]
	v_mul_f64 v[17:18], v[5:6], v[17:18]
	v_fma_f64 v[5:6], v[5:6], v[15:16], -v[9:10]
	v_fma_f64 v[7:8], v[7:8], v[15:16], v[17:18]
	v_add_f64 v[13:14], v[13:14], v[5:6]
	v_add_f64 v[11:12], v[11:12], v[7:8]
	s_branch .LBB90_529
.LBB90_538:
	s_and_b64 vcc, exec, s[4:5]
	s_cbranch_vccz .LBB90_542
; %bb.539:
	s_and_b64 s[4:5], s[2:3], exec
	s_cbranch_execz .LBB90_543
	s_branch .LBB90_544
.LBB90_540:
	s_or_b64 exec, exec, s[8:9]
	s_and_b64 vcc, exec, s[6:7]
	s_cbranch_vccnz .LBB90_528
.LBB90_541:
	v_mov_b32_e32 v12, v8
	v_mov_b32_e32 v14, v10
	;; [unrolled: 1-line block ×4, first 2 shown]
	s_and_saveexec_b64 s[2:3], s[0:1]
	s_cbranch_execnz .LBB90_547
	s_branch .LBB90_548
.LBB90_542:
	s_mov_b64 s[4:5], 0
.LBB90_543:
	v_cmp_gt_i32_e32 vcc, s91, v0
	s_and_b64 s[2:3], s[2:3], vcc
	s_andn2_b64 s[4:5], s[4:5], exec
	s_and_b64 s[2:3], s[2:3], exec
	s_or_b64 s[4:5], s[4:5], s[2:3]
.LBB90_544:
                                        ; implicit-def: $vgpr1_vgpr2
	s_and_saveexec_b64 s[2:3], s[4:5]
	s_cbranch_execz .LBB90_546
; %bb.545:
	v_mov_b32_e32 v0, s90
	v_add_co_u32_e32 v1, vcc, s33, v23
	v_addc_co_u32_e32 v0, vcc, 0, v0, vcc
	v_mul_lo_u32 v0, v0, s16
	v_mul_lo_u32 v3, v1, s17
	v_mad_u64_u32 v[1:2], s[4:5], v1, s16, 0
	s_or_b64 s[0:1], s[0:1], exec
	v_add3_u32 v2, v2, v3, v0
.LBB90_546:
	s_or_b64 exec, exec, s[2:3]
	s_and_saveexec_b64 s[2:3], s[0:1]
	s_cbranch_execz .LBB90_548
.LBB90_547:
	v_lshlrev_b64 v[0:1], 4, v[1:2]
	v_mov_b32_e32 v2, s29
	v_add_co_u32_e32 v0, vcc, s28, v0
	v_addc_co_u32_e32 v1, vcc, v2, v1, vcc
	v_mov_b32_e32 v15, v11
	v_mov_b32_e32 v16, v12
	global_store_dwordx4 v[0:1], v[13:16], off
.LBB90_548:
	s_or_b64 exec, exec, s[2:3]
	v_cmp_eq_u32_e32 vcc, 0, v23
	s_waitcnt vmcnt(0)
	buffer_wbinvl1_vol
	s_barrier
	s_and_saveexec_b64 s[0:1], vcc
	s_cbranch_execz .LBB90_550
; %bb.549:
	s_lshl_b64 s[2:3], s[34:35], 2
	s_add_u32 s2, s14, s2
	s_addc_u32 s3, s15, s3
	v_mov_b32_e32 v0, 0
	global_load_dword v1, v0, s[2:3]
	s_waitcnt vmcnt(0)
	v_add_u32_e32 v1, 1, v1
	global_store_dword v0, v1, s[2:3]
.LBB90_550:
	s_or_b64 exec, exec, s[0:1]
	s_waitcnt vmcnt(0)
	buffer_wbinvl1_vol
	s_endpgm
.LBB90_551:
	ds_read_b128 v[24:27], v23 offset:14800
	ds_read_b128 v[28:31], v22 offset:15232
	s_waitcnt lgkmcnt(0)
	v_mul_f64 v[32:33], v[26:27], v[30:31]
	v_mul_f64 v[30:31], v[24:25], v[30:31]
	v_fma_f64 v[24:25], v[24:25], v[28:29], -v[32:33]
	v_fma_f64 v[26:27], v[26:27], v[28:29], v[30:31]
	v_add_f64 v[11:12], v[11:12], v[24:25]
	v_add_f64 v[13:14], v[13:14], v[26:27]
	s_or_b64 exec, exec, s[18:19]
	v_cmp_gt_u32_e64 s[12:13], 8, v18
	s_and_saveexec_b64 s[18:19], s[12:13]
	s_cbranch_execz .LBB90_89
.LBB90_552:
	ds_read_b128 v[23:26], v23 offset:14816
	ds_read_b128 v[27:30], v22 offset:15744
	s_waitcnt lgkmcnt(0)
	v_mul_f64 v[31:32], v[25:26], v[29:30]
	v_mul_f64 v[29:30], v[23:24], v[29:30]
	v_fma_f64 v[22:23], v[23:24], v[27:28], -v[31:32]
	v_fma_f64 v[24:25], v[25:26], v[27:28], v[29:30]
	v_add_f64 v[11:12], v[11:12], v[22:23]
	v_add_f64 v[13:14], v[13:14], v[24:25]
	s_or_b64 exec, exec, s[18:19]
	v_cmp_gt_u32_e64 s[12:13], 4, v18
	s_and_saveexec_b64 s[18:19], s[12:13]
	s_cbranch_execnz .LBB90_90
	s_branch .LBB90_91
.LBB90_553:
	ds_read_b128 v[27:30], v26 offset:12688
	ds_read_b128 v[31:34], v25 offset:13056
	s_waitcnt lgkmcnt(0)
	v_mul_f64 v[35:36], v[29:30], v[33:34]
	v_mul_f64 v[33:34], v[27:28], v[33:34]
	v_fma_f64 v[27:28], v[27:28], v[31:32], -v[35:36]
	v_fma_f64 v[29:30], v[29:30], v[31:32], v[33:34]
	v_add_f64 v[11:12], v[11:12], v[27:28]
	v_add_f64 v[13:14], v[13:14], v[29:30]
	s_or_b64 exec, exec, s[56:57]
	v_cmp_gt_u32_e64 s[14:15], 48, v18
	s_and_saveexec_b64 s[56:57], s[14:15]
	s_cbranch_execz .LBB90_131
.LBB90_554:
	ds_read_b128 v[27:30], v26 offset:12704
	ds_read_b128 v[31:34], v25 offset:13568
	s_waitcnt lgkmcnt(0)
	v_mul_f64 v[35:36], v[29:30], v[33:34]
	v_mul_f64 v[33:34], v[27:28], v[33:34]
	v_fma_f64 v[27:28], v[27:28], v[31:32], -v[35:36]
	v_fma_f64 v[29:30], v[29:30], v[31:32], v[33:34]
	v_add_f64 v[11:12], v[11:12], v[27:28]
	v_add_f64 v[13:14], v[13:14], v[29:30]
	s_or_b64 exec, exec, s[56:57]
	v_cmp_gt_u32_e64 s[14:15], 40, v18
	s_and_saveexec_b64 s[56:57], s[14:15]
	s_cbranch_execz .LBB90_132
.LBB90_555:
	ds_read_b128 v[27:30], v26 offset:12720
	ds_read_b128 v[31:34], v25 offset:14080
	s_waitcnt lgkmcnt(0)
	v_mul_f64 v[35:36], v[29:30], v[33:34]
	v_mul_f64 v[33:34], v[27:28], v[33:34]
	v_fma_f64 v[27:28], v[27:28], v[31:32], -v[35:36]
	v_fma_f64 v[29:30], v[29:30], v[31:32], v[33:34]
	v_add_f64 v[11:12], v[11:12], v[27:28]
	v_add_f64 v[13:14], v[13:14], v[29:30]
	s_or_b64 exec, exec, s[56:57]
	v_cmp_gt_u32_e64 s[14:15], 32, v18
	s_and_saveexec_b64 s[56:57], s[14:15]
	s_cbranch_execz .LBB90_133
.LBB90_556:
	ds_read_b128 v[27:30], v26 offset:12736
	ds_read_b128 v[31:34], v25 offset:14592
	s_waitcnt lgkmcnt(0)
	v_mul_f64 v[35:36], v[29:30], v[33:34]
	v_mul_f64 v[33:34], v[27:28], v[33:34]
	v_fma_f64 v[27:28], v[27:28], v[31:32], -v[35:36]
	v_fma_f64 v[29:30], v[29:30], v[31:32], v[33:34]
	v_add_f64 v[11:12], v[11:12], v[27:28]
	v_add_f64 v[13:14], v[13:14], v[29:30]
	s_or_b64 exec, exec, s[56:57]
	v_cmp_gt_u32_e64 s[14:15], 24, v18
	s_and_saveexec_b64 s[56:57], s[14:15]
	s_cbranch_execz .LBB90_134
.LBB90_557:
	ds_read_b128 v[27:30], v26 offset:12752
	ds_read_b128 v[31:34], v25 offset:15104
	s_waitcnt lgkmcnt(0)
	v_mul_f64 v[35:36], v[29:30], v[33:34]
	v_mul_f64 v[33:34], v[27:28], v[33:34]
	v_fma_f64 v[27:28], v[27:28], v[31:32], -v[35:36]
	v_fma_f64 v[29:30], v[29:30], v[31:32], v[33:34]
	v_add_f64 v[11:12], v[11:12], v[27:28]
	v_add_f64 v[13:14], v[13:14], v[29:30]
	s_or_b64 exec, exec, s[56:57]
	s_and_saveexec_b64 s[14:15], s[16:17]
	s_cbranch_execz .LBB90_135
.LBB90_558:
	ds_read_b128 v[26:29], v26 offset:12768
	ds_read_b128 v[30:33], v25 offset:15616
	s_waitcnt lgkmcnt(0)
	v_mul_f64 v[34:35], v[28:29], v[32:33]
	v_mul_f64 v[32:33], v[26:27], v[32:33]
	v_fma_f64 v[25:26], v[26:27], v[30:31], -v[34:35]
	v_fma_f64 v[27:28], v[28:29], v[30:31], v[32:33]
	v_add_f64 v[11:12], v[11:12], v[25:26]
	v_add_f64 v[13:14], v[13:14], v[27:28]
	s_or_b64 exec, exec, s[14:15]
	v_cmp_gt_u32_e64 s[14:15], 8, v18
	s_and_saveexec_b64 s[56:57], s[14:15]
	s_cbranch_execnz .LBB90_136
	s_branch .LBB90_137
.LBB90_559:
	ds_read_b128 v[27:30], v26 offset:10576
	ds_read_b128 v[31:34], v25 offset:11008
	s_waitcnt lgkmcnt(0)
	v_mul_f64 v[35:36], v[29:30], v[33:34]
	v_mul_f64 v[33:34], v[27:28], v[33:34]
	v_fma_f64 v[27:28], v[27:28], v[31:32], -v[35:36]
	v_fma_f64 v[29:30], v[29:30], v[31:32], v[33:34]
	v_add_f64 v[11:12], v[11:12], v[27:28]
	v_add_f64 v[13:14], v[13:14], v[29:30]
	s_or_b64 exec, exec, s[18:19]
	v_cmp_gt_u32_e64 s[12:13], 8, v18
	s_and_saveexec_b64 s[18:19], s[12:13]
	s_cbranch_execz .LBB90_193
.LBB90_560:
	ds_read_b128 v[26:29], v26 offset:10592
	ds_read_b128 v[30:33], v25 offset:11520
	s_waitcnt lgkmcnt(0)
	v_mul_f64 v[34:35], v[28:29], v[32:33]
	v_mul_f64 v[32:33], v[26:27], v[32:33]
	v_fma_f64 v[25:26], v[26:27], v[30:31], -v[34:35]
	v_fma_f64 v[27:28], v[28:29], v[30:31], v[32:33]
	v_add_f64 v[11:12], v[11:12], v[25:26]
	v_add_f64 v[13:14], v[13:14], v[27:28]
	s_or_b64 exec, exec, s[18:19]
	v_cmp_gt_u32_e64 s[12:13], 4, v18
	s_and_saveexec_b64 s[18:19], s[12:13]
	s_cbranch_execnz .LBB90_194
	s_branch .LBB90_195
.LBB90_561:
	ds_read_b128 v[30:33], v29 offset:8624
	ds_read_b128 v[34:37], v28 offset:13824
	s_waitcnt lgkmcnt(0)
	v_mul_f64 v[38:39], v[32:33], v[36:37]
	v_mul_f64 v[36:37], v[30:31], v[36:37]
	v_fma_f64 v[30:31], v[30:31], v[34:35], -v[38:39]
	v_fma_f64 v[32:33], v[32:33], v[34:35], v[36:37]
	v_add_f64 v[11:12], v[11:12], v[30:31]
	v_add_f64 v[13:14], v[13:14], v[32:33]
	s_or_b64 exec, exec, s[88:89]
	s_and_saveexec_b64 s[18:19], s[8:9]
	s_cbranch_execz .LBB90_255
.LBB90_562:
	ds_read_b128 v[30:33], v29 offset:8640
	ds_read_b128 v[34:37], v28 offset:14336
	s_waitcnt lgkmcnt(0)
	v_mul_f64 v[38:39], v[32:33], v[36:37]
	v_mul_f64 v[36:37], v[30:31], v[36:37]
	v_fma_f64 v[30:31], v[30:31], v[34:35], -v[38:39]
	v_fma_f64 v[32:33], v[32:33], v[34:35], v[36:37]
	v_add_f64 v[11:12], v[11:12], v[30:31]
	v_add_f64 v[13:14], v[13:14], v[32:33]
	s_or_b64 exec, exec, s[18:19]
	v_cmp_gt_u32_e64 s[18:19], 48, v18
	s_and_saveexec_b64 s[88:89], s[18:19]
	s_cbranch_execz .LBB90_256
.LBB90_563:
	ds_read_b128 v[30:33], v29 offset:8656
	ds_read_b128 v[34:37], v28 offset:14848
	s_waitcnt lgkmcnt(0)
	v_mul_f64 v[38:39], v[32:33], v[36:37]
	v_mul_f64 v[36:37], v[30:31], v[36:37]
	v_fma_f64 v[30:31], v[30:31], v[34:35], -v[38:39]
	v_fma_f64 v[32:33], v[32:33], v[34:35], v[36:37]
	v_add_f64 v[11:12], v[11:12], v[30:31]
	v_add_f64 v[13:14], v[13:14], v[32:33]
	s_or_b64 exec, exec, s[88:89]
	v_cmp_gt_u32_e64 s[18:19], 32, v18
	s_and_saveexec_b64 s[88:89], s[18:19]
	s_cbranch_execz .LBB90_257
.LBB90_564:
	ds_read_b128 v[29:32], v29 offset:8672
	ds_read_b128 v[33:36], v28 offset:15360
	s_waitcnt lgkmcnt(0)
	v_mul_f64 v[37:38], v[31:32], v[35:36]
	v_mul_f64 v[35:36], v[29:30], v[35:36]
	v_fma_f64 v[28:29], v[29:30], v[33:34], -v[37:38]
	v_fma_f64 v[30:31], v[31:32], v[33:34], v[35:36]
	v_add_f64 v[11:12], v[11:12], v[28:29]
	v_add_f64 v[13:14], v[13:14], v[30:31]
	s_or_b64 exec, exec, s[88:89]
	v_cmp_gt_u32_e64 s[18:19], 16, v18
	s_and_saveexec_b64 s[88:89], s[18:19]
	s_cbranch_execnz .LBB90_258
	s_branch .LBB90_259
.LBB90_565:
	ds_read_b128 v[27:30], v26 offset:6352
	ds_read_b128 v[31:34], v25 offset:6784
	s_waitcnt lgkmcnt(0)
	v_mul_f64 v[35:36], v[29:30], v[33:34]
	v_mul_f64 v[33:34], v[27:28], v[33:34]
	v_fma_f64 v[27:28], v[27:28], v[31:32], -v[35:36]
	v_fma_f64 v[29:30], v[29:30], v[31:32], v[33:34]
	v_add_f64 v[11:12], v[11:12], v[27:28]
	v_add_f64 v[13:14], v[13:14], v[29:30]
	s_or_b64 exec, exec, s[14:15]
	v_cmp_gt_u32_e64 s[10:11], 8, v18
	s_and_saveexec_b64 s[14:15], s[10:11]
	s_cbranch_execz .LBB90_347
.LBB90_566:
	ds_read_b128 v[26:29], v26 offset:6368
	ds_read_b128 v[30:33], v25 offset:7296
	s_waitcnt lgkmcnt(0)
	v_mul_f64 v[34:35], v[28:29], v[32:33]
	v_mul_f64 v[32:33], v[26:27], v[32:33]
	v_fma_f64 v[25:26], v[26:27], v[30:31], -v[34:35]
	v_fma_f64 v[27:28], v[28:29], v[30:31], v[32:33]
	v_add_f64 v[11:12], v[11:12], v[25:26]
	v_add_f64 v[13:14], v[13:14], v[27:28]
	s_or_b64 exec, exec, s[14:15]
	v_cmp_gt_u32_e64 s[10:11], 4, v18
	s_and_saveexec_b64 s[14:15], s[10:11]
	s_cbranch_execnz .LBB90_348
	s_branch .LBB90_349
.LBB90_567:
	ds_read_b128 v[27:30], v26 offset:4240
	ds_read_b128 v[31:34], v25 offset:4608
	s_waitcnt lgkmcnt(0)
	v_mul_f64 v[35:36], v[29:30], v[33:34]
	v_mul_f64 v[33:34], v[27:28], v[33:34]
	v_fma_f64 v[27:28], v[27:28], v[31:32], -v[35:36]
	v_fma_f64 v[29:30], v[29:30], v[31:32], v[33:34]
	v_add_f64 v[11:12], v[11:12], v[27:28]
	v_add_f64 v[13:14], v[13:14], v[29:30]
	s_or_b64 exec, exec, s[14:15]
	v_cmp_gt_u32_e64 s[10:11], 48, v18
	s_and_saveexec_b64 s[14:15], s[10:11]
	s_cbranch_execz .LBB90_389
.LBB90_568:
	ds_read_b128 v[27:30], v26 offset:4256
	ds_read_b128 v[31:34], v25 offset:5120
	s_waitcnt lgkmcnt(0)
	v_mul_f64 v[35:36], v[29:30], v[33:34]
	v_mul_f64 v[33:34], v[27:28], v[33:34]
	v_fma_f64 v[27:28], v[27:28], v[31:32], -v[35:36]
	v_fma_f64 v[29:30], v[29:30], v[31:32], v[33:34]
	v_add_f64 v[11:12], v[11:12], v[27:28]
	v_add_f64 v[13:14], v[13:14], v[29:30]
	s_or_b64 exec, exec, s[14:15]
	v_cmp_gt_u32_e64 s[10:11], 40, v18
	s_and_saveexec_b64 s[14:15], s[10:11]
	s_cbranch_execz .LBB90_390
.LBB90_569:
	ds_read_b128 v[27:30], v26 offset:4272
	ds_read_b128 v[31:34], v25 offset:5632
	s_waitcnt lgkmcnt(0)
	v_mul_f64 v[35:36], v[29:30], v[33:34]
	v_mul_f64 v[33:34], v[27:28], v[33:34]
	v_fma_f64 v[27:28], v[27:28], v[31:32], -v[35:36]
	v_fma_f64 v[29:30], v[29:30], v[31:32], v[33:34]
	v_add_f64 v[11:12], v[11:12], v[27:28]
	v_add_f64 v[13:14], v[13:14], v[29:30]
	s_or_b64 exec, exec, s[14:15]
	v_cmp_gt_u32_e64 s[10:11], 32, v18
	s_and_saveexec_b64 s[14:15], s[10:11]
	s_cbranch_execz .LBB90_391
.LBB90_570:
	ds_read_b128 v[27:30], v26 offset:4288
	ds_read_b128 v[31:34], v25 offset:6144
	s_waitcnt lgkmcnt(0)
	v_mul_f64 v[35:36], v[29:30], v[33:34]
	v_mul_f64 v[33:34], v[27:28], v[33:34]
	v_fma_f64 v[27:28], v[27:28], v[31:32], -v[35:36]
	v_fma_f64 v[29:30], v[29:30], v[31:32], v[33:34]
	v_add_f64 v[11:12], v[11:12], v[27:28]
	v_add_f64 v[13:14], v[13:14], v[29:30]
	s_or_b64 exec, exec, s[14:15]
	v_cmp_gt_u32_e64 s[10:11], 24, v18
	s_and_saveexec_b64 s[14:15], s[10:11]
	s_cbranch_execz .LBB90_392
.LBB90_571:
	ds_read_b128 v[27:30], v26 offset:4304
	ds_read_b128 v[31:34], v25 offset:6656
	s_waitcnt lgkmcnt(0)
	v_mul_f64 v[35:36], v[29:30], v[33:34]
	v_mul_f64 v[33:34], v[27:28], v[33:34]
	v_fma_f64 v[27:28], v[27:28], v[31:32], -v[35:36]
	v_fma_f64 v[29:30], v[29:30], v[31:32], v[33:34]
	v_add_f64 v[11:12], v[11:12], v[27:28]
	v_add_f64 v[13:14], v[13:14], v[29:30]
	s_or_b64 exec, exec, s[14:15]
	s_and_saveexec_b64 s[10:11], s[16:17]
	s_cbranch_execz .LBB90_393
.LBB90_572:
	ds_read_b128 v[26:29], v26 offset:4320
	ds_read_b128 v[30:33], v25 offset:7168
	s_waitcnt lgkmcnt(0)
	v_mul_f64 v[34:35], v[28:29], v[32:33]
	v_mul_f64 v[32:33], v[26:27], v[32:33]
	v_fma_f64 v[25:26], v[26:27], v[30:31], -v[34:35]
	v_fma_f64 v[27:28], v[28:29], v[30:31], v[32:33]
	v_add_f64 v[11:12], v[11:12], v[25:26]
	v_add_f64 v[13:14], v[13:14], v[27:28]
	s_or_b64 exec, exec, s[10:11]
	v_cmp_gt_u32_e64 s[10:11], 8, v18
	s_and_saveexec_b64 s[14:15], s[10:11]
	s_cbranch_execnz .LBB90_394
	s_branch .LBB90_395
.LBB90_573:
	ds_read_b128 v[24:27], v23 offset:2128
	ds_read_b128 v[28:31], v22 offset:2560
	s_waitcnt lgkmcnt(0)
	v_mul_f64 v[32:33], v[26:27], v[30:31]
	v_mul_f64 v[30:31], v[24:25], v[30:31]
	v_fma_f64 v[24:25], v[24:25], v[28:29], -v[32:33]
	v_fma_f64 v[26:27], v[26:27], v[28:29], v[30:31]
	v_add_f64 v[11:12], v[11:12], v[24:25]
	v_add_f64 v[13:14], v[13:14], v[26:27]
	s_or_b64 exec, exec, s[12:13]
	v_cmp_gt_u32_e64 s[8:9], 8, v18
	s_and_saveexec_b64 s[12:13], s[8:9]
	s_cbranch_execz .LBB90_451
.LBB90_574:
	ds_read_b128 v[23:26], v23 offset:2144
	ds_read_b128 v[27:30], v22 offset:3072
	s_waitcnt lgkmcnt(0)
	v_mul_f64 v[31:32], v[25:26], v[29:30]
	v_mul_f64 v[29:30], v[23:24], v[29:30]
	v_fma_f64 v[22:23], v[23:24], v[27:28], -v[31:32]
	v_fma_f64 v[24:25], v[25:26], v[27:28], v[29:30]
	v_add_f64 v[11:12], v[11:12], v[22:23]
	v_add_f64 v[13:14], v[13:14], v[24:25]
	s_or_b64 exec, exec, s[12:13]
	v_cmp_gt_u32_e64 s[8:9], 4, v18
	s_and_saveexec_b64 s[12:13], s[8:9]
	s_cbranch_execnz .LBB90_452
	s_branch .LBB90_453
	.section	.rodata,"a",@progbits
	.p2align	6, 0x0
	.amdhsa_kernel _ZL19rocblas_trsv_deviceILi32ELi16ELb0ELb1ELb1ELb0E19rocblas_complex_numIdES1_PKS1_PS1_EviT7_lllT6_T8_lllPii
		.amdhsa_group_segment_fixed_size 25104
		.amdhsa_private_segment_fixed_size 0
		.amdhsa_kernarg_size 360
		.amdhsa_user_sgpr_count 6
		.amdhsa_user_sgpr_private_segment_buffer 1
		.amdhsa_user_sgpr_dispatch_ptr 0
		.amdhsa_user_sgpr_queue_ptr 0
		.amdhsa_user_sgpr_kernarg_segment_ptr 1
		.amdhsa_user_sgpr_dispatch_id 0
		.amdhsa_user_sgpr_flat_scratch_init 0
		.amdhsa_user_sgpr_private_segment_size 0
		.amdhsa_uses_dynamic_stack 0
		.amdhsa_system_sgpr_private_segment_wavefront_offset 0
		.amdhsa_system_sgpr_workgroup_id_x 1
		.amdhsa_system_sgpr_workgroup_id_y 0
		.amdhsa_system_sgpr_workgroup_id_z 1
		.amdhsa_system_sgpr_workgroup_info 0
		.amdhsa_system_vgpr_workitem_id 1
		.amdhsa_next_free_vgpr 49
		.amdhsa_next_free_sgpr 98
		.amdhsa_reserve_vcc 1
		.amdhsa_reserve_flat_scratch 0
		.amdhsa_float_round_mode_32 0
		.amdhsa_float_round_mode_16_64 0
		.amdhsa_float_denorm_mode_32 3
		.amdhsa_float_denorm_mode_16_64 3
		.amdhsa_dx10_clamp 1
		.amdhsa_ieee_mode 1
		.amdhsa_fp16_overflow 0
		.amdhsa_exception_fp_ieee_invalid_op 0
		.amdhsa_exception_fp_denorm_src 0
		.amdhsa_exception_fp_ieee_div_zero 0
		.amdhsa_exception_fp_ieee_overflow 0
		.amdhsa_exception_fp_ieee_underflow 0
		.amdhsa_exception_fp_ieee_inexact 0
		.amdhsa_exception_int_div_zero 0
	.end_amdhsa_kernel
	.section	.text._ZL19rocblas_trsv_deviceILi32ELi16ELb0ELb1ELb1ELb0E19rocblas_complex_numIdES1_PKS1_PS1_EviT7_lllT6_T8_lllPii,"axG",@progbits,_ZL19rocblas_trsv_deviceILi32ELi16ELb0ELb1ELb1ELb0E19rocblas_complex_numIdES1_PKS1_PS1_EviT7_lllT6_T8_lllPii,comdat
.Lfunc_end90:
	.size	_ZL19rocblas_trsv_deviceILi32ELi16ELb0ELb1ELb1ELb0E19rocblas_complex_numIdES1_PKS1_PS1_EviT7_lllT6_T8_lllPii, .Lfunc_end90-_ZL19rocblas_trsv_deviceILi32ELi16ELb0ELb1ELb1ELb0E19rocblas_complex_numIdES1_PKS1_PS1_EviT7_lllT6_T8_lllPii
                                        ; -- End function
	.set _ZL19rocblas_trsv_deviceILi32ELi16ELb0ELb1ELb1ELb0E19rocblas_complex_numIdES1_PKS1_PS1_EviT7_lllT6_T8_lllPii.num_vgpr, 40
	.set _ZL19rocblas_trsv_deviceILi32ELi16ELb0ELb1ELb1ELb0E19rocblas_complex_numIdES1_PKS1_PS1_EviT7_lllT6_T8_lllPii.num_agpr, 0
	.set _ZL19rocblas_trsv_deviceILi32ELi16ELb0ELb1ELb1ELb0E19rocblas_complex_numIdES1_PKS1_PS1_EviT7_lllT6_T8_lllPii.numbered_sgpr, 95
	.set _ZL19rocblas_trsv_deviceILi32ELi16ELb0ELb1ELb1ELb0E19rocblas_complex_numIdES1_PKS1_PS1_EviT7_lllT6_T8_lllPii.num_named_barrier, 0
	.set _ZL19rocblas_trsv_deviceILi32ELi16ELb0ELb1ELb1ELb0E19rocblas_complex_numIdES1_PKS1_PS1_EviT7_lllT6_T8_lllPii.private_seg_size, 0
	.set _ZL19rocblas_trsv_deviceILi32ELi16ELb0ELb1ELb1ELb0E19rocblas_complex_numIdES1_PKS1_PS1_EviT7_lllT6_T8_lllPii.uses_vcc, 1
	.set _ZL19rocblas_trsv_deviceILi32ELi16ELb0ELb1ELb1ELb0E19rocblas_complex_numIdES1_PKS1_PS1_EviT7_lllT6_T8_lllPii.uses_flat_scratch, 0
	.set _ZL19rocblas_trsv_deviceILi32ELi16ELb0ELb1ELb1ELb0E19rocblas_complex_numIdES1_PKS1_PS1_EviT7_lllT6_T8_lllPii.has_dyn_sized_stack, 0
	.set _ZL19rocblas_trsv_deviceILi32ELi16ELb0ELb1ELb1ELb0E19rocblas_complex_numIdES1_PKS1_PS1_EviT7_lllT6_T8_lllPii.has_recursion, 0
	.set _ZL19rocblas_trsv_deviceILi32ELi16ELb0ELb1ELb1ELb0E19rocblas_complex_numIdES1_PKS1_PS1_EviT7_lllT6_T8_lllPii.has_indirect_call, 0
	.section	.AMDGPU.csdata,"",@progbits
; Kernel info:
; codeLenInByte = 28880
; TotalNumSgprs: 99
; NumVgprs: 40
; ScratchSize: 0
; MemoryBound: 1
; FloatMode: 240
; IeeeMode: 1
; LDSByteSize: 25104 bytes/workgroup (compile time only)
; SGPRBlocks: 12
; VGPRBlocks: 12
; NumSGPRsForWavesPerEU: 102
; NumVGPRsForWavesPerEU: 49
; Occupancy: 4
; WaveLimiterHint : 0
; COMPUTE_PGM_RSRC2:SCRATCH_EN: 0
; COMPUTE_PGM_RSRC2:USER_SGPR: 6
; COMPUTE_PGM_RSRC2:TRAP_HANDLER: 0
; COMPUTE_PGM_RSRC2:TGID_X_EN: 1
; COMPUTE_PGM_RSRC2:TGID_Y_EN: 0
; COMPUTE_PGM_RSRC2:TGID_Z_EN: 1
; COMPUTE_PGM_RSRC2:TIDIG_COMP_CNT: 1
	.section	.text._ZL19rocblas_trsv_deviceILi32ELi16ELb1ELb0ELb0ELb1E19rocblas_complex_numIdES1_PKS1_PS1_EviT7_lllT6_T8_lllPii,"axG",@progbits,_ZL19rocblas_trsv_deviceILi32ELi16ELb1ELb0ELb0ELb1E19rocblas_complex_numIdES1_PKS1_PS1_EviT7_lllT6_T8_lllPii,comdat
	.globl	_ZL19rocblas_trsv_deviceILi32ELi16ELb1ELb0ELb0ELb1E19rocblas_complex_numIdES1_PKS1_PS1_EviT7_lllT6_T8_lllPii ; -- Begin function _ZL19rocblas_trsv_deviceILi32ELi16ELb1ELb0ELb0ELb1E19rocblas_complex_numIdES1_PKS1_PS1_EviT7_lllT6_T8_lllPii
	.p2align	8
	.type	_ZL19rocblas_trsv_deviceILi32ELi16ELb1ELb0ELb0ELb1E19rocblas_complex_numIdES1_PKS1_PS1_EviT7_lllT6_T8_lllPii,@function
_ZL19rocblas_trsv_deviceILi32ELi16ELb1ELb0ELb0ELb1E19rocblas_complex_numIdES1_PKS1_PS1_EviT7_lllT6_T8_lllPii: ; @_ZL19rocblas_trsv_deviceILi32ELi16ELb1ELb0ELb0ELb1E19rocblas_complex_numIdES1_PKS1_PS1_EviT7_lllT6_T8_lllPii
; %bb.0:
	s_load_dwordx16 s[12:27], s[4:5], 0x8
	s_load_dword s33, s[4:5], 0x0
	s_load_dword s84, s[4:5], 0x74
	s_mov_b32 s28, s7
	s_mov_b32 s29, 0
	s_waitcnt lgkmcnt(0)
	s_mul_i32 s0, s19, s7
	s_mul_hi_u32 s1, s18, s7
	s_add_i32 s1, s1, s0
	s_mul_i32 s0, s18, s7
	s_lshl_b64 s[0:1], s[0:1], 4
	s_add_u32 s2, s12, s0
	s_addc_u32 s3, s13, s1
	s_lshl_b64 s[0:1], s[14:15], 4
	s_add_u32 s82, s2, s0
	s_addc_u32 s83, s3, s1
	s_cmp_eq_u32 s6, 0
	s_cbranch_scc1 .LBB91_6
; %bb.1:
	s_lshl_b32 s2, s6, 5
	v_add_u32_e32 v2, s2, v1
	v_subrev_u32_e32 v6, 32, v2
	v_ashrrev_i32_e32 v2, 31, v6
	v_mul_lo_u32 v7, s16, v2
	v_mul_lo_u32 v8, s17, v6
	v_mad_u64_u32 v[2:3], s[0:1], s16, v6, 0
	v_add_u32_e32 v4, s2, v0
	v_ashrrev_i32_e32 v5, 31, v4
	v_add3_u32 v3, v3, v7, v8
	v_lshlrev_b64 v[2:3], 4, v[2:3]
	v_mov_b32_e32 v7, s83
	v_add_co_u32_e64 v8, s[0:1], s82, v2
	v_addc_co_u32_e64 v7, s[0:1], v7, v3, s[0:1]
	v_lshlrev_b64 v[2:3], 4, v[4:5]
	v_cmp_gt_i32_e32 vcc, s33, v4
	v_add_co_u32_e64 v10, s[0:1], v8, v2
	v_addc_co_u32_e64 v11, s[0:1], v7, v3, s[0:1]
	v_cmp_gt_i32_e64 s[0:1], s33, v6
	v_mov_b32_e32 v8, 0
	v_mov_b32_e32 v2, 0
	;; [unrolled: 1-line block ×6, first 2 shown]
	s_and_b64 s[2:3], vcc, s[0:1]
	s_barrier
	s_and_saveexec_b64 s[0:1], s[2:3]
	s_cbranch_execz .LBB91_3
; %bb.2:
	global_load_dwordx4 v[2:5], v[10:11], off
.LBB91_3:
	s_or_b64 exec, exec, s[0:1]
	v_add_u32_e32 v6, 16, v6
	v_cmp_gt_i32_e64 s[0:1], s33, v6
	v_mov_b32_e32 v6, 0
	v_mov_b32_e32 v7, 0
	s_and_b64 s[2:3], vcc, s[0:1]
	s_waitcnt vmcnt(0)
	s_barrier
	s_and_saveexec_b64 s[0:1], s[2:3]
	s_cbranch_execz .LBB91_5
; %bb.4:
	s_lshl_b64 s[2:3], s[16:17], 8
	v_mov_b32_e32 v7, s3
	v_add_co_u32_e32 v6, vcc, s2, v10
	v_addc_co_u32_e32 v7, vcc, v11, v7, vcc
	global_load_dwordx4 v[6:9], v[6:7], off
.LBB91_5:
	s_or_b64 exec, exec, s[0:1]
	s_branch .LBB91_7
.LBB91_6:
                                        ; implicit-def: $vgpr8_vgpr9
                                        ; implicit-def: $vgpr4_vgpr5
.LBB91_7:
	s_ashr_i32 s0, s33, 31
	s_lshr_b32 s0, s0, 27
	s_add_i32 s0, s33, s0
	s_andn2_b32 s0, s0, 31
	s_sub_i32 s7, s33, s0
	s_add_i32 s0, s33, -1
	s_ashr_i32 s1, s0, 31
	s_lshr_b32 s1, s1, 27
	s_add_i32 s0, s0, s1
	s_ashr_i32 s0, s0, 5
	s_cmp_eq_u32 s0, s6
	s_cselect_b64 s[0:1], -1, 0
	s_cmp_lg_u32 s7, 0
	s_cselect_b64 s[2:3], -1, 0
	s_and_b64 s[18:19], s[2:3], s[0:1]
	s_mov_b64 s[2:3], -1
	s_and_b64 vcc, exec, s[18:19]
	v_cmp_le_u32_e64 s[0:1], v0, v1
	v_lshlrev_b32_e32 v21, 4, v0
	v_lshl_add_u32 v22, v1, 5, v0
	s_cbranch_vccnz .LBB91_21
; %bb.8:
	s_add_u32 s2, s16, 1
	s_addc_u32 s3, s17, 0
	s_lshl_b32 s8, s6, 5
	s_ashr_i32 s9, s8, 31
	s_mul_hi_u32 s10, s2, s8
	s_mul_i32 s9, s2, s9
	s_add_i32 s9, s10, s9
	s_mul_i32 s3, s3, s8
	s_add_i32 s3, s9, s3
	s_mul_i32 s2, s2, s8
	s_lshl_b64 s[2:3], s[2:3], 4
	s_add_u32 s2, s82, s2
	s_addc_u32 s3, s83, s3
	v_lshlrev_b32_e32 v10, 4, v0
	v_mov_b32_e32 v11, s3
	v_add_co_u32_e32 v10, vcc, s2, v10
	v_addc_co_u32_e32 v11, vcc, 0, v11, vcc
	s_and_saveexec_b64 s[2:3], s[0:1]
	s_xor_b64 s[0:1], exec, s[2:3]
	s_cbranch_execz .LBB91_12
; %bb.9:
	v_or_b32_e32 v12, v1, v0
	v_cmp_gt_u32_e32 vcc, 32, v12
	s_and_saveexec_b64 s[2:3], vcc
	s_cbranch_execz .LBB91_11
; %bb.10:
	v_mov_b32_e32 v12, 0
	v_lshlrev_b32_e32 v16, 4, v22
	v_mov_b32_e32 v13, v12
	v_mov_b32_e32 v14, v12
	v_mov_b32_e32 v15, v12
	ds_write_b128 v16, v[12:15]
.LBB91_11:
	s_or_b64 exec, exec, s[2:3]
.LBB91_12:
	s_andn2_saveexec_b64 s[0:1], s[0:1]
	s_cbranch_execz .LBB91_14
; %bb.13:
	v_mad_u64_u32 v[12:13], s[2:3], s16, v1, 0
	v_lshlrev_b32_e32 v16, 4, v22
	v_mad_u64_u32 v[13:14], s[2:3], s17, v1, v[13:14]
	v_lshlrev_b64 v[12:13], 4, v[12:13]
	v_add_co_u32_e32 v12, vcc, v10, v12
	v_addc_co_u32_e32 v13, vcc, v11, v13, vcc
	global_load_dwordx4 v[12:15], v[12:13], off
	s_waitcnt vmcnt(0)
	v_xor_b32_e32 v13, 0x80000000, v13
	v_xor_b32_e32 v15, 0x80000000, v15
	ds_write_b128 v16, v[12:15]
.LBB91_14:
	s_or_b64 exec, exec, s[0:1]
	v_add_u32_e32 v13, 16, v1
	v_lshl_add_u32 v12, v13, 5, v0
	v_cmp_le_u32_e32 vcc, v0, v13
	s_and_saveexec_b64 s[0:1], vcc
	s_xor_b64 s[0:1], exec, s[0:1]
	s_cbranch_execz .LBB91_18
; %bb.15:
	v_or_b32_e32 v10, v13, v0
	v_cmp_gt_u32_e32 vcc, 32, v10
	s_and_saveexec_b64 s[2:3], vcc
	s_cbranch_execz .LBB91_17
; %bb.16:
	v_mov_b32_e32 v10, 0
	v_lshlrev_b32_e32 v14, 4, v12
	v_mov_b32_e32 v11, v10
	v_mov_b32_e32 v12, v10
	;; [unrolled: 1-line block ×3, first 2 shown]
	ds_write_b128 v14, v[10:13]
.LBB91_17:
	s_or_b64 exec, exec, s[2:3]
                                        ; implicit-def: $vgpr13
                                        ; implicit-def: $vgpr10
                                        ; implicit-def: $vgpr11
                                        ; implicit-def: $vgpr12
.LBB91_18:
	s_andn2_saveexec_b64 s[0:1], s[0:1]
	s_cbranch_execz .LBB91_20
; %bb.19:
	v_mad_u64_u32 v[14:15], s[2:3], s16, v13, 0
	v_mad_u64_u32 v[15:16], s[2:3], s17, v13, v[15:16]
	v_lshlrev_b64 v[13:14], 4, v[14:15]
	v_add_co_u32_e32 v10, vcc, v10, v13
	v_addc_co_u32_e32 v11, vcc, v11, v14, vcc
	global_load_dwordx4 v[13:16], v[10:11], off
	v_lshlrev_b32_e32 v10, 4, v12
	s_waitcnt vmcnt(0)
	v_xor_b32_e32 v14, 0x80000000, v14
	v_xor_b32_e32 v16, 0x80000000, v16
	ds_write_b128 v10, v[13:16]
.LBB91_20:
	s_or_b64 exec, exec, s[0:1]
	s_mov_b64 s[2:3], 0
.LBB91_21:
	s_and_b64 vcc, exec, s[2:3]
	s_cbranch_vccz .LBB91_35
; %bb.22:
	s_add_u32 s0, s16, 1
	s_addc_u32 s1, s17, 0
	s_lshl_b32 s2, s6, 5
	s_ashr_i32 s3, s2, 31
	s_mul_hi_u32 s8, s0, s2
	s_mul_i32 s3, s0, s3
	s_add_i32 s3, s8, s3
	s_mul_i32 s1, s1, s2
	s_add_i32 s1, s3, s1
	s_mul_i32 s0, s0, s2
	s_lshl_b64 s[0:1], s[0:1], 4
	s_add_u32 s0, s82, s0
	s_addc_u32 s1, s83, s1
	v_lshlrev_b32_e32 v10, 4, v0
	v_mov_b32_e32 v11, s1
	v_add_co_u32_e64 v10, s[0:1], s0, v10
	v_addc_co_u32_e64 v11, s[0:1], 0, v11, s[0:1]
	v_max_i32_e32 v12, v1, v0
	v_cmp_le_u32_e64 s[0:1], v0, v1
	v_cmp_le_i32_e64 s[2:3], s7, v12
	v_cmp_gt_i32_e32 vcc, s7, v0
	s_or_b64 s[0:1], s[2:3], s[0:1]
	s_and_saveexec_b64 s[2:3], s[0:1]
	s_xor_b64 s[2:3], exec, s[2:3]
	s_cbranch_execz .LBB91_26
; %bb.23:
	v_or_b32_e32 v12, v1, v0
	v_cmp_gt_u32_e64 s[0:1], 32, v12
	s_and_saveexec_b64 s[8:9], s[0:1]
	s_cbranch_execz .LBB91_25
; %bb.24:
	v_mov_b32_e32 v12, 0
	v_lshlrev_b32_e32 v16, 4, v22
	v_mov_b32_e32 v13, v12
	v_mov_b32_e32 v14, v12
	;; [unrolled: 1-line block ×3, first 2 shown]
	ds_write_b128 v16, v[12:15]
.LBB91_25:
	s_or_b64 exec, exec, s[8:9]
.LBB91_26:
	s_andn2_saveexec_b64 s[2:3], s[2:3]
	s_cbranch_execz .LBB91_28
; %bb.27:
	v_mad_u64_u32 v[12:13], s[0:1], s16, v1, 0
	v_lshlrev_b32_e32 v16, 4, v22
	v_mad_u64_u32 v[13:14], s[0:1], s17, v1, v[13:14]
	v_lshlrev_b64 v[12:13], 4, v[12:13]
	v_add_co_u32_e64 v12, s[0:1], v10, v12
	v_addc_co_u32_e64 v13, s[0:1], v11, v13, s[0:1]
	global_load_dwordx4 v[12:15], v[12:13], off
	s_waitcnt vmcnt(0)
	v_xor_b32_e32 v13, 0x80000000, v13
	v_xor_b32_e32 v15, 0x80000000, v15
	ds_write_b128 v16, v[12:15]
.LBB91_28:
	s_or_b64 exec, exec, s[2:3]
	v_add_u32_e32 v13, 16, v1
	v_cmp_gt_u32_e64 s[0:1], v0, v13
	v_cmp_gt_i32_e64 s[2:3], s7, v13
	s_and_b64 s[0:1], s[0:1], s[2:3]
	s_and_b64 s[0:1], s[0:1], vcc
	v_lshl_add_u32 v12, v13, 5, v0
	s_xor_b64 s[0:1], s[0:1], -1
	s_and_saveexec_b64 s[2:3], s[0:1]
	s_xor_b64 s[0:1], exec, s[2:3]
	s_cbranch_execz .LBB91_32
; %bb.29:
	v_or_b32_e32 v10, v13, v0
	v_cmp_gt_u32_e32 vcc, 32, v10
	s_and_saveexec_b64 s[2:3], vcc
	s_cbranch_execz .LBB91_31
; %bb.30:
	v_mov_b32_e32 v10, 0
	v_lshlrev_b32_e32 v14, 4, v12
	v_mov_b32_e32 v11, v10
	v_mov_b32_e32 v12, v10
	;; [unrolled: 1-line block ×3, first 2 shown]
	ds_write_b128 v14, v[10:13]
.LBB91_31:
	s_or_b64 exec, exec, s[2:3]
                                        ; implicit-def: $vgpr13
                                        ; implicit-def: $vgpr10
                                        ; implicit-def: $vgpr11
                                        ; implicit-def: $vgpr12
.LBB91_32:
	s_andn2_saveexec_b64 s[0:1], s[0:1]
	s_cbranch_execz .LBB91_34
; %bb.33:
	v_mad_u64_u32 v[14:15], s[2:3], s16, v13, 0
	v_mad_u64_u32 v[15:16], s[2:3], s17, v13, v[15:16]
	v_lshlrev_b64 v[13:14], 4, v[14:15]
	v_add_co_u32_e32 v10, vcc, v10, v13
	v_addc_co_u32_e32 v11, vcc, v11, v14, vcc
	global_load_dwordx4 v[13:16], v[10:11], off
	v_lshlrev_b32_e32 v10, 4, v12
	s_waitcnt vmcnt(0)
	v_xor_b32_e32 v14, 0x80000000, v14
	v_xor_b32_e32 v16, 0x80000000, v16
	ds_write_b128 v10, v[13:16]
.LBB91_34:
	s_or_b64 exec, exec, s[0:1]
.LBB91_35:
	s_cmp_lt_i32 s6, 5
	s_cselect_b64 s[0:1], -1, 0
	s_or_b64 s[30:31], s[0:1], s[18:19]
	s_and_b64 vcc, exec, s[30:31]
	s_waitcnt vmcnt(0) lgkmcnt(0)
	s_barrier
	s_cbranch_vccnz .LBB91_429
; %bb.36:
	v_or_b32_e32 v10, v0, v1
	s_mov_b32 s0, 0
	v_cmp_eq_u32_e32 vcc, 0, v10
	s_and_saveexec_b64 s[8:9], vcc
	s_cbranch_execz .LBB91_38
; %bb.37:
	s_mov_b32 s3, s0
	s_mov_b32 s1, 0x3ff00000
	s_mov_b32 s2, s0
	v_mov_b32_e32 v13, s3
	v_mov_b32_e32 v14, 0
	;; [unrolled: 1-line block ×5, first 2 shown]
	ds_write_b128 v14, v[10:13]
	ds_write_b128 v14, v[10:13] offset:528
.LBB91_38:
	s_or_b64 exec, exec, s[8:9]
	v_and_b32_e32 v17, 1, v0
	v_lshrrev_b32_e32 v16, 1, v22
	v_lshlrev_b32_e32 v14, 4, v17
	v_mov_b32_e32 v12, 0
	v_mov_b32_e32 v10, 0
	v_cmp_lt_u32_e64 s[2:3], 3, v22
	v_cmp_gt_u32_e64 s[0:1], 4, v22
	v_mov_b32_e32 v13, 0
	v_mov_b32_e32 v11, 0
	v_lshl_or_b32 v14, v16, 9, v14
	s_waitcnt lgkmcnt(0)
	s_barrier
	s_and_saveexec_b64 s[10:11], s[0:1]
	s_cbranch_execz .LBB91_42
; %bb.39:
	v_mul_u32_u24_e32 v10, 0x210, v16
	ds_read_b128 v[10:13], v10
	ds_read_b128 v[23:26], v14 offset:32
	v_cmp_gt_u32_e64 s[8:9], 2, v22
	s_waitcnt lgkmcnt(0)
	v_mul_f64 v[18:19], v[12:13], v[25:26]
	v_mul_f64 v[25:26], v[10:11], v[25:26]
	v_fma_f64 v[10:11], v[10:11], v[23:24], -v[18:19]
	v_fma_f64 v[12:13], v[12:13], v[23:24], v[25:26]
	v_add_f64 v[10:11], v[10:11], 0
	v_add_f64 v[12:13], v[12:13], 0
	s_and_saveexec_b64 s[12:13], s[8:9]
	s_cbranch_execz .LBB91_41
; %bb.40:
	v_mov_b32_e32 v18, 0
	v_lshlrev_b32_e32 v15, 4, v0
	ds_read_b128 v[23:26], v18 offset:16
	ds_read_b128 v[27:30], v15 offset:544
	s_waitcnt lgkmcnt(0)
	v_mul_f64 v[18:19], v[25:26], v[29:30]
	v_mul_f64 v[29:30], v[23:24], v[29:30]
	v_fma_f64 v[18:19], v[23:24], v[27:28], -v[18:19]
	v_fma_f64 v[23:24], v[25:26], v[27:28], v[29:30]
	v_add_f64 v[10:11], v[10:11], v[18:19]
	v_add_f64 v[12:13], v[12:13], v[23:24]
.LBB91_41:
	s_or_b64 exec, exec, s[12:13]
	v_xor_b32_e32 v11, 0x80000000, v11
	v_xor_b32_e32 v13, 0x80000000, v13
.LBB91_42:
	s_or_b64 exec, exec, s[10:11]
	v_mov_b32_e32 v15, 0x4000
	v_cmp_eq_u32_e64 s[8:9], 0, v17
	s_xor_b64 s[10:11], s[2:3], -1
	v_lshl_add_u32 v15, v16, 4, v15
	s_and_b64 s[36:37], s[8:9], s[10:11]
	s_and_saveexec_b64 s[2:3], s[36:37]
; %bb.43:
	ds_write_b128 v15, v[10:13]
; %bb.44:
	s_or_b64 exec, exec, s[2:3]
	v_cmp_ne_u32_e64 s[2:3], 0, v17
	s_and_b64 s[34:35], s[2:3], s[10:11]
	s_waitcnt lgkmcnt(0)
	s_barrier
	s_and_saveexec_b64 s[2:3], s[34:35]
	s_cbranch_execz .LBB91_46
; %bb.45:
	v_mov_b32_e32 v23, 0
	ds_read_b128 v[17:20], v15
	ds_read_b128 v[23:26], v23 offset:1072
	s_waitcnt lgkmcnt(0)
	v_mul_f64 v[27:28], v[19:20], v[25:26]
	v_mul_f64 v[25:26], v[17:18], v[25:26]
	v_fma_f64 v[17:18], v[17:18], v[23:24], -v[27:28]
	v_fma_f64 v[19:20], v[19:20], v[23:24], v[25:26]
	v_add_f64 v[10:11], v[10:11], v[17:18]
	v_add_f64 v[12:13], v[12:13], v[19:20]
.LBB91_46:
	s_or_b64 exec, exec, s[2:3]
	s_barrier
	s_and_saveexec_b64 s[2:3], s[34:35]
; %bb.47:
	ds_write_b128 v15, v[10:13]
; %bb.48:
	s_or_b64 exec, exec, s[2:3]
	s_waitcnt lgkmcnt(0)
	s_barrier
	s_barrier
	s_and_saveexec_b64 s[2:3], s[0:1]
; %bb.49:
	v_xor_b32_e32 v11, 0x80000000, v11
	v_xor_b32_e32 v13, 0x80000000, v13
	ds_write_b128 v14, v[10:13] offset:32
; %bb.50:
	s_or_b64 exec, exec, s[2:3]
	s_waitcnt lgkmcnt(0)
	s_barrier
	s_barrier
	s_and_saveexec_b64 s[2:3], vcc
	s_cbranch_execz .LBB91_52
; %bb.51:
	s_mov_b32 s8, 0
	s_mov_b32 s11, s8
	s_mov_b32 s9, 0x3ff00000
	s_mov_b32 s10, s8
	v_mov_b32_e32 v13, s11
	v_mov_b32_e32 v17, 0
	;; [unrolled: 1-line block ×5, first 2 shown]
	ds_write_b128 v17, v[10:13] offset:1056
	ds_write_b128 v17, v[10:13] offset:1584
.LBB91_52:
	s_or_b64 exec, exec, s[2:3]
	v_and_b32_e32 v20, 3, v0
	v_lshrrev_b32_e32 v23, 2, v22
	v_lshlrev_b32_e32 v18, 4, v20
	v_mov_b32_e32 v12, 0
	v_mov_b32_e32 v10, 0
	v_cmp_lt_u32_e64 s[8:9], 15, v22
	v_cmp_gt_u32_e64 s[2:3], 16, v22
	v_mov_b32_e32 v13, 0
	v_mov_b32_e32 v11, 0
	v_lshl_or_b32 v17, v23, 9, v18
	s_waitcnt lgkmcnt(0)
	s_barrier
	s_and_saveexec_b64 s[12:13], s[2:3]
	s_cbranch_execz .LBB91_58
; %bb.53:
	v_mul_u32_u24_e32 v19, 0x210, v23
	ds_read_b128 v[10:13], v19
	ds_read_b128 v[24:27], v17 offset:64
	v_cmp_gt_u32_e64 s[10:11], 12, v22
	s_waitcnt lgkmcnt(0)
	v_mul_f64 v[28:29], v[12:13], v[26:27]
	v_mul_f64 v[26:27], v[10:11], v[26:27]
	v_fma_f64 v[10:11], v[10:11], v[24:25], -v[28:29]
	v_fma_f64 v[12:13], v[12:13], v[24:25], v[26:27]
	v_add_f64 v[10:11], v[10:11], 0
	v_add_f64 v[12:13], v[12:13], 0
	s_and_saveexec_b64 s[14:15], s[10:11]
	s_cbranch_execnz .LBB91_489
; %bb.54:
	s_or_b64 exec, exec, s[14:15]
	v_cmp_gt_u32_e64 s[10:11], 8, v22
	s_and_saveexec_b64 s[14:15], s[10:11]
	s_cbranch_execnz .LBB91_490
.LBB91_55:
	s_or_b64 exec, exec, s[14:15]
	v_cmp_gt_u32_e64 s[10:11], 4, v22
	s_and_saveexec_b64 s[14:15], s[10:11]
	s_cbranch_execz .LBB91_57
.LBB91_56:
	v_mov_b32_e32 v24, 0
	v_lshlrev_b32_e32 v19, 4, v0
	ds_read_b128 v[24:27], v24 offset:48
	ds_read_b128 v[28:31], v19 offset:1600
	s_waitcnt lgkmcnt(0)
	v_mul_f64 v[32:33], v[26:27], v[30:31]
	v_mul_f64 v[30:31], v[24:25], v[30:31]
	v_fma_f64 v[24:25], v[24:25], v[28:29], -v[32:33]
	v_fma_f64 v[26:27], v[26:27], v[28:29], v[30:31]
	v_add_f64 v[10:11], v[10:11], v[24:25]
	v_add_f64 v[12:13], v[12:13], v[26:27]
.LBB91_57:
	s_or_b64 exec, exec, s[14:15]
	v_xor_b32_e32 v11, 0x80000000, v11
	v_xor_b32_e32 v13, 0x80000000, v13
.LBB91_58:
	s_or_b64 exec, exec, s[12:13]
	v_mov_b32_e32 v19, 0x4000
	v_cmp_eq_u32_e64 s[10:11], 0, v20
	s_xor_b64 s[12:13], s[8:9], -1
	v_lshl_add_u32 v19, v23, 4, v19
	s_and_b64 s[40:41], s[10:11], s[12:13]
	s_and_saveexec_b64 s[8:9], s[40:41]
; %bb.59:
	ds_write_b128 v19, v[10:13]
; %bb.60:
	s_or_b64 exec, exec, s[8:9]
	v_cmp_ne_u32_e64 s[8:9], 0, v20
	s_and_b64 s[42:43], s[8:9], s[12:13]
	s_waitcnt lgkmcnt(0)
	s_barrier
	s_and_saveexec_b64 s[8:9], s[42:43]
	s_cbranch_execz .LBB91_62
; %bb.61:
	ds_read_b128 v[24:27], v19
	ds_read_b128 v[28:31], v18 offset:2112
	s_waitcnt lgkmcnt(0)
	v_mul_f64 v[32:33], v[26:27], v[30:31]
	v_mul_f64 v[30:31], v[24:25], v[30:31]
	v_fma_f64 v[24:25], v[24:25], v[28:29], -v[32:33]
	v_fma_f64 v[26:27], v[26:27], v[28:29], v[30:31]
	v_add_f64 v[10:11], v[10:11], v[24:25]
	v_add_f64 v[12:13], v[12:13], v[26:27]
.LBB91_62:
	s_or_b64 exec, exec, s[8:9]
	v_cmp_eq_u32_e64 s[8:9], 1, v20
	s_and_b64 s[44:45], s[8:9], s[12:13]
	s_barrier
	s_and_saveexec_b64 s[8:9], s[44:45]
; %bb.63:
	ds_write_b128 v19, v[10:13]
; %bb.64:
	s_or_b64 exec, exec, s[8:9]
	v_cmp_lt_u32_e64 s[8:9], 1, v20
	s_and_b64 s[46:47], s[8:9], s[12:13]
	s_waitcnt lgkmcnt(0)
	s_barrier
	s_and_saveexec_b64 s[8:9], s[46:47]
	s_cbranch_execz .LBB91_66
; %bb.65:
	ds_read_b128 v[24:27], v19
	ds_read_b128 v[28:31], v18 offset:2624
	s_waitcnt lgkmcnt(0)
	v_mul_f64 v[32:33], v[26:27], v[30:31]
	v_mul_f64 v[30:31], v[24:25], v[30:31]
	v_fma_f64 v[24:25], v[24:25], v[28:29], -v[32:33]
	v_fma_f64 v[26:27], v[26:27], v[28:29], v[30:31]
	v_add_f64 v[10:11], v[10:11], v[24:25]
	v_add_f64 v[12:13], v[12:13], v[26:27]
.LBB91_66:
	s_or_b64 exec, exec, s[8:9]
	v_cmp_eq_u32_e64 s[8:9], 2, v20
	s_and_b64 s[48:49], s[8:9], s[12:13]
	s_barrier
	s_and_saveexec_b64 s[8:9], s[48:49]
; %bb.67:
	ds_write_b128 v19, v[10:13]
; %bb.68:
	s_or_b64 exec, exec, s[8:9]
	v_cmp_eq_u32_e64 s[8:9], 3, v20
	s_and_b64 s[38:39], s[8:9], s[12:13]
	s_waitcnt lgkmcnt(0)
	s_barrier
	s_and_saveexec_b64 s[8:9], s[38:39]
	s_cbranch_execz .LBB91_70
; %bb.69:
	v_mov_b32_e32 v28, 0
	ds_read_b128 v[24:27], v19
	ds_read_b128 v[28:31], v28 offset:3184
	s_waitcnt lgkmcnt(0)
	v_mul_f64 v[32:33], v[26:27], v[30:31]
	v_mul_f64 v[30:31], v[24:25], v[30:31]
	v_fma_f64 v[24:25], v[24:25], v[28:29], -v[32:33]
	v_fma_f64 v[26:27], v[26:27], v[28:29], v[30:31]
	v_add_f64 v[10:11], v[10:11], v[24:25]
	v_add_f64 v[12:13], v[12:13], v[26:27]
.LBB91_70:
	s_or_b64 exec, exec, s[8:9]
	s_barrier
	s_and_saveexec_b64 s[8:9], s[38:39]
; %bb.71:
	ds_write_b128 v19, v[10:13]
; %bb.72:
	s_or_b64 exec, exec, s[8:9]
	s_waitcnt lgkmcnt(0)
	s_barrier
	s_barrier
	s_and_saveexec_b64 s[8:9], s[2:3]
; %bb.73:
	v_xor_b32_e32 v13, 0x80000000, v13
	v_xor_b32_e32 v11, 0x80000000, v11
	ds_write_b128 v17, v[10:13] offset:64
; %bb.74:
	s_or_b64 exec, exec, s[8:9]
	s_waitcnt lgkmcnt(0)
	s_barrier
	s_barrier
	s_and_saveexec_b64 s[8:9], vcc
	s_cbranch_execz .LBB91_76
; %bb.75:
	s_mov_b32 s12, 0
	s_mov_b32 s13, 0x3ff00000
	s_mov_b32 s14, s12
	s_mov_b32 s15, s12
	v_mov_b32_e32 v10, s12
	v_mov_b32_e32 v24, 0
	;; [unrolled: 1-line block ×5, first 2 shown]
	ds_write_b128 v24, v[10:13] offset:2112
	ds_write_b128 v24, v[10:13] offset:2640
.LBB91_76:
	s_or_b64 exec, exec, s[8:9]
	v_mov_b32_e32 v12, 0
	v_mov_b32_e32 v10, 0
	;; [unrolled: 1-line block ×4, first 2 shown]
	s_waitcnt lgkmcnt(0)
	s_barrier
	s_and_saveexec_b64 s[10:11], s[0:1]
	s_cbranch_execz .LBB91_80
; %bb.77:
	v_mul_u32_u24_e32 v10, 0x210, v16
	ds_read_b128 v[10:13], v10 offset:2112
	ds_read_b128 v[24:27], v14 offset:2144
	v_cmp_gt_u32_e64 s[8:9], 2, v22
	s_waitcnt lgkmcnt(0)
	v_mul_f64 v[28:29], v[12:13], v[26:27]
	v_mul_f64 v[26:27], v[10:11], v[26:27]
	v_fma_f64 v[10:11], v[10:11], v[24:25], -v[28:29]
	v_fma_f64 v[12:13], v[12:13], v[24:25], v[26:27]
	v_add_f64 v[10:11], v[10:11], 0
	v_add_f64 v[12:13], v[12:13], 0
	s_and_saveexec_b64 s[12:13], s[8:9]
	s_cbranch_execz .LBB91_79
; %bb.78:
	v_lshlrev_b32_e32 v28, 4, v0
	v_mov_b32_e32 v24, 0
	ds_read_b128 v[24:27], v24 offset:2128
	ds_read_b128 v[28:31], v28 offset:2656
	s_waitcnt lgkmcnt(0)
	v_mul_f64 v[32:33], v[26:27], v[30:31]
	v_mul_f64 v[30:31], v[24:25], v[30:31]
	v_fma_f64 v[24:25], v[24:25], v[28:29], -v[32:33]
	v_fma_f64 v[26:27], v[26:27], v[28:29], v[30:31]
	v_add_f64 v[10:11], v[10:11], v[24:25]
	v_add_f64 v[12:13], v[12:13], v[26:27]
.LBB91_79:
	s_or_b64 exec, exec, s[12:13]
	v_xor_b32_e32 v11, 0x80000000, v11
	v_xor_b32_e32 v13, 0x80000000, v13
.LBB91_80:
	s_or_b64 exec, exec, s[10:11]
	s_and_saveexec_b64 s[8:9], s[36:37]
; %bb.81:
	ds_write_b128 v15, v[10:13]
; %bb.82:
	s_or_b64 exec, exec, s[8:9]
	s_waitcnt lgkmcnt(0)
	s_barrier
	s_and_saveexec_b64 s[8:9], s[34:35]
	s_cbranch_execz .LBB91_84
; %bb.83:
	v_mov_b32_e32 v28, 0
	ds_read_b128 v[24:27], v15
	ds_read_b128 v[28:31], v28 offset:3184
	s_waitcnt lgkmcnt(0)
	v_mul_f64 v[32:33], v[26:27], v[30:31]
	v_mul_f64 v[30:31], v[24:25], v[30:31]
	v_fma_f64 v[24:25], v[24:25], v[28:29], -v[32:33]
	v_fma_f64 v[26:27], v[26:27], v[28:29], v[30:31]
	v_add_f64 v[10:11], v[10:11], v[24:25]
	v_add_f64 v[12:13], v[12:13], v[26:27]
.LBB91_84:
	s_or_b64 exec, exec, s[8:9]
	s_barrier
	s_and_saveexec_b64 s[8:9], s[34:35]
; %bb.85:
	ds_write_b128 v15, v[10:13]
; %bb.86:
	s_or_b64 exec, exec, s[8:9]
	s_waitcnt lgkmcnt(0)
	s_barrier
	s_barrier
	s_and_saveexec_b64 s[8:9], s[0:1]
; %bb.87:
	v_xor_b32_e32 v11, 0x80000000, v11
	v_xor_b32_e32 v13, 0x80000000, v13
	ds_write_b128 v14, v[10:13] offset:2144
; %bb.88:
	s_or_b64 exec, exec, s[8:9]
	s_waitcnt lgkmcnt(0)
	s_barrier
	s_barrier
	s_and_saveexec_b64 s[8:9], vcc
	s_cbranch_execz .LBB91_90
; %bb.89:
	s_mov_b32 s12, 0
	s_mov_b32 s13, 0x3ff00000
	;; [unrolled: 1-line block ×4, first 2 shown]
	v_mov_b32_e32 v10, s12
	v_mov_b32_e32 v24, 0
	;; [unrolled: 1-line block ×5, first 2 shown]
	ds_write_b128 v24, v[10:13] offset:3168
	ds_write_b128 v24, v[10:13] offset:3696
.LBB91_90:
	s_or_b64 exec, exec, s[8:9]
	v_and_b32_e32 v27, 7, v0
	v_lshrrev_b32_e32 v28, 3, v22
	v_lshlrev_b32_e32 v25, 4, v27
	v_mov_b32_e32 v12, 0
	v_mov_b32_e32 v10, 0
	v_cmp_lt_u32_e64 s[8:9], 63, v22
	v_cmp_gt_u32_e64 s[12:13], 64, v22
	v_mov_b32_e32 v13, 0
	v_mov_b32_e32 v11, 0
	v_lshl_or_b32 v24, v28, 9, v25
	s_waitcnt lgkmcnt(0)
	s_barrier
	s_and_saveexec_b64 s[14:15], s[12:13]
	s_cbranch_execz .LBB91_100
; %bb.91:
	v_mul_u32_u24_e32 v26, 0x210, v28
	ds_read_b128 v[10:13], v26
	ds_read_b128 v[29:32], v24 offset:128
	v_cmp_gt_u32_e64 s[10:11], 56, v22
	s_waitcnt lgkmcnt(0)
	v_mul_f64 v[33:34], v[12:13], v[31:32]
	v_mul_f64 v[31:32], v[10:11], v[31:32]
	v_fma_f64 v[10:11], v[10:11], v[29:30], -v[33:34]
	v_fma_f64 v[12:13], v[12:13], v[29:30], v[31:32]
	v_add_f64 v[10:11], v[10:11], 0
	v_add_f64 v[12:13], v[12:13], 0
	s_and_saveexec_b64 s[50:51], s[10:11]
	s_cbranch_execnz .LBB91_491
; %bb.92:
	s_or_b64 exec, exec, s[50:51]
	v_cmp_gt_u32_e64 s[10:11], 48, v22
	s_and_saveexec_b64 s[50:51], s[10:11]
	s_cbranch_execnz .LBB91_492
.LBB91_93:
	s_or_b64 exec, exec, s[50:51]
	v_cmp_gt_u32_e64 s[10:11], 40, v22
	s_and_saveexec_b64 s[50:51], s[10:11]
	s_cbranch_execnz .LBB91_493
.LBB91_94:
	s_or_b64 exec, exec, s[50:51]
	v_cmp_gt_u32_e64 s[10:11], 32, v22
	s_and_saveexec_b64 s[50:51], s[10:11]
	s_cbranch_execnz .LBB91_494
.LBB91_95:
	s_or_b64 exec, exec, s[50:51]
	v_cmp_gt_u32_e64 s[10:11], 24, v22
	s_and_saveexec_b64 s[50:51], s[10:11]
	s_cbranch_execnz .LBB91_495
.LBB91_96:
	s_or_b64 exec, exec, s[50:51]
	v_cmp_gt_u32_e64 s[10:11], 16, v22
	s_and_saveexec_b64 s[50:51], s[10:11]
	s_cbranch_execnz .LBB91_496
.LBB91_97:
	s_or_b64 exec, exec, s[50:51]
	v_cmp_gt_u32_e64 s[10:11], 8, v22
	s_and_saveexec_b64 s[50:51], s[10:11]
	s_cbranch_execz .LBB91_99
.LBB91_98:
	v_mov_b32_e32 v29, 0
	v_lshlrev_b32_e32 v26, 4, v0
	ds_read_b128 v[29:32], v29 offset:112
	ds_read_b128 v[33:36], v26 offset:3712
	s_waitcnt lgkmcnt(0)
	v_mul_f64 v[37:38], v[31:32], v[35:36]
	v_mul_f64 v[35:36], v[29:30], v[35:36]
	v_fma_f64 v[29:30], v[29:30], v[33:34], -v[37:38]
	v_fma_f64 v[31:32], v[31:32], v[33:34], v[35:36]
	v_add_f64 v[10:11], v[10:11], v[29:30]
	v_add_f64 v[12:13], v[12:13], v[31:32]
.LBB91_99:
	s_or_b64 exec, exec, s[50:51]
	v_xor_b32_e32 v11, 0x80000000, v11
	v_xor_b32_e32 v13, 0x80000000, v13
.LBB91_100:
	s_or_b64 exec, exec, s[14:15]
	v_mov_b32_e32 v26, 0x4000
	v_cmp_eq_u32_e64 s[10:11], 0, v27
	s_xor_b64 s[14:15], s[8:9], -1
	v_lshl_add_u32 v26, v28, 4, v26
	s_and_b64 s[52:53], s[10:11], s[14:15]
	s_and_saveexec_b64 s[8:9], s[52:53]
; %bb.101:
	ds_write_b128 v26, v[10:13]
; %bb.102:
	s_or_b64 exec, exec, s[8:9]
	v_cmp_ne_u32_e64 s[8:9], 0, v27
	s_and_b64 s[54:55], s[8:9], s[14:15]
	s_waitcnt lgkmcnt(0)
	s_barrier
	s_and_saveexec_b64 s[8:9], s[54:55]
	s_cbranch_execz .LBB91_104
; %bb.103:
	ds_read_b128 v[29:32], v26
	ds_read_b128 v[33:36], v25 offset:4224
	s_waitcnt lgkmcnt(0)
	v_mul_f64 v[37:38], v[31:32], v[35:36]
	v_mul_f64 v[35:36], v[29:30], v[35:36]
	v_fma_f64 v[29:30], v[29:30], v[33:34], -v[37:38]
	v_fma_f64 v[31:32], v[31:32], v[33:34], v[35:36]
	v_add_f64 v[10:11], v[10:11], v[29:30]
	v_add_f64 v[12:13], v[12:13], v[31:32]
.LBB91_104:
	s_or_b64 exec, exec, s[8:9]
	v_cmp_eq_u32_e64 s[8:9], 1, v27
	s_and_b64 s[56:57], s[8:9], s[14:15]
	s_barrier
	s_and_saveexec_b64 s[8:9], s[56:57]
; %bb.105:
	ds_write_b128 v26, v[10:13]
; %bb.106:
	s_or_b64 exec, exec, s[8:9]
	v_cmp_lt_u32_e64 s[8:9], 1, v27
	s_and_b64 s[58:59], s[8:9], s[14:15]
	s_waitcnt lgkmcnt(0)
	s_barrier
	s_and_saveexec_b64 s[8:9], s[58:59]
	s_cbranch_execz .LBB91_108
; %bb.107:
	ds_read_b128 v[29:32], v26
	ds_read_b128 v[33:36], v25 offset:4736
	s_waitcnt lgkmcnt(0)
	v_mul_f64 v[37:38], v[31:32], v[35:36]
	v_mul_f64 v[35:36], v[29:30], v[35:36]
	v_fma_f64 v[29:30], v[29:30], v[33:34], -v[37:38]
	v_fma_f64 v[31:32], v[31:32], v[33:34], v[35:36]
	v_add_f64 v[10:11], v[10:11], v[29:30]
	v_add_f64 v[12:13], v[12:13], v[31:32]
.LBB91_108:
	s_or_b64 exec, exec, s[8:9]
	v_cmp_eq_u32_e64 s[8:9], 2, v27
	s_and_b64 s[60:61], s[8:9], s[14:15]
	s_barrier
	s_and_saveexec_b64 s[8:9], s[60:61]
; %bb.109:
	ds_write_b128 v26, v[10:13]
; %bb.110:
	s_or_b64 exec, exec, s[8:9]
	v_cmp_lt_u32_e64 s[8:9], 2, v27
	;; [unrolled: 26-line block ×5, first 2 shown]
	s_and_b64 s[74:75], s[8:9], s[14:15]
	s_waitcnt lgkmcnt(0)
	s_barrier
	s_and_saveexec_b64 s[8:9], s[74:75]
	s_cbranch_execz .LBB91_124
; %bb.123:
	ds_read_b128 v[29:32], v26
	ds_read_b128 v[33:36], v25 offset:6784
	s_waitcnt lgkmcnt(0)
	v_mul_f64 v[37:38], v[31:32], v[35:36]
	v_mul_f64 v[35:36], v[29:30], v[35:36]
	v_fma_f64 v[29:30], v[29:30], v[33:34], -v[37:38]
	v_fma_f64 v[31:32], v[31:32], v[33:34], v[35:36]
	v_add_f64 v[10:11], v[10:11], v[29:30]
	v_add_f64 v[12:13], v[12:13], v[31:32]
.LBB91_124:
	s_or_b64 exec, exec, s[8:9]
	v_cmp_eq_u32_e64 s[8:9], 6, v27
	s_and_b64 s[76:77], s[8:9], s[14:15]
	s_barrier
	s_and_saveexec_b64 s[8:9], s[76:77]
; %bb.125:
	ds_write_b128 v26, v[10:13]
; %bb.126:
	s_or_b64 exec, exec, s[8:9]
	v_cmp_eq_u32_e64 s[8:9], 7, v27
	s_and_b64 s[50:51], s[8:9], s[14:15]
	s_waitcnt lgkmcnt(0)
	s_barrier
	s_and_saveexec_b64 s[8:9], s[50:51]
	s_cbranch_execz .LBB91_128
; %bb.127:
	v_mov_b32_e32 v33, 0
	ds_read_b128 v[29:32], v26
	ds_read_b128 v[33:36], v33 offset:7408
	s_waitcnt lgkmcnt(0)
	v_mul_f64 v[37:38], v[31:32], v[35:36]
	v_mul_f64 v[35:36], v[29:30], v[35:36]
	v_fma_f64 v[29:30], v[29:30], v[33:34], -v[37:38]
	v_fma_f64 v[31:32], v[31:32], v[33:34], v[35:36]
	v_add_f64 v[10:11], v[10:11], v[29:30]
	v_add_f64 v[12:13], v[12:13], v[31:32]
.LBB91_128:
	s_or_b64 exec, exec, s[8:9]
	s_barrier
	s_and_saveexec_b64 s[8:9], s[50:51]
; %bb.129:
	ds_write_b128 v26, v[10:13]
; %bb.130:
	s_or_b64 exec, exec, s[8:9]
	s_waitcnt lgkmcnt(0)
	s_barrier
	s_barrier
	s_and_saveexec_b64 s[8:9], s[12:13]
; %bb.131:
	v_xor_b32_e32 v11, 0x80000000, v11
	v_xor_b32_e32 v13, 0x80000000, v13
	ds_write_b128 v24, v[10:13] offset:128
; %bb.132:
	s_or_b64 exec, exec, s[8:9]
	s_waitcnt lgkmcnt(0)
	s_barrier
	s_barrier
	s_and_saveexec_b64 s[8:9], vcc
	s_cbranch_execz .LBB91_134
; %bb.133:
	s_mov_b32 s88, 0
	s_mov_b32 s89, 0x3ff00000
	;; [unrolled: 1-line block ×4, first 2 shown]
	v_mov_b32_e32 v10, s88
	v_mov_b32_e32 v29, 0
	;; [unrolled: 1-line block ×5, first 2 shown]
	ds_write_b128 v29, v[10:13] offset:4224
	ds_write_b128 v29, v[10:13] offset:4752
.LBB91_134:
	s_or_b64 exec, exec, s[8:9]
	v_mov_b32_e32 v12, 0
	v_mov_b32_e32 v10, 0
	;; [unrolled: 1-line block ×4, first 2 shown]
	s_waitcnt lgkmcnt(0)
	s_barrier
	s_and_saveexec_b64 s[10:11], s[0:1]
	s_cbranch_execz .LBB91_138
; %bb.135:
	v_mul_u32_u24_e32 v10, 0x210, v16
	ds_read_b128 v[10:13], v10 offset:4224
	ds_read_b128 v[29:32], v14 offset:4256
	v_cmp_gt_u32_e64 s[8:9], 2, v22
	s_waitcnt lgkmcnt(0)
	v_mul_f64 v[33:34], v[12:13], v[31:32]
	v_mul_f64 v[31:32], v[10:11], v[31:32]
	v_fma_f64 v[10:11], v[10:11], v[29:30], -v[33:34]
	v_fma_f64 v[12:13], v[12:13], v[29:30], v[31:32]
	v_add_f64 v[10:11], v[10:11], 0
	v_add_f64 v[12:13], v[12:13], 0
	s_and_saveexec_b64 s[14:15], s[8:9]
	s_cbranch_execz .LBB91_137
; %bb.136:
	v_lshlrev_b32_e32 v33, 4, v0
	v_mov_b32_e32 v29, 0
	ds_read_b128 v[29:32], v29 offset:4240
	ds_read_b128 v[33:36], v33 offset:4768
	s_waitcnt lgkmcnt(0)
	v_mul_f64 v[37:38], v[31:32], v[35:36]
	v_mul_f64 v[35:36], v[29:30], v[35:36]
	v_fma_f64 v[29:30], v[29:30], v[33:34], -v[37:38]
	v_fma_f64 v[31:32], v[31:32], v[33:34], v[35:36]
	v_add_f64 v[10:11], v[10:11], v[29:30]
	v_add_f64 v[12:13], v[12:13], v[31:32]
.LBB91_137:
	s_or_b64 exec, exec, s[14:15]
	v_xor_b32_e32 v11, 0x80000000, v11
	v_xor_b32_e32 v13, 0x80000000, v13
.LBB91_138:
	s_or_b64 exec, exec, s[10:11]
	s_and_saveexec_b64 s[8:9], s[36:37]
; %bb.139:
	ds_write_b128 v15, v[10:13]
; %bb.140:
	s_or_b64 exec, exec, s[8:9]
	s_waitcnt lgkmcnt(0)
	s_barrier
	s_and_saveexec_b64 s[8:9], s[34:35]
	s_cbranch_execz .LBB91_142
; %bb.141:
	v_mov_b32_e32 v33, 0
	ds_read_b128 v[29:32], v15
	ds_read_b128 v[33:36], v33 offset:5296
	s_waitcnt lgkmcnt(0)
	v_mul_f64 v[37:38], v[31:32], v[35:36]
	v_mul_f64 v[35:36], v[29:30], v[35:36]
	v_fma_f64 v[29:30], v[29:30], v[33:34], -v[37:38]
	v_fma_f64 v[31:32], v[31:32], v[33:34], v[35:36]
	v_add_f64 v[10:11], v[10:11], v[29:30]
	v_add_f64 v[12:13], v[12:13], v[31:32]
.LBB91_142:
	s_or_b64 exec, exec, s[8:9]
	s_barrier
	s_and_saveexec_b64 s[8:9], s[34:35]
; %bb.143:
	ds_write_b128 v15, v[10:13]
; %bb.144:
	s_or_b64 exec, exec, s[8:9]
	s_waitcnt lgkmcnt(0)
	s_barrier
	s_barrier
	s_and_saveexec_b64 s[8:9], s[0:1]
; %bb.145:
	v_xor_b32_e32 v11, 0x80000000, v11
	v_xor_b32_e32 v13, 0x80000000, v13
	ds_write_b128 v14, v[10:13] offset:4256
; %bb.146:
	s_or_b64 exec, exec, s[8:9]
	s_waitcnt lgkmcnt(0)
	s_barrier
	s_barrier
	s_and_saveexec_b64 s[8:9], vcc
	s_cbranch_execz .LBB91_148
; %bb.147:
	s_mov_b32 s88, 0
	s_mov_b32 s89, 0x3ff00000
	;; [unrolled: 1-line block ×4, first 2 shown]
	v_mov_b32_e32 v10, s88
	v_mov_b32_e32 v29, 0
	;; [unrolled: 1-line block ×5, first 2 shown]
	ds_write_b128 v29, v[10:13] offset:5280
	ds_write_b128 v29, v[10:13] offset:5808
.LBB91_148:
	s_or_b64 exec, exec, s[8:9]
	v_mov_b32_e32 v12, 0
	v_mov_b32_e32 v10, 0
	;; [unrolled: 1-line block ×4, first 2 shown]
	s_waitcnt lgkmcnt(0)
	s_barrier
	s_and_saveexec_b64 s[10:11], s[2:3]
	s_cbranch_execz .LBB91_154
; %bb.149:
	v_mul_u32_u24_e32 v29, 0x210, v23
	ds_read_b128 v[10:13], v29 offset:4224
	ds_read_b128 v[30:33], v17 offset:4288
	v_cmp_gt_u32_e64 s[8:9], 12, v22
	s_waitcnt lgkmcnt(0)
	v_mul_f64 v[34:35], v[12:13], v[32:33]
	v_mul_f64 v[32:33], v[10:11], v[32:33]
	v_fma_f64 v[10:11], v[10:11], v[30:31], -v[34:35]
	v_fma_f64 v[12:13], v[12:13], v[30:31], v[32:33]
	v_add_f64 v[10:11], v[10:11], 0
	v_add_f64 v[12:13], v[12:13], 0
	s_and_saveexec_b64 s[14:15], s[8:9]
	s_cbranch_execnz .LBB91_497
; %bb.150:
	s_or_b64 exec, exec, s[14:15]
	v_cmp_gt_u32_e64 s[8:9], 8, v22
	s_and_saveexec_b64 s[14:15], s[8:9]
	s_cbranch_execnz .LBB91_498
.LBB91_151:
	s_or_b64 exec, exec, s[14:15]
	v_cmp_gt_u32_e64 s[8:9], 4, v22
	s_and_saveexec_b64 s[14:15], s[8:9]
	s_cbranch_execz .LBB91_153
.LBB91_152:
	v_lshlrev_b32_e32 v33, 4, v0
	v_mov_b32_e32 v29, 0
	ds_read_b128 v[29:32], v29 offset:4272
	ds_read_b128 v[33:36], v33 offset:5824
	s_waitcnt lgkmcnt(0)
	v_mul_f64 v[37:38], v[31:32], v[35:36]
	v_mul_f64 v[35:36], v[29:30], v[35:36]
	v_fma_f64 v[29:30], v[29:30], v[33:34], -v[37:38]
	v_fma_f64 v[31:32], v[31:32], v[33:34], v[35:36]
	v_add_f64 v[10:11], v[10:11], v[29:30]
	v_add_f64 v[12:13], v[12:13], v[31:32]
.LBB91_153:
	s_or_b64 exec, exec, s[14:15]
	v_xor_b32_e32 v11, 0x80000000, v11
	v_xor_b32_e32 v13, 0x80000000, v13
.LBB91_154:
	s_or_b64 exec, exec, s[10:11]
	s_and_saveexec_b64 s[8:9], s[40:41]
; %bb.155:
	ds_write_b128 v19, v[10:13]
; %bb.156:
	s_or_b64 exec, exec, s[8:9]
	s_waitcnt lgkmcnt(0)
	s_barrier
	s_and_saveexec_b64 s[8:9], s[42:43]
	s_cbranch_execz .LBB91_158
; %bb.157:
	ds_read_b128 v[29:32], v19
	ds_read_b128 v[33:36], v18 offset:6336
	s_waitcnt lgkmcnt(0)
	v_mul_f64 v[37:38], v[31:32], v[35:36]
	v_mul_f64 v[35:36], v[29:30], v[35:36]
	v_fma_f64 v[29:30], v[29:30], v[33:34], -v[37:38]
	v_fma_f64 v[31:32], v[31:32], v[33:34], v[35:36]
	v_add_f64 v[10:11], v[10:11], v[29:30]
	v_add_f64 v[12:13], v[12:13], v[31:32]
.LBB91_158:
	s_or_b64 exec, exec, s[8:9]
	s_barrier
	s_and_saveexec_b64 s[8:9], s[44:45]
; %bb.159:
	ds_write_b128 v19, v[10:13]
; %bb.160:
	s_or_b64 exec, exec, s[8:9]
	s_waitcnt lgkmcnt(0)
	s_barrier
	s_and_saveexec_b64 s[8:9], s[46:47]
	s_cbranch_execz .LBB91_162
; %bb.161:
	ds_read_b128 v[29:32], v19
	ds_read_b128 v[33:36], v18 offset:6848
	s_waitcnt lgkmcnt(0)
	v_mul_f64 v[37:38], v[31:32], v[35:36]
	v_mul_f64 v[35:36], v[29:30], v[35:36]
	v_fma_f64 v[29:30], v[29:30], v[33:34], -v[37:38]
	v_fma_f64 v[31:32], v[31:32], v[33:34], v[35:36]
	v_add_f64 v[10:11], v[10:11], v[29:30]
	v_add_f64 v[12:13], v[12:13], v[31:32]
.LBB91_162:
	s_or_b64 exec, exec, s[8:9]
	s_barrier
	s_and_saveexec_b64 s[8:9], s[48:49]
; %bb.163:
	ds_write_b128 v19, v[10:13]
; %bb.164:
	s_or_b64 exec, exec, s[8:9]
	s_waitcnt lgkmcnt(0)
	s_barrier
	s_and_saveexec_b64 s[8:9], s[38:39]
	s_cbranch_execz .LBB91_166
; %bb.165:
	v_mov_b32_e32 v33, 0
	ds_read_b128 v[29:32], v19
	ds_read_b128 v[33:36], v33 offset:7408
	s_waitcnt lgkmcnt(0)
	v_mul_f64 v[37:38], v[31:32], v[35:36]
	v_mul_f64 v[35:36], v[29:30], v[35:36]
	v_fma_f64 v[29:30], v[29:30], v[33:34], -v[37:38]
	v_fma_f64 v[31:32], v[31:32], v[33:34], v[35:36]
	v_add_f64 v[10:11], v[10:11], v[29:30]
	v_add_f64 v[12:13], v[12:13], v[31:32]
.LBB91_166:
	s_or_b64 exec, exec, s[8:9]
	s_barrier
	s_and_saveexec_b64 s[8:9], s[38:39]
; %bb.167:
	ds_write_b128 v19, v[10:13]
; %bb.168:
	s_or_b64 exec, exec, s[8:9]
	s_waitcnt lgkmcnt(0)
	s_barrier
	s_barrier
	s_and_saveexec_b64 s[8:9], s[2:3]
; %bb.169:
	v_xor_b32_e32 v13, 0x80000000, v13
	v_xor_b32_e32 v11, 0x80000000, v11
	ds_write_b128 v17, v[10:13] offset:4288
; %bb.170:
	s_or_b64 exec, exec, s[8:9]
	s_waitcnt lgkmcnt(0)
	s_barrier
	s_barrier
	s_and_saveexec_b64 s[8:9], vcc
	s_cbranch_execz .LBB91_172
; %bb.171:
	s_mov_b32 s88, 0
	s_mov_b32 s89, 0x3ff00000
	;; [unrolled: 1-line block ×4, first 2 shown]
	v_mov_b32_e32 v10, s88
	v_mov_b32_e32 v29, 0
	;; [unrolled: 1-line block ×5, first 2 shown]
	ds_write_b128 v29, v[10:13] offset:6336
	ds_write_b128 v29, v[10:13] offset:6864
.LBB91_172:
	s_or_b64 exec, exec, s[8:9]
	v_mov_b32_e32 v12, 0
	v_mov_b32_e32 v10, 0
	;; [unrolled: 1-line block ×4, first 2 shown]
	s_waitcnt lgkmcnt(0)
	s_barrier
	s_and_saveexec_b64 s[10:11], s[0:1]
	s_cbranch_execz .LBB91_176
; %bb.173:
	v_mul_u32_u24_e32 v10, 0x210, v16
	ds_read_b128 v[10:13], v10 offset:6336
	ds_read_b128 v[29:32], v14 offset:6368
	v_cmp_gt_u32_e64 s[8:9], 2, v22
	s_waitcnt lgkmcnt(0)
	v_mul_f64 v[33:34], v[12:13], v[31:32]
	v_mul_f64 v[31:32], v[10:11], v[31:32]
	v_fma_f64 v[10:11], v[10:11], v[29:30], -v[33:34]
	v_fma_f64 v[12:13], v[12:13], v[29:30], v[31:32]
	v_add_f64 v[10:11], v[10:11], 0
	v_add_f64 v[12:13], v[12:13], 0
	s_and_saveexec_b64 s[14:15], s[8:9]
	s_cbranch_execz .LBB91_175
; %bb.174:
	v_lshlrev_b32_e32 v33, 4, v0
	v_mov_b32_e32 v29, 0
	ds_read_b128 v[29:32], v29 offset:6352
	ds_read_b128 v[33:36], v33 offset:6880
	s_waitcnt lgkmcnt(0)
	v_mul_f64 v[37:38], v[31:32], v[35:36]
	v_mul_f64 v[35:36], v[29:30], v[35:36]
	v_fma_f64 v[29:30], v[29:30], v[33:34], -v[37:38]
	v_fma_f64 v[31:32], v[31:32], v[33:34], v[35:36]
	v_add_f64 v[10:11], v[10:11], v[29:30]
	v_add_f64 v[12:13], v[12:13], v[31:32]
.LBB91_175:
	s_or_b64 exec, exec, s[14:15]
	v_xor_b32_e32 v11, 0x80000000, v11
	v_xor_b32_e32 v13, 0x80000000, v13
.LBB91_176:
	s_or_b64 exec, exec, s[10:11]
	s_and_saveexec_b64 s[8:9], s[36:37]
; %bb.177:
	ds_write_b128 v15, v[10:13]
; %bb.178:
	s_or_b64 exec, exec, s[8:9]
	s_waitcnt lgkmcnt(0)
	s_barrier
	s_and_saveexec_b64 s[8:9], s[34:35]
	s_cbranch_execz .LBB91_180
; %bb.179:
	v_mov_b32_e32 v33, 0
	ds_read_b128 v[29:32], v15
	ds_read_b128 v[33:36], v33 offset:7408
	s_waitcnt lgkmcnt(0)
	v_mul_f64 v[37:38], v[31:32], v[35:36]
	v_mul_f64 v[35:36], v[29:30], v[35:36]
	v_fma_f64 v[29:30], v[29:30], v[33:34], -v[37:38]
	v_fma_f64 v[31:32], v[31:32], v[33:34], v[35:36]
	v_add_f64 v[10:11], v[10:11], v[29:30]
	v_add_f64 v[12:13], v[12:13], v[31:32]
.LBB91_180:
	s_or_b64 exec, exec, s[8:9]
	s_barrier
	s_and_saveexec_b64 s[8:9], s[34:35]
; %bb.181:
	ds_write_b128 v15, v[10:13]
; %bb.182:
	s_or_b64 exec, exec, s[8:9]
	s_waitcnt lgkmcnt(0)
	s_barrier
	s_barrier
	s_and_saveexec_b64 s[8:9], s[0:1]
; %bb.183:
	v_xor_b32_e32 v11, 0x80000000, v11
	v_xor_b32_e32 v13, 0x80000000, v13
	ds_write_b128 v14, v[10:13] offset:6368
; %bb.184:
	s_or_b64 exec, exec, s[8:9]
	s_waitcnt lgkmcnt(0)
	s_barrier
	s_barrier
	s_and_saveexec_b64 s[8:9], vcc
	s_cbranch_execz .LBB91_186
; %bb.185:
	s_mov_b32 s88, 0
	s_mov_b32 s89, 0x3ff00000
	;; [unrolled: 1-line block ×4, first 2 shown]
	v_mov_b32_e32 v10, s88
	v_mov_b32_e32 v29, 0
	;; [unrolled: 1-line block ×5, first 2 shown]
	ds_write_b128 v29, v[10:13] offset:7392
	ds_write_b128 v29, v[10:13] offset:7920
.LBB91_186:
	s_or_b64 exec, exec, s[8:9]
	v_and_b32_e32 v30, 15, v0
	s_movk_i32 s8, 0xff
	v_lshrrev_b32_e32 v32, 4, v22
	v_cmp_lt_u32_e64 s[10:11], s8, v22
	s_movk_i32 s8, 0x100
	v_lshlrev_b32_e32 v31, 4, v30
	v_mov_b32_e32 v12, 0
	v_mov_b32_e32 v10, 0
	v_cmp_gt_u32_e64 s[8:9], s8, v22
	v_mov_b32_e32 v13, 0
	v_mov_b32_e32 v11, 0
	v_lshl_or_b32 v29, v32, 9, v31
	s_waitcnt lgkmcnt(0)
	s_barrier
	s_and_saveexec_b64 s[78:79], s[8:9]
	s_cbranch_execz .LBB91_214
; %bb.187:
	v_mul_u32_u24_e32 v33, 0x210, v32
	ds_read_b128 v[10:13], v33
	ds_read_b128 v[34:37], v29 offset:256
	s_movk_i32 s14, 0xf0
	v_cmp_gt_u32_e64 s[14:15], s14, v22
	s_waitcnt lgkmcnt(0)
	v_mul_f64 v[38:39], v[12:13], v[36:37]
	v_mul_f64 v[36:37], v[10:11], v[36:37]
	v_fma_f64 v[10:11], v[10:11], v[34:35], -v[38:39]
	v_fma_f64 v[12:13], v[12:13], v[34:35], v[36:37]
	v_add_f64 v[10:11], v[10:11], 0
	v_add_f64 v[12:13], v[12:13], 0
	s_and_saveexec_b64 s[80:81], s[14:15]
	s_cbranch_execz .LBB91_189
; %bb.188:
	ds_read_b128 v[34:37], v33 offset:16
	ds_read_b128 v[38:41], v29 offset:768
	s_waitcnt lgkmcnt(0)
	v_mul_f64 v[42:43], v[36:37], v[40:41]
	v_mul_f64 v[40:41], v[34:35], v[40:41]
	v_fma_f64 v[34:35], v[34:35], v[38:39], -v[42:43]
	v_fma_f64 v[36:37], v[36:37], v[38:39], v[40:41]
	v_add_f64 v[10:11], v[10:11], v[34:35]
	v_add_f64 v[12:13], v[12:13], v[36:37]
.LBB91_189:
	s_or_b64 exec, exec, s[80:81]
	s_movk_i32 s14, 0xe0
	v_cmp_gt_u32_e64 s[14:15], s14, v22
	s_and_saveexec_b64 s[80:81], s[14:15]
	s_cbranch_execz .LBB91_191
; %bb.190:
	ds_read_b128 v[34:37], v33 offset:32
	ds_read_b128 v[38:41], v29 offset:1280
	s_waitcnt lgkmcnt(0)
	v_mul_f64 v[42:43], v[36:37], v[40:41]
	v_mul_f64 v[40:41], v[34:35], v[40:41]
	v_fma_f64 v[34:35], v[34:35], v[38:39], -v[42:43]
	v_fma_f64 v[36:37], v[36:37], v[38:39], v[40:41]
	v_add_f64 v[10:11], v[10:11], v[34:35]
	v_add_f64 v[12:13], v[12:13], v[36:37]
.LBB91_191:
	s_or_b64 exec, exec, s[80:81]
	s_movk_i32 s14, 0xd0
	v_cmp_gt_u32_e64 s[14:15], s14, v22
	;; [unrolled: 16-line block ×10, first 2 shown]
	s_and_saveexec_b64 s[80:81], s[14:15]
	s_cbranch_execnz .LBB91_499
; %bb.208:
	s_or_b64 exec, exec, s[80:81]
	v_cmp_gt_u32_e64 s[14:15], 64, v22
	s_and_saveexec_b64 s[80:81], s[14:15]
	s_cbranch_execnz .LBB91_500
.LBB91_209:
	s_or_b64 exec, exec, s[80:81]
	v_cmp_gt_u32_e64 s[14:15], 48, v22
	s_and_saveexec_b64 s[80:81], s[14:15]
	s_cbranch_execnz .LBB91_501
.LBB91_210:
	s_or_b64 exec, exec, s[80:81]
	v_cmp_gt_u32_e64 s[14:15], 32, v22
	s_and_saveexec_b64 s[80:81], s[14:15]
	s_cbranch_execnz .LBB91_502
.LBB91_211:
	s_or_b64 exec, exec, s[80:81]
	v_cmp_gt_u32_e64 s[14:15], 16, v22
	s_and_saveexec_b64 s[80:81], s[14:15]
	s_cbranch_execz .LBB91_213
.LBB91_212:
	v_lshlrev_b32_e32 v37, 4, v0
	v_mov_b32_e32 v33, 0
	ds_read_b128 v[33:36], v33 offset:240
	ds_read_b128 v[37:40], v37 offset:7936
	s_waitcnt lgkmcnt(0)
	v_mul_f64 v[41:42], v[35:36], v[39:40]
	v_mul_f64 v[39:40], v[33:34], v[39:40]
	v_fma_f64 v[33:34], v[33:34], v[37:38], -v[41:42]
	v_fma_f64 v[35:36], v[35:36], v[37:38], v[39:40]
	v_add_f64 v[10:11], v[10:11], v[33:34]
	v_add_f64 v[12:13], v[12:13], v[35:36]
.LBB91_213:
	s_or_b64 exec, exec, s[80:81]
	v_xor_b32_e32 v11, 0x80000000, v11
	v_xor_b32_e32 v13, 0x80000000, v13
.LBB91_214:
	s_or_b64 exec, exec, s[78:79]
	v_mov_b32_e32 v33, 0x4000
	v_cmp_eq_u32_e64 s[14:15], 0, v30
	s_xor_b64 s[78:79], s[10:11], -1
	v_lshl_add_u32 v32, v32, 4, v33
	s_and_b64 s[14:15], s[14:15], s[78:79]
	s_and_saveexec_b64 s[10:11], s[14:15]
; %bb.215:
	ds_write_b128 v32, v[10:13]
; %bb.216:
	s_or_b64 exec, exec, s[10:11]
	v_cmp_ne_u32_e64 s[10:11], 0, v30
	s_and_b64 s[14:15], s[10:11], s[78:79]
	s_waitcnt lgkmcnt(0)
	s_barrier
	s_and_saveexec_b64 s[10:11], s[14:15]
	s_cbranch_execz .LBB91_218
; %bb.217:
	ds_read_b128 v[33:36], v32
	ds_read_b128 v[37:40], v31 offset:8448
	s_waitcnt lgkmcnt(0)
	v_mul_f64 v[41:42], v[35:36], v[39:40]
	v_mul_f64 v[39:40], v[33:34], v[39:40]
	v_fma_f64 v[33:34], v[33:34], v[37:38], -v[41:42]
	v_fma_f64 v[35:36], v[35:36], v[37:38], v[39:40]
	v_add_f64 v[10:11], v[10:11], v[33:34]
	v_add_f64 v[12:13], v[12:13], v[35:36]
.LBB91_218:
	s_or_b64 exec, exec, s[10:11]
	v_cmp_eq_u32_e64 s[10:11], 1, v30
	s_and_b64 s[14:15], s[10:11], s[78:79]
	s_barrier
	s_and_saveexec_b64 s[10:11], s[14:15]
; %bb.219:
	ds_write_b128 v32, v[10:13]
; %bb.220:
	s_or_b64 exec, exec, s[10:11]
	v_cmp_lt_u32_e64 s[10:11], 1, v30
	s_and_b64 s[14:15], s[10:11], s[78:79]
	s_waitcnt lgkmcnt(0)
	s_barrier
	s_and_saveexec_b64 s[10:11], s[14:15]
	s_cbranch_execz .LBB91_222
; %bb.221:
	ds_read_b128 v[33:36], v32
	ds_read_b128 v[37:40], v31 offset:8960
	s_waitcnt lgkmcnt(0)
	v_mul_f64 v[41:42], v[35:36], v[39:40]
	v_mul_f64 v[39:40], v[33:34], v[39:40]
	v_fma_f64 v[33:34], v[33:34], v[37:38], -v[41:42]
	v_fma_f64 v[35:36], v[35:36], v[37:38], v[39:40]
	v_add_f64 v[10:11], v[10:11], v[33:34]
	v_add_f64 v[12:13], v[12:13], v[35:36]
.LBB91_222:
	s_or_b64 exec, exec, s[10:11]
	v_cmp_eq_u32_e64 s[10:11], 2, v30
	s_and_b64 s[14:15], s[10:11], s[78:79]
	s_barrier
	s_and_saveexec_b64 s[10:11], s[14:15]
; %bb.223:
	ds_write_b128 v32, v[10:13]
; %bb.224:
	s_or_b64 exec, exec, s[10:11]
	v_cmp_lt_u32_e64 s[10:11], 2, v30
	;; [unrolled: 26-line block ×13, first 2 shown]
	s_and_b64 s[14:15], s[10:11], s[78:79]
	s_waitcnt lgkmcnt(0)
	s_barrier
	s_and_saveexec_b64 s[10:11], s[14:15]
	s_cbranch_execz .LBB91_270
; %bb.269:
	ds_read_b128 v[33:36], v32
	ds_read_b128 v[37:40], v31 offset:15104
	s_waitcnt lgkmcnt(0)
	v_mul_f64 v[41:42], v[35:36], v[39:40]
	v_mul_f64 v[39:40], v[33:34], v[39:40]
	v_fma_f64 v[33:34], v[33:34], v[37:38], -v[41:42]
	v_fma_f64 v[35:36], v[35:36], v[37:38], v[39:40]
	v_add_f64 v[10:11], v[10:11], v[33:34]
	v_add_f64 v[12:13], v[12:13], v[35:36]
.LBB91_270:
	s_or_b64 exec, exec, s[10:11]
	v_cmp_eq_u32_e64 s[10:11], 14, v30
	s_and_b64 s[14:15], s[10:11], s[78:79]
	s_barrier
	s_and_saveexec_b64 s[10:11], s[14:15]
; %bb.271:
	ds_write_b128 v32, v[10:13]
; %bb.272:
	s_or_b64 exec, exec, s[10:11]
	v_cmp_eq_u32_e64 s[10:11], 15, v30
	s_and_b64 s[10:11], s[10:11], s[78:79]
	s_waitcnt lgkmcnt(0)
	s_barrier
	s_and_saveexec_b64 s[14:15], s[10:11]
	s_cbranch_execz .LBB91_274
; %bb.273:
	v_mov_b32_e32 v30, 0
	ds_read_b128 v[33:36], v32
	ds_read_b128 v[37:40], v30 offset:15856
	s_waitcnt lgkmcnt(0)
	v_mul_f64 v[30:31], v[35:36], v[39:40]
	v_mul_f64 v[39:40], v[33:34], v[39:40]
	v_fma_f64 v[30:31], v[33:34], v[37:38], -v[30:31]
	v_fma_f64 v[33:34], v[35:36], v[37:38], v[39:40]
	v_add_f64 v[10:11], v[10:11], v[30:31]
	v_add_f64 v[12:13], v[12:13], v[33:34]
.LBB91_274:
	s_or_b64 exec, exec, s[14:15]
	s_barrier
	s_and_saveexec_b64 s[14:15], s[10:11]
; %bb.275:
	ds_write_b128 v32, v[10:13]
; %bb.276:
	s_or_b64 exec, exec, s[14:15]
	s_waitcnt lgkmcnt(0)
	s_barrier
	s_barrier
	s_and_saveexec_b64 s[10:11], s[8:9]
; %bb.277:
	v_xor_b32_e32 v13, 0x80000000, v13
	v_xor_b32_e32 v11, 0x80000000, v11
	ds_write_b128 v29, v[10:13] offset:256
; %bb.278:
	s_or_b64 exec, exec, s[10:11]
	s_waitcnt lgkmcnt(0)
	s_barrier
	s_barrier
	s_and_saveexec_b64 s[8:9], vcc
	s_cbranch_execz .LBB91_280
; %bb.279:
	s_mov_b32 s88, 0
	s_mov_b32 s89, 0x3ff00000
	;; [unrolled: 1-line block ×4, first 2 shown]
	v_mov_b32_e32 v10, s88
	v_mov_b32_e32 v29, 0
	;; [unrolled: 1-line block ×5, first 2 shown]
	ds_write_b128 v29, v[10:13] offset:8448
	ds_write_b128 v29, v[10:13] offset:8976
.LBB91_280:
	s_or_b64 exec, exec, s[8:9]
	v_mov_b32_e32 v12, 0
	v_mov_b32_e32 v10, 0
	;; [unrolled: 1-line block ×4, first 2 shown]
	s_waitcnt lgkmcnt(0)
	s_barrier
	s_and_saveexec_b64 s[10:11], s[0:1]
	s_cbranch_execz .LBB91_284
; %bb.281:
	v_mul_u32_u24_e32 v10, 0x210, v16
	ds_read_b128 v[10:13], v10 offset:8448
	ds_read_b128 v[29:32], v14 offset:8480
	v_cmp_gt_u32_e64 s[8:9], 2, v22
	s_waitcnt lgkmcnt(0)
	v_mul_f64 v[33:34], v[12:13], v[31:32]
	v_mul_f64 v[31:32], v[10:11], v[31:32]
	v_fma_f64 v[10:11], v[10:11], v[29:30], -v[33:34]
	v_fma_f64 v[12:13], v[12:13], v[29:30], v[31:32]
	v_add_f64 v[10:11], v[10:11], 0
	v_add_f64 v[12:13], v[12:13], 0
	s_and_saveexec_b64 s[14:15], s[8:9]
	s_cbranch_execz .LBB91_283
; %bb.282:
	v_lshlrev_b32_e32 v33, 4, v0
	v_mov_b32_e32 v29, 0
	ds_read_b128 v[29:32], v29 offset:8464
	ds_read_b128 v[33:36], v33 offset:8992
	s_waitcnt lgkmcnt(0)
	v_mul_f64 v[37:38], v[31:32], v[35:36]
	v_mul_f64 v[35:36], v[29:30], v[35:36]
	v_fma_f64 v[29:30], v[29:30], v[33:34], -v[37:38]
	v_fma_f64 v[31:32], v[31:32], v[33:34], v[35:36]
	v_add_f64 v[10:11], v[10:11], v[29:30]
	v_add_f64 v[12:13], v[12:13], v[31:32]
.LBB91_283:
	s_or_b64 exec, exec, s[14:15]
	v_xor_b32_e32 v11, 0x80000000, v11
	v_xor_b32_e32 v13, 0x80000000, v13
.LBB91_284:
	s_or_b64 exec, exec, s[10:11]
	s_and_saveexec_b64 s[8:9], s[36:37]
; %bb.285:
	ds_write_b128 v15, v[10:13]
; %bb.286:
	s_or_b64 exec, exec, s[8:9]
	s_waitcnt lgkmcnt(0)
	s_barrier
	s_and_saveexec_b64 s[8:9], s[34:35]
	s_cbranch_execz .LBB91_288
; %bb.287:
	v_mov_b32_e32 v33, 0
	ds_read_b128 v[29:32], v15
	ds_read_b128 v[33:36], v33 offset:9520
	s_waitcnt lgkmcnt(0)
	v_mul_f64 v[37:38], v[31:32], v[35:36]
	v_mul_f64 v[35:36], v[29:30], v[35:36]
	v_fma_f64 v[29:30], v[29:30], v[33:34], -v[37:38]
	v_fma_f64 v[31:32], v[31:32], v[33:34], v[35:36]
	v_add_f64 v[10:11], v[10:11], v[29:30]
	v_add_f64 v[12:13], v[12:13], v[31:32]
.LBB91_288:
	s_or_b64 exec, exec, s[8:9]
	s_barrier
	s_and_saveexec_b64 s[8:9], s[34:35]
; %bb.289:
	ds_write_b128 v15, v[10:13]
; %bb.290:
	s_or_b64 exec, exec, s[8:9]
	s_waitcnt lgkmcnt(0)
	s_barrier
	s_barrier
	s_and_saveexec_b64 s[8:9], s[0:1]
; %bb.291:
	v_xor_b32_e32 v11, 0x80000000, v11
	v_xor_b32_e32 v13, 0x80000000, v13
	ds_write_b128 v14, v[10:13] offset:8480
; %bb.292:
	s_or_b64 exec, exec, s[8:9]
	s_waitcnt lgkmcnt(0)
	s_barrier
	s_barrier
	s_and_saveexec_b64 s[8:9], vcc
	s_cbranch_execz .LBB91_294
; %bb.293:
	s_mov_b32 s88, 0
	s_mov_b32 s89, 0x3ff00000
	;; [unrolled: 1-line block ×4, first 2 shown]
	v_mov_b32_e32 v10, s88
	v_mov_b32_e32 v29, 0
	;; [unrolled: 1-line block ×5, first 2 shown]
	ds_write_b128 v29, v[10:13] offset:9504
	ds_write_b128 v29, v[10:13] offset:10032
.LBB91_294:
	s_or_b64 exec, exec, s[8:9]
	v_mov_b32_e32 v12, 0
	v_mov_b32_e32 v10, 0
	;; [unrolled: 1-line block ×4, first 2 shown]
	s_waitcnt lgkmcnt(0)
	s_barrier
	s_and_saveexec_b64 s[10:11], s[2:3]
	s_cbranch_execz .LBB91_300
; %bb.295:
	v_mul_u32_u24_e32 v29, 0x210, v23
	ds_read_b128 v[10:13], v29 offset:8448
	ds_read_b128 v[30:33], v17 offset:8512
	v_cmp_gt_u32_e64 s[8:9], 12, v22
	s_waitcnt lgkmcnt(0)
	v_mul_f64 v[34:35], v[12:13], v[32:33]
	v_mul_f64 v[32:33], v[10:11], v[32:33]
	v_fma_f64 v[10:11], v[10:11], v[30:31], -v[34:35]
	v_fma_f64 v[12:13], v[12:13], v[30:31], v[32:33]
	v_add_f64 v[10:11], v[10:11], 0
	v_add_f64 v[12:13], v[12:13], 0
	s_and_saveexec_b64 s[14:15], s[8:9]
	s_cbranch_execnz .LBB91_503
; %bb.296:
	s_or_b64 exec, exec, s[14:15]
	v_cmp_gt_u32_e64 s[8:9], 8, v22
	s_and_saveexec_b64 s[14:15], s[8:9]
	s_cbranch_execnz .LBB91_504
.LBB91_297:
	s_or_b64 exec, exec, s[14:15]
	v_cmp_gt_u32_e64 s[8:9], 4, v22
	s_and_saveexec_b64 s[14:15], s[8:9]
	s_cbranch_execz .LBB91_299
.LBB91_298:
	v_lshlrev_b32_e32 v33, 4, v0
	v_mov_b32_e32 v29, 0
	ds_read_b128 v[29:32], v29 offset:8496
	ds_read_b128 v[33:36], v33 offset:10048
	s_waitcnt lgkmcnt(0)
	v_mul_f64 v[37:38], v[31:32], v[35:36]
	v_mul_f64 v[35:36], v[29:30], v[35:36]
	v_fma_f64 v[29:30], v[29:30], v[33:34], -v[37:38]
	v_fma_f64 v[31:32], v[31:32], v[33:34], v[35:36]
	v_add_f64 v[10:11], v[10:11], v[29:30]
	v_add_f64 v[12:13], v[12:13], v[31:32]
.LBB91_299:
	s_or_b64 exec, exec, s[14:15]
	v_xor_b32_e32 v11, 0x80000000, v11
	v_xor_b32_e32 v13, 0x80000000, v13
.LBB91_300:
	s_or_b64 exec, exec, s[10:11]
	s_and_saveexec_b64 s[8:9], s[40:41]
; %bb.301:
	ds_write_b128 v19, v[10:13]
; %bb.302:
	s_or_b64 exec, exec, s[8:9]
	s_waitcnt lgkmcnt(0)
	s_barrier
	s_and_saveexec_b64 s[8:9], s[42:43]
	s_cbranch_execz .LBB91_304
; %bb.303:
	ds_read_b128 v[29:32], v19
	ds_read_b128 v[33:36], v18 offset:10560
	s_waitcnt lgkmcnt(0)
	v_mul_f64 v[37:38], v[31:32], v[35:36]
	v_mul_f64 v[35:36], v[29:30], v[35:36]
	v_fma_f64 v[29:30], v[29:30], v[33:34], -v[37:38]
	v_fma_f64 v[31:32], v[31:32], v[33:34], v[35:36]
	v_add_f64 v[10:11], v[10:11], v[29:30]
	v_add_f64 v[12:13], v[12:13], v[31:32]
.LBB91_304:
	s_or_b64 exec, exec, s[8:9]
	s_barrier
	s_and_saveexec_b64 s[8:9], s[44:45]
; %bb.305:
	ds_write_b128 v19, v[10:13]
; %bb.306:
	s_or_b64 exec, exec, s[8:9]
	s_waitcnt lgkmcnt(0)
	s_barrier
	s_and_saveexec_b64 s[8:9], s[46:47]
	s_cbranch_execz .LBB91_308
; %bb.307:
	ds_read_b128 v[29:32], v19
	ds_read_b128 v[33:36], v18 offset:11072
	s_waitcnt lgkmcnt(0)
	v_mul_f64 v[37:38], v[31:32], v[35:36]
	v_mul_f64 v[35:36], v[29:30], v[35:36]
	v_fma_f64 v[29:30], v[29:30], v[33:34], -v[37:38]
	v_fma_f64 v[31:32], v[31:32], v[33:34], v[35:36]
	v_add_f64 v[10:11], v[10:11], v[29:30]
	v_add_f64 v[12:13], v[12:13], v[31:32]
.LBB91_308:
	s_or_b64 exec, exec, s[8:9]
	s_barrier
	s_and_saveexec_b64 s[8:9], s[48:49]
; %bb.309:
	ds_write_b128 v19, v[10:13]
; %bb.310:
	s_or_b64 exec, exec, s[8:9]
	s_waitcnt lgkmcnt(0)
	s_barrier
	s_and_saveexec_b64 s[8:9], s[38:39]
	s_cbranch_execz .LBB91_312
; %bb.311:
	v_mov_b32_e32 v33, 0
	ds_read_b128 v[29:32], v19
	ds_read_b128 v[33:36], v33 offset:11632
	s_waitcnt lgkmcnt(0)
	v_mul_f64 v[37:38], v[31:32], v[35:36]
	v_mul_f64 v[35:36], v[29:30], v[35:36]
	v_fma_f64 v[29:30], v[29:30], v[33:34], -v[37:38]
	v_fma_f64 v[31:32], v[31:32], v[33:34], v[35:36]
	v_add_f64 v[10:11], v[10:11], v[29:30]
	v_add_f64 v[12:13], v[12:13], v[31:32]
.LBB91_312:
	s_or_b64 exec, exec, s[8:9]
	s_barrier
	s_and_saveexec_b64 s[8:9], s[38:39]
; %bb.313:
	ds_write_b128 v19, v[10:13]
; %bb.314:
	s_or_b64 exec, exec, s[8:9]
	s_waitcnt lgkmcnt(0)
	s_barrier
	s_barrier
	s_and_saveexec_b64 s[8:9], s[2:3]
; %bb.315:
	v_xor_b32_e32 v13, 0x80000000, v13
	v_xor_b32_e32 v11, 0x80000000, v11
	ds_write_b128 v17, v[10:13] offset:8512
; %bb.316:
	s_or_b64 exec, exec, s[8:9]
	s_waitcnt lgkmcnt(0)
	s_barrier
	s_barrier
	s_and_saveexec_b64 s[8:9], vcc
	s_cbranch_execz .LBB91_318
; %bb.317:
	s_mov_b32 s88, 0
	s_mov_b32 s89, 0x3ff00000
	;; [unrolled: 1-line block ×4, first 2 shown]
	v_mov_b32_e32 v10, s88
	v_mov_b32_e32 v29, 0
	;; [unrolled: 1-line block ×5, first 2 shown]
	ds_write_b128 v29, v[10:13] offset:10560
	ds_write_b128 v29, v[10:13] offset:11088
.LBB91_318:
	s_or_b64 exec, exec, s[8:9]
	v_mov_b32_e32 v12, 0
	v_mov_b32_e32 v10, 0
	;; [unrolled: 1-line block ×4, first 2 shown]
	s_waitcnt lgkmcnt(0)
	s_barrier
	s_and_saveexec_b64 s[10:11], s[0:1]
	s_cbranch_execz .LBB91_322
; %bb.319:
	v_mul_u32_u24_e32 v10, 0x210, v16
	ds_read_b128 v[10:13], v10 offset:10560
	ds_read_b128 v[29:32], v14 offset:10592
	v_cmp_gt_u32_e64 s[8:9], 2, v22
	s_waitcnt lgkmcnt(0)
	v_mul_f64 v[33:34], v[12:13], v[31:32]
	v_mul_f64 v[31:32], v[10:11], v[31:32]
	v_fma_f64 v[10:11], v[10:11], v[29:30], -v[33:34]
	v_fma_f64 v[12:13], v[12:13], v[29:30], v[31:32]
	v_add_f64 v[10:11], v[10:11], 0
	v_add_f64 v[12:13], v[12:13], 0
	s_and_saveexec_b64 s[14:15], s[8:9]
	s_cbranch_execz .LBB91_321
; %bb.320:
	v_lshlrev_b32_e32 v33, 4, v0
	v_mov_b32_e32 v29, 0
	ds_read_b128 v[29:32], v29 offset:10576
	ds_read_b128 v[33:36], v33 offset:11104
	s_waitcnt lgkmcnt(0)
	v_mul_f64 v[37:38], v[31:32], v[35:36]
	v_mul_f64 v[35:36], v[29:30], v[35:36]
	v_fma_f64 v[29:30], v[29:30], v[33:34], -v[37:38]
	v_fma_f64 v[31:32], v[31:32], v[33:34], v[35:36]
	v_add_f64 v[10:11], v[10:11], v[29:30]
	v_add_f64 v[12:13], v[12:13], v[31:32]
.LBB91_321:
	s_or_b64 exec, exec, s[14:15]
	v_xor_b32_e32 v11, 0x80000000, v11
	v_xor_b32_e32 v13, 0x80000000, v13
.LBB91_322:
	s_or_b64 exec, exec, s[10:11]
	s_and_saveexec_b64 s[8:9], s[36:37]
; %bb.323:
	ds_write_b128 v15, v[10:13]
; %bb.324:
	s_or_b64 exec, exec, s[8:9]
	s_waitcnt lgkmcnt(0)
	s_barrier
	s_and_saveexec_b64 s[8:9], s[34:35]
	s_cbranch_execz .LBB91_326
; %bb.325:
	v_mov_b32_e32 v33, 0
	ds_read_b128 v[29:32], v15
	ds_read_b128 v[33:36], v33 offset:11632
	s_waitcnt lgkmcnt(0)
	v_mul_f64 v[37:38], v[31:32], v[35:36]
	v_mul_f64 v[35:36], v[29:30], v[35:36]
	v_fma_f64 v[29:30], v[29:30], v[33:34], -v[37:38]
	v_fma_f64 v[31:32], v[31:32], v[33:34], v[35:36]
	v_add_f64 v[10:11], v[10:11], v[29:30]
	v_add_f64 v[12:13], v[12:13], v[31:32]
.LBB91_326:
	s_or_b64 exec, exec, s[8:9]
	s_barrier
	s_and_saveexec_b64 s[8:9], s[34:35]
; %bb.327:
	ds_write_b128 v15, v[10:13]
; %bb.328:
	s_or_b64 exec, exec, s[8:9]
	s_waitcnt lgkmcnt(0)
	s_barrier
	s_barrier
	s_and_saveexec_b64 s[8:9], s[0:1]
; %bb.329:
	v_xor_b32_e32 v11, 0x80000000, v11
	v_xor_b32_e32 v13, 0x80000000, v13
	ds_write_b128 v14, v[10:13] offset:10592
; %bb.330:
	s_or_b64 exec, exec, s[8:9]
	s_waitcnt lgkmcnt(0)
	s_barrier
	s_barrier
	s_and_saveexec_b64 s[8:9], vcc
	s_cbranch_execz .LBB91_332
; %bb.331:
	s_mov_b32 s88, 0
	s_mov_b32 s89, 0x3ff00000
	;; [unrolled: 1-line block ×4, first 2 shown]
	v_mov_b32_e32 v10, s88
	v_mov_b32_e32 v29, 0
	;; [unrolled: 1-line block ×5, first 2 shown]
	ds_write_b128 v29, v[10:13] offset:11616
	ds_write_b128 v29, v[10:13] offset:12144
.LBB91_332:
	s_or_b64 exec, exec, s[8:9]
	v_mov_b32_e32 v12, 0
	v_mov_b32_e32 v10, 0
	;; [unrolled: 1-line block ×4, first 2 shown]
	s_waitcnt lgkmcnt(0)
	s_barrier
	s_and_saveexec_b64 s[10:11], s[12:13]
	s_cbranch_execz .LBB91_342
; %bb.333:
	v_mul_u32_u24_e32 v29, 0x210, v28
	ds_read_b128 v[10:13], v29 offset:8448
	ds_read_b128 v[30:33], v24 offset:8576
	v_cmp_gt_u32_e64 s[8:9], 56, v22
	s_waitcnt lgkmcnt(0)
	v_mul_f64 v[34:35], v[12:13], v[32:33]
	v_mul_f64 v[32:33], v[10:11], v[32:33]
	v_fma_f64 v[10:11], v[10:11], v[30:31], -v[34:35]
	v_fma_f64 v[12:13], v[12:13], v[30:31], v[32:33]
	v_add_f64 v[10:11], v[10:11], 0
	v_add_f64 v[12:13], v[12:13], 0
	s_and_saveexec_b64 s[14:15], s[8:9]
	s_cbranch_execnz .LBB91_505
; %bb.334:
	s_or_b64 exec, exec, s[14:15]
	v_cmp_gt_u32_e64 s[8:9], 48, v22
	s_and_saveexec_b64 s[14:15], s[8:9]
	s_cbranch_execnz .LBB91_506
.LBB91_335:
	s_or_b64 exec, exec, s[14:15]
	v_cmp_gt_u32_e64 s[8:9], 40, v22
	s_and_saveexec_b64 s[14:15], s[8:9]
	s_cbranch_execnz .LBB91_507
.LBB91_336:
	s_or_b64 exec, exec, s[14:15]
	v_cmp_gt_u32_e64 s[8:9], 32, v22
	s_and_saveexec_b64 s[14:15], s[8:9]
	s_cbranch_execnz .LBB91_508
.LBB91_337:
	s_or_b64 exec, exec, s[14:15]
	v_cmp_gt_u32_e64 s[8:9], 24, v22
	s_and_saveexec_b64 s[14:15], s[8:9]
	s_cbranch_execnz .LBB91_509
.LBB91_338:
	s_or_b64 exec, exec, s[14:15]
	v_cmp_gt_u32_e64 s[8:9], 16, v22
	s_and_saveexec_b64 s[14:15], s[8:9]
	s_cbranch_execnz .LBB91_510
.LBB91_339:
	s_or_b64 exec, exec, s[14:15]
	v_cmp_gt_u32_e64 s[8:9], 8, v22
	s_and_saveexec_b64 s[14:15], s[8:9]
	s_cbranch_execz .LBB91_341
.LBB91_340:
	v_lshlrev_b32_e32 v31, 4, v0
	v_mov_b32_e32 v27, 0
	ds_read_b128 v[27:30], v27 offset:8560
	ds_read_b128 v[31:34], v31 offset:12160
	s_waitcnt lgkmcnt(0)
	v_mul_f64 v[35:36], v[29:30], v[33:34]
	v_mul_f64 v[33:34], v[27:28], v[33:34]
	v_fma_f64 v[27:28], v[27:28], v[31:32], -v[35:36]
	v_fma_f64 v[29:30], v[29:30], v[31:32], v[33:34]
	v_add_f64 v[10:11], v[10:11], v[27:28]
	v_add_f64 v[12:13], v[12:13], v[29:30]
.LBB91_341:
	s_or_b64 exec, exec, s[14:15]
	v_xor_b32_e32 v11, 0x80000000, v11
	v_xor_b32_e32 v13, 0x80000000, v13
.LBB91_342:
	s_or_b64 exec, exec, s[10:11]
	s_and_saveexec_b64 s[8:9], s[52:53]
; %bb.343:
	ds_write_b128 v26, v[10:13]
; %bb.344:
	s_or_b64 exec, exec, s[8:9]
	s_waitcnt lgkmcnt(0)
	s_barrier
	s_and_saveexec_b64 s[8:9], s[54:55]
	s_cbranch_execz .LBB91_346
; %bb.345:
	ds_read_b128 v[27:30], v26
	ds_read_b128 v[31:34], v25 offset:12672
	s_waitcnt lgkmcnt(0)
	v_mul_f64 v[35:36], v[29:30], v[33:34]
	v_mul_f64 v[33:34], v[27:28], v[33:34]
	v_fma_f64 v[27:28], v[27:28], v[31:32], -v[35:36]
	v_fma_f64 v[29:30], v[29:30], v[31:32], v[33:34]
	v_add_f64 v[10:11], v[10:11], v[27:28]
	v_add_f64 v[12:13], v[12:13], v[29:30]
.LBB91_346:
	s_or_b64 exec, exec, s[8:9]
	s_barrier
	s_and_saveexec_b64 s[8:9], s[56:57]
; %bb.347:
	ds_write_b128 v26, v[10:13]
; %bb.348:
	s_or_b64 exec, exec, s[8:9]
	s_waitcnt lgkmcnt(0)
	s_barrier
	s_and_saveexec_b64 s[8:9], s[58:59]
	s_cbranch_execz .LBB91_350
; %bb.349:
	ds_read_b128 v[27:30], v26
	ds_read_b128 v[31:34], v25 offset:13184
	s_waitcnt lgkmcnt(0)
	v_mul_f64 v[35:36], v[29:30], v[33:34]
	v_mul_f64 v[33:34], v[27:28], v[33:34]
	v_fma_f64 v[27:28], v[27:28], v[31:32], -v[35:36]
	v_fma_f64 v[29:30], v[29:30], v[31:32], v[33:34]
	v_add_f64 v[10:11], v[10:11], v[27:28]
	v_add_f64 v[12:13], v[12:13], v[29:30]
.LBB91_350:
	s_or_b64 exec, exec, s[8:9]
	s_barrier
	;; [unrolled: 22-line block ×6, first 2 shown]
	s_and_saveexec_b64 s[8:9], s[76:77]
; %bb.367:
	ds_write_b128 v26, v[10:13]
; %bb.368:
	s_or_b64 exec, exec, s[8:9]
	s_waitcnt lgkmcnt(0)
	s_barrier
	s_and_saveexec_b64 s[8:9], s[50:51]
	s_cbranch_execz .LBB91_370
; %bb.369:
	v_mov_b32_e32 v25, 0
	ds_read_b128 v[27:30], v26
	ds_read_b128 v[31:34], v25 offset:15856
	s_waitcnt lgkmcnt(0)
	v_mul_f64 v[35:36], v[29:30], v[33:34]
	v_mul_f64 v[33:34], v[27:28], v[33:34]
	v_fma_f64 v[27:28], v[27:28], v[31:32], -v[35:36]
	v_fma_f64 v[29:30], v[29:30], v[31:32], v[33:34]
	v_add_f64 v[10:11], v[10:11], v[27:28]
	v_add_f64 v[12:13], v[12:13], v[29:30]
.LBB91_370:
	s_or_b64 exec, exec, s[8:9]
	s_barrier
	s_and_saveexec_b64 s[8:9], s[50:51]
; %bb.371:
	ds_write_b128 v26, v[10:13]
; %bb.372:
	s_or_b64 exec, exec, s[8:9]
	s_waitcnt lgkmcnt(0)
	s_barrier
	s_barrier
	s_and_saveexec_b64 s[8:9], s[12:13]
; %bb.373:
	v_xor_b32_e32 v11, 0x80000000, v11
	v_xor_b32_e32 v13, 0x80000000, v13
	ds_write_b128 v24, v[10:13] offset:8576
; %bb.374:
	s_or_b64 exec, exec, s[8:9]
	s_waitcnt lgkmcnt(0)
	s_barrier
	s_barrier
	s_and_saveexec_b64 s[8:9], vcc
	s_cbranch_execz .LBB91_376
; %bb.375:
	s_mov_b32 s12, 0
	s_mov_b32 s13, 0x3ff00000
	;; [unrolled: 1-line block ×4, first 2 shown]
	v_mov_b32_e32 v10, s12
	v_mov_b32_e32 v24, 0
	;; [unrolled: 1-line block ×5, first 2 shown]
	ds_write_b128 v24, v[10:13] offset:12672
	ds_write_b128 v24, v[10:13] offset:13200
.LBB91_376:
	s_or_b64 exec, exec, s[8:9]
	v_mov_b32_e32 v12, 0
	v_mov_b32_e32 v10, 0
	v_mov_b32_e32 v13, 0
	v_mov_b32_e32 v11, 0
	s_waitcnt lgkmcnt(0)
	s_barrier
	s_and_saveexec_b64 s[10:11], s[0:1]
	s_cbranch_execz .LBB91_380
; %bb.377:
	v_mul_u32_u24_e32 v10, 0x210, v16
	ds_read_b128 v[10:13], v10 offset:12672
	ds_read_b128 v[24:27], v14 offset:12704
	v_cmp_gt_u32_e64 s[8:9], 2, v22
	s_waitcnt lgkmcnt(0)
	v_mul_f64 v[28:29], v[12:13], v[26:27]
	v_mul_f64 v[26:27], v[10:11], v[26:27]
	v_fma_f64 v[10:11], v[10:11], v[24:25], -v[28:29]
	v_fma_f64 v[12:13], v[12:13], v[24:25], v[26:27]
	v_add_f64 v[10:11], v[10:11], 0
	v_add_f64 v[12:13], v[12:13], 0
	s_and_saveexec_b64 s[12:13], s[8:9]
	s_cbranch_execz .LBB91_379
; %bb.378:
	v_lshlrev_b32_e32 v28, 4, v0
	v_mov_b32_e32 v24, 0
	ds_read_b128 v[24:27], v24 offset:12688
	ds_read_b128 v[28:31], v28 offset:13216
	s_waitcnt lgkmcnt(0)
	v_mul_f64 v[32:33], v[26:27], v[30:31]
	v_mul_f64 v[30:31], v[24:25], v[30:31]
	v_fma_f64 v[24:25], v[24:25], v[28:29], -v[32:33]
	v_fma_f64 v[26:27], v[26:27], v[28:29], v[30:31]
	v_add_f64 v[10:11], v[10:11], v[24:25]
	v_add_f64 v[12:13], v[12:13], v[26:27]
.LBB91_379:
	s_or_b64 exec, exec, s[12:13]
	v_xor_b32_e32 v11, 0x80000000, v11
	v_xor_b32_e32 v13, 0x80000000, v13
.LBB91_380:
	s_or_b64 exec, exec, s[10:11]
	s_and_saveexec_b64 s[8:9], s[36:37]
; %bb.381:
	ds_write_b128 v15, v[10:13]
; %bb.382:
	s_or_b64 exec, exec, s[8:9]
	s_waitcnt lgkmcnt(0)
	s_barrier
	s_and_saveexec_b64 s[8:9], s[34:35]
	s_cbranch_execz .LBB91_384
; %bb.383:
	v_mov_b32_e32 v28, 0
	ds_read_b128 v[24:27], v15
	ds_read_b128 v[28:31], v28 offset:13744
	s_waitcnt lgkmcnt(0)
	v_mul_f64 v[32:33], v[26:27], v[30:31]
	v_mul_f64 v[30:31], v[24:25], v[30:31]
	v_fma_f64 v[24:25], v[24:25], v[28:29], -v[32:33]
	v_fma_f64 v[26:27], v[26:27], v[28:29], v[30:31]
	v_add_f64 v[10:11], v[10:11], v[24:25]
	v_add_f64 v[12:13], v[12:13], v[26:27]
.LBB91_384:
	s_or_b64 exec, exec, s[8:9]
	s_barrier
	s_and_saveexec_b64 s[8:9], s[34:35]
; %bb.385:
	ds_write_b128 v15, v[10:13]
; %bb.386:
	s_or_b64 exec, exec, s[8:9]
	s_waitcnt lgkmcnt(0)
	s_barrier
	s_barrier
	s_and_saveexec_b64 s[8:9], s[0:1]
; %bb.387:
	v_xor_b32_e32 v11, 0x80000000, v11
	v_xor_b32_e32 v13, 0x80000000, v13
	ds_write_b128 v14, v[10:13] offset:12704
; %bb.388:
	s_or_b64 exec, exec, s[8:9]
	s_waitcnt lgkmcnt(0)
	s_barrier
	s_barrier
	s_and_saveexec_b64 s[8:9], vcc
	s_cbranch_execz .LBB91_390
; %bb.389:
	s_mov_b32 s12, 0
	s_mov_b32 s13, 0x3ff00000
	;; [unrolled: 1-line block ×4, first 2 shown]
	v_mov_b32_e32 v10, s12
	v_mov_b32_e32 v24, 0
	;; [unrolled: 1-line block ×5, first 2 shown]
	ds_write_b128 v24, v[10:13] offset:13728
	ds_write_b128 v24, v[10:13] offset:14256
.LBB91_390:
	s_or_b64 exec, exec, s[8:9]
	v_mov_b32_e32 v12, 0
	v_mov_b32_e32 v10, 0
	v_mov_b32_e32 v13, 0
	v_mov_b32_e32 v11, 0
	s_waitcnt lgkmcnt(0)
	s_barrier
	s_and_saveexec_b64 s[10:11], s[2:3]
	s_cbranch_execz .LBB91_396
; %bb.391:
	v_mul_u32_u24_e32 v24, 0x210, v23
	ds_read_b128 v[10:13], v24 offset:12672
	ds_read_b128 v[25:28], v17 offset:12736
	v_cmp_gt_u32_e64 s[8:9], 12, v22
	s_waitcnt lgkmcnt(0)
	v_mul_f64 v[29:30], v[12:13], v[27:28]
	v_mul_f64 v[27:28], v[10:11], v[27:28]
	v_fma_f64 v[10:11], v[10:11], v[25:26], -v[29:30]
	v_fma_f64 v[12:13], v[12:13], v[25:26], v[27:28]
	v_add_f64 v[10:11], v[10:11], 0
	v_add_f64 v[12:13], v[12:13], 0
	s_and_saveexec_b64 s[12:13], s[8:9]
	s_cbranch_execnz .LBB91_511
; %bb.392:
	s_or_b64 exec, exec, s[12:13]
	v_cmp_gt_u32_e64 s[8:9], 8, v22
	s_and_saveexec_b64 s[12:13], s[8:9]
	s_cbranch_execnz .LBB91_512
.LBB91_393:
	s_or_b64 exec, exec, s[12:13]
	v_cmp_gt_u32_e64 s[8:9], 4, v22
	s_and_saveexec_b64 s[12:13], s[8:9]
	s_cbranch_execz .LBB91_395
.LBB91_394:
	v_mov_b32_e32 v23, 0
	v_lshlrev_b32_e32 v20, 4, v0
	ds_read_b128 v[23:26], v23 offset:12720
	ds_read_b128 v[27:30], v20 offset:14272
	s_waitcnt lgkmcnt(0)
	v_mul_f64 v[31:32], v[25:26], v[29:30]
	v_mul_f64 v[29:30], v[23:24], v[29:30]
	v_fma_f64 v[23:24], v[23:24], v[27:28], -v[31:32]
	v_fma_f64 v[25:26], v[25:26], v[27:28], v[29:30]
	v_add_f64 v[10:11], v[10:11], v[23:24]
	v_add_f64 v[12:13], v[12:13], v[25:26]
.LBB91_395:
	s_or_b64 exec, exec, s[12:13]
	v_xor_b32_e32 v11, 0x80000000, v11
	v_xor_b32_e32 v13, 0x80000000, v13
.LBB91_396:
	s_or_b64 exec, exec, s[10:11]
	s_and_saveexec_b64 s[8:9], s[40:41]
; %bb.397:
	ds_write_b128 v19, v[10:13]
; %bb.398:
	s_or_b64 exec, exec, s[8:9]
	s_waitcnt lgkmcnt(0)
	s_barrier
	s_and_saveexec_b64 s[8:9], s[42:43]
	s_cbranch_execz .LBB91_400
; %bb.399:
	ds_read_b128 v[23:26], v19
	ds_read_b128 v[27:30], v18 offset:14784
	s_waitcnt lgkmcnt(0)
	v_mul_f64 v[31:32], v[25:26], v[29:30]
	v_mul_f64 v[29:30], v[23:24], v[29:30]
	v_fma_f64 v[23:24], v[23:24], v[27:28], -v[31:32]
	v_fma_f64 v[25:26], v[25:26], v[27:28], v[29:30]
	v_add_f64 v[10:11], v[10:11], v[23:24]
	v_add_f64 v[12:13], v[12:13], v[25:26]
.LBB91_400:
	s_or_b64 exec, exec, s[8:9]
	s_barrier
	s_and_saveexec_b64 s[8:9], s[44:45]
; %bb.401:
	ds_write_b128 v19, v[10:13]
; %bb.402:
	s_or_b64 exec, exec, s[8:9]
	s_waitcnt lgkmcnt(0)
	s_barrier
	s_and_saveexec_b64 s[8:9], s[46:47]
	s_cbranch_execz .LBB91_404
; %bb.403:
	ds_read_b128 v[23:26], v19
	ds_read_b128 v[27:30], v18 offset:15296
	s_waitcnt lgkmcnt(0)
	v_mul_f64 v[31:32], v[25:26], v[29:30]
	v_mul_f64 v[29:30], v[23:24], v[29:30]
	v_fma_f64 v[23:24], v[23:24], v[27:28], -v[31:32]
	v_fma_f64 v[25:26], v[25:26], v[27:28], v[29:30]
	v_add_f64 v[10:11], v[10:11], v[23:24]
	v_add_f64 v[12:13], v[12:13], v[25:26]
.LBB91_404:
	s_or_b64 exec, exec, s[8:9]
	s_barrier
	s_and_saveexec_b64 s[8:9], s[48:49]
; %bb.405:
	ds_write_b128 v19, v[10:13]
; %bb.406:
	s_or_b64 exec, exec, s[8:9]
	s_waitcnt lgkmcnt(0)
	s_barrier
	s_and_saveexec_b64 s[8:9], s[38:39]
	s_cbranch_execz .LBB91_408
; %bb.407:
	v_mov_b32_e32 v18, 0
	ds_read_b128 v[23:26], v19
	ds_read_b128 v[27:30], v18 offset:15856
	s_waitcnt lgkmcnt(0)
	v_mul_f64 v[31:32], v[25:26], v[29:30]
	v_mul_f64 v[29:30], v[23:24], v[29:30]
	v_fma_f64 v[23:24], v[23:24], v[27:28], -v[31:32]
	v_fma_f64 v[25:26], v[25:26], v[27:28], v[29:30]
	v_add_f64 v[10:11], v[10:11], v[23:24]
	v_add_f64 v[12:13], v[12:13], v[25:26]
.LBB91_408:
	s_or_b64 exec, exec, s[8:9]
	s_barrier
	s_and_saveexec_b64 s[8:9], s[38:39]
; %bb.409:
	ds_write_b128 v19, v[10:13]
; %bb.410:
	s_or_b64 exec, exec, s[8:9]
	s_waitcnt lgkmcnt(0)
	s_barrier
	s_barrier
	s_and_saveexec_b64 s[8:9], s[2:3]
; %bb.411:
	v_xor_b32_e32 v13, 0x80000000, v13
	v_xor_b32_e32 v11, 0x80000000, v11
	ds_write_b128 v17, v[10:13] offset:12736
; %bb.412:
	s_or_b64 exec, exec, s[8:9]
	s_waitcnt lgkmcnt(0)
	s_barrier
	s_barrier
	s_and_saveexec_b64 s[2:3], vcc
	s_cbranch_execz .LBB91_414
; %bb.413:
	s_mov_b32 s8, 0
	s_mov_b32 s11, s8
	;; [unrolled: 1-line block ×4, first 2 shown]
	v_mov_b32_e32 v13, s11
	v_mov_b32_e32 v17, 0
	;; [unrolled: 1-line block ×5, first 2 shown]
	ds_write_b128 v17, v[10:13] offset:14784
	ds_write_b128 v17, v[10:13] offset:15312
.LBB91_414:
	s_or_b64 exec, exec, s[2:3]
	v_mov_b32_e32 v12, 0
	v_mov_b32_e32 v10, 0
	;; [unrolled: 1-line block ×4, first 2 shown]
	s_waitcnt lgkmcnt(0)
	s_barrier
	s_and_saveexec_b64 s[8:9], s[0:1]
	s_cbranch_execz .LBB91_418
; %bb.415:
	v_mul_u32_u24_e32 v10, 0x210, v16
	ds_read_b128 v[10:13], v10 offset:14784
	ds_read_b128 v[16:19], v14 offset:14816
	v_cmp_gt_u32_e64 s[2:3], 2, v22
	s_waitcnt lgkmcnt(0)
	v_mul_f64 v[23:24], v[12:13], v[18:19]
	v_mul_f64 v[18:19], v[10:11], v[18:19]
	v_fma_f64 v[10:11], v[10:11], v[16:17], -v[23:24]
	v_fma_f64 v[12:13], v[12:13], v[16:17], v[18:19]
	v_add_f64 v[10:11], v[10:11], 0
	v_add_f64 v[12:13], v[12:13], 0
	s_and_saveexec_b64 s[10:11], s[2:3]
	s_cbranch_execz .LBB91_417
; %bb.416:
	v_mov_b32_e32 v16, 0
	v_lshlrev_b32_e32 v20, 4, v0
	ds_read_b128 v[16:19], v16 offset:14800
	ds_read_b128 v[23:26], v20 offset:15328
	s_waitcnt lgkmcnt(0)
	v_mul_f64 v[27:28], v[18:19], v[25:26]
	v_mul_f64 v[25:26], v[16:17], v[25:26]
	v_fma_f64 v[16:17], v[16:17], v[23:24], -v[27:28]
	v_fma_f64 v[18:19], v[18:19], v[23:24], v[25:26]
	v_add_f64 v[10:11], v[10:11], v[16:17]
	v_add_f64 v[12:13], v[12:13], v[18:19]
.LBB91_417:
	s_or_b64 exec, exec, s[10:11]
	v_xor_b32_e32 v11, 0x80000000, v11
	v_xor_b32_e32 v13, 0x80000000, v13
.LBB91_418:
	s_or_b64 exec, exec, s[8:9]
	s_and_saveexec_b64 s[2:3], s[36:37]
; %bb.419:
	ds_write_b128 v15, v[10:13]
; %bb.420:
	s_or_b64 exec, exec, s[2:3]
	s_waitcnt lgkmcnt(0)
	s_barrier
	s_and_saveexec_b64 s[2:3], s[34:35]
	s_cbranch_execz .LBB91_422
; %bb.421:
	v_mov_b32_e32 v20, 0
	ds_read_b128 v[16:19], v15
	ds_read_b128 v[23:26], v20 offset:15856
	s_waitcnt lgkmcnt(0)
	v_mul_f64 v[27:28], v[18:19], v[25:26]
	v_mul_f64 v[25:26], v[16:17], v[25:26]
	v_fma_f64 v[16:17], v[16:17], v[23:24], -v[27:28]
	v_fma_f64 v[18:19], v[18:19], v[23:24], v[25:26]
	v_add_f64 v[10:11], v[10:11], v[16:17]
	v_add_f64 v[12:13], v[12:13], v[18:19]
.LBB91_422:
	s_or_b64 exec, exec, s[2:3]
	s_barrier
	s_and_saveexec_b64 s[2:3], s[34:35]
; %bb.423:
	ds_write_b128 v15, v[10:13]
; %bb.424:
	s_or_b64 exec, exec, s[2:3]
	s_waitcnt lgkmcnt(0)
	s_barrier
	s_barrier
	s_and_saveexec_b64 s[2:3], s[0:1]
; %bb.425:
	v_xor_b32_e32 v11, 0x80000000, v11
	v_xor_b32_e32 v13, 0x80000000, v13
	ds_write_b128 v14, v[10:13] offset:14816
; %bb.426:
	s_or_b64 exec, exec, s[2:3]
	s_waitcnt lgkmcnt(0)
	s_barrier
	s_barrier
	s_and_saveexec_b64 s[0:1], vcc
	s_cbranch_execz .LBB91_428
; %bb.427:
	s_mov_b32 s8, 0
	s_mov_b32 s11, s8
	;; [unrolled: 1-line block ×4, first 2 shown]
	v_mov_b32_e32 v13, s11
	v_mov_b32_e32 v14, 0
	;; [unrolled: 1-line block ×5, first 2 shown]
	ds_write_b128 v14, v[10:13] offset:15840
	ds_write_b128 v14, v[10:13] offset:16368
.LBB91_428:
	s_or_b64 exec, exec, s[0:1]
.LBB91_429:
	s_load_dwordx4 s[12:15], s[4:5], 0x48
	s_load_dwordx2 s[34:35], s[4:5], 0x58
	v_cmp_le_i32_e32 vcc, s7, v0
	v_mov_b32_e32 v10, 0
	v_mov_b32_e32 v11, 0
	s_waitcnt lgkmcnt(0)
	s_mul_i32 s1, s15, s28
	s_mul_hi_u32 s2, s14, s28
	s_mul_i32 s0, s14, s28
	s_add_i32 s1, s2, s1
	s_lshl_b64 s[0:1], s[0:1], 4
	s_add_u32 s2, s24, s0
	s_addc_u32 s3, s25, s1
	s_lshl_b64 s[0:1], s[26:27], 4
	s_add_u32 s26, s2, s0
	s_addc_u32 s27, s3, s1
	s_and_b64 s[14:15], vcc, s[18:19]
	v_cmp_eq_u32_e64 s[0:1], 0, v1
	s_xor_b64 s[2:3], s[14:15], -1
	v_mov_b32_e32 v13, v11
	s_and_b64 s[4:5], s[0:1], s[2:3]
	v_lshl_add_u32 v15, s6, 5, v0
	v_mov_b32_e32 v12, v10
	s_barrier
	s_and_saveexec_b64 s[2:3], s[4:5]
	s_cbranch_execz .LBB91_431
; %bb.430:
	v_ashrrev_i32_e32 v12, 31, v15
	v_mul_lo_u32 v13, s13, v15
	v_mad_u64_u32 v[10:11], s[4:5], s12, v15, 0
	v_mul_lo_u32 v12, s12, v12
	v_add3_u32 v11, v11, v12, v13
	v_lshlrev_b64 v[10:11], 4, v[10:11]
	v_mov_b32_e32 v12, s27
	v_add_co_u32_e32 v10, vcc, s26, v10
	v_addc_co_u32_e32 v11, vcc, v12, v11, vcc
	global_load_dwordx4 v[16:19], v[10:11], off
	s_waitcnt vmcnt(0)
	v_mul_f64 v[10:11], s[20:21], v[16:17]
	v_mul_f64 v[12:13], s[20:21], v[18:19]
	v_fma_f64 v[10:11], s[22:23], v[18:19], -v[10:11]
	v_fma_f64 v[12:13], v[16:17], -s[22:23], -v[12:13]
.LBB91_431:
	s_or_b64 exec, exec, s[2:3]
	s_and_b32 s2, 0xffff, s84
	v_mad_u32_u24 v23, v1, s2, v0
	v_mov_b32_e32 v14, 0
	s_cmp_lt_i32 s6, 1
	v_cmp_eq_u32_e64 s[2:3], 0, v23
	s_cbranch_scc1 .LBB91_454
; %bb.432:
	v_mov_b32_e32 v16, v14
	v_cmp_gt_i32_e64 s[10:11], s33, v15
	v_lshlrev_b64 v[15:16], 4, v[15:16]
	s_lshl_b64 s[4:5], s[28:29], 2
	v_mov_b32_e32 v17, 0x6000
	s_add_u32 s20, s34, s4
	v_lshl_add_u32 v24, v23, 4, v17
	v_lshl_or_b32 v25, v1, 4, v17
	v_mov_b32_e32 v17, s83
	v_add_co_u32_e32 v26, vcc, s82, v15
	s_mov_b32 s36, 0
	s_addc_u32 s21, s35, s5
	v_cmp_gt_u32_e64 s[4:5], 32, v23
	s_add_i32 s37, s6, -1
	v_addc_co_u32_e32 v27, vcc, v17, v16, vcc
	s_lshl_b64 s[22:23], s[16:17], 8
	v_mov_b32_e32 v28, -1
	s_branch .LBB91_435
.LBB91_433:                             ;   in Loop: Header=BB91_435 Depth=1
	ds_read_b128 v[29:32], v25 offset:256
	s_waitcnt vmcnt(0) lgkmcnt(0)
	v_mul_f64 v[17:18], v[19:20], v[31:32]
	v_mul_f64 v[31:32], v[15:16], v[31:32]
	v_fma_f64 v[15:16], v[15:16], v[29:30], -v[17:18]
	v_fma_f64 v[17:18], v[19:20], v[29:30], v[31:32]
	v_add_f64 v[10:11], v[10:11], v[15:16]
	v_add_f64 v[12:13], v[12:13], v[17:18]
.LBB91_434:                             ;   in Loop: Header=BB91_435 Depth=1
	s_or_b64 exec, exec, s[24:25]
	s_add_i32 s36, s36, 1
	s_cmp_eq_u32 s36, s6
	s_cbranch_scc1 .LBB91_454
.LBB91_435:                             ; =>This Loop Header: Depth=1
                                        ;     Child Loop BB91_437 Depth 2
	v_cmp_gt_i32_e32 vcc, s36, v28
	s_and_b64 s[24:25], s[2:3], vcc
	s_and_saveexec_b64 s[8:9], s[24:25]
	s_cbranch_execz .LBB91_438
; %bb.436:                              ;   in Loop: Header=BB91_435 Depth=1
	global_load_dword v28, v14, s[20:21]
	s_waitcnt vmcnt(0)
	v_cmp_le_i32_e32 vcc, s36, v28
	s_cbranch_vccnz .LBB91_438
.LBB91_437:                             ;   Parent Loop BB91_435 Depth=1
                                        ; =>  This Inner Loop Header: Depth=2
	buffer_wbinvl1_vol
	global_load_dword v28, v14, s[20:21]
	s_waitcnt vmcnt(0)
	v_cmp_gt_i32_e32 vcc, s36, v28
	s_cbranch_vccnz .LBB91_437
.LBB91_438:                             ;   in Loop: Header=BB91_435 Depth=1
	s_or_b64 exec, exec, s[8:9]
	s_lshl_b32 s38, s36, 5
	buffer_wbinvl1_vol
	s_barrier
	s_and_saveexec_b64 s[8:9], s[4:5]
	s_cbranch_execz .LBB91_443
; %bb.439:                              ;   in Loop: Header=BB91_435 Depth=1
	v_or_b32_e32 v15, s38, v23
	v_cmp_le_i32_e32 vcc, s33, v15
	s_and_saveexec_b64 s[24:25], vcc
	s_xor_b64 s[24:25], exec, s[24:25]
; %bb.440:                              ;   in Loop: Header=BB91_435 Depth=1
	v_mov_b32_e32 v15, v14
	v_mov_b32_e32 v16, v14
	;; [unrolled: 1-line block ×3, first 2 shown]
	ds_write_b128 v24, v[14:17]
                                        ; implicit-def: $vgpr15
; %bb.441:                              ;   in Loop: Header=BB91_435 Depth=1
	s_andn2_saveexec_b64 s[24:25], s[24:25]
	s_cbranch_execz .LBB91_443
; %bb.442:                              ;   in Loop: Header=BB91_435 Depth=1
	v_mad_u64_u32 v[16:17], s[24:25], s12, v15, 0
	v_mad_u64_u32 v[17:18], s[24:25], s13, v15, v[17:18]
	v_mov_b32_e32 v18, s27
	v_lshlrev_b64 v[15:16], 4, v[16:17]
	v_add_co_u32_e32 v15, vcc, s26, v15
	v_addc_co_u32_e32 v16, vcc, v18, v16, vcc
	global_load_dwordx4 v[15:18], v[15:16], off
	s_waitcnt vmcnt(0)
	ds_write2_b64 v24, v[15:16], v[17:18] offset1:1
.LBB91_443:                             ;   in Loop: Header=BB91_435 Depth=1
	s_or_b64 exec, exec, s[8:9]
	v_add_u32_e32 v29, s38, v1
	v_mad_u64_u32 v[15:16], s[8:9], s16, v29, 0
	s_cmp_lg_u32 s36, s37
	s_waitcnt lgkmcnt(0)
	v_mad_u64_u32 v[16:17], s[8:9], s17, v29, v[16:17]
	s_cselect_b64 s[8:9], -1, 0
	v_cndmask_b32_e64 v17, 0, 1, s[8:9]
	v_lshlrev_b64 v[15:16], 4, v[15:16]
	v_cmp_ne_u32_e64 s[8:9], 1, v17
	v_add_co_u32_e32 v15, vcc, v26, v15
	v_addc_co_u32_e32 v16, vcc, v27, v16, vcc
	v_cmp_gt_i32_e32 vcc, s33, v29
	s_and_b64 s[38:39], s[10:11], vcc
	s_barrier
	s_and_saveexec_b64 s[24:25], s[38:39]
	s_cbranch_execz .LBB91_449
; %bb.444:                              ;   in Loop: Header=BB91_435 Depth=1
	v_mov_b32_e32 v18, v3
	s_and_b64 vcc, exec, s[8:9]
	v_mov_b32_e32 v17, v2
	s_cbranch_vccnz .LBB91_446
; %bb.445:                              ;   in Loop: Header=BB91_435 Depth=1
	global_load_dwordx2 v[17:18], v[15:16], off
.LBB91_446:                             ;   in Loop: Header=BB91_435 Depth=1
	v_mov_b32_e32 v20, v5
	s_and_b64 vcc, exec, s[8:9]
	v_mov_b32_e32 v19, v4
	s_cbranch_vccnz .LBB91_448
; %bb.447:                              ;   in Loop: Header=BB91_435 Depth=1
	global_load_dwordx2 v[19:20], v[15:16], off offset:8
.LBB91_448:                             ;   in Loop: Header=BB91_435 Depth=1
	ds_read_b128 v[30:33], v25
	s_waitcnt vmcnt(0) lgkmcnt(0)
	v_mul_f64 v[34:35], v[19:20], v[32:33]
	v_mul_f64 v[32:33], v[17:18], v[32:33]
	v_fma_f64 v[17:18], v[17:18], v[30:31], -v[34:35]
	v_fma_f64 v[19:20], v[19:20], v[30:31], v[32:33]
	v_add_f64 v[10:11], v[10:11], v[17:18]
	v_add_f64 v[12:13], v[12:13], v[19:20]
.LBB91_449:                             ;   in Loop: Header=BB91_435 Depth=1
	s_or_b64 exec, exec, s[24:25]
	v_add_u32_e32 v17, 16, v29
	v_cmp_gt_i32_e32 vcc, s33, v17
	s_and_b64 s[38:39], s[10:11], vcc
	s_and_saveexec_b64 s[24:25], s[38:39]
	s_cbranch_execz .LBB91_434
; %bb.450:                              ;   in Loop: Header=BB91_435 Depth=1
	v_mov_b32_e32 v18, s23
	v_add_co_u32_e32 v17, vcc, s22, v15
	v_addc_co_u32_e32 v18, vcc, v16, v18, vcc
	v_mov_b32_e32 v16, v7
	s_and_b64 vcc, exec, s[8:9]
	v_mov_b32_e32 v15, v6
	s_cbranch_vccnz .LBB91_452
; %bb.451:                              ;   in Loop: Header=BB91_435 Depth=1
	global_load_dwordx2 v[15:16], v[17:18], off
.LBB91_452:                             ;   in Loop: Header=BB91_435 Depth=1
	v_mov_b32_e32 v20, v9
	s_and_b64 vcc, exec, s[8:9]
	v_mov_b32_e32 v19, v8
	s_cbranch_vccnz .LBB91_433
; %bb.453:                              ;   in Loop: Header=BB91_435 Depth=1
	global_load_dwordx2 v[19:20], v[17:18], off offset:8
	s_branch .LBB91_433
.LBB91_454:
	s_xor_b64 s[2:3], s[18:19], -1
	s_xor_b64 s[4:5], s[30:31], -1
	v_lshlrev_b32_e32 v6, 4, v22
	ds_write_b128 v6, v[10:13] offset:16384
	s_waitcnt lgkmcnt(0)
	s_barrier
	s_and_saveexec_b64 s[8:9], s[0:1]
	s_cbranch_execz .LBB91_456
; %bb.455:
	v_lshlrev_b32_e32 v18, 4, v0
	ds_read_b128 v[2:5], v18 offset:16896
	ds_read_b128 v[14:17], v18 offset:17408
	s_waitcnt lgkmcnt(1)
	v_add_f64 v[2:3], v[10:11], v[2:3]
	v_add_f64 v[4:5], v[12:13], v[4:5]
	s_waitcnt lgkmcnt(0)
	v_add_f64 v[11:12], v[2:3], v[14:15]
	v_add_f64 v[13:14], v[4:5], v[16:17]
	ds_read_b128 v[2:5], v18 offset:17920
	ds_read_b128 v[7:10], v18 offset:18432
	s_waitcnt lgkmcnt(1)
	v_add_f64 v[2:3], v[11:12], v[2:3]
	v_add_f64 v[4:5], v[13:14], v[4:5]
	s_waitcnt lgkmcnt(0)
	v_add_f64 v[11:12], v[2:3], v[7:8]
	v_add_f64 v[13:14], v[4:5], v[9:10]
	ds_read_b128 v[2:5], v18 offset:18944
	ds_read_b128 v[7:10], v18 offset:19456
	s_waitcnt lgkmcnt(1)
	v_add_f64 v[2:3], v[11:12], v[2:3]
	v_add_f64 v[4:5], v[13:14], v[4:5]
	s_waitcnt lgkmcnt(0)
	v_add_f64 v[11:12], v[2:3], v[7:8]
	v_add_f64 v[13:14], v[4:5], v[9:10]
	ds_read_b128 v[2:5], v18 offset:19968
	ds_read_b128 v[7:10], v18 offset:20480
	s_waitcnt lgkmcnt(1)
	v_add_f64 v[2:3], v[11:12], v[2:3]
	v_add_f64 v[4:5], v[13:14], v[4:5]
	s_waitcnt lgkmcnt(0)
	v_add_f64 v[11:12], v[2:3], v[7:8]
	v_add_f64 v[13:14], v[4:5], v[9:10]
	ds_read_b128 v[2:5], v18 offset:20992
	ds_read_b128 v[7:10], v18 offset:21504
	s_waitcnt lgkmcnt(1)
	v_add_f64 v[2:3], v[11:12], v[2:3]
	v_add_f64 v[4:5], v[13:14], v[4:5]
	s_waitcnt lgkmcnt(0)
	v_add_f64 v[11:12], v[2:3], v[7:8]
	v_add_f64 v[13:14], v[4:5], v[9:10]
	ds_read_b128 v[2:5], v18 offset:22016
	ds_read_b128 v[7:10], v18 offset:22528
	s_waitcnt lgkmcnt(1)
	v_add_f64 v[2:3], v[11:12], v[2:3]
	v_add_f64 v[4:5], v[13:14], v[4:5]
	s_waitcnt lgkmcnt(0)
	v_add_f64 v[11:12], v[2:3], v[7:8]
	v_add_f64 v[13:14], v[4:5], v[9:10]
	ds_read_b128 v[2:5], v18 offset:23040
	ds_read_b128 v[7:10], v18 offset:23552
	s_waitcnt lgkmcnt(1)
	v_add_f64 v[2:3], v[11:12], v[2:3]
	v_add_f64 v[4:5], v[13:14], v[4:5]
	s_waitcnt lgkmcnt(0)
	v_add_f64 v[7:8], v[2:3], v[7:8]
	v_add_f64 v[9:10], v[4:5], v[9:10]
	ds_read_b128 v[2:5], v18 offset:24064
	s_waitcnt lgkmcnt(0)
	v_add_f64 v[2:3], v[7:8], v[2:3]
	v_add_f64 v[4:5], v[9:10], v[4:5]
	v_xor_b32_e32 v3, 0x80000000, v3
	v_xor_b32_e32 v5, 0x80000000, v5
	v_cndmask_b32_e64 v10, v2, 0, s[14:15]
	v_cndmask_b32_e64 v11, v3, 0, s[14:15]
	;; [unrolled: 1-line block ×4, first 2 shown]
.LBB91_456:
	s_or_b64 exec, exec, s[8:9]
	s_andn2_b64 vcc, exec, s[4:5]
	s_cbranch_vccnz .LBB91_465
; %bb.457:
	v_mov_b32_e32 v2, 0x6000
	v_lshl_or_b32 v7, v1, 4, v2
	s_and_saveexec_b64 s[4:5], s[0:1]
; %bb.458:
	v_lshl_add_u32 v2, v0, 4, v7
	ds_write_b128 v2, v[10:13]
; %bb.459:
	s_or_b64 exec, exec, s[4:5]
	v_mov_b32_e32 v2, 0
	v_mov_b32_e32 v4, 0
	v_mov_b32_e32 v3, 0
	v_mov_b32_e32 v5, 0
	v_cmp_ge_u32_e32 vcc, v0, v1
	s_waitcnt lgkmcnt(0)
	s_barrier
	s_and_saveexec_b64 s[4:5], vcc
	s_cbranch_execz .LBB91_461
; %bb.460:
	ds_read_b128 v[2:5], v7
	ds_read_b128 v[14:17], v6
	s_waitcnt lgkmcnt(0)
	v_mul_f64 v[8:9], v[4:5], v[16:17]
	v_mul_f64 v[16:17], v[2:3], v[16:17]
	v_fma_f64 v[2:3], v[2:3], v[14:15], -v[8:9]
	v_fma_f64 v[4:5], v[4:5], v[14:15], v[16:17]
	v_add_f64 v[2:3], v[2:3], 0
	v_add_f64 v[4:5], v[4:5], 0
.LBB91_461:
	s_or_b64 exec, exec, s[4:5]
	v_add_u32_e32 v1, 16, v1
	v_add_u32_e32 v8, 0x4000, v6
	v_cmp_ge_u32_e32 vcc, v0, v1
	s_and_saveexec_b64 s[4:5], vcc
	s_cbranch_execz .LBB91_463
; %bb.462:
	ds_read_b128 v[14:17], v7 offset:256
	ds_read_b128 v[24:27], v6 offset:8192
	s_waitcnt lgkmcnt(0)
	v_mul_f64 v[6:7], v[16:17], v[26:27]
	v_mul_f64 v[18:19], v[14:15], v[26:27]
	v_fma_f64 v[6:7], v[14:15], v[24:25], -v[6:7]
	v_fma_f64 v[14:15], v[16:17], v[24:25], v[18:19]
	v_add_f64 v[2:3], v[2:3], v[6:7]
	v_add_f64 v[4:5], v[4:5], v[14:15]
.LBB91_463:
	s_or_b64 exec, exec, s[4:5]
	s_mov_b64 s[8:9], 0
	s_mov_b64 s[4:5], 0
	ds_write_b128 v8, v[2:5]
	s_waitcnt lgkmcnt(0)
	s_barrier
                                        ; implicit-def: $vgpr8_vgpr9
                                        ; implicit-def: $vgpr14_vgpr15
                                        ; implicit-def: $vgpr6_vgpr7
	s_and_saveexec_b64 s[10:11], s[0:1]
	s_cbranch_execz .LBB91_478
; %bb.464:
	v_lshlrev_b32_e32 v18, 4, v0
	ds_read_b128 v[6:9], v18 offset:16896
	ds_read_b128 v[14:17], v18 offset:17408
	s_mov_b64 s[4:5], exec
	s_waitcnt lgkmcnt(1)
	v_add_f64 v[1:2], v[2:3], v[6:7]
	v_add_f64 v[3:4], v[4:5], v[8:9]
	s_waitcnt lgkmcnt(0)
	v_add_f64 v[14:15], v[1:2], v[14:15]
	v_add_f64 v[16:17], v[3:4], v[16:17]
	ds_read_b128 v[1:4], v18 offset:17920
	ds_read_b128 v[5:8], v18 offset:18432
	s_waitcnt lgkmcnt(1)
	v_add_f64 v[1:2], v[14:15], v[1:2]
	v_add_f64 v[3:4], v[16:17], v[3:4]
	s_waitcnt lgkmcnt(0)
	v_add_f64 v[14:15], v[1:2], v[5:6]
	v_add_f64 v[16:17], v[3:4], v[7:8]
	ds_read_b128 v[1:4], v18 offset:18944
	ds_read_b128 v[5:8], v18 offset:19456
	;; [unrolled: 8-line block ×6, first 2 shown]
	s_waitcnt lgkmcnt(1)
	v_add_f64 v[1:2], v[14:15], v[1:2]
	v_add_f64 v[3:4], v[16:17], v[3:4]
	s_waitcnt lgkmcnt(0)
	v_add_f64 v[14:15], v[1:2], v[5:6]
	v_add_f64 v[8:9], v[3:4], v[7:8]
	ds_read_b128 v[1:4], v18 offset:24064
	v_lshl_add_u32 v5, s6, 5, v23
	v_mad_u64_u32 v[6:7], s[14:15], s12, v5, 0
	s_waitcnt lgkmcnt(0)
	v_add_f64 v[14:15], v[14:15], v[1:2]
	v_add_f64 v[8:9], v[8:9], v[3:4]
	v_mov_b32_e32 v1, v7
	v_mad_u64_u32 v[1:2], s[14:15], s13, v5, v[1:2]
	v_mov_b32_e32 v7, v1
	s_or_b64 exec, exec, s[10:11]
	s_and_b64 vcc, exec, s[8:9]
	s_cbranch_vccnz .LBB91_466
	s_branch .LBB91_479
.LBB91_465:
	s_mov_b64 s[4:5], 0
                                        ; implicit-def: $vgpr8_vgpr9
                                        ; implicit-def: $vgpr14_vgpr15
                                        ; implicit-def: $vgpr6_vgpr7
	s_cbranch_execz .LBB91_479
.LBB91_466:
	s_mov_b32 s10, 0
	v_mov_b32_e32 v1, 0
	v_mov_b32_e32 v2, v0
	s_branch .LBB91_468
.LBB91_467:                             ;   in Loop: Header=BB91_468 Depth=1
	s_or_b64 exec, exec, s[8:9]
	s_add_i32 s10, s10, 2
	v_add_u32_e32 v21, 0x400, v21
	s_cmp_lg_u32 s10, 32
	v_add_u32_e32 v2, -2, v2
	s_barrier
	s_cbranch_scc0 .LBB91_476
.LBB91_468:                             ; =>This Inner Loop Header: Depth=1
	v_cmp_eq_u32_e32 vcc, 0, v2
	s_and_b64 s[14:15], s[0:1], vcc
	s_and_saveexec_b64 s[8:9], s[14:15]
; %bb.469:                              ;   in Loop: Header=BB91_468 Depth=1
	ds_write_b128 v1, v[10:13] offset:25088
; %bb.470:                              ;   in Loop: Header=BB91_468 Depth=1
	s_or_b64 exec, exec, s[8:9]
	v_cmp_lt_u32_e32 vcc, s10, v0
	s_and_b64 s[14:15], s[0:1], vcc
	s_waitcnt lgkmcnt(0)
	s_barrier
	s_and_saveexec_b64 s[8:9], s[14:15]
	s_cbranch_execz .LBB91_472
; %bb.471:                              ;   in Loop: Header=BB91_468 Depth=1
	ds_read_b128 v[3:6], v1 offset:25088
	ds_read_b128 v[14:17], v21
	s_waitcnt lgkmcnt(0)
	v_mul_f64 v[7:8], v[5:6], v[16:17]
	v_mul_f64 v[16:17], v[3:4], v[16:17]
	v_fma_f64 v[3:4], v[3:4], v[14:15], -v[7:8]
	v_fma_f64 v[5:6], v[5:6], v[14:15], v[16:17]
	v_add_f64 v[10:11], v[10:11], v[3:4]
	v_add_f64 v[12:13], v[12:13], v[5:6]
.LBB91_472:                             ;   in Loop: Header=BB91_468 Depth=1
	s_or_b64 exec, exec, s[8:9]
	s_or_b32 s11, s10, 1
	v_cmp_eq_u32_e32 vcc, s11, v0
	s_and_b64 s[14:15], s[0:1], vcc
	s_barrier
	s_and_saveexec_b64 s[8:9], s[14:15]
; %bb.473:                              ;   in Loop: Header=BB91_468 Depth=1
	ds_write_b128 v1, v[10:13] offset:25088
; %bb.474:                              ;   in Loop: Header=BB91_468 Depth=1
	s_or_b64 exec, exec, s[8:9]
	v_cmp_lt_u32_e32 vcc, s11, v0
	s_and_b64 s[14:15], s[0:1], vcc
	s_waitcnt lgkmcnt(0)
	s_barrier
	s_and_saveexec_b64 s[8:9], s[14:15]
	s_cbranch_execz .LBB91_467
; %bb.475:                              ;   in Loop: Header=BB91_468 Depth=1
	ds_read_b128 v[3:6], v1 offset:25088
	ds_read_b128 v[14:17], v21 offset:512
	s_waitcnt lgkmcnt(0)
	v_mul_f64 v[7:8], v[5:6], v[16:17]
	v_mul_f64 v[16:17], v[3:4], v[16:17]
	v_fma_f64 v[3:4], v[3:4], v[14:15], -v[7:8]
	v_fma_f64 v[5:6], v[5:6], v[14:15], v[16:17]
	v_add_f64 v[10:11], v[10:11], v[3:4]
	v_add_f64 v[12:13], v[12:13], v[5:6]
	s_branch .LBB91_467
.LBB91_476:
	s_and_b64 vcc, exec, s[2:3]
	s_cbranch_vccz .LBB91_480
; %bb.477:
	s_and_b64 s[2:3], s[0:1], exec
	s_cbranch_execz .LBB91_481
	s_branch .LBB91_482
.LBB91_478:
	s_or_b64 exec, exec, s[10:11]
	s_and_b64 vcc, exec, s[8:9]
	s_cbranch_vccnz .LBB91_466
.LBB91_479:
	v_mov_b32_e32 v13, v9
	v_mov_b32_e32 v10, v14
	;; [unrolled: 1-line block ×4, first 2 shown]
	s_and_saveexec_b64 s[0:1], s[4:5]
	s_cbranch_execnz .LBB91_485
	s_branch .LBB91_486
.LBB91_480:
	s_mov_b64 s[2:3], 0
.LBB91_481:
	v_cmp_gt_i32_e32 vcc, s7, v0
	s_and_b64 s[0:1], s[0:1], vcc
	s_andn2_b64 s[2:3], s[2:3], exec
	s_and_b64 s[0:1], s[0:1], exec
	s_or_b64 s[2:3], s[2:3], s[0:1]
.LBB91_482:
                                        ; implicit-def: $vgpr6_vgpr7
	s_and_saveexec_b64 s[0:1], s[2:3]
	s_cbranch_execz .LBB91_484
; %bb.483:
	s_lshl_b32 s2, s6, 5
	s_ashr_i32 s3, s2, 31
	v_mov_b32_e32 v0, s3
	v_add_co_u32_e32 v1, vcc, s2, v23
	v_addc_co_u32_e32 v0, vcc, 0, v0, vcc
	v_mul_lo_u32 v0, v0, s12
	v_mul_lo_u32 v2, v1, s13
	v_mad_u64_u32 v[6:7], s[2:3], v1, s12, 0
	s_or_b64 s[4:5], s[4:5], exec
	v_add3_u32 v7, v7, v2, v0
.LBB91_484:
	s_or_b64 exec, exec, s[0:1]
	s_and_saveexec_b64 s[0:1], s[4:5]
	s_cbranch_execz .LBB91_486
.LBB91_485:
	v_lshlrev_b64 v[0:1], 4, v[6:7]
	v_mov_b32_e32 v2, s27
	v_add_co_u32_e32 v0, vcc, s26, v0
	v_addc_co_u32_e32 v1, vcc, v2, v1, vcc
	global_store_dwordx4 v[0:1], v[10:13], off
.LBB91_486:
	s_or_b64 exec, exec, s[0:1]
	v_cmp_eq_u32_e32 vcc, 0, v23
	s_waitcnt vmcnt(0)
	buffer_wbinvl1_vol
	s_barrier
	s_and_saveexec_b64 s[0:1], vcc
	s_cbranch_execz .LBB91_488
; %bb.487:
	s_lshl_b64 s[2:3], s[28:29], 2
	s_add_u32 s2, s34, s2
	s_addc_u32 s3, s35, s3
	v_mov_b32_e32 v0, 0
	global_load_dword v1, v0, s[2:3]
	s_waitcnt vmcnt(0)
	v_add_u32_e32 v1, 1, v1
	global_store_dword v0, v1, s[2:3]
.LBB91_488:
	s_or_b64 exec, exec, s[0:1]
	s_waitcnt vmcnt(0)
	buffer_wbinvl1_vol
	s_endpgm
.LBB91_489:
	v_lshlrev_b32_e32 v24, 4, v23
	v_sub_u32_e32 v24, v19, v24
	v_lshl_add_u32 v28, v20, 4, v24
	ds_read_b128 v[24:27], v19 offset:16
	ds_read_b128 v[28:31], v28 offset:576
	s_waitcnt lgkmcnt(0)
	v_mul_f64 v[32:33], v[26:27], v[30:31]
	v_mul_f64 v[30:31], v[24:25], v[30:31]
	v_fma_f64 v[24:25], v[24:25], v[28:29], -v[32:33]
	v_fma_f64 v[26:27], v[26:27], v[28:29], v[30:31]
	v_add_f64 v[10:11], v[10:11], v[24:25]
	v_add_f64 v[12:13], v[12:13], v[26:27]
	s_or_b64 exec, exec, s[14:15]
	v_cmp_gt_u32_e64 s[10:11], 8, v22
	s_and_saveexec_b64 s[14:15], s[10:11]
	s_cbranch_execz .LBB91_55
.LBB91_490:
	ds_read_b128 v[24:27], v19 offset:32
	ds_read_b128 v[28:31], v17 offset:1088
	s_waitcnt lgkmcnt(0)
	v_mul_f64 v[32:33], v[26:27], v[30:31]
	v_mul_f64 v[30:31], v[24:25], v[30:31]
	v_fma_f64 v[24:25], v[24:25], v[28:29], -v[32:33]
	v_fma_f64 v[26:27], v[26:27], v[28:29], v[30:31]
	v_add_f64 v[10:11], v[10:11], v[24:25]
	v_add_f64 v[12:13], v[12:13], v[26:27]
	s_or_b64 exec, exec, s[14:15]
	v_cmp_gt_u32_e64 s[10:11], 4, v22
	s_and_saveexec_b64 s[14:15], s[10:11]
	s_cbranch_execnz .LBB91_56
	s_branch .LBB91_57
.LBB91_491:
	v_lshlrev_b32_e32 v29, 4, v28
	v_sub_u32_e32 v29, v26, v29
	v_lshl_add_u32 v33, v27, 4, v29
	ds_read_b128 v[29:32], v26 offset:16
	ds_read_b128 v[33:36], v33 offset:640
	s_waitcnt lgkmcnt(0)
	v_mul_f64 v[37:38], v[31:32], v[35:36]
	v_mul_f64 v[35:36], v[29:30], v[35:36]
	v_fma_f64 v[29:30], v[29:30], v[33:34], -v[37:38]
	v_fma_f64 v[31:32], v[31:32], v[33:34], v[35:36]
	v_add_f64 v[10:11], v[10:11], v[29:30]
	v_add_f64 v[12:13], v[12:13], v[31:32]
	s_or_b64 exec, exec, s[50:51]
	v_cmp_gt_u32_e64 s[10:11], 48, v22
	s_and_saveexec_b64 s[50:51], s[10:11]
	s_cbranch_execz .LBB91_93
.LBB91_492:
	v_lshlrev_b32_e32 v29, 4, v28
	v_sub_u32_e32 v29, v26, v29
	v_lshl_add_u32 v33, v27, 4, v29
	ds_read_b128 v[29:32], v26 offset:32
	ds_read_b128 v[33:36], v33 offset:1152
	s_waitcnt lgkmcnt(0)
	v_mul_f64 v[37:38], v[31:32], v[35:36]
	v_mul_f64 v[35:36], v[29:30], v[35:36]
	v_fma_f64 v[29:30], v[29:30], v[33:34], -v[37:38]
	v_fma_f64 v[31:32], v[31:32], v[33:34], v[35:36]
	v_add_f64 v[10:11], v[10:11], v[29:30]
	v_add_f64 v[12:13], v[12:13], v[31:32]
	s_or_b64 exec, exec, s[50:51]
	v_cmp_gt_u32_e64 s[10:11], 40, v22
	s_and_saveexec_b64 s[50:51], s[10:11]
	s_cbranch_execz .LBB91_94
.LBB91_493:
	v_lshlrev_b32_e32 v29, 4, v28
	v_sub_u32_e32 v29, v26, v29
	v_lshl_add_u32 v33, v27, 4, v29
	ds_read_b128 v[29:32], v26 offset:48
	ds_read_b128 v[33:36], v33 offset:1664
	s_waitcnt lgkmcnt(0)
	v_mul_f64 v[37:38], v[31:32], v[35:36]
	v_mul_f64 v[35:36], v[29:30], v[35:36]
	v_fma_f64 v[29:30], v[29:30], v[33:34], -v[37:38]
	v_fma_f64 v[31:32], v[31:32], v[33:34], v[35:36]
	v_add_f64 v[10:11], v[10:11], v[29:30]
	v_add_f64 v[12:13], v[12:13], v[31:32]
	s_or_b64 exec, exec, s[50:51]
	v_cmp_gt_u32_e64 s[10:11], 32, v22
	s_and_saveexec_b64 s[50:51], s[10:11]
	s_cbranch_execz .LBB91_95
.LBB91_494:
	ds_read_b128 v[29:32], v26 offset:64
	ds_read_b128 v[33:36], v24 offset:2176
	s_waitcnt lgkmcnt(0)
	v_mul_f64 v[37:38], v[31:32], v[35:36]
	v_mul_f64 v[35:36], v[29:30], v[35:36]
	v_fma_f64 v[29:30], v[29:30], v[33:34], -v[37:38]
	v_fma_f64 v[31:32], v[31:32], v[33:34], v[35:36]
	v_add_f64 v[10:11], v[10:11], v[29:30]
	v_add_f64 v[12:13], v[12:13], v[31:32]
	s_or_b64 exec, exec, s[50:51]
	v_cmp_gt_u32_e64 s[10:11], 24, v22
	s_and_saveexec_b64 s[50:51], s[10:11]
	s_cbranch_execz .LBB91_96
.LBB91_495:
	v_lshlrev_b32_e32 v29, 4, v28
	v_sub_u32_e32 v29, v26, v29
	v_lshl_add_u32 v33, v27, 4, v29
	ds_read_b128 v[29:32], v26 offset:80
	ds_read_b128 v[33:36], v33 offset:2688
	s_waitcnt lgkmcnt(0)
	v_mul_f64 v[37:38], v[31:32], v[35:36]
	v_mul_f64 v[35:36], v[29:30], v[35:36]
	v_fma_f64 v[29:30], v[29:30], v[33:34], -v[37:38]
	v_fma_f64 v[31:32], v[31:32], v[33:34], v[35:36]
	v_add_f64 v[10:11], v[10:11], v[29:30]
	v_add_f64 v[12:13], v[12:13], v[31:32]
	s_or_b64 exec, exec, s[50:51]
	v_cmp_gt_u32_e64 s[10:11], 16, v22
	s_and_saveexec_b64 s[50:51], s[10:11]
	s_cbranch_execz .LBB91_97
.LBB91_496:
	ds_read_b128 v[29:32], v26 offset:96
	ds_read_b128 v[33:36], v24 offset:3200
	s_waitcnt lgkmcnt(0)
	v_mul_f64 v[37:38], v[31:32], v[35:36]
	v_mul_f64 v[35:36], v[29:30], v[35:36]
	v_fma_f64 v[29:30], v[29:30], v[33:34], -v[37:38]
	v_fma_f64 v[31:32], v[31:32], v[33:34], v[35:36]
	v_add_f64 v[10:11], v[10:11], v[29:30]
	v_add_f64 v[12:13], v[12:13], v[31:32]
	s_or_b64 exec, exec, s[50:51]
	v_cmp_gt_u32_e64 s[10:11], 8, v22
	s_and_saveexec_b64 s[50:51], s[10:11]
	s_cbranch_execnz .LBB91_98
	s_branch .LBB91_99
.LBB91_497:
	v_lshlrev_b32_e32 v30, 4, v23
	v_sub_u32_e32 v30, v29, v30
	v_lshl_add_u32 v34, v20, 4, v30
	ds_read_b128 v[30:33], v29 offset:4240
	ds_read_b128 v[34:37], v34 offset:4800
	s_waitcnt lgkmcnt(0)
	v_mul_f64 v[38:39], v[32:33], v[36:37]
	v_mul_f64 v[36:37], v[30:31], v[36:37]
	v_fma_f64 v[30:31], v[30:31], v[34:35], -v[38:39]
	v_fma_f64 v[32:33], v[32:33], v[34:35], v[36:37]
	v_add_f64 v[10:11], v[10:11], v[30:31]
	v_add_f64 v[12:13], v[12:13], v[32:33]
	s_or_b64 exec, exec, s[14:15]
	v_cmp_gt_u32_e64 s[8:9], 8, v22
	s_and_saveexec_b64 s[14:15], s[8:9]
	s_cbranch_execz .LBB91_151
.LBB91_498:
	ds_read_b128 v[29:32], v29 offset:4256
	ds_read_b128 v[33:36], v17 offset:5312
	s_waitcnt lgkmcnt(0)
	v_mul_f64 v[37:38], v[31:32], v[35:36]
	v_mul_f64 v[35:36], v[29:30], v[35:36]
	v_fma_f64 v[29:30], v[29:30], v[33:34], -v[37:38]
	v_fma_f64 v[31:32], v[31:32], v[33:34], v[35:36]
	v_add_f64 v[10:11], v[10:11], v[29:30]
	v_add_f64 v[12:13], v[12:13], v[31:32]
	s_or_b64 exec, exec, s[14:15]
	v_cmp_gt_u32_e64 s[8:9], 4, v22
	s_and_saveexec_b64 s[14:15], s[8:9]
	s_cbranch_execnz .LBB91_152
	s_branch .LBB91_153
.LBB91_499:
	ds_read_b128 v[34:37], v33 offset:176
	ds_read_b128 v[38:41], v29 offset:5888
	s_waitcnt lgkmcnt(0)
	v_mul_f64 v[42:43], v[36:37], v[40:41]
	v_mul_f64 v[40:41], v[34:35], v[40:41]
	v_fma_f64 v[34:35], v[34:35], v[38:39], -v[42:43]
	v_fma_f64 v[36:37], v[36:37], v[38:39], v[40:41]
	v_add_f64 v[10:11], v[10:11], v[34:35]
	v_add_f64 v[12:13], v[12:13], v[36:37]
	s_or_b64 exec, exec, s[80:81]
	v_cmp_gt_u32_e64 s[14:15], 64, v22
	s_and_saveexec_b64 s[80:81], s[14:15]
	s_cbranch_execz .LBB91_209
.LBB91_500:
	ds_read_b128 v[34:37], v33 offset:192
	ds_read_b128 v[38:41], v29 offset:6400
	s_waitcnt lgkmcnt(0)
	v_mul_f64 v[42:43], v[36:37], v[40:41]
	v_mul_f64 v[40:41], v[34:35], v[40:41]
	v_fma_f64 v[34:35], v[34:35], v[38:39], -v[42:43]
	v_fma_f64 v[36:37], v[36:37], v[38:39], v[40:41]
	v_add_f64 v[10:11], v[10:11], v[34:35]
	v_add_f64 v[12:13], v[12:13], v[36:37]
	s_or_b64 exec, exec, s[80:81]
	v_cmp_gt_u32_e64 s[14:15], 48, v22
	s_and_saveexec_b64 s[80:81], s[14:15]
	s_cbranch_execz .LBB91_210
.LBB91_501:
	ds_read_b128 v[34:37], v33 offset:208
	ds_read_b128 v[38:41], v29 offset:6912
	s_waitcnt lgkmcnt(0)
	v_mul_f64 v[42:43], v[36:37], v[40:41]
	v_mul_f64 v[40:41], v[34:35], v[40:41]
	v_fma_f64 v[34:35], v[34:35], v[38:39], -v[42:43]
	v_fma_f64 v[36:37], v[36:37], v[38:39], v[40:41]
	v_add_f64 v[10:11], v[10:11], v[34:35]
	v_add_f64 v[12:13], v[12:13], v[36:37]
	s_or_b64 exec, exec, s[80:81]
	v_cmp_gt_u32_e64 s[14:15], 32, v22
	s_and_saveexec_b64 s[80:81], s[14:15]
	s_cbranch_execz .LBB91_211
.LBB91_502:
	ds_read_b128 v[33:36], v33 offset:224
	ds_read_b128 v[37:40], v29 offset:7424
	s_waitcnt lgkmcnt(0)
	v_mul_f64 v[41:42], v[35:36], v[39:40]
	v_mul_f64 v[39:40], v[33:34], v[39:40]
	v_fma_f64 v[33:34], v[33:34], v[37:38], -v[41:42]
	v_fma_f64 v[35:36], v[35:36], v[37:38], v[39:40]
	v_add_f64 v[10:11], v[10:11], v[33:34]
	v_add_f64 v[12:13], v[12:13], v[35:36]
	s_or_b64 exec, exec, s[80:81]
	v_cmp_gt_u32_e64 s[14:15], 16, v22
	s_and_saveexec_b64 s[80:81], s[14:15]
	s_cbranch_execnz .LBB91_212
	s_branch .LBB91_213
.LBB91_503:
	v_lshlrev_b32_e32 v30, 4, v23
	v_sub_u32_e32 v30, v29, v30
	v_lshl_add_u32 v34, v20, 4, v30
	ds_read_b128 v[30:33], v29 offset:8464
	ds_read_b128 v[34:37], v34 offset:9024
	s_waitcnt lgkmcnt(0)
	v_mul_f64 v[38:39], v[32:33], v[36:37]
	v_mul_f64 v[36:37], v[30:31], v[36:37]
	v_fma_f64 v[30:31], v[30:31], v[34:35], -v[38:39]
	v_fma_f64 v[32:33], v[32:33], v[34:35], v[36:37]
	v_add_f64 v[10:11], v[10:11], v[30:31]
	v_add_f64 v[12:13], v[12:13], v[32:33]
	s_or_b64 exec, exec, s[14:15]
	v_cmp_gt_u32_e64 s[8:9], 8, v22
	s_and_saveexec_b64 s[14:15], s[8:9]
	s_cbranch_execz .LBB91_297
.LBB91_504:
	ds_read_b128 v[29:32], v29 offset:8480
	ds_read_b128 v[33:36], v17 offset:9536
	s_waitcnt lgkmcnt(0)
	v_mul_f64 v[37:38], v[31:32], v[35:36]
	v_mul_f64 v[35:36], v[29:30], v[35:36]
	v_fma_f64 v[29:30], v[29:30], v[33:34], -v[37:38]
	v_fma_f64 v[31:32], v[31:32], v[33:34], v[35:36]
	v_add_f64 v[10:11], v[10:11], v[29:30]
	v_add_f64 v[12:13], v[12:13], v[31:32]
	s_or_b64 exec, exec, s[14:15]
	v_cmp_gt_u32_e64 s[8:9], 4, v22
	s_and_saveexec_b64 s[14:15], s[8:9]
	s_cbranch_execnz .LBB91_298
	s_branch .LBB91_299
.LBB91_505:
	v_lshlrev_b32_e32 v30, 4, v28
	v_sub_u32_e32 v30, v29, v30
	v_lshl_add_u32 v34, v27, 4, v30
	ds_read_b128 v[30:33], v29 offset:8464
	ds_read_b128 v[34:37], v34 offset:9088
	s_waitcnt lgkmcnt(0)
	v_mul_f64 v[38:39], v[32:33], v[36:37]
	v_mul_f64 v[36:37], v[30:31], v[36:37]
	v_fma_f64 v[30:31], v[30:31], v[34:35], -v[38:39]
	v_fma_f64 v[32:33], v[32:33], v[34:35], v[36:37]
	v_add_f64 v[10:11], v[10:11], v[30:31]
	v_add_f64 v[12:13], v[12:13], v[32:33]
	s_or_b64 exec, exec, s[14:15]
	v_cmp_gt_u32_e64 s[8:9], 48, v22
	s_and_saveexec_b64 s[14:15], s[8:9]
	s_cbranch_execz .LBB91_335
.LBB91_506:
	v_lshlrev_b32_e32 v30, 4, v28
	v_sub_u32_e32 v30, v29, v30
	v_lshl_add_u32 v34, v27, 4, v30
	ds_read_b128 v[30:33], v29 offset:8480
	ds_read_b128 v[34:37], v34 offset:9600
	s_waitcnt lgkmcnt(0)
	v_mul_f64 v[38:39], v[32:33], v[36:37]
	v_mul_f64 v[36:37], v[30:31], v[36:37]
	v_fma_f64 v[30:31], v[30:31], v[34:35], -v[38:39]
	v_fma_f64 v[32:33], v[32:33], v[34:35], v[36:37]
	v_add_f64 v[10:11], v[10:11], v[30:31]
	v_add_f64 v[12:13], v[12:13], v[32:33]
	s_or_b64 exec, exec, s[14:15]
	v_cmp_gt_u32_e64 s[8:9], 40, v22
	s_and_saveexec_b64 s[14:15], s[8:9]
	s_cbranch_execz .LBB91_336
.LBB91_507:
	v_lshlrev_b32_e32 v30, 4, v28
	v_sub_u32_e32 v30, v29, v30
	v_lshl_add_u32 v34, v27, 4, v30
	ds_read_b128 v[30:33], v29 offset:8496
	ds_read_b128 v[34:37], v34 offset:10112
	s_waitcnt lgkmcnt(0)
	v_mul_f64 v[38:39], v[32:33], v[36:37]
	v_mul_f64 v[36:37], v[30:31], v[36:37]
	v_fma_f64 v[30:31], v[30:31], v[34:35], -v[38:39]
	v_fma_f64 v[32:33], v[32:33], v[34:35], v[36:37]
	v_add_f64 v[10:11], v[10:11], v[30:31]
	v_add_f64 v[12:13], v[12:13], v[32:33]
	s_or_b64 exec, exec, s[14:15]
	v_cmp_gt_u32_e64 s[8:9], 32, v22
	s_and_saveexec_b64 s[14:15], s[8:9]
	s_cbranch_execz .LBB91_337
.LBB91_508:
	ds_read_b128 v[30:33], v29 offset:8512
	ds_read_b128 v[34:37], v24 offset:10624
	s_waitcnt lgkmcnt(0)
	v_mul_f64 v[38:39], v[32:33], v[36:37]
	v_mul_f64 v[36:37], v[30:31], v[36:37]
	v_fma_f64 v[30:31], v[30:31], v[34:35], -v[38:39]
	v_fma_f64 v[32:33], v[32:33], v[34:35], v[36:37]
	v_add_f64 v[10:11], v[10:11], v[30:31]
	v_add_f64 v[12:13], v[12:13], v[32:33]
	s_or_b64 exec, exec, s[14:15]
	v_cmp_gt_u32_e64 s[8:9], 24, v22
	s_and_saveexec_b64 s[14:15], s[8:9]
	s_cbranch_execz .LBB91_338
.LBB91_509:
	v_lshlrev_b32_e32 v28, 4, v28
	v_sub_u32_e32 v28, v29, v28
	v_lshl_add_u32 v27, v27, 4, v28
	ds_read_b128 v[30:33], v29 offset:8528
	ds_read_b128 v[34:37], v27 offset:11136
	s_waitcnt lgkmcnt(0)
	v_mul_f64 v[27:28], v[32:33], v[36:37]
	v_mul_f64 v[36:37], v[30:31], v[36:37]
	v_fma_f64 v[27:28], v[30:31], v[34:35], -v[27:28]
	v_fma_f64 v[30:31], v[32:33], v[34:35], v[36:37]
	v_add_f64 v[10:11], v[10:11], v[27:28]
	v_add_f64 v[12:13], v[12:13], v[30:31]
	s_or_b64 exec, exec, s[14:15]
	v_cmp_gt_u32_e64 s[8:9], 16, v22
	s_and_saveexec_b64 s[14:15], s[8:9]
	s_cbranch_execz .LBB91_339
.LBB91_510:
	ds_read_b128 v[27:30], v29 offset:8544
	ds_read_b128 v[31:34], v24 offset:11648
	s_waitcnt lgkmcnt(0)
	v_mul_f64 v[35:36], v[29:30], v[33:34]
	v_mul_f64 v[33:34], v[27:28], v[33:34]
	v_fma_f64 v[27:28], v[27:28], v[31:32], -v[35:36]
	v_fma_f64 v[29:30], v[29:30], v[31:32], v[33:34]
	v_add_f64 v[10:11], v[10:11], v[27:28]
	v_add_f64 v[12:13], v[12:13], v[29:30]
	s_or_b64 exec, exec, s[14:15]
	v_cmp_gt_u32_e64 s[8:9], 8, v22
	s_and_saveexec_b64 s[14:15], s[8:9]
	s_cbranch_execnz .LBB91_340
	s_branch .LBB91_341
.LBB91_511:
	v_lshlrev_b32_e32 v23, 4, v23
	v_sub_u32_e32 v23, v24, v23
	v_lshl_add_u32 v20, v20, 4, v23
	ds_read_b128 v[25:28], v24 offset:12688
	ds_read_b128 v[29:32], v20 offset:13248
	s_waitcnt lgkmcnt(0)
	v_mul_f64 v[33:34], v[27:28], v[31:32]
	v_mul_f64 v[31:32], v[25:26], v[31:32]
	v_fma_f64 v[25:26], v[25:26], v[29:30], -v[33:34]
	v_fma_f64 v[27:28], v[27:28], v[29:30], v[31:32]
	v_add_f64 v[10:11], v[10:11], v[25:26]
	v_add_f64 v[12:13], v[12:13], v[27:28]
	s_or_b64 exec, exec, s[12:13]
	v_cmp_gt_u32_e64 s[8:9], 8, v22
	s_and_saveexec_b64 s[12:13], s[8:9]
	s_cbranch_execz .LBB91_393
.LBB91_512:
	ds_read_b128 v[23:26], v24 offset:12704
	ds_read_b128 v[27:30], v17 offset:13760
	s_waitcnt lgkmcnt(0)
	v_mul_f64 v[31:32], v[25:26], v[29:30]
	v_mul_f64 v[29:30], v[23:24], v[29:30]
	v_fma_f64 v[23:24], v[23:24], v[27:28], -v[31:32]
	v_fma_f64 v[25:26], v[25:26], v[27:28], v[29:30]
	v_add_f64 v[10:11], v[10:11], v[23:24]
	v_add_f64 v[12:13], v[12:13], v[25:26]
	s_or_b64 exec, exec, s[12:13]
	v_cmp_gt_u32_e64 s[8:9], 4, v22
	s_and_saveexec_b64 s[12:13], s[8:9]
	s_cbranch_execnz .LBB91_394
	s_branch .LBB91_395
	.section	.rodata,"a",@progbits
	.p2align	6, 0x0
	.amdhsa_kernel _ZL19rocblas_trsv_deviceILi32ELi16ELb1ELb0ELb0ELb1E19rocblas_complex_numIdES1_PKS1_PS1_EviT7_lllT6_T8_lllPii
		.amdhsa_group_segment_fixed_size 25104
		.amdhsa_private_segment_fixed_size 0
		.amdhsa_kernarg_size 360
		.amdhsa_user_sgpr_count 6
		.amdhsa_user_sgpr_private_segment_buffer 1
		.amdhsa_user_sgpr_dispatch_ptr 0
		.amdhsa_user_sgpr_queue_ptr 0
		.amdhsa_user_sgpr_kernarg_segment_ptr 1
		.amdhsa_user_sgpr_dispatch_id 0
		.amdhsa_user_sgpr_flat_scratch_init 0
		.amdhsa_user_sgpr_private_segment_size 0
		.amdhsa_uses_dynamic_stack 0
		.amdhsa_system_sgpr_private_segment_wavefront_offset 0
		.amdhsa_system_sgpr_workgroup_id_x 1
		.amdhsa_system_sgpr_workgroup_id_y 0
		.amdhsa_system_sgpr_workgroup_id_z 1
		.amdhsa_system_sgpr_workgroup_info 0
		.amdhsa_system_vgpr_workitem_id 1
		.amdhsa_next_free_vgpr 49
		.amdhsa_next_free_sgpr 98
		.amdhsa_reserve_vcc 1
		.amdhsa_reserve_flat_scratch 0
		.amdhsa_float_round_mode_32 0
		.amdhsa_float_round_mode_16_64 0
		.amdhsa_float_denorm_mode_32 3
		.amdhsa_float_denorm_mode_16_64 3
		.amdhsa_dx10_clamp 1
		.amdhsa_ieee_mode 1
		.amdhsa_fp16_overflow 0
		.amdhsa_exception_fp_ieee_invalid_op 0
		.amdhsa_exception_fp_denorm_src 0
		.amdhsa_exception_fp_ieee_div_zero 0
		.amdhsa_exception_fp_ieee_overflow 0
		.amdhsa_exception_fp_ieee_underflow 0
		.amdhsa_exception_fp_ieee_inexact 0
		.amdhsa_exception_int_div_zero 0
	.end_amdhsa_kernel
	.section	.text._ZL19rocblas_trsv_deviceILi32ELi16ELb1ELb0ELb0ELb1E19rocblas_complex_numIdES1_PKS1_PS1_EviT7_lllT6_T8_lllPii,"axG",@progbits,_ZL19rocblas_trsv_deviceILi32ELi16ELb1ELb0ELb0ELb1E19rocblas_complex_numIdES1_PKS1_PS1_EviT7_lllT6_T8_lllPii,comdat
.Lfunc_end91:
	.size	_ZL19rocblas_trsv_deviceILi32ELi16ELb1ELb0ELb0ELb1E19rocblas_complex_numIdES1_PKS1_PS1_EviT7_lllT6_T8_lllPii, .Lfunc_end91-_ZL19rocblas_trsv_deviceILi32ELi16ELb1ELb0ELb0ELb1E19rocblas_complex_numIdES1_PKS1_PS1_EviT7_lllT6_T8_lllPii
                                        ; -- End function
	.set _ZL19rocblas_trsv_deviceILi32ELi16ELb1ELb0ELb0ELb1E19rocblas_complex_numIdES1_PKS1_PS1_EviT7_lllT6_T8_lllPii.num_vgpr, 44
	.set _ZL19rocblas_trsv_deviceILi32ELi16ELb1ELb0ELb0ELb1E19rocblas_complex_numIdES1_PKS1_PS1_EviT7_lllT6_T8_lllPii.num_agpr, 0
	.set _ZL19rocblas_trsv_deviceILi32ELi16ELb1ELb0ELb0ELb1E19rocblas_complex_numIdES1_PKS1_PS1_EviT7_lllT6_T8_lllPii.numbered_sgpr, 92
	.set _ZL19rocblas_trsv_deviceILi32ELi16ELb1ELb0ELb0ELb1E19rocblas_complex_numIdES1_PKS1_PS1_EviT7_lllT6_T8_lllPii.num_named_barrier, 0
	.set _ZL19rocblas_trsv_deviceILi32ELi16ELb1ELb0ELb0ELb1E19rocblas_complex_numIdES1_PKS1_PS1_EviT7_lllT6_T8_lllPii.private_seg_size, 0
	.set _ZL19rocblas_trsv_deviceILi32ELi16ELb1ELb0ELb0ELb1E19rocblas_complex_numIdES1_PKS1_PS1_EviT7_lllT6_T8_lllPii.uses_vcc, 1
	.set _ZL19rocblas_trsv_deviceILi32ELi16ELb1ELb0ELb0ELb1E19rocblas_complex_numIdES1_PKS1_PS1_EviT7_lllT6_T8_lllPii.uses_flat_scratch, 0
	.set _ZL19rocblas_trsv_deviceILi32ELi16ELb1ELb0ELb0ELb1E19rocblas_complex_numIdES1_PKS1_PS1_EviT7_lllT6_T8_lllPii.has_dyn_sized_stack, 0
	.set _ZL19rocblas_trsv_deviceILi32ELi16ELb1ELb0ELb0ELb1E19rocblas_complex_numIdES1_PKS1_PS1_EviT7_lllT6_T8_lllPii.has_recursion, 0
	.set _ZL19rocblas_trsv_deviceILi32ELi16ELb1ELb0ELb0ELb1E19rocblas_complex_numIdES1_PKS1_PS1_EviT7_lllT6_T8_lllPii.has_indirect_call, 0
	.section	.AMDGPU.csdata,"",@progbits
; Kernel info:
; codeLenInByte = 19520
; TotalNumSgprs: 96
; NumVgprs: 44
; ScratchSize: 0
; MemoryBound: 1
; FloatMode: 240
; IeeeMode: 1
; LDSByteSize: 25104 bytes/workgroup (compile time only)
; SGPRBlocks: 12
; VGPRBlocks: 12
; NumSGPRsForWavesPerEU: 102
; NumVGPRsForWavesPerEU: 49
; Occupancy: 4
; WaveLimiterHint : 0
; COMPUTE_PGM_RSRC2:SCRATCH_EN: 0
; COMPUTE_PGM_RSRC2:USER_SGPR: 6
; COMPUTE_PGM_RSRC2:TRAP_HANDLER: 0
; COMPUTE_PGM_RSRC2:TGID_X_EN: 1
; COMPUTE_PGM_RSRC2:TGID_Y_EN: 0
; COMPUTE_PGM_RSRC2:TGID_Z_EN: 1
; COMPUTE_PGM_RSRC2:TIDIG_COMP_CNT: 1
	.section	.text._ZL19rocblas_trsv_deviceILi32ELi16ELb1ELb1ELb0ELb1E19rocblas_complex_numIdES1_PKS1_PS1_EviT7_lllT6_T8_lllPii,"axG",@progbits,_ZL19rocblas_trsv_deviceILi32ELi16ELb1ELb1ELb0ELb1E19rocblas_complex_numIdES1_PKS1_PS1_EviT7_lllT6_T8_lllPii,comdat
	.globl	_ZL19rocblas_trsv_deviceILi32ELi16ELb1ELb1ELb0ELb1E19rocblas_complex_numIdES1_PKS1_PS1_EviT7_lllT6_T8_lllPii ; -- Begin function _ZL19rocblas_trsv_deviceILi32ELi16ELb1ELb1ELb0ELb1E19rocblas_complex_numIdES1_PKS1_PS1_EviT7_lllT6_T8_lllPii
	.p2align	8
	.type	_ZL19rocblas_trsv_deviceILi32ELi16ELb1ELb1ELb0ELb1E19rocblas_complex_numIdES1_PKS1_PS1_EviT7_lllT6_T8_lllPii,@function
_ZL19rocblas_trsv_deviceILi32ELi16ELb1ELb1ELb0ELb1E19rocblas_complex_numIdES1_PKS1_PS1_EviT7_lllT6_T8_lllPii: ; @_ZL19rocblas_trsv_deviceILi32ELi16ELb1ELb1ELb0ELb1E19rocblas_complex_numIdES1_PKS1_PS1_EviT7_lllT6_T8_lllPii
; %bb.0:
	s_load_dwordx16 s[16:31], s[4:5], 0x8
	s_load_dword s36, s[4:5], 0x0
	s_mov_b32 s34, s7
	s_mov_b32 s35, 0
	s_load_dword s95, s[4:5], 0x74
	s_waitcnt lgkmcnt(0)
	s_mul_i32 s0, s23, s7
	s_mul_hi_u32 s1, s22, s7
	s_add_i32 s1, s1, s0
	s_mul_i32 s0, s22, s7
	s_load_dword s7, s[4:5], 0x68
	s_lshl_b64 s[0:1], s[0:1], 4
	s_add_u32 s2, s16, s0
	s_addc_u32 s3, s17, s1
	s_lshl_b64 s[0:1], s[18:19], 4
	s_add_u32 s93, s2, s0
	s_addc_u32 s94, s3, s1
	s_waitcnt lgkmcnt(0)
	s_add_i32 s7, s7, -1
	s_sub_i32 s33, s7, s6
	s_cmp_eq_u32 s6, 0
	s_cbranch_scc1 .LBB92_6
; %bb.1:
	s_lshl_b32 s2, s33, 5
	v_add_u32_e32 v6, s2, v0
	v_ashrrev_i32_e32 v2, 31, v6
	v_mul_lo_u32 v7, s20, v2
	v_mul_lo_u32 v8, s21, v6
	v_mad_u64_u32 v[4:5], s[0:1], s20, v6, 0
	v_add3_u32 v2, v1, s2, 32
	v_ashrrev_i32_e32 v3, 31, v2
	v_add3_u32 v5, v5, v7, v8
	v_lshlrev_b64 v[4:5], 4, v[4:5]
	v_cmp_gt_i32_e32 vcc, s36, v6
	v_mov_b32_e32 v6, s94
	v_add_co_u32_e64 v7, s[0:1], s93, v4
	v_lshlrev_b64 v[3:4], 4, v[2:3]
	v_addc_co_u32_e64 v5, s[0:1], v6, v5, s[0:1]
	v_add_co_u32_e64 v10, s[0:1], v7, v3
	v_addc_co_u32_e64 v11, s[0:1], v5, v4, s[0:1]
	v_cmp_gt_i32_e64 s[0:1], s36, v2
	v_mov_b32_e32 v4, 0
	v_mov_b32_e32 v6, 0
	;; [unrolled: 1-line block ×6, first 2 shown]
	s_and_b64 s[2:3], s[0:1], vcc
	s_barrier
	s_and_saveexec_b64 s[0:1], s[2:3]
	s_cbranch_execz .LBB92_3
; %bb.2:
	global_load_dwordx4 v[6:9], v[10:11], off
.LBB92_3:
	s_or_b64 exec, exec, s[0:1]
	v_add_u32_e32 v2, 16, v2
	v_cmp_gt_i32_e64 s[0:1], s36, v2
	v_mov_b32_e32 v2, 0
	v_mov_b32_e32 v3, 0
	s_and_b64 s[2:3], s[0:1], vcc
	s_waitcnt vmcnt(0)
	s_barrier
	s_and_saveexec_b64 s[0:1], s[2:3]
	s_cbranch_execz .LBB92_5
; %bb.4:
	global_load_dwordx4 v[2:5], v[10:11], off offset:256
.LBB92_5:
	s_or_b64 exec, exec, s[0:1]
	s_branch .LBB92_7
.LBB92_6:
                                        ; implicit-def: $vgpr4_vgpr5
                                        ; implicit-def: $vgpr8_vgpr9
.LBB92_7:
	s_ashr_i32 s37, s36, 31
	s_lshr_b32 s0, s37, 27
	s_add_i32 s0, s36, s0
	s_andn2_b32 s0, s0, 31
	s_sub_i32 s92, s36, s0
	s_add_i32 s0, s36, -1
	s_ashr_i32 s1, s0, 31
	s_lshr_b32 s1, s1, 27
	s_add_i32 s0, s0, s1
	s_ashr_i32 s0, s0, 5
	s_cmp_eq_u32 s0, s33
	s_cselect_b64 s[0:1], -1, 0
	s_cmp_lg_u32 s92, 0
	s_cselect_b64 s[2:3], -1, 0
	s_and_b64 s[22:23], s[2:3], s[0:1]
	s_cmp_lt_i32 s6, 5
	s_cselect_b64 s[2:3], -1, 0
	v_lshlrev_b32_e32 v10, 5, v0
	s_mov_b64 s[12:13], -1
	s_or_b64 s[0:1], s[2:3], s[22:23]
	s_and_b64 vcc, exec, s[22:23]
	v_add_u32_e32 v11, v1, v10
	v_cmp_le_u32_e64 s[8:9], v0, v1
	v_lshl_add_u32 v22, v1, 5, v0
	s_cbranch_vccnz .LBB92_21
; %bb.8:
	s_add_u32 s10, s20, 1
	s_addc_u32 s11, s21, 0
	s_lshl_b32 s12, s33, 5
	s_ashr_i32 s13, s12, 31
	s_mul_hi_u32 s14, s10, s12
	s_mul_i32 s13, s10, s13
	s_add_i32 s13, s14, s13
	s_mul_i32 s11, s11, s12
	s_add_i32 s11, s13, s11
	s_mul_i32 s10, s10, s12
	s_lshl_b64 s[10:11], s[10:11], 4
	s_add_u32 s10, s93, s10
	s_addc_u32 s11, s94, s11
	v_lshlrev_b32_e32 v12, 4, v0
	v_mov_b32_e32 v13, s11
	v_add_co_u32_e32 v12, vcc, s10, v12
	v_addc_co_u32_e32 v13, vcc, 0, v13, vcc
	v_cndmask_b32_e64 v14, v22, v11, s[2:3]
	s_and_saveexec_b64 s[2:3], s[8:9]
	s_xor_b64 s[2:3], exec, s[2:3]
	s_cbranch_execz .LBB92_12
; %bb.9:
	v_or_b32_e32 v15, v1, v0
	v_cmp_gt_u32_e32 vcc, 32, v15
	s_and_saveexec_b64 s[8:9], vcc
	s_cbranch_execz .LBB92_11
; %bb.10:
	v_lshlrev_b32_e32 v18, 4, v14
	v_mov_b32_e32 v14, 0
	v_mov_b32_e32 v15, v14
	;; [unrolled: 1-line block ×4, first 2 shown]
	ds_write_b128 v18, v[14:17]
.LBB92_11:
	s_or_b64 exec, exec, s[8:9]
                                        ; implicit-def: $vgpr14
.LBB92_12:
	s_andn2_saveexec_b64 s[2:3], s[2:3]
	s_cbranch_execz .LBB92_14
; %bb.13:
	v_mad_u64_u32 v[15:16], s[8:9], s20, v1, 0
	v_lshlrev_b32_e32 v14, 4, v14
	v_mad_u64_u32 v[16:17], s[8:9], s21, v1, v[16:17]
	v_lshlrev_b64 v[15:16], 4, v[15:16]
	v_add_co_u32_e32 v15, vcc, v12, v15
	v_addc_co_u32_e32 v16, vcc, v13, v16, vcc
	global_load_dwordx4 v[15:18], v[15:16], off
	s_waitcnt vmcnt(0)
	v_xor_b32_e32 v16, 0x80000000, v16
	v_xor_b32_e32 v18, 0x80000000, v18
	ds_write_b128 v14, v[15:18]
.LBB92_14:
	s_or_b64 exec, exec, s[2:3]
	v_add_u32_e32 v15, 16, v1
	v_add_u32_e32 v14, v15, v10
	v_lshl_add_u32 v16, v15, 5, v0
	v_cndmask_b32_e64 v14, v16, v14, s[0:1]
	v_cmp_le_u32_e32 vcc, v0, v15
	s_and_saveexec_b64 s[2:3], vcc
	s_xor_b64 s[2:3], exec, s[2:3]
	s_cbranch_execz .LBB92_18
; %bb.15:
	v_or_b32_e32 v12, v15, v0
	v_cmp_gt_u32_e32 vcc, 32, v12
	s_and_saveexec_b64 s[8:9], vcc
	s_cbranch_execz .LBB92_17
; %bb.16:
	v_mov_b32_e32 v12, 0
	v_lshlrev_b32_e32 v16, 4, v14
	v_mov_b32_e32 v13, v12
	v_mov_b32_e32 v14, v12
	;; [unrolled: 1-line block ×3, first 2 shown]
	ds_write_b128 v16, v[12:15]
.LBB92_17:
	s_or_b64 exec, exec, s[8:9]
                                        ; implicit-def: $vgpr15
                                        ; implicit-def: $vgpr12
                                        ; implicit-def: $vgpr13
                                        ; implicit-def: $vgpr14
.LBB92_18:
	s_andn2_saveexec_b64 s[2:3], s[2:3]
	s_cbranch_execz .LBB92_20
; %bb.19:
	v_mad_u64_u32 v[16:17], s[8:9], s20, v15, 0
	v_mad_u64_u32 v[17:18], s[8:9], s21, v15, v[17:18]
	v_lshlrev_b64 v[15:16], 4, v[16:17]
	v_add_co_u32_e32 v12, vcc, v12, v15
	v_addc_co_u32_e32 v13, vcc, v13, v16, vcc
	global_load_dwordx4 v[15:18], v[12:13], off
	v_lshlrev_b32_e32 v12, 4, v14
	s_waitcnt vmcnt(0)
	v_xor_b32_e32 v16, 0x80000000, v16
	v_xor_b32_e32 v18, 0x80000000, v18
	ds_write_b128 v12, v[15:18]
.LBB92_20:
	s_or_b64 exec, exec, s[2:3]
	s_mov_b64 s[12:13], 0
.LBB92_21:
	s_xor_b64 s[10:11], s[0:1], -1
	s_and_b64 vcc, exec, s[12:13]
	s_cbranch_vccz .LBB92_35
; %bb.22:
	s_add_u32 s2, s20, 1
	s_addc_u32 s3, s21, 0
	s_lshl_b32 s8, s33, 5
	s_ashr_i32 s9, s8, 31
	s_mul_hi_u32 s12, s2, s8
	s_mul_i32 s9, s2, s9
	s_add_i32 s9, s12, s9
	s_mul_i32 s3, s3, s8
	s_add_i32 s3, s9, s3
	s_mul_i32 s2, s2, s8
	s_lshl_b64 s[2:3], s[2:3], 4
	s_add_u32 s2, s93, s2
	s_addc_u32 s3, s94, s3
	v_lshlrev_b32_e32 v12, 4, v0
	v_mov_b32_e32 v13, s3
	v_add_co_u32_e64 v12, s[2:3], s2, v12
	v_addc_co_u32_e64 v13, s[2:3], 0, v13, s[2:3]
	v_max_i32_e32 v14, v1, v0
	v_cmp_le_u32_e64 s[2:3], v0, v1
	v_cmp_le_i32_e64 s[8:9], s92, v14
	v_cmp_gt_i32_e32 vcc, s92, v0
	s_or_b64 s[2:3], s[8:9], s[2:3]
	s_and_saveexec_b64 s[8:9], s[2:3]
	s_xor_b64 s[8:9], exec, s[8:9]
	s_cbranch_execz .LBB92_26
; %bb.23:
	v_or_b32_e32 v14, v1, v0
	v_cmp_gt_u32_e64 s[2:3], 32, v14
	s_and_saveexec_b64 s[12:13], s[2:3]
	s_cbranch_execz .LBB92_25
; %bb.24:
	v_mov_b32_e32 v14, 0
	v_lshlrev_b32_e32 v11, 4, v11
	v_mov_b32_e32 v15, v14
	v_mov_b32_e32 v16, v14
	;; [unrolled: 1-line block ×3, first 2 shown]
	ds_write_b128 v11, v[14:17]
.LBB92_25:
	s_or_b64 exec, exec, s[12:13]
                                        ; implicit-def: $vgpr11
.LBB92_26:
	s_andn2_saveexec_b64 s[8:9], s[8:9]
	s_cbranch_execz .LBB92_28
; %bb.27:
	v_mad_u64_u32 v[14:15], s[2:3], s20, v1, 0
	v_lshlrev_b32_e32 v11, 4, v11
	v_mad_u64_u32 v[15:16], s[2:3], s21, v1, v[15:16]
	v_lshlrev_b64 v[14:15], 4, v[14:15]
	v_add_co_u32_e64 v14, s[2:3], v12, v14
	v_addc_co_u32_e64 v15, s[2:3], v13, v15, s[2:3]
	global_load_dwordx4 v[14:17], v[14:15], off
	s_waitcnt vmcnt(0)
	v_xor_b32_e32 v15, 0x80000000, v15
	v_xor_b32_e32 v17, 0x80000000, v17
	ds_write_b128 v11, v[14:17]
.LBB92_28:
	s_or_b64 exec, exec, s[8:9]
	v_add_u32_e32 v11, 16, v1
	v_add_u32_e32 v10, v11, v10
	v_lshl_add_u32 v14, v11, 5, v0
	v_cndmask_b32_e64 v10, v14, v10, s[0:1]
	v_cmp_gt_u32_e64 s[0:1], v0, v11
	v_cmp_gt_i32_e64 s[2:3], s92, v11
	s_and_b64 s[0:1], s[0:1], s[2:3]
	s_and_b64 s[0:1], s[0:1], vcc
	s_xor_b64 s[0:1], s[0:1], -1
	s_and_saveexec_b64 s[2:3], s[0:1]
	s_xor_b64 s[0:1], exec, s[2:3]
	s_cbranch_execz .LBB92_32
; %bb.29:
	v_or_b32_e32 v11, v11, v0
	v_cmp_gt_u32_e32 vcc, 32, v11
	s_and_saveexec_b64 s[2:3], vcc
	s_cbranch_execz .LBB92_31
; %bb.30:
	v_lshlrev_b32_e32 v14, 4, v10
	v_mov_b32_e32 v10, 0
	v_mov_b32_e32 v11, v10
	;; [unrolled: 1-line block ×4, first 2 shown]
	ds_write_b128 v14, v[10:13]
.LBB92_31:
	s_or_b64 exec, exec, s[2:3]
                                        ; implicit-def: $vgpr11
                                        ; implicit-def: $vgpr12
                                        ; implicit-def: $vgpr13
                                        ; implicit-def: $vgpr10
.LBB92_32:
	s_andn2_saveexec_b64 s[0:1], s[0:1]
	s_cbranch_execz .LBB92_34
; %bb.33:
	v_mad_u64_u32 v[14:15], s[2:3], s20, v11, 0
	v_lshlrev_b32_e32 v10, 4, v10
	v_mad_u64_u32 v[15:16], s[2:3], s21, v11, v[15:16]
	v_lshlrev_b64 v[14:15], 4, v[14:15]
	v_add_co_u32_e32 v11, vcc, v12, v14
	v_addc_co_u32_e32 v12, vcc, v13, v15, vcc
	global_load_dwordx4 v[11:14], v[11:12], off
	s_waitcnt vmcnt(0)
	v_xor_b32_e32 v12, 0x80000000, v12
	v_xor_b32_e32 v14, 0x80000000, v14
	ds_write_b128 v10, v[11:14]
.LBB92_34:
	s_or_b64 exec, exec, s[0:1]
.LBB92_35:
	v_cndmask_b32_e64 v10, 0, 1, s[10:11]
	v_cmp_ne_u32_e64 s[0:1], 1, v10
	s_andn2_b64 vcc, exec, s[10:11]
	s_waitcnt vmcnt(0) lgkmcnt(0)
	s_barrier
	s_cbranch_vccnz .LBB92_459
; %bb.36:
	v_or_b32_e32 v10, v0, v1
	s_mov_b32 s8, 0
	v_cmp_eq_u32_e32 vcc, 0, v10
	s_and_saveexec_b64 s[2:3], vcc
	s_cbranch_execz .LBB92_38
; %bb.37:
	v_mov_b32_e32 v18, 0
	ds_read_b128 v[10:13], v18 offset:16
	s_mov_b32 s11, s8
	s_mov_b32 s9, 0x3ff00000
	;; [unrolled: 1-line block ×3, first 2 shown]
	v_mov_b32_e32 v17, s11
	v_mov_b32_e32 v16, s10
	;; [unrolled: 1-line block ×4, first 2 shown]
	ds_write_b128 v18, v[14:17]
	ds_write_b128 v18, v[14:17] offset:528
	s_waitcnt lgkmcnt(2)
	ds_write_b128 v18, v[10:13] offset:512
.LBB92_38:
	s_or_b64 exec, exec, s[2:3]
	v_and_b32_e32 v17, 1, v0
	v_lshrrev_b32_e32 v16, 1, v22
	v_lshlrev_b32_e32 v14, 4, v17
	v_mov_b32_e32 v12, 0
	v_mov_b32_e32 v10, 0
	v_cmp_lt_u32_e64 s[8:9], 3, v22
	v_cmp_gt_u32_e64 s[2:3], 4, v22
	v_mov_b32_e32 v13, 0
	v_mov_b32_e32 v11, 0
	v_lshl_or_b32 v14, v16, 9, v14
	s_waitcnt lgkmcnt(0)
	s_barrier
	s_and_saveexec_b64 s[12:13], s[2:3]
	s_cbranch_execz .LBB92_42
; %bb.39:
	v_mul_u32_u24_e32 v10, 0x210, v16
	ds_read_b128 v[10:13], v10
	ds_read_b128 v[18:21], v14 offset:32
	v_cmp_gt_u32_e64 s[10:11], 2, v22
	s_waitcnt lgkmcnt(0)
	v_mul_f64 v[23:24], v[12:13], v[20:21]
	v_mul_f64 v[20:21], v[10:11], v[20:21]
	v_fma_f64 v[10:11], v[10:11], v[18:19], -v[23:24]
	v_fma_f64 v[12:13], v[12:13], v[18:19], v[20:21]
	v_add_f64 v[10:11], v[10:11], 0
	v_add_f64 v[12:13], v[12:13], 0
	s_and_saveexec_b64 s[14:15], s[10:11]
	s_cbranch_execz .LBB92_41
; %bb.40:
	v_mov_b32_e32 v18, 0
	v_lshlrev_b32_e32 v15, 4, v0
	ds_read_b128 v[18:21], v18 offset:16
	ds_read_b128 v[23:26], v15 offset:544
	s_waitcnt lgkmcnt(0)
	v_mul_f64 v[27:28], v[20:21], v[25:26]
	v_mul_f64 v[25:26], v[18:19], v[25:26]
	v_fma_f64 v[18:19], v[18:19], v[23:24], -v[27:28]
	v_fma_f64 v[20:21], v[20:21], v[23:24], v[25:26]
	v_add_f64 v[10:11], v[10:11], v[18:19]
	v_add_f64 v[12:13], v[12:13], v[20:21]
.LBB92_41:
	s_or_b64 exec, exec, s[14:15]
	v_xor_b32_e32 v11, 0x80000000, v11
	v_xor_b32_e32 v13, 0x80000000, v13
.LBB92_42:
	s_or_b64 exec, exec, s[12:13]
	v_mov_b32_e32 v15, 0x4000
	v_cmp_eq_u32_e64 s[10:11], 0, v17
	s_xor_b64 s[12:13], s[8:9], -1
	v_lshl_add_u32 v15, v16, 4, v15
	s_and_b64 s[40:41], s[10:11], s[12:13]
	s_and_saveexec_b64 s[8:9], s[40:41]
; %bb.43:
	ds_write_b128 v15, v[10:13]
; %bb.44:
	s_or_b64 exec, exec, s[8:9]
	v_cmp_ne_u32_e64 s[8:9], 0, v17
	s_and_b64 s[38:39], s[8:9], s[12:13]
	s_waitcnt lgkmcnt(0)
	s_barrier
	s_and_saveexec_b64 s[8:9], s[38:39]
	s_cbranch_execz .LBB92_46
; %bb.45:
	v_mov_b32_e32 v21, 0
	ds_read_b128 v[17:20], v15
	ds_read_b128 v[23:26], v21 offset:1072
	s_waitcnt lgkmcnt(0)
	v_mul_f64 v[27:28], v[19:20], v[25:26]
	v_mul_f64 v[25:26], v[17:18], v[25:26]
	v_fma_f64 v[17:18], v[17:18], v[23:24], -v[27:28]
	v_fma_f64 v[19:20], v[19:20], v[23:24], v[25:26]
	v_add_f64 v[10:11], v[10:11], v[17:18]
	v_add_f64 v[12:13], v[12:13], v[19:20]
.LBB92_46:
	s_or_b64 exec, exec, s[8:9]
	s_barrier
	s_and_saveexec_b64 s[8:9], s[38:39]
; %bb.47:
	ds_write_b128 v15, v[10:13]
; %bb.48:
	s_or_b64 exec, exec, s[8:9]
	s_waitcnt lgkmcnt(0)
	s_barrier
	s_barrier
	s_and_saveexec_b64 s[8:9], s[2:3]
; %bb.49:
	v_xor_b32_e32 v11, 0x80000000, v11
	v_xor_b32_e32 v13, 0x80000000, v13
	ds_write_b128 v14, v[10:13] offset:32
; %bb.50:
	s_or_b64 exec, exec, s[8:9]
	v_cmp_eq_u32_e64 s[10:11], 0, v1
	v_cmp_gt_u32_e64 s[8:9], 2, v0
	s_and_b64 s[42:43], s[10:11], s[8:9]
	s_waitcnt lgkmcnt(0)
	s_barrier
	s_barrier
	s_and_saveexec_b64 s[8:9], s[42:43]
	s_cbranch_execz .LBB92_52
; %bb.51:
	v_lshlrev_b32_e32 v17, 9, v0
	ds_read_b128 v[10:13], v17 offset:32
	s_movk_i32 s12, 0xfe10
	v_mad_i32_i24 v18, v0, s12, v17
	s_waitcnt lgkmcnt(0)
	ds_write_b128 v18, v[10:13] offset:1024
	ds_read_b128 v[10:13], v17 offset:48
	s_waitcnt lgkmcnt(0)
	ds_write_b128 v18, v[10:13] offset:1536
.LBB92_52:
	s_or_b64 exec, exec, s[8:9]
	s_waitcnt lgkmcnt(0)
	s_barrier
	s_and_saveexec_b64 s[8:9], vcc
	s_cbranch_execz .LBB92_54
; %bb.53:
	s_mov_b32 s12, 0
	v_mov_b32_e32 v21, 0
	ds_read_b128 v[10:13], v21 offset:1072
	s_mov_b32 s15, s12
	s_mov_b32 s13, 0x3ff00000
	;; [unrolled: 1-line block ×3, first 2 shown]
	v_mov_b32_e32 v20, s15
	v_mov_b32_e32 v19, s14
	;; [unrolled: 1-line block ×4, first 2 shown]
	ds_write_b128 v21, v[17:20] offset:1056
	ds_write_b128 v21, v[17:20] offset:1584
	s_waitcnt lgkmcnt(2)
	ds_write_b128 v21, v[10:13] offset:1568
.LBB92_54:
	s_or_b64 exec, exec, s[8:9]
	v_and_b32_e32 v20, 3, v0
	v_lshrrev_b32_e32 v21, 2, v22
	v_lshlrev_b32_e32 v18, 4, v20
	v_mov_b32_e32 v12, 0
	v_mov_b32_e32 v10, 0
	v_cmp_lt_u32_e64 s[8:9], 15, v22
	v_cmp_gt_u32_e64 s[16:17], 16, v22
	v_mov_b32_e32 v13, 0
	v_mov_b32_e32 v11, 0
	v_lshl_or_b32 v17, v21, 9, v18
	s_waitcnt lgkmcnt(0)
	s_barrier
	s_and_saveexec_b64 s[14:15], s[16:17]
	s_cbranch_execz .LBB92_60
; %bb.55:
	v_mul_u32_u24_e32 v19, 0x210, v21
	ds_read_b128 v[10:13], v19
	ds_read_b128 v[23:26], v17 offset:64
	v_cmp_gt_u32_e64 s[12:13], 12, v22
	s_waitcnt lgkmcnt(0)
	v_mul_f64 v[27:28], v[12:13], v[25:26]
	v_mul_f64 v[25:26], v[10:11], v[25:26]
	v_fma_f64 v[10:11], v[10:11], v[23:24], -v[27:28]
	v_fma_f64 v[12:13], v[12:13], v[23:24], v[25:26]
	v_add_f64 v[10:11], v[10:11], 0
	v_add_f64 v[12:13], v[12:13], 0
	s_and_saveexec_b64 s[18:19], s[12:13]
	s_cbranch_execnz .LBB92_517
; %bb.56:
	s_or_b64 exec, exec, s[18:19]
	v_cmp_gt_u32_e64 s[12:13], 8, v22
	s_and_saveexec_b64 s[18:19], s[12:13]
	s_cbranch_execnz .LBB92_518
.LBB92_57:
	s_or_b64 exec, exec, s[18:19]
	v_cmp_gt_u32_e64 s[12:13], 4, v22
	s_and_saveexec_b64 s[18:19], s[12:13]
	s_cbranch_execz .LBB92_59
.LBB92_58:
	v_mov_b32_e32 v23, 0
	v_lshlrev_b32_e32 v19, 4, v0
	ds_read_b128 v[23:26], v23 offset:48
	ds_read_b128 v[27:30], v19 offset:1600
	s_waitcnt lgkmcnt(0)
	v_mul_f64 v[31:32], v[25:26], v[29:30]
	v_mul_f64 v[29:30], v[23:24], v[29:30]
	v_fma_f64 v[23:24], v[23:24], v[27:28], -v[31:32]
	v_fma_f64 v[25:26], v[25:26], v[27:28], v[29:30]
	v_add_f64 v[10:11], v[10:11], v[23:24]
	v_add_f64 v[12:13], v[12:13], v[25:26]
.LBB92_59:
	s_or_b64 exec, exec, s[18:19]
	v_xor_b32_e32 v11, 0x80000000, v11
	v_xor_b32_e32 v13, 0x80000000, v13
.LBB92_60:
	s_or_b64 exec, exec, s[14:15]
	v_mov_b32_e32 v19, 0x4000
	v_cmp_eq_u32_e64 s[12:13], 0, v20
	s_xor_b64 s[14:15], s[8:9], -1
	v_lshl_add_u32 v19, v21, 4, v19
	s_and_b64 s[46:47], s[12:13], s[14:15]
	s_and_saveexec_b64 s[8:9], s[46:47]
; %bb.61:
	ds_write_b128 v19, v[10:13]
; %bb.62:
	s_or_b64 exec, exec, s[8:9]
	v_cmp_ne_u32_e64 s[8:9], 0, v20
	s_and_b64 s[48:49], s[8:9], s[14:15]
	s_waitcnt lgkmcnt(0)
	s_barrier
	s_and_saveexec_b64 s[8:9], s[48:49]
	s_cbranch_execz .LBB92_64
; %bb.63:
	ds_read_b128 v[23:26], v19
	ds_read_b128 v[27:30], v18 offset:2112
	s_waitcnt lgkmcnt(0)
	v_mul_f64 v[31:32], v[25:26], v[29:30]
	v_mul_f64 v[29:30], v[23:24], v[29:30]
	v_fma_f64 v[23:24], v[23:24], v[27:28], -v[31:32]
	v_fma_f64 v[25:26], v[25:26], v[27:28], v[29:30]
	v_add_f64 v[10:11], v[10:11], v[23:24]
	v_add_f64 v[12:13], v[12:13], v[25:26]
.LBB92_64:
	s_or_b64 exec, exec, s[8:9]
	v_cmp_eq_u32_e64 s[8:9], 1, v20
	s_and_b64 s[50:51], s[8:9], s[14:15]
	s_barrier
	s_and_saveexec_b64 s[8:9], s[50:51]
; %bb.65:
	ds_write_b128 v19, v[10:13]
; %bb.66:
	s_or_b64 exec, exec, s[8:9]
	v_cmp_lt_u32_e64 s[8:9], 1, v20
	s_and_b64 s[52:53], s[8:9], s[14:15]
	s_waitcnt lgkmcnt(0)
	s_barrier
	s_and_saveexec_b64 s[8:9], s[52:53]
	s_cbranch_execz .LBB92_68
; %bb.67:
	ds_read_b128 v[23:26], v19
	ds_read_b128 v[27:30], v18 offset:2624
	s_waitcnt lgkmcnt(0)
	v_mul_f64 v[31:32], v[25:26], v[29:30]
	v_mul_f64 v[29:30], v[23:24], v[29:30]
	v_fma_f64 v[23:24], v[23:24], v[27:28], -v[31:32]
	v_fma_f64 v[25:26], v[25:26], v[27:28], v[29:30]
	v_add_f64 v[10:11], v[10:11], v[23:24]
	v_add_f64 v[12:13], v[12:13], v[25:26]
.LBB92_68:
	s_or_b64 exec, exec, s[8:9]
	v_cmp_eq_u32_e64 s[8:9], 2, v20
	s_and_b64 s[54:55], s[8:9], s[14:15]
	s_barrier
	s_and_saveexec_b64 s[8:9], s[54:55]
; %bb.69:
	ds_write_b128 v19, v[10:13]
; %bb.70:
	s_or_b64 exec, exec, s[8:9]
	v_cmp_eq_u32_e64 s[8:9], 3, v20
	s_and_b64 s[44:45], s[8:9], s[14:15]
	s_waitcnt lgkmcnt(0)
	s_barrier
	s_and_saveexec_b64 s[8:9], s[44:45]
	s_cbranch_execz .LBB92_72
; %bb.71:
	v_mov_b32_e32 v27, 0
	ds_read_b128 v[23:26], v19
	ds_read_b128 v[27:30], v27 offset:3184
	s_waitcnt lgkmcnt(0)
	v_mul_f64 v[31:32], v[25:26], v[29:30]
	v_mul_f64 v[29:30], v[23:24], v[29:30]
	v_fma_f64 v[23:24], v[23:24], v[27:28], -v[31:32]
	v_fma_f64 v[25:26], v[25:26], v[27:28], v[29:30]
	v_add_f64 v[10:11], v[10:11], v[23:24]
	v_add_f64 v[12:13], v[12:13], v[25:26]
.LBB92_72:
	s_or_b64 exec, exec, s[8:9]
	s_barrier
	s_and_saveexec_b64 s[8:9], s[44:45]
; %bb.73:
	ds_write_b128 v19, v[10:13]
; %bb.74:
	s_or_b64 exec, exec, s[8:9]
	s_waitcnt lgkmcnt(0)
	s_barrier
	s_barrier
	s_and_saveexec_b64 s[8:9], s[16:17]
; %bb.75:
	v_xor_b32_e32 v13, 0x80000000, v13
	v_xor_b32_e32 v11, 0x80000000, v11
	ds_write_b128 v17, v[10:13] offset:64
; %bb.76:
	s_or_b64 exec, exec, s[8:9]
	v_cmp_gt_u32_e64 s[8:9], 4, v0
	s_and_b64 s[56:57], s[10:11], s[8:9]
	s_waitcnt lgkmcnt(0)
	s_barrier
	s_barrier
	s_and_saveexec_b64 s[8:9], s[56:57]
	s_cbranch_execz .LBB92_78
; %bb.77:
	v_lshlrev_b32_e32 v23, 4, v0
	s_movk_i32 s12, 0x1f0
	v_mad_u32_u24 v24, v0, s12, v23
	ds_read_b128 v[10:13], v24 offset:64
	s_waitcnt lgkmcnt(0)
	ds_write_b128 v23, v[10:13] offset:2048
	ds_read_b128 v[10:13], v24 offset:80
	s_waitcnt lgkmcnt(0)
	ds_write_b128 v23, v[10:13] offset:2560
	;; [unrolled: 3-line block ×4, first 2 shown]
.LBB92_78:
	s_or_b64 exec, exec, s[8:9]
	s_waitcnt lgkmcnt(0)
	s_barrier
	s_and_saveexec_b64 s[8:9], vcc
	s_cbranch_execz .LBB92_80
; %bb.79:
	s_mov_b32 s12, 0
	v_mov_b32_e32 v27, 0
	ds_read_b128 v[10:13], v27 offset:2128
	s_mov_b32 s15, s12
	s_mov_b32 s13, 0x3ff00000
	;; [unrolled: 1-line block ×3, first 2 shown]
	v_mov_b32_e32 v26, s15
	v_mov_b32_e32 v25, s14
	;; [unrolled: 1-line block ×4, first 2 shown]
	ds_write_b128 v27, v[23:26] offset:2112
	ds_write_b128 v27, v[23:26] offset:2640
	s_waitcnt lgkmcnt(2)
	ds_write_b128 v27, v[10:13] offset:2624
.LBB92_80:
	s_or_b64 exec, exec, s[8:9]
	v_mov_b32_e32 v12, 0
	v_mov_b32_e32 v10, 0
	;; [unrolled: 1-line block ×4, first 2 shown]
	s_waitcnt lgkmcnt(0)
	s_barrier
	s_and_saveexec_b64 s[12:13], s[2:3]
	s_cbranch_execz .LBB92_84
; %bb.81:
	v_mul_u32_u24_e32 v10, 0x210, v16
	ds_read_b128 v[10:13], v10 offset:2112
	ds_read_b128 v[23:26], v14 offset:2144
	v_cmp_gt_u32_e64 s[8:9], 2, v22
	s_waitcnt lgkmcnt(0)
	v_mul_f64 v[27:28], v[12:13], v[25:26]
	v_mul_f64 v[25:26], v[10:11], v[25:26]
	v_fma_f64 v[10:11], v[10:11], v[23:24], -v[27:28]
	v_fma_f64 v[12:13], v[12:13], v[23:24], v[25:26]
	v_add_f64 v[10:11], v[10:11], 0
	v_add_f64 v[12:13], v[12:13], 0
	s_and_saveexec_b64 s[14:15], s[8:9]
	s_cbranch_execz .LBB92_83
; %bb.82:
	v_lshlrev_b32_e32 v27, 4, v0
	v_mov_b32_e32 v23, 0
	ds_read_b128 v[23:26], v23 offset:2128
	ds_read_b128 v[27:30], v27 offset:2656
	s_waitcnt lgkmcnt(0)
	v_mul_f64 v[31:32], v[25:26], v[29:30]
	v_mul_f64 v[29:30], v[23:24], v[29:30]
	v_fma_f64 v[23:24], v[23:24], v[27:28], -v[31:32]
	v_fma_f64 v[25:26], v[25:26], v[27:28], v[29:30]
	v_add_f64 v[10:11], v[10:11], v[23:24]
	v_add_f64 v[12:13], v[12:13], v[25:26]
.LBB92_83:
	s_or_b64 exec, exec, s[14:15]
	v_xor_b32_e32 v11, 0x80000000, v11
	v_xor_b32_e32 v13, 0x80000000, v13
.LBB92_84:
	s_or_b64 exec, exec, s[12:13]
	s_and_saveexec_b64 s[8:9], s[40:41]
; %bb.85:
	ds_write_b128 v15, v[10:13]
; %bb.86:
	s_or_b64 exec, exec, s[8:9]
	s_waitcnt lgkmcnt(0)
	s_barrier
	s_and_saveexec_b64 s[8:9], s[38:39]
	s_cbranch_execz .LBB92_88
; %bb.87:
	v_mov_b32_e32 v27, 0
	ds_read_b128 v[23:26], v15
	ds_read_b128 v[27:30], v27 offset:3184
	s_waitcnt lgkmcnt(0)
	v_mul_f64 v[31:32], v[25:26], v[29:30]
	v_mul_f64 v[29:30], v[23:24], v[29:30]
	v_fma_f64 v[23:24], v[23:24], v[27:28], -v[31:32]
	v_fma_f64 v[25:26], v[25:26], v[27:28], v[29:30]
	v_add_f64 v[10:11], v[10:11], v[23:24]
	v_add_f64 v[12:13], v[12:13], v[25:26]
.LBB92_88:
	s_or_b64 exec, exec, s[8:9]
	s_barrier
	s_and_saveexec_b64 s[8:9], s[38:39]
; %bb.89:
	ds_write_b128 v15, v[10:13]
; %bb.90:
	s_or_b64 exec, exec, s[8:9]
	s_waitcnt lgkmcnt(0)
	s_barrier
	s_barrier
	s_and_saveexec_b64 s[8:9], s[2:3]
; %bb.91:
	v_xor_b32_e32 v11, 0x80000000, v11
	v_xor_b32_e32 v13, 0x80000000, v13
	ds_write_b128 v14, v[10:13] offset:2144
; %bb.92:
	s_or_b64 exec, exec, s[8:9]
	s_waitcnt lgkmcnt(0)
	s_barrier
	s_barrier
	s_and_saveexec_b64 s[8:9], s[42:43]
	s_cbranch_execz .LBB92_94
; %bb.93:
	v_lshlrev_b32_e32 v23, 9, v0
	ds_read_b128 v[10:13], v23 offset:2144
	s_movk_i32 s12, 0xfe10
	v_mad_i32_i24 v24, v0, s12, v23
	s_waitcnt lgkmcnt(0)
	ds_write_b128 v24, v[10:13] offset:3136
	ds_read_b128 v[10:13], v23 offset:2160
	s_waitcnt lgkmcnt(0)
	ds_write_b128 v24, v[10:13] offset:3648
.LBB92_94:
	s_or_b64 exec, exec, s[8:9]
	s_waitcnt lgkmcnt(0)
	s_barrier
	s_and_saveexec_b64 s[8:9], vcc
	s_cbranch_execz .LBB92_96
; %bb.95:
	s_mov_b32 s12, 0
	v_mov_b32_e32 v27, 0
	ds_read_b128 v[10:13], v27 offset:3184
	s_mov_b32 s15, s12
	s_mov_b32 s13, 0x3ff00000
	;; [unrolled: 1-line block ×3, first 2 shown]
	v_mov_b32_e32 v26, s15
	v_mov_b32_e32 v25, s14
	;; [unrolled: 1-line block ×4, first 2 shown]
	ds_write_b128 v27, v[23:26] offset:3168
	ds_write_b128 v27, v[23:26] offset:3696
	s_waitcnt lgkmcnt(2)
	ds_write_b128 v27, v[10:13] offset:3680
.LBB92_96:
	s_or_b64 exec, exec, s[8:9]
	v_and_b32_e32 v26, 7, v0
	v_lshrrev_b32_e32 v27, 3, v22
	v_lshlrev_b32_e32 v24, 4, v26
	v_mov_b32_e32 v12, 0
	v_mov_b32_e32 v10, 0
	v_cmp_lt_u32_e64 s[12:13], 63, v22
	v_cmp_gt_u32_e64 s[8:9], 64, v22
	v_mov_b32_e32 v13, 0
	v_mov_b32_e32 v11, 0
	v_lshl_or_b32 v23, v27, 9, v24
	s_waitcnt lgkmcnt(0)
	s_barrier
	s_and_saveexec_b64 s[18:19], s[8:9]
	s_cbranch_execz .LBB92_106
; %bb.97:
	v_mul_u32_u24_e32 v25, 0x210, v27
	ds_read_b128 v[10:13], v25
	ds_read_b128 v[28:31], v23 offset:128
	v_cmp_gt_u32_e64 s[14:15], 56, v22
	s_waitcnt lgkmcnt(0)
	v_mul_f64 v[32:33], v[12:13], v[30:31]
	v_mul_f64 v[30:31], v[10:11], v[30:31]
	v_fma_f64 v[10:11], v[10:11], v[28:29], -v[32:33]
	v_fma_f64 v[12:13], v[12:13], v[28:29], v[30:31]
	v_add_f64 v[10:11], v[10:11], 0
	v_add_f64 v[12:13], v[12:13], 0
	s_and_saveexec_b64 s[58:59], s[14:15]
	s_cbranch_execnz .LBB92_519
; %bb.98:
	s_or_b64 exec, exec, s[58:59]
	v_cmp_gt_u32_e64 s[14:15], 48, v22
	s_and_saveexec_b64 s[58:59], s[14:15]
	s_cbranch_execnz .LBB92_520
.LBB92_99:
	s_or_b64 exec, exec, s[58:59]
	v_cmp_gt_u32_e64 s[14:15], 40, v22
	s_and_saveexec_b64 s[58:59], s[14:15]
	s_cbranch_execnz .LBB92_521
.LBB92_100:
	s_or_b64 exec, exec, s[58:59]
	v_cmp_gt_u32_e64 s[14:15], 32, v22
	s_and_saveexec_b64 s[58:59], s[14:15]
	s_cbranch_execnz .LBB92_522
.LBB92_101:
	s_or_b64 exec, exec, s[58:59]
	v_cmp_gt_u32_e64 s[14:15], 24, v22
	s_and_saveexec_b64 s[58:59], s[14:15]
	s_cbranch_execnz .LBB92_523
.LBB92_102:
	s_or_b64 exec, exec, s[58:59]
	v_cmp_gt_u32_e64 s[14:15], 16, v22
	s_and_saveexec_b64 s[58:59], s[14:15]
	s_cbranch_execnz .LBB92_524
.LBB92_103:
	s_or_b64 exec, exec, s[58:59]
	v_cmp_gt_u32_e64 s[14:15], 8, v22
	s_and_saveexec_b64 s[58:59], s[14:15]
	s_cbranch_execz .LBB92_105
.LBB92_104:
	v_mov_b32_e32 v28, 0
	v_lshlrev_b32_e32 v25, 4, v0
	ds_read_b128 v[28:31], v28 offset:112
	ds_read_b128 v[32:35], v25 offset:3712
	s_waitcnt lgkmcnt(0)
	v_mul_f64 v[36:37], v[30:31], v[34:35]
	v_mul_f64 v[34:35], v[28:29], v[34:35]
	v_fma_f64 v[28:29], v[28:29], v[32:33], -v[36:37]
	v_fma_f64 v[30:31], v[30:31], v[32:33], v[34:35]
	v_add_f64 v[10:11], v[10:11], v[28:29]
	v_add_f64 v[12:13], v[12:13], v[30:31]
.LBB92_105:
	s_or_b64 exec, exec, s[58:59]
	v_xor_b32_e32 v11, 0x80000000, v11
	v_xor_b32_e32 v13, 0x80000000, v13
.LBB92_106:
	s_or_b64 exec, exec, s[18:19]
	v_mov_b32_e32 v25, 0x4000
	v_cmp_eq_u32_e64 s[14:15], 0, v26
	s_xor_b64 s[18:19], s[12:13], -1
	v_lshl_add_u32 v25, v27, 4, v25
	s_and_b64 s[60:61], s[14:15], s[18:19]
	s_and_saveexec_b64 s[12:13], s[60:61]
; %bb.107:
	ds_write_b128 v25, v[10:13]
; %bb.108:
	s_or_b64 exec, exec, s[12:13]
	v_cmp_ne_u32_e64 s[12:13], 0, v26
	s_and_b64 s[62:63], s[12:13], s[18:19]
	s_waitcnt lgkmcnt(0)
	s_barrier
	s_and_saveexec_b64 s[12:13], s[62:63]
	s_cbranch_execz .LBB92_110
; %bb.109:
	ds_read_b128 v[28:31], v25
	ds_read_b128 v[32:35], v24 offset:4224
	s_waitcnt lgkmcnt(0)
	v_mul_f64 v[36:37], v[30:31], v[34:35]
	v_mul_f64 v[34:35], v[28:29], v[34:35]
	v_fma_f64 v[28:29], v[28:29], v[32:33], -v[36:37]
	v_fma_f64 v[30:31], v[30:31], v[32:33], v[34:35]
	v_add_f64 v[10:11], v[10:11], v[28:29]
	v_add_f64 v[12:13], v[12:13], v[30:31]
.LBB92_110:
	s_or_b64 exec, exec, s[12:13]
	v_cmp_eq_u32_e64 s[12:13], 1, v26
	s_and_b64 s[64:65], s[12:13], s[18:19]
	s_barrier
	s_and_saveexec_b64 s[12:13], s[64:65]
; %bb.111:
	ds_write_b128 v25, v[10:13]
; %bb.112:
	s_or_b64 exec, exec, s[12:13]
	v_cmp_lt_u32_e64 s[12:13], 1, v26
	s_and_b64 s[66:67], s[12:13], s[18:19]
	s_waitcnt lgkmcnt(0)
	s_barrier
	s_and_saveexec_b64 s[12:13], s[66:67]
	s_cbranch_execz .LBB92_114
; %bb.113:
	ds_read_b128 v[28:31], v25
	ds_read_b128 v[32:35], v24 offset:4736
	s_waitcnt lgkmcnt(0)
	v_mul_f64 v[36:37], v[30:31], v[34:35]
	v_mul_f64 v[34:35], v[28:29], v[34:35]
	v_fma_f64 v[28:29], v[28:29], v[32:33], -v[36:37]
	v_fma_f64 v[30:31], v[30:31], v[32:33], v[34:35]
	v_add_f64 v[10:11], v[10:11], v[28:29]
	v_add_f64 v[12:13], v[12:13], v[30:31]
.LBB92_114:
	s_or_b64 exec, exec, s[12:13]
	v_cmp_eq_u32_e64 s[12:13], 2, v26
	s_and_b64 s[68:69], s[12:13], s[18:19]
	s_barrier
	s_and_saveexec_b64 s[12:13], s[68:69]
; %bb.115:
	ds_write_b128 v25, v[10:13]
; %bb.116:
	s_or_b64 exec, exec, s[12:13]
	v_cmp_lt_u32_e64 s[12:13], 2, v26
	;; [unrolled: 26-line block ×5, first 2 shown]
	s_and_b64 s[82:83], s[12:13], s[18:19]
	s_waitcnt lgkmcnt(0)
	s_barrier
	s_and_saveexec_b64 s[12:13], s[82:83]
	s_cbranch_execz .LBB92_130
; %bb.129:
	ds_read_b128 v[28:31], v25
	ds_read_b128 v[32:35], v24 offset:6784
	s_waitcnt lgkmcnt(0)
	v_mul_f64 v[36:37], v[30:31], v[34:35]
	v_mul_f64 v[34:35], v[28:29], v[34:35]
	v_fma_f64 v[28:29], v[28:29], v[32:33], -v[36:37]
	v_fma_f64 v[30:31], v[30:31], v[32:33], v[34:35]
	v_add_f64 v[10:11], v[10:11], v[28:29]
	v_add_f64 v[12:13], v[12:13], v[30:31]
.LBB92_130:
	s_or_b64 exec, exec, s[12:13]
	v_cmp_eq_u32_e64 s[12:13], 6, v26
	s_and_b64 s[84:85], s[12:13], s[18:19]
	s_barrier
	s_and_saveexec_b64 s[12:13], s[84:85]
; %bb.131:
	ds_write_b128 v25, v[10:13]
; %bb.132:
	s_or_b64 exec, exec, s[12:13]
	v_cmp_eq_u32_e64 s[12:13], 7, v26
	s_and_b64 s[58:59], s[12:13], s[18:19]
	s_waitcnt lgkmcnt(0)
	s_barrier
	s_and_saveexec_b64 s[12:13], s[58:59]
	s_cbranch_execz .LBB92_134
; %bb.133:
	v_mov_b32_e32 v32, 0
	ds_read_b128 v[28:31], v25
	ds_read_b128 v[32:35], v32 offset:7408
	s_waitcnt lgkmcnt(0)
	v_mul_f64 v[36:37], v[30:31], v[34:35]
	v_mul_f64 v[34:35], v[28:29], v[34:35]
	v_fma_f64 v[28:29], v[28:29], v[32:33], -v[36:37]
	v_fma_f64 v[30:31], v[30:31], v[32:33], v[34:35]
	v_add_f64 v[10:11], v[10:11], v[28:29]
	v_add_f64 v[12:13], v[12:13], v[30:31]
.LBB92_134:
	s_or_b64 exec, exec, s[12:13]
	s_barrier
	s_and_saveexec_b64 s[12:13], s[58:59]
; %bb.135:
	ds_write_b128 v25, v[10:13]
; %bb.136:
	s_or_b64 exec, exec, s[12:13]
	s_waitcnt lgkmcnt(0)
	s_barrier
	s_barrier
	s_and_saveexec_b64 s[12:13], s[8:9]
; %bb.137:
	v_xor_b32_e32 v11, 0x80000000, v11
	v_xor_b32_e32 v13, 0x80000000, v13
	ds_write_b128 v23, v[10:13] offset:128
; %bb.138:
	s_or_b64 exec, exec, s[12:13]
	v_cmp_gt_u32_e64 s[12:13], 8, v0
	s_and_b64 s[86:87], s[10:11], s[12:13]
	s_waitcnt lgkmcnt(0)
	s_barrier
	s_barrier
	s_and_saveexec_b64 s[12:13], s[86:87]
	s_cbranch_execz .LBB92_140
; %bb.139:
	v_lshlrev_b32_e32 v28, 9, v0
	ds_read_b128 v[10:13], v28 offset:128
	s_movk_i32 s14, 0xfe10
	v_mad_i32_i24 v29, v0, s14, v28
	s_waitcnt lgkmcnt(0)
	ds_write_b128 v29, v[10:13] offset:4096
	ds_read_b128 v[10:13], v28 offset:144
	s_waitcnt lgkmcnt(0)
	ds_write_b128 v29, v[10:13] offset:4608
	ds_read_b128 v[10:13], v28 offset:160
	;; [unrolled: 3-line block ×7, first 2 shown]
	s_waitcnt lgkmcnt(0)
	ds_write_b128 v29, v[10:13] offset:7680
.LBB92_140:
	s_or_b64 exec, exec, s[12:13]
	s_waitcnt lgkmcnt(0)
	s_barrier
	s_and_saveexec_b64 s[12:13], vcc
	s_cbranch_execz .LBB92_142
; %bb.141:
	v_mov_b32_e32 v32, 0
	s_mov_b32 s88, 0
	ds_read_b128 v[10:13], v32 offset:4240
	s_mov_b32 s89, 0x3ff00000
	s_mov_b32 s90, s88
	;; [unrolled: 1-line block ×3, first 2 shown]
	v_mov_b32_e32 v28, s88
	v_mov_b32_e32 v29, s89
	;; [unrolled: 1-line block ×4, first 2 shown]
	ds_write_b128 v32, v[28:31] offset:4224
	ds_write_b128 v32, v[28:31] offset:4752
	s_waitcnt lgkmcnt(2)
	ds_write_b128 v32, v[10:13] offset:4736
.LBB92_142:
	s_or_b64 exec, exec, s[12:13]
	v_mov_b32_e32 v12, 0
	v_mov_b32_e32 v10, 0
	;; [unrolled: 1-line block ×4, first 2 shown]
	s_waitcnt lgkmcnt(0)
	s_barrier
	s_and_saveexec_b64 s[14:15], s[2:3]
	s_cbranch_execz .LBB92_146
; %bb.143:
	v_mul_u32_u24_e32 v10, 0x210, v16
	ds_read_b128 v[10:13], v10 offset:4224
	ds_read_b128 v[28:31], v14 offset:4256
	v_cmp_gt_u32_e64 s[12:13], 2, v22
	s_waitcnt lgkmcnt(0)
	v_mul_f64 v[32:33], v[12:13], v[30:31]
	v_mul_f64 v[30:31], v[10:11], v[30:31]
	v_fma_f64 v[10:11], v[10:11], v[28:29], -v[32:33]
	v_fma_f64 v[12:13], v[12:13], v[28:29], v[30:31]
	v_add_f64 v[10:11], v[10:11], 0
	v_add_f64 v[12:13], v[12:13], 0
	s_and_saveexec_b64 s[18:19], s[12:13]
	s_cbranch_execz .LBB92_145
; %bb.144:
	v_lshlrev_b32_e32 v32, 4, v0
	v_mov_b32_e32 v28, 0
	ds_read_b128 v[28:31], v28 offset:4240
	ds_read_b128 v[32:35], v32 offset:4768
	s_waitcnt lgkmcnt(0)
	v_mul_f64 v[36:37], v[30:31], v[34:35]
	v_mul_f64 v[34:35], v[28:29], v[34:35]
	v_fma_f64 v[28:29], v[28:29], v[32:33], -v[36:37]
	v_fma_f64 v[30:31], v[30:31], v[32:33], v[34:35]
	v_add_f64 v[10:11], v[10:11], v[28:29]
	v_add_f64 v[12:13], v[12:13], v[30:31]
.LBB92_145:
	s_or_b64 exec, exec, s[18:19]
	v_xor_b32_e32 v11, 0x80000000, v11
	v_xor_b32_e32 v13, 0x80000000, v13
.LBB92_146:
	s_or_b64 exec, exec, s[14:15]
	s_and_saveexec_b64 s[12:13], s[40:41]
; %bb.147:
	ds_write_b128 v15, v[10:13]
; %bb.148:
	s_or_b64 exec, exec, s[12:13]
	s_waitcnt lgkmcnt(0)
	s_barrier
	s_and_saveexec_b64 s[12:13], s[38:39]
	s_cbranch_execz .LBB92_150
; %bb.149:
	v_mov_b32_e32 v32, 0
	ds_read_b128 v[28:31], v15
	ds_read_b128 v[32:35], v32 offset:5296
	s_waitcnt lgkmcnt(0)
	v_mul_f64 v[36:37], v[30:31], v[34:35]
	v_mul_f64 v[34:35], v[28:29], v[34:35]
	v_fma_f64 v[28:29], v[28:29], v[32:33], -v[36:37]
	v_fma_f64 v[30:31], v[30:31], v[32:33], v[34:35]
	v_add_f64 v[10:11], v[10:11], v[28:29]
	v_add_f64 v[12:13], v[12:13], v[30:31]
.LBB92_150:
	s_or_b64 exec, exec, s[12:13]
	s_barrier
	s_and_saveexec_b64 s[12:13], s[38:39]
; %bb.151:
	ds_write_b128 v15, v[10:13]
; %bb.152:
	s_or_b64 exec, exec, s[12:13]
	s_waitcnt lgkmcnt(0)
	s_barrier
	s_barrier
	s_and_saveexec_b64 s[12:13], s[2:3]
; %bb.153:
	v_xor_b32_e32 v11, 0x80000000, v11
	v_xor_b32_e32 v13, 0x80000000, v13
	ds_write_b128 v14, v[10:13] offset:4256
; %bb.154:
	s_or_b64 exec, exec, s[12:13]
	s_waitcnt lgkmcnt(0)
	s_barrier
	s_barrier
	s_and_saveexec_b64 s[12:13], s[42:43]
	s_cbranch_execz .LBB92_156
; %bb.155:
	v_lshlrev_b32_e32 v28, 9, v0
	ds_read_b128 v[10:13], v28 offset:4256
	s_movk_i32 s14, 0xfe10
	v_mad_i32_i24 v29, v0, s14, v28
	s_waitcnt lgkmcnt(0)
	ds_write_b128 v29, v[10:13] offset:5248
	ds_read_b128 v[10:13], v28 offset:4272
	s_waitcnt lgkmcnt(0)
	ds_write_b128 v29, v[10:13] offset:5760
.LBB92_156:
	s_or_b64 exec, exec, s[12:13]
	s_waitcnt lgkmcnt(0)
	s_barrier
	s_and_saveexec_b64 s[12:13], vcc
	s_cbranch_execz .LBB92_158
; %bb.157:
	v_mov_b32_e32 v32, 0
	s_mov_b32 s88, 0
	ds_read_b128 v[10:13], v32 offset:5296
	s_mov_b32 s89, 0x3ff00000
	s_mov_b32 s90, s88
	;; [unrolled: 1-line block ×3, first 2 shown]
	v_mov_b32_e32 v28, s88
	v_mov_b32_e32 v29, s89
	;; [unrolled: 1-line block ×4, first 2 shown]
	ds_write_b128 v32, v[28:31] offset:5280
	ds_write_b128 v32, v[28:31] offset:5808
	s_waitcnt lgkmcnt(2)
	ds_write_b128 v32, v[10:13] offset:5792
.LBB92_158:
	s_or_b64 exec, exec, s[12:13]
	v_mov_b32_e32 v12, 0
	v_mov_b32_e32 v10, 0
	;; [unrolled: 1-line block ×4, first 2 shown]
	s_waitcnt lgkmcnt(0)
	s_barrier
	s_and_saveexec_b64 s[14:15], s[16:17]
	s_cbranch_execz .LBB92_164
; %bb.159:
	v_mul_u32_u24_e32 v28, 0x210, v21
	ds_read_b128 v[10:13], v28 offset:4224
	ds_read_b128 v[29:32], v17 offset:4288
	v_cmp_gt_u32_e64 s[12:13], 12, v22
	s_waitcnt lgkmcnt(0)
	v_mul_f64 v[33:34], v[12:13], v[31:32]
	v_mul_f64 v[31:32], v[10:11], v[31:32]
	v_fma_f64 v[10:11], v[10:11], v[29:30], -v[33:34]
	v_fma_f64 v[12:13], v[12:13], v[29:30], v[31:32]
	v_add_f64 v[10:11], v[10:11], 0
	v_add_f64 v[12:13], v[12:13], 0
	s_and_saveexec_b64 s[18:19], s[12:13]
	s_cbranch_execnz .LBB92_525
; %bb.160:
	s_or_b64 exec, exec, s[18:19]
	v_cmp_gt_u32_e64 s[12:13], 8, v22
	s_and_saveexec_b64 s[18:19], s[12:13]
	s_cbranch_execnz .LBB92_526
.LBB92_161:
	s_or_b64 exec, exec, s[18:19]
	v_cmp_gt_u32_e64 s[12:13], 4, v22
	s_and_saveexec_b64 s[18:19], s[12:13]
	s_cbranch_execz .LBB92_163
.LBB92_162:
	v_lshlrev_b32_e32 v32, 4, v0
	v_mov_b32_e32 v28, 0
	ds_read_b128 v[28:31], v28 offset:4272
	ds_read_b128 v[32:35], v32 offset:5824
	s_waitcnt lgkmcnt(0)
	v_mul_f64 v[36:37], v[30:31], v[34:35]
	v_mul_f64 v[34:35], v[28:29], v[34:35]
	v_fma_f64 v[28:29], v[28:29], v[32:33], -v[36:37]
	v_fma_f64 v[30:31], v[30:31], v[32:33], v[34:35]
	v_add_f64 v[10:11], v[10:11], v[28:29]
	v_add_f64 v[12:13], v[12:13], v[30:31]
.LBB92_163:
	s_or_b64 exec, exec, s[18:19]
	v_xor_b32_e32 v11, 0x80000000, v11
	v_xor_b32_e32 v13, 0x80000000, v13
.LBB92_164:
	s_or_b64 exec, exec, s[14:15]
	s_and_saveexec_b64 s[12:13], s[46:47]
; %bb.165:
	ds_write_b128 v19, v[10:13]
; %bb.166:
	s_or_b64 exec, exec, s[12:13]
	s_waitcnt lgkmcnt(0)
	s_barrier
	s_and_saveexec_b64 s[12:13], s[48:49]
	s_cbranch_execz .LBB92_168
; %bb.167:
	ds_read_b128 v[28:31], v19
	ds_read_b128 v[32:35], v18 offset:6336
	s_waitcnt lgkmcnt(0)
	v_mul_f64 v[36:37], v[30:31], v[34:35]
	v_mul_f64 v[34:35], v[28:29], v[34:35]
	v_fma_f64 v[28:29], v[28:29], v[32:33], -v[36:37]
	v_fma_f64 v[30:31], v[30:31], v[32:33], v[34:35]
	v_add_f64 v[10:11], v[10:11], v[28:29]
	v_add_f64 v[12:13], v[12:13], v[30:31]
.LBB92_168:
	s_or_b64 exec, exec, s[12:13]
	s_barrier
	s_and_saveexec_b64 s[12:13], s[50:51]
; %bb.169:
	ds_write_b128 v19, v[10:13]
; %bb.170:
	s_or_b64 exec, exec, s[12:13]
	s_waitcnt lgkmcnt(0)
	s_barrier
	s_and_saveexec_b64 s[12:13], s[52:53]
	s_cbranch_execz .LBB92_172
; %bb.171:
	ds_read_b128 v[28:31], v19
	ds_read_b128 v[32:35], v18 offset:6848
	s_waitcnt lgkmcnt(0)
	v_mul_f64 v[36:37], v[30:31], v[34:35]
	v_mul_f64 v[34:35], v[28:29], v[34:35]
	v_fma_f64 v[28:29], v[28:29], v[32:33], -v[36:37]
	v_fma_f64 v[30:31], v[30:31], v[32:33], v[34:35]
	v_add_f64 v[10:11], v[10:11], v[28:29]
	v_add_f64 v[12:13], v[12:13], v[30:31]
.LBB92_172:
	s_or_b64 exec, exec, s[12:13]
	s_barrier
	s_and_saveexec_b64 s[12:13], s[54:55]
; %bb.173:
	ds_write_b128 v19, v[10:13]
; %bb.174:
	s_or_b64 exec, exec, s[12:13]
	s_waitcnt lgkmcnt(0)
	s_barrier
	s_and_saveexec_b64 s[12:13], s[44:45]
	s_cbranch_execz .LBB92_176
; %bb.175:
	v_mov_b32_e32 v32, 0
	ds_read_b128 v[28:31], v19
	ds_read_b128 v[32:35], v32 offset:7408
	s_waitcnt lgkmcnt(0)
	v_mul_f64 v[36:37], v[30:31], v[34:35]
	v_mul_f64 v[34:35], v[28:29], v[34:35]
	v_fma_f64 v[28:29], v[28:29], v[32:33], -v[36:37]
	v_fma_f64 v[30:31], v[30:31], v[32:33], v[34:35]
	v_add_f64 v[10:11], v[10:11], v[28:29]
	v_add_f64 v[12:13], v[12:13], v[30:31]
.LBB92_176:
	s_or_b64 exec, exec, s[12:13]
	s_barrier
	s_and_saveexec_b64 s[12:13], s[44:45]
; %bb.177:
	ds_write_b128 v19, v[10:13]
; %bb.178:
	s_or_b64 exec, exec, s[12:13]
	s_waitcnt lgkmcnt(0)
	s_barrier
	s_barrier
	s_and_saveexec_b64 s[12:13], s[16:17]
; %bb.179:
	v_xor_b32_e32 v13, 0x80000000, v13
	v_xor_b32_e32 v11, 0x80000000, v11
	ds_write_b128 v17, v[10:13] offset:4288
; %bb.180:
	s_or_b64 exec, exec, s[12:13]
	s_waitcnt lgkmcnt(0)
	s_barrier
	s_barrier
	s_and_saveexec_b64 s[12:13], s[56:57]
	s_cbranch_execz .LBB92_182
; %bb.181:
	v_lshlrev_b32_e32 v28, 4, v0
	s_movk_i32 s14, 0x1f0
	v_mad_u32_u24 v29, v0, s14, v28
	ds_read_b128 v[10:13], v29 offset:4288
	s_waitcnt lgkmcnt(0)
	ds_write_b128 v28, v[10:13] offset:6272
	ds_read_b128 v[10:13], v29 offset:4304
	s_waitcnt lgkmcnt(0)
	ds_write_b128 v28, v[10:13] offset:6784
	;; [unrolled: 3-line block ×4, first 2 shown]
.LBB92_182:
	s_or_b64 exec, exec, s[12:13]
	s_waitcnt lgkmcnt(0)
	s_barrier
	s_and_saveexec_b64 s[12:13], vcc
	s_cbranch_execz .LBB92_184
; %bb.183:
	v_mov_b32_e32 v32, 0
	s_mov_b32 s88, 0
	ds_read_b128 v[10:13], v32 offset:6352
	s_mov_b32 s89, 0x3ff00000
	s_mov_b32 s90, s88
	s_mov_b32 s91, s88
	v_mov_b32_e32 v28, s88
	v_mov_b32_e32 v29, s89
	;; [unrolled: 1-line block ×4, first 2 shown]
	ds_write_b128 v32, v[28:31] offset:6336
	ds_write_b128 v32, v[28:31] offset:6864
	s_waitcnt lgkmcnt(2)
	ds_write_b128 v32, v[10:13] offset:6848
.LBB92_184:
	s_or_b64 exec, exec, s[12:13]
	v_mov_b32_e32 v12, 0
	v_mov_b32_e32 v10, 0
	;; [unrolled: 1-line block ×4, first 2 shown]
	s_waitcnt lgkmcnt(0)
	s_barrier
	s_and_saveexec_b64 s[14:15], s[2:3]
	s_cbranch_execz .LBB92_188
; %bb.185:
	v_mul_u32_u24_e32 v10, 0x210, v16
	ds_read_b128 v[10:13], v10 offset:6336
	ds_read_b128 v[28:31], v14 offset:6368
	v_cmp_gt_u32_e64 s[12:13], 2, v22
	s_waitcnt lgkmcnt(0)
	v_mul_f64 v[32:33], v[12:13], v[30:31]
	v_mul_f64 v[30:31], v[10:11], v[30:31]
	v_fma_f64 v[10:11], v[10:11], v[28:29], -v[32:33]
	v_fma_f64 v[12:13], v[12:13], v[28:29], v[30:31]
	v_add_f64 v[10:11], v[10:11], 0
	v_add_f64 v[12:13], v[12:13], 0
	s_and_saveexec_b64 s[18:19], s[12:13]
	s_cbranch_execz .LBB92_187
; %bb.186:
	v_lshlrev_b32_e32 v32, 4, v0
	v_mov_b32_e32 v28, 0
	ds_read_b128 v[28:31], v28 offset:6352
	ds_read_b128 v[32:35], v32 offset:6880
	s_waitcnt lgkmcnt(0)
	v_mul_f64 v[36:37], v[30:31], v[34:35]
	v_mul_f64 v[34:35], v[28:29], v[34:35]
	v_fma_f64 v[28:29], v[28:29], v[32:33], -v[36:37]
	v_fma_f64 v[30:31], v[30:31], v[32:33], v[34:35]
	v_add_f64 v[10:11], v[10:11], v[28:29]
	v_add_f64 v[12:13], v[12:13], v[30:31]
.LBB92_187:
	s_or_b64 exec, exec, s[18:19]
	v_xor_b32_e32 v11, 0x80000000, v11
	v_xor_b32_e32 v13, 0x80000000, v13
.LBB92_188:
	s_or_b64 exec, exec, s[14:15]
	s_and_saveexec_b64 s[12:13], s[40:41]
; %bb.189:
	ds_write_b128 v15, v[10:13]
; %bb.190:
	s_or_b64 exec, exec, s[12:13]
	s_waitcnt lgkmcnt(0)
	s_barrier
	s_and_saveexec_b64 s[12:13], s[38:39]
	s_cbranch_execz .LBB92_192
; %bb.191:
	v_mov_b32_e32 v32, 0
	ds_read_b128 v[28:31], v15
	ds_read_b128 v[32:35], v32 offset:7408
	s_waitcnt lgkmcnt(0)
	v_mul_f64 v[36:37], v[30:31], v[34:35]
	v_mul_f64 v[34:35], v[28:29], v[34:35]
	v_fma_f64 v[28:29], v[28:29], v[32:33], -v[36:37]
	v_fma_f64 v[30:31], v[30:31], v[32:33], v[34:35]
	v_add_f64 v[10:11], v[10:11], v[28:29]
	v_add_f64 v[12:13], v[12:13], v[30:31]
.LBB92_192:
	s_or_b64 exec, exec, s[12:13]
	s_barrier
	s_and_saveexec_b64 s[12:13], s[38:39]
; %bb.193:
	ds_write_b128 v15, v[10:13]
; %bb.194:
	s_or_b64 exec, exec, s[12:13]
	s_waitcnt lgkmcnt(0)
	s_barrier
	s_barrier
	s_and_saveexec_b64 s[12:13], s[2:3]
; %bb.195:
	v_xor_b32_e32 v11, 0x80000000, v11
	v_xor_b32_e32 v13, 0x80000000, v13
	ds_write_b128 v14, v[10:13] offset:6368
; %bb.196:
	s_or_b64 exec, exec, s[12:13]
	s_waitcnt lgkmcnt(0)
	s_barrier
	s_barrier
	s_and_saveexec_b64 s[12:13], s[42:43]
	s_cbranch_execz .LBB92_198
; %bb.197:
	v_lshlrev_b32_e32 v28, 9, v0
	ds_read_b128 v[10:13], v28 offset:6368
	s_movk_i32 s14, 0xfe10
	v_mad_i32_i24 v29, v0, s14, v28
	s_waitcnt lgkmcnt(0)
	ds_write_b128 v29, v[10:13] offset:7360
	ds_read_b128 v[10:13], v28 offset:6384
	s_waitcnt lgkmcnt(0)
	ds_write_b128 v29, v[10:13] offset:7872
.LBB92_198:
	s_or_b64 exec, exec, s[12:13]
	s_waitcnt lgkmcnt(0)
	s_barrier
	s_and_saveexec_b64 s[12:13], vcc
	s_cbranch_execz .LBB92_200
; %bb.199:
	v_mov_b32_e32 v32, 0
	s_mov_b32 s88, 0
	ds_read_b128 v[10:13], v32 offset:7408
	s_mov_b32 s89, 0x3ff00000
	s_mov_b32 s90, s88
	;; [unrolled: 1-line block ×3, first 2 shown]
	v_mov_b32_e32 v28, s88
	v_mov_b32_e32 v29, s89
	;; [unrolled: 1-line block ×4, first 2 shown]
	ds_write_b128 v32, v[28:31] offset:7392
	ds_write_b128 v32, v[28:31] offset:7920
	s_waitcnt lgkmcnt(2)
	ds_write_b128 v32, v[10:13] offset:7904
.LBB92_200:
	s_or_b64 exec, exec, s[12:13]
	v_and_b32_e32 v29, 15, v0
	s_movk_i32 s12, 0xff
	v_lshrrev_b32_e32 v31, 4, v22
	v_cmp_lt_u32_e64 s[14:15], s12, v22
	s_movk_i32 s12, 0x100
	v_lshlrev_b32_e32 v30, 4, v29
	v_mov_b32_e32 v12, 0
	v_mov_b32_e32 v10, 0
	v_cmp_gt_u32_e64 s[12:13], s12, v22
	v_mov_b32_e32 v13, 0
	v_mov_b32_e32 v11, 0
	v_lshl_or_b32 v28, v31, 9, v30
	s_waitcnt lgkmcnt(0)
	s_barrier
	s_and_saveexec_b64 s[88:89], s[12:13]
	s_cbranch_execz .LBB92_228
; %bb.201:
	v_mul_u32_u24_e32 v32, 0x210, v31
	ds_read_b128 v[10:13], v32
	ds_read_b128 v[33:36], v28 offset:256
	s_movk_i32 s18, 0xf0
	v_cmp_gt_u32_e64 s[18:19], s18, v22
	s_waitcnt lgkmcnt(0)
	v_mul_f64 v[37:38], v[12:13], v[35:36]
	v_mul_f64 v[35:36], v[10:11], v[35:36]
	v_fma_f64 v[10:11], v[10:11], v[33:34], -v[37:38]
	v_fma_f64 v[12:13], v[12:13], v[33:34], v[35:36]
	v_add_f64 v[10:11], v[10:11], 0
	v_add_f64 v[12:13], v[12:13], 0
	s_and_saveexec_b64 s[90:91], s[18:19]
	s_cbranch_execz .LBB92_203
; %bb.202:
	ds_read_b128 v[33:36], v32 offset:16
	ds_read_b128 v[37:40], v28 offset:768
	s_waitcnt lgkmcnt(0)
	v_mul_f64 v[41:42], v[35:36], v[39:40]
	v_mul_f64 v[39:40], v[33:34], v[39:40]
	v_fma_f64 v[33:34], v[33:34], v[37:38], -v[41:42]
	v_fma_f64 v[35:36], v[35:36], v[37:38], v[39:40]
	v_add_f64 v[10:11], v[10:11], v[33:34]
	v_add_f64 v[12:13], v[12:13], v[35:36]
.LBB92_203:
	s_or_b64 exec, exec, s[90:91]
	s_movk_i32 s18, 0xe0
	v_cmp_gt_u32_e64 s[18:19], s18, v22
	s_and_saveexec_b64 s[90:91], s[18:19]
	s_cbranch_execz .LBB92_205
; %bb.204:
	ds_read_b128 v[33:36], v32 offset:32
	ds_read_b128 v[37:40], v28 offset:1280
	s_waitcnt lgkmcnt(0)
	v_mul_f64 v[41:42], v[35:36], v[39:40]
	v_mul_f64 v[39:40], v[33:34], v[39:40]
	v_fma_f64 v[33:34], v[33:34], v[37:38], -v[41:42]
	v_fma_f64 v[35:36], v[35:36], v[37:38], v[39:40]
	v_add_f64 v[10:11], v[10:11], v[33:34]
	v_add_f64 v[12:13], v[12:13], v[35:36]
.LBB92_205:
	s_or_b64 exec, exec, s[90:91]
	s_movk_i32 s18, 0xd0
	v_cmp_gt_u32_e64 s[18:19], s18, v22
	;; [unrolled: 16-line block ×10, first 2 shown]
	s_and_saveexec_b64 s[90:91], s[18:19]
	s_cbranch_execnz .LBB92_527
; %bb.222:
	s_or_b64 exec, exec, s[90:91]
	v_cmp_gt_u32_e64 s[18:19], 64, v22
	s_and_saveexec_b64 s[90:91], s[18:19]
	s_cbranch_execnz .LBB92_528
.LBB92_223:
	s_or_b64 exec, exec, s[90:91]
	v_cmp_gt_u32_e64 s[18:19], 48, v22
	s_and_saveexec_b64 s[90:91], s[18:19]
	s_cbranch_execnz .LBB92_529
.LBB92_224:
	s_or_b64 exec, exec, s[90:91]
	v_cmp_gt_u32_e64 s[18:19], 32, v22
	s_and_saveexec_b64 s[90:91], s[18:19]
	s_cbranch_execnz .LBB92_530
.LBB92_225:
	s_or_b64 exec, exec, s[90:91]
	v_cmp_gt_u32_e64 s[18:19], 16, v22
	s_and_saveexec_b64 s[90:91], s[18:19]
	s_cbranch_execz .LBB92_227
.LBB92_226:
	v_lshlrev_b32_e32 v36, 4, v0
	v_mov_b32_e32 v32, 0
	ds_read_b128 v[32:35], v32 offset:240
	ds_read_b128 v[36:39], v36 offset:7936
	s_waitcnt lgkmcnt(0)
	v_mul_f64 v[40:41], v[34:35], v[38:39]
	v_mul_f64 v[38:39], v[32:33], v[38:39]
	v_fma_f64 v[32:33], v[32:33], v[36:37], -v[40:41]
	v_fma_f64 v[34:35], v[34:35], v[36:37], v[38:39]
	v_add_f64 v[10:11], v[10:11], v[32:33]
	v_add_f64 v[12:13], v[12:13], v[34:35]
.LBB92_227:
	s_or_b64 exec, exec, s[90:91]
	v_xor_b32_e32 v11, 0x80000000, v11
	v_xor_b32_e32 v13, 0x80000000, v13
.LBB92_228:
	s_or_b64 exec, exec, s[88:89]
	v_mov_b32_e32 v32, 0x4000
	v_cmp_eq_u32_e64 s[18:19], 0, v29
	s_xor_b64 s[88:89], s[14:15], -1
	v_lshl_add_u32 v31, v31, 4, v32
	s_and_b64 s[18:19], s[18:19], s[88:89]
	s_and_saveexec_b64 s[14:15], s[18:19]
; %bb.229:
	ds_write_b128 v31, v[10:13]
; %bb.230:
	s_or_b64 exec, exec, s[14:15]
	v_cmp_ne_u32_e64 s[14:15], 0, v29
	s_and_b64 s[18:19], s[14:15], s[88:89]
	s_waitcnt lgkmcnt(0)
	s_barrier
	s_and_saveexec_b64 s[14:15], s[18:19]
	s_cbranch_execz .LBB92_232
; %bb.231:
	ds_read_b128 v[32:35], v31
	ds_read_b128 v[36:39], v30 offset:8448
	s_waitcnt lgkmcnt(0)
	v_mul_f64 v[40:41], v[34:35], v[38:39]
	v_mul_f64 v[38:39], v[32:33], v[38:39]
	v_fma_f64 v[32:33], v[32:33], v[36:37], -v[40:41]
	v_fma_f64 v[34:35], v[34:35], v[36:37], v[38:39]
	v_add_f64 v[10:11], v[10:11], v[32:33]
	v_add_f64 v[12:13], v[12:13], v[34:35]
.LBB92_232:
	s_or_b64 exec, exec, s[14:15]
	v_cmp_eq_u32_e64 s[14:15], 1, v29
	s_and_b64 s[18:19], s[14:15], s[88:89]
	s_barrier
	s_and_saveexec_b64 s[14:15], s[18:19]
; %bb.233:
	ds_write_b128 v31, v[10:13]
; %bb.234:
	s_or_b64 exec, exec, s[14:15]
	v_cmp_lt_u32_e64 s[14:15], 1, v29
	s_and_b64 s[18:19], s[14:15], s[88:89]
	s_waitcnt lgkmcnt(0)
	s_barrier
	s_and_saveexec_b64 s[14:15], s[18:19]
	s_cbranch_execz .LBB92_236
; %bb.235:
	ds_read_b128 v[32:35], v31
	ds_read_b128 v[36:39], v30 offset:8960
	s_waitcnt lgkmcnt(0)
	v_mul_f64 v[40:41], v[34:35], v[38:39]
	v_mul_f64 v[38:39], v[32:33], v[38:39]
	v_fma_f64 v[32:33], v[32:33], v[36:37], -v[40:41]
	v_fma_f64 v[34:35], v[34:35], v[36:37], v[38:39]
	v_add_f64 v[10:11], v[10:11], v[32:33]
	v_add_f64 v[12:13], v[12:13], v[34:35]
.LBB92_236:
	s_or_b64 exec, exec, s[14:15]
	v_cmp_eq_u32_e64 s[14:15], 2, v29
	s_and_b64 s[18:19], s[14:15], s[88:89]
	s_barrier
	s_and_saveexec_b64 s[14:15], s[18:19]
; %bb.237:
	ds_write_b128 v31, v[10:13]
; %bb.238:
	s_or_b64 exec, exec, s[14:15]
	v_cmp_lt_u32_e64 s[14:15], 2, v29
	;; [unrolled: 26-line block ×13, first 2 shown]
	s_and_b64 s[18:19], s[14:15], s[88:89]
	s_waitcnt lgkmcnt(0)
	s_barrier
	s_and_saveexec_b64 s[14:15], s[18:19]
	s_cbranch_execz .LBB92_284
; %bb.283:
	ds_read_b128 v[32:35], v31
	ds_read_b128 v[36:39], v30 offset:15104
	s_waitcnt lgkmcnt(0)
	v_mul_f64 v[40:41], v[34:35], v[38:39]
	v_mul_f64 v[38:39], v[32:33], v[38:39]
	v_fma_f64 v[32:33], v[32:33], v[36:37], -v[40:41]
	v_fma_f64 v[34:35], v[34:35], v[36:37], v[38:39]
	v_add_f64 v[10:11], v[10:11], v[32:33]
	v_add_f64 v[12:13], v[12:13], v[34:35]
.LBB92_284:
	s_or_b64 exec, exec, s[14:15]
	v_cmp_eq_u32_e64 s[14:15], 14, v29
	s_and_b64 s[18:19], s[14:15], s[88:89]
	s_barrier
	s_and_saveexec_b64 s[14:15], s[18:19]
; %bb.285:
	ds_write_b128 v31, v[10:13]
; %bb.286:
	s_or_b64 exec, exec, s[14:15]
	v_cmp_eq_u32_e64 s[14:15], 15, v29
	s_and_b64 s[14:15], s[14:15], s[88:89]
	s_waitcnt lgkmcnt(0)
	s_barrier
	s_and_saveexec_b64 s[18:19], s[14:15]
	s_cbranch_execz .LBB92_288
; %bb.287:
	v_mov_b32_e32 v29, 0
	ds_read_b128 v[32:35], v31
	ds_read_b128 v[36:39], v29 offset:15856
	s_waitcnt lgkmcnt(0)
	v_mul_f64 v[29:30], v[34:35], v[38:39]
	v_mul_f64 v[38:39], v[32:33], v[38:39]
	v_fma_f64 v[29:30], v[32:33], v[36:37], -v[29:30]
	v_fma_f64 v[32:33], v[34:35], v[36:37], v[38:39]
	v_add_f64 v[10:11], v[10:11], v[29:30]
	v_add_f64 v[12:13], v[12:13], v[32:33]
.LBB92_288:
	s_or_b64 exec, exec, s[18:19]
	s_barrier
	s_and_saveexec_b64 s[18:19], s[14:15]
; %bb.289:
	ds_write_b128 v31, v[10:13]
; %bb.290:
	s_or_b64 exec, exec, s[18:19]
	s_waitcnt lgkmcnt(0)
	s_barrier
	s_barrier
	s_and_saveexec_b64 s[14:15], s[12:13]
; %bb.291:
	v_xor_b32_e32 v13, 0x80000000, v13
	v_xor_b32_e32 v11, 0x80000000, v11
	ds_write_b128 v28, v[10:13] offset:256
; %bb.292:
	s_or_b64 exec, exec, s[14:15]
	v_cmp_gt_u32_e64 s[12:13], 16, v0
	s_and_b64 s[12:13], s[10:11], s[12:13]
	s_waitcnt lgkmcnt(0)
	s_barrier
	s_barrier
	s_and_saveexec_b64 s[10:11], s[12:13]
	s_cbranch_execz .LBB92_294
; %bb.293:
	v_lshlrev_b32_e32 v28, 9, v0
	ds_read_b128 v[10:13], v28 offset:256
	s_movk_i32 s12, 0xfe10
	v_mad_i32_i24 v29, v0, s12, v28
	s_waitcnt lgkmcnt(0)
	ds_write_b128 v29, v[10:13] offset:8192
	ds_read_b128 v[10:13], v28 offset:272
	s_waitcnt lgkmcnt(0)
	ds_write_b128 v29, v[10:13] offset:8704
	ds_read_b128 v[10:13], v28 offset:288
	;; [unrolled: 3-line block ×15, first 2 shown]
	s_waitcnt lgkmcnt(0)
	ds_write_b128 v29, v[10:13] offset:15872
.LBB92_294:
	s_or_b64 exec, exec, s[10:11]
	s_waitcnt lgkmcnt(0)
	s_barrier
	s_and_saveexec_b64 s[10:11], vcc
	s_cbranch_execz .LBB92_296
; %bb.295:
	s_mov_b32 s12, 0
	v_mov_b32_e32 v32, 0
	ds_read_b128 v[10:13], v32 offset:8464
	s_mov_b32 s15, s12
	s_mov_b32 s13, 0x3ff00000
	;; [unrolled: 1-line block ×3, first 2 shown]
	v_mov_b32_e32 v31, s15
	v_mov_b32_e32 v30, s14
	v_mov_b32_e32 v29, s13
	v_mov_b32_e32 v28, s12
	ds_write_b128 v32, v[28:31] offset:8448
	ds_write_b128 v32, v[28:31] offset:8976
	s_waitcnt lgkmcnt(2)
	ds_write_b128 v32, v[10:13] offset:8960
.LBB92_296:
	s_or_b64 exec, exec, s[10:11]
	v_mov_b32_e32 v12, 0
	v_mov_b32_e32 v10, 0
	;; [unrolled: 1-line block ×4, first 2 shown]
	s_waitcnt lgkmcnt(0)
	s_barrier
	s_and_saveexec_b64 s[12:13], s[2:3]
	s_cbranch_execz .LBB92_300
; %bb.297:
	v_mul_u32_u24_e32 v10, 0x210, v16
	ds_read_b128 v[10:13], v10 offset:8448
	ds_read_b128 v[28:31], v14 offset:8480
	v_cmp_gt_u32_e64 s[10:11], 2, v22
	s_waitcnt lgkmcnt(0)
	v_mul_f64 v[32:33], v[12:13], v[30:31]
	v_mul_f64 v[30:31], v[10:11], v[30:31]
	v_fma_f64 v[10:11], v[10:11], v[28:29], -v[32:33]
	v_fma_f64 v[12:13], v[12:13], v[28:29], v[30:31]
	v_add_f64 v[10:11], v[10:11], 0
	v_add_f64 v[12:13], v[12:13], 0
	s_and_saveexec_b64 s[14:15], s[10:11]
	s_cbranch_execz .LBB92_299
; %bb.298:
	v_lshlrev_b32_e32 v32, 4, v0
	v_mov_b32_e32 v28, 0
	ds_read_b128 v[28:31], v28 offset:8464
	ds_read_b128 v[32:35], v32 offset:8992
	s_waitcnt lgkmcnt(0)
	v_mul_f64 v[36:37], v[30:31], v[34:35]
	v_mul_f64 v[34:35], v[28:29], v[34:35]
	v_fma_f64 v[28:29], v[28:29], v[32:33], -v[36:37]
	v_fma_f64 v[30:31], v[30:31], v[32:33], v[34:35]
	v_add_f64 v[10:11], v[10:11], v[28:29]
	v_add_f64 v[12:13], v[12:13], v[30:31]
.LBB92_299:
	s_or_b64 exec, exec, s[14:15]
	v_xor_b32_e32 v11, 0x80000000, v11
	v_xor_b32_e32 v13, 0x80000000, v13
.LBB92_300:
	s_or_b64 exec, exec, s[12:13]
	s_and_saveexec_b64 s[10:11], s[40:41]
; %bb.301:
	ds_write_b128 v15, v[10:13]
; %bb.302:
	s_or_b64 exec, exec, s[10:11]
	s_waitcnt lgkmcnt(0)
	s_barrier
	s_and_saveexec_b64 s[10:11], s[38:39]
	s_cbranch_execz .LBB92_304
; %bb.303:
	v_mov_b32_e32 v32, 0
	ds_read_b128 v[28:31], v15
	ds_read_b128 v[32:35], v32 offset:9520
	s_waitcnt lgkmcnt(0)
	v_mul_f64 v[36:37], v[30:31], v[34:35]
	v_mul_f64 v[34:35], v[28:29], v[34:35]
	v_fma_f64 v[28:29], v[28:29], v[32:33], -v[36:37]
	v_fma_f64 v[30:31], v[30:31], v[32:33], v[34:35]
	v_add_f64 v[10:11], v[10:11], v[28:29]
	v_add_f64 v[12:13], v[12:13], v[30:31]
.LBB92_304:
	s_or_b64 exec, exec, s[10:11]
	s_barrier
	s_and_saveexec_b64 s[10:11], s[38:39]
; %bb.305:
	ds_write_b128 v15, v[10:13]
; %bb.306:
	s_or_b64 exec, exec, s[10:11]
	s_waitcnt lgkmcnt(0)
	s_barrier
	s_barrier
	s_and_saveexec_b64 s[10:11], s[2:3]
; %bb.307:
	v_xor_b32_e32 v11, 0x80000000, v11
	v_xor_b32_e32 v13, 0x80000000, v13
	ds_write_b128 v14, v[10:13] offset:8480
; %bb.308:
	s_or_b64 exec, exec, s[10:11]
	s_waitcnt lgkmcnt(0)
	s_barrier
	s_barrier
	s_and_saveexec_b64 s[10:11], s[42:43]
	s_cbranch_execz .LBB92_310
; %bb.309:
	v_lshlrev_b32_e32 v28, 9, v0
	ds_read_b128 v[10:13], v28 offset:8480
	s_movk_i32 s12, 0xfe10
	v_mad_i32_i24 v29, v0, s12, v28
	s_waitcnt lgkmcnt(0)
	ds_write_b128 v29, v[10:13] offset:9472
	ds_read_b128 v[10:13], v28 offset:8496
	s_waitcnt lgkmcnt(0)
	ds_write_b128 v29, v[10:13] offset:9984
.LBB92_310:
	s_or_b64 exec, exec, s[10:11]
	s_waitcnt lgkmcnt(0)
	s_barrier
	s_and_saveexec_b64 s[10:11], vcc
	s_cbranch_execz .LBB92_312
; %bb.311:
	s_mov_b32 s12, 0
	v_mov_b32_e32 v32, 0
	ds_read_b128 v[10:13], v32 offset:9520
	s_mov_b32 s15, s12
	s_mov_b32 s13, 0x3ff00000
	;; [unrolled: 1-line block ×3, first 2 shown]
	v_mov_b32_e32 v31, s15
	v_mov_b32_e32 v30, s14
	;; [unrolled: 1-line block ×4, first 2 shown]
	ds_write_b128 v32, v[28:31] offset:9504
	ds_write_b128 v32, v[28:31] offset:10032
	s_waitcnt lgkmcnt(2)
	ds_write_b128 v32, v[10:13] offset:10016
.LBB92_312:
	s_or_b64 exec, exec, s[10:11]
	v_mov_b32_e32 v12, 0
	v_mov_b32_e32 v10, 0
	;; [unrolled: 1-line block ×4, first 2 shown]
	s_waitcnt lgkmcnt(0)
	s_barrier
	s_and_saveexec_b64 s[12:13], s[16:17]
	s_cbranch_execz .LBB92_318
; %bb.313:
	v_mul_u32_u24_e32 v28, 0x210, v21
	ds_read_b128 v[10:13], v28 offset:8448
	ds_read_b128 v[29:32], v17 offset:8512
	v_cmp_gt_u32_e64 s[10:11], 12, v22
	s_waitcnt lgkmcnt(0)
	v_mul_f64 v[33:34], v[12:13], v[31:32]
	v_mul_f64 v[31:32], v[10:11], v[31:32]
	v_fma_f64 v[10:11], v[10:11], v[29:30], -v[33:34]
	v_fma_f64 v[12:13], v[12:13], v[29:30], v[31:32]
	v_add_f64 v[10:11], v[10:11], 0
	v_add_f64 v[12:13], v[12:13], 0
	s_and_saveexec_b64 s[14:15], s[10:11]
	s_cbranch_execnz .LBB92_531
; %bb.314:
	s_or_b64 exec, exec, s[14:15]
	v_cmp_gt_u32_e64 s[10:11], 8, v22
	s_and_saveexec_b64 s[14:15], s[10:11]
	s_cbranch_execnz .LBB92_532
.LBB92_315:
	s_or_b64 exec, exec, s[14:15]
	v_cmp_gt_u32_e64 s[10:11], 4, v22
	s_and_saveexec_b64 s[14:15], s[10:11]
	s_cbranch_execz .LBB92_317
.LBB92_316:
	v_lshlrev_b32_e32 v32, 4, v0
	v_mov_b32_e32 v28, 0
	ds_read_b128 v[28:31], v28 offset:8496
	ds_read_b128 v[32:35], v32 offset:10048
	s_waitcnt lgkmcnt(0)
	v_mul_f64 v[36:37], v[30:31], v[34:35]
	v_mul_f64 v[34:35], v[28:29], v[34:35]
	v_fma_f64 v[28:29], v[28:29], v[32:33], -v[36:37]
	v_fma_f64 v[30:31], v[30:31], v[32:33], v[34:35]
	v_add_f64 v[10:11], v[10:11], v[28:29]
	v_add_f64 v[12:13], v[12:13], v[30:31]
.LBB92_317:
	s_or_b64 exec, exec, s[14:15]
	v_xor_b32_e32 v11, 0x80000000, v11
	v_xor_b32_e32 v13, 0x80000000, v13
.LBB92_318:
	s_or_b64 exec, exec, s[12:13]
	s_and_saveexec_b64 s[10:11], s[46:47]
; %bb.319:
	ds_write_b128 v19, v[10:13]
; %bb.320:
	s_or_b64 exec, exec, s[10:11]
	s_waitcnt lgkmcnt(0)
	s_barrier
	s_and_saveexec_b64 s[10:11], s[48:49]
	s_cbranch_execz .LBB92_322
; %bb.321:
	ds_read_b128 v[28:31], v19
	ds_read_b128 v[32:35], v18 offset:10560
	s_waitcnt lgkmcnt(0)
	v_mul_f64 v[36:37], v[30:31], v[34:35]
	v_mul_f64 v[34:35], v[28:29], v[34:35]
	v_fma_f64 v[28:29], v[28:29], v[32:33], -v[36:37]
	v_fma_f64 v[30:31], v[30:31], v[32:33], v[34:35]
	v_add_f64 v[10:11], v[10:11], v[28:29]
	v_add_f64 v[12:13], v[12:13], v[30:31]
.LBB92_322:
	s_or_b64 exec, exec, s[10:11]
	s_barrier
	s_and_saveexec_b64 s[10:11], s[50:51]
; %bb.323:
	ds_write_b128 v19, v[10:13]
; %bb.324:
	s_or_b64 exec, exec, s[10:11]
	s_waitcnt lgkmcnt(0)
	s_barrier
	s_and_saveexec_b64 s[10:11], s[52:53]
	s_cbranch_execz .LBB92_326
; %bb.325:
	ds_read_b128 v[28:31], v19
	ds_read_b128 v[32:35], v18 offset:11072
	s_waitcnt lgkmcnt(0)
	v_mul_f64 v[36:37], v[30:31], v[34:35]
	v_mul_f64 v[34:35], v[28:29], v[34:35]
	v_fma_f64 v[28:29], v[28:29], v[32:33], -v[36:37]
	v_fma_f64 v[30:31], v[30:31], v[32:33], v[34:35]
	v_add_f64 v[10:11], v[10:11], v[28:29]
	v_add_f64 v[12:13], v[12:13], v[30:31]
.LBB92_326:
	s_or_b64 exec, exec, s[10:11]
	s_barrier
	s_and_saveexec_b64 s[10:11], s[54:55]
; %bb.327:
	ds_write_b128 v19, v[10:13]
; %bb.328:
	s_or_b64 exec, exec, s[10:11]
	s_waitcnt lgkmcnt(0)
	s_barrier
	s_and_saveexec_b64 s[10:11], s[44:45]
	s_cbranch_execz .LBB92_330
; %bb.329:
	v_mov_b32_e32 v32, 0
	ds_read_b128 v[28:31], v19
	ds_read_b128 v[32:35], v32 offset:11632
	s_waitcnt lgkmcnt(0)
	v_mul_f64 v[36:37], v[30:31], v[34:35]
	v_mul_f64 v[34:35], v[28:29], v[34:35]
	v_fma_f64 v[28:29], v[28:29], v[32:33], -v[36:37]
	v_fma_f64 v[30:31], v[30:31], v[32:33], v[34:35]
	v_add_f64 v[10:11], v[10:11], v[28:29]
	v_add_f64 v[12:13], v[12:13], v[30:31]
.LBB92_330:
	s_or_b64 exec, exec, s[10:11]
	s_barrier
	s_and_saveexec_b64 s[10:11], s[44:45]
; %bb.331:
	ds_write_b128 v19, v[10:13]
; %bb.332:
	s_or_b64 exec, exec, s[10:11]
	s_waitcnt lgkmcnt(0)
	s_barrier
	s_barrier
	s_and_saveexec_b64 s[10:11], s[16:17]
; %bb.333:
	v_xor_b32_e32 v13, 0x80000000, v13
	v_xor_b32_e32 v11, 0x80000000, v11
	ds_write_b128 v17, v[10:13] offset:8512
; %bb.334:
	s_or_b64 exec, exec, s[10:11]
	s_waitcnt lgkmcnt(0)
	s_barrier
	s_barrier
	s_and_saveexec_b64 s[10:11], s[56:57]
	s_cbranch_execz .LBB92_336
; %bb.335:
	v_lshlrev_b32_e32 v28, 4, v0
	s_movk_i32 s12, 0x1f0
	v_mad_u32_u24 v29, v0, s12, v28
	ds_read_b128 v[10:13], v29 offset:8512
	s_waitcnt lgkmcnt(0)
	ds_write_b128 v28, v[10:13] offset:10496
	ds_read_b128 v[10:13], v29 offset:8528
	s_waitcnt lgkmcnt(0)
	ds_write_b128 v28, v[10:13] offset:11008
	;; [unrolled: 3-line block ×4, first 2 shown]
.LBB92_336:
	s_or_b64 exec, exec, s[10:11]
	s_waitcnt lgkmcnt(0)
	s_barrier
	s_and_saveexec_b64 s[10:11], vcc
	s_cbranch_execz .LBB92_338
; %bb.337:
	s_mov_b32 s12, 0
	v_mov_b32_e32 v32, 0
	ds_read_b128 v[10:13], v32 offset:10576
	s_mov_b32 s15, s12
	s_mov_b32 s13, 0x3ff00000
	;; [unrolled: 1-line block ×3, first 2 shown]
	v_mov_b32_e32 v31, s15
	v_mov_b32_e32 v30, s14
	;; [unrolled: 1-line block ×4, first 2 shown]
	ds_write_b128 v32, v[28:31] offset:10560
	ds_write_b128 v32, v[28:31] offset:11088
	s_waitcnt lgkmcnt(2)
	ds_write_b128 v32, v[10:13] offset:11072
.LBB92_338:
	s_or_b64 exec, exec, s[10:11]
	v_mov_b32_e32 v12, 0
	v_mov_b32_e32 v10, 0
	;; [unrolled: 1-line block ×4, first 2 shown]
	s_waitcnt lgkmcnt(0)
	s_barrier
	s_and_saveexec_b64 s[12:13], s[2:3]
	s_cbranch_execz .LBB92_342
; %bb.339:
	v_mul_u32_u24_e32 v10, 0x210, v16
	ds_read_b128 v[10:13], v10 offset:10560
	ds_read_b128 v[28:31], v14 offset:10592
	v_cmp_gt_u32_e64 s[10:11], 2, v22
	s_waitcnt lgkmcnt(0)
	v_mul_f64 v[32:33], v[12:13], v[30:31]
	v_mul_f64 v[30:31], v[10:11], v[30:31]
	v_fma_f64 v[10:11], v[10:11], v[28:29], -v[32:33]
	v_fma_f64 v[12:13], v[12:13], v[28:29], v[30:31]
	v_add_f64 v[10:11], v[10:11], 0
	v_add_f64 v[12:13], v[12:13], 0
	s_and_saveexec_b64 s[14:15], s[10:11]
	s_cbranch_execz .LBB92_341
; %bb.340:
	v_lshlrev_b32_e32 v32, 4, v0
	v_mov_b32_e32 v28, 0
	ds_read_b128 v[28:31], v28 offset:10576
	ds_read_b128 v[32:35], v32 offset:11104
	s_waitcnt lgkmcnt(0)
	v_mul_f64 v[36:37], v[30:31], v[34:35]
	v_mul_f64 v[34:35], v[28:29], v[34:35]
	v_fma_f64 v[28:29], v[28:29], v[32:33], -v[36:37]
	v_fma_f64 v[30:31], v[30:31], v[32:33], v[34:35]
	v_add_f64 v[10:11], v[10:11], v[28:29]
	v_add_f64 v[12:13], v[12:13], v[30:31]
.LBB92_341:
	s_or_b64 exec, exec, s[14:15]
	v_xor_b32_e32 v11, 0x80000000, v11
	v_xor_b32_e32 v13, 0x80000000, v13
.LBB92_342:
	s_or_b64 exec, exec, s[12:13]
	s_and_saveexec_b64 s[10:11], s[40:41]
; %bb.343:
	ds_write_b128 v15, v[10:13]
; %bb.344:
	s_or_b64 exec, exec, s[10:11]
	s_waitcnt lgkmcnt(0)
	s_barrier
	s_and_saveexec_b64 s[10:11], s[38:39]
	s_cbranch_execz .LBB92_346
; %bb.345:
	v_mov_b32_e32 v32, 0
	ds_read_b128 v[28:31], v15
	ds_read_b128 v[32:35], v32 offset:11632
	s_waitcnt lgkmcnt(0)
	v_mul_f64 v[36:37], v[30:31], v[34:35]
	v_mul_f64 v[34:35], v[28:29], v[34:35]
	v_fma_f64 v[28:29], v[28:29], v[32:33], -v[36:37]
	v_fma_f64 v[30:31], v[30:31], v[32:33], v[34:35]
	v_add_f64 v[10:11], v[10:11], v[28:29]
	v_add_f64 v[12:13], v[12:13], v[30:31]
.LBB92_346:
	s_or_b64 exec, exec, s[10:11]
	s_barrier
	s_and_saveexec_b64 s[10:11], s[38:39]
; %bb.347:
	ds_write_b128 v15, v[10:13]
; %bb.348:
	s_or_b64 exec, exec, s[10:11]
	s_waitcnt lgkmcnt(0)
	s_barrier
	s_barrier
	s_and_saveexec_b64 s[10:11], s[2:3]
; %bb.349:
	v_xor_b32_e32 v11, 0x80000000, v11
	v_xor_b32_e32 v13, 0x80000000, v13
	ds_write_b128 v14, v[10:13] offset:10592
; %bb.350:
	s_or_b64 exec, exec, s[10:11]
	s_waitcnt lgkmcnt(0)
	s_barrier
	s_barrier
	s_and_saveexec_b64 s[10:11], s[42:43]
	s_cbranch_execz .LBB92_352
; %bb.351:
	v_lshlrev_b32_e32 v28, 9, v0
	ds_read_b128 v[10:13], v28 offset:10592
	s_movk_i32 s12, 0xfe10
	v_mad_i32_i24 v29, v0, s12, v28
	s_waitcnt lgkmcnt(0)
	ds_write_b128 v29, v[10:13] offset:11584
	ds_read_b128 v[10:13], v28 offset:10608
	s_waitcnt lgkmcnt(0)
	ds_write_b128 v29, v[10:13] offset:12096
.LBB92_352:
	s_or_b64 exec, exec, s[10:11]
	s_waitcnt lgkmcnt(0)
	s_barrier
	s_and_saveexec_b64 s[10:11], vcc
	s_cbranch_execz .LBB92_354
; %bb.353:
	s_mov_b32 s12, 0
	v_mov_b32_e32 v32, 0
	ds_read_b128 v[10:13], v32 offset:11632
	s_mov_b32 s15, s12
	s_mov_b32 s13, 0x3ff00000
	s_mov_b32 s14, s12
	v_mov_b32_e32 v31, s15
	v_mov_b32_e32 v30, s14
	;; [unrolled: 1-line block ×4, first 2 shown]
	ds_write_b128 v32, v[28:31] offset:11616
	ds_write_b128 v32, v[28:31] offset:12144
	s_waitcnt lgkmcnt(2)
	ds_write_b128 v32, v[10:13] offset:12128
.LBB92_354:
	s_or_b64 exec, exec, s[10:11]
	v_mov_b32_e32 v12, 0
	v_mov_b32_e32 v10, 0
	;; [unrolled: 1-line block ×4, first 2 shown]
	s_waitcnt lgkmcnt(0)
	s_barrier
	s_and_saveexec_b64 s[12:13], s[8:9]
	s_cbranch_execz .LBB92_364
; %bb.355:
	v_mul_u32_u24_e32 v28, 0x210, v27
	ds_read_b128 v[10:13], v28 offset:8448
	ds_read_b128 v[29:32], v23 offset:8576
	v_cmp_gt_u32_e64 s[10:11], 56, v22
	s_waitcnt lgkmcnt(0)
	v_mul_f64 v[33:34], v[12:13], v[31:32]
	v_mul_f64 v[31:32], v[10:11], v[31:32]
	v_fma_f64 v[10:11], v[10:11], v[29:30], -v[33:34]
	v_fma_f64 v[12:13], v[12:13], v[29:30], v[31:32]
	v_add_f64 v[10:11], v[10:11], 0
	v_add_f64 v[12:13], v[12:13], 0
	s_and_saveexec_b64 s[14:15], s[10:11]
	s_cbranch_execnz .LBB92_533
; %bb.356:
	s_or_b64 exec, exec, s[14:15]
	v_cmp_gt_u32_e64 s[10:11], 48, v22
	s_and_saveexec_b64 s[14:15], s[10:11]
	s_cbranch_execnz .LBB92_534
.LBB92_357:
	s_or_b64 exec, exec, s[14:15]
	v_cmp_gt_u32_e64 s[10:11], 40, v22
	s_and_saveexec_b64 s[14:15], s[10:11]
	s_cbranch_execnz .LBB92_535
.LBB92_358:
	s_or_b64 exec, exec, s[14:15]
	v_cmp_gt_u32_e64 s[10:11], 32, v22
	s_and_saveexec_b64 s[14:15], s[10:11]
	s_cbranch_execnz .LBB92_536
.LBB92_359:
	s_or_b64 exec, exec, s[14:15]
	v_cmp_gt_u32_e64 s[10:11], 24, v22
	s_and_saveexec_b64 s[14:15], s[10:11]
	s_cbranch_execnz .LBB92_537
.LBB92_360:
	s_or_b64 exec, exec, s[14:15]
	v_cmp_gt_u32_e64 s[10:11], 16, v22
	s_and_saveexec_b64 s[14:15], s[10:11]
	s_cbranch_execnz .LBB92_538
.LBB92_361:
	s_or_b64 exec, exec, s[14:15]
	v_cmp_gt_u32_e64 s[10:11], 8, v22
	s_and_saveexec_b64 s[14:15], s[10:11]
	s_cbranch_execz .LBB92_363
.LBB92_362:
	v_lshlrev_b32_e32 v30, 4, v0
	v_mov_b32_e32 v26, 0
	ds_read_b128 v[26:29], v26 offset:8560
	ds_read_b128 v[30:33], v30 offset:12160
	s_waitcnt lgkmcnt(0)
	v_mul_f64 v[34:35], v[28:29], v[32:33]
	v_mul_f64 v[32:33], v[26:27], v[32:33]
	v_fma_f64 v[26:27], v[26:27], v[30:31], -v[34:35]
	v_fma_f64 v[28:29], v[28:29], v[30:31], v[32:33]
	v_add_f64 v[10:11], v[10:11], v[26:27]
	v_add_f64 v[12:13], v[12:13], v[28:29]
.LBB92_363:
	s_or_b64 exec, exec, s[14:15]
	v_xor_b32_e32 v11, 0x80000000, v11
	v_xor_b32_e32 v13, 0x80000000, v13
.LBB92_364:
	s_or_b64 exec, exec, s[12:13]
	s_and_saveexec_b64 s[10:11], s[60:61]
; %bb.365:
	ds_write_b128 v25, v[10:13]
; %bb.366:
	s_or_b64 exec, exec, s[10:11]
	s_waitcnt lgkmcnt(0)
	s_barrier
	s_and_saveexec_b64 s[10:11], s[62:63]
	s_cbranch_execz .LBB92_368
; %bb.367:
	ds_read_b128 v[26:29], v25
	ds_read_b128 v[30:33], v24 offset:12672
	s_waitcnt lgkmcnt(0)
	v_mul_f64 v[34:35], v[28:29], v[32:33]
	v_mul_f64 v[32:33], v[26:27], v[32:33]
	v_fma_f64 v[26:27], v[26:27], v[30:31], -v[34:35]
	v_fma_f64 v[28:29], v[28:29], v[30:31], v[32:33]
	v_add_f64 v[10:11], v[10:11], v[26:27]
	v_add_f64 v[12:13], v[12:13], v[28:29]
.LBB92_368:
	s_or_b64 exec, exec, s[10:11]
	s_barrier
	s_and_saveexec_b64 s[10:11], s[64:65]
; %bb.369:
	ds_write_b128 v25, v[10:13]
; %bb.370:
	s_or_b64 exec, exec, s[10:11]
	s_waitcnt lgkmcnt(0)
	s_barrier
	s_and_saveexec_b64 s[10:11], s[66:67]
	s_cbranch_execz .LBB92_372
; %bb.371:
	ds_read_b128 v[26:29], v25
	ds_read_b128 v[30:33], v24 offset:13184
	s_waitcnt lgkmcnt(0)
	v_mul_f64 v[34:35], v[28:29], v[32:33]
	v_mul_f64 v[32:33], v[26:27], v[32:33]
	v_fma_f64 v[26:27], v[26:27], v[30:31], -v[34:35]
	v_fma_f64 v[28:29], v[28:29], v[30:31], v[32:33]
	v_add_f64 v[10:11], v[10:11], v[26:27]
	v_add_f64 v[12:13], v[12:13], v[28:29]
.LBB92_372:
	s_or_b64 exec, exec, s[10:11]
	s_barrier
	;; [unrolled: 22-line block ×6, first 2 shown]
	s_and_saveexec_b64 s[10:11], s[84:85]
; %bb.389:
	ds_write_b128 v25, v[10:13]
; %bb.390:
	s_or_b64 exec, exec, s[10:11]
	s_waitcnt lgkmcnt(0)
	s_barrier
	s_and_saveexec_b64 s[10:11], s[58:59]
	s_cbranch_execz .LBB92_392
; %bb.391:
	v_mov_b32_e32 v24, 0
	ds_read_b128 v[26:29], v25
	ds_read_b128 v[30:33], v24 offset:15856
	s_waitcnt lgkmcnt(0)
	v_mul_f64 v[34:35], v[28:29], v[32:33]
	v_mul_f64 v[32:33], v[26:27], v[32:33]
	v_fma_f64 v[26:27], v[26:27], v[30:31], -v[34:35]
	v_fma_f64 v[28:29], v[28:29], v[30:31], v[32:33]
	v_add_f64 v[10:11], v[10:11], v[26:27]
	v_add_f64 v[12:13], v[12:13], v[28:29]
.LBB92_392:
	s_or_b64 exec, exec, s[10:11]
	s_barrier
	s_and_saveexec_b64 s[10:11], s[58:59]
; %bb.393:
	ds_write_b128 v25, v[10:13]
; %bb.394:
	s_or_b64 exec, exec, s[10:11]
	s_waitcnt lgkmcnt(0)
	s_barrier
	s_barrier
	s_and_saveexec_b64 s[10:11], s[8:9]
; %bb.395:
	v_xor_b32_e32 v11, 0x80000000, v11
	v_xor_b32_e32 v13, 0x80000000, v13
	ds_write_b128 v23, v[10:13] offset:8576
; %bb.396:
	s_or_b64 exec, exec, s[10:11]
	s_waitcnt lgkmcnt(0)
	s_barrier
	s_barrier
	s_and_saveexec_b64 s[8:9], s[86:87]
	s_cbranch_execz .LBB92_398
; %bb.397:
	v_lshlrev_b32_e32 v23, 9, v0
	ds_read_b128 v[10:13], v23 offset:8576
	s_movk_i32 s10, 0xfe10
	v_mad_i32_i24 v24, v0, s10, v23
	s_waitcnt lgkmcnt(0)
	ds_write_b128 v24, v[10:13] offset:12544
	ds_read_b128 v[10:13], v23 offset:8592
	s_waitcnt lgkmcnt(0)
	ds_write_b128 v24, v[10:13] offset:13056
	ds_read_b128 v[10:13], v23 offset:8608
	;; [unrolled: 3-line block ×7, first 2 shown]
	s_waitcnt lgkmcnt(0)
	ds_write_b128 v24, v[10:13] offset:16128
.LBB92_398:
	s_or_b64 exec, exec, s[8:9]
	s_waitcnt lgkmcnt(0)
	s_barrier
	s_and_saveexec_b64 s[8:9], vcc
	s_cbranch_execz .LBB92_400
; %bb.399:
	s_mov_b32 s12, 0
	v_mov_b32_e32 v27, 0
	ds_read_b128 v[10:13], v27 offset:12688
	s_mov_b32 s15, s12
	s_mov_b32 s13, 0x3ff00000
	;; [unrolled: 1-line block ×3, first 2 shown]
	v_mov_b32_e32 v26, s15
	v_mov_b32_e32 v25, s14
	;; [unrolled: 1-line block ×4, first 2 shown]
	ds_write_b128 v27, v[23:26] offset:12672
	ds_write_b128 v27, v[23:26] offset:13200
	s_waitcnt lgkmcnt(2)
	ds_write_b128 v27, v[10:13] offset:13184
.LBB92_400:
	s_or_b64 exec, exec, s[8:9]
	v_mov_b32_e32 v12, 0
	v_mov_b32_e32 v10, 0
	v_mov_b32_e32 v13, 0
	v_mov_b32_e32 v11, 0
	s_waitcnt lgkmcnt(0)
	s_barrier
	s_and_saveexec_b64 s[10:11], s[2:3]
	s_cbranch_execz .LBB92_404
; %bb.401:
	v_mul_u32_u24_e32 v10, 0x210, v16
	ds_read_b128 v[10:13], v10 offset:12672
	ds_read_b128 v[23:26], v14 offset:12704
	v_cmp_gt_u32_e64 s[8:9], 2, v22
	s_waitcnt lgkmcnt(0)
	v_mul_f64 v[27:28], v[12:13], v[25:26]
	v_mul_f64 v[25:26], v[10:11], v[25:26]
	v_fma_f64 v[10:11], v[10:11], v[23:24], -v[27:28]
	v_fma_f64 v[12:13], v[12:13], v[23:24], v[25:26]
	v_add_f64 v[10:11], v[10:11], 0
	v_add_f64 v[12:13], v[12:13], 0
	s_and_saveexec_b64 s[12:13], s[8:9]
	s_cbranch_execz .LBB92_403
; %bb.402:
	v_lshlrev_b32_e32 v27, 4, v0
	v_mov_b32_e32 v23, 0
	ds_read_b128 v[23:26], v23 offset:12688
	ds_read_b128 v[27:30], v27 offset:13216
	s_waitcnt lgkmcnt(0)
	v_mul_f64 v[31:32], v[25:26], v[29:30]
	v_mul_f64 v[29:30], v[23:24], v[29:30]
	v_fma_f64 v[23:24], v[23:24], v[27:28], -v[31:32]
	v_fma_f64 v[25:26], v[25:26], v[27:28], v[29:30]
	v_add_f64 v[10:11], v[10:11], v[23:24]
	v_add_f64 v[12:13], v[12:13], v[25:26]
.LBB92_403:
	s_or_b64 exec, exec, s[12:13]
	v_xor_b32_e32 v11, 0x80000000, v11
	v_xor_b32_e32 v13, 0x80000000, v13
.LBB92_404:
	s_or_b64 exec, exec, s[10:11]
	s_and_saveexec_b64 s[8:9], s[40:41]
; %bb.405:
	ds_write_b128 v15, v[10:13]
; %bb.406:
	s_or_b64 exec, exec, s[8:9]
	s_waitcnt lgkmcnt(0)
	s_barrier
	s_and_saveexec_b64 s[8:9], s[38:39]
	s_cbranch_execz .LBB92_408
; %bb.407:
	v_mov_b32_e32 v27, 0
	ds_read_b128 v[23:26], v15
	ds_read_b128 v[27:30], v27 offset:13744
	s_waitcnt lgkmcnt(0)
	v_mul_f64 v[31:32], v[25:26], v[29:30]
	v_mul_f64 v[29:30], v[23:24], v[29:30]
	v_fma_f64 v[23:24], v[23:24], v[27:28], -v[31:32]
	v_fma_f64 v[25:26], v[25:26], v[27:28], v[29:30]
	v_add_f64 v[10:11], v[10:11], v[23:24]
	v_add_f64 v[12:13], v[12:13], v[25:26]
.LBB92_408:
	s_or_b64 exec, exec, s[8:9]
	s_barrier
	s_and_saveexec_b64 s[8:9], s[38:39]
; %bb.409:
	ds_write_b128 v15, v[10:13]
; %bb.410:
	s_or_b64 exec, exec, s[8:9]
	s_waitcnt lgkmcnt(0)
	s_barrier
	s_barrier
	s_and_saveexec_b64 s[8:9], s[2:3]
; %bb.411:
	v_xor_b32_e32 v11, 0x80000000, v11
	v_xor_b32_e32 v13, 0x80000000, v13
	ds_write_b128 v14, v[10:13] offset:12704
; %bb.412:
	s_or_b64 exec, exec, s[8:9]
	s_waitcnt lgkmcnt(0)
	s_barrier
	s_barrier
	s_and_saveexec_b64 s[8:9], s[42:43]
	s_cbranch_execz .LBB92_414
; %bb.413:
	v_lshlrev_b32_e32 v23, 9, v0
	ds_read_b128 v[10:13], v23 offset:12704
	s_movk_i32 s10, 0xfe10
	v_mad_i32_i24 v24, v0, s10, v23
	s_waitcnt lgkmcnt(0)
	ds_write_b128 v24, v[10:13] offset:13696
	ds_read_b128 v[10:13], v23 offset:12720
	s_waitcnt lgkmcnt(0)
	ds_write_b128 v24, v[10:13] offset:14208
.LBB92_414:
	s_or_b64 exec, exec, s[8:9]
	s_waitcnt lgkmcnt(0)
	s_barrier
	s_and_saveexec_b64 s[8:9], vcc
	s_cbranch_execz .LBB92_416
; %bb.415:
	s_mov_b32 s12, 0
	v_mov_b32_e32 v27, 0
	ds_read_b128 v[10:13], v27 offset:13744
	s_mov_b32 s15, s12
	s_mov_b32 s13, 0x3ff00000
	;; [unrolled: 1-line block ×3, first 2 shown]
	v_mov_b32_e32 v26, s15
	v_mov_b32_e32 v25, s14
	;; [unrolled: 1-line block ×4, first 2 shown]
	ds_write_b128 v27, v[23:26] offset:13728
	ds_write_b128 v27, v[23:26] offset:14256
	s_waitcnt lgkmcnt(2)
	ds_write_b128 v27, v[10:13] offset:14240
.LBB92_416:
	s_or_b64 exec, exec, s[8:9]
	v_mov_b32_e32 v12, 0
	v_mov_b32_e32 v10, 0
	;; [unrolled: 1-line block ×4, first 2 shown]
	s_waitcnt lgkmcnt(0)
	s_barrier
	s_and_saveexec_b64 s[10:11], s[16:17]
	s_cbranch_execz .LBB92_422
; %bb.417:
	v_mul_u32_u24_e32 v23, 0x210, v21
	ds_read_b128 v[10:13], v23 offset:12672
	ds_read_b128 v[24:27], v17 offset:12736
	v_cmp_gt_u32_e64 s[8:9], 12, v22
	s_waitcnt lgkmcnt(0)
	v_mul_f64 v[28:29], v[12:13], v[26:27]
	v_mul_f64 v[26:27], v[10:11], v[26:27]
	v_fma_f64 v[10:11], v[10:11], v[24:25], -v[28:29]
	v_fma_f64 v[12:13], v[12:13], v[24:25], v[26:27]
	v_add_f64 v[10:11], v[10:11], 0
	v_add_f64 v[12:13], v[12:13], 0
	s_and_saveexec_b64 s[12:13], s[8:9]
	s_cbranch_execnz .LBB92_539
; %bb.418:
	s_or_b64 exec, exec, s[12:13]
	v_cmp_gt_u32_e64 s[8:9], 8, v22
	s_and_saveexec_b64 s[12:13], s[8:9]
	s_cbranch_execnz .LBB92_540
.LBB92_419:
	s_or_b64 exec, exec, s[12:13]
	v_cmp_gt_u32_e64 s[8:9], 4, v22
	s_and_saveexec_b64 s[12:13], s[8:9]
	s_cbranch_execz .LBB92_421
.LBB92_420:
	v_mov_b32_e32 v21, 0
	v_lshlrev_b32_e32 v20, 4, v0
	ds_read_b128 v[23:26], v21 offset:12720
	ds_read_b128 v[27:30], v20 offset:14272
	s_waitcnt lgkmcnt(0)
	v_mul_f64 v[20:21], v[25:26], v[29:30]
	v_mul_f64 v[29:30], v[23:24], v[29:30]
	v_fma_f64 v[20:21], v[23:24], v[27:28], -v[20:21]
	v_fma_f64 v[23:24], v[25:26], v[27:28], v[29:30]
	v_add_f64 v[10:11], v[10:11], v[20:21]
	v_add_f64 v[12:13], v[12:13], v[23:24]
.LBB92_421:
	s_or_b64 exec, exec, s[12:13]
	v_xor_b32_e32 v11, 0x80000000, v11
	v_xor_b32_e32 v13, 0x80000000, v13
.LBB92_422:
	s_or_b64 exec, exec, s[10:11]
	s_and_saveexec_b64 s[8:9], s[46:47]
; %bb.423:
	ds_write_b128 v19, v[10:13]
; %bb.424:
	s_or_b64 exec, exec, s[8:9]
	s_waitcnt lgkmcnt(0)
	s_barrier
	s_and_saveexec_b64 s[8:9], s[48:49]
	s_cbranch_execz .LBB92_426
; %bb.425:
	ds_read_b128 v[23:26], v19
	ds_read_b128 v[27:30], v18 offset:14784
	s_waitcnt lgkmcnt(0)
	v_mul_f64 v[20:21], v[25:26], v[29:30]
	v_mul_f64 v[29:30], v[23:24], v[29:30]
	v_fma_f64 v[20:21], v[23:24], v[27:28], -v[20:21]
	v_fma_f64 v[23:24], v[25:26], v[27:28], v[29:30]
	v_add_f64 v[10:11], v[10:11], v[20:21]
	v_add_f64 v[12:13], v[12:13], v[23:24]
.LBB92_426:
	s_or_b64 exec, exec, s[8:9]
	s_barrier
	s_and_saveexec_b64 s[8:9], s[50:51]
; %bb.427:
	ds_write_b128 v19, v[10:13]
; %bb.428:
	s_or_b64 exec, exec, s[8:9]
	s_waitcnt lgkmcnt(0)
	s_barrier
	s_and_saveexec_b64 s[8:9], s[52:53]
	s_cbranch_execz .LBB92_430
; %bb.429:
	ds_read_b128 v[23:26], v19
	ds_read_b128 v[27:30], v18 offset:15296
	s_waitcnt lgkmcnt(0)
	v_mul_f64 v[20:21], v[25:26], v[29:30]
	v_mul_f64 v[29:30], v[23:24], v[29:30]
	v_fma_f64 v[20:21], v[23:24], v[27:28], -v[20:21]
	v_fma_f64 v[23:24], v[25:26], v[27:28], v[29:30]
	v_add_f64 v[10:11], v[10:11], v[20:21]
	v_add_f64 v[12:13], v[12:13], v[23:24]
.LBB92_430:
	s_or_b64 exec, exec, s[8:9]
	s_barrier
	s_and_saveexec_b64 s[8:9], s[54:55]
; %bb.431:
	ds_write_b128 v19, v[10:13]
; %bb.432:
	s_or_b64 exec, exec, s[8:9]
	s_waitcnt lgkmcnt(0)
	s_barrier
	s_and_saveexec_b64 s[8:9], s[44:45]
	s_cbranch_execz .LBB92_434
; %bb.433:
	v_mov_b32_e32 v18, 0
	ds_read_b128 v[23:26], v19
	ds_read_b128 v[27:30], v18 offset:15856
	s_waitcnt lgkmcnt(0)
	v_mul_f64 v[20:21], v[25:26], v[29:30]
	v_mul_f64 v[29:30], v[23:24], v[29:30]
	v_fma_f64 v[20:21], v[23:24], v[27:28], -v[20:21]
	v_fma_f64 v[23:24], v[25:26], v[27:28], v[29:30]
	v_add_f64 v[10:11], v[10:11], v[20:21]
	v_add_f64 v[12:13], v[12:13], v[23:24]
.LBB92_434:
	s_or_b64 exec, exec, s[8:9]
	s_barrier
	s_and_saveexec_b64 s[8:9], s[44:45]
; %bb.435:
	ds_write_b128 v19, v[10:13]
; %bb.436:
	s_or_b64 exec, exec, s[8:9]
	s_waitcnt lgkmcnt(0)
	s_barrier
	s_barrier
	s_and_saveexec_b64 s[8:9], s[16:17]
; %bb.437:
	v_xor_b32_e32 v13, 0x80000000, v13
	v_xor_b32_e32 v11, 0x80000000, v11
	ds_write_b128 v17, v[10:13] offset:12736
; %bb.438:
	s_or_b64 exec, exec, s[8:9]
	s_waitcnt lgkmcnt(0)
	s_barrier
	s_barrier
	s_and_saveexec_b64 s[8:9], s[56:57]
	s_cbranch_execz .LBB92_440
; %bb.439:
	v_lshlrev_b32_e32 v17, 4, v0
	s_movk_i32 s10, 0x1f0
	v_mad_u32_u24 v18, v0, s10, v17
	ds_read_b128 v[10:13], v18 offset:12736
	s_waitcnt lgkmcnt(0)
	ds_write_b128 v17, v[10:13] offset:14720
	ds_read_b128 v[10:13], v18 offset:12752
	s_waitcnt lgkmcnt(0)
	ds_write_b128 v17, v[10:13] offset:15232
	;; [unrolled: 3-line block ×4, first 2 shown]
.LBB92_440:
	s_or_b64 exec, exec, s[8:9]
	s_waitcnt lgkmcnt(0)
	s_barrier
	s_and_saveexec_b64 s[8:9], vcc
	s_cbranch_execz .LBB92_442
; %bb.441:
	s_mov_b32 s12, 0
	v_mov_b32_e32 v21, 0
	ds_read_b128 v[10:13], v21 offset:14800
	s_mov_b32 s15, s12
	s_mov_b32 s13, 0x3ff00000
	;; [unrolled: 1-line block ×3, first 2 shown]
	v_mov_b32_e32 v20, s15
	v_mov_b32_e32 v19, s14
	;; [unrolled: 1-line block ×4, first 2 shown]
	ds_write_b128 v21, v[17:20] offset:14784
	ds_write_b128 v21, v[17:20] offset:15312
	s_waitcnt lgkmcnt(2)
	ds_write_b128 v21, v[10:13] offset:15296
.LBB92_442:
	s_or_b64 exec, exec, s[8:9]
	v_mov_b32_e32 v12, 0
	v_mov_b32_e32 v10, 0
	;; [unrolled: 1-line block ×4, first 2 shown]
	s_waitcnt lgkmcnt(0)
	s_barrier
	s_and_saveexec_b64 s[10:11], s[2:3]
	s_cbranch_execz .LBB92_446
; %bb.443:
	v_mul_u32_u24_e32 v10, 0x210, v16
	ds_read_b128 v[10:13], v10 offset:14784
	ds_read_b128 v[16:19], v14 offset:14816
	v_cmp_gt_u32_e64 s[8:9], 2, v22
	s_waitcnt lgkmcnt(0)
	v_mul_f64 v[20:21], v[12:13], v[18:19]
	v_mul_f64 v[18:19], v[10:11], v[18:19]
	v_fma_f64 v[10:11], v[10:11], v[16:17], -v[20:21]
	v_fma_f64 v[12:13], v[12:13], v[16:17], v[18:19]
	v_add_f64 v[10:11], v[10:11], 0
	v_add_f64 v[12:13], v[12:13], 0
	s_and_saveexec_b64 s[12:13], s[8:9]
	s_cbranch_execz .LBB92_445
; %bb.444:
	v_mov_b32_e32 v16, 0
	v_lshlrev_b32_e32 v20, 4, v0
	ds_read_b128 v[16:19], v16 offset:14800
	ds_read_b128 v[23:26], v20 offset:15328
	s_waitcnt lgkmcnt(0)
	v_mul_f64 v[20:21], v[18:19], v[25:26]
	v_mul_f64 v[25:26], v[16:17], v[25:26]
	v_fma_f64 v[16:17], v[16:17], v[23:24], -v[20:21]
	v_fma_f64 v[18:19], v[18:19], v[23:24], v[25:26]
	v_add_f64 v[10:11], v[10:11], v[16:17]
	v_add_f64 v[12:13], v[12:13], v[18:19]
.LBB92_445:
	s_or_b64 exec, exec, s[12:13]
	v_xor_b32_e32 v11, 0x80000000, v11
	v_xor_b32_e32 v13, 0x80000000, v13
.LBB92_446:
	s_or_b64 exec, exec, s[10:11]
	s_and_saveexec_b64 s[8:9], s[40:41]
; %bb.447:
	ds_write_b128 v15, v[10:13]
; %bb.448:
	s_or_b64 exec, exec, s[8:9]
	s_waitcnt lgkmcnt(0)
	s_barrier
	s_and_saveexec_b64 s[8:9], s[38:39]
	s_cbranch_execz .LBB92_450
; %bb.449:
	v_mov_b32_e32 v20, 0
	ds_read_b128 v[16:19], v15
	ds_read_b128 v[23:26], v20 offset:15856
	s_waitcnt lgkmcnt(0)
	v_mul_f64 v[20:21], v[18:19], v[25:26]
	v_mul_f64 v[25:26], v[16:17], v[25:26]
	v_fma_f64 v[16:17], v[16:17], v[23:24], -v[20:21]
	v_fma_f64 v[18:19], v[18:19], v[23:24], v[25:26]
	v_add_f64 v[10:11], v[10:11], v[16:17]
	v_add_f64 v[12:13], v[12:13], v[18:19]
.LBB92_450:
	s_or_b64 exec, exec, s[8:9]
	s_barrier
	s_and_saveexec_b64 s[8:9], s[38:39]
; %bb.451:
	ds_write_b128 v15, v[10:13]
; %bb.452:
	s_or_b64 exec, exec, s[8:9]
	s_waitcnt lgkmcnt(0)
	s_barrier
	s_barrier
	s_and_saveexec_b64 s[8:9], s[2:3]
; %bb.453:
	v_xor_b32_e32 v11, 0x80000000, v11
	v_xor_b32_e32 v13, 0x80000000, v13
	ds_write_b128 v14, v[10:13] offset:14816
; %bb.454:
	s_or_b64 exec, exec, s[8:9]
	s_waitcnt lgkmcnt(0)
	s_barrier
	s_barrier
	s_and_saveexec_b64 s[2:3], s[42:43]
	s_cbranch_execz .LBB92_456
; %bb.455:
	v_lshlrev_b32_e32 v14, 9, v0
	ds_read_b128 v[10:13], v14 offset:14816
	s_movk_i32 s8, 0xfe10
	v_mad_i32_i24 v15, v0, s8, v14
	s_waitcnt lgkmcnt(0)
	ds_write_b128 v15, v[10:13] offset:15808
	ds_read_b128 v[10:13], v14 offset:14832
	s_waitcnt lgkmcnt(0)
	ds_write_b128 v15, v[10:13] offset:16320
.LBB92_456:
	s_or_b64 exec, exec, s[2:3]
	s_waitcnt lgkmcnt(0)
	s_barrier
	s_and_saveexec_b64 s[2:3], vcc
	s_cbranch_execz .LBB92_458
; %bb.457:
	s_mov_b32 s8, 0
	v_mov_b32_e32 v18, 0
	ds_read_b128 v[10:13], v18 offset:15856
	s_mov_b32 s11, s8
	s_mov_b32 s9, 0x3ff00000
	s_mov_b32 s10, s8
	v_mov_b32_e32 v17, s11
	v_mov_b32_e32 v16, s10
	;; [unrolled: 1-line block ×4, first 2 shown]
	ds_write_b128 v18, v[14:17] offset:15840
	ds_write_b128 v18, v[14:17] offset:16368
	s_waitcnt lgkmcnt(2)
	ds_write_b128 v18, v[10:13] offset:16352
.LBB92_458:
	s_or_b64 exec, exec, s[2:3]
.LBB92_459:
	s_load_dwordx4 s[16:19], s[4:5], 0x48
	s_load_dwordx2 s[14:15], s[4:5], 0x58
	v_cmp_le_i32_e32 vcc, s92, v0
	v_mov_b32_e32 v10, 0
	v_mov_b32_e32 v11, 0
	s_waitcnt lgkmcnt(0)
	s_mul_i32 s3, s19, s34
	s_mul_hi_u32 s4, s18, s34
	s_mul_i32 s2, s18, s34
	s_add_i32 s3, s4, s3
	s_lshl_b64 s[2:3], s[2:3], 4
	s_add_u32 s4, s28, s2
	s_addc_u32 s5, s29, s3
	s_lshl_b64 s[2:3], s[30:31], 4
	s_add_u32 s28, s4, s2
	s_addc_u32 s29, s5, s3
	s_and_b64 s[18:19], vcc, s[22:23]
	v_cmp_eq_u32_e64 s[2:3], 0, v1
	s_xor_b64 s[4:5], s[18:19], -1
	v_mov_b32_e32 v13, v11
	s_and_b64 s[8:9], s[2:3], s[4:5]
	v_lshl_add_u32 v15, s33, 5, v0
	v_mov_b32_e32 v12, v10
	s_barrier
	s_and_saveexec_b64 s[4:5], s[8:9]
	s_cbranch_execz .LBB92_461
; %bb.460:
	v_ashrrev_i32_e32 v12, 31, v15
	v_mul_lo_u32 v13, s17, v15
	v_mad_u64_u32 v[10:11], s[8:9], s16, v15, 0
	v_mul_lo_u32 v12, s16, v12
	v_add3_u32 v11, v11, v12, v13
	v_lshlrev_b64 v[10:11], 4, v[10:11]
	v_mov_b32_e32 v12, s29
	v_add_co_u32_e32 v10, vcc, s28, v10
	v_addc_co_u32_e32 v11, vcc, v12, v11, vcc
	global_load_dwordx4 v[16:19], v[10:11], off
	s_waitcnt vmcnt(0)
	v_mul_f64 v[10:11], s[24:25], v[16:17]
	v_mul_f64 v[12:13], s[24:25], v[18:19]
	v_fma_f64 v[10:11], s[26:27], v[18:19], -v[10:11]
	v_fma_f64 v[12:13], v[16:17], -s[26:27], -v[12:13]
.LBB92_461:
	s_or_b64 exec, exec, s[4:5]
	s_and_b32 s4, 0xffff, s95
	v_mad_u32_u24 v23, v1, s4, v0
	v_mov_b32_e32 v14, 0
	s_cmp_lt_i32 s6, 1
	v_cmp_eq_u32_e64 s[4:5], 0, v23
	s_cbranch_scc1 .LBB92_484
; %bb.462:
	v_ashrrev_i32_e32 v18, 31, v15
	v_mul_lo_u32 v19, s21, v15
	v_mad_u64_u32 v[16:17], s[8:9], s20, v15, 0
	v_mul_lo_u32 v18, s20, v18
	s_lshl_b64 s[8:9], s[34:35], 2
	s_add_u32 s20, s14, s8
	s_addc_u32 s21, s15, s9
	v_add3_u32 v17, v17, v18, v19
	v_cmp_gt_i32_e64 s[8:9], s36, v15
	v_lshlrev_b64 v[15:16], 4, v[16:17]
	v_mov_b32_e32 v18, 0x6000
	v_mov_b32_e32 v17, s94
	v_add_co_u32_e32 v26, vcc, s93, v15
	s_mov_b32 s26, 0
	v_cmp_gt_u32_e64 s[12:13], 32, v23
	v_lshl_add_u32 v24, v23, 4, v18
	v_lshl_or_b32 v25, v1, 4, v18
	s_add_i32 s27, s33, 1
	v_addc_co_u32_e32 v27, vcc, v17, v16, vcc
	v_mov_b32_e32 v28, -1
	s_branch .LBB92_465
.LBB92_463:                             ;   in Loop: Header=BB92_465 Depth=1
	ds_read_b128 v[29:32], v25 offset:256
	s_waitcnt vmcnt(0) lgkmcnt(0)
	v_mul_f64 v[15:16], v[19:20], v[31:32]
	v_mul_f64 v[31:32], v[17:18], v[31:32]
	v_fma_f64 v[15:16], v[17:18], v[29:30], -v[15:16]
	v_fma_f64 v[17:18], v[19:20], v[29:30], v[31:32]
	v_add_f64 v[10:11], v[10:11], v[15:16]
	v_add_f64 v[12:13], v[12:13], v[17:18]
.LBB92_464:                             ;   in Loop: Header=BB92_465 Depth=1
	s_or_b64 exec, exec, s[24:25]
	s_add_i32 s26, s26, 1
	s_cmp_eq_u32 s26, s6
	s_cbranch_scc1 .LBB92_484
.LBB92_465:                             ; =>This Loop Header: Depth=1
                                        ;     Child Loop BB92_467 Depth 2
	v_cmp_gt_i32_e32 vcc, s26, v28
	s_and_b64 s[24:25], s[4:5], vcc
	s_and_saveexec_b64 s[10:11], s[24:25]
	s_cbranch_execz .LBB92_468
; %bb.466:                              ;   in Loop: Header=BB92_465 Depth=1
	global_load_dword v28, v14, s[20:21]
	s_waitcnt vmcnt(0)
	v_cmp_le_i32_e32 vcc, s26, v28
	s_cbranch_vccnz .LBB92_468
.LBB92_467:                             ;   Parent Loop BB92_465 Depth=1
                                        ; =>  This Inner Loop Header: Depth=2
	buffer_wbinvl1_vol
	global_load_dword v28, v14, s[20:21]
	s_waitcnt vmcnt(0)
	v_cmp_gt_i32_e32 vcc, s26, v28
	s_cbranch_vccnz .LBB92_467
.LBB92_468:                             ;   in Loop: Header=BB92_465 Depth=1
	s_or_b64 exec, exec, s[10:11]
	s_sub_i32 s30, s7, s26
	s_lshl_b32 s31, s30, 5
	buffer_wbinvl1_vol
	s_barrier
	s_and_saveexec_b64 s[10:11], s[12:13]
	s_cbranch_execz .LBB92_473
; %bb.469:                              ;   in Loop: Header=BB92_465 Depth=1
	s_ashr_i32 s24, s31, 31
	v_mov_b32_e32 v16, s24
	v_or_b32_e32 v15, s31, v23
	v_cmp_le_i64_e32 vcc, s[36:37], v[15:16]
	s_and_saveexec_b64 s[24:25], vcc
	s_xor_b64 s[24:25], exec, s[24:25]
; %bb.470:                              ;   in Loop: Header=BB92_465 Depth=1
	v_mov_b32_e32 v15, v14
	v_mov_b32_e32 v16, v14
	;; [unrolled: 1-line block ×3, first 2 shown]
	ds_write_b128 v24, v[14:17]
                                        ; implicit-def: $vgpr15_vgpr16
; %bb.471:                              ;   in Loop: Header=BB92_465 Depth=1
	s_andn2_saveexec_b64 s[24:25], s[24:25]
	s_cbranch_execz .LBB92_473
; %bb.472:                              ;   in Loop: Header=BB92_465 Depth=1
	v_mul_lo_u32 v17, v16, s16
	v_mul_lo_u32 v18, v15, s17
	v_mad_u64_u32 v[15:16], s[24:25], v15, s16, 0
	v_add3_u32 v16, v16, v18, v17
	v_lshlrev_b64 v[15:16], 4, v[15:16]
	v_mov_b32_e32 v17, s29
	v_add_co_u32_e32 v15, vcc, s28, v15
	v_addc_co_u32_e32 v16, vcc, v17, v16, vcc
	global_load_dwordx4 v[15:18], v[15:16], off
	s_waitcnt vmcnt(0)
	ds_write2_b64 v24, v[15:16], v[17:18] offset1:1
.LBB92_473:                             ;   in Loop: Header=BB92_465 Depth=1
	s_or_b64 exec, exec, s[10:11]
	v_add_u32_e32 v17, s31, v1
	v_ashrrev_i32_e32 v18, 31, v17
	v_lshlrev_b64 v[15:16], 4, v[17:18]
	s_cmp_lg_u32 s30, s27
	v_add_co_u32_e32 v15, vcc, v26, v15
	s_cselect_b64 s[10:11], -1, 0
	v_addc_co_u32_e32 v16, vcc, v27, v16, vcc
	v_cmp_gt_i32_e32 vcc, s36, v17
	v_cndmask_b32_e64 v18, 0, 1, s[10:11]
	s_and_b64 s[30:31], vcc, s[8:9]
	v_cmp_ne_u32_e64 s[10:11], 1, v18
	s_waitcnt lgkmcnt(0)
	s_barrier
	s_and_saveexec_b64 s[24:25], s[30:31]
	s_cbranch_execz .LBB92_479
; %bb.474:                              ;   in Loop: Header=BB92_465 Depth=1
	v_mov_b32_e32 v19, v7
	s_and_b64 vcc, exec, s[10:11]
	v_mov_b32_e32 v18, v6
	s_cbranch_vccnz .LBB92_476
; %bb.475:                              ;   in Loop: Header=BB92_465 Depth=1
	global_load_dwordx2 v[18:19], v[15:16], off
.LBB92_476:                             ;   in Loop: Header=BB92_465 Depth=1
	v_mov_b32_e32 v21, v9
	s_and_b64 vcc, exec, s[10:11]
	v_mov_b32_e32 v20, v8
	s_cbranch_vccnz .LBB92_478
; %bb.477:                              ;   in Loop: Header=BB92_465 Depth=1
	global_load_dwordx2 v[20:21], v[15:16], off offset:8
.LBB92_478:                             ;   in Loop: Header=BB92_465 Depth=1
	ds_read_b128 v[29:32], v25
	s_waitcnt vmcnt(0) lgkmcnt(0)
	v_mul_f64 v[33:34], v[20:21], v[31:32]
	v_mul_f64 v[31:32], v[18:19], v[31:32]
	v_fma_f64 v[18:19], v[18:19], v[29:30], -v[33:34]
	v_fma_f64 v[20:21], v[20:21], v[29:30], v[31:32]
	v_add_f64 v[10:11], v[10:11], v[18:19]
	v_add_f64 v[12:13], v[12:13], v[20:21]
.LBB92_479:                             ;   in Loop: Header=BB92_465 Depth=1
	s_or_b64 exec, exec, s[24:25]
	v_add_u32_e32 v17, 16, v17
	v_cmp_gt_i32_e32 vcc, s36, v17
	s_and_b64 s[30:31], vcc, s[8:9]
	s_and_saveexec_b64 s[24:25], s[30:31]
	s_cbranch_execz .LBB92_464
; %bb.480:                              ;   in Loop: Header=BB92_465 Depth=1
	v_mov_b32_e32 v18, v3
	s_and_b64 vcc, exec, s[10:11]
	v_mov_b32_e32 v17, v2
	s_cbranch_vccnz .LBB92_482
; %bb.481:                              ;   in Loop: Header=BB92_465 Depth=1
	global_load_dwordx2 v[17:18], v[15:16], off offset:256
.LBB92_482:                             ;   in Loop: Header=BB92_465 Depth=1
	v_mov_b32_e32 v20, v5
	s_and_b64 vcc, exec, s[10:11]
	v_mov_b32_e32 v19, v4
	s_cbranch_vccnz .LBB92_463
; %bb.483:                              ;   in Loop: Header=BB92_465 Depth=1
	global_load_dwordx2 v[19:20], v[15:16], off offset:264
	s_branch .LBB92_463
.LBB92_484:
	s_xor_b64 s[4:5], s[22:23], -1
	v_lshlrev_b32_e32 v6, 4, v22
	ds_write_b128 v6, v[10:13] offset:16384
	s_waitcnt lgkmcnt(0)
	s_barrier
	s_and_saveexec_b64 s[6:7], s[2:3]
	s_cbranch_execz .LBB92_486
; %bb.485:
	v_lshlrev_b32_e32 v18, 4, v0
	ds_read_b128 v[2:5], v18 offset:16896
	ds_read_b128 v[14:17], v18 offset:17408
	s_waitcnt lgkmcnt(1)
	v_add_f64 v[2:3], v[10:11], v[2:3]
	v_add_f64 v[4:5], v[12:13], v[4:5]
	s_waitcnt lgkmcnt(0)
	v_add_f64 v[11:12], v[2:3], v[14:15]
	v_add_f64 v[13:14], v[4:5], v[16:17]
	ds_read_b128 v[2:5], v18 offset:17920
	ds_read_b128 v[7:10], v18 offset:18432
	s_waitcnt lgkmcnt(1)
	v_add_f64 v[2:3], v[11:12], v[2:3]
	v_add_f64 v[4:5], v[13:14], v[4:5]
	s_waitcnt lgkmcnt(0)
	v_add_f64 v[11:12], v[2:3], v[7:8]
	v_add_f64 v[13:14], v[4:5], v[9:10]
	;; [unrolled: 8-line block ×7, first 2 shown]
	ds_read_b128 v[2:5], v18 offset:24064
	s_waitcnt lgkmcnt(0)
	v_add_f64 v[2:3], v[7:8], v[2:3]
	v_add_f64 v[4:5], v[9:10], v[4:5]
	v_xor_b32_e32 v3, 0x80000000, v3
	v_xor_b32_e32 v5, 0x80000000, v5
	v_cndmask_b32_e64 v10, v2, 0, s[18:19]
	v_cndmask_b32_e64 v11, v3, 0, s[18:19]
	;; [unrolled: 1-line block ×4, first 2 shown]
.LBB92_486:
	s_or_b64 exec, exec, s[6:7]
	s_and_b64 vcc, exec, s[0:1]
	s_cbranch_vccnz .LBB92_495
; %bb.487:
	v_mov_b32_e32 v2, 0x6000
	v_lshl_or_b32 v7, v1, 4, v2
	s_and_saveexec_b64 s[0:1], s[2:3]
; %bb.488:
	v_lshl_add_u32 v2, v0, 4, v7
	ds_write_b128 v2, v[10:13]
; %bb.489:
	s_or_b64 exec, exec, s[0:1]
	v_mov_b32_e32 v2, 0
	v_mov_b32_e32 v4, 0
	;; [unrolled: 1-line block ×4, first 2 shown]
	v_cmp_le_u32_e32 vcc, v0, v1
	s_waitcnt lgkmcnt(0)
	s_barrier
	s_and_saveexec_b64 s[0:1], vcc
	s_cbranch_execz .LBB92_491
; %bb.490:
	ds_read_b128 v[2:5], v7
	ds_read_b128 v[14:17], v6
	s_waitcnt lgkmcnt(0)
	v_mul_f64 v[8:9], v[4:5], v[16:17]
	v_mul_f64 v[16:17], v[2:3], v[16:17]
	v_fma_f64 v[2:3], v[2:3], v[14:15], -v[8:9]
	v_fma_f64 v[4:5], v[4:5], v[14:15], v[16:17]
	v_add_f64 v[2:3], v[2:3], 0
	v_add_f64 v[4:5], v[4:5], 0
.LBB92_491:
	s_or_b64 exec, exec, s[0:1]
	v_add_u32_e32 v1, 16, v1
	v_add_u32_e32 v8, 0x4000, v6
	v_cmp_le_u32_e32 vcc, v0, v1
	s_and_saveexec_b64 s[0:1], vcc
	s_cbranch_execz .LBB92_493
; %bb.492:
	ds_read_b128 v[14:17], v7 offset:256
	ds_read_b128 v[18:21], v6 offset:8192
	s_waitcnt lgkmcnt(0)
	v_mul_f64 v[6:7], v[16:17], v[20:21]
	v_mul_f64 v[20:21], v[14:15], v[20:21]
	v_fma_f64 v[6:7], v[14:15], v[18:19], -v[6:7]
	v_fma_f64 v[14:15], v[16:17], v[18:19], v[20:21]
	v_add_f64 v[2:3], v[2:3], v[6:7]
	v_add_f64 v[4:5], v[4:5], v[14:15]
.LBB92_493:
	s_or_b64 exec, exec, s[0:1]
	s_mov_b64 s[6:7], 0
	s_mov_b64 s[0:1], 0
	ds_write_b128 v8, v[2:5]
	s_waitcnt lgkmcnt(0)
	s_barrier
                                        ; implicit-def: $vgpr6_vgpr7
                                        ; implicit-def: $vgpr8_vgpr9
	s_and_saveexec_b64 s[8:9], s[2:3]
	s_cbranch_execz .LBB92_513
; %bb.494:
	v_lshlrev_b32_e32 v18, 4, v0
	ds_read_b128 v[6:9], v18 offset:16896
	ds_read_b128 v[14:17], v18 offset:17408
	s_mov_b64 s[0:1], exec
	s_waitcnt lgkmcnt(1)
	v_add_f64 v[1:2], v[2:3], v[6:7]
	v_add_f64 v[3:4], v[4:5], v[8:9]
	s_waitcnt lgkmcnt(0)
	v_add_f64 v[14:15], v[1:2], v[14:15]
	v_add_f64 v[16:17], v[3:4], v[16:17]
	ds_read_b128 v[1:4], v18 offset:17920
	ds_read_b128 v[5:8], v18 offset:18432
	s_waitcnt lgkmcnt(1)
	v_add_f64 v[1:2], v[14:15], v[1:2]
	v_add_f64 v[3:4], v[16:17], v[3:4]
	s_waitcnt lgkmcnt(0)
	v_add_f64 v[14:15], v[1:2], v[5:6]
	v_add_f64 v[16:17], v[3:4], v[7:8]
	ds_read_b128 v[1:4], v18 offset:18944
	ds_read_b128 v[5:8], v18 offset:19456
	s_waitcnt lgkmcnt(1)
	v_add_f64 v[1:2], v[14:15], v[1:2]
	v_add_f64 v[3:4], v[16:17], v[3:4]
	s_waitcnt lgkmcnt(0)
	v_add_f64 v[14:15], v[1:2], v[5:6]
	v_add_f64 v[16:17], v[3:4], v[7:8]
	ds_read_b128 v[1:4], v18 offset:19968
	ds_read_b128 v[5:8], v18 offset:20480
	s_waitcnt lgkmcnt(1)
	v_add_f64 v[1:2], v[14:15], v[1:2]
	v_add_f64 v[3:4], v[16:17], v[3:4]
	s_waitcnt lgkmcnt(0)
	v_add_f64 v[14:15], v[1:2], v[5:6]
	v_add_f64 v[16:17], v[3:4], v[7:8]
	ds_read_b128 v[1:4], v18 offset:20992
	ds_read_b128 v[5:8], v18 offset:21504
	s_waitcnt lgkmcnt(1)
	v_add_f64 v[1:2], v[14:15], v[1:2]
	v_add_f64 v[3:4], v[16:17], v[3:4]
	s_waitcnt lgkmcnt(0)
	v_add_f64 v[14:15], v[1:2], v[5:6]
	v_add_f64 v[16:17], v[3:4], v[7:8]
	ds_read_b128 v[1:4], v18 offset:22016
	ds_read_b128 v[5:8], v18 offset:22528
	s_waitcnt lgkmcnt(1)
	v_add_f64 v[1:2], v[14:15], v[1:2]
	v_add_f64 v[3:4], v[16:17], v[3:4]
	s_waitcnt lgkmcnt(0)
	v_add_f64 v[14:15], v[1:2], v[5:6]
	v_add_f64 v[16:17], v[3:4], v[7:8]
	ds_read_b128 v[1:4], v18 offset:23040
	ds_read_b128 v[5:8], v18 offset:23552
	s_waitcnt lgkmcnt(1)
	v_add_f64 v[1:2], v[14:15], v[1:2]
	v_add_f64 v[3:4], v[16:17], v[3:4]
	s_waitcnt lgkmcnt(0)
	v_add_f64 v[5:6], v[1:2], v[5:6]
	v_add_f64 v[14:15], v[3:4], v[7:8]
	ds_read_b128 v[1:4], v18 offset:24064
	s_waitcnt lgkmcnt(0)
	v_add_f64 v[8:9], v[5:6], v[1:2]
	v_add_f64 v[6:7], v[14:15], v[3:4]
	s_or_b64 exec, exec, s[8:9]
	s_and_b64 vcc, exec, s[6:7]
	s_cbranch_vccnz .LBB92_496
	s_branch .LBB92_514
.LBB92_495:
	s_mov_b64 s[0:1], 0
                                        ; implicit-def: $vgpr6_vgpr7
                                        ; implicit-def: $vgpr8_vgpr9
	s_cbranch_execz .LBB92_514
.LBB92_496:
	v_mov_b32_e32 v1, 0x3c00
	v_lshl_add_u32 v1, v0, 4, v1
	v_mov_b32_e32 v3, 31
	v_mov_b32_e32 v2, 0
	s_branch .LBB92_498
.LBB92_497:                             ;   in Loop: Header=BB92_498 Depth=1
	s_or_b64 exec, exec, s[6:7]
	v_subrev_co_u32_e32 v3, vcc, 1, v3
	s_andn2_b64 vcc, exec, vcc
	v_add_u32_e32 v1, 0xfffffc00, v1
	s_barrier
	s_cbranch_vccz .LBB92_506
.LBB92_498:                             ; =>This Inner Loop Header: Depth=1
	v_cmp_eq_u32_e32 vcc, v0, v3
	s_and_b64 s[8:9], s[2:3], vcc
	s_and_saveexec_b64 s[6:7], s[8:9]
; %bb.499:                              ;   in Loop: Header=BB92_498 Depth=1
	ds_write_b128 v2, v[10:13] offset:25088
; %bb.500:                              ;   in Loop: Header=BB92_498 Depth=1
	s_or_b64 exec, exec, s[6:7]
	v_cmp_lt_u32_e32 vcc, v0, v3
	s_and_b64 s[8:9], s[2:3], vcc
	s_waitcnt lgkmcnt(0)
	s_barrier
	s_and_saveexec_b64 s[6:7], s[8:9]
	s_cbranch_execz .LBB92_502
; %bb.501:                              ;   in Loop: Header=BB92_498 Depth=1
	ds_read_b128 v[4:7], v2 offset:25088
	ds_read_b128 v[14:17], v1 offset:512
	s_waitcnt lgkmcnt(0)
	v_mul_f64 v[8:9], v[6:7], v[16:17]
	v_mul_f64 v[16:17], v[4:5], v[16:17]
	v_fma_f64 v[4:5], v[4:5], v[14:15], -v[8:9]
	v_fma_f64 v[6:7], v[6:7], v[14:15], v[16:17]
	v_add_f64 v[10:11], v[10:11], v[4:5]
	v_add_f64 v[12:13], v[12:13], v[6:7]
.LBB92_502:                             ;   in Loop: Header=BB92_498 Depth=1
	s_or_b64 exec, exec, s[6:7]
	v_add_u32_e32 v3, -1, v3
	v_cmp_eq_u32_e32 vcc, v0, v3
	s_and_b64 s[8:9], s[2:3], vcc
	s_barrier
	s_and_saveexec_b64 s[6:7], s[8:9]
; %bb.503:                              ;   in Loop: Header=BB92_498 Depth=1
	ds_write_b128 v2, v[10:13] offset:25088
; %bb.504:                              ;   in Loop: Header=BB92_498 Depth=1
	s_or_b64 exec, exec, s[6:7]
	v_cmp_lt_u32_e32 vcc, v0, v3
	s_and_b64 s[8:9], s[2:3], vcc
	s_waitcnt lgkmcnt(0)
	s_barrier
	s_and_saveexec_b64 s[6:7], s[8:9]
	s_cbranch_execz .LBB92_497
; %bb.505:                              ;   in Loop: Header=BB92_498 Depth=1
	ds_read_b128 v[4:7], v2 offset:25088
	ds_read_b128 v[14:17], v1
	s_waitcnt lgkmcnt(0)
	v_mul_f64 v[8:9], v[6:7], v[16:17]
	v_mul_f64 v[16:17], v[4:5], v[16:17]
	v_fma_f64 v[4:5], v[4:5], v[14:15], -v[8:9]
	v_fma_f64 v[6:7], v[6:7], v[14:15], v[16:17]
	v_add_f64 v[10:11], v[10:11], v[4:5]
	v_add_f64 v[12:13], v[12:13], v[6:7]
	s_branch .LBB92_497
.LBB92_506:
	s_mov_b64 s[6:7], -1
	s_and_b64 vcc, exec, s[4:5]
	s_cbranch_vccnz .LBB92_515
; %bb.507:
	s_andn2_b64 vcc, exec, s[6:7]
	s_cbranch_vccz .LBB92_516
.LBB92_508:
	s_and_saveexec_b64 s[2:3], s[0:1]
	s_cbranch_execz .LBB92_510
.LBB92_509:
	s_lshl_b32 s0, s33, 5
	s_ashr_i32 s1, s0, 31
	v_mov_b32_e32 v0, s1
	v_add_co_u32_e32 v1, vcc, s0, v23
	v_addc_co_u32_e32 v0, vcc, 0, v0, vcc
	v_mul_lo_u32 v2, v0, s16
	v_mul_lo_u32 v3, v1, s17
	v_mad_u64_u32 v[0:1], s[0:1], v1, s16, 0
	v_add3_u32 v1, v1, v3, v2
	v_lshlrev_b64 v[0:1], 4, v[0:1]
	v_mov_b32_e32 v2, s29
	v_add_co_u32_e32 v0, vcc, s28, v0
	v_addc_co_u32_e32 v1, vcc, v2, v1, vcc
	global_store_dwordx4 v[0:1], v[10:13], off
.LBB92_510:
	s_or_b64 exec, exec, s[2:3]
	v_cmp_eq_u32_e32 vcc, 0, v23
	s_waitcnt vmcnt(0)
	buffer_wbinvl1_vol
	s_barrier
	s_and_saveexec_b64 s[0:1], vcc
	s_cbranch_execz .LBB92_512
; %bb.511:
	s_lshl_b64 s[2:3], s[34:35], 2
	s_add_u32 s2, s14, s2
	s_addc_u32 s3, s15, s3
	v_mov_b32_e32 v0, 0
	global_load_dword v1, v0, s[2:3]
	s_waitcnt vmcnt(0)
	v_add_u32_e32 v1, 1, v1
	global_store_dword v0, v1, s[2:3]
.LBB92_512:
	s_or_b64 exec, exec, s[0:1]
	s_waitcnt vmcnt(0)
	buffer_wbinvl1_vol
	s_endpgm
.LBB92_513:
	s_or_b64 exec, exec, s[8:9]
	s_and_b64 vcc, exec, s[6:7]
	s_cbranch_vccnz .LBB92_496
.LBB92_514:
	v_mov_b32_e32 v13, v7
	v_mov_b32_e32 v11, v9
	;; [unrolled: 1-line block ×4, first 2 shown]
	s_and_saveexec_b64 s[2:3], s[0:1]
	s_cbranch_execnz .LBB92_509
	s_branch .LBB92_510
.LBB92_515:
	s_andn2_b64 s[0:1], s[0:1], exec
	s_and_b64 s[4:5], s[2:3], exec
	s_or_b64 s[0:1], s[0:1], s[4:5]
	s_cbranch_execnz .LBB92_508
.LBB92_516:
	v_cmp_gt_i32_e32 vcc, s92, v0
	s_and_b64 s[2:3], s[2:3], vcc
	s_andn2_b64 s[0:1], s[0:1], exec
	s_and_b64 s[2:3], s[2:3], exec
	s_or_b64 s[0:1], s[0:1], s[2:3]
	s_and_saveexec_b64 s[2:3], s[0:1]
	s_cbranch_execnz .LBB92_509
	s_branch .LBB92_510
.LBB92_517:
	v_lshlrev_b32_e32 v23, 4, v21
	v_sub_u32_e32 v23, v19, v23
	v_lshl_add_u32 v27, v20, 4, v23
	ds_read_b128 v[23:26], v19 offset:16
	ds_read_b128 v[27:30], v27 offset:576
	s_waitcnt lgkmcnt(0)
	v_mul_f64 v[31:32], v[25:26], v[29:30]
	v_mul_f64 v[29:30], v[23:24], v[29:30]
	v_fma_f64 v[23:24], v[23:24], v[27:28], -v[31:32]
	v_fma_f64 v[25:26], v[25:26], v[27:28], v[29:30]
	v_add_f64 v[10:11], v[10:11], v[23:24]
	v_add_f64 v[12:13], v[12:13], v[25:26]
	s_or_b64 exec, exec, s[18:19]
	v_cmp_gt_u32_e64 s[12:13], 8, v22
	s_and_saveexec_b64 s[18:19], s[12:13]
	s_cbranch_execz .LBB92_57
.LBB92_518:
	ds_read_b128 v[23:26], v19 offset:32
	ds_read_b128 v[27:30], v17 offset:1088
	s_waitcnt lgkmcnt(0)
	v_mul_f64 v[31:32], v[25:26], v[29:30]
	v_mul_f64 v[29:30], v[23:24], v[29:30]
	v_fma_f64 v[23:24], v[23:24], v[27:28], -v[31:32]
	v_fma_f64 v[25:26], v[25:26], v[27:28], v[29:30]
	v_add_f64 v[10:11], v[10:11], v[23:24]
	v_add_f64 v[12:13], v[12:13], v[25:26]
	s_or_b64 exec, exec, s[18:19]
	v_cmp_gt_u32_e64 s[12:13], 4, v22
	s_and_saveexec_b64 s[18:19], s[12:13]
	s_cbranch_execnz .LBB92_58
	s_branch .LBB92_59
.LBB92_519:
	v_lshlrev_b32_e32 v28, 4, v27
	v_sub_u32_e32 v28, v25, v28
	v_lshl_add_u32 v32, v26, 4, v28
	ds_read_b128 v[28:31], v25 offset:16
	ds_read_b128 v[32:35], v32 offset:640
	s_waitcnt lgkmcnt(0)
	v_mul_f64 v[36:37], v[30:31], v[34:35]
	v_mul_f64 v[34:35], v[28:29], v[34:35]
	v_fma_f64 v[28:29], v[28:29], v[32:33], -v[36:37]
	v_fma_f64 v[30:31], v[30:31], v[32:33], v[34:35]
	v_add_f64 v[10:11], v[10:11], v[28:29]
	v_add_f64 v[12:13], v[12:13], v[30:31]
	s_or_b64 exec, exec, s[58:59]
	v_cmp_gt_u32_e64 s[14:15], 48, v22
	s_and_saveexec_b64 s[58:59], s[14:15]
	s_cbranch_execz .LBB92_99
.LBB92_520:
	v_lshlrev_b32_e32 v28, 4, v27
	v_sub_u32_e32 v28, v25, v28
	v_lshl_add_u32 v32, v26, 4, v28
	ds_read_b128 v[28:31], v25 offset:32
	ds_read_b128 v[32:35], v32 offset:1152
	s_waitcnt lgkmcnt(0)
	v_mul_f64 v[36:37], v[30:31], v[34:35]
	v_mul_f64 v[34:35], v[28:29], v[34:35]
	v_fma_f64 v[28:29], v[28:29], v[32:33], -v[36:37]
	v_fma_f64 v[30:31], v[30:31], v[32:33], v[34:35]
	v_add_f64 v[10:11], v[10:11], v[28:29]
	v_add_f64 v[12:13], v[12:13], v[30:31]
	s_or_b64 exec, exec, s[58:59]
	v_cmp_gt_u32_e64 s[14:15], 40, v22
	s_and_saveexec_b64 s[58:59], s[14:15]
	s_cbranch_execz .LBB92_100
.LBB92_521:
	v_lshlrev_b32_e32 v28, 4, v27
	v_sub_u32_e32 v28, v25, v28
	v_lshl_add_u32 v32, v26, 4, v28
	ds_read_b128 v[28:31], v25 offset:48
	ds_read_b128 v[32:35], v32 offset:1664
	s_waitcnt lgkmcnt(0)
	v_mul_f64 v[36:37], v[30:31], v[34:35]
	v_mul_f64 v[34:35], v[28:29], v[34:35]
	v_fma_f64 v[28:29], v[28:29], v[32:33], -v[36:37]
	v_fma_f64 v[30:31], v[30:31], v[32:33], v[34:35]
	v_add_f64 v[10:11], v[10:11], v[28:29]
	v_add_f64 v[12:13], v[12:13], v[30:31]
	s_or_b64 exec, exec, s[58:59]
	v_cmp_gt_u32_e64 s[14:15], 32, v22
	s_and_saveexec_b64 s[58:59], s[14:15]
	s_cbranch_execz .LBB92_101
.LBB92_522:
	ds_read_b128 v[28:31], v25 offset:64
	ds_read_b128 v[32:35], v23 offset:2176
	s_waitcnt lgkmcnt(0)
	v_mul_f64 v[36:37], v[30:31], v[34:35]
	v_mul_f64 v[34:35], v[28:29], v[34:35]
	v_fma_f64 v[28:29], v[28:29], v[32:33], -v[36:37]
	v_fma_f64 v[30:31], v[30:31], v[32:33], v[34:35]
	v_add_f64 v[10:11], v[10:11], v[28:29]
	v_add_f64 v[12:13], v[12:13], v[30:31]
	s_or_b64 exec, exec, s[58:59]
	v_cmp_gt_u32_e64 s[14:15], 24, v22
	s_and_saveexec_b64 s[58:59], s[14:15]
	s_cbranch_execz .LBB92_102
.LBB92_523:
	v_lshlrev_b32_e32 v28, 4, v27
	v_sub_u32_e32 v28, v25, v28
	v_lshl_add_u32 v32, v26, 4, v28
	ds_read_b128 v[28:31], v25 offset:80
	ds_read_b128 v[32:35], v32 offset:2688
	s_waitcnt lgkmcnt(0)
	v_mul_f64 v[36:37], v[30:31], v[34:35]
	v_mul_f64 v[34:35], v[28:29], v[34:35]
	v_fma_f64 v[28:29], v[28:29], v[32:33], -v[36:37]
	v_fma_f64 v[30:31], v[30:31], v[32:33], v[34:35]
	v_add_f64 v[10:11], v[10:11], v[28:29]
	v_add_f64 v[12:13], v[12:13], v[30:31]
	s_or_b64 exec, exec, s[58:59]
	v_cmp_gt_u32_e64 s[14:15], 16, v22
	s_and_saveexec_b64 s[58:59], s[14:15]
	s_cbranch_execz .LBB92_103
.LBB92_524:
	ds_read_b128 v[28:31], v25 offset:96
	ds_read_b128 v[32:35], v23 offset:3200
	s_waitcnt lgkmcnt(0)
	v_mul_f64 v[36:37], v[30:31], v[34:35]
	v_mul_f64 v[34:35], v[28:29], v[34:35]
	v_fma_f64 v[28:29], v[28:29], v[32:33], -v[36:37]
	v_fma_f64 v[30:31], v[30:31], v[32:33], v[34:35]
	v_add_f64 v[10:11], v[10:11], v[28:29]
	v_add_f64 v[12:13], v[12:13], v[30:31]
	s_or_b64 exec, exec, s[58:59]
	v_cmp_gt_u32_e64 s[14:15], 8, v22
	s_and_saveexec_b64 s[58:59], s[14:15]
	s_cbranch_execnz .LBB92_104
	s_branch .LBB92_105
.LBB92_525:
	v_lshlrev_b32_e32 v29, 4, v21
	v_sub_u32_e32 v29, v28, v29
	v_lshl_add_u32 v33, v20, 4, v29
	ds_read_b128 v[29:32], v28 offset:4240
	ds_read_b128 v[33:36], v33 offset:4800
	s_waitcnt lgkmcnt(0)
	v_mul_f64 v[37:38], v[31:32], v[35:36]
	v_mul_f64 v[35:36], v[29:30], v[35:36]
	v_fma_f64 v[29:30], v[29:30], v[33:34], -v[37:38]
	v_fma_f64 v[31:32], v[31:32], v[33:34], v[35:36]
	v_add_f64 v[10:11], v[10:11], v[29:30]
	v_add_f64 v[12:13], v[12:13], v[31:32]
	s_or_b64 exec, exec, s[18:19]
	v_cmp_gt_u32_e64 s[12:13], 8, v22
	s_and_saveexec_b64 s[18:19], s[12:13]
	s_cbranch_execz .LBB92_161
.LBB92_526:
	ds_read_b128 v[28:31], v28 offset:4256
	ds_read_b128 v[32:35], v17 offset:5312
	s_waitcnt lgkmcnt(0)
	v_mul_f64 v[36:37], v[30:31], v[34:35]
	v_mul_f64 v[34:35], v[28:29], v[34:35]
	v_fma_f64 v[28:29], v[28:29], v[32:33], -v[36:37]
	v_fma_f64 v[30:31], v[30:31], v[32:33], v[34:35]
	v_add_f64 v[10:11], v[10:11], v[28:29]
	v_add_f64 v[12:13], v[12:13], v[30:31]
	s_or_b64 exec, exec, s[18:19]
	v_cmp_gt_u32_e64 s[12:13], 4, v22
	s_and_saveexec_b64 s[18:19], s[12:13]
	s_cbranch_execnz .LBB92_162
	s_branch .LBB92_163
.LBB92_527:
	ds_read_b128 v[33:36], v32 offset:176
	ds_read_b128 v[37:40], v28 offset:5888
	s_waitcnt lgkmcnt(0)
	v_mul_f64 v[41:42], v[35:36], v[39:40]
	v_mul_f64 v[39:40], v[33:34], v[39:40]
	v_fma_f64 v[33:34], v[33:34], v[37:38], -v[41:42]
	v_fma_f64 v[35:36], v[35:36], v[37:38], v[39:40]
	v_add_f64 v[10:11], v[10:11], v[33:34]
	v_add_f64 v[12:13], v[12:13], v[35:36]
	s_or_b64 exec, exec, s[90:91]
	v_cmp_gt_u32_e64 s[18:19], 64, v22
	s_and_saveexec_b64 s[90:91], s[18:19]
	s_cbranch_execz .LBB92_223
.LBB92_528:
	ds_read_b128 v[33:36], v32 offset:192
	ds_read_b128 v[37:40], v28 offset:6400
	s_waitcnt lgkmcnt(0)
	v_mul_f64 v[41:42], v[35:36], v[39:40]
	v_mul_f64 v[39:40], v[33:34], v[39:40]
	v_fma_f64 v[33:34], v[33:34], v[37:38], -v[41:42]
	v_fma_f64 v[35:36], v[35:36], v[37:38], v[39:40]
	v_add_f64 v[10:11], v[10:11], v[33:34]
	v_add_f64 v[12:13], v[12:13], v[35:36]
	s_or_b64 exec, exec, s[90:91]
	v_cmp_gt_u32_e64 s[18:19], 48, v22
	s_and_saveexec_b64 s[90:91], s[18:19]
	s_cbranch_execz .LBB92_224
.LBB92_529:
	ds_read_b128 v[33:36], v32 offset:208
	ds_read_b128 v[37:40], v28 offset:6912
	s_waitcnt lgkmcnt(0)
	v_mul_f64 v[41:42], v[35:36], v[39:40]
	v_mul_f64 v[39:40], v[33:34], v[39:40]
	v_fma_f64 v[33:34], v[33:34], v[37:38], -v[41:42]
	v_fma_f64 v[35:36], v[35:36], v[37:38], v[39:40]
	v_add_f64 v[10:11], v[10:11], v[33:34]
	v_add_f64 v[12:13], v[12:13], v[35:36]
	s_or_b64 exec, exec, s[90:91]
	v_cmp_gt_u32_e64 s[18:19], 32, v22
	s_and_saveexec_b64 s[90:91], s[18:19]
	s_cbranch_execz .LBB92_225
.LBB92_530:
	ds_read_b128 v[32:35], v32 offset:224
	ds_read_b128 v[36:39], v28 offset:7424
	s_waitcnt lgkmcnt(0)
	v_mul_f64 v[40:41], v[34:35], v[38:39]
	v_mul_f64 v[38:39], v[32:33], v[38:39]
	v_fma_f64 v[32:33], v[32:33], v[36:37], -v[40:41]
	v_fma_f64 v[34:35], v[34:35], v[36:37], v[38:39]
	v_add_f64 v[10:11], v[10:11], v[32:33]
	v_add_f64 v[12:13], v[12:13], v[34:35]
	s_or_b64 exec, exec, s[90:91]
	v_cmp_gt_u32_e64 s[18:19], 16, v22
	s_and_saveexec_b64 s[90:91], s[18:19]
	s_cbranch_execnz .LBB92_226
	s_branch .LBB92_227
.LBB92_531:
	v_lshlrev_b32_e32 v29, 4, v21
	v_sub_u32_e32 v29, v28, v29
	v_lshl_add_u32 v33, v20, 4, v29
	ds_read_b128 v[29:32], v28 offset:8464
	ds_read_b128 v[33:36], v33 offset:9024
	s_waitcnt lgkmcnt(0)
	v_mul_f64 v[37:38], v[31:32], v[35:36]
	v_mul_f64 v[35:36], v[29:30], v[35:36]
	v_fma_f64 v[29:30], v[29:30], v[33:34], -v[37:38]
	v_fma_f64 v[31:32], v[31:32], v[33:34], v[35:36]
	v_add_f64 v[10:11], v[10:11], v[29:30]
	v_add_f64 v[12:13], v[12:13], v[31:32]
	s_or_b64 exec, exec, s[14:15]
	v_cmp_gt_u32_e64 s[10:11], 8, v22
	s_and_saveexec_b64 s[14:15], s[10:11]
	s_cbranch_execz .LBB92_315
.LBB92_532:
	ds_read_b128 v[28:31], v28 offset:8480
	ds_read_b128 v[32:35], v17 offset:9536
	s_waitcnt lgkmcnt(0)
	v_mul_f64 v[36:37], v[30:31], v[34:35]
	v_mul_f64 v[34:35], v[28:29], v[34:35]
	v_fma_f64 v[28:29], v[28:29], v[32:33], -v[36:37]
	v_fma_f64 v[30:31], v[30:31], v[32:33], v[34:35]
	v_add_f64 v[10:11], v[10:11], v[28:29]
	v_add_f64 v[12:13], v[12:13], v[30:31]
	s_or_b64 exec, exec, s[14:15]
	v_cmp_gt_u32_e64 s[10:11], 4, v22
	s_and_saveexec_b64 s[14:15], s[10:11]
	s_cbranch_execnz .LBB92_316
	s_branch .LBB92_317
.LBB92_533:
	v_lshlrev_b32_e32 v29, 4, v27
	v_sub_u32_e32 v29, v28, v29
	v_lshl_add_u32 v33, v26, 4, v29
	ds_read_b128 v[29:32], v28 offset:8464
	ds_read_b128 v[33:36], v33 offset:9088
	s_waitcnt lgkmcnt(0)
	v_mul_f64 v[37:38], v[31:32], v[35:36]
	v_mul_f64 v[35:36], v[29:30], v[35:36]
	v_fma_f64 v[29:30], v[29:30], v[33:34], -v[37:38]
	v_fma_f64 v[31:32], v[31:32], v[33:34], v[35:36]
	v_add_f64 v[10:11], v[10:11], v[29:30]
	v_add_f64 v[12:13], v[12:13], v[31:32]
	s_or_b64 exec, exec, s[14:15]
	v_cmp_gt_u32_e64 s[10:11], 48, v22
	s_and_saveexec_b64 s[14:15], s[10:11]
	s_cbranch_execz .LBB92_357
.LBB92_534:
	v_lshlrev_b32_e32 v29, 4, v27
	v_sub_u32_e32 v29, v28, v29
	v_lshl_add_u32 v33, v26, 4, v29
	ds_read_b128 v[29:32], v28 offset:8480
	ds_read_b128 v[33:36], v33 offset:9600
	s_waitcnt lgkmcnt(0)
	v_mul_f64 v[37:38], v[31:32], v[35:36]
	v_mul_f64 v[35:36], v[29:30], v[35:36]
	v_fma_f64 v[29:30], v[29:30], v[33:34], -v[37:38]
	v_fma_f64 v[31:32], v[31:32], v[33:34], v[35:36]
	v_add_f64 v[10:11], v[10:11], v[29:30]
	v_add_f64 v[12:13], v[12:13], v[31:32]
	s_or_b64 exec, exec, s[14:15]
	v_cmp_gt_u32_e64 s[10:11], 40, v22
	s_and_saveexec_b64 s[14:15], s[10:11]
	s_cbranch_execz .LBB92_358
.LBB92_535:
	v_lshlrev_b32_e32 v29, 4, v27
	v_sub_u32_e32 v29, v28, v29
	v_lshl_add_u32 v33, v26, 4, v29
	ds_read_b128 v[29:32], v28 offset:8496
	ds_read_b128 v[33:36], v33 offset:10112
	s_waitcnt lgkmcnt(0)
	v_mul_f64 v[37:38], v[31:32], v[35:36]
	v_mul_f64 v[35:36], v[29:30], v[35:36]
	v_fma_f64 v[29:30], v[29:30], v[33:34], -v[37:38]
	v_fma_f64 v[31:32], v[31:32], v[33:34], v[35:36]
	v_add_f64 v[10:11], v[10:11], v[29:30]
	v_add_f64 v[12:13], v[12:13], v[31:32]
	s_or_b64 exec, exec, s[14:15]
	v_cmp_gt_u32_e64 s[10:11], 32, v22
	s_and_saveexec_b64 s[14:15], s[10:11]
	s_cbranch_execz .LBB92_359
.LBB92_536:
	ds_read_b128 v[29:32], v28 offset:8512
	ds_read_b128 v[33:36], v23 offset:10624
	s_waitcnt lgkmcnt(0)
	v_mul_f64 v[37:38], v[31:32], v[35:36]
	v_mul_f64 v[35:36], v[29:30], v[35:36]
	v_fma_f64 v[29:30], v[29:30], v[33:34], -v[37:38]
	v_fma_f64 v[31:32], v[31:32], v[33:34], v[35:36]
	v_add_f64 v[10:11], v[10:11], v[29:30]
	v_add_f64 v[12:13], v[12:13], v[31:32]
	s_or_b64 exec, exec, s[14:15]
	v_cmp_gt_u32_e64 s[10:11], 24, v22
	s_and_saveexec_b64 s[14:15], s[10:11]
	s_cbranch_execz .LBB92_360
.LBB92_537:
	v_lshlrev_b32_e32 v27, 4, v27
	v_sub_u32_e32 v27, v28, v27
	v_lshl_add_u32 v26, v26, 4, v27
	ds_read_b128 v[29:32], v28 offset:8528
	ds_read_b128 v[33:36], v26 offset:11136
	s_waitcnt lgkmcnt(0)
	v_mul_f64 v[26:27], v[31:32], v[35:36]
	v_mul_f64 v[35:36], v[29:30], v[35:36]
	v_fma_f64 v[26:27], v[29:30], v[33:34], -v[26:27]
	v_fma_f64 v[29:30], v[31:32], v[33:34], v[35:36]
	v_add_f64 v[10:11], v[10:11], v[26:27]
	v_add_f64 v[12:13], v[12:13], v[29:30]
	s_or_b64 exec, exec, s[14:15]
	v_cmp_gt_u32_e64 s[10:11], 16, v22
	s_and_saveexec_b64 s[14:15], s[10:11]
	s_cbranch_execz .LBB92_361
.LBB92_538:
	ds_read_b128 v[26:29], v28 offset:8544
	ds_read_b128 v[30:33], v23 offset:11648
	s_waitcnt lgkmcnt(0)
	v_mul_f64 v[34:35], v[28:29], v[32:33]
	v_mul_f64 v[32:33], v[26:27], v[32:33]
	v_fma_f64 v[26:27], v[26:27], v[30:31], -v[34:35]
	v_fma_f64 v[28:29], v[28:29], v[30:31], v[32:33]
	v_add_f64 v[10:11], v[10:11], v[26:27]
	v_add_f64 v[12:13], v[12:13], v[28:29]
	s_or_b64 exec, exec, s[14:15]
	v_cmp_gt_u32_e64 s[10:11], 8, v22
	s_and_saveexec_b64 s[14:15], s[10:11]
	s_cbranch_execnz .LBB92_362
	s_branch .LBB92_363
.LBB92_539:
	v_lshlrev_b32_e32 v21, 4, v21
	v_sub_u32_e32 v21, v23, v21
	v_lshl_add_u32 v20, v20, 4, v21
	ds_read_b128 v[24:27], v23 offset:12688
	ds_read_b128 v[28:31], v20 offset:13248
	s_waitcnt lgkmcnt(0)
	v_mul_f64 v[20:21], v[26:27], v[30:31]
	v_mul_f64 v[30:31], v[24:25], v[30:31]
	v_fma_f64 v[20:21], v[24:25], v[28:29], -v[20:21]
	v_fma_f64 v[24:25], v[26:27], v[28:29], v[30:31]
	v_add_f64 v[10:11], v[10:11], v[20:21]
	v_add_f64 v[12:13], v[12:13], v[24:25]
	s_or_b64 exec, exec, s[12:13]
	v_cmp_gt_u32_e64 s[8:9], 8, v22
	s_and_saveexec_b64 s[12:13], s[8:9]
	s_cbranch_execz .LBB92_419
.LBB92_540:
	ds_read_b128 v[23:26], v23 offset:12704
	ds_read_b128 v[27:30], v17 offset:13760
	s_waitcnt lgkmcnt(0)
	v_mul_f64 v[20:21], v[25:26], v[29:30]
	v_mul_f64 v[29:30], v[23:24], v[29:30]
	v_fma_f64 v[20:21], v[23:24], v[27:28], -v[20:21]
	v_fma_f64 v[23:24], v[25:26], v[27:28], v[29:30]
	v_add_f64 v[10:11], v[10:11], v[20:21]
	v_add_f64 v[12:13], v[12:13], v[23:24]
	s_or_b64 exec, exec, s[12:13]
	v_cmp_gt_u32_e64 s[8:9], 4, v22
	s_and_saveexec_b64 s[12:13], s[8:9]
	s_cbranch_execnz .LBB92_420
	s_branch .LBB92_421
	.section	.rodata,"a",@progbits
	.p2align	6, 0x0
	.amdhsa_kernel _ZL19rocblas_trsv_deviceILi32ELi16ELb1ELb1ELb0ELb1E19rocblas_complex_numIdES1_PKS1_PS1_EviT7_lllT6_T8_lllPii
		.amdhsa_group_segment_fixed_size 25104
		.amdhsa_private_segment_fixed_size 0
		.amdhsa_kernarg_size 360
		.amdhsa_user_sgpr_count 6
		.amdhsa_user_sgpr_private_segment_buffer 1
		.amdhsa_user_sgpr_dispatch_ptr 0
		.amdhsa_user_sgpr_queue_ptr 0
		.amdhsa_user_sgpr_kernarg_segment_ptr 1
		.amdhsa_user_sgpr_dispatch_id 0
		.amdhsa_user_sgpr_flat_scratch_init 0
		.amdhsa_user_sgpr_private_segment_size 0
		.amdhsa_uses_dynamic_stack 0
		.amdhsa_system_sgpr_private_segment_wavefront_offset 0
		.amdhsa_system_sgpr_workgroup_id_x 1
		.amdhsa_system_sgpr_workgroup_id_y 0
		.amdhsa_system_sgpr_workgroup_id_z 1
		.amdhsa_system_sgpr_workgroup_info 0
		.amdhsa_system_vgpr_workitem_id 1
		.amdhsa_next_free_vgpr 49
		.amdhsa_next_free_sgpr 98
		.amdhsa_reserve_vcc 1
		.amdhsa_reserve_flat_scratch 0
		.amdhsa_float_round_mode_32 0
		.amdhsa_float_round_mode_16_64 0
		.amdhsa_float_denorm_mode_32 3
		.amdhsa_float_denorm_mode_16_64 3
		.amdhsa_dx10_clamp 1
		.amdhsa_ieee_mode 1
		.amdhsa_fp16_overflow 0
		.amdhsa_exception_fp_ieee_invalid_op 0
		.amdhsa_exception_fp_denorm_src 0
		.amdhsa_exception_fp_ieee_div_zero 0
		.amdhsa_exception_fp_ieee_overflow 0
		.amdhsa_exception_fp_ieee_underflow 0
		.amdhsa_exception_fp_ieee_inexact 0
		.amdhsa_exception_int_div_zero 0
	.end_amdhsa_kernel
	.section	.text._ZL19rocblas_trsv_deviceILi32ELi16ELb1ELb1ELb0ELb1E19rocblas_complex_numIdES1_PKS1_PS1_EviT7_lllT6_T8_lllPii,"axG",@progbits,_ZL19rocblas_trsv_deviceILi32ELi16ELb1ELb1ELb0ELb1E19rocblas_complex_numIdES1_PKS1_PS1_EviT7_lllT6_T8_lllPii,comdat
.Lfunc_end92:
	.size	_ZL19rocblas_trsv_deviceILi32ELi16ELb1ELb1ELb0ELb1E19rocblas_complex_numIdES1_PKS1_PS1_EviT7_lllT6_T8_lllPii, .Lfunc_end92-_ZL19rocblas_trsv_deviceILi32ELi16ELb1ELb1ELb0ELb1E19rocblas_complex_numIdES1_PKS1_PS1_EviT7_lllT6_T8_lllPii
                                        ; -- End function
	.set _ZL19rocblas_trsv_deviceILi32ELi16ELb1ELb1ELb0ELb1E19rocblas_complex_numIdES1_PKS1_PS1_EviT7_lllT6_T8_lllPii.num_vgpr, 43
	.set _ZL19rocblas_trsv_deviceILi32ELi16ELb1ELb1ELb0ELb1E19rocblas_complex_numIdES1_PKS1_PS1_EviT7_lllT6_T8_lllPii.num_agpr, 0
	.set _ZL19rocblas_trsv_deviceILi32ELi16ELb1ELb1ELb0ELb1E19rocblas_complex_numIdES1_PKS1_PS1_EviT7_lllT6_T8_lllPii.numbered_sgpr, 96
	.set _ZL19rocblas_trsv_deviceILi32ELi16ELb1ELb1ELb0ELb1E19rocblas_complex_numIdES1_PKS1_PS1_EviT7_lllT6_T8_lllPii.num_named_barrier, 0
	.set _ZL19rocblas_trsv_deviceILi32ELi16ELb1ELb1ELb0ELb1E19rocblas_complex_numIdES1_PKS1_PS1_EviT7_lllT6_T8_lllPii.private_seg_size, 0
	.set _ZL19rocblas_trsv_deviceILi32ELi16ELb1ELb1ELb0ELb1E19rocblas_complex_numIdES1_PKS1_PS1_EviT7_lllT6_T8_lllPii.uses_vcc, 1
	.set _ZL19rocblas_trsv_deviceILi32ELi16ELb1ELb1ELb0ELb1E19rocblas_complex_numIdES1_PKS1_PS1_EviT7_lllT6_T8_lllPii.uses_flat_scratch, 0
	.set _ZL19rocblas_trsv_deviceILi32ELi16ELb1ELb1ELb0ELb1E19rocblas_complex_numIdES1_PKS1_PS1_EviT7_lllT6_T8_lllPii.has_dyn_sized_stack, 0
	.set _ZL19rocblas_trsv_deviceILi32ELi16ELb1ELb1ELb0ELb1E19rocblas_complex_numIdES1_PKS1_PS1_EviT7_lllT6_T8_lllPii.has_recursion, 0
	.set _ZL19rocblas_trsv_deviceILi32ELi16ELb1ELb1ELb0ELb1E19rocblas_complex_numIdES1_PKS1_PS1_EviT7_lllT6_T8_lllPii.has_indirect_call, 0
	.section	.AMDGPU.csdata,"",@progbits
; Kernel info:
; codeLenInByte = 21788
; TotalNumSgprs: 100
; NumVgprs: 43
; ScratchSize: 0
; MemoryBound: 1
; FloatMode: 240
; IeeeMode: 1
; LDSByteSize: 25104 bytes/workgroup (compile time only)
; SGPRBlocks: 12
; VGPRBlocks: 12
; NumSGPRsForWavesPerEU: 102
; NumVGPRsForWavesPerEU: 49
; Occupancy: 4
; WaveLimiterHint : 0
; COMPUTE_PGM_RSRC2:SCRATCH_EN: 0
; COMPUTE_PGM_RSRC2:USER_SGPR: 6
; COMPUTE_PGM_RSRC2:TRAP_HANDLER: 0
; COMPUTE_PGM_RSRC2:TGID_X_EN: 1
; COMPUTE_PGM_RSRC2:TGID_Y_EN: 0
; COMPUTE_PGM_RSRC2:TGID_Z_EN: 1
; COMPUTE_PGM_RSRC2:TIDIG_COMP_CNT: 1
	.section	.text._ZL19rocblas_trsv_deviceILi32ELi16ELb1ELb1ELb1ELb1E19rocblas_complex_numIdES1_PKS1_PS1_EviT7_lllT6_T8_lllPii,"axG",@progbits,_ZL19rocblas_trsv_deviceILi32ELi16ELb1ELb1ELb1ELb1E19rocblas_complex_numIdES1_PKS1_PS1_EviT7_lllT6_T8_lllPii,comdat
	.globl	_ZL19rocblas_trsv_deviceILi32ELi16ELb1ELb1ELb1ELb1E19rocblas_complex_numIdES1_PKS1_PS1_EviT7_lllT6_T8_lllPii ; -- Begin function _ZL19rocblas_trsv_deviceILi32ELi16ELb1ELb1ELb1ELb1E19rocblas_complex_numIdES1_PKS1_PS1_EviT7_lllT6_T8_lllPii
	.p2align	8
	.type	_ZL19rocblas_trsv_deviceILi32ELi16ELb1ELb1ELb1ELb1E19rocblas_complex_numIdES1_PKS1_PS1_EviT7_lllT6_T8_lllPii,@function
_ZL19rocblas_trsv_deviceILi32ELi16ELb1ELb1ELb1ELb1E19rocblas_complex_numIdES1_PKS1_PS1_EviT7_lllT6_T8_lllPii: ; @_ZL19rocblas_trsv_deviceILi32ELi16ELb1ELb1ELb1ELb1E19rocblas_complex_numIdES1_PKS1_PS1_EviT7_lllT6_T8_lllPii
; %bb.0:
	s_load_dwordx16 s[16:31], s[4:5], 0x8
	s_load_dword s36, s[4:5], 0x0
	s_mov_b32 s34, s7
	s_mov_b32 s35, 0
	s_load_dword s95, s[4:5], 0x74
	s_waitcnt lgkmcnt(0)
	s_mul_i32 s0, s23, s7
	s_mul_hi_u32 s1, s22, s7
	s_add_i32 s1, s1, s0
	s_mul_i32 s0, s22, s7
	s_load_dword s7, s[4:5], 0x68
	s_lshl_b64 s[0:1], s[0:1], 4
	s_add_u32 s2, s16, s0
	s_addc_u32 s3, s17, s1
	s_lshl_b64 s[0:1], s[18:19], 4
	s_add_u32 s93, s2, s0
	s_addc_u32 s94, s3, s1
	s_waitcnt lgkmcnt(0)
	s_add_i32 s7, s7, -1
	s_sub_i32 s33, s7, s6
	s_cmp_eq_u32 s6, 0
	s_cbranch_scc1 .LBB93_6
; %bb.1:
	s_lshl_b32 s2, s33, 5
	v_add_u32_e32 v6, s2, v0
	v_ashrrev_i32_e32 v2, 31, v6
	v_mul_lo_u32 v7, s20, v2
	v_mul_lo_u32 v8, s21, v6
	v_mad_u64_u32 v[4:5], s[0:1], s20, v6, 0
	v_add3_u32 v2, v1, s2, 32
	v_ashrrev_i32_e32 v3, 31, v2
	v_add3_u32 v5, v5, v7, v8
	v_lshlrev_b64 v[4:5], 4, v[4:5]
	v_cmp_gt_i32_e32 vcc, s36, v6
	v_mov_b32_e32 v6, s94
	v_add_co_u32_e64 v7, s[0:1], s93, v4
	v_lshlrev_b64 v[3:4], 4, v[2:3]
	v_addc_co_u32_e64 v5, s[0:1], v6, v5, s[0:1]
	v_add_co_u32_e64 v10, s[0:1], v7, v3
	v_addc_co_u32_e64 v11, s[0:1], v5, v4, s[0:1]
	v_cmp_gt_i32_e64 s[0:1], s36, v2
	v_mov_b32_e32 v4, 0
	v_mov_b32_e32 v6, 0
	;; [unrolled: 1-line block ×6, first 2 shown]
	s_and_b64 s[2:3], s[0:1], vcc
	s_barrier
	s_and_saveexec_b64 s[0:1], s[2:3]
	s_cbranch_execz .LBB93_3
; %bb.2:
	global_load_dwordx4 v[6:9], v[10:11], off
.LBB93_3:
	s_or_b64 exec, exec, s[0:1]
	v_add_u32_e32 v2, 16, v2
	v_cmp_gt_i32_e64 s[0:1], s36, v2
	v_mov_b32_e32 v2, 0
	v_mov_b32_e32 v3, 0
	s_and_b64 s[2:3], s[0:1], vcc
	s_waitcnt vmcnt(0)
	s_barrier
	s_and_saveexec_b64 s[0:1], s[2:3]
	s_cbranch_execz .LBB93_5
; %bb.4:
	global_load_dwordx4 v[2:5], v[10:11], off offset:256
.LBB93_5:
	s_or_b64 exec, exec, s[0:1]
	s_branch .LBB93_7
.LBB93_6:
                                        ; implicit-def: $vgpr4_vgpr5
                                        ; implicit-def: $vgpr8_vgpr9
.LBB93_7:
	s_ashr_i32 s37, s36, 31
	s_lshr_b32 s0, s37, 27
	s_add_i32 s0, s36, s0
	s_andn2_b32 s0, s0, 31
	s_sub_i32 s92, s36, s0
	s_add_i32 s0, s36, -1
	s_ashr_i32 s1, s0, 31
	s_lshr_b32 s1, s1, 27
	s_add_i32 s0, s0, s1
	s_ashr_i32 s0, s0, 5
	s_cmp_eq_u32 s0, s33
	s_cselect_b64 s[0:1], -1, 0
	s_cmp_lg_u32 s92, 0
	s_cselect_b64 s[2:3], -1, 0
	s_and_b64 s[22:23], s[2:3], s[0:1]
	s_cmp_lt_i32 s6, 5
	s_cselect_b64 s[2:3], -1, 0
	v_lshlrev_b32_e32 v10, 5, v0
	s_mov_b64 s[12:13], -1
	s_or_b64 s[0:1], s[2:3], s[22:23]
	s_and_b64 vcc, exec, s[22:23]
	v_add_u32_e32 v11, v1, v10
	v_cmp_le_u32_e64 s[8:9], v0, v1
	v_lshl_add_u32 v22, v1, 5, v0
	s_cbranch_vccnz .LBB93_21
; %bb.8:
	s_add_u32 s10, s20, 1
	s_addc_u32 s11, s21, 0
	s_lshl_b32 s12, s33, 5
	s_ashr_i32 s13, s12, 31
	s_mul_hi_u32 s14, s10, s12
	s_mul_i32 s13, s10, s13
	s_add_i32 s13, s14, s13
	s_mul_i32 s11, s11, s12
	s_add_i32 s11, s13, s11
	s_mul_i32 s10, s10, s12
	s_lshl_b64 s[10:11], s[10:11], 4
	s_add_u32 s10, s93, s10
	s_addc_u32 s11, s94, s11
	v_lshlrev_b32_e32 v12, 4, v0
	v_mov_b32_e32 v13, s11
	v_add_co_u32_e32 v12, vcc, s10, v12
	v_addc_co_u32_e32 v13, vcc, 0, v13, vcc
	v_cndmask_b32_e64 v14, v22, v11, s[2:3]
	s_and_saveexec_b64 s[2:3], s[8:9]
	s_xor_b64 s[2:3], exec, s[2:3]
	s_cbranch_execz .LBB93_12
; %bb.9:
	v_or_b32_e32 v15, v1, v0
	v_cmp_gt_u32_e32 vcc, 32, v15
	s_and_saveexec_b64 s[8:9], vcc
	s_cbranch_execz .LBB93_11
; %bb.10:
	v_lshlrev_b32_e32 v18, 4, v14
	v_mov_b32_e32 v14, 0
	v_mov_b32_e32 v15, v14
	v_mov_b32_e32 v16, v14
	v_mov_b32_e32 v17, v14
	ds_write_b128 v18, v[14:17]
.LBB93_11:
	s_or_b64 exec, exec, s[8:9]
                                        ; implicit-def: $vgpr14
.LBB93_12:
	s_andn2_saveexec_b64 s[2:3], s[2:3]
	s_cbranch_execz .LBB93_14
; %bb.13:
	v_mad_u64_u32 v[15:16], s[8:9], s20, v1, 0
	v_lshlrev_b32_e32 v14, 4, v14
	v_mad_u64_u32 v[16:17], s[8:9], s21, v1, v[16:17]
	v_lshlrev_b64 v[15:16], 4, v[15:16]
	v_add_co_u32_e32 v15, vcc, v12, v15
	v_addc_co_u32_e32 v16, vcc, v13, v16, vcc
	global_load_dwordx4 v[15:18], v[15:16], off
	s_waitcnt vmcnt(0)
	v_xor_b32_e32 v16, 0x80000000, v16
	ds_write_b128 v14, v[15:18]
.LBB93_14:
	s_or_b64 exec, exec, s[2:3]
	v_add_u32_e32 v15, 16, v1
	v_add_u32_e32 v14, v15, v10
	v_lshl_add_u32 v16, v15, 5, v0
	v_cndmask_b32_e64 v14, v16, v14, s[0:1]
	v_cmp_le_u32_e32 vcc, v0, v15
	s_and_saveexec_b64 s[2:3], vcc
	s_xor_b64 s[2:3], exec, s[2:3]
	s_cbranch_execz .LBB93_18
; %bb.15:
	v_or_b32_e32 v12, v15, v0
	v_cmp_gt_u32_e32 vcc, 32, v12
	s_and_saveexec_b64 s[8:9], vcc
	s_cbranch_execz .LBB93_17
; %bb.16:
	v_mov_b32_e32 v12, 0
	v_lshlrev_b32_e32 v16, 4, v14
	v_mov_b32_e32 v13, v12
	v_mov_b32_e32 v14, v12
	v_mov_b32_e32 v15, v12
	ds_write_b128 v16, v[12:15]
.LBB93_17:
	s_or_b64 exec, exec, s[8:9]
                                        ; implicit-def: $vgpr15
                                        ; implicit-def: $vgpr12
                                        ; implicit-def: $vgpr13
                                        ; implicit-def: $vgpr14
.LBB93_18:
	s_andn2_saveexec_b64 s[2:3], s[2:3]
	s_cbranch_execz .LBB93_20
; %bb.19:
	v_mad_u64_u32 v[16:17], s[8:9], s20, v15, 0
	v_mad_u64_u32 v[17:18], s[8:9], s21, v15, v[17:18]
	v_lshlrev_b64 v[15:16], 4, v[16:17]
	v_add_co_u32_e32 v12, vcc, v12, v15
	v_addc_co_u32_e32 v13, vcc, v13, v16, vcc
	global_load_dwordx4 v[15:18], v[12:13], off
	v_lshlrev_b32_e32 v12, 4, v14
	s_waitcnt vmcnt(0)
	v_xor_b32_e32 v16, 0x80000000, v16
	ds_write_b128 v12, v[15:18]
.LBB93_20:
	s_or_b64 exec, exec, s[2:3]
	s_mov_b64 s[12:13], 0
.LBB93_21:
	s_xor_b64 s[10:11], s[0:1], -1
	s_and_b64 vcc, exec, s[12:13]
	s_cbranch_vccz .LBB93_35
; %bb.22:
	s_add_u32 s2, s20, 1
	s_addc_u32 s3, s21, 0
	s_lshl_b32 s8, s33, 5
	s_ashr_i32 s9, s8, 31
	s_mul_hi_u32 s12, s2, s8
	s_mul_i32 s9, s2, s9
	s_add_i32 s9, s12, s9
	s_mul_i32 s3, s3, s8
	s_add_i32 s3, s9, s3
	s_mul_i32 s2, s2, s8
	s_lshl_b64 s[2:3], s[2:3], 4
	s_add_u32 s2, s93, s2
	s_addc_u32 s3, s94, s3
	v_lshlrev_b32_e32 v12, 4, v0
	v_mov_b32_e32 v13, s3
	v_add_co_u32_e64 v12, s[2:3], s2, v12
	v_addc_co_u32_e64 v13, s[2:3], 0, v13, s[2:3]
	v_max_i32_e32 v14, v1, v0
	v_cmp_le_u32_e64 s[2:3], v0, v1
	v_cmp_le_i32_e64 s[8:9], s92, v14
	v_cmp_gt_i32_e32 vcc, s92, v0
	s_or_b64 s[2:3], s[8:9], s[2:3]
	s_and_saveexec_b64 s[8:9], s[2:3]
	s_xor_b64 s[8:9], exec, s[8:9]
	s_cbranch_execz .LBB93_26
; %bb.23:
	v_or_b32_e32 v14, v1, v0
	v_cmp_gt_u32_e64 s[2:3], 32, v14
	s_and_saveexec_b64 s[12:13], s[2:3]
	s_cbranch_execz .LBB93_25
; %bb.24:
	v_mov_b32_e32 v14, 0
	v_lshlrev_b32_e32 v11, 4, v11
	v_mov_b32_e32 v15, v14
	v_mov_b32_e32 v16, v14
	;; [unrolled: 1-line block ×3, first 2 shown]
	ds_write_b128 v11, v[14:17]
.LBB93_25:
	s_or_b64 exec, exec, s[12:13]
                                        ; implicit-def: $vgpr11
.LBB93_26:
	s_andn2_saveexec_b64 s[8:9], s[8:9]
	s_cbranch_execz .LBB93_28
; %bb.27:
	v_mad_u64_u32 v[14:15], s[2:3], s20, v1, 0
	v_lshlrev_b32_e32 v11, 4, v11
	v_mad_u64_u32 v[15:16], s[2:3], s21, v1, v[15:16]
	v_lshlrev_b64 v[14:15], 4, v[14:15]
	v_add_co_u32_e64 v14, s[2:3], v12, v14
	v_addc_co_u32_e64 v15, s[2:3], v13, v15, s[2:3]
	global_load_dwordx4 v[14:17], v[14:15], off
	s_waitcnt vmcnt(0)
	v_xor_b32_e32 v15, 0x80000000, v15
	ds_write_b128 v11, v[14:17]
.LBB93_28:
	s_or_b64 exec, exec, s[8:9]
	v_add_u32_e32 v11, 16, v1
	v_add_u32_e32 v10, v11, v10
	v_lshl_add_u32 v14, v11, 5, v0
	v_cndmask_b32_e64 v10, v14, v10, s[0:1]
	v_cmp_gt_u32_e64 s[0:1], v0, v11
	v_cmp_gt_i32_e64 s[2:3], s92, v11
	s_and_b64 s[0:1], s[0:1], s[2:3]
	s_and_b64 s[0:1], s[0:1], vcc
	s_xor_b64 s[0:1], s[0:1], -1
	s_and_saveexec_b64 s[2:3], s[0:1]
	s_xor_b64 s[0:1], exec, s[2:3]
	s_cbranch_execz .LBB93_32
; %bb.29:
	v_or_b32_e32 v11, v11, v0
	v_cmp_gt_u32_e32 vcc, 32, v11
	s_and_saveexec_b64 s[2:3], vcc
	s_cbranch_execz .LBB93_31
; %bb.30:
	v_lshlrev_b32_e32 v14, 4, v10
	v_mov_b32_e32 v10, 0
	v_mov_b32_e32 v11, v10
	;; [unrolled: 1-line block ×4, first 2 shown]
	ds_write_b128 v14, v[10:13]
.LBB93_31:
	s_or_b64 exec, exec, s[2:3]
                                        ; implicit-def: $vgpr11
                                        ; implicit-def: $vgpr12
                                        ; implicit-def: $vgpr13
                                        ; implicit-def: $vgpr10
.LBB93_32:
	s_andn2_saveexec_b64 s[0:1], s[0:1]
	s_cbranch_execz .LBB93_34
; %bb.33:
	v_mad_u64_u32 v[14:15], s[2:3], s20, v11, 0
	v_lshlrev_b32_e32 v10, 4, v10
	v_mad_u64_u32 v[15:16], s[2:3], s21, v11, v[15:16]
	v_lshlrev_b64 v[14:15], 4, v[14:15]
	v_add_co_u32_e32 v11, vcc, v12, v14
	v_addc_co_u32_e32 v12, vcc, v13, v15, vcc
	global_load_dwordx4 v[11:14], v[11:12], off
	s_waitcnt vmcnt(0)
	v_xor_b32_e32 v12, 0x80000000, v12
	ds_write_b128 v10, v[11:14]
.LBB93_34:
	s_or_b64 exec, exec, s[0:1]
.LBB93_35:
	v_cndmask_b32_e64 v10, 0, 1, s[10:11]
	v_cmp_ne_u32_e64 s[0:1], 1, v10
	s_andn2_b64 vcc, exec, s[10:11]
	s_waitcnt vmcnt(0) lgkmcnt(0)
	s_barrier
	s_cbranch_vccnz .LBB93_459
; %bb.36:
	v_or_b32_e32 v10, v0, v1
	s_mov_b32 s8, 0
	v_cmp_eq_u32_e32 vcc, 0, v10
	s_and_saveexec_b64 s[2:3], vcc
	s_cbranch_execz .LBB93_38
; %bb.37:
	v_mov_b32_e32 v18, 0
	ds_read_b128 v[10:13], v18 offset:16
	s_mov_b32 s11, s8
	s_mov_b32 s9, 0x3ff00000
	;; [unrolled: 1-line block ×3, first 2 shown]
	v_mov_b32_e32 v17, s11
	v_mov_b32_e32 v16, s10
	;; [unrolled: 1-line block ×4, first 2 shown]
	ds_write_b128 v18, v[14:17]
	ds_write_b128 v18, v[14:17] offset:528
	s_waitcnt lgkmcnt(2)
	ds_write_b128 v18, v[10:13] offset:512
.LBB93_38:
	s_or_b64 exec, exec, s[2:3]
	v_and_b32_e32 v17, 1, v0
	v_lshrrev_b32_e32 v16, 1, v22
	v_lshlrev_b32_e32 v14, 4, v17
	v_mov_b32_e32 v12, 0
	v_mov_b32_e32 v10, 0
	v_cmp_lt_u32_e64 s[8:9], 3, v22
	v_cmp_gt_u32_e64 s[2:3], 4, v22
	v_mov_b32_e32 v13, 0
	v_mov_b32_e32 v11, 0
	v_lshl_or_b32 v14, v16, 9, v14
	s_waitcnt lgkmcnt(0)
	s_barrier
	s_and_saveexec_b64 s[12:13], s[2:3]
	s_cbranch_execz .LBB93_42
; %bb.39:
	v_mul_u32_u24_e32 v10, 0x210, v16
	ds_read_b128 v[10:13], v10
	ds_read_b128 v[18:21], v14 offset:32
	v_cmp_gt_u32_e64 s[10:11], 2, v22
	s_waitcnt lgkmcnt(0)
	v_mul_f64 v[23:24], v[12:13], v[20:21]
	v_mul_f64 v[20:21], v[10:11], v[20:21]
	v_fma_f64 v[10:11], v[10:11], v[18:19], -v[23:24]
	v_fma_f64 v[12:13], v[12:13], v[18:19], v[20:21]
	v_add_f64 v[10:11], v[10:11], 0
	v_add_f64 v[12:13], v[12:13], 0
	s_and_saveexec_b64 s[14:15], s[10:11]
	s_cbranch_execz .LBB93_41
; %bb.40:
	v_mov_b32_e32 v18, 0
	v_lshlrev_b32_e32 v15, 4, v0
	ds_read_b128 v[18:21], v18 offset:16
	ds_read_b128 v[23:26], v15 offset:544
	s_waitcnt lgkmcnt(0)
	v_mul_f64 v[27:28], v[20:21], v[25:26]
	v_mul_f64 v[25:26], v[18:19], v[25:26]
	v_fma_f64 v[18:19], v[18:19], v[23:24], -v[27:28]
	v_fma_f64 v[20:21], v[20:21], v[23:24], v[25:26]
	v_add_f64 v[10:11], v[10:11], v[18:19]
	v_add_f64 v[12:13], v[12:13], v[20:21]
.LBB93_41:
	s_or_b64 exec, exec, s[14:15]
	v_xor_b32_e32 v11, 0x80000000, v11
	v_xor_b32_e32 v13, 0x80000000, v13
.LBB93_42:
	s_or_b64 exec, exec, s[12:13]
	v_mov_b32_e32 v15, 0x4000
	v_cmp_eq_u32_e64 s[10:11], 0, v17
	s_xor_b64 s[12:13], s[8:9], -1
	v_lshl_add_u32 v15, v16, 4, v15
	s_and_b64 s[40:41], s[10:11], s[12:13]
	s_and_saveexec_b64 s[8:9], s[40:41]
; %bb.43:
	ds_write_b128 v15, v[10:13]
; %bb.44:
	s_or_b64 exec, exec, s[8:9]
	v_cmp_ne_u32_e64 s[8:9], 0, v17
	s_and_b64 s[38:39], s[8:9], s[12:13]
	s_waitcnt lgkmcnt(0)
	s_barrier
	s_and_saveexec_b64 s[8:9], s[38:39]
	s_cbranch_execz .LBB93_46
; %bb.45:
	v_mov_b32_e32 v21, 0
	ds_read_b128 v[17:20], v15
	ds_read_b128 v[23:26], v21 offset:1072
	s_waitcnt lgkmcnt(0)
	v_mul_f64 v[27:28], v[19:20], v[25:26]
	v_mul_f64 v[25:26], v[17:18], v[25:26]
	v_fma_f64 v[17:18], v[17:18], v[23:24], -v[27:28]
	v_fma_f64 v[19:20], v[19:20], v[23:24], v[25:26]
	v_add_f64 v[10:11], v[10:11], v[17:18]
	v_add_f64 v[12:13], v[12:13], v[19:20]
.LBB93_46:
	s_or_b64 exec, exec, s[8:9]
	s_barrier
	s_and_saveexec_b64 s[8:9], s[38:39]
; %bb.47:
	ds_write_b128 v15, v[10:13]
; %bb.48:
	s_or_b64 exec, exec, s[8:9]
	s_waitcnt lgkmcnt(0)
	s_barrier
	s_barrier
	s_and_saveexec_b64 s[8:9], s[2:3]
; %bb.49:
	v_xor_b32_e32 v11, 0x80000000, v11
	v_xor_b32_e32 v13, 0x80000000, v13
	ds_write_b128 v14, v[10:13] offset:32
; %bb.50:
	s_or_b64 exec, exec, s[8:9]
	v_cmp_eq_u32_e64 s[10:11], 0, v1
	v_cmp_gt_u32_e64 s[8:9], 2, v0
	s_and_b64 s[42:43], s[10:11], s[8:9]
	s_waitcnt lgkmcnt(0)
	s_barrier
	s_barrier
	s_and_saveexec_b64 s[8:9], s[42:43]
	s_cbranch_execz .LBB93_52
; %bb.51:
	v_lshlrev_b32_e32 v17, 9, v0
	ds_read_b128 v[10:13], v17 offset:32
	s_movk_i32 s12, 0xfe10
	v_mad_i32_i24 v18, v0, s12, v17
	s_waitcnt lgkmcnt(0)
	ds_write_b128 v18, v[10:13] offset:1024
	ds_read_b128 v[10:13], v17 offset:48
	s_waitcnt lgkmcnt(0)
	ds_write_b128 v18, v[10:13] offset:1536
.LBB93_52:
	s_or_b64 exec, exec, s[8:9]
	s_waitcnt lgkmcnt(0)
	s_barrier
	s_and_saveexec_b64 s[8:9], vcc
	s_cbranch_execz .LBB93_54
; %bb.53:
	s_mov_b32 s12, 0
	v_mov_b32_e32 v21, 0
	ds_read_b128 v[10:13], v21 offset:1072
	s_mov_b32 s15, s12
	s_mov_b32 s13, 0x3ff00000
	;; [unrolled: 1-line block ×3, first 2 shown]
	v_mov_b32_e32 v20, s15
	v_mov_b32_e32 v19, s14
	;; [unrolled: 1-line block ×4, first 2 shown]
	ds_write_b128 v21, v[17:20] offset:1056
	ds_write_b128 v21, v[17:20] offset:1584
	s_waitcnt lgkmcnt(2)
	ds_write_b128 v21, v[10:13] offset:1568
.LBB93_54:
	s_or_b64 exec, exec, s[8:9]
	v_and_b32_e32 v20, 3, v0
	v_lshrrev_b32_e32 v21, 2, v22
	v_lshlrev_b32_e32 v18, 4, v20
	v_mov_b32_e32 v12, 0
	v_mov_b32_e32 v10, 0
	v_cmp_lt_u32_e64 s[8:9], 15, v22
	v_cmp_gt_u32_e64 s[16:17], 16, v22
	v_mov_b32_e32 v13, 0
	v_mov_b32_e32 v11, 0
	v_lshl_or_b32 v17, v21, 9, v18
	s_waitcnt lgkmcnt(0)
	s_barrier
	s_and_saveexec_b64 s[14:15], s[16:17]
	s_cbranch_execz .LBB93_60
; %bb.55:
	v_mul_u32_u24_e32 v19, 0x210, v21
	ds_read_b128 v[10:13], v19
	ds_read_b128 v[23:26], v17 offset:64
	v_cmp_gt_u32_e64 s[12:13], 12, v22
	s_waitcnt lgkmcnt(0)
	v_mul_f64 v[27:28], v[12:13], v[25:26]
	v_mul_f64 v[25:26], v[10:11], v[25:26]
	v_fma_f64 v[10:11], v[10:11], v[23:24], -v[27:28]
	v_fma_f64 v[12:13], v[12:13], v[23:24], v[25:26]
	v_add_f64 v[10:11], v[10:11], 0
	v_add_f64 v[12:13], v[12:13], 0
	s_and_saveexec_b64 s[18:19], s[12:13]
	s_cbranch_execnz .LBB93_517
; %bb.56:
	s_or_b64 exec, exec, s[18:19]
	v_cmp_gt_u32_e64 s[12:13], 8, v22
	s_and_saveexec_b64 s[18:19], s[12:13]
	s_cbranch_execnz .LBB93_518
.LBB93_57:
	s_or_b64 exec, exec, s[18:19]
	v_cmp_gt_u32_e64 s[12:13], 4, v22
	s_and_saveexec_b64 s[18:19], s[12:13]
	s_cbranch_execz .LBB93_59
.LBB93_58:
	v_mov_b32_e32 v23, 0
	v_lshlrev_b32_e32 v19, 4, v0
	ds_read_b128 v[23:26], v23 offset:48
	ds_read_b128 v[27:30], v19 offset:1600
	s_waitcnt lgkmcnt(0)
	v_mul_f64 v[31:32], v[25:26], v[29:30]
	v_mul_f64 v[29:30], v[23:24], v[29:30]
	v_fma_f64 v[23:24], v[23:24], v[27:28], -v[31:32]
	v_fma_f64 v[25:26], v[25:26], v[27:28], v[29:30]
	v_add_f64 v[10:11], v[10:11], v[23:24]
	v_add_f64 v[12:13], v[12:13], v[25:26]
.LBB93_59:
	s_or_b64 exec, exec, s[18:19]
	v_xor_b32_e32 v11, 0x80000000, v11
	v_xor_b32_e32 v13, 0x80000000, v13
.LBB93_60:
	s_or_b64 exec, exec, s[14:15]
	v_mov_b32_e32 v19, 0x4000
	v_cmp_eq_u32_e64 s[12:13], 0, v20
	s_xor_b64 s[14:15], s[8:9], -1
	v_lshl_add_u32 v19, v21, 4, v19
	s_and_b64 s[46:47], s[12:13], s[14:15]
	s_and_saveexec_b64 s[8:9], s[46:47]
; %bb.61:
	ds_write_b128 v19, v[10:13]
; %bb.62:
	s_or_b64 exec, exec, s[8:9]
	v_cmp_ne_u32_e64 s[8:9], 0, v20
	s_and_b64 s[48:49], s[8:9], s[14:15]
	s_waitcnt lgkmcnt(0)
	s_barrier
	s_and_saveexec_b64 s[8:9], s[48:49]
	s_cbranch_execz .LBB93_64
; %bb.63:
	ds_read_b128 v[23:26], v19
	ds_read_b128 v[27:30], v18 offset:2112
	s_waitcnt lgkmcnt(0)
	v_mul_f64 v[31:32], v[25:26], v[29:30]
	v_mul_f64 v[29:30], v[23:24], v[29:30]
	v_fma_f64 v[23:24], v[23:24], v[27:28], -v[31:32]
	v_fma_f64 v[25:26], v[25:26], v[27:28], v[29:30]
	v_add_f64 v[10:11], v[10:11], v[23:24]
	v_add_f64 v[12:13], v[12:13], v[25:26]
.LBB93_64:
	s_or_b64 exec, exec, s[8:9]
	v_cmp_eq_u32_e64 s[8:9], 1, v20
	s_and_b64 s[50:51], s[8:9], s[14:15]
	s_barrier
	s_and_saveexec_b64 s[8:9], s[50:51]
; %bb.65:
	ds_write_b128 v19, v[10:13]
; %bb.66:
	s_or_b64 exec, exec, s[8:9]
	v_cmp_lt_u32_e64 s[8:9], 1, v20
	s_and_b64 s[52:53], s[8:9], s[14:15]
	s_waitcnt lgkmcnt(0)
	s_barrier
	s_and_saveexec_b64 s[8:9], s[52:53]
	s_cbranch_execz .LBB93_68
; %bb.67:
	ds_read_b128 v[23:26], v19
	ds_read_b128 v[27:30], v18 offset:2624
	s_waitcnt lgkmcnt(0)
	v_mul_f64 v[31:32], v[25:26], v[29:30]
	v_mul_f64 v[29:30], v[23:24], v[29:30]
	v_fma_f64 v[23:24], v[23:24], v[27:28], -v[31:32]
	v_fma_f64 v[25:26], v[25:26], v[27:28], v[29:30]
	v_add_f64 v[10:11], v[10:11], v[23:24]
	v_add_f64 v[12:13], v[12:13], v[25:26]
.LBB93_68:
	s_or_b64 exec, exec, s[8:9]
	v_cmp_eq_u32_e64 s[8:9], 2, v20
	s_and_b64 s[54:55], s[8:9], s[14:15]
	s_barrier
	s_and_saveexec_b64 s[8:9], s[54:55]
; %bb.69:
	ds_write_b128 v19, v[10:13]
; %bb.70:
	s_or_b64 exec, exec, s[8:9]
	v_cmp_eq_u32_e64 s[8:9], 3, v20
	s_and_b64 s[44:45], s[8:9], s[14:15]
	s_waitcnt lgkmcnt(0)
	s_barrier
	s_and_saveexec_b64 s[8:9], s[44:45]
	s_cbranch_execz .LBB93_72
; %bb.71:
	v_mov_b32_e32 v27, 0
	ds_read_b128 v[23:26], v19
	ds_read_b128 v[27:30], v27 offset:3184
	s_waitcnt lgkmcnt(0)
	v_mul_f64 v[31:32], v[25:26], v[29:30]
	v_mul_f64 v[29:30], v[23:24], v[29:30]
	v_fma_f64 v[23:24], v[23:24], v[27:28], -v[31:32]
	v_fma_f64 v[25:26], v[25:26], v[27:28], v[29:30]
	v_add_f64 v[10:11], v[10:11], v[23:24]
	v_add_f64 v[12:13], v[12:13], v[25:26]
.LBB93_72:
	s_or_b64 exec, exec, s[8:9]
	s_barrier
	s_and_saveexec_b64 s[8:9], s[44:45]
; %bb.73:
	ds_write_b128 v19, v[10:13]
; %bb.74:
	s_or_b64 exec, exec, s[8:9]
	s_waitcnt lgkmcnt(0)
	s_barrier
	s_barrier
	s_and_saveexec_b64 s[8:9], s[16:17]
; %bb.75:
	v_xor_b32_e32 v13, 0x80000000, v13
	v_xor_b32_e32 v11, 0x80000000, v11
	ds_write_b128 v17, v[10:13] offset:64
; %bb.76:
	s_or_b64 exec, exec, s[8:9]
	v_cmp_gt_u32_e64 s[8:9], 4, v0
	s_and_b64 s[56:57], s[10:11], s[8:9]
	s_waitcnt lgkmcnt(0)
	s_barrier
	s_barrier
	s_and_saveexec_b64 s[8:9], s[56:57]
	s_cbranch_execz .LBB93_78
; %bb.77:
	v_lshlrev_b32_e32 v23, 4, v0
	s_movk_i32 s12, 0x1f0
	v_mad_u32_u24 v24, v0, s12, v23
	ds_read_b128 v[10:13], v24 offset:64
	s_waitcnt lgkmcnt(0)
	ds_write_b128 v23, v[10:13] offset:2048
	ds_read_b128 v[10:13], v24 offset:80
	s_waitcnt lgkmcnt(0)
	ds_write_b128 v23, v[10:13] offset:2560
	;; [unrolled: 3-line block ×4, first 2 shown]
.LBB93_78:
	s_or_b64 exec, exec, s[8:9]
	s_waitcnt lgkmcnt(0)
	s_barrier
	s_and_saveexec_b64 s[8:9], vcc
	s_cbranch_execz .LBB93_80
; %bb.79:
	s_mov_b32 s12, 0
	v_mov_b32_e32 v27, 0
	ds_read_b128 v[10:13], v27 offset:2128
	s_mov_b32 s15, s12
	s_mov_b32 s13, 0x3ff00000
	;; [unrolled: 1-line block ×3, first 2 shown]
	v_mov_b32_e32 v26, s15
	v_mov_b32_e32 v25, s14
	;; [unrolled: 1-line block ×4, first 2 shown]
	ds_write_b128 v27, v[23:26] offset:2112
	ds_write_b128 v27, v[23:26] offset:2640
	s_waitcnt lgkmcnt(2)
	ds_write_b128 v27, v[10:13] offset:2624
.LBB93_80:
	s_or_b64 exec, exec, s[8:9]
	v_mov_b32_e32 v12, 0
	v_mov_b32_e32 v10, 0
	;; [unrolled: 1-line block ×4, first 2 shown]
	s_waitcnt lgkmcnt(0)
	s_barrier
	s_and_saveexec_b64 s[12:13], s[2:3]
	s_cbranch_execz .LBB93_84
; %bb.81:
	v_mul_u32_u24_e32 v10, 0x210, v16
	ds_read_b128 v[10:13], v10 offset:2112
	ds_read_b128 v[23:26], v14 offset:2144
	v_cmp_gt_u32_e64 s[8:9], 2, v22
	s_waitcnt lgkmcnt(0)
	v_mul_f64 v[27:28], v[12:13], v[25:26]
	v_mul_f64 v[25:26], v[10:11], v[25:26]
	v_fma_f64 v[10:11], v[10:11], v[23:24], -v[27:28]
	v_fma_f64 v[12:13], v[12:13], v[23:24], v[25:26]
	v_add_f64 v[10:11], v[10:11], 0
	v_add_f64 v[12:13], v[12:13], 0
	s_and_saveexec_b64 s[14:15], s[8:9]
	s_cbranch_execz .LBB93_83
; %bb.82:
	v_lshlrev_b32_e32 v27, 4, v0
	v_mov_b32_e32 v23, 0
	ds_read_b128 v[23:26], v23 offset:2128
	ds_read_b128 v[27:30], v27 offset:2656
	s_waitcnt lgkmcnt(0)
	v_mul_f64 v[31:32], v[25:26], v[29:30]
	v_mul_f64 v[29:30], v[23:24], v[29:30]
	v_fma_f64 v[23:24], v[23:24], v[27:28], -v[31:32]
	v_fma_f64 v[25:26], v[25:26], v[27:28], v[29:30]
	v_add_f64 v[10:11], v[10:11], v[23:24]
	v_add_f64 v[12:13], v[12:13], v[25:26]
.LBB93_83:
	s_or_b64 exec, exec, s[14:15]
	v_xor_b32_e32 v11, 0x80000000, v11
	v_xor_b32_e32 v13, 0x80000000, v13
.LBB93_84:
	s_or_b64 exec, exec, s[12:13]
	s_and_saveexec_b64 s[8:9], s[40:41]
; %bb.85:
	ds_write_b128 v15, v[10:13]
; %bb.86:
	s_or_b64 exec, exec, s[8:9]
	s_waitcnt lgkmcnt(0)
	s_barrier
	s_and_saveexec_b64 s[8:9], s[38:39]
	s_cbranch_execz .LBB93_88
; %bb.87:
	v_mov_b32_e32 v27, 0
	ds_read_b128 v[23:26], v15
	ds_read_b128 v[27:30], v27 offset:3184
	s_waitcnt lgkmcnt(0)
	v_mul_f64 v[31:32], v[25:26], v[29:30]
	v_mul_f64 v[29:30], v[23:24], v[29:30]
	v_fma_f64 v[23:24], v[23:24], v[27:28], -v[31:32]
	v_fma_f64 v[25:26], v[25:26], v[27:28], v[29:30]
	v_add_f64 v[10:11], v[10:11], v[23:24]
	v_add_f64 v[12:13], v[12:13], v[25:26]
.LBB93_88:
	s_or_b64 exec, exec, s[8:9]
	s_barrier
	s_and_saveexec_b64 s[8:9], s[38:39]
; %bb.89:
	ds_write_b128 v15, v[10:13]
; %bb.90:
	s_or_b64 exec, exec, s[8:9]
	s_waitcnt lgkmcnt(0)
	s_barrier
	s_barrier
	s_and_saveexec_b64 s[8:9], s[2:3]
; %bb.91:
	v_xor_b32_e32 v11, 0x80000000, v11
	v_xor_b32_e32 v13, 0x80000000, v13
	ds_write_b128 v14, v[10:13] offset:2144
; %bb.92:
	s_or_b64 exec, exec, s[8:9]
	s_waitcnt lgkmcnt(0)
	s_barrier
	s_barrier
	s_and_saveexec_b64 s[8:9], s[42:43]
	s_cbranch_execz .LBB93_94
; %bb.93:
	v_lshlrev_b32_e32 v23, 9, v0
	ds_read_b128 v[10:13], v23 offset:2144
	s_movk_i32 s12, 0xfe10
	v_mad_i32_i24 v24, v0, s12, v23
	s_waitcnt lgkmcnt(0)
	ds_write_b128 v24, v[10:13] offset:3136
	ds_read_b128 v[10:13], v23 offset:2160
	s_waitcnt lgkmcnt(0)
	ds_write_b128 v24, v[10:13] offset:3648
.LBB93_94:
	s_or_b64 exec, exec, s[8:9]
	s_waitcnt lgkmcnt(0)
	s_barrier
	s_and_saveexec_b64 s[8:9], vcc
	s_cbranch_execz .LBB93_96
; %bb.95:
	s_mov_b32 s12, 0
	v_mov_b32_e32 v27, 0
	ds_read_b128 v[10:13], v27 offset:3184
	s_mov_b32 s15, s12
	s_mov_b32 s13, 0x3ff00000
	;; [unrolled: 1-line block ×3, first 2 shown]
	v_mov_b32_e32 v26, s15
	v_mov_b32_e32 v25, s14
	;; [unrolled: 1-line block ×4, first 2 shown]
	ds_write_b128 v27, v[23:26] offset:3168
	ds_write_b128 v27, v[23:26] offset:3696
	s_waitcnt lgkmcnt(2)
	ds_write_b128 v27, v[10:13] offset:3680
.LBB93_96:
	s_or_b64 exec, exec, s[8:9]
	v_and_b32_e32 v26, 7, v0
	v_lshrrev_b32_e32 v27, 3, v22
	v_lshlrev_b32_e32 v24, 4, v26
	v_mov_b32_e32 v12, 0
	v_mov_b32_e32 v10, 0
	v_cmp_lt_u32_e64 s[12:13], 63, v22
	v_cmp_gt_u32_e64 s[8:9], 64, v22
	v_mov_b32_e32 v13, 0
	v_mov_b32_e32 v11, 0
	v_lshl_or_b32 v23, v27, 9, v24
	s_waitcnt lgkmcnt(0)
	s_barrier
	s_and_saveexec_b64 s[18:19], s[8:9]
	s_cbranch_execz .LBB93_106
; %bb.97:
	v_mul_u32_u24_e32 v25, 0x210, v27
	ds_read_b128 v[10:13], v25
	ds_read_b128 v[28:31], v23 offset:128
	v_cmp_gt_u32_e64 s[14:15], 56, v22
	s_waitcnt lgkmcnt(0)
	v_mul_f64 v[32:33], v[12:13], v[30:31]
	v_mul_f64 v[30:31], v[10:11], v[30:31]
	v_fma_f64 v[10:11], v[10:11], v[28:29], -v[32:33]
	v_fma_f64 v[12:13], v[12:13], v[28:29], v[30:31]
	v_add_f64 v[10:11], v[10:11], 0
	v_add_f64 v[12:13], v[12:13], 0
	s_and_saveexec_b64 s[58:59], s[14:15]
	s_cbranch_execnz .LBB93_519
; %bb.98:
	s_or_b64 exec, exec, s[58:59]
	v_cmp_gt_u32_e64 s[14:15], 48, v22
	s_and_saveexec_b64 s[58:59], s[14:15]
	s_cbranch_execnz .LBB93_520
.LBB93_99:
	s_or_b64 exec, exec, s[58:59]
	v_cmp_gt_u32_e64 s[14:15], 40, v22
	s_and_saveexec_b64 s[58:59], s[14:15]
	s_cbranch_execnz .LBB93_521
.LBB93_100:
	s_or_b64 exec, exec, s[58:59]
	v_cmp_gt_u32_e64 s[14:15], 32, v22
	s_and_saveexec_b64 s[58:59], s[14:15]
	s_cbranch_execnz .LBB93_522
.LBB93_101:
	s_or_b64 exec, exec, s[58:59]
	v_cmp_gt_u32_e64 s[14:15], 24, v22
	s_and_saveexec_b64 s[58:59], s[14:15]
	s_cbranch_execnz .LBB93_523
.LBB93_102:
	s_or_b64 exec, exec, s[58:59]
	v_cmp_gt_u32_e64 s[14:15], 16, v22
	s_and_saveexec_b64 s[58:59], s[14:15]
	s_cbranch_execnz .LBB93_524
.LBB93_103:
	s_or_b64 exec, exec, s[58:59]
	v_cmp_gt_u32_e64 s[14:15], 8, v22
	s_and_saveexec_b64 s[58:59], s[14:15]
	s_cbranch_execz .LBB93_105
.LBB93_104:
	v_mov_b32_e32 v28, 0
	v_lshlrev_b32_e32 v25, 4, v0
	ds_read_b128 v[28:31], v28 offset:112
	ds_read_b128 v[32:35], v25 offset:3712
	s_waitcnt lgkmcnt(0)
	v_mul_f64 v[36:37], v[30:31], v[34:35]
	v_mul_f64 v[34:35], v[28:29], v[34:35]
	v_fma_f64 v[28:29], v[28:29], v[32:33], -v[36:37]
	v_fma_f64 v[30:31], v[30:31], v[32:33], v[34:35]
	v_add_f64 v[10:11], v[10:11], v[28:29]
	v_add_f64 v[12:13], v[12:13], v[30:31]
.LBB93_105:
	s_or_b64 exec, exec, s[58:59]
	v_xor_b32_e32 v11, 0x80000000, v11
	v_xor_b32_e32 v13, 0x80000000, v13
.LBB93_106:
	s_or_b64 exec, exec, s[18:19]
	v_mov_b32_e32 v25, 0x4000
	v_cmp_eq_u32_e64 s[14:15], 0, v26
	s_xor_b64 s[18:19], s[12:13], -1
	v_lshl_add_u32 v25, v27, 4, v25
	s_and_b64 s[60:61], s[14:15], s[18:19]
	s_and_saveexec_b64 s[12:13], s[60:61]
; %bb.107:
	ds_write_b128 v25, v[10:13]
; %bb.108:
	s_or_b64 exec, exec, s[12:13]
	v_cmp_ne_u32_e64 s[12:13], 0, v26
	s_and_b64 s[62:63], s[12:13], s[18:19]
	s_waitcnt lgkmcnt(0)
	s_barrier
	s_and_saveexec_b64 s[12:13], s[62:63]
	s_cbranch_execz .LBB93_110
; %bb.109:
	ds_read_b128 v[28:31], v25
	ds_read_b128 v[32:35], v24 offset:4224
	s_waitcnt lgkmcnt(0)
	v_mul_f64 v[36:37], v[30:31], v[34:35]
	v_mul_f64 v[34:35], v[28:29], v[34:35]
	v_fma_f64 v[28:29], v[28:29], v[32:33], -v[36:37]
	v_fma_f64 v[30:31], v[30:31], v[32:33], v[34:35]
	v_add_f64 v[10:11], v[10:11], v[28:29]
	v_add_f64 v[12:13], v[12:13], v[30:31]
.LBB93_110:
	s_or_b64 exec, exec, s[12:13]
	v_cmp_eq_u32_e64 s[12:13], 1, v26
	s_and_b64 s[64:65], s[12:13], s[18:19]
	s_barrier
	s_and_saveexec_b64 s[12:13], s[64:65]
; %bb.111:
	ds_write_b128 v25, v[10:13]
; %bb.112:
	s_or_b64 exec, exec, s[12:13]
	v_cmp_lt_u32_e64 s[12:13], 1, v26
	s_and_b64 s[66:67], s[12:13], s[18:19]
	s_waitcnt lgkmcnt(0)
	s_barrier
	s_and_saveexec_b64 s[12:13], s[66:67]
	s_cbranch_execz .LBB93_114
; %bb.113:
	ds_read_b128 v[28:31], v25
	ds_read_b128 v[32:35], v24 offset:4736
	s_waitcnt lgkmcnt(0)
	v_mul_f64 v[36:37], v[30:31], v[34:35]
	v_mul_f64 v[34:35], v[28:29], v[34:35]
	v_fma_f64 v[28:29], v[28:29], v[32:33], -v[36:37]
	v_fma_f64 v[30:31], v[30:31], v[32:33], v[34:35]
	v_add_f64 v[10:11], v[10:11], v[28:29]
	v_add_f64 v[12:13], v[12:13], v[30:31]
.LBB93_114:
	s_or_b64 exec, exec, s[12:13]
	v_cmp_eq_u32_e64 s[12:13], 2, v26
	s_and_b64 s[68:69], s[12:13], s[18:19]
	s_barrier
	s_and_saveexec_b64 s[12:13], s[68:69]
; %bb.115:
	ds_write_b128 v25, v[10:13]
; %bb.116:
	s_or_b64 exec, exec, s[12:13]
	v_cmp_lt_u32_e64 s[12:13], 2, v26
	;; [unrolled: 26-line block ×5, first 2 shown]
	s_and_b64 s[82:83], s[12:13], s[18:19]
	s_waitcnt lgkmcnt(0)
	s_barrier
	s_and_saveexec_b64 s[12:13], s[82:83]
	s_cbranch_execz .LBB93_130
; %bb.129:
	ds_read_b128 v[28:31], v25
	ds_read_b128 v[32:35], v24 offset:6784
	s_waitcnt lgkmcnt(0)
	v_mul_f64 v[36:37], v[30:31], v[34:35]
	v_mul_f64 v[34:35], v[28:29], v[34:35]
	v_fma_f64 v[28:29], v[28:29], v[32:33], -v[36:37]
	v_fma_f64 v[30:31], v[30:31], v[32:33], v[34:35]
	v_add_f64 v[10:11], v[10:11], v[28:29]
	v_add_f64 v[12:13], v[12:13], v[30:31]
.LBB93_130:
	s_or_b64 exec, exec, s[12:13]
	v_cmp_eq_u32_e64 s[12:13], 6, v26
	s_and_b64 s[84:85], s[12:13], s[18:19]
	s_barrier
	s_and_saveexec_b64 s[12:13], s[84:85]
; %bb.131:
	ds_write_b128 v25, v[10:13]
; %bb.132:
	s_or_b64 exec, exec, s[12:13]
	v_cmp_eq_u32_e64 s[12:13], 7, v26
	s_and_b64 s[58:59], s[12:13], s[18:19]
	s_waitcnt lgkmcnt(0)
	s_barrier
	s_and_saveexec_b64 s[12:13], s[58:59]
	s_cbranch_execz .LBB93_134
; %bb.133:
	v_mov_b32_e32 v32, 0
	ds_read_b128 v[28:31], v25
	ds_read_b128 v[32:35], v32 offset:7408
	s_waitcnt lgkmcnt(0)
	v_mul_f64 v[36:37], v[30:31], v[34:35]
	v_mul_f64 v[34:35], v[28:29], v[34:35]
	v_fma_f64 v[28:29], v[28:29], v[32:33], -v[36:37]
	v_fma_f64 v[30:31], v[30:31], v[32:33], v[34:35]
	v_add_f64 v[10:11], v[10:11], v[28:29]
	v_add_f64 v[12:13], v[12:13], v[30:31]
.LBB93_134:
	s_or_b64 exec, exec, s[12:13]
	s_barrier
	s_and_saveexec_b64 s[12:13], s[58:59]
; %bb.135:
	ds_write_b128 v25, v[10:13]
; %bb.136:
	s_or_b64 exec, exec, s[12:13]
	s_waitcnt lgkmcnt(0)
	s_barrier
	s_barrier
	s_and_saveexec_b64 s[12:13], s[8:9]
; %bb.137:
	v_xor_b32_e32 v11, 0x80000000, v11
	v_xor_b32_e32 v13, 0x80000000, v13
	ds_write_b128 v23, v[10:13] offset:128
; %bb.138:
	s_or_b64 exec, exec, s[12:13]
	v_cmp_gt_u32_e64 s[12:13], 8, v0
	s_and_b64 s[86:87], s[10:11], s[12:13]
	s_waitcnt lgkmcnt(0)
	s_barrier
	s_barrier
	s_and_saveexec_b64 s[12:13], s[86:87]
	s_cbranch_execz .LBB93_140
; %bb.139:
	v_lshlrev_b32_e32 v28, 9, v0
	ds_read_b128 v[10:13], v28 offset:128
	s_movk_i32 s14, 0xfe10
	v_mad_i32_i24 v29, v0, s14, v28
	s_waitcnt lgkmcnt(0)
	ds_write_b128 v29, v[10:13] offset:4096
	ds_read_b128 v[10:13], v28 offset:144
	s_waitcnt lgkmcnt(0)
	ds_write_b128 v29, v[10:13] offset:4608
	ds_read_b128 v[10:13], v28 offset:160
	s_waitcnt lgkmcnt(0)
	ds_write_b128 v29, v[10:13] offset:5120
	ds_read_b128 v[10:13], v28 offset:176
	s_waitcnt lgkmcnt(0)
	ds_write_b128 v29, v[10:13] offset:5632
	ds_read_b128 v[10:13], v28 offset:192
	s_waitcnt lgkmcnt(0)
	ds_write_b128 v29, v[10:13] offset:6144
	ds_read_b128 v[10:13], v28 offset:208
	s_waitcnt lgkmcnt(0)
	ds_write_b128 v29, v[10:13] offset:6656
	ds_read_b128 v[10:13], v28 offset:224
	s_waitcnt lgkmcnt(0)
	ds_write_b128 v29, v[10:13] offset:7168
	ds_read_b128 v[10:13], v28 offset:240
	s_waitcnt lgkmcnt(0)
	ds_write_b128 v29, v[10:13] offset:7680
.LBB93_140:
	s_or_b64 exec, exec, s[12:13]
	s_waitcnt lgkmcnt(0)
	s_barrier
	s_and_saveexec_b64 s[12:13], vcc
	s_cbranch_execz .LBB93_142
; %bb.141:
	v_mov_b32_e32 v32, 0
	s_mov_b32 s88, 0
	ds_read_b128 v[10:13], v32 offset:4240
	s_mov_b32 s89, 0x3ff00000
	s_mov_b32 s90, s88
	s_mov_b32 s91, s88
	v_mov_b32_e32 v28, s88
	v_mov_b32_e32 v29, s89
	;; [unrolled: 1-line block ×4, first 2 shown]
	ds_write_b128 v32, v[28:31] offset:4224
	ds_write_b128 v32, v[28:31] offset:4752
	s_waitcnt lgkmcnt(2)
	ds_write_b128 v32, v[10:13] offset:4736
.LBB93_142:
	s_or_b64 exec, exec, s[12:13]
	v_mov_b32_e32 v12, 0
	v_mov_b32_e32 v10, 0
	;; [unrolled: 1-line block ×4, first 2 shown]
	s_waitcnt lgkmcnt(0)
	s_barrier
	s_and_saveexec_b64 s[14:15], s[2:3]
	s_cbranch_execz .LBB93_146
; %bb.143:
	v_mul_u32_u24_e32 v10, 0x210, v16
	ds_read_b128 v[10:13], v10 offset:4224
	ds_read_b128 v[28:31], v14 offset:4256
	v_cmp_gt_u32_e64 s[12:13], 2, v22
	s_waitcnt lgkmcnt(0)
	v_mul_f64 v[32:33], v[12:13], v[30:31]
	v_mul_f64 v[30:31], v[10:11], v[30:31]
	v_fma_f64 v[10:11], v[10:11], v[28:29], -v[32:33]
	v_fma_f64 v[12:13], v[12:13], v[28:29], v[30:31]
	v_add_f64 v[10:11], v[10:11], 0
	v_add_f64 v[12:13], v[12:13], 0
	s_and_saveexec_b64 s[18:19], s[12:13]
	s_cbranch_execz .LBB93_145
; %bb.144:
	v_lshlrev_b32_e32 v32, 4, v0
	v_mov_b32_e32 v28, 0
	ds_read_b128 v[28:31], v28 offset:4240
	ds_read_b128 v[32:35], v32 offset:4768
	s_waitcnt lgkmcnt(0)
	v_mul_f64 v[36:37], v[30:31], v[34:35]
	v_mul_f64 v[34:35], v[28:29], v[34:35]
	v_fma_f64 v[28:29], v[28:29], v[32:33], -v[36:37]
	v_fma_f64 v[30:31], v[30:31], v[32:33], v[34:35]
	v_add_f64 v[10:11], v[10:11], v[28:29]
	v_add_f64 v[12:13], v[12:13], v[30:31]
.LBB93_145:
	s_or_b64 exec, exec, s[18:19]
	v_xor_b32_e32 v11, 0x80000000, v11
	v_xor_b32_e32 v13, 0x80000000, v13
.LBB93_146:
	s_or_b64 exec, exec, s[14:15]
	s_and_saveexec_b64 s[12:13], s[40:41]
; %bb.147:
	ds_write_b128 v15, v[10:13]
; %bb.148:
	s_or_b64 exec, exec, s[12:13]
	s_waitcnt lgkmcnt(0)
	s_barrier
	s_and_saveexec_b64 s[12:13], s[38:39]
	s_cbranch_execz .LBB93_150
; %bb.149:
	v_mov_b32_e32 v32, 0
	ds_read_b128 v[28:31], v15
	ds_read_b128 v[32:35], v32 offset:5296
	s_waitcnt lgkmcnt(0)
	v_mul_f64 v[36:37], v[30:31], v[34:35]
	v_mul_f64 v[34:35], v[28:29], v[34:35]
	v_fma_f64 v[28:29], v[28:29], v[32:33], -v[36:37]
	v_fma_f64 v[30:31], v[30:31], v[32:33], v[34:35]
	v_add_f64 v[10:11], v[10:11], v[28:29]
	v_add_f64 v[12:13], v[12:13], v[30:31]
.LBB93_150:
	s_or_b64 exec, exec, s[12:13]
	s_barrier
	s_and_saveexec_b64 s[12:13], s[38:39]
; %bb.151:
	ds_write_b128 v15, v[10:13]
; %bb.152:
	s_or_b64 exec, exec, s[12:13]
	s_waitcnt lgkmcnt(0)
	s_barrier
	s_barrier
	s_and_saveexec_b64 s[12:13], s[2:3]
; %bb.153:
	v_xor_b32_e32 v11, 0x80000000, v11
	v_xor_b32_e32 v13, 0x80000000, v13
	ds_write_b128 v14, v[10:13] offset:4256
; %bb.154:
	s_or_b64 exec, exec, s[12:13]
	s_waitcnt lgkmcnt(0)
	s_barrier
	s_barrier
	s_and_saveexec_b64 s[12:13], s[42:43]
	s_cbranch_execz .LBB93_156
; %bb.155:
	v_lshlrev_b32_e32 v28, 9, v0
	ds_read_b128 v[10:13], v28 offset:4256
	s_movk_i32 s14, 0xfe10
	v_mad_i32_i24 v29, v0, s14, v28
	s_waitcnt lgkmcnt(0)
	ds_write_b128 v29, v[10:13] offset:5248
	ds_read_b128 v[10:13], v28 offset:4272
	s_waitcnt lgkmcnt(0)
	ds_write_b128 v29, v[10:13] offset:5760
.LBB93_156:
	s_or_b64 exec, exec, s[12:13]
	s_waitcnt lgkmcnt(0)
	s_barrier
	s_and_saveexec_b64 s[12:13], vcc
	s_cbranch_execz .LBB93_158
; %bb.157:
	v_mov_b32_e32 v32, 0
	s_mov_b32 s88, 0
	ds_read_b128 v[10:13], v32 offset:5296
	s_mov_b32 s89, 0x3ff00000
	s_mov_b32 s90, s88
	;; [unrolled: 1-line block ×3, first 2 shown]
	v_mov_b32_e32 v28, s88
	v_mov_b32_e32 v29, s89
	;; [unrolled: 1-line block ×4, first 2 shown]
	ds_write_b128 v32, v[28:31] offset:5280
	ds_write_b128 v32, v[28:31] offset:5808
	s_waitcnt lgkmcnt(2)
	ds_write_b128 v32, v[10:13] offset:5792
.LBB93_158:
	s_or_b64 exec, exec, s[12:13]
	v_mov_b32_e32 v12, 0
	v_mov_b32_e32 v10, 0
	v_mov_b32_e32 v13, 0
	v_mov_b32_e32 v11, 0
	s_waitcnt lgkmcnt(0)
	s_barrier
	s_and_saveexec_b64 s[14:15], s[16:17]
	s_cbranch_execz .LBB93_164
; %bb.159:
	v_mul_u32_u24_e32 v28, 0x210, v21
	ds_read_b128 v[10:13], v28 offset:4224
	ds_read_b128 v[29:32], v17 offset:4288
	v_cmp_gt_u32_e64 s[12:13], 12, v22
	s_waitcnt lgkmcnt(0)
	v_mul_f64 v[33:34], v[12:13], v[31:32]
	v_mul_f64 v[31:32], v[10:11], v[31:32]
	v_fma_f64 v[10:11], v[10:11], v[29:30], -v[33:34]
	v_fma_f64 v[12:13], v[12:13], v[29:30], v[31:32]
	v_add_f64 v[10:11], v[10:11], 0
	v_add_f64 v[12:13], v[12:13], 0
	s_and_saveexec_b64 s[18:19], s[12:13]
	s_cbranch_execnz .LBB93_525
; %bb.160:
	s_or_b64 exec, exec, s[18:19]
	v_cmp_gt_u32_e64 s[12:13], 8, v22
	s_and_saveexec_b64 s[18:19], s[12:13]
	s_cbranch_execnz .LBB93_526
.LBB93_161:
	s_or_b64 exec, exec, s[18:19]
	v_cmp_gt_u32_e64 s[12:13], 4, v22
	s_and_saveexec_b64 s[18:19], s[12:13]
	s_cbranch_execz .LBB93_163
.LBB93_162:
	v_lshlrev_b32_e32 v32, 4, v0
	v_mov_b32_e32 v28, 0
	ds_read_b128 v[28:31], v28 offset:4272
	ds_read_b128 v[32:35], v32 offset:5824
	s_waitcnt lgkmcnt(0)
	v_mul_f64 v[36:37], v[30:31], v[34:35]
	v_mul_f64 v[34:35], v[28:29], v[34:35]
	v_fma_f64 v[28:29], v[28:29], v[32:33], -v[36:37]
	v_fma_f64 v[30:31], v[30:31], v[32:33], v[34:35]
	v_add_f64 v[10:11], v[10:11], v[28:29]
	v_add_f64 v[12:13], v[12:13], v[30:31]
.LBB93_163:
	s_or_b64 exec, exec, s[18:19]
	v_xor_b32_e32 v11, 0x80000000, v11
	v_xor_b32_e32 v13, 0x80000000, v13
.LBB93_164:
	s_or_b64 exec, exec, s[14:15]
	s_and_saveexec_b64 s[12:13], s[46:47]
; %bb.165:
	ds_write_b128 v19, v[10:13]
; %bb.166:
	s_or_b64 exec, exec, s[12:13]
	s_waitcnt lgkmcnt(0)
	s_barrier
	s_and_saveexec_b64 s[12:13], s[48:49]
	s_cbranch_execz .LBB93_168
; %bb.167:
	ds_read_b128 v[28:31], v19
	ds_read_b128 v[32:35], v18 offset:6336
	s_waitcnt lgkmcnt(0)
	v_mul_f64 v[36:37], v[30:31], v[34:35]
	v_mul_f64 v[34:35], v[28:29], v[34:35]
	v_fma_f64 v[28:29], v[28:29], v[32:33], -v[36:37]
	v_fma_f64 v[30:31], v[30:31], v[32:33], v[34:35]
	v_add_f64 v[10:11], v[10:11], v[28:29]
	v_add_f64 v[12:13], v[12:13], v[30:31]
.LBB93_168:
	s_or_b64 exec, exec, s[12:13]
	s_barrier
	s_and_saveexec_b64 s[12:13], s[50:51]
; %bb.169:
	ds_write_b128 v19, v[10:13]
; %bb.170:
	s_or_b64 exec, exec, s[12:13]
	s_waitcnt lgkmcnt(0)
	s_barrier
	s_and_saveexec_b64 s[12:13], s[52:53]
	s_cbranch_execz .LBB93_172
; %bb.171:
	ds_read_b128 v[28:31], v19
	ds_read_b128 v[32:35], v18 offset:6848
	s_waitcnt lgkmcnt(0)
	v_mul_f64 v[36:37], v[30:31], v[34:35]
	v_mul_f64 v[34:35], v[28:29], v[34:35]
	v_fma_f64 v[28:29], v[28:29], v[32:33], -v[36:37]
	v_fma_f64 v[30:31], v[30:31], v[32:33], v[34:35]
	v_add_f64 v[10:11], v[10:11], v[28:29]
	v_add_f64 v[12:13], v[12:13], v[30:31]
.LBB93_172:
	s_or_b64 exec, exec, s[12:13]
	s_barrier
	s_and_saveexec_b64 s[12:13], s[54:55]
; %bb.173:
	ds_write_b128 v19, v[10:13]
; %bb.174:
	s_or_b64 exec, exec, s[12:13]
	s_waitcnt lgkmcnt(0)
	s_barrier
	s_and_saveexec_b64 s[12:13], s[44:45]
	s_cbranch_execz .LBB93_176
; %bb.175:
	v_mov_b32_e32 v32, 0
	ds_read_b128 v[28:31], v19
	ds_read_b128 v[32:35], v32 offset:7408
	s_waitcnt lgkmcnt(0)
	v_mul_f64 v[36:37], v[30:31], v[34:35]
	v_mul_f64 v[34:35], v[28:29], v[34:35]
	v_fma_f64 v[28:29], v[28:29], v[32:33], -v[36:37]
	v_fma_f64 v[30:31], v[30:31], v[32:33], v[34:35]
	v_add_f64 v[10:11], v[10:11], v[28:29]
	v_add_f64 v[12:13], v[12:13], v[30:31]
.LBB93_176:
	s_or_b64 exec, exec, s[12:13]
	s_barrier
	s_and_saveexec_b64 s[12:13], s[44:45]
; %bb.177:
	ds_write_b128 v19, v[10:13]
; %bb.178:
	s_or_b64 exec, exec, s[12:13]
	s_waitcnt lgkmcnt(0)
	s_barrier
	s_barrier
	s_and_saveexec_b64 s[12:13], s[16:17]
; %bb.179:
	v_xor_b32_e32 v13, 0x80000000, v13
	v_xor_b32_e32 v11, 0x80000000, v11
	ds_write_b128 v17, v[10:13] offset:4288
; %bb.180:
	s_or_b64 exec, exec, s[12:13]
	s_waitcnt lgkmcnt(0)
	s_barrier
	s_barrier
	s_and_saveexec_b64 s[12:13], s[56:57]
	s_cbranch_execz .LBB93_182
; %bb.181:
	v_lshlrev_b32_e32 v28, 4, v0
	s_movk_i32 s14, 0x1f0
	v_mad_u32_u24 v29, v0, s14, v28
	ds_read_b128 v[10:13], v29 offset:4288
	s_waitcnt lgkmcnt(0)
	ds_write_b128 v28, v[10:13] offset:6272
	ds_read_b128 v[10:13], v29 offset:4304
	s_waitcnt lgkmcnt(0)
	ds_write_b128 v28, v[10:13] offset:6784
	ds_read_b128 v[10:13], v29 offset:4320
	s_waitcnt lgkmcnt(0)
	ds_write_b128 v28, v[10:13] offset:7296
	ds_read_b128 v[10:13], v29 offset:4336
	s_waitcnt lgkmcnt(0)
	ds_write_b128 v28, v[10:13] offset:7808
.LBB93_182:
	s_or_b64 exec, exec, s[12:13]
	s_waitcnt lgkmcnt(0)
	s_barrier
	s_and_saveexec_b64 s[12:13], vcc
	s_cbranch_execz .LBB93_184
; %bb.183:
	v_mov_b32_e32 v32, 0
	s_mov_b32 s88, 0
	ds_read_b128 v[10:13], v32 offset:6352
	s_mov_b32 s89, 0x3ff00000
	s_mov_b32 s90, s88
	;; [unrolled: 1-line block ×3, first 2 shown]
	v_mov_b32_e32 v28, s88
	v_mov_b32_e32 v29, s89
	;; [unrolled: 1-line block ×4, first 2 shown]
	ds_write_b128 v32, v[28:31] offset:6336
	ds_write_b128 v32, v[28:31] offset:6864
	s_waitcnt lgkmcnt(2)
	ds_write_b128 v32, v[10:13] offset:6848
.LBB93_184:
	s_or_b64 exec, exec, s[12:13]
	v_mov_b32_e32 v12, 0
	v_mov_b32_e32 v10, 0
	;; [unrolled: 1-line block ×4, first 2 shown]
	s_waitcnt lgkmcnt(0)
	s_barrier
	s_and_saveexec_b64 s[14:15], s[2:3]
	s_cbranch_execz .LBB93_188
; %bb.185:
	v_mul_u32_u24_e32 v10, 0x210, v16
	ds_read_b128 v[10:13], v10 offset:6336
	ds_read_b128 v[28:31], v14 offset:6368
	v_cmp_gt_u32_e64 s[12:13], 2, v22
	s_waitcnt lgkmcnt(0)
	v_mul_f64 v[32:33], v[12:13], v[30:31]
	v_mul_f64 v[30:31], v[10:11], v[30:31]
	v_fma_f64 v[10:11], v[10:11], v[28:29], -v[32:33]
	v_fma_f64 v[12:13], v[12:13], v[28:29], v[30:31]
	v_add_f64 v[10:11], v[10:11], 0
	v_add_f64 v[12:13], v[12:13], 0
	s_and_saveexec_b64 s[18:19], s[12:13]
	s_cbranch_execz .LBB93_187
; %bb.186:
	v_lshlrev_b32_e32 v32, 4, v0
	v_mov_b32_e32 v28, 0
	ds_read_b128 v[28:31], v28 offset:6352
	ds_read_b128 v[32:35], v32 offset:6880
	s_waitcnt lgkmcnt(0)
	v_mul_f64 v[36:37], v[30:31], v[34:35]
	v_mul_f64 v[34:35], v[28:29], v[34:35]
	v_fma_f64 v[28:29], v[28:29], v[32:33], -v[36:37]
	v_fma_f64 v[30:31], v[30:31], v[32:33], v[34:35]
	v_add_f64 v[10:11], v[10:11], v[28:29]
	v_add_f64 v[12:13], v[12:13], v[30:31]
.LBB93_187:
	s_or_b64 exec, exec, s[18:19]
	v_xor_b32_e32 v11, 0x80000000, v11
	v_xor_b32_e32 v13, 0x80000000, v13
.LBB93_188:
	s_or_b64 exec, exec, s[14:15]
	s_and_saveexec_b64 s[12:13], s[40:41]
; %bb.189:
	ds_write_b128 v15, v[10:13]
; %bb.190:
	s_or_b64 exec, exec, s[12:13]
	s_waitcnt lgkmcnt(0)
	s_barrier
	s_and_saveexec_b64 s[12:13], s[38:39]
	s_cbranch_execz .LBB93_192
; %bb.191:
	v_mov_b32_e32 v32, 0
	ds_read_b128 v[28:31], v15
	ds_read_b128 v[32:35], v32 offset:7408
	s_waitcnt lgkmcnt(0)
	v_mul_f64 v[36:37], v[30:31], v[34:35]
	v_mul_f64 v[34:35], v[28:29], v[34:35]
	v_fma_f64 v[28:29], v[28:29], v[32:33], -v[36:37]
	v_fma_f64 v[30:31], v[30:31], v[32:33], v[34:35]
	v_add_f64 v[10:11], v[10:11], v[28:29]
	v_add_f64 v[12:13], v[12:13], v[30:31]
.LBB93_192:
	s_or_b64 exec, exec, s[12:13]
	s_barrier
	s_and_saveexec_b64 s[12:13], s[38:39]
; %bb.193:
	ds_write_b128 v15, v[10:13]
; %bb.194:
	s_or_b64 exec, exec, s[12:13]
	s_waitcnt lgkmcnt(0)
	s_barrier
	s_barrier
	s_and_saveexec_b64 s[12:13], s[2:3]
; %bb.195:
	v_xor_b32_e32 v11, 0x80000000, v11
	v_xor_b32_e32 v13, 0x80000000, v13
	ds_write_b128 v14, v[10:13] offset:6368
; %bb.196:
	s_or_b64 exec, exec, s[12:13]
	s_waitcnt lgkmcnt(0)
	s_barrier
	s_barrier
	s_and_saveexec_b64 s[12:13], s[42:43]
	s_cbranch_execz .LBB93_198
; %bb.197:
	v_lshlrev_b32_e32 v28, 9, v0
	ds_read_b128 v[10:13], v28 offset:6368
	s_movk_i32 s14, 0xfe10
	v_mad_i32_i24 v29, v0, s14, v28
	s_waitcnt lgkmcnt(0)
	ds_write_b128 v29, v[10:13] offset:7360
	ds_read_b128 v[10:13], v28 offset:6384
	s_waitcnt lgkmcnt(0)
	ds_write_b128 v29, v[10:13] offset:7872
.LBB93_198:
	s_or_b64 exec, exec, s[12:13]
	s_waitcnt lgkmcnt(0)
	s_barrier
	s_and_saveexec_b64 s[12:13], vcc
	s_cbranch_execz .LBB93_200
; %bb.199:
	v_mov_b32_e32 v32, 0
	s_mov_b32 s88, 0
	ds_read_b128 v[10:13], v32 offset:7408
	s_mov_b32 s89, 0x3ff00000
	s_mov_b32 s90, s88
	s_mov_b32 s91, s88
	v_mov_b32_e32 v28, s88
	v_mov_b32_e32 v29, s89
	;; [unrolled: 1-line block ×4, first 2 shown]
	ds_write_b128 v32, v[28:31] offset:7392
	ds_write_b128 v32, v[28:31] offset:7920
	s_waitcnt lgkmcnt(2)
	ds_write_b128 v32, v[10:13] offset:7904
.LBB93_200:
	s_or_b64 exec, exec, s[12:13]
	v_and_b32_e32 v29, 15, v0
	s_movk_i32 s12, 0xff
	v_lshrrev_b32_e32 v31, 4, v22
	v_cmp_lt_u32_e64 s[14:15], s12, v22
	s_movk_i32 s12, 0x100
	v_lshlrev_b32_e32 v30, 4, v29
	v_mov_b32_e32 v12, 0
	v_mov_b32_e32 v10, 0
	v_cmp_gt_u32_e64 s[12:13], s12, v22
	v_mov_b32_e32 v13, 0
	v_mov_b32_e32 v11, 0
	v_lshl_or_b32 v28, v31, 9, v30
	s_waitcnt lgkmcnt(0)
	s_barrier
	s_and_saveexec_b64 s[88:89], s[12:13]
	s_cbranch_execz .LBB93_228
; %bb.201:
	v_mul_u32_u24_e32 v32, 0x210, v31
	ds_read_b128 v[10:13], v32
	ds_read_b128 v[33:36], v28 offset:256
	s_movk_i32 s18, 0xf0
	v_cmp_gt_u32_e64 s[18:19], s18, v22
	s_waitcnt lgkmcnt(0)
	v_mul_f64 v[37:38], v[12:13], v[35:36]
	v_mul_f64 v[35:36], v[10:11], v[35:36]
	v_fma_f64 v[10:11], v[10:11], v[33:34], -v[37:38]
	v_fma_f64 v[12:13], v[12:13], v[33:34], v[35:36]
	v_add_f64 v[10:11], v[10:11], 0
	v_add_f64 v[12:13], v[12:13], 0
	s_and_saveexec_b64 s[90:91], s[18:19]
	s_cbranch_execz .LBB93_203
; %bb.202:
	ds_read_b128 v[33:36], v32 offset:16
	ds_read_b128 v[37:40], v28 offset:768
	s_waitcnt lgkmcnt(0)
	v_mul_f64 v[41:42], v[35:36], v[39:40]
	v_mul_f64 v[39:40], v[33:34], v[39:40]
	v_fma_f64 v[33:34], v[33:34], v[37:38], -v[41:42]
	v_fma_f64 v[35:36], v[35:36], v[37:38], v[39:40]
	v_add_f64 v[10:11], v[10:11], v[33:34]
	v_add_f64 v[12:13], v[12:13], v[35:36]
.LBB93_203:
	s_or_b64 exec, exec, s[90:91]
	s_movk_i32 s18, 0xe0
	v_cmp_gt_u32_e64 s[18:19], s18, v22
	s_and_saveexec_b64 s[90:91], s[18:19]
	s_cbranch_execz .LBB93_205
; %bb.204:
	ds_read_b128 v[33:36], v32 offset:32
	ds_read_b128 v[37:40], v28 offset:1280
	s_waitcnt lgkmcnt(0)
	v_mul_f64 v[41:42], v[35:36], v[39:40]
	v_mul_f64 v[39:40], v[33:34], v[39:40]
	v_fma_f64 v[33:34], v[33:34], v[37:38], -v[41:42]
	v_fma_f64 v[35:36], v[35:36], v[37:38], v[39:40]
	v_add_f64 v[10:11], v[10:11], v[33:34]
	v_add_f64 v[12:13], v[12:13], v[35:36]
.LBB93_205:
	s_or_b64 exec, exec, s[90:91]
	s_movk_i32 s18, 0xd0
	v_cmp_gt_u32_e64 s[18:19], s18, v22
	s_and_saveexec_b64 s[90:91], s[18:19]
	s_cbranch_execz .LBB93_207
; %bb.206:
	ds_read_b128 v[33:36], v32 offset:48
	ds_read_b128 v[37:40], v28 offset:1792
	s_waitcnt lgkmcnt(0)
	v_mul_f64 v[41:42], v[35:36], v[39:40]
	v_mul_f64 v[39:40], v[33:34], v[39:40]
	v_fma_f64 v[33:34], v[33:34], v[37:38], -v[41:42]
	v_fma_f64 v[35:36], v[35:36], v[37:38], v[39:40]
	v_add_f64 v[10:11], v[10:11], v[33:34]
	v_add_f64 v[12:13], v[12:13], v[35:36]
.LBB93_207:
	s_or_b64 exec, exec, s[90:91]
	s_movk_i32 s18, 0xc0
	v_cmp_gt_u32_e64 s[18:19], s18, v22
	s_and_saveexec_b64 s[90:91], s[18:19]
	s_cbranch_execz .LBB93_209
; %bb.208:
	ds_read_b128 v[33:36], v32 offset:64
	ds_read_b128 v[37:40], v28 offset:2304
	s_waitcnt lgkmcnt(0)
	v_mul_f64 v[41:42], v[35:36], v[39:40]
	v_mul_f64 v[39:40], v[33:34], v[39:40]
	v_fma_f64 v[33:34], v[33:34], v[37:38], -v[41:42]
	v_fma_f64 v[35:36], v[35:36], v[37:38], v[39:40]
	v_add_f64 v[10:11], v[10:11], v[33:34]
	v_add_f64 v[12:13], v[12:13], v[35:36]
.LBB93_209:
	s_or_b64 exec, exec, s[90:91]
	s_movk_i32 s18, 0xb0
	v_cmp_gt_u32_e64 s[18:19], s18, v22
	s_and_saveexec_b64 s[90:91], s[18:19]
	s_cbranch_execz .LBB93_211
; %bb.210:
	ds_read_b128 v[33:36], v32 offset:80
	ds_read_b128 v[37:40], v28 offset:2816
	s_waitcnt lgkmcnt(0)
	v_mul_f64 v[41:42], v[35:36], v[39:40]
	v_mul_f64 v[39:40], v[33:34], v[39:40]
	v_fma_f64 v[33:34], v[33:34], v[37:38], -v[41:42]
	v_fma_f64 v[35:36], v[35:36], v[37:38], v[39:40]
	v_add_f64 v[10:11], v[10:11], v[33:34]
	v_add_f64 v[12:13], v[12:13], v[35:36]
.LBB93_211:
	s_or_b64 exec, exec, s[90:91]
	s_movk_i32 s18, 0xa0
	v_cmp_gt_u32_e64 s[18:19], s18, v22
	s_and_saveexec_b64 s[90:91], s[18:19]
	s_cbranch_execz .LBB93_213
; %bb.212:
	ds_read_b128 v[33:36], v32 offset:96
	ds_read_b128 v[37:40], v28 offset:3328
	s_waitcnt lgkmcnt(0)
	v_mul_f64 v[41:42], v[35:36], v[39:40]
	v_mul_f64 v[39:40], v[33:34], v[39:40]
	v_fma_f64 v[33:34], v[33:34], v[37:38], -v[41:42]
	v_fma_f64 v[35:36], v[35:36], v[37:38], v[39:40]
	v_add_f64 v[10:11], v[10:11], v[33:34]
	v_add_f64 v[12:13], v[12:13], v[35:36]
.LBB93_213:
	s_or_b64 exec, exec, s[90:91]
	s_movk_i32 s18, 0x90
	v_cmp_gt_u32_e64 s[18:19], s18, v22
	s_and_saveexec_b64 s[90:91], s[18:19]
	s_cbranch_execz .LBB93_215
; %bb.214:
	ds_read_b128 v[33:36], v32 offset:112
	ds_read_b128 v[37:40], v28 offset:3840
	s_waitcnt lgkmcnt(0)
	v_mul_f64 v[41:42], v[35:36], v[39:40]
	v_mul_f64 v[39:40], v[33:34], v[39:40]
	v_fma_f64 v[33:34], v[33:34], v[37:38], -v[41:42]
	v_fma_f64 v[35:36], v[35:36], v[37:38], v[39:40]
	v_add_f64 v[10:11], v[10:11], v[33:34]
	v_add_f64 v[12:13], v[12:13], v[35:36]
.LBB93_215:
	s_or_b64 exec, exec, s[90:91]
	s_movk_i32 s18, 0x80
	v_cmp_gt_u32_e64 s[18:19], s18, v22
	s_and_saveexec_b64 s[90:91], s[18:19]
	s_cbranch_execz .LBB93_217
; %bb.216:
	ds_read_b128 v[33:36], v32 offset:128
	ds_read_b128 v[37:40], v28 offset:4352
	s_waitcnt lgkmcnt(0)
	v_mul_f64 v[41:42], v[35:36], v[39:40]
	v_mul_f64 v[39:40], v[33:34], v[39:40]
	v_fma_f64 v[33:34], v[33:34], v[37:38], -v[41:42]
	v_fma_f64 v[35:36], v[35:36], v[37:38], v[39:40]
	v_add_f64 v[10:11], v[10:11], v[33:34]
	v_add_f64 v[12:13], v[12:13], v[35:36]
.LBB93_217:
	s_or_b64 exec, exec, s[90:91]
	s_movk_i32 s18, 0x70
	v_cmp_gt_u32_e64 s[18:19], s18, v22
	s_and_saveexec_b64 s[90:91], s[18:19]
	s_cbranch_execz .LBB93_219
; %bb.218:
	ds_read_b128 v[33:36], v32 offset:144
	ds_read_b128 v[37:40], v28 offset:4864
	s_waitcnt lgkmcnt(0)
	v_mul_f64 v[41:42], v[35:36], v[39:40]
	v_mul_f64 v[39:40], v[33:34], v[39:40]
	v_fma_f64 v[33:34], v[33:34], v[37:38], -v[41:42]
	v_fma_f64 v[35:36], v[35:36], v[37:38], v[39:40]
	v_add_f64 v[10:11], v[10:11], v[33:34]
	v_add_f64 v[12:13], v[12:13], v[35:36]
.LBB93_219:
	s_or_b64 exec, exec, s[90:91]
	s_movk_i32 s18, 0x60
	v_cmp_gt_u32_e64 s[18:19], s18, v22
	s_and_saveexec_b64 s[90:91], s[18:19]
	s_cbranch_execz .LBB93_221
; %bb.220:
	ds_read_b128 v[33:36], v32 offset:160
	ds_read_b128 v[37:40], v28 offset:5376
	s_waitcnt lgkmcnt(0)
	v_mul_f64 v[41:42], v[35:36], v[39:40]
	v_mul_f64 v[39:40], v[33:34], v[39:40]
	v_fma_f64 v[33:34], v[33:34], v[37:38], -v[41:42]
	v_fma_f64 v[35:36], v[35:36], v[37:38], v[39:40]
	v_add_f64 v[10:11], v[10:11], v[33:34]
	v_add_f64 v[12:13], v[12:13], v[35:36]
.LBB93_221:
	s_or_b64 exec, exec, s[90:91]
	s_movk_i32 s18, 0x50
	v_cmp_gt_u32_e64 s[18:19], s18, v22
	s_and_saveexec_b64 s[90:91], s[18:19]
	s_cbranch_execnz .LBB93_527
; %bb.222:
	s_or_b64 exec, exec, s[90:91]
	v_cmp_gt_u32_e64 s[18:19], 64, v22
	s_and_saveexec_b64 s[90:91], s[18:19]
	s_cbranch_execnz .LBB93_528
.LBB93_223:
	s_or_b64 exec, exec, s[90:91]
	v_cmp_gt_u32_e64 s[18:19], 48, v22
	s_and_saveexec_b64 s[90:91], s[18:19]
	s_cbranch_execnz .LBB93_529
.LBB93_224:
	s_or_b64 exec, exec, s[90:91]
	v_cmp_gt_u32_e64 s[18:19], 32, v22
	s_and_saveexec_b64 s[90:91], s[18:19]
	s_cbranch_execnz .LBB93_530
.LBB93_225:
	s_or_b64 exec, exec, s[90:91]
	v_cmp_gt_u32_e64 s[18:19], 16, v22
	s_and_saveexec_b64 s[90:91], s[18:19]
	s_cbranch_execz .LBB93_227
.LBB93_226:
	v_lshlrev_b32_e32 v36, 4, v0
	v_mov_b32_e32 v32, 0
	ds_read_b128 v[32:35], v32 offset:240
	ds_read_b128 v[36:39], v36 offset:7936
	s_waitcnt lgkmcnt(0)
	v_mul_f64 v[40:41], v[34:35], v[38:39]
	v_mul_f64 v[38:39], v[32:33], v[38:39]
	v_fma_f64 v[32:33], v[32:33], v[36:37], -v[40:41]
	v_fma_f64 v[34:35], v[34:35], v[36:37], v[38:39]
	v_add_f64 v[10:11], v[10:11], v[32:33]
	v_add_f64 v[12:13], v[12:13], v[34:35]
.LBB93_227:
	s_or_b64 exec, exec, s[90:91]
	v_xor_b32_e32 v11, 0x80000000, v11
	v_xor_b32_e32 v13, 0x80000000, v13
.LBB93_228:
	s_or_b64 exec, exec, s[88:89]
	v_mov_b32_e32 v32, 0x4000
	v_cmp_eq_u32_e64 s[18:19], 0, v29
	s_xor_b64 s[88:89], s[14:15], -1
	v_lshl_add_u32 v31, v31, 4, v32
	s_and_b64 s[18:19], s[18:19], s[88:89]
	s_and_saveexec_b64 s[14:15], s[18:19]
; %bb.229:
	ds_write_b128 v31, v[10:13]
; %bb.230:
	s_or_b64 exec, exec, s[14:15]
	v_cmp_ne_u32_e64 s[14:15], 0, v29
	s_and_b64 s[18:19], s[14:15], s[88:89]
	s_waitcnt lgkmcnt(0)
	s_barrier
	s_and_saveexec_b64 s[14:15], s[18:19]
	s_cbranch_execz .LBB93_232
; %bb.231:
	ds_read_b128 v[32:35], v31
	ds_read_b128 v[36:39], v30 offset:8448
	s_waitcnt lgkmcnt(0)
	v_mul_f64 v[40:41], v[34:35], v[38:39]
	v_mul_f64 v[38:39], v[32:33], v[38:39]
	v_fma_f64 v[32:33], v[32:33], v[36:37], -v[40:41]
	v_fma_f64 v[34:35], v[34:35], v[36:37], v[38:39]
	v_add_f64 v[10:11], v[10:11], v[32:33]
	v_add_f64 v[12:13], v[12:13], v[34:35]
.LBB93_232:
	s_or_b64 exec, exec, s[14:15]
	v_cmp_eq_u32_e64 s[14:15], 1, v29
	s_and_b64 s[18:19], s[14:15], s[88:89]
	s_barrier
	s_and_saveexec_b64 s[14:15], s[18:19]
; %bb.233:
	ds_write_b128 v31, v[10:13]
; %bb.234:
	s_or_b64 exec, exec, s[14:15]
	v_cmp_lt_u32_e64 s[14:15], 1, v29
	s_and_b64 s[18:19], s[14:15], s[88:89]
	s_waitcnt lgkmcnt(0)
	s_barrier
	s_and_saveexec_b64 s[14:15], s[18:19]
	s_cbranch_execz .LBB93_236
; %bb.235:
	ds_read_b128 v[32:35], v31
	ds_read_b128 v[36:39], v30 offset:8960
	s_waitcnt lgkmcnt(0)
	v_mul_f64 v[40:41], v[34:35], v[38:39]
	v_mul_f64 v[38:39], v[32:33], v[38:39]
	v_fma_f64 v[32:33], v[32:33], v[36:37], -v[40:41]
	v_fma_f64 v[34:35], v[34:35], v[36:37], v[38:39]
	v_add_f64 v[10:11], v[10:11], v[32:33]
	v_add_f64 v[12:13], v[12:13], v[34:35]
.LBB93_236:
	s_or_b64 exec, exec, s[14:15]
	v_cmp_eq_u32_e64 s[14:15], 2, v29
	s_and_b64 s[18:19], s[14:15], s[88:89]
	s_barrier
	s_and_saveexec_b64 s[14:15], s[18:19]
; %bb.237:
	ds_write_b128 v31, v[10:13]
; %bb.238:
	s_or_b64 exec, exec, s[14:15]
	v_cmp_lt_u32_e64 s[14:15], 2, v29
	;; [unrolled: 26-line block ×13, first 2 shown]
	s_and_b64 s[18:19], s[14:15], s[88:89]
	s_waitcnt lgkmcnt(0)
	s_barrier
	s_and_saveexec_b64 s[14:15], s[18:19]
	s_cbranch_execz .LBB93_284
; %bb.283:
	ds_read_b128 v[32:35], v31
	ds_read_b128 v[36:39], v30 offset:15104
	s_waitcnt lgkmcnt(0)
	v_mul_f64 v[40:41], v[34:35], v[38:39]
	v_mul_f64 v[38:39], v[32:33], v[38:39]
	v_fma_f64 v[32:33], v[32:33], v[36:37], -v[40:41]
	v_fma_f64 v[34:35], v[34:35], v[36:37], v[38:39]
	v_add_f64 v[10:11], v[10:11], v[32:33]
	v_add_f64 v[12:13], v[12:13], v[34:35]
.LBB93_284:
	s_or_b64 exec, exec, s[14:15]
	v_cmp_eq_u32_e64 s[14:15], 14, v29
	s_and_b64 s[18:19], s[14:15], s[88:89]
	s_barrier
	s_and_saveexec_b64 s[14:15], s[18:19]
; %bb.285:
	ds_write_b128 v31, v[10:13]
; %bb.286:
	s_or_b64 exec, exec, s[14:15]
	v_cmp_eq_u32_e64 s[14:15], 15, v29
	s_and_b64 s[14:15], s[14:15], s[88:89]
	s_waitcnt lgkmcnt(0)
	s_barrier
	s_and_saveexec_b64 s[18:19], s[14:15]
	s_cbranch_execz .LBB93_288
; %bb.287:
	v_mov_b32_e32 v29, 0
	ds_read_b128 v[32:35], v31
	ds_read_b128 v[36:39], v29 offset:15856
	s_waitcnt lgkmcnt(0)
	v_mul_f64 v[29:30], v[34:35], v[38:39]
	v_mul_f64 v[38:39], v[32:33], v[38:39]
	v_fma_f64 v[29:30], v[32:33], v[36:37], -v[29:30]
	v_fma_f64 v[32:33], v[34:35], v[36:37], v[38:39]
	v_add_f64 v[10:11], v[10:11], v[29:30]
	v_add_f64 v[12:13], v[12:13], v[32:33]
.LBB93_288:
	s_or_b64 exec, exec, s[18:19]
	s_barrier
	s_and_saveexec_b64 s[18:19], s[14:15]
; %bb.289:
	ds_write_b128 v31, v[10:13]
; %bb.290:
	s_or_b64 exec, exec, s[18:19]
	s_waitcnt lgkmcnt(0)
	s_barrier
	s_barrier
	s_and_saveexec_b64 s[14:15], s[12:13]
; %bb.291:
	v_xor_b32_e32 v13, 0x80000000, v13
	v_xor_b32_e32 v11, 0x80000000, v11
	ds_write_b128 v28, v[10:13] offset:256
; %bb.292:
	s_or_b64 exec, exec, s[14:15]
	v_cmp_gt_u32_e64 s[12:13], 16, v0
	s_and_b64 s[12:13], s[10:11], s[12:13]
	s_waitcnt lgkmcnt(0)
	s_barrier
	s_barrier
	s_and_saveexec_b64 s[10:11], s[12:13]
	s_cbranch_execz .LBB93_294
; %bb.293:
	v_lshlrev_b32_e32 v28, 9, v0
	ds_read_b128 v[10:13], v28 offset:256
	s_movk_i32 s12, 0xfe10
	v_mad_i32_i24 v29, v0, s12, v28
	s_waitcnt lgkmcnt(0)
	ds_write_b128 v29, v[10:13] offset:8192
	ds_read_b128 v[10:13], v28 offset:272
	s_waitcnt lgkmcnt(0)
	ds_write_b128 v29, v[10:13] offset:8704
	ds_read_b128 v[10:13], v28 offset:288
	;; [unrolled: 3-line block ×15, first 2 shown]
	s_waitcnt lgkmcnt(0)
	ds_write_b128 v29, v[10:13] offset:15872
.LBB93_294:
	s_or_b64 exec, exec, s[10:11]
	s_waitcnt lgkmcnt(0)
	s_barrier
	s_and_saveexec_b64 s[10:11], vcc
	s_cbranch_execz .LBB93_296
; %bb.295:
	s_mov_b32 s12, 0
	v_mov_b32_e32 v32, 0
	ds_read_b128 v[10:13], v32 offset:8464
	s_mov_b32 s15, s12
	s_mov_b32 s13, 0x3ff00000
	;; [unrolled: 1-line block ×3, first 2 shown]
	v_mov_b32_e32 v31, s15
	v_mov_b32_e32 v30, s14
	v_mov_b32_e32 v29, s13
	v_mov_b32_e32 v28, s12
	ds_write_b128 v32, v[28:31] offset:8448
	ds_write_b128 v32, v[28:31] offset:8976
	s_waitcnt lgkmcnt(2)
	ds_write_b128 v32, v[10:13] offset:8960
.LBB93_296:
	s_or_b64 exec, exec, s[10:11]
	v_mov_b32_e32 v12, 0
	v_mov_b32_e32 v10, 0
	;; [unrolled: 1-line block ×4, first 2 shown]
	s_waitcnt lgkmcnt(0)
	s_barrier
	s_and_saveexec_b64 s[12:13], s[2:3]
	s_cbranch_execz .LBB93_300
; %bb.297:
	v_mul_u32_u24_e32 v10, 0x210, v16
	ds_read_b128 v[10:13], v10 offset:8448
	ds_read_b128 v[28:31], v14 offset:8480
	v_cmp_gt_u32_e64 s[10:11], 2, v22
	s_waitcnt lgkmcnt(0)
	v_mul_f64 v[32:33], v[12:13], v[30:31]
	v_mul_f64 v[30:31], v[10:11], v[30:31]
	v_fma_f64 v[10:11], v[10:11], v[28:29], -v[32:33]
	v_fma_f64 v[12:13], v[12:13], v[28:29], v[30:31]
	v_add_f64 v[10:11], v[10:11], 0
	v_add_f64 v[12:13], v[12:13], 0
	s_and_saveexec_b64 s[14:15], s[10:11]
	s_cbranch_execz .LBB93_299
; %bb.298:
	v_lshlrev_b32_e32 v32, 4, v0
	v_mov_b32_e32 v28, 0
	ds_read_b128 v[28:31], v28 offset:8464
	ds_read_b128 v[32:35], v32 offset:8992
	s_waitcnt lgkmcnt(0)
	v_mul_f64 v[36:37], v[30:31], v[34:35]
	v_mul_f64 v[34:35], v[28:29], v[34:35]
	v_fma_f64 v[28:29], v[28:29], v[32:33], -v[36:37]
	v_fma_f64 v[30:31], v[30:31], v[32:33], v[34:35]
	v_add_f64 v[10:11], v[10:11], v[28:29]
	v_add_f64 v[12:13], v[12:13], v[30:31]
.LBB93_299:
	s_or_b64 exec, exec, s[14:15]
	v_xor_b32_e32 v11, 0x80000000, v11
	v_xor_b32_e32 v13, 0x80000000, v13
.LBB93_300:
	s_or_b64 exec, exec, s[12:13]
	s_and_saveexec_b64 s[10:11], s[40:41]
; %bb.301:
	ds_write_b128 v15, v[10:13]
; %bb.302:
	s_or_b64 exec, exec, s[10:11]
	s_waitcnt lgkmcnt(0)
	s_barrier
	s_and_saveexec_b64 s[10:11], s[38:39]
	s_cbranch_execz .LBB93_304
; %bb.303:
	v_mov_b32_e32 v32, 0
	ds_read_b128 v[28:31], v15
	ds_read_b128 v[32:35], v32 offset:9520
	s_waitcnt lgkmcnt(0)
	v_mul_f64 v[36:37], v[30:31], v[34:35]
	v_mul_f64 v[34:35], v[28:29], v[34:35]
	v_fma_f64 v[28:29], v[28:29], v[32:33], -v[36:37]
	v_fma_f64 v[30:31], v[30:31], v[32:33], v[34:35]
	v_add_f64 v[10:11], v[10:11], v[28:29]
	v_add_f64 v[12:13], v[12:13], v[30:31]
.LBB93_304:
	s_or_b64 exec, exec, s[10:11]
	s_barrier
	s_and_saveexec_b64 s[10:11], s[38:39]
; %bb.305:
	ds_write_b128 v15, v[10:13]
; %bb.306:
	s_or_b64 exec, exec, s[10:11]
	s_waitcnt lgkmcnt(0)
	s_barrier
	s_barrier
	s_and_saveexec_b64 s[10:11], s[2:3]
; %bb.307:
	v_xor_b32_e32 v11, 0x80000000, v11
	v_xor_b32_e32 v13, 0x80000000, v13
	ds_write_b128 v14, v[10:13] offset:8480
; %bb.308:
	s_or_b64 exec, exec, s[10:11]
	s_waitcnt lgkmcnt(0)
	s_barrier
	s_barrier
	s_and_saveexec_b64 s[10:11], s[42:43]
	s_cbranch_execz .LBB93_310
; %bb.309:
	v_lshlrev_b32_e32 v28, 9, v0
	ds_read_b128 v[10:13], v28 offset:8480
	s_movk_i32 s12, 0xfe10
	v_mad_i32_i24 v29, v0, s12, v28
	s_waitcnt lgkmcnt(0)
	ds_write_b128 v29, v[10:13] offset:9472
	ds_read_b128 v[10:13], v28 offset:8496
	s_waitcnt lgkmcnt(0)
	ds_write_b128 v29, v[10:13] offset:9984
.LBB93_310:
	s_or_b64 exec, exec, s[10:11]
	s_waitcnt lgkmcnt(0)
	s_barrier
	s_and_saveexec_b64 s[10:11], vcc
	s_cbranch_execz .LBB93_312
; %bb.311:
	s_mov_b32 s12, 0
	v_mov_b32_e32 v32, 0
	ds_read_b128 v[10:13], v32 offset:9520
	s_mov_b32 s15, s12
	s_mov_b32 s13, 0x3ff00000
	s_mov_b32 s14, s12
	v_mov_b32_e32 v31, s15
	v_mov_b32_e32 v30, s14
	;; [unrolled: 1-line block ×4, first 2 shown]
	ds_write_b128 v32, v[28:31] offset:9504
	ds_write_b128 v32, v[28:31] offset:10032
	s_waitcnt lgkmcnt(2)
	ds_write_b128 v32, v[10:13] offset:10016
.LBB93_312:
	s_or_b64 exec, exec, s[10:11]
	v_mov_b32_e32 v12, 0
	v_mov_b32_e32 v10, 0
	;; [unrolled: 1-line block ×4, first 2 shown]
	s_waitcnt lgkmcnt(0)
	s_barrier
	s_and_saveexec_b64 s[12:13], s[16:17]
	s_cbranch_execz .LBB93_318
; %bb.313:
	v_mul_u32_u24_e32 v28, 0x210, v21
	ds_read_b128 v[10:13], v28 offset:8448
	ds_read_b128 v[29:32], v17 offset:8512
	v_cmp_gt_u32_e64 s[10:11], 12, v22
	s_waitcnt lgkmcnt(0)
	v_mul_f64 v[33:34], v[12:13], v[31:32]
	v_mul_f64 v[31:32], v[10:11], v[31:32]
	v_fma_f64 v[10:11], v[10:11], v[29:30], -v[33:34]
	v_fma_f64 v[12:13], v[12:13], v[29:30], v[31:32]
	v_add_f64 v[10:11], v[10:11], 0
	v_add_f64 v[12:13], v[12:13], 0
	s_and_saveexec_b64 s[14:15], s[10:11]
	s_cbranch_execnz .LBB93_531
; %bb.314:
	s_or_b64 exec, exec, s[14:15]
	v_cmp_gt_u32_e64 s[10:11], 8, v22
	s_and_saveexec_b64 s[14:15], s[10:11]
	s_cbranch_execnz .LBB93_532
.LBB93_315:
	s_or_b64 exec, exec, s[14:15]
	v_cmp_gt_u32_e64 s[10:11], 4, v22
	s_and_saveexec_b64 s[14:15], s[10:11]
	s_cbranch_execz .LBB93_317
.LBB93_316:
	v_lshlrev_b32_e32 v32, 4, v0
	v_mov_b32_e32 v28, 0
	ds_read_b128 v[28:31], v28 offset:8496
	ds_read_b128 v[32:35], v32 offset:10048
	s_waitcnt lgkmcnt(0)
	v_mul_f64 v[36:37], v[30:31], v[34:35]
	v_mul_f64 v[34:35], v[28:29], v[34:35]
	v_fma_f64 v[28:29], v[28:29], v[32:33], -v[36:37]
	v_fma_f64 v[30:31], v[30:31], v[32:33], v[34:35]
	v_add_f64 v[10:11], v[10:11], v[28:29]
	v_add_f64 v[12:13], v[12:13], v[30:31]
.LBB93_317:
	s_or_b64 exec, exec, s[14:15]
	v_xor_b32_e32 v11, 0x80000000, v11
	v_xor_b32_e32 v13, 0x80000000, v13
.LBB93_318:
	s_or_b64 exec, exec, s[12:13]
	s_and_saveexec_b64 s[10:11], s[46:47]
; %bb.319:
	ds_write_b128 v19, v[10:13]
; %bb.320:
	s_or_b64 exec, exec, s[10:11]
	s_waitcnt lgkmcnt(0)
	s_barrier
	s_and_saveexec_b64 s[10:11], s[48:49]
	s_cbranch_execz .LBB93_322
; %bb.321:
	ds_read_b128 v[28:31], v19
	ds_read_b128 v[32:35], v18 offset:10560
	s_waitcnt lgkmcnt(0)
	v_mul_f64 v[36:37], v[30:31], v[34:35]
	v_mul_f64 v[34:35], v[28:29], v[34:35]
	v_fma_f64 v[28:29], v[28:29], v[32:33], -v[36:37]
	v_fma_f64 v[30:31], v[30:31], v[32:33], v[34:35]
	v_add_f64 v[10:11], v[10:11], v[28:29]
	v_add_f64 v[12:13], v[12:13], v[30:31]
.LBB93_322:
	s_or_b64 exec, exec, s[10:11]
	s_barrier
	s_and_saveexec_b64 s[10:11], s[50:51]
; %bb.323:
	ds_write_b128 v19, v[10:13]
; %bb.324:
	s_or_b64 exec, exec, s[10:11]
	s_waitcnt lgkmcnt(0)
	s_barrier
	s_and_saveexec_b64 s[10:11], s[52:53]
	s_cbranch_execz .LBB93_326
; %bb.325:
	ds_read_b128 v[28:31], v19
	ds_read_b128 v[32:35], v18 offset:11072
	s_waitcnt lgkmcnt(0)
	v_mul_f64 v[36:37], v[30:31], v[34:35]
	v_mul_f64 v[34:35], v[28:29], v[34:35]
	v_fma_f64 v[28:29], v[28:29], v[32:33], -v[36:37]
	v_fma_f64 v[30:31], v[30:31], v[32:33], v[34:35]
	v_add_f64 v[10:11], v[10:11], v[28:29]
	v_add_f64 v[12:13], v[12:13], v[30:31]
.LBB93_326:
	s_or_b64 exec, exec, s[10:11]
	s_barrier
	s_and_saveexec_b64 s[10:11], s[54:55]
; %bb.327:
	ds_write_b128 v19, v[10:13]
; %bb.328:
	s_or_b64 exec, exec, s[10:11]
	s_waitcnt lgkmcnt(0)
	s_barrier
	s_and_saveexec_b64 s[10:11], s[44:45]
	s_cbranch_execz .LBB93_330
; %bb.329:
	v_mov_b32_e32 v32, 0
	ds_read_b128 v[28:31], v19
	ds_read_b128 v[32:35], v32 offset:11632
	s_waitcnt lgkmcnt(0)
	v_mul_f64 v[36:37], v[30:31], v[34:35]
	v_mul_f64 v[34:35], v[28:29], v[34:35]
	v_fma_f64 v[28:29], v[28:29], v[32:33], -v[36:37]
	v_fma_f64 v[30:31], v[30:31], v[32:33], v[34:35]
	v_add_f64 v[10:11], v[10:11], v[28:29]
	v_add_f64 v[12:13], v[12:13], v[30:31]
.LBB93_330:
	s_or_b64 exec, exec, s[10:11]
	s_barrier
	s_and_saveexec_b64 s[10:11], s[44:45]
; %bb.331:
	ds_write_b128 v19, v[10:13]
; %bb.332:
	s_or_b64 exec, exec, s[10:11]
	s_waitcnt lgkmcnt(0)
	s_barrier
	s_barrier
	s_and_saveexec_b64 s[10:11], s[16:17]
; %bb.333:
	v_xor_b32_e32 v13, 0x80000000, v13
	v_xor_b32_e32 v11, 0x80000000, v11
	ds_write_b128 v17, v[10:13] offset:8512
; %bb.334:
	s_or_b64 exec, exec, s[10:11]
	s_waitcnt lgkmcnt(0)
	s_barrier
	s_barrier
	s_and_saveexec_b64 s[10:11], s[56:57]
	s_cbranch_execz .LBB93_336
; %bb.335:
	v_lshlrev_b32_e32 v28, 4, v0
	s_movk_i32 s12, 0x1f0
	v_mad_u32_u24 v29, v0, s12, v28
	ds_read_b128 v[10:13], v29 offset:8512
	s_waitcnt lgkmcnt(0)
	ds_write_b128 v28, v[10:13] offset:10496
	ds_read_b128 v[10:13], v29 offset:8528
	s_waitcnt lgkmcnt(0)
	ds_write_b128 v28, v[10:13] offset:11008
	;; [unrolled: 3-line block ×4, first 2 shown]
.LBB93_336:
	s_or_b64 exec, exec, s[10:11]
	s_waitcnt lgkmcnt(0)
	s_barrier
	s_and_saveexec_b64 s[10:11], vcc
	s_cbranch_execz .LBB93_338
; %bb.337:
	s_mov_b32 s12, 0
	v_mov_b32_e32 v32, 0
	ds_read_b128 v[10:13], v32 offset:10576
	s_mov_b32 s15, s12
	s_mov_b32 s13, 0x3ff00000
	;; [unrolled: 1-line block ×3, first 2 shown]
	v_mov_b32_e32 v31, s15
	v_mov_b32_e32 v30, s14
	;; [unrolled: 1-line block ×4, first 2 shown]
	ds_write_b128 v32, v[28:31] offset:10560
	ds_write_b128 v32, v[28:31] offset:11088
	s_waitcnt lgkmcnt(2)
	ds_write_b128 v32, v[10:13] offset:11072
.LBB93_338:
	s_or_b64 exec, exec, s[10:11]
	v_mov_b32_e32 v12, 0
	v_mov_b32_e32 v10, 0
	;; [unrolled: 1-line block ×4, first 2 shown]
	s_waitcnt lgkmcnt(0)
	s_barrier
	s_and_saveexec_b64 s[12:13], s[2:3]
	s_cbranch_execz .LBB93_342
; %bb.339:
	v_mul_u32_u24_e32 v10, 0x210, v16
	ds_read_b128 v[10:13], v10 offset:10560
	ds_read_b128 v[28:31], v14 offset:10592
	v_cmp_gt_u32_e64 s[10:11], 2, v22
	s_waitcnt lgkmcnt(0)
	v_mul_f64 v[32:33], v[12:13], v[30:31]
	v_mul_f64 v[30:31], v[10:11], v[30:31]
	v_fma_f64 v[10:11], v[10:11], v[28:29], -v[32:33]
	v_fma_f64 v[12:13], v[12:13], v[28:29], v[30:31]
	v_add_f64 v[10:11], v[10:11], 0
	v_add_f64 v[12:13], v[12:13], 0
	s_and_saveexec_b64 s[14:15], s[10:11]
	s_cbranch_execz .LBB93_341
; %bb.340:
	v_lshlrev_b32_e32 v32, 4, v0
	v_mov_b32_e32 v28, 0
	ds_read_b128 v[28:31], v28 offset:10576
	ds_read_b128 v[32:35], v32 offset:11104
	s_waitcnt lgkmcnt(0)
	v_mul_f64 v[36:37], v[30:31], v[34:35]
	v_mul_f64 v[34:35], v[28:29], v[34:35]
	v_fma_f64 v[28:29], v[28:29], v[32:33], -v[36:37]
	v_fma_f64 v[30:31], v[30:31], v[32:33], v[34:35]
	v_add_f64 v[10:11], v[10:11], v[28:29]
	v_add_f64 v[12:13], v[12:13], v[30:31]
.LBB93_341:
	s_or_b64 exec, exec, s[14:15]
	v_xor_b32_e32 v11, 0x80000000, v11
	v_xor_b32_e32 v13, 0x80000000, v13
.LBB93_342:
	s_or_b64 exec, exec, s[12:13]
	s_and_saveexec_b64 s[10:11], s[40:41]
; %bb.343:
	ds_write_b128 v15, v[10:13]
; %bb.344:
	s_or_b64 exec, exec, s[10:11]
	s_waitcnt lgkmcnt(0)
	s_barrier
	s_and_saveexec_b64 s[10:11], s[38:39]
	s_cbranch_execz .LBB93_346
; %bb.345:
	v_mov_b32_e32 v32, 0
	ds_read_b128 v[28:31], v15
	ds_read_b128 v[32:35], v32 offset:11632
	s_waitcnt lgkmcnt(0)
	v_mul_f64 v[36:37], v[30:31], v[34:35]
	v_mul_f64 v[34:35], v[28:29], v[34:35]
	v_fma_f64 v[28:29], v[28:29], v[32:33], -v[36:37]
	v_fma_f64 v[30:31], v[30:31], v[32:33], v[34:35]
	v_add_f64 v[10:11], v[10:11], v[28:29]
	v_add_f64 v[12:13], v[12:13], v[30:31]
.LBB93_346:
	s_or_b64 exec, exec, s[10:11]
	s_barrier
	s_and_saveexec_b64 s[10:11], s[38:39]
; %bb.347:
	ds_write_b128 v15, v[10:13]
; %bb.348:
	s_or_b64 exec, exec, s[10:11]
	s_waitcnt lgkmcnt(0)
	s_barrier
	s_barrier
	s_and_saveexec_b64 s[10:11], s[2:3]
; %bb.349:
	v_xor_b32_e32 v11, 0x80000000, v11
	v_xor_b32_e32 v13, 0x80000000, v13
	ds_write_b128 v14, v[10:13] offset:10592
; %bb.350:
	s_or_b64 exec, exec, s[10:11]
	s_waitcnt lgkmcnt(0)
	s_barrier
	s_barrier
	s_and_saveexec_b64 s[10:11], s[42:43]
	s_cbranch_execz .LBB93_352
; %bb.351:
	v_lshlrev_b32_e32 v28, 9, v0
	ds_read_b128 v[10:13], v28 offset:10592
	s_movk_i32 s12, 0xfe10
	v_mad_i32_i24 v29, v0, s12, v28
	s_waitcnt lgkmcnt(0)
	ds_write_b128 v29, v[10:13] offset:11584
	ds_read_b128 v[10:13], v28 offset:10608
	s_waitcnt lgkmcnt(0)
	ds_write_b128 v29, v[10:13] offset:12096
.LBB93_352:
	s_or_b64 exec, exec, s[10:11]
	s_waitcnt lgkmcnt(0)
	s_barrier
	s_and_saveexec_b64 s[10:11], vcc
	s_cbranch_execz .LBB93_354
; %bb.353:
	s_mov_b32 s12, 0
	v_mov_b32_e32 v32, 0
	ds_read_b128 v[10:13], v32 offset:11632
	s_mov_b32 s15, s12
	s_mov_b32 s13, 0x3ff00000
	;; [unrolled: 1-line block ×3, first 2 shown]
	v_mov_b32_e32 v31, s15
	v_mov_b32_e32 v30, s14
	;; [unrolled: 1-line block ×4, first 2 shown]
	ds_write_b128 v32, v[28:31] offset:11616
	ds_write_b128 v32, v[28:31] offset:12144
	s_waitcnt lgkmcnt(2)
	ds_write_b128 v32, v[10:13] offset:12128
.LBB93_354:
	s_or_b64 exec, exec, s[10:11]
	v_mov_b32_e32 v12, 0
	v_mov_b32_e32 v10, 0
	;; [unrolled: 1-line block ×4, first 2 shown]
	s_waitcnt lgkmcnt(0)
	s_barrier
	s_and_saveexec_b64 s[12:13], s[8:9]
	s_cbranch_execz .LBB93_364
; %bb.355:
	v_mul_u32_u24_e32 v28, 0x210, v27
	ds_read_b128 v[10:13], v28 offset:8448
	ds_read_b128 v[29:32], v23 offset:8576
	v_cmp_gt_u32_e64 s[10:11], 56, v22
	s_waitcnt lgkmcnt(0)
	v_mul_f64 v[33:34], v[12:13], v[31:32]
	v_mul_f64 v[31:32], v[10:11], v[31:32]
	v_fma_f64 v[10:11], v[10:11], v[29:30], -v[33:34]
	v_fma_f64 v[12:13], v[12:13], v[29:30], v[31:32]
	v_add_f64 v[10:11], v[10:11], 0
	v_add_f64 v[12:13], v[12:13], 0
	s_and_saveexec_b64 s[14:15], s[10:11]
	s_cbranch_execnz .LBB93_533
; %bb.356:
	s_or_b64 exec, exec, s[14:15]
	v_cmp_gt_u32_e64 s[10:11], 48, v22
	s_and_saveexec_b64 s[14:15], s[10:11]
	s_cbranch_execnz .LBB93_534
.LBB93_357:
	s_or_b64 exec, exec, s[14:15]
	v_cmp_gt_u32_e64 s[10:11], 40, v22
	s_and_saveexec_b64 s[14:15], s[10:11]
	s_cbranch_execnz .LBB93_535
.LBB93_358:
	s_or_b64 exec, exec, s[14:15]
	v_cmp_gt_u32_e64 s[10:11], 32, v22
	s_and_saveexec_b64 s[14:15], s[10:11]
	s_cbranch_execnz .LBB93_536
.LBB93_359:
	s_or_b64 exec, exec, s[14:15]
	v_cmp_gt_u32_e64 s[10:11], 24, v22
	s_and_saveexec_b64 s[14:15], s[10:11]
	s_cbranch_execnz .LBB93_537
.LBB93_360:
	s_or_b64 exec, exec, s[14:15]
	v_cmp_gt_u32_e64 s[10:11], 16, v22
	s_and_saveexec_b64 s[14:15], s[10:11]
	s_cbranch_execnz .LBB93_538
.LBB93_361:
	s_or_b64 exec, exec, s[14:15]
	v_cmp_gt_u32_e64 s[10:11], 8, v22
	s_and_saveexec_b64 s[14:15], s[10:11]
	s_cbranch_execz .LBB93_363
.LBB93_362:
	v_lshlrev_b32_e32 v30, 4, v0
	v_mov_b32_e32 v26, 0
	ds_read_b128 v[26:29], v26 offset:8560
	ds_read_b128 v[30:33], v30 offset:12160
	s_waitcnt lgkmcnt(0)
	v_mul_f64 v[34:35], v[28:29], v[32:33]
	v_mul_f64 v[32:33], v[26:27], v[32:33]
	v_fma_f64 v[26:27], v[26:27], v[30:31], -v[34:35]
	v_fma_f64 v[28:29], v[28:29], v[30:31], v[32:33]
	v_add_f64 v[10:11], v[10:11], v[26:27]
	v_add_f64 v[12:13], v[12:13], v[28:29]
.LBB93_363:
	s_or_b64 exec, exec, s[14:15]
	v_xor_b32_e32 v11, 0x80000000, v11
	v_xor_b32_e32 v13, 0x80000000, v13
.LBB93_364:
	s_or_b64 exec, exec, s[12:13]
	s_and_saveexec_b64 s[10:11], s[60:61]
; %bb.365:
	ds_write_b128 v25, v[10:13]
; %bb.366:
	s_or_b64 exec, exec, s[10:11]
	s_waitcnt lgkmcnt(0)
	s_barrier
	s_and_saveexec_b64 s[10:11], s[62:63]
	s_cbranch_execz .LBB93_368
; %bb.367:
	ds_read_b128 v[26:29], v25
	ds_read_b128 v[30:33], v24 offset:12672
	s_waitcnt lgkmcnt(0)
	v_mul_f64 v[34:35], v[28:29], v[32:33]
	v_mul_f64 v[32:33], v[26:27], v[32:33]
	v_fma_f64 v[26:27], v[26:27], v[30:31], -v[34:35]
	v_fma_f64 v[28:29], v[28:29], v[30:31], v[32:33]
	v_add_f64 v[10:11], v[10:11], v[26:27]
	v_add_f64 v[12:13], v[12:13], v[28:29]
.LBB93_368:
	s_or_b64 exec, exec, s[10:11]
	s_barrier
	s_and_saveexec_b64 s[10:11], s[64:65]
; %bb.369:
	ds_write_b128 v25, v[10:13]
; %bb.370:
	s_or_b64 exec, exec, s[10:11]
	s_waitcnt lgkmcnt(0)
	s_barrier
	s_and_saveexec_b64 s[10:11], s[66:67]
	s_cbranch_execz .LBB93_372
; %bb.371:
	ds_read_b128 v[26:29], v25
	ds_read_b128 v[30:33], v24 offset:13184
	s_waitcnt lgkmcnt(0)
	v_mul_f64 v[34:35], v[28:29], v[32:33]
	v_mul_f64 v[32:33], v[26:27], v[32:33]
	v_fma_f64 v[26:27], v[26:27], v[30:31], -v[34:35]
	v_fma_f64 v[28:29], v[28:29], v[30:31], v[32:33]
	v_add_f64 v[10:11], v[10:11], v[26:27]
	v_add_f64 v[12:13], v[12:13], v[28:29]
.LBB93_372:
	s_or_b64 exec, exec, s[10:11]
	s_barrier
	s_and_saveexec_b64 s[10:11], s[68:69]
; %bb.373:
	ds_write_b128 v25, v[10:13]
; %bb.374:
	s_or_b64 exec, exec, s[10:11]
	s_waitcnt lgkmcnt(0)
	s_barrier
	s_and_saveexec_b64 s[10:11], s[70:71]
	s_cbranch_execz .LBB93_376
; %bb.375:
	ds_read_b128 v[26:29], v25
	ds_read_b128 v[30:33], v24 offset:13696
	s_waitcnt lgkmcnt(0)
	v_mul_f64 v[34:35], v[28:29], v[32:33]
	v_mul_f64 v[32:33], v[26:27], v[32:33]
	v_fma_f64 v[26:27], v[26:27], v[30:31], -v[34:35]
	v_fma_f64 v[28:29], v[28:29], v[30:31], v[32:33]
	v_add_f64 v[10:11], v[10:11], v[26:27]
	v_add_f64 v[12:13], v[12:13], v[28:29]
.LBB93_376:
	s_or_b64 exec, exec, s[10:11]
	s_barrier
	s_and_saveexec_b64 s[10:11], s[72:73]
; %bb.377:
	ds_write_b128 v25, v[10:13]
; %bb.378:
	s_or_b64 exec, exec, s[10:11]
	s_waitcnt lgkmcnt(0)
	s_barrier
	s_and_saveexec_b64 s[10:11], s[74:75]
	s_cbranch_execz .LBB93_380
; %bb.379:
	ds_read_b128 v[26:29], v25
	ds_read_b128 v[30:33], v24 offset:14208
	s_waitcnt lgkmcnt(0)
	v_mul_f64 v[34:35], v[28:29], v[32:33]
	v_mul_f64 v[32:33], v[26:27], v[32:33]
	v_fma_f64 v[26:27], v[26:27], v[30:31], -v[34:35]
	v_fma_f64 v[28:29], v[28:29], v[30:31], v[32:33]
	v_add_f64 v[10:11], v[10:11], v[26:27]
	v_add_f64 v[12:13], v[12:13], v[28:29]
.LBB93_380:
	s_or_b64 exec, exec, s[10:11]
	s_barrier
	s_and_saveexec_b64 s[10:11], s[76:77]
; %bb.381:
	ds_write_b128 v25, v[10:13]
; %bb.382:
	s_or_b64 exec, exec, s[10:11]
	s_waitcnt lgkmcnt(0)
	s_barrier
	s_and_saveexec_b64 s[10:11], s[78:79]
	s_cbranch_execz .LBB93_384
; %bb.383:
	ds_read_b128 v[26:29], v25
	ds_read_b128 v[30:33], v24 offset:14720
	s_waitcnt lgkmcnt(0)
	v_mul_f64 v[34:35], v[28:29], v[32:33]
	v_mul_f64 v[32:33], v[26:27], v[32:33]
	v_fma_f64 v[26:27], v[26:27], v[30:31], -v[34:35]
	v_fma_f64 v[28:29], v[28:29], v[30:31], v[32:33]
	v_add_f64 v[10:11], v[10:11], v[26:27]
	v_add_f64 v[12:13], v[12:13], v[28:29]
.LBB93_384:
	s_or_b64 exec, exec, s[10:11]
	s_barrier
	s_and_saveexec_b64 s[10:11], s[80:81]
; %bb.385:
	ds_write_b128 v25, v[10:13]
; %bb.386:
	s_or_b64 exec, exec, s[10:11]
	s_waitcnt lgkmcnt(0)
	s_barrier
	s_and_saveexec_b64 s[10:11], s[82:83]
	s_cbranch_execz .LBB93_388
; %bb.387:
	ds_read_b128 v[26:29], v25
	ds_read_b128 v[30:33], v24 offset:15232
	s_waitcnt lgkmcnt(0)
	v_mul_f64 v[34:35], v[28:29], v[32:33]
	v_mul_f64 v[32:33], v[26:27], v[32:33]
	v_fma_f64 v[26:27], v[26:27], v[30:31], -v[34:35]
	v_fma_f64 v[28:29], v[28:29], v[30:31], v[32:33]
	v_add_f64 v[10:11], v[10:11], v[26:27]
	v_add_f64 v[12:13], v[12:13], v[28:29]
.LBB93_388:
	s_or_b64 exec, exec, s[10:11]
	s_barrier
	s_and_saveexec_b64 s[10:11], s[84:85]
; %bb.389:
	ds_write_b128 v25, v[10:13]
; %bb.390:
	s_or_b64 exec, exec, s[10:11]
	s_waitcnt lgkmcnt(0)
	s_barrier
	s_and_saveexec_b64 s[10:11], s[58:59]
	s_cbranch_execz .LBB93_392
; %bb.391:
	v_mov_b32_e32 v24, 0
	ds_read_b128 v[26:29], v25
	ds_read_b128 v[30:33], v24 offset:15856
	s_waitcnt lgkmcnt(0)
	v_mul_f64 v[34:35], v[28:29], v[32:33]
	v_mul_f64 v[32:33], v[26:27], v[32:33]
	v_fma_f64 v[26:27], v[26:27], v[30:31], -v[34:35]
	v_fma_f64 v[28:29], v[28:29], v[30:31], v[32:33]
	v_add_f64 v[10:11], v[10:11], v[26:27]
	v_add_f64 v[12:13], v[12:13], v[28:29]
.LBB93_392:
	s_or_b64 exec, exec, s[10:11]
	s_barrier
	s_and_saveexec_b64 s[10:11], s[58:59]
; %bb.393:
	ds_write_b128 v25, v[10:13]
; %bb.394:
	s_or_b64 exec, exec, s[10:11]
	s_waitcnt lgkmcnt(0)
	s_barrier
	s_barrier
	s_and_saveexec_b64 s[10:11], s[8:9]
; %bb.395:
	v_xor_b32_e32 v11, 0x80000000, v11
	v_xor_b32_e32 v13, 0x80000000, v13
	ds_write_b128 v23, v[10:13] offset:8576
; %bb.396:
	s_or_b64 exec, exec, s[10:11]
	s_waitcnt lgkmcnt(0)
	s_barrier
	s_barrier
	s_and_saveexec_b64 s[8:9], s[86:87]
	s_cbranch_execz .LBB93_398
; %bb.397:
	v_lshlrev_b32_e32 v23, 9, v0
	ds_read_b128 v[10:13], v23 offset:8576
	s_movk_i32 s10, 0xfe10
	v_mad_i32_i24 v24, v0, s10, v23
	s_waitcnt lgkmcnt(0)
	ds_write_b128 v24, v[10:13] offset:12544
	ds_read_b128 v[10:13], v23 offset:8592
	s_waitcnt lgkmcnt(0)
	ds_write_b128 v24, v[10:13] offset:13056
	ds_read_b128 v[10:13], v23 offset:8608
	;; [unrolled: 3-line block ×7, first 2 shown]
	s_waitcnt lgkmcnt(0)
	ds_write_b128 v24, v[10:13] offset:16128
.LBB93_398:
	s_or_b64 exec, exec, s[8:9]
	s_waitcnt lgkmcnt(0)
	s_barrier
	s_and_saveexec_b64 s[8:9], vcc
	s_cbranch_execz .LBB93_400
; %bb.399:
	s_mov_b32 s12, 0
	v_mov_b32_e32 v27, 0
	ds_read_b128 v[10:13], v27 offset:12688
	s_mov_b32 s15, s12
	s_mov_b32 s13, 0x3ff00000
	s_mov_b32 s14, s12
	v_mov_b32_e32 v26, s15
	v_mov_b32_e32 v25, s14
	;; [unrolled: 1-line block ×4, first 2 shown]
	ds_write_b128 v27, v[23:26] offset:12672
	ds_write_b128 v27, v[23:26] offset:13200
	s_waitcnt lgkmcnt(2)
	ds_write_b128 v27, v[10:13] offset:13184
.LBB93_400:
	s_or_b64 exec, exec, s[8:9]
	v_mov_b32_e32 v12, 0
	v_mov_b32_e32 v10, 0
	;; [unrolled: 1-line block ×4, first 2 shown]
	s_waitcnt lgkmcnt(0)
	s_barrier
	s_and_saveexec_b64 s[10:11], s[2:3]
	s_cbranch_execz .LBB93_404
; %bb.401:
	v_mul_u32_u24_e32 v10, 0x210, v16
	ds_read_b128 v[10:13], v10 offset:12672
	ds_read_b128 v[23:26], v14 offset:12704
	v_cmp_gt_u32_e64 s[8:9], 2, v22
	s_waitcnt lgkmcnt(0)
	v_mul_f64 v[27:28], v[12:13], v[25:26]
	v_mul_f64 v[25:26], v[10:11], v[25:26]
	v_fma_f64 v[10:11], v[10:11], v[23:24], -v[27:28]
	v_fma_f64 v[12:13], v[12:13], v[23:24], v[25:26]
	v_add_f64 v[10:11], v[10:11], 0
	v_add_f64 v[12:13], v[12:13], 0
	s_and_saveexec_b64 s[12:13], s[8:9]
	s_cbranch_execz .LBB93_403
; %bb.402:
	v_lshlrev_b32_e32 v27, 4, v0
	v_mov_b32_e32 v23, 0
	ds_read_b128 v[23:26], v23 offset:12688
	ds_read_b128 v[27:30], v27 offset:13216
	s_waitcnt lgkmcnt(0)
	v_mul_f64 v[31:32], v[25:26], v[29:30]
	v_mul_f64 v[29:30], v[23:24], v[29:30]
	v_fma_f64 v[23:24], v[23:24], v[27:28], -v[31:32]
	v_fma_f64 v[25:26], v[25:26], v[27:28], v[29:30]
	v_add_f64 v[10:11], v[10:11], v[23:24]
	v_add_f64 v[12:13], v[12:13], v[25:26]
.LBB93_403:
	s_or_b64 exec, exec, s[12:13]
	v_xor_b32_e32 v11, 0x80000000, v11
	v_xor_b32_e32 v13, 0x80000000, v13
.LBB93_404:
	s_or_b64 exec, exec, s[10:11]
	s_and_saveexec_b64 s[8:9], s[40:41]
; %bb.405:
	ds_write_b128 v15, v[10:13]
; %bb.406:
	s_or_b64 exec, exec, s[8:9]
	s_waitcnt lgkmcnt(0)
	s_barrier
	s_and_saveexec_b64 s[8:9], s[38:39]
	s_cbranch_execz .LBB93_408
; %bb.407:
	v_mov_b32_e32 v27, 0
	ds_read_b128 v[23:26], v15
	ds_read_b128 v[27:30], v27 offset:13744
	s_waitcnt lgkmcnt(0)
	v_mul_f64 v[31:32], v[25:26], v[29:30]
	v_mul_f64 v[29:30], v[23:24], v[29:30]
	v_fma_f64 v[23:24], v[23:24], v[27:28], -v[31:32]
	v_fma_f64 v[25:26], v[25:26], v[27:28], v[29:30]
	v_add_f64 v[10:11], v[10:11], v[23:24]
	v_add_f64 v[12:13], v[12:13], v[25:26]
.LBB93_408:
	s_or_b64 exec, exec, s[8:9]
	s_barrier
	s_and_saveexec_b64 s[8:9], s[38:39]
; %bb.409:
	ds_write_b128 v15, v[10:13]
; %bb.410:
	s_or_b64 exec, exec, s[8:9]
	s_waitcnt lgkmcnt(0)
	s_barrier
	s_barrier
	s_and_saveexec_b64 s[8:9], s[2:3]
; %bb.411:
	v_xor_b32_e32 v11, 0x80000000, v11
	v_xor_b32_e32 v13, 0x80000000, v13
	ds_write_b128 v14, v[10:13] offset:12704
; %bb.412:
	s_or_b64 exec, exec, s[8:9]
	s_waitcnt lgkmcnt(0)
	s_barrier
	s_barrier
	s_and_saveexec_b64 s[8:9], s[42:43]
	s_cbranch_execz .LBB93_414
; %bb.413:
	v_lshlrev_b32_e32 v23, 9, v0
	ds_read_b128 v[10:13], v23 offset:12704
	s_movk_i32 s10, 0xfe10
	v_mad_i32_i24 v24, v0, s10, v23
	s_waitcnt lgkmcnt(0)
	ds_write_b128 v24, v[10:13] offset:13696
	ds_read_b128 v[10:13], v23 offset:12720
	s_waitcnt lgkmcnt(0)
	ds_write_b128 v24, v[10:13] offset:14208
.LBB93_414:
	s_or_b64 exec, exec, s[8:9]
	s_waitcnt lgkmcnt(0)
	s_barrier
	s_and_saveexec_b64 s[8:9], vcc
	s_cbranch_execz .LBB93_416
; %bb.415:
	s_mov_b32 s12, 0
	v_mov_b32_e32 v27, 0
	ds_read_b128 v[10:13], v27 offset:13744
	s_mov_b32 s15, s12
	s_mov_b32 s13, 0x3ff00000
	;; [unrolled: 1-line block ×3, first 2 shown]
	v_mov_b32_e32 v26, s15
	v_mov_b32_e32 v25, s14
	;; [unrolled: 1-line block ×4, first 2 shown]
	ds_write_b128 v27, v[23:26] offset:13728
	ds_write_b128 v27, v[23:26] offset:14256
	s_waitcnt lgkmcnt(2)
	ds_write_b128 v27, v[10:13] offset:14240
.LBB93_416:
	s_or_b64 exec, exec, s[8:9]
	v_mov_b32_e32 v12, 0
	v_mov_b32_e32 v10, 0
	;; [unrolled: 1-line block ×4, first 2 shown]
	s_waitcnt lgkmcnt(0)
	s_barrier
	s_and_saveexec_b64 s[10:11], s[16:17]
	s_cbranch_execz .LBB93_422
; %bb.417:
	v_mul_u32_u24_e32 v23, 0x210, v21
	ds_read_b128 v[10:13], v23 offset:12672
	ds_read_b128 v[24:27], v17 offset:12736
	v_cmp_gt_u32_e64 s[8:9], 12, v22
	s_waitcnt lgkmcnt(0)
	v_mul_f64 v[28:29], v[12:13], v[26:27]
	v_mul_f64 v[26:27], v[10:11], v[26:27]
	v_fma_f64 v[10:11], v[10:11], v[24:25], -v[28:29]
	v_fma_f64 v[12:13], v[12:13], v[24:25], v[26:27]
	v_add_f64 v[10:11], v[10:11], 0
	v_add_f64 v[12:13], v[12:13], 0
	s_and_saveexec_b64 s[12:13], s[8:9]
	s_cbranch_execnz .LBB93_539
; %bb.418:
	s_or_b64 exec, exec, s[12:13]
	v_cmp_gt_u32_e64 s[8:9], 8, v22
	s_and_saveexec_b64 s[12:13], s[8:9]
	s_cbranch_execnz .LBB93_540
.LBB93_419:
	s_or_b64 exec, exec, s[12:13]
	v_cmp_gt_u32_e64 s[8:9], 4, v22
	s_and_saveexec_b64 s[12:13], s[8:9]
	s_cbranch_execz .LBB93_421
.LBB93_420:
	v_mov_b32_e32 v21, 0
	v_lshlrev_b32_e32 v20, 4, v0
	ds_read_b128 v[23:26], v21 offset:12720
	ds_read_b128 v[27:30], v20 offset:14272
	s_waitcnt lgkmcnt(0)
	v_mul_f64 v[20:21], v[25:26], v[29:30]
	v_mul_f64 v[29:30], v[23:24], v[29:30]
	v_fma_f64 v[20:21], v[23:24], v[27:28], -v[20:21]
	v_fma_f64 v[23:24], v[25:26], v[27:28], v[29:30]
	v_add_f64 v[10:11], v[10:11], v[20:21]
	v_add_f64 v[12:13], v[12:13], v[23:24]
.LBB93_421:
	s_or_b64 exec, exec, s[12:13]
	v_xor_b32_e32 v11, 0x80000000, v11
	v_xor_b32_e32 v13, 0x80000000, v13
.LBB93_422:
	s_or_b64 exec, exec, s[10:11]
	s_and_saveexec_b64 s[8:9], s[46:47]
; %bb.423:
	ds_write_b128 v19, v[10:13]
; %bb.424:
	s_or_b64 exec, exec, s[8:9]
	s_waitcnt lgkmcnt(0)
	s_barrier
	s_and_saveexec_b64 s[8:9], s[48:49]
	s_cbranch_execz .LBB93_426
; %bb.425:
	ds_read_b128 v[23:26], v19
	ds_read_b128 v[27:30], v18 offset:14784
	s_waitcnt lgkmcnt(0)
	v_mul_f64 v[20:21], v[25:26], v[29:30]
	v_mul_f64 v[29:30], v[23:24], v[29:30]
	v_fma_f64 v[20:21], v[23:24], v[27:28], -v[20:21]
	v_fma_f64 v[23:24], v[25:26], v[27:28], v[29:30]
	v_add_f64 v[10:11], v[10:11], v[20:21]
	v_add_f64 v[12:13], v[12:13], v[23:24]
.LBB93_426:
	s_or_b64 exec, exec, s[8:9]
	s_barrier
	s_and_saveexec_b64 s[8:9], s[50:51]
; %bb.427:
	ds_write_b128 v19, v[10:13]
; %bb.428:
	s_or_b64 exec, exec, s[8:9]
	s_waitcnt lgkmcnt(0)
	s_barrier
	s_and_saveexec_b64 s[8:9], s[52:53]
	s_cbranch_execz .LBB93_430
; %bb.429:
	ds_read_b128 v[23:26], v19
	ds_read_b128 v[27:30], v18 offset:15296
	s_waitcnt lgkmcnt(0)
	v_mul_f64 v[20:21], v[25:26], v[29:30]
	v_mul_f64 v[29:30], v[23:24], v[29:30]
	v_fma_f64 v[20:21], v[23:24], v[27:28], -v[20:21]
	v_fma_f64 v[23:24], v[25:26], v[27:28], v[29:30]
	v_add_f64 v[10:11], v[10:11], v[20:21]
	v_add_f64 v[12:13], v[12:13], v[23:24]
.LBB93_430:
	s_or_b64 exec, exec, s[8:9]
	s_barrier
	s_and_saveexec_b64 s[8:9], s[54:55]
; %bb.431:
	ds_write_b128 v19, v[10:13]
; %bb.432:
	s_or_b64 exec, exec, s[8:9]
	s_waitcnt lgkmcnt(0)
	s_barrier
	s_and_saveexec_b64 s[8:9], s[44:45]
	s_cbranch_execz .LBB93_434
; %bb.433:
	v_mov_b32_e32 v18, 0
	ds_read_b128 v[23:26], v19
	ds_read_b128 v[27:30], v18 offset:15856
	s_waitcnt lgkmcnt(0)
	v_mul_f64 v[20:21], v[25:26], v[29:30]
	v_mul_f64 v[29:30], v[23:24], v[29:30]
	v_fma_f64 v[20:21], v[23:24], v[27:28], -v[20:21]
	v_fma_f64 v[23:24], v[25:26], v[27:28], v[29:30]
	v_add_f64 v[10:11], v[10:11], v[20:21]
	v_add_f64 v[12:13], v[12:13], v[23:24]
.LBB93_434:
	s_or_b64 exec, exec, s[8:9]
	s_barrier
	s_and_saveexec_b64 s[8:9], s[44:45]
; %bb.435:
	ds_write_b128 v19, v[10:13]
; %bb.436:
	s_or_b64 exec, exec, s[8:9]
	s_waitcnt lgkmcnt(0)
	s_barrier
	s_barrier
	s_and_saveexec_b64 s[8:9], s[16:17]
; %bb.437:
	v_xor_b32_e32 v13, 0x80000000, v13
	v_xor_b32_e32 v11, 0x80000000, v11
	ds_write_b128 v17, v[10:13] offset:12736
; %bb.438:
	s_or_b64 exec, exec, s[8:9]
	s_waitcnt lgkmcnt(0)
	s_barrier
	s_barrier
	s_and_saveexec_b64 s[8:9], s[56:57]
	s_cbranch_execz .LBB93_440
; %bb.439:
	v_lshlrev_b32_e32 v17, 4, v0
	s_movk_i32 s10, 0x1f0
	v_mad_u32_u24 v18, v0, s10, v17
	ds_read_b128 v[10:13], v18 offset:12736
	s_waitcnt lgkmcnt(0)
	ds_write_b128 v17, v[10:13] offset:14720
	ds_read_b128 v[10:13], v18 offset:12752
	s_waitcnt lgkmcnt(0)
	ds_write_b128 v17, v[10:13] offset:15232
	;; [unrolled: 3-line block ×4, first 2 shown]
.LBB93_440:
	s_or_b64 exec, exec, s[8:9]
	s_waitcnt lgkmcnt(0)
	s_barrier
	s_and_saveexec_b64 s[8:9], vcc
	s_cbranch_execz .LBB93_442
; %bb.441:
	s_mov_b32 s12, 0
	v_mov_b32_e32 v21, 0
	ds_read_b128 v[10:13], v21 offset:14800
	s_mov_b32 s15, s12
	s_mov_b32 s13, 0x3ff00000
	;; [unrolled: 1-line block ×3, first 2 shown]
	v_mov_b32_e32 v20, s15
	v_mov_b32_e32 v19, s14
	;; [unrolled: 1-line block ×4, first 2 shown]
	ds_write_b128 v21, v[17:20] offset:14784
	ds_write_b128 v21, v[17:20] offset:15312
	s_waitcnt lgkmcnt(2)
	ds_write_b128 v21, v[10:13] offset:15296
.LBB93_442:
	s_or_b64 exec, exec, s[8:9]
	v_mov_b32_e32 v12, 0
	v_mov_b32_e32 v10, 0
	;; [unrolled: 1-line block ×4, first 2 shown]
	s_waitcnt lgkmcnt(0)
	s_barrier
	s_and_saveexec_b64 s[10:11], s[2:3]
	s_cbranch_execz .LBB93_446
; %bb.443:
	v_mul_u32_u24_e32 v10, 0x210, v16
	ds_read_b128 v[10:13], v10 offset:14784
	ds_read_b128 v[16:19], v14 offset:14816
	v_cmp_gt_u32_e64 s[8:9], 2, v22
	s_waitcnt lgkmcnt(0)
	v_mul_f64 v[20:21], v[12:13], v[18:19]
	v_mul_f64 v[18:19], v[10:11], v[18:19]
	v_fma_f64 v[10:11], v[10:11], v[16:17], -v[20:21]
	v_fma_f64 v[12:13], v[12:13], v[16:17], v[18:19]
	v_add_f64 v[10:11], v[10:11], 0
	v_add_f64 v[12:13], v[12:13], 0
	s_and_saveexec_b64 s[12:13], s[8:9]
	s_cbranch_execz .LBB93_445
; %bb.444:
	v_mov_b32_e32 v16, 0
	v_lshlrev_b32_e32 v20, 4, v0
	ds_read_b128 v[16:19], v16 offset:14800
	ds_read_b128 v[23:26], v20 offset:15328
	s_waitcnt lgkmcnt(0)
	v_mul_f64 v[20:21], v[18:19], v[25:26]
	v_mul_f64 v[25:26], v[16:17], v[25:26]
	v_fma_f64 v[16:17], v[16:17], v[23:24], -v[20:21]
	v_fma_f64 v[18:19], v[18:19], v[23:24], v[25:26]
	v_add_f64 v[10:11], v[10:11], v[16:17]
	v_add_f64 v[12:13], v[12:13], v[18:19]
.LBB93_445:
	s_or_b64 exec, exec, s[12:13]
	v_xor_b32_e32 v11, 0x80000000, v11
	v_xor_b32_e32 v13, 0x80000000, v13
.LBB93_446:
	s_or_b64 exec, exec, s[10:11]
	s_and_saveexec_b64 s[8:9], s[40:41]
; %bb.447:
	ds_write_b128 v15, v[10:13]
; %bb.448:
	s_or_b64 exec, exec, s[8:9]
	s_waitcnt lgkmcnt(0)
	s_barrier
	s_and_saveexec_b64 s[8:9], s[38:39]
	s_cbranch_execz .LBB93_450
; %bb.449:
	v_mov_b32_e32 v20, 0
	ds_read_b128 v[16:19], v15
	ds_read_b128 v[23:26], v20 offset:15856
	s_waitcnt lgkmcnt(0)
	v_mul_f64 v[20:21], v[18:19], v[25:26]
	v_mul_f64 v[25:26], v[16:17], v[25:26]
	v_fma_f64 v[16:17], v[16:17], v[23:24], -v[20:21]
	v_fma_f64 v[18:19], v[18:19], v[23:24], v[25:26]
	v_add_f64 v[10:11], v[10:11], v[16:17]
	v_add_f64 v[12:13], v[12:13], v[18:19]
.LBB93_450:
	s_or_b64 exec, exec, s[8:9]
	s_barrier
	s_and_saveexec_b64 s[8:9], s[38:39]
; %bb.451:
	ds_write_b128 v15, v[10:13]
; %bb.452:
	s_or_b64 exec, exec, s[8:9]
	s_waitcnt lgkmcnt(0)
	s_barrier
	s_barrier
	s_and_saveexec_b64 s[8:9], s[2:3]
; %bb.453:
	v_xor_b32_e32 v11, 0x80000000, v11
	v_xor_b32_e32 v13, 0x80000000, v13
	ds_write_b128 v14, v[10:13] offset:14816
; %bb.454:
	s_or_b64 exec, exec, s[8:9]
	s_waitcnt lgkmcnt(0)
	s_barrier
	s_barrier
	s_and_saveexec_b64 s[2:3], s[42:43]
	s_cbranch_execz .LBB93_456
; %bb.455:
	v_lshlrev_b32_e32 v14, 9, v0
	ds_read_b128 v[10:13], v14 offset:14816
	s_movk_i32 s8, 0xfe10
	v_mad_i32_i24 v15, v0, s8, v14
	s_waitcnt lgkmcnt(0)
	ds_write_b128 v15, v[10:13] offset:15808
	ds_read_b128 v[10:13], v14 offset:14832
	s_waitcnt lgkmcnt(0)
	ds_write_b128 v15, v[10:13] offset:16320
.LBB93_456:
	s_or_b64 exec, exec, s[2:3]
	s_waitcnt lgkmcnt(0)
	s_barrier
	s_and_saveexec_b64 s[2:3], vcc
	s_cbranch_execz .LBB93_458
; %bb.457:
	s_mov_b32 s8, 0
	v_mov_b32_e32 v18, 0
	ds_read_b128 v[10:13], v18 offset:15856
	s_mov_b32 s11, s8
	s_mov_b32 s9, 0x3ff00000
	s_mov_b32 s10, s8
	v_mov_b32_e32 v17, s11
	v_mov_b32_e32 v16, s10
	;; [unrolled: 1-line block ×4, first 2 shown]
	ds_write_b128 v18, v[14:17] offset:15840
	ds_write_b128 v18, v[14:17] offset:16368
	s_waitcnt lgkmcnt(2)
	ds_write_b128 v18, v[10:13] offset:16352
.LBB93_458:
	s_or_b64 exec, exec, s[2:3]
.LBB93_459:
	s_load_dwordx4 s[16:19], s[4:5], 0x48
	s_load_dwordx2 s[14:15], s[4:5], 0x58
	v_cmp_le_i32_e32 vcc, s92, v0
	v_mov_b32_e32 v10, 0
	v_mov_b32_e32 v11, 0
	s_waitcnt lgkmcnt(0)
	s_mul_i32 s3, s19, s34
	s_mul_hi_u32 s4, s18, s34
	s_mul_i32 s2, s18, s34
	s_add_i32 s3, s4, s3
	s_lshl_b64 s[2:3], s[2:3], 4
	s_add_u32 s4, s28, s2
	s_addc_u32 s5, s29, s3
	s_lshl_b64 s[2:3], s[30:31], 4
	s_add_u32 s28, s4, s2
	s_addc_u32 s29, s5, s3
	s_and_b64 s[18:19], vcc, s[22:23]
	v_cmp_eq_u32_e64 s[2:3], 0, v1
	s_xor_b64 s[4:5], s[18:19], -1
	v_mov_b32_e32 v13, v11
	s_and_b64 s[8:9], s[2:3], s[4:5]
	v_lshl_add_u32 v15, s33, 5, v0
	v_mov_b32_e32 v12, v10
	s_barrier
	s_and_saveexec_b64 s[4:5], s[8:9]
	s_cbranch_execz .LBB93_461
; %bb.460:
	v_ashrrev_i32_e32 v12, 31, v15
	v_mul_lo_u32 v13, s17, v15
	v_mad_u64_u32 v[10:11], s[8:9], s16, v15, 0
	v_mul_lo_u32 v12, s16, v12
	v_add3_u32 v11, v11, v12, v13
	v_lshlrev_b64 v[10:11], 4, v[10:11]
	v_mov_b32_e32 v12, s29
	v_add_co_u32_e32 v10, vcc, s28, v10
	v_addc_co_u32_e32 v11, vcc, v12, v11, vcc
	global_load_dwordx4 v[16:19], v[10:11], off
	s_waitcnt vmcnt(0)
	v_mul_f64 v[10:11], s[24:25], v[16:17]
	v_mul_f64 v[12:13], s[24:25], v[18:19]
	v_fma_f64 v[10:11], s[26:27], v[18:19], -v[10:11]
	v_fma_f64 v[12:13], v[16:17], -s[26:27], -v[12:13]
.LBB93_461:
	s_or_b64 exec, exec, s[4:5]
	s_and_b32 s4, 0xffff, s95
	v_mad_u32_u24 v23, v1, s4, v0
	v_mov_b32_e32 v14, 0
	s_cmp_lt_i32 s6, 1
	v_cmp_eq_u32_e64 s[4:5], 0, v23
	s_cbranch_scc1 .LBB93_484
; %bb.462:
	v_ashrrev_i32_e32 v18, 31, v15
	v_mul_lo_u32 v19, s21, v15
	v_mad_u64_u32 v[16:17], s[8:9], s20, v15, 0
	v_mul_lo_u32 v18, s20, v18
	s_lshl_b64 s[8:9], s[34:35], 2
	s_add_u32 s20, s14, s8
	s_addc_u32 s21, s15, s9
	v_add3_u32 v17, v17, v18, v19
	v_cmp_gt_i32_e64 s[8:9], s36, v15
	v_lshlrev_b64 v[15:16], 4, v[16:17]
	v_mov_b32_e32 v18, 0x6000
	v_mov_b32_e32 v17, s94
	v_add_co_u32_e32 v26, vcc, s93, v15
	s_mov_b32 s26, 0
	v_cmp_gt_u32_e64 s[12:13], 32, v23
	v_lshl_add_u32 v24, v23, 4, v18
	v_lshl_or_b32 v25, v1, 4, v18
	s_add_i32 s27, s33, 1
	v_addc_co_u32_e32 v27, vcc, v17, v16, vcc
	v_mov_b32_e32 v28, -1
	s_branch .LBB93_465
.LBB93_463:                             ;   in Loop: Header=BB93_465 Depth=1
	ds_read_b128 v[29:32], v25 offset:256
	s_waitcnt vmcnt(0) lgkmcnt(0)
	v_mul_f64 v[15:16], v[19:20], v[31:32]
	v_mul_f64 v[19:20], v[19:20], v[29:30]
	v_fma_f64 v[15:16], v[17:18], v[29:30], v[15:16]
	v_fma_f64 v[17:18], v[17:18], v[31:32], -v[19:20]
	v_add_f64 v[10:11], v[10:11], v[15:16]
	v_add_f64 v[12:13], v[12:13], v[17:18]
.LBB93_464:                             ;   in Loop: Header=BB93_465 Depth=1
	s_or_b64 exec, exec, s[24:25]
	s_add_i32 s26, s26, 1
	s_cmp_eq_u32 s26, s6
	s_cbranch_scc1 .LBB93_484
.LBB93_465:                             ; =>This Loop Header: Depth=1
                                        ;     Child Loop BB93_467 Depth 2
	v_cmp_gt_i32_e32 vcc, s26, v28
	s_and_b64 s[24:25], s[4:5], vcc
	s_and_saveexec_b64 s[10:11], s[24:25]
	s_cbranch_execz .LBB93_468
; %bb.466:                              ;   in Loop: Header=BB93_465 Depth=1
	global_load_dword v28, v14, s[20:21]
	s_waitcnt vmcnt(0)
	v_cmp_le_i32_e32 vcc, s26, v28
	s_cbranch_vccnz .LBB93_468
.LBB93_467:                             ;   Parent Loop BB93_465 Depth=1
                                        ; =>  This Inner Loop Header: Depth=2
	buffer_wbinvl1_vol
	global_load_dword v28, v14, s[20:21]
	s_waitcnt vmcnt(0)
	v_cmp_gt_i32_e32 vcc, s26, v28
	s_cbranch_vccnz .LBB93_467
.LBB93_468:                             ;   in Loop: Header=BB93_465 Depth=1
	s_or_b64 exec, exec, s[10:11]
	s_sub_i32 s30, s7, s26
	s_lshl_b32 s31, s30, 5
	buffer_wbinvl1_vol
	s_barrier
	s_and_saveexec_b64 s[10:11], s[12:13]
	s_cbranch_execz .LBB93_473
; %bb.469:                              ;   in Loop: Header=BB93_465 Depth=1
	s_ashr_i32 s24, s31, 31
	v_mov_b32_e32 v16, s24
	v_or_b32_e32 v15, s31, v23
	v_cmp_le_i64_e32 vcc, s[36:37], v[15:16]
	s_and_saveexec_b64 s[24:25], vcc
	s_xor_b64 s[24:25], exec, s[24:25]
; %bb.470:                              ;   in Loop: Header=BB93_465 Depth=1
	v_mov_b32_e32 v15, v14
	v_mov_b32_e32 v16, v14
	;; [unrolled: 1-line block ×3, first 2 shown]
	ds_write_b128 v24, v[14:17]
                                        ; implicit-def: $vgpr15_vgpr16
; %bb.471:                              ;   in Loop: Header=BB93_465 Depth=1
	s_andn2_saveexec_b64 s[24:25], s[24:25]
	s_cbranch_execz .LBB93_473
; %bb.472:                              ;   in Loop: Header=BB93_465 Depth=1
	v_mul_lo_u32 v17, v16, s16
	v_mul_lo_u32 v18, v15, s17
	v_mad_u64_u32 v[15:16], s[24:25], v15, s16, 0
	v_add3_u32 v16, v16, v18, v17
	v_lshlrev_b64 v[15:16], 4, v[15:16]
	v_mov_b32_e32 v17, s29
	v_add_co_u32_e32 v15, vcc, s28, v15
	v_addc_co_u32_e32 v16, vcc, v17, v16, vcc
	global_load_dwordx4 v[15:18], v[15:16], off
	s_waitcnt vmcnt(0)
	ds_write2_b64 v24, v[15:16], v[17:18] offset1:1
.LBB93_473:                             ;   in Loop: Header=BB93_465 Depth=1
	s_or_b64 exec, exec, s[10:11]
	v_add_u32_e32 v17, s31, v1
	v_ashrrev_i32_e32 v18, 31, v17
	v_lshlrev_b64 v[15:16], 4, v[17:18]
	s_cmp_lg_u32 s30, s27
	v_add_co_u32_e32 v15, vcc, v26, v15
	s_cselect_b64 s[10:11], -1, 0
	v_addc_co_u32_e32 v16, vcc, v27, v16, vcc
	v_cmp_gt_i32_e32 vcc, s36, v17
	v_cndmask_b32_e64 v18, 0, 1, s[10:11]
	s_and_b64 s[30:31], vcc, s[8:9]
	v_cmp_ne_u32_e64 s[10:11], 1, v18
	s_waitcnt lgkmcnt(0)
	s_barrier
	s_and_saveexec_b64 s[24:25], s[30:31]
	s_cbranch_execz .LBB93_479
; %bb.474:                              ;   in Loop: Header=BB93_465 Depth=1
	v_mov_b32_e32 v19, v7
	s_and_b64 vcc, exec, s[10:11]
	v_mov_b32_e32 v18, v6
	s_cbranch_vccnz .LBB93_476
; %bb.475:                              ;   in Loop: Header=BB93_465 Depth=1
	global_load_dwordx2 v[18:19], v[15:16], off
.LBB93_476:                             ;   in Loop: Header=BB93_465 Depth=1
	v_mov_b32_e32 v21, v9
	s_and_b64 vcc, exec, s[10:11]
	v_mov_b32_e32 v20, v8
	s_cbranch_vccnz .LBB93_478
; %bb.477:                              ;   in Loop: Header=BB93_465 Depth=1
	global_load_dwordx2 v[20:21], v[15:16], off offset:8
.LBB93_478:                             ;   in Loop: Header=BB93_465 Depth=1
	ds_read_b128 v[29:32], v25
	s_waitcnt vmcnt(0) lgkmcnt(0)
	v_mul_f64 v[33:34], v[20:21], v[31:32]
	v_mul_f64 v[20:21], v[20:21], v[29:30]
	v_fma_f64 v[29:30], v[18:19], v[29:30], v[33:34]
	v_fma_f64 v[18:19], v[18:19], v[31:32], -v[20:21]
	v_add_f64 v[10:11], v[10:11], v[29:30]
	v_add_f64 v[12:13], v[12:13], v[18:19]
.LBB93_479:                             ;   in Loop: Header=BB93_465 Depth=1
	s_or_b64 exec, exec, s[24:25]
	v_add_u32_e32 v17, 16, v17
	v_cmp_gt_i32_e32 vcc, s36, v17
	s_and_b64 s[30:31], vcc, s[8:9]
	s_and_saveexec_b64 s[24:25], s[30:31]
	s_cbranch_execz .LBB93_464
; %bb.480:                              ;   in Loop: Header=BB93_465 Depth=1
	v_mov_b32_e32 v18, v3
	s_and_b64 vcc, exec, s[10:11]
	v_mov_b32_e32 v17, v2
	s_cbranch_vccnz .LBB93_482
; %bb.481:                              ;   in Loop: Header=BB93_465 Depth=1
	global_load_dwordx2 v[17:18], v[15:16], off offset:256
.LBB93_482:                             ;   in Loop: Header=BB93_465 Depth=1
	v_mov_b32_e32 v20, v5
	s_and_b64 vcc, exec, s[10:11]
	v_mov_b32_e32 v19, v4
	s_cbranch_vccnz .LBB93_463
; %bb.483:                              ;   in Loop: Header=BB93_465 Depth=1
	global_load_dwordx2 v[19:20], v[15:16], off offset:264
	s_branch .LBB93_463
.LBB93_484:
	s_xor_b64 s[4:5], s[22:23], -1
	v_lshlrev_b32_e32 v6, 4, v22
	ds_write_b128 v6, v[10:13] offset:16384
	s_waitcnt lgkmcnt(0)
	s_barrier
	s_and_saveexec_b64 s[6:7], s[2:3]
	s_cbranch_execz .LBB93_486
; %bb.485:
	v_lshlrev_b32_e32 v18, 4, v0
	ds_read_b128 v[2:5], v18 offset:16896
	ds_read_b128 v[14:17], v18 offset:17408
	s_waitcnt lgkmcnt(1)
	v_add_f64 v[2:3], v[10:11], v[2:3]
	v_add_f64 v[4:5], v[12:13], v[4:5]
	s_waitcnt lgkmcnt(0)
	v_add_f64 v[11:12], v[2:3], v[14:15]
	v_add_f64 v[13:14], v[4:5], v[16:17]
	ds_read_b128 v[2:5], v18 offset:17920
	ds_read_b128 v[7:10], v18 offset:18432
	s_waitcnt lgkmcnt(1)
	v_add_f64 v[2:3], v[11:12], v[2:3]
	v_add_f64 v[4:5], v[13:14], v[4:5]
	s_waitcnt lgkmcnt(0)
	v_add_f64 v[11:12], v[2:3], v[7:8]
	v_add_f64 v[13:14], v[4:5], v[9:10]
	;; [unrolled: 8-line block ×7, first 2 shown]
	ds_read_b128 v[2:5], v18 offset:24064
	s_waitcnt lgkmcnt(0)
	v_add_f64 v[2:3], v[7:8], v[2:3]
	v_add_f64 v[4:5], v[9:10], v[4:5]
	v_xor_b32_e32 v3, 0x80000000, v3
	v_xor_b32_e32 v5, 0x80000000, v5
	v_cndmask_b32_e64 v10, v2, 0, s[18:19]
	v_cndmask_b32_e64 v11, v3, 0, s[18:19]
	v_cndmask_b32_e64 v13, v5, 0, s[18:19]
	v_cndmask_b32_e64 v12, v4, 0, s[18:19]
.LBB93_486:
	s_or_b64 exec, exec, s[6:7]
	s_and_b64 vcc, exec, s[0:1]
	s_cbranch_vccnz .LBB93_495
; %bb.487:
	v_mov_b32_e32 v2, 0x6000
	v_lshl_or_b32 v7, v1, 4, v2
	s_and_saveexec_b64 s[0:1], s[2:3]
; %bb.488:
	v_lshl_add_u32 v2, v0, 4, v7
	ds_write_b128 v2, v[10:13]
; %bb.489:
	s_or_b64 exec, exec, s[0:1]
	v_mov_b32_e32 v2, 0
	v_mov_b32_e32 v4, 0
	;; [unrolled: 1-line block ×4, first 2 shown]
	v_cmp_le_u32_e32 vcc, v0, v1
	s_waitcnt lgkmcnt(0)
	s_barrier
	s_and_saveexec_b64 s[0:1], vcc
	s_cbranch_execz .LBB93_491
; %bb.490:
	ds_read_b128 v[2:5], v7
	ds_read_b128 v[14:17], v6
	s_waitcnt lgkmcnt(0)
	v_mul_f64 v[8:9], v[4:5], v[16:17]
	v_mul_f64 v[16:17], v[2:3], v[16:17]
	v_fma_f64 v[2:3], v[2:3], v[14:15], -v[8:9]
	v_fma_f64 v[4:5], v[4:5], v[14:15], v[16:17]
	v_add_f64 v[2:3], v[2:3], 0
	v_add_f64 v[4:5], v[4:5], 0
.LBB93_491:
	s_or_b64 exec, exec, s[0:1]
	v_add_u32_e32 v1, 16, v1
	v_add_u32_e32 v8, 0x4000, v6
	v_cmp_le_u32_e32 vcc, v0, v1
	s_and_saveexec_b64 s[0:1], vcc
	s_cbranch_execz .LBB93_493
; %bb.492:
	ds_read_b128 v[14:17], v7 offset:256
	ds_read_b128 v[18:21], v6 offset:8192
	s_waitcnt lgkmcnt(0)
	v_mul_f64 v[6:7], v[16:17], v[20:21]
	v_mul_f64 v[20:21], v[14:15], v[20:21]
	v_fma_f64 v[6:7], v[14:15], v[18:19], -v[6:7]
	v_fma_f64 v[14:15], v[16:17], v[18:19], v[20:21]
	v_add_f64 v[2:3], v[2:3], v[6:7]
	v_add_f64 v[4:5], v[4:5], v[14:15]
.LBB93_493:
	s_or_b64 exec, exec, s[0:1]
	s_mov_b64 s[6:7], 0
	s_mov_b64 s[0:1], 0
	ds_write_b128 v8, v[2:5]
	s_waitcnt lgkmcnt(0)
	s_barrier
                                        ; implicit-def: $vgpr6_vgpr7
                                        ; implicit-def: $vgpr8_vgpr9
	s_and_saveexec_b64 s[8:9], s[2:3]
	s_cbranch_execz .LBB93_513
; %bb.494:
	v_lshlrev_b32_e32 v18, 4, v0
	ds_read_b128 v[6:9], v18 offset:16896
	ds_read_b128 v[14:17], v18 offset:17408
	s_mov_b64 s[0:1], exec
	s_waitcnt lgkmcnt(1)
	v_add_f64 v[1:2], v[2:3], v[6:7]
	v_add_f64 v[3:4], v[4:5], v[8:9]
	s_waitcnt lgkmcnt(0)
	v_add_f64 v[14:15], v[1:2], v[14:15]
	v_add_f64 v[16:17], v[3:4], v[16:17]
	ds_read_b128 v[1:4], v18 offset:17920
	ds_read_b128 v[5:8], v18 offset:18432
	s_waitcnt lgkmcnt(1)
	v_add_f64 v[1:2], v[14:15], v[1:2]
	v_add_f64 v[3:4], v[16:17], v[3:4]
	s_waitcnt lgkmcnt(0)
	v_add_f64 v[14:15], v[1:2], v[5:6]
	v_add_f64 v[16:17], v[3:4], v[7:8]
	ds_read_b128 v[1:4], v18 offset:18944
	ds_read_b128 v[5:8], v18 offset:19456
	;; [unrolled: 8-line block ×6, first 2 shown]
	s_waitcnt lgkmcnt(1)
	v_add_f64 v[1:2], v[14:15], v[1:2]
	v_add_f64 v[3:4], v[16:17], v[3:4]
	s_waitcnt lgkmcnt(0)
	v_add_f64 v[5:6], v[1:2], v[5:6]
	v_add_f64 v[14:15], v[3:4], v[7:8]
	ds_read_b128 v[1:4], v18 offset:24064
	s_waitcnt lgkmcnt(0)
	v_add_f64 v[8:9], v[5:6], v[1:2]
	v_add_f64 v[6:7], v[14:15], v[3:4]
	s_or_b64 exec, exec, s[8:9]
	s_and_b64 vcc, exec, s[6:7]
	s_cbranch_vccnz .LBB93_496
	s_branch .LBB93_514
.LBB93_495:
	s_mov_b64 s[0:1], 0
                                        ; implicit-def: $vgpr6_vgpr7
                                        ; implicit-def: $vgpr8_vgpr9
	s_cbranch_execz .LBB93_514
.LBB93_496:
	v_mov_b32_e32 v1, 0x3c00
	v_lshl_add_u32 v1, v0, 4, v1
	v_mov_b32_e32 v3, 31
	v_mov_b32_e32 v2, 0
	s_branch .LBB93_498
.LBB93_497:                             ;   in Loop: Header=BB93_498 Depth=1
	s_or_b64 exec, exec, s[6:7]
	v_subrev_co_u32_e32 v3, vcc, 1, v3
	s_andn2_b64 vcc, exec, vcc
	v_add_u32_e32 v1, 0xfffffc00, v1
	s_barrier
	s_cbranch_vccz .LBB93_506
.LBB93_498:                             ; =>This Inner Loop Header: Depth=1
	v_cmp_eq_u32_e32 vcc, v0, v3
	s_and_b64 s[8:9], s[2:3], vcc
	s_and_saveexec_b64 s[6:7], s[8:9]
; %bb.499:                              ;   in Loop: Header=BB93_498 Depth=1
	ds_write_b128 v2, v[10:13] offset:25088
; %bb.500:                              ;   in Loop: Header=BB93_498 Depth=1
	s_or_b64 exec, exec, s[6:7]
	v_cmp_lt_u32_e32 vcc, v0, v3
	s_and_b64 s[8:9], s[2:3], vcc
	s_waitcnt lgkmcnt(0)
	s_barrier
	s_and_saveexec_b64 s[6:7], s[8:9]
	s_cbranch_execz .LBB93_502
; %bb.501:                              ;   in Loop: Header=BB93_498 Depth=1
	ds_read_b128 v[4:7], v2 offset:25088
	ds_read_b128 v[14:17], v1 offset:512
	s_waitcnt lgkmcnt(0)
	v_mul_f64 v[8:9], v[6:7], v[16:17]
	v_mul_f64 v[16:17], v[4:5], v[16:17]
	v_fma_f64 v[4:5], v[4:5], v[14:15], -v[8:9]
	v_fma_f64 v[6:7], v[6:7], v[14:15], v[16:17]
	v_add_f64 v[10:11], v[10:11], v[4:5]
	v_add_f64 v[12:13], v[12:13], v[6:7]
.LBB93_502:                             ;   in Loop: Header=BB93_498 Depth=1
	s_or_b64 exec, exec, s[6:7]
	v_add_u32_e32 v3, -1, v3
	v_cmp_eq_u32_e32 vcc, v0, v3
	s_and_b64 s[8:9], s[2:3], vcc
	s_barrier
	s_and_saveexec_b64 s[6:7], s[8:9]
; %bb.503:                              ;   in Loop: Header=BB93_498 Depth=1
	ds_write_b128 v2, v[10:13] offset:25088
; %bb.504:                              ;   in Loop: Header=BB93_498 Depth=1
	s_or_b64 exec, exec, s[6:7]
	v_cmp_lt_u32_e32 vcc, v0, v3
	s_and_b64 s[8:9], s[2:3], vcc
	s_waitcnt lgkmcnt(0)
	s_barrier
	s_and_saveexec_b64 s[6:7], s[8:9]
	s_cbranch_execz .LBB93_497
; %bb.505:                              ;   in Loop: Header=BB93_498 Depth=1
	ds_read_b128 v[4:7], v2 offset:25088
	ds_read_b128 v[14:17], v1
	s_waitcnt lgkmcnt(0)
	v_mul_f64 v[8:9], v[6:7], v[16:17]
	v_mul_f64 v[16:17], v[4:5], v[16:17]
	v_fma_f64 v[4:5], v[4:5], v[14:15], -v[8:9]
	v_fma_f64 v[6:7], v[6:7], v[14:15], v[16:17]
	v_add_f64 v[10:11], v[10:11], v[4:5]
	v_add_f64 v[12:13], v[12:13], v[6:7]
	s_branch .LBB93_497
.LBB93_506:
	s_mov_b64 s[6:7], -1
	s_and_b64 vcc, exec, s[4:5]
	s_cbranch_vccnz .LBB93_515
; %bb.507:
	s_andn2_b64 vcc, exec, s[6:7]
	s_cbranch_vccz .LBB93_516
.LBB93_508:
	s_and_saveexec_b64 s[2:3], s[0:1]
	s_cbranch_execz .LBB93_510
.LBB93_509:
	s_lshl_b32 s0, s33, 5
	s_ashr_i32 s1, s0, 31
	v_mov_b32_e32 v0, s1
	v_add_co_u32_e32 v1, vcc, s0, v23
	v_addc_co_u32_e32 v0, vcc, 0, v0, vcc
	v_mul_lo_u32 v2, v0, s16
	v_mul_lo_u32 v3, v1, s17
	v_mad_u64_u32 v[0:1], s[0:1], v1, s16, 0
	v_add3_u32 v1, v1, v3, v2
	v_lshlrev_b64 v[0:1], 4, v[0:1]
	v_mov_b32_e32 v2, s29
	v_add_co_u32_e32 v0, vcc, s28, v0
	v_addc_co_u32_e32 v1, vcc, v2, v1, vcc
	global_store_dwordx4 v[0:1], v[10:13], off
.LBB93_510:
	s_or_b64 exec, exec, s[2:3]
	v_cmp_eq_u32_e32 vcc, 0, v23
	s_waitcnt vmcnt(0)
	buffer_wbinvl1_vol
	s_barrier
	s_and_saveexec_b64 s[0:1], vcc
	s_cbranch_execz .LBB93_512
; %bb.511:
	s_lshl_b64 s[2:3], s[34:35], 2
	s_add_u32 s2, s14, s2
	s_addc_u32 s3, s15, s3
	v_mov_b32_e32 v0, 0
	global_load_dword v1, v0, s[2:3]
	s_waitcnt vmcnt(0)
	v_add_u32_e32 v1, 1, v1
	global_store_dword v0, v1, s[2:3]
.LBB93_512:
	s_or_b64 exec, exec, s[0:1]
	s_waitcnt vmcnt(0)
	buffer_wbinvl1_vol
	s_endpgm
.LBB93_513:
	s_or_b64 exec, exec, s[8:9]
	s_and_b64 vcc, exec, s[6:7]
	s_cbranch_vccnz .LBB93_496
.LBB93_514:
	v_mov_b32_e32 v13, v7
	v_mov_b32_e32 v11, v9
	;; [unrolled: 1-line block ×4, first 2 shown]
	s_and_saveexec_b64 s[2:3], s[0:1]
	s_cbranch_execnz .LBB93_509
	s_branch .LBB93_510
.LBB93_515:
	s_andn2_b64 s[0:1], s[0:1], exec
	s_and_b64 s[4:5], s[2:3], exec
	s_or_b64 s[0:1], s[0:1], s[4:5]
	s_cbranch_execnz .LBB93_508
.LBB93_516:
	v_cmp_gt_i32_e32 vcc, s92, v0
	s_and_b64 s[2:3], s[2:3], vcc
	s_andn2_b64 s[0:1], s[0:1], exec
	s_and_b64 s[2:3], s[2:3], exec
	s_or_b64 s[0:1], s[0:1], s[2:3]
	s_and_saveexec_b64 s[2:3], s[0:1]
	s_cbranch_execnz .LBB93_509
	s_branch .LBB93_510
.LBB93_517:
	v_lshlrev_b32_e32 v23, 4, v21
	v_sub_u32_e32 v23, v19, v23
	v_lshl_add_u32 v27, v20, 4, v23
	ds_read_b128 v[23:26], v19 offset:16
	ds_read_b128 v[27:30], v27 offset:576
	s_waitcnt lgkmcnt(0)
	v_mul_f64 v[31:32], v[25:26], v[29:30]
	v_mul_f64 v[29:30], v[23:24], v[29:30]
	v_fma_f64 v[23:24], v[23:24], v[27:28], -v[31:32]
	v_fma_f64 v[25:26], v[25:26], v[27:28], v[29:30]
	v_add_f64 v[10:11], v[10:11], v[23:24]
	v_add_f64 v[12:13], v[12:13], v[25:26]
	s_or_b64 exec, exec, s[18:19]
	v_cmp_gt_u32_e64 s[12:13], 8, v22
	s_and_saveexec_b64 s[18:19], s[12:13]
	s_cbranch_execz .LBB93_57
.LBB93_518:
	ds_read_b128 v[23:26], v19 offset:32
	ds_read_b128 v[27:30], v17 offset:1088
	s_waitcnt lgkmcnt(0)
	v_mul_f64 v[31:32], v[25:26], v[29:30]
	v_mul_f64 v[29:30], v[23:24], v[29:30]
	v_fma_f64 v[23:24], v[23:24], v[27:28], -v[31:32]
	v_fma_f64 v[25:26], v[25:26], v[27:28], v[29:30]
	v_add_f64 v[10:11], v[10:11], v[23:24]
	v_add_f64 v[12:13], v[12:13], v[25:26]
	s_or_b64 exec, exec, s[18:19]
	v_cmp_gt_u32_e64 s[12:13], 4, v22
	s_and_saveexec_b64 s[18:19], s[12:13]
	s_cbranch_execnz .LBB93_58
	s_branch .LBB93_59
.LBB93_519:
	v_lshlrev_b32_e32 v28, 4, v27
	v_sub_u32_e32 v28, v25, v28
	v_lshl_add_u32 v32, v26, 4, v28
	ds_read_b128 v[28:31], v25 offset:16
	ds_read_b128 v[32:35], v32 offset:640
	s_waitcnt lgkmcnt(0)
	v_mul_f64 v[36:37], v[30:31], v[34:35]
	v_mul_f64 v[34:35], v[28:29], v[34:35]
	v_fma_f64 v[28:29], v[28:29], v[32:33], -v[36:37]
	v_fma_f64 v[30:31], v[30:31], v[32:33], v[34:35]
	v_add_f64 v[10:11], v[10:11], v[28:29]
	v_add_f64 v[12:13], v[12:13], v[30:31]
	s_or_b64 exec, exec, s[58:59]
	v_cmp_gt_u32_e64 s[14:15], 48, v22
	s_and_saveexec_b64 s[58:59], s[14:15]
	s_cbranch_execz .LBB93_99
.LBB93_520:
	v_lshlrev_b32_e32 v28, 4, v27
	v_sub_u32_e32 v28, v25, v28
	v_lshl_add_u32 v32, v26, 4, v28
	ds_read_b128 v[28:31], v25 offset:32
	ds_read_b128 v[32:35], v32 offset:1152
	s_waitcnt lgkmcnt(0)
	v_mul_f64 v[36:37], v[30:31], v[34:35]
	v_mul_f64 v[34:35], v[28:29], v[34:35]
	v_fma_f64 v[28:29], v[28:29], v[32:33], -v[36:37]
	v_fma_f64 v[30:31], v[30:31], v[32:33], v[34:35]
	v_add_f64 v[10:11], v[10:11], v[28:29]
	v_add_f64 v[12:13], v[12:13], v[30:31]
	s_or_b64 exec, exec, s[58:59]
	v_cmp_gt_u32_e64 s[14:15], 40, v22
	s_and_saveexec_b64 s[58:59], s[14:15]
	s_cbranch_execz .LBB93_100
.LBB93_521:
	v_lshlrev_b32_e32 v28, 4, v27
	v_sub_u32_e32 v28, v25, v28
	v_lshl_add_u32 v32, v26, 4, v28
	ds_read_b128 v[28:31], v25 offset:48
	ds_read_b128 v[32:35], v32 offset:1664
	s_waitcnt lgkmcnt(0)
	v_mul_f64 v[36:37], v[30:31], v[34:35]
	v_mul_f64 v[34:35], v[28:29], v[34:35]
	v_fma_f64 v[28:29], v[28:29], v[32:33], -v[36:37]
	v_fma_f64 v[30:31], v[30:31], v[32:33], v[34:35]
	v_add_f64 v[10:11], v[10:11], v[28:29]
	v_add_f64 v[12:13], v[12:13], v[30:31]
	s_or_b64 exec, exec, s[58:59]
	v_cmp_gt_u32_e64 s[14:15], 32, v22
	s_and_saveexec_b64 s[58:59], s[14:15]
	s_cbranch_execz .LBB93_101
.LBB93_522:
	ds_read_b128 v[28:31], v25 offset:64
	ds_read_b128 v[32:35], v23 offset:2176
	s_waitcnt lgkmcnt(0)
	v_mul_f64 v[36:37], v[30:31], v[34:35]
	v_mul_f64 v[34:35], v[28:29], v[34:35]
	v_fma_f64 v[28:29], v[28:29], v[32:33], -v[36:37]
	v_fma_f64 v[30:31], v[30:31], v[32:33], v[34:35]
	v_add_f64 v[10:11], v[10:11], v[28:29]
	v_add_f64 v[12:13], v[12:13], v[30:31]
	s_or_b64 exec, exec, s[58:59]
	v_cmp_gt_u32_e64 s[14:15], 24, v22
	s_and_saveexec_b64 s[58:59], s[14:15]
	s_cbranch_execz .LBB93_102
.LBB93_523:
	v_lshlrev_b32_e32 v28, 4, v27
	v_sub_u32_e32 v28, v25, v28
	v_lshl_add_u32 v32, v26, 4, v28
	ds_read_b128 v[28:31], v25 offset:80
	ds_read_b128 v[32:35], v32 offset:2688
	s_waitcnt lgkmcnt(0)
	v_mul_f64 v[36:37], v[30:31], v[34:35]
	v_mul_f64 v[34:35], v[28:29], v[34:35]
	v_fma_f64 v[28:29], v[28:29], v[32:33], -v[36:37]
	v_fma_f64 v[30:31], v[30:31], v[32:33], v[34:35]
	v_add_f64 v[10:11], v[10:11], v[28:29]
	v_add_f64 v[12:13], v[12:13], v[30:31]
	s_or_b64 exec, exec, s[58:59]
	v_cmp_gt_u32_e64 s[14:15], 16, v22
	s_and_saveexec_b64 s[58:59], s[14:15]
	s_cbranch_execz .LBB93_103
.LBB93_524:
	ds_read_b128 v[28:31], v25 offset:96
	ds_read_b128 v[32:35], v23 offset:3200
	s_waitcnt lgkmcnt(0)
	v_mul_f64 v[36:37], v[30:31], v[34:35]
	v_mul_f64 v[34:35], v[28:29], v[34:35]
	v_fma_f64 v[28:29], v[28:29], v[32:33], -v[36:37]
	v_fma_f64 v[30:31], v[30:31], v[32:33], v[34:35]
	v_add_f64 v[10:11], v[10:11], v[28:29]
	v_add_f64 v[12:13], v[12:13], v[30:31]
	s_or_b64 exec, exec, s[58:59]
	v_cmp_gt_u32_e64 s[14:15], 8, v22
	s_and_saveexec_b64 s[58:59], s[14:15]
	s_cbranch_execnz .LBB93_104
	s_branch .LBB93_105
.LBB93_525:
	v_lshlrev_b32_e32 v29, 4, v21
	v_sub_u32_e32 v29, v28, v29
	v_lshl_add_u32 v33, v20, 4, v29
	ds_read_b128 v[29:32], v28 offset:4240
	ds_read_b128 v[33:36], v33 offset:4800
	s_waitcnt lgkmcnt(0)
	v_mul_f64 v[37:38], v[31:32], v[35:36]
	v_mul_f64 v[35:36], v[29:30], v[35:36]
	v_fma_f64 v[29:30], v[29:30], v[33:34], -v[37:38]
	v_fma_f64 v[31:32], v[31:32], v[33:34], v[35:36]
	v_add_f64 v[10:11], v[10:11], v[29:30]
	v_add_f64 v[12:13], v[12:13], v[31:32]
	s_or_b64 exec, exec, s[18:19]
	v_cmp_gt_u32_e64 s[12:13], 8, v22
	s_and_saveexec_b64 s[18:19], s[12:13]
	s_cbranch_execz .LBB93_161
.LBB93_526:
	ds_read_b128 v[28:31], v28 offset:4256
	ds_read_b128 v[32:35], v17 offset:5312
	s_waitcnt lgkmcnt(0)
	v_mul_f64 v[36:37], v[30:31], v[34:35]
	v_mul_f64 v[34:35], v[28:29], v[34:35]
	v_fma_f64 v[28:29], v[28:29], v[32:33], -v[36:37]
	v_fma_f64 v[30:31], v[30:31], v[32:33], v[34:35]
	v_add_f64 v[10:11], v[10:11], v[28:29]
	v_add_f64 v[12:13], v[12:13], v[30:31]
	s_or_b64 exec, exec, s[18:19]
	v_cmp_gt_u32_e64 s[12:13], 4, v22
	s_and_saveexec_b64 s[18:19], s[12:13]
	s_cbranch_execnz .LBB93_162
	s_branch .LBB93_163
.LBB93_527:
	ds_read_b128 v[33:36], v32 offset:176
	ds_read_b128 v[37:40], v28 offset:5888
	s_waitcnt lgkmcnt(0)
	v_mul_f64 v[41:42], v[35:36], v[39:40]
	v_mul_f64 v[39:40], v[33:34], v[39:40]
	v_fma_f64 v[33:34], v[33:34], v[37:38], -v[41:42]
	v_fma_f64 v[35:36], v[35:36], v[37:38], v[39:40]
	v_add_f64 v[10:11], v[10:11], v[33:34]
	v_add_f64 v[12:13], v[12:13], v[35:36]
	s_or_b64 exec, exec, s[90:91]
	v_cmp_gt_u32_e64 s[18:19], 64, v22
	s_and_saveexec_b64 s[90:91], s[18:19]
	s_cbranch_execz .LBB93_223
.LBB93_528:
	ds_read_b128 v[33:36], v32 offset:192
	ds_read_b128 v[37:40], v28 offset:6400
	s_waitcnt lgkmcnt(0)
	v_mul_f64 v[41:42], v[35:36], v[39:40]
	v_mul_f64 v[39:40], v[33:34], v[39:40]
	v_fma_f64 v[33:34], v[33:34], v[37:38], -v[41:42]
	v_fma_f64 v[35:36], v[35:36], v[37:38], v[39:40]
	v_add_f64 v[10:11], v[10:11], v[33:34]
	v_add_f64 v[12:13], v[12:13], v[35:36]
	s_or_b64 exec, exec, s[90:91]
	v_cmp_gt_u32_e64 s[18:19], 48, v22
	s_and_saveexec_b64 s[90:91], s[18:19]
	s_cbranch_execz .LBB93_224
.LBB93_529:
	ds_read_b128 v[33:36], v32 offset:208
	ds_read_b128 v[37:40], v28 offset:6912
	s_waitcnt lgkmcnt(0)
	v_mul_f64 v[41:42], v[35:36], v[39:40]
	v_mul_f64 v[39:40], v[33:34], v[39:40]
	v_fma_f64 v[33:34], v[33:34], v[37:38], -v[41:42]
	v_fma_f64 v[35:36], v[35:36], v[37:38], v[39:40]
	v_add_f64 v[10:11], v[10:11], v[33:34]
	v_add_f64 v[12:13], v[12:13], v[35:36]
	s_or_b64 exec, exec, s[90:91]
	v_cmp_gt_u32_e64 s[18:19], 32, v22
	s_and_saveexec_b64 s[90:91], s[18:19]
	s_cbranch_execz .LBB93_225
.LBB93_530:
	ds_read_b128 v[32:35], v32 offset:224
	ds_read_b128 v[36:39], v28 offset:7424
	s_waitcnt lgkmcnt(0)
	v_mul_f64 v[40:41], v[34:35], v[38:39]
	v_mul_f64 v[38:39], v[32:33], v[38:39]
	v_fma_f64 v[32:33], v[32:33], v[36:37], -v[40:41]
	v_fma_f64 v[34:35], v[34:35], v[36:37], v[38:39]
	v_add_f64 v[10:11], v[10:11], v[32:33]
	v_add_f64 v[12:13], v[12:13], v[34:35]
	s_or_b64 exec, exec, s[90:91]
	v_cmp_gt_u32_e64 s[18:19], 16, v22
	s_and_saveexec_b64 s[90:91], s[18:19]
	s_cbranch_execnz .LBB93_226
	s_branch .LBB93_227
.LBB93_531:
	v_lshlrev_b32_e32 v29, 4, v21
	v_sub_u32_e32 v29, v28, v29
	v_lshl_add_u32 v33, v20, 4, v29
	ds_read_b128 v[29:32], v28 offset:8464
	ds_read_b128 v[33:36], v33 offset:9024
	s_waitcnt lgkmcnt(0)
	v_mul_f64 v[37:38], v[31:32], v[35:36]
	v_mul_f64 v[35:36], v[29:30], v[35:36]
	v_fma_f64 v[29:30], v[29:30], v[33:34], -v[37:38]
	v_fma_f64 v[31:32], v[31:32], v[33:34], v[35:36]
	v_add_f64 v[10:11], v[10:11], v[29:30]
	v_add_f64 v[12:13], v[12:13], v[31:32]
	s_or_b64 exec, exec, s[14:15]
	v_cmp_gt_u32_e64 s[10:11], 8, v22
	s_and_saveexec_b64 s[14:15], s[10:11]
	s_cbranch_execz .LBB93_315
.LBB93_532:
	ds_read_b128 v[28:31], v28 offset:8480
	ds_read_b128 v[32:35], v17 offset:9536
	s_waitcnt lgkmcnt(0)
	v_mul_f64 v[36:37], v[30:31], v[34:35]
	v_mul_f64 v[34:35], v[28:29], v[34:35]
	v_fma_f64 v[28:29], v[28:29], v[32:33], -v[36:37]
	v_fma_f64 v[30:31], v[30:31], v[32:33], v[34:35]
	v_add_f64 v[10:11], v[10:11], v[28:29]
	v_add_f64 v[12:13], v[12:13], v[30:31]
	s_or_b64 exec, exec, s[14:15]
	v_cmp_gt_u32_e64 s[10:11], 4, v22
	s_and_saveexec_b64 s[14:15], s[10:11]
	s_cbranch_execnz .LBB93_316
	s_branch .LBB93_317
.LBB93_533:
	v_lshlrev_b32_e32 v29, 4, v27
	v_sub_u32_e32 v29, v28, v29
	v_lshl_add_u32 v33, v26, 4, v29
	ds_read_b128 v[29:32], v28 offset:8464
	ds_read_b128 v[33:36], v33 offset:9088
	s_waitcnt lgkmcnt(0)
	v_mul_f64 v[37:38], v[31:32], v[35:36]
	v_mul_f64 v[35:36], v[29:30], v[35:36]
	v_fma_f64 v[29:30], v[29:30], v[33:34], -v[37:38]
	v_fma_f64 v[31:32], v[31:32], v[33:34], v[35:36]
	v_add_f64 v[10:11], v[10:11], v[29:30]
	v_add_f64 v[12:13], v[12:13], v[31:32]
	s_or_b64 exec, exec, s[14:15]
	v_cmp_gt_u32_e64 s[10:11], 48, v22
	s_and_saveexec_b64 s[14:15], s[10:11]
	s_cbranch_execz .LBB93_357
.LBB93_534:
	v_lshlrev_b32_e32 v29, 4, v27
	v_sub_u32_e32 v29, v28, v29
	v_lshl_add_u32 v33, v26, 4, v29
	ds_read_b128 v[29:32], v28 offset:8480
	ds_read_b128 v[33:36], v33 offset:9600
	s_waitcnt lgkmcnt(0)
	v_mul_f64 v[37:38], v[31:32], v[35:36]
	v_mul_f64 v[35:36], v[29:30], v[35:36]
	v_fma_f64 v[29:30], v[29:30], v[33:34], -v[37:38]
	v_fma_f64 v[31:32], v[31:32], v[33:34], v[35:36]
	v_add_f64 v[10:11], v[10:11], v[29:30]
	v_add_f64 v[12:13], v[12:13], v[31:32]
	s_or_b64 exec, exec, s[14:15]
	v_cmp_gt_u32_e64 s[10:11], 40, v22
	s_and_saveexec_b64 s[14:15], s[10:11]
	s_cbranch_execz .LBB93_358
.LBB93_535:
	v_lshlrev_b32_e32 v29, 4, v27
	v_sub_u32_e32 v29, v28, v29
	v_lshl_add_u32 v33, v26, 4, v29
	ds_read_b128 v[29:32], v28 offset:8496
	ds_read_b128 v[33:36], v33 offset:10112
	s_waitcnt lgkmcnt(0)
	v_mul_f64 v[37:38], v[31:32], v[35:36]
	v_mul_f64 v[35:36], v[29:30], v[35:36]
	v_fma_f64 v[29:30], v[29:30], v[33:34], -v[37:38]
	v_fma_f64 v[31:32], v[31:32], v[33:34], v[35:36]
	v_add_f64 v[10:11], v[10:11], v[29:30]
	v_add_f64 v[12:13], v[12:13], v[31:32]
	s_or_b64 exec, exec, s[14:15]
	v_cmp_gt_u32_e64 s[10:11], 32, v22
	s_and_saveexec_b64 s[14:15], s[10:11]
	s_cbranch_execz .LBB93_359
.LBB93_536:
	ds_read_b128 v[29:32], v28 offset:8512
	ds_read_b128 v[33:36], v23 offset:10624
	s_waitcnt lgkmcnt(0)
	v_mul_f64 v[37:38], v[31:32], v[35:36]
	v_mul_f64 v[35:36], v[29:30], v[35:36]
	v_fma_f64 v[29:30], v[29:30], v[33:34], -v[37:38]
	v_fma_f64 v[31:32], v[31:32], v[33:34], v[35:36]
	v_add_f64 v[10:11], v[10:11], v[29:30]
	v_add_f64 v[12:13], v[12:13], v[31:32]
	s_or_b64 exec, exec, s[14:15]
	v_cmp_gt_u32_e64 s[10:11], 24, v22
	s_and_saveexec_b64 s[14:15], s[10:11]
	s_cbranch_execz .LBB93_360
.LBB93_537:
	v_lshlrev_b32_e32 v27, 4, v27
	v_sub_u32_e32 v27, v28, v27
	v_lshl_add_u32 v26, v26, 4, v27
	ds_read_b128 v[29:32], v28 offset:8528
	ds_read_b128 v[33:36], v26 offset:11136
	s_waitcnt lgkmcnt(0)
	v_mul_f64 v[26:27], v[31:32], v[35:36]
	v_mul_f64 v[35:36], v[29:30], v[35:36]
	v_fma_f64 v[26:27], v[29:30], v[33:34], -v[26:27]
	v_fma_f64 v[29:30], v[31:32], v[33:34], v[35:36]
	v_add_f64 v[10:11], v[10:11], v[26:27]
	v_add_f64 v[12:13], v[12:13], v[29:30]
	s_or_b64 exec, exec, s[14:15]
	v_cmp_gt_u32_e64 s[10:11], 16, v22
	s_and_saveexec_b64 s[14:15], s[10:11]
	s_cbranch_execz .LBB93_361
.LBB93_538:
	ds_read_b128 v[26:29], v28 offset:8544
	ds_read_b128 v[30:33], v23 offset:11648
	s_waitcnt lgkmcnt(0)
	v_mul_f64 v[34:35], v[28:29], v[32:33]
	v_mul_f64 v[32:33], v[26:27], v[32:33]
	v_fma_f64 v[26:27], v[26:27], v[30:31], -v[34:35]
	v_fma_f64 v[28:29], v[28:29], v[30:31], v[32:33]
	v_add_f64 v[10:11], v[10:11], v[26:27]
	v_add_f64 v[12:13], v[12:13], v[28:29]
	s_or_b64 exec, exec, s[14:15]
	v_cmp_gt_u32_e64 s[10:11], 8, v22
	s_and_saveexec_b64 s[14:15], s[10:11]
	s_cbranch_execnz .LBB93_362
	s_branch .LBB93_363
.LBB93_539:
	v_lshlrev_b32_e32 v21, 4, v21
	v_sub_u32_e32 v21, v23, v21
	v_lshl_add_u32 v20, v20, 4, v21
	ds_read_b128 v[24:27], v23 offset:12688
	ds_read_b128 v[28:31], v20 offset:13248
	s_waitcnt lgkmcnt(0)
	v_mul_f64 v[20:21], v[26:27], v[30:31]
	v_mul_f64 v[30:31], v[24:25], v[30:31]
	v_fma_f64 v[20:21], v[24:25], v[28:29], -v[20:21]
	v_fma_f64 v[24:25], v[26:27], v[28:29], v[30:31]
	v_add_f64 v[10:11], v[10:11], v[20:21]
	v_add_f64 v[12:13], v[12:13], v[24:25]
	s_or_b64 exec, exec, s[12:13]
	v_cmp_gt_u32_e64 s[8:9], 8, v22
	s_and_saveexec_b64 s[12:13], s[8:9]
	s_cbranch_execz .LBB93_419
.LBB93_540:
	ds_read_b128 v[23:26], v23 offset:12704
	ds_read_b128 v[27:30], v17 offset:13760
	s_waitcnt lgkmcnt(0)
	v_mul_f64 v[20:21], v[25:26], v[29:30]
	v_mul_f64 v[29:30], v[23:24], v[29:30]
	v_fma_f64 v[20:21], v[23:24], v[27:28], -v[20:21]
	v_fma_f64 v[23:24], v[25:26], v[27:28], v[29:30]
	v_add_f64 v[10:11], v[10:11], v[20:21]
	v_add_f64 v[12:13], v[12:13], v[23:24]
	s_or_b64 exec, exec, s[12:13]
	v_cmp_gt_u32_e64 s[8:9], 4, v22
	s_and_saveexec_b64 s[12:13], s[8:9]
	s_cbranch_execnz .LBB93_420
	s_branch .LBB93_421
	.section	.rodata,"a",@progbits
	.p2align	6, 0x0
	.amdhsa_kernel _ZL19rocblas_trsv_deviceILi32ELi16ELb1ELb1ELb1ELb1E19rocblas_complex_numIdES1_PKS1_PS1_EviT7_lllT6_T8_lllPii
		.amdhsa_group_segment_fixed_size 25104
		.amdhsa_private_segment_fixed_size 0
		.amdhsa_kernarg_size 360
		.amdhsa_user_sgpr_count 6
		.amdhsa_user_sgpr_private_segment_buffer 1
		.amdhsa_user_sgpr_dispatch_ptr 0
		.amdhsa_user_sgpr_queue_ptr 0
		.amdhsa_user_sgpr_kernarg_segment_ptr 1
		.amdhsa_user_sgpr_dispatch_id 0
		.amdhsa_user_sgpr_flat_scratch_init 0
		.amdhsa_user_sgpr_private_segment_size 0
		.amdhsa_uses_dynamic_stack 0
		.amdhsa_system_sgpr_private_segment_wavefront_offset 0
		.amdhsa_system_sgpr_workgroup_id_x 1
		.amdhsa_system_sgpr_workgroup_id_y 0
		.amdhsa_system_sgpr_workgroup_id_z 1
		.amdhsa_system_sgpr_workgroup_info 0
		.amdhsa_system_vgpr_workitem_id 1
		.amdhsa_next_free_vgpr 49
		.amdhsa_next_free_sgpr 98
		.amdhsa_reserve_vcc 1
		.amdhsa_reserve_flat_scratch 0
		.amdhsa_float_round_mode_32 0
		.amdhsa_float_round_mode_16_64 0
		.amdhsa_float_denorm_mode_32 3
		.amdhsa_float_denorm_mode_16_64 3
		.amdhsa_dx10_clamp 1
		.amdhsa_ieee_mode 1
		.amdhsa_fp16_overflow 0
		.amdhsa_exception_fp_ieee_invalid_op 0
		.amdhsa_exception_fp_denorm_src 0
		.amdhsa_exception_fp_ieee_div_zero 0
		.amdhsa_exception_fp_ieee_overflow 0
		.amdhsa_exception_fp_ieee_underflow 0
		.amdhsa_exception_fp_ieee_inexact 0
		.amdhsa_exception_int_div_zero 0
	.end_amdhsa_kernel
	.section	.text._ZL19rocblas_trsv_deviceILi32ELi16ELb1ELb1ELb1ELb1E19rocblas_complex_numIdES1_PKS1_PS1_EviT7_lllT6_T8_lllPii,"axG",@progbits,_ZL19rocblas_trsv_deviceILi32ELi16ELb1ELb1ELb1ELb1E19rocblas_complex_numIdES1_PKS1_PS1_EviT7_lllT6_T8_lllPii,comdat
.Lfunc_end93:
	.size	_ZL19rocblas_trsv_deviceILi32ELi16ELb1ELb1ELb1ELb1E19rocblas_complex_numIdES1_PKS1_PS1_EviT7_lllT6_T8_lllPii, .Lfunc_end93-_ZL19rocblas_trsv_deviceILi32ELi16ELb1ELb1ELb1ELb1E19rocblas_complex_numIdES1_PKS1_PS1_EviT7_lllT6_T8_lllPii
                                        ; -- End function
	.set _ZL19rocblas_trsv_deviceILi32ELi16ELb1ELb1ELb1ELb1E19rocblas_complex_numIdES1_PKS1_PS1_EviT7_lllT6_T8_lllPii.num_vgpr, 43
	.set _ZL19rocblas_trsv_deviceILi32ELi16ELb1ELb1ELb1ELb1E19rocblas_complex_numIdES1_PKS1_PS1_EviT7_lllT6_T8_lllPii.num_agpr, 0
	.set _ZL19rocblas_trsv_deviceILi32ELi16ELb1ELb1ELb1ELb1E19rocblas_complex_numIdES1_PKS1_PS1_EviT7_lllT6_T8_lllPii.numbered_sgpr, 96
	.set _ZL19rocblas_trsv_deviceILi32ELi16ELb1ELb1ELb1ELb1E19rocblas_complex_numIdES1_PKS1_PS1_EviT7_lllT6_T8_lllPii.num_named_barrier, 0
	.set _ZL19rocblas_trsv_deviceILi32ELi16ELb1ELb1ELb1ELb1E19rocblas_complex_numIdES1_PKS1_PS1_EviT7_lllT6_T8_lllPii.private_seg_size, 0
	.set _ZL19rocblas_trsv_deviceILi32ELi16ELb1ELb1ELb1ELb1E19rocblas_complex_numIdES1_PKS1_PS1_EviT7_lllT6_T8_lllPii.uses_vcc, 1
	.set _ZL19rocblas_trsv_deviceILi32ELi16ELb1ELb1ELb1ELb1E19rocblas_complex_numIdES1_PKS1_PS1_EviT7_lllT6_T8_lllPii.uses_flat_scratch, 0
	.set _ZL19rocblas_trsv_deviceILi32ELi16ELb1ELb1ELb1ELb1E19rocblas_complex_numIdES1_PKS1_PS1_EviT7_lllT6_T8_lllPii.has_dyn_sized_stack, 0
	.set _ZL19rocblas_trsv_deviceILi32ELi16ELb1ELb1ELb1ELb1E19rocblas_complex_numIdES1_PKS1_PS1_EviT7_lllT6_T8_lllPii.has_recursion, 0
	.set _ZL19rocblas_trsv_deviceILi32ELi16ELb1ELb1ELb1ELb1E19rocblas_complex_numIdES1_PKS1_PS1_EviT7_lllT6_T8_lllPii.has_indirect_call, 0
	.section	.AMDGPU.csdata,"",@progbits
; Kernel info:
; codeLenInByte = 21756
; TotalNumSgprs: 100
; NumVgprs: 43
; ScratchSize: 0
; MemoryBound: 1
; FloatMode: 240
; IeeeMode: 1
; LDSByteSize: 25104 bytes/workgroup (compile time only)
; SGPRBlocks: 12
; VGPRBlocks: 12
; NumSGPRsForWavesPerEU: 102
; NumVGPRsForWavesPerEU: 49
; Occupancy: 4
; WaveLimiterHint : 0
; COMPUTE_PGM_RSRC2:SCRATCH_EN: 0
; COMPUTE_PGM_RSRC2:USER_SGPR: 6
; COMPUTE_PGM_RSRC2:TRAP_HANDLER: 0
; COMPUTE_PGM_RSRC2:TGID_X_EN: 1
; COMPUTE_PGM_RSRC2:TGID_Y_EN: 0
; COMPUTE_PGM_RSRC2:TGID_Z_EN: 1
; COMPUTE_PGM_RSRC2:TIDIG_COMP_CNT: 1
	.section	.text._ZL19rocblas_trsv_deviceILi32ELi16ELb1ELb0ELb0ELb0E19rocblas_complex_numIdES1_PKS1_PS1_EviT7_lllT6_T8_lllPii,"axG",@progbits,_ZL19rocblas_trsv_deviceILi32ELi16ELb1ELb0ELb0ELb0E19rocblas_complex_numIdES1_PKS1_PS1_EviT7_lllT6_T8_lllPii,comdat
	.globl	_ZL19rocblas_trsv_deviceILi32ELi16ELb1ELb0ELb0ELb0E19rocblas_complex_numIdES1_PKS1_PS1_EviT7_lllT6_T8_lllPii ; -- Begin function _ZL19rocblas_trsv_deviceILi32ELi16ELb1ELb0ELb0ELb0E19rocblas_complex_numIdES1_PKS1_PS1_EviT7_lllT6_T8_lllPii
	.p2align	8
	.type	_ZL19rocblas_trsv_deviceILi32ELi16ELb1ELb0ELb0ELb0E19rocblas_complex_numIdES1_PKS1_PS1_EviT7_lllT6_T8_lllPii,@function
_ZL19rocblas_trsv_deviceILi32ELi16ELb1ELb0ELb0ELb0E19rocblas_complex_numIdES1_PKS1_PS1_EviT7_lllT6_T8_lllPii: ; @_ZL19rocblas_trsv_deviceILi32ELi16ELb1ELb0ELb0ELb0E19rocblas_complex_numIdES1_PKS1_PS1_EviT7_lllT6_T8_lllPii
; %bb.0:
	s_mov_b32 s28, s7
	s_load_dwordx16 s[12:27], s[4:5], 0x8
	s_load_dword s7, s[4:5], 0x0
	s_load_dword s86, s[4:5], 0x74
	v_mov_b32_e32 v2, v1
	s_mov_b32 s29, 0
	s_waitcnt lgkmcnt(0)
	s_mul_i32 s0, s19, s28
	s_mul_hi_u32 s1, s18, s28
	s_add_i32 s1, s1, s0
	s_mul_i32 s0, s18, s28
	s_lshl_b64 s[0:1], s[0:1], 4
	s_add_u32 s2, s12, s0
	s_addc_u32 s3, s13, s1
	s_lshl_b64 s[0:1], s[14:15], 4
	s_add_u32 s84, s2, s0
	s_addc_u32 s85, s3, s1
	s_cmp_eq_u32 s6, 0
	s_cbranch_scc1 .LBB94_6
; %bb.1:
	s_lshl_b32 s33, s6, 5
	v_add_u32_e32 v1, s33, v2
	v_subrev_u32_e32 v1, 32, v1
	v_ashrrev_i32_e32 v3, 31, v1
	v_mul_lo_u32 v7, s16, v3
	v_mul_lo_u32 v8, s17, v1
	v_mad_u64_u32 v[3:4], s[0:1], s16, v1, 0
	v_add_u32_e32 v5, s33, v0
	v_ashrrev_i32_e32 v6, 31, v5
	v_add3_u32 v4, v4, v7, v8
	v_lshlrev_b64 v[3:4], 4, v[3:4]
	v_mov_b32_e32 v7, s85
	v_add_co_u32_e64 v8, s[0:1], s84, v3
	v_addc_co_u32_e64 v7, s[0:1], v7, v4, s[0:1]
	v_lshlrev_b64 v[3:4], 4, v[5:6]
	v_cmp_gt_i32_e32 vcc, s7, v5
	v_add_co_u32_e64 v11, s[0:1], v8, v3
	v_addc_co_u32_e64 v12, s[0:1], v7, v4, s[0:1]
	v_cmp_gt_i32_e64 s[0:1], s7, v1
	v_mov_b32_e32 v9, 0
	v_mov_b32_e32 v3, 0
	;; [unrolled: 1-line block ×6, first 2 shown]
	s_and_b64 s[2:3], vcc, s[0:1]
	s_barrier
	s_and_saveexec_b64 s[0:1], s[2:3]
	s_cbranch_execz .LBB94_3
; %bb.2:
	global_load_dwordx4 v[3:6], v[11:12], off
.LBB94_3:
	s_or_b64 exec, exec, s[0:1]
	v_add_u32_e32 v1, 16, v1
	v_cmp_gt_i32_e64 s[0:1], s7, v1
	v_mov_b32_e32 v7, 0
	v_mov_b32_e32 v8, 0
	s_and_b64 s[2:3], vcc, s[0:1]
	s_waitcnt vmcnt(0)
	s_barrier
	s_and_saveexec_b64 s[0:1], s[2:3]
	s_cbranch_execz .LBB94_5
; %bb.4:
	s_lshl_b64 s[2:3], s[16:17], 8
	v_mov_b32_e32 v1, s3
	v_add_co_u32_e32 v7, vcc, s2, v11
	v_addc_co_u32_e32 v8, vcc, v12, v1, vcc
	global_load_dwordx4 v[7:10], v[7:8], off
.LBB94_5:
	s_or_b64 exec, exec, s[0:1]
	s_branch .LBB94_7
.LBB94_6:
                                        ; implicit-def: $vgpr9_vgpr10
                                        ; implicit-def: $vgpr5_vgpr6
	s_mov_b32 s33, s29
.LBB94_7:
	s_ashr_i32 s0, s7, 31
	s_lshr_b32 s0, s0, 27
	s_add_i32 s0, s7, s0
	s_andn2_b32 s0, s0, 31
	s_sub_i32 s83, s7, s0
	s_add_i32 s0, s7, -1
	s_ashr_i32 s1, s0, 31
	s_lshr_b32 s1, s1, 27
	s_add_i32 s0, s0, s1
	s_ashr_i32 s0, s0, 5
	s_cmp_eq_u32 s0, s6
	s_cselect_b64 s[0:1], -1, 0
	s_cmp_lg_u32 s83, 0
	s_cselect_b64 s[2:3], -1, 0
	s_and_b64 s[18:19], s[2:3], s[0:1]
	s_ashr_i32 s82, s33, 31
	s_add_u32 s8, s16, 1
	v_mov_b32_e32 v1, 0
	v_mov_b32_e32 v11, s33
	v_mad_u64_u32 v[19:20], s[0:1], s8, v11, v[0:1]
	s_addc_u32 s9, s17, 0
	s_mul_i32 s0, s8, s82
	s_mul_i32 s9, s9, s33
	s_add_i32 s0, s0, s9
	s_mov_b64 s[2:3], -1
	v_add_u32_e32 v20, s0, v20
	s_and_b64 vcc, exec, s[18:19]
	v_cmp_le_u32_e64 s[0:1], v0, v2
	v_lshl_add_u32 v1, v2, 5, v0
	s_cbranch_vccnz .LBB94_37
; %bb.8:
	v_mad_u64_u32 v[11:12], s[2:3], s16, v2, v[19:20]
	v_mad_u64_u32 v[12:13], s[2:3], s17, v2, v[12:13]
	s_and_saveexec_b64 s[2:3], s[0:1]
	s_xor_b64 s[0:1], exec, s[2:3]
	s_cbranch_execz .LBB94_20
; %bb.9:
	v_cmp_ne_u32_e32 vcc, v0, v2
	s_and_saveexec_b64 s[2:3], vcc
	s_xor_b64 s[2:3], exec, s[2:3]
	s_cbranch_execz .LBB94_13
; %bb.10:
	v_or_b32_e32 v11, v2, v0
	v_cmp_gt_u32_e32 vcc, 32, v11
	s_and_saveexec_b64 s[8:9], vcc
	s_cbranch_execz .LBB94_12
; %bb.11:
	v_mov_b32_e32 v11, 0
	v_lshlrev_b32_e32 v15, 4, v1
	v_mov_b32_e32 v12, v11
	v_mov_b32_e32 v13, v11
	;; [unrolled: 1-line block ×3, first 2 shown]
	ds_write_b128 v15, v[11:14]
.LBB94_12:
	s_or_b64 exec, exec, s[8:9]
                                        ; implicit-def: $vgpr11_vgpr12
.LBB94_13:
	s_andn2_saveexec_b64 s[2:3], s[2:3]
	s_cbranch_execz .LBB94_19
; %bb.14:
	v_lshlrev_b64 v[11:12], 4, v[11:12]
	v_mov_b32_e32 v13, s85
	v_add_co_u32_e32 v11, vcc, s84, v11
	v_addc_co_u32_e32 v12, vcc, v13, v12, vcc
	global_load_dwordx4 v[11:14], v[11:12], off
                                        ; implicit-def: $vgpr15_vgpr16
	s_waitcnt vmcnt(0)
	v_cmp_ngt_f64_e64 s[8:9], |v[11:12]|, |v[13:14]|
	s_and_saveexec_b64 s[10:11], s[8:9]
	s_xor_b64 s[8:9], exec, s[10:11]
	s_cbranch_execz .LBB94_16
; %bb.15:
	v_div_scale_f64 v[15:16], s[10:11], v[13:14], v[13:14], v[11:12]
	v_rcp_f64_e32 v[17:18], v[15:16]
	v_fma_f64 v[21:22], -v[15:16], v[17:18], 1.0
	v_fma_f64 v[17:18], v[17:18], v[21:22], v[17:18]
	v_div_scale_f64 v[21:22], vcc, v[11:12], v[13:14], v[11:12]
	v_fma_f64 v[23:24], -v[15:16], v[17:18], 1.0
	v_fma_f64 v[17:18], v[17:18], v[23:24], v[17:18]
	v_mul_f64 v[23:24], v[21:22], v[17:18]
	v_fma_f64 v[15:16], -v[15:16], v[23:24], v[21:22]
	v_div_fmas_f64 v[15:16], v[15:16], v[17:18], v[23:24]
	v_div_fixup_f64 v[15:16], v[15:16], v[13:14], v[11:12]
	v_fma_f64 v[11:12], v[11:12], v[15:16], v[13:14]
	v_div_scale_f64 v[13:14], s[10:11], v[11:12], v[11:12], 1.0
	v_div_scale_f64 v[23:24], vcc, 1.0, v[11:12], 1.0
	v_rcp_f64_e32 v[17:18], v[13:14]
	v_fma_f64 v[21:22], -v[13:14], v[17:18], 1.0
	v_fma_f64 v[17:18], v[17:18], v[21:22], v[17:18]
	v_fma_f64 v[21:22], -v[13:14], v[17:18], 1.0
	v_fma_f64 v[17:18], v[17:18], v[21:22], v[17:18]
	v_mul_f64 v[21:22], v[23:24], v[17:18]
	v_fma_f64 v[13:14], -v[13:14], v[21:22], v[23:24]
	v_div_fmas_f64 v[13:14], v[13:14], v[17:18], v[21:22]
	v_div_fixup_f64 v[17:18], v[13:14], v[11:12], 1.0
                                        ; implicit-def: $vgpr11_vgpr12
	v_mul_f64 v[15:16], v[15:16], v[17:18]
	v_xor_b32_e32 v18, 0x80000000, v18
.LBB94_16:
	s_andn2_saveexec_b64 s[8:9], s[8:9]
	s_cbranch_execz .LBB94_18
; %bb.17:
	v_div_scale_f64 v[15:16], s[10:11], v[11:12], v[11:12], v[13:14]
	v_rcp_f64_e32 v[17:18], v[15:16]
	v_fma_f64 v[21:22], -v[15:16], v[17:18], 1.0
	v_fma_f64 v[17:18], v[17:18], v[21:22], v[17:18]
	v_div_scale_f64 v[21:22], vcc, v[13:14], v[11:12], v[13:14]
	v_fma_f64 v[23:24], -v[15:16], v[17:18], 1.0
	v_fma_f64 v[17:18], v[17:18], v[23:24], v[17:18]
	v_mul_f64 v[23:24], v[21:22], v[17:18]
	v_fma_f64 v[15:16], -v[15:16], v[23:24], v[21:22]
	v_div_fmas_f64 v[15:16], v[15:16], v[17:18], v[23:24]
	v_div_fixup_f64 v[17:18], v[15:16], v[11:12], v[13:14]
	v_fma_f64 v[11:12], v[13:14], v[17:18], v[11:12]
	v_div_scale_f64 v[13:14], s[10:11], v[11:12], v[11:12], 1.0
	v_div_scale_f64 v[23:24], vcc, 1.0, v[11:12], 1.0
	v_rcp_f64_e32 v[15:16], v[13:14]
	v_fma_f64 v[21:22], -v[13:14], v[15:16], 1.0
	v_fma_f64 v[15:16], v[15:16], v[21:22], v[15:16]
	v_fma_f64 v[21:22], -v[13:14], v[15:16], 1.0
	v_fma_f64 v[15:16], v[15:16], v[21:22], v[15:16]
	v_mul_f64 v[21:22], v[23:24], v[15:16]
	v_fma_f64 v[13:14], -v[13:14], v[21:22], v[23:24]
	v_div_fmas_f64 v[13:14], v[13:14], v[15:16], v[21:22]
	v_div_fixup_f64 v[15:16], v[13:14], v[11:12], 1.0
	v_mul_f64 v[17:18], v[17:18], -v[15:16]
.LBB94_18:
	s_or_b64 exec, exec, s[8:9]
	v_lshlrev_b32_e32 v11, 4, v1
	ds_write_b128 v11, v[15:18]
.LBB94_19:
	s_or_b64 exec, exec, s[2:3]
                                        ; implicit-def: $vgpr11_vgpr12
.LBB94_20:
	s_andn2_saveexec_b64 s[0:1], s[0:1]
	s_cbranch_execz .LBB94_22
; %bb.21:
	v_lshlrev_b64 v[11:12], 4, v[11:12]
	v_mov_b32_e32 v13, s85
	v_add_co_u32_e32 v11, vcc, s84, v11
	v_addc_co_u32_e32 v12, vcc, v13, v12, vcc
	global_load_dwordx4 v[11:14], v[11:12], off
	v_lshlrev_b32_e32 v15, 4, v1
	s_waitcnt vmcnt(0)
	v_xor_b32_e32 v12, 0x80000000, v12
	v_xor_b32_e32 v14, 0x80000000, v14
	ds_write_b128 v15, v[11:14]
.LBB94_22:
	s_or_b64 exec, exec, s[0:1]
	v_add_u32_e32 v13, 16, v2
	v_mad_u64_u32 v[11:12], s[0:1], s16, v13, v[19:20]
	v_lshl_add_u32 v21, v13, 5, v0
	v_cmp_le_u32_e32 vcc, v0, v13
	v_mad_u64_u32 v[14:15], s[0:1], s17, v13, v[12:13]
	v_mov_b32_e32 v12, v14
	s_and_saveexec_b64 s[0:1], vcc
	s_xor_b64 s[0:1], exec, s[0:1]
	s_cbranch_execz .LBB94_34
; %bb.23:
	v_cmp_ne_u32_e32 vcc, v0, v13
	s_and_saveexec_b64 s[2:3], vcc
	s_xor_b64 s[2:3], exec, s[2:3]
	s_cbranch_execz .LBB94_27
; %bb.24:
	v_or_b32_e32 v11, v13, v0
	v_cmp_gt_u32_e32 vcc, 32, v11
	s_and_saveexec_b64 s[8:9], vcc
	s_cbranch_execz .LBB94_26
; %bb.25:
	v_mov_b32_e32 v11, 0
	v_lshlrev_b32_e32 v15, 4, v21
	v_mov_b32_e32 v12, v11
	v_mov_b32_e32 v13, v11
	;; [unrolled: 1-line block ×3, first 2 shown]
	ds_write_b128 v15, v[11:14]
.LBB94_26:
	s_or_b64 exec, exec, s[8:9]
                                        ; implicit-def: $vgpr21
                                        ; implicit-def: $vgpr11_vgpr12
.LBB94_27:
	s_andn2_saveexec_b64 s[2:3], s[2:3]
	s_cbranch_execz .LBB94_33
; %bb.28:
	v_lshlrev_b64 v[11:12], 4, v[11:12]
	v_mov_b32_e32 v13, s85
	v_add_co_u32_e32 v11, vcc, s84, v11
	v_addc_co_u32_e32 v12, vcc, v13, v12, vcc
	global_load_dwordx4 v[11:14], v[11:12], off
                                        ; implicit-def: $vgpr15_vgpr16
	s_waitcnt vmcnt(0)
	v_cmp_ngt_f64_e64 s[8:9], |v[11:12]|, |v[13:14]|
	s_and_saveexec_b64 s[10:11], s[8:9]
	s_xor_b64 s[8:9], exec, s[10:11]
	s_cbranch_execz .LBB94_30
; %bb.29:
	v_div_scale_f64 v[15:16], s[10:11], v[13:14], v[13:14], v[11:12]
	v_rcp_f64_e32 v[17:18], v[15:16]
	v_fma_f64 v[22:23], -v[15:16], v[17:18], 1.0
	v_fma_f64 v[17:18], v[17:18], v[22:23], v[17:18]
	v_div_scale_f64 v[22:23], vcc, v[11:12], v[13:14], v[11:12]
	v_fma_f64 v[24:25], -v[15:16], v[17:18], 1.0
	v_fma_f64 v[17:18], v[17:18], v[24:25], v[17:18]
	v_mul_f64 v[24:25], v[22:23], v[17:18]
	v_fma_f64 v[15:16], -v[15:16], v[24:25], v[22:23]
	v_div_fmas_f64 v[15:16], v[15:16], v[17:18], v[24:25]
	v_div_fixup_f64 v[15:16], v[15:16], v[13:14], v[11:12]
	v_fma_f64 v[11:12], v[11:12], v[15:16], v[13:14]
	v_div_scale_f64 v[13:14], s[10:11], v[11:12], v[11:12], 1.0
	v_div_scale_f64 v[24:25], vcc, 1.0, v[11:12], 1.0
	v_rcp_f64_e32 v[17:18], v[13:14]
	v_fma_f64 v[22:23], -v[13:14], v[17:18], 1.0
	v_fma_f64 v[17:18], v[17:18], v[22:23], v[17:18]
	v_fma_f64 v[22:23], -v[13:14], v[17:18], 1.0
	v_fma_f64 v[17:18], v[17:18], v[22:23], v[17:18]
	v_mul_f64 v[22:23], v[24:25], v[17:18]
	v_fma_f64 v[13:14], -v[13:14], v[22:23], v[24:25]
	v_div_fmas_f64 v[13:14], v[13:14], v[17:18], v[22:23]
	v_div_fixup_f64 v[17:18], v[13:14], v[11:12], 1.0
                                        ; implicit-def: $vgpr11_vgpr12
	v_mul_f64 v[15:16], v[15:16], v[17:18]
	v_xor_b32_e32 v18, 0x80000000, v18
.LBB94_30:
	s_andn2_saveexec_b64 s[8:9], s[8:9]
	s_cbranch_execz .LBB94_32
; %bb.31:
	v_div_scale_f64 v[15:16], s[10:11], v[11:12], v[11:12], v[13:14]
	v_rcp_f64_e32 v[17:18], v[15:16]
	v_fma_f64 v[22:23], -v[15:16], v[17:18], 1.0
	v_fma_f64 v[17:18], v[17:18], v[22:23], v[17:18]
	v_div_scale_f64 v[22:23], vcc, v[13:14], v[11:12], v[13:14]
	v_fma_f64 v[24:25], -v[15:16], v[17:18], 1.0
	v_fma_f64 v[17:18], v[17:18], v[24:25], v[17:18]
	v_mul_f64 v[24:25], v[22:23], v[17:18]
	v_fma_f64 v[15:16], -v[15:16], v[24:25], v[22:23]
	v_div_fmas_f64 v[15:16], v[15:16], v[17:18], v[24:25]
	v_div_fixup_f64 v[17:18], v[15:16], v[11:12], v[13:14]
	v_fma_f64 v[11:12], v[13:14], v[17:18], v[11:12]
	v_div_scale_f64 v[13:14], s[10:11], v[11:12], v[11:12], 1.0
	v_div_scale_f64 v[24:25], vcc, 1.0, v[11:12], 1.0
	v_rcp_f64_e32 v[15:16], v[13:14]
	v_fma_f64 v[22:23], -v[13:14], v[15:16], 1.0
	v_fma_f64 v[15:16], v[15:16], v[22:23], v[15:16]
	v_fma_f64 v[22:23], -v[13:14], v[15:16], 1.0
	v_fma_f64 v[15:16], v[15:16], v[22:23], v[15:16]
	v_mul_f64 v[22:23], v[24:25], v[15:16]
	v_fma_f64 v[13:14], -v[13:14], v[22:23], v[24:25]
	v_div_fmas_f64 v[13:14], v[13:14], v[15:16], v[22:23]
	v_div_fixup_f64 v[15:16], v[13:14], v[11:12], 1.0
	v_mul_f64 v[17:18], v[17:18], -v[15:16]
.LBB94_32:
	s_or_b64 exec, exec, s[8:9]
	v_lshlrev_b32_e32 v11, 4, v21
	ds_write_b128 v11, v[15:18]
.LBB94_33:
	s_or_b64 exec, exec, s[2:3]
                                        ; implicit-def: $vgpr11_vgpr12
                                        ; implicit-def: $vgpr21
.LBB94_34:
	s_andn2_saveexec_b64 s[0:1], s[0:1]
	s_cbranch_execz .LBB94_36
; %bb.35:
	v_lshlrev_b64 v[11:12], 4, v[11:12]
	v_mov_b32_e32 v13, s85
	v_add_co_u32_e32 v11, vcc, s84, v11
	v_addc_co_u32_e32 v12, vcc, v13, v12, vcc
	global_load_dwordx4 v[11:14], v[11:12], off
	v_lshlrev_b32_e32 v15, 4, v21
	s_waitcnt vmcnt(0)
	v_xor_b32_e32 v12, 0x80000000, v12
	v_xor_b32_e32 v14, 0x80000000, v14
	ds_write_b128 v15, v[11:14]
.LBB94_36:
	s_or_b64 exec, exec, s[0:1]
	s_mov_b64 s[2:3], 0
.LBB94_37:
	s_and_b64 vcc, exec, s[2:3]
	s_cbranch_vccz .LBB94_67
; %bb.38:
	v_mad_u64_u32 v[11:12], s[0:1], s16, v2, v[19:20]
	v_cmp_le_u32_e32 vcc, v0, v2
	v_cmp_gt_i32_e64 s[0:1], s83, v0
	v_mad_u64_u32 v[12:13], s[2:3], s17, v2, v[12:13]
	v_max_i32_e32 v13, v2, v0
	v_cmp_le_i32_e64 s[2:3], s83, v13
	s_or_b64 s[2:3], s[2:3], vcc
	s_and_saveexec_b64 s[8:9], s[2:3]
	s_xor_b64 s[2:3], exec, s[8:9]
	s_cbranch_execz .LBB94_50
; %bb.39:
	v_cmp_ne_u32_e32 vcc, v0, v2
	s_xor_b64 s[8:9], s[0:1], -1
	s_or_b64 s[8:9], s[8:9], vcc
	s_and_saveexec_b64 s[10:11], s[8:9]
	s_xor_b64 s[8:9], exec, s[10:11]
	s_cbranch_execz .LBB94_43
; %bb.40:
	v_or_b32_e32 v11, v2, v0
	v_cmp_gt_u32_e32 vcc, 32, v11
	s_and_saveexec_b64 s[10:11], vcc
	s_cbranch_execz .LBB94_42
; %bb.41:
	v_mov_b32_e32 v11, 0
	v_lshlrev_b32_e32 v15, 4, v1
	v_mov_b32_e32 v12, v11
	v_mov_b32_e32 v13, v11
	;; [unrolled: 1-line block ×3, first 2 shown]
	ds_write_b128 v15, v[11:14]
.LBB94_42:
	s_or_b64 exec, exec, s[10:11]
                                        ; implicit-def: $vgpr11_vgpr12
.LBB94_43:
	s_andn2_saveexec_b64 s[8:9], s[8:9]
	s_cbranch_execz .LBB94_49
; %bb.44:
	v_lshlrev_b64 v[11:12], 4, v[11:12]
	v_mov_b32_e32 v13, s85
	v_add_co_u32_e32 v11, vcc, s84, v11
	v_addc_co_u32_e32 v12, vcc, v13, v12, vcc
	global_load_dwordx4 v[11:14], v[11:12], off
                                        ; implicit-def: $vgpr15_vgpr16
	s_waitcnt vmcnt(0)
	v_cmp_ngt_f64_e64 s[10:11], |v[11:12]|, |v[13:14]|
	s_and_saveexec_b64 s[12:13], s[10:11]
	s_xor_b64 s[10:11], exec, s[12:13]
	s_cbranch_execz .LBB94_46
; %bb.45:
	v_div_scale_f64 v[15:16], s[12:13], v[13:14], v[13:14], v[11:12]
	v_rcp_f64_e32 v[17:18], v[15:16]
	v_fma_f64 v[21:22], -v[15:16], v[17:18], 1.0
	v_fma_f64 v[17:18], v[17:18], v[21:22], v[17:18]
	v_div_scale_f64 v[21:22], vcc, v[11:12], v[13:14], v[11:12]
	v_fma_f64 v[23:24], -v[15:16], v[17:18], 1.0
	v_fma_f64 v[17:18], v[17:18], v[23:24], v[17:18]
	v_mul_f64 v[23:24], v[21:22], v[17:18]
	v_fma_f64 v[15:16], -v[15:16], v[23:24], v[21:22]
	v_div_fmas_f64 v[15:16], v[15:16], v[17:18], v[23:24]
	v_div_fixup_f64 v[15:16], v[15:16], v[13:14], v[11:12]
	v_fma_f64 v[11:12], v[11:12], v[15:16], v[13:14]
	v_div_scale_f64 v[13:14], s[12:13], v[11:12], v[11:12], 1.0
	v_div_scale_f64 v[23:24], vcc, 1.0, v[11:12], 1.0
	v_rcp_f64_e32 v[17:18], v[13:14]
	v_fma_f64 v[21:22], -v[13:14], v[17:18], 1.0
	v_fma_f64 v[17:18], v[17:18], v[21:22], v[17:18]
	v_fma_f64 v[21:22], -v[13:14], v[17:18], 1.0
	v_fma_f64 v[17:18], v[17:18], v[21:22], v[17:18]
	v_mul_f64 v[21:22], v[23:24], v[17:18]
	v_fma_f64 v[13:14], -v[13:14], v[21:22], v[23:24]
	v_div_fmas_f64 v[13:14], v[13:14], v[17:18], v[21:22]
	v_div_fixup_f64 v[17:18], v[13:14], v[11:12], 1.0
                                        ; implicit-def: $vgpr11_vgpr12
	v_mul_f64 v[15:16], v[15:16], v[17:18]
	v_xor_b32_e32 v18, 0x80000000, v18
.LBB94_46:
	s_andn2_saveexec_b64 s[10:11], s[10:11]
	s_cbranch_execz .LBB94_48
; %bb.47:
	v_div_scale_f64 v[15:16], s[12:13], v[11:12], v[11:12], v[13:14]
	v_rcp_f64_e32 v[17:18], v[15:16]
	v_fma_f64 v[21:22], -v[15:16], v[17:18], 1.0
	v_fma_f64 v[17:18], v[17:18], v[21:22], v[17:18]
	v_div_scale_f64 v[21:22], vcc, v[13:14], v[11:12], v[13:14]
	v_fma_f64 v[23:24], -v[15:16], v[17:18], 1.0
	v_fma_f64 v[17:18], v[17:18], v[23:24], v[17:18]
	v_mul_f64 v[23:24], v[21:22], v[17:18]
	v_fma_f64 v[15:16], -v[15:16], v[23:24], v[21:22]
	v_div_fmas_f64 v[15:16], v[15:16], v[17:18], v[23:24]
	v_div_fixup_f64 v[17:18], v[15:16], v[11:12], v[13:14]
	v_fma_f64 v[11:12], v[13:14], v[17:18], v[11:12]
	v_div_scale_f64 v[13:14], s[12:13], v[11:12], v[11:12], 1.0
	v_div_scale_f64 v[23:24], vcc, 1.0, v[11:12], 1.0
	v_rcp_f64_e32 v[15:16], v[13:14]
	v_fma_f64 v[21:22], -v[13:14], v[15:16], 1.0
	v_fma_f64 v[15:16], v[15:16], v[21:22], v[15:16]
	v_fma_f64 v[21:22], -v[13:14], v[15:16], 1.0
	v_fma_f64 v[15:16], v[15:16], v[21:22], v[15:16]
	v_mul_f64 v[21:22], v[23:24], v[15:16]
	v_fma_f64 v[13:14], -v[13:14], v[21:22], v[23:24]
	v_div_fmas_f64 v[13:14], v[13:14], v[15:16], v[21:22]
	v_div_fixup_f64 v[15:16], v[13:14], v[11:12], 1.0
	v_mul_f64 v[17:18], v[17:18], -v[15:16]
.LBB94_48:
	s_or_b64 exec, exec, s[10:11]
	v_lshlrev_b32_e32 v11, 4, v1
	ds_write_b128 v11, v[15:18]
.LBB94_49:
	s_or_b64 exec, exec, s[8:9]
                                        ; implicit-def: $vgpr11_vgpr12
.LBB94_50:
	s_andn2_saveexec_b64 s[2:3], s[2:3]
	s_cbranch_execz .LBB94_52
; %bb.51:
	v_lshlrev_b64 v[11:12], 4, v[11:12]
	v_mov_b32_e32 v13, s85
	v_add_co_u32_e32 v11, vcc, s84, v11
	v_addc_co_u32_e32 v12, vcc, v13, v12, vcc
	global_load_dwordx4 v[11:14], v[11:12], off
	v_lshlrev_b32_e32 v15, 4, v1
	s_waitcnt vmcnt(0)
	v_xor_b32_e32 v12, 0x80000000, v12
	v_xor_b32_e32 v14, 0x80000000, v14
	ds_write_b128 v15, v[11:14]
.LBB94_52:
	s_or_b64 exec, exec, s[2:3]
	v_add_u32_e32 v13, 16, v2
	v_mad_u64_u32 v[11:12], s[2:3], s16, v13, v[19:20]
	v_cmp_gt_u32_e32 vcc, v0, v13
	v_lshl_add_u32 v19, v13, 5, v0
	v_mad_u64_u32 v[14:15], s[2:3], s17, v13, v[12:13]
	v_cmp_gt_i32_e64 s[2:3], s83, v13
	s_and_b64 s[2:3], vcc, s[2:3]
	s_and_b64 s[2:3], s[0:1], s[2:3]
	v_mov_b32_e32 v12, v14
	s_xor_b64 s[2:3], s[2:3], -1
	s_and_saveexec_b64 s[8:9], s[2:3]
	s_xor_b64 s[2:3], exec, s[8:9]
	s_cbranch_execz .LBB94_64
; %bb.53:
	v_cmp_ne_u32_e32 vcc, v0, v13
	s_xor_b64 s[0:1], s[0:1], -1
	s_or_b64 s[0:1], s[0:1], vcc
	s_and_saveexec_b64 s[8:9], s[0:1]
	s_xor_b64 s[0:1], exec, s[8:9]
	s_cbranch_execz .LBB94_57
; %bb.54:
	v_or_b32_e32 v11, v13, v0
	v_cmp_gt_u32_e32 vcc, 32, v11
	s_and_saveexec_b64 s[8:9], vcc
	s_cbranch_execz .LBB94_56
; %bb.55:
	v_mov_b32_e32 v11, 0
	v_lshlrev_b32_e32 v15, 4, v19
	v_mov_b32_e32 v12, v11
	v_mov_b32_e32 v13, v11
	;; [unrolled: 1-line block ×3, first 2 shown]
	ds_write_b128 v15, v[11:14]
.LBB94_56:
	s_or_b64 exec, exec, s[8:9]
                                        ; implicit-def: $vgpr19
                                        ; implicit-def: $vgpr11_vgpr12
.LBB94_57:
	s_andn2_saveexec_b64 s[0:1], s[0:1]
	s_cbranch_execz .LBB94_63
; %bb.58:
	v_lshlrev_b64 v[11:12], 4, v[11:12]
	v_mov_b32_e32 v13, s85
	v_add_co_u32_e32 v11, vcc, s84, v11
	v_addc_co_u32_e32 v12, vcc, v13, v12, vcc
	global_load_dwordx4 v[11:14], v[11:12], off
                                        ; implicit-def: $vgpr15_vgpr16
	s_waitcnt vmcnt(0)
	v_cmp_ngt_f64_e64 s[8:9], |v[11:12]|, |v[13:14]|
	s_and_saveexec_b64 s[10:11], s[8:9]
	s_xor_b64 s[8:9], exec, s[10:11]
	s_cbranch_execz .LBB94_60
; %bb.59:
	v_div_scale_f64 v[15:16], s[10:11], v[13:14], v[13:14], v[11:12]
	v_rcp_f64_e32 v[17:18], v[15:16]
	v_fma_f64 v[20:21], -v[15:16], v[17:18], 1.0
	v_fma_f64 v[17:18], v[17:18], v[20:21], v[17:18]
	v_div_scale_f64 v[20:21], vcc, v[11:12], v[13:14], v[11:12]
	v_fma_f64 v[22:23], -v[15:16], v[17:18], 1.0
	v_fma_f64 v[17:18], v[17:18], v[22:23], v[17:18]
	v_mul_f64 v[22:23], v[20:21], v[17:18]
	v_fma_f64 v[15:16], -v[15:16], v[22:23], v[20:21]
	v_div_fmas_f64 v[15:16], v[15:16], v[17:18], v[22:23]
	v_div_fixup_f64 v[15:16], v[15:16], v[13:14], v[11:12]
	v_fma_f64 v[11:12], v[11:12], v[15:16], v[13:14]
	v_div_scale_f64 v[13:14], s[10:11], v[11:12], v[11:12], 1.0
	v_div_scale_f64 v[22:23], vcc, 1.0, v[11:12], 1.0
	v_rcp_f64_e32 v[17:18], v[13:14]
	v_fma_f64 v[20:21], -v[13:14], v[17:18], 1.0
	v_fma_f64 v[17:18], v[17:18], v[20:21], v[17:18]
	v_fma_f64 v[20:21], -v[13:14], v[17:18], 1.0
	v_fma_f64 v[17:18], v[17:18], v[20:21], v[17:18]
	v_mul_f64 v[20:21], v[22:23], v[17:18]
	v_fma_f64 v[13:14], -v[13:14], v[20:21], v[22:23]
	v_div_fmas_f64 v[13:14], v[13:14], v[17:18], v[20:21]
	v_div_fixup_f64 v[17:18], v[13:14], v[11:12], 1.0
                                        ; implicit-def: $vgpr11_vgpr12
	v_mul_f64 v[15:16], v[15:16], v[17:18]
	v_xor_b32_e32 v18, 0x80000000, v18
.LBB94_60:
	s_andn2_saveexec_b64 s[8:9], s[8:9]
	s_cbranch_execz .LBB94_62
; %bb.61:
	v_div_scale_f64 v[15:16], s[10:11], v[11:12], v[11:12], v[13:14]
	v_rcp_f64_e32 v[17:18], v[15:16]
	v_fma_f64 v[20:21], -v[15:16], v[17:18], 1.0
	v_fma_f64 v[17:18], v[17:18], v[20:21], v[17:18]
	v_div_scale_f64 v[20:21], vcc, v[13:14], v[11:12], v[13:14]
	v_fma_f64 v[22:23], -v[15:16], v[17:18], 1.0
	v_fma_f64 v[17:18], v[17:18], v[22:23], v[17:18]
	v_mul_f64 v[22:23], v[20:21], v[17:18]
	v_fma_f64 v[15:16], -v[15:16], v[22:23], v[20:21]
	v_div_fmas_f64 v[15:16], v[15:16], v[17:18], v[22:23]
	v_div_fixup_f64 v[17:18], v[15:16], v[11:12], v[13:14]
	v_fma_f64 v[11:12], v[13:14], v[17:18], v[11:12]
	v_div_scale_f64 v[13:14], s[10:11], v[11:12], v[11:12], 1.0
	v_div_scale_f64 v[22:23], vcc, 1.0, v[11:12], 1.0
	v_rcp_f64_e32 v[15:16], v[13:14]
	v_fma_f64 v[20:21], -v[13:14], v[15:16], 1.0
	v_fma_f64 v[15:16], v[15:16], v[20:21], v[15:16]
	v_fma_f64 v[20:21], -v[13:14], v[15:16], 1.0
	v_fma_f64 v[15:16], v[15:16], v[20:21], v[15:16]
	v_mul_f64 v[20:21], v[22:23], v[15:16]
	v_fma_f64 v[13:14], -v[13:14], v[20:21], v[22:23]
	v_div_fmas_f64 v[13:14], v[13:14], v[15:16], v[20:21]
	v_div_fixup_f64 v[15:16], v[13:14], v[11:12], 1.0
	v_mul_f64 v[17:18], v[17:18], -v[15:16]
.LBB94_62:
	s_or_b64 exec, exec, s[8:9]
	v_lshlrev_b32_e32 v11, 4, v19
	ds_write_b128 v11, v[15:18]
.LBB94_63:
	s_or_b64 exec, exec, s[0:1]
                                        ; implicit-def: $vgpr11_vgpr12
                                        ; implicit-def: $vgpr19
.LBB94_64:
	s_andn2_saveexec_b64 s[0:1], s[2:3]
	s_cbranch_execz .LBB94_66
; %bb.65:
	v_lshlrev_b64 v[11:12], 4, v[11:12]
	v_mov_b32_e32 v13, s85
	v_add_co_u32_e32 v11, vcc, s84, v11
	v_addc_co_u32_e32 v12, vcc, v13, v12, vcc
	global_load_dwordx4 v[11:14], v[11:12], off
	v_lshlrev_b32_e32 v15, 4, v19
	s_waitcnt vmcnt(0)
	v_xor_b32_e32 v12, 0x80000000, v12
	v_xor_b32_e32 v14, 0x80000000, v14
	ds_write_b128 v15, v[11:14]
.LBB94_66:
	s_or_b64 exec, exec, s[0:1]
.LBB94_67:
	s_cmp_lt_i32 s6, 5
	s_cselect_b64 s[0:1], -1, 0
	s_or_b64 s[30:31], s[0:1], s[18:19]
	s_and_b64 vcc, exec, s[30:31]
	s_waitcnt vmcnt(0) lgkmcnt(0)
	s_barrier
	s_cbranch_vccnz .LBB94_461
; %bb.68:
	v_or_b32_e32 v11, v0, v2
	v_cmp_eq_u32_e32 vcc, 0, v11
	s_and_saveexec_b64 s[0:1], vcc
	s_cbranch_execz .LBB94_70
; %bb.69:
	v_mov_b32_e32 v25, 0
	ds_read_b128 v[11:14], v25 offset:528
	ds_read_b128 v[15:18], v25
	ds_read_b128 v[19:22], v25 offset:16
	s_waitcnt lgkmcnt(1)
	v_mul_f64 v[23:24], v[11:12], v[17:18]
	v_mul_f64 v[17:18], v[13:14], v[17:18]
	v_fma_f64 v[13:14], v[13:14], v[15:16], v[23:24]
	v_fma_f64 v[11:12], v[11:12], v[15:16], -v[17:18]
	s_waitcnt lgkmcnt(0)
	v_mul_f64 v[15:16], v[13:14], v[21:22]
	v_mul_f64 v[17:18], v[11:12], v[21:22]
	v_fma_f64 v[11:12], v[19:20], v[11:12], -v[15:16]
	v_fma_f64 v[13:14], v[19:20], v[13:14], v[17:18]
	ds_write_b128 v25, v[11:14] offset:16
.LBB94_70:
	s_or_b64 exec, exec, s[0:1]
	v_and_b32_e32 v18, 1, v0
	v_lshrrev_b32_e32 v17, 1, v1
	v_lshlrev_b32_e32 v15, 4, v18
	v_mov_b32_e32 v13, 0
	v_mov_b32_e32 v11, 0
	v_cmp_lt_u32_e64 s[2:3], 3, v1
	v_cmp_gt_u32_e64 s[0:1], 4, v1
	v_mov_b32_e32 v14, 0
	v_mov_b32_e32 v12, 0
	v_lshl_or_b32 v15, v17, 9, v15
	s_waitcnt lgkmcnt(0)
	s_barrier
	s_and_saveexec_b64 s[10:11], s[0:1]
	s_cbranch_execz .LBB94_74
; %bb.71:
	v_mul_u32_u24_e32 v11, 0x210, v17
	ds_read_b128 v[11:14], v11
	ds_read_b128 v[19:22], v15 offset:32
	v_cmp_gt_u32_e64 s[8:9], 2, v1
	s_waitcnt lgkmcnt(0)
	v_mul_f64 v[23:24], v[13:14], v[21:22]
	v_mul_f64 v[21:22], v[11:12], v[21:22]
	v_fma_f64 v[11:12], v[11:12], v[19:20], -v[23:24]
	v_fma_f64 v[13:14], v[13:14], v[19:20], v[21:22]
	v_add_f64 v[11:12], v[11:12], 0
	v_add_f64 v[13:14], v[13:14], 0
	s_and_saveexec_b64 s[12:13], s[8:9]
	s_cbranch_execz .LBB94_73
; %bb.72:
	v_mov_b32_e32 v19, 0
	v_lshlrev_b32_e32 v16, 4, v0
	ds_read_b128 v[19:22], v19 offset:16
	ds_read_b128 v[23:26], v16 offset:544
	s_waitcnt lgkmcnt(0)
	v_mul_f64 v[27:28], v[21:22], v[25:26]
	v_mul_f64 v[25:26], v[19:20], v[25:26]
	v_fma_f64 v[19:20], v[19:20], v[23:24], -v[27:28]
	v_fma_f64 v[21:22], v[21:22], v[23:24], v[25:26]
	v_add_f64 v[11:12], v[11:12], v[19:20]
	v_add_f64 v[13:14], v[13:14], v[21:22]
.LBB94_73:
	s_or_b64 exec, exec, s[12:13]
	v_xor_b32_e32 v12, 0x80000000, v12
	v_xor_b32_e32 v14, 0x80000000, v14
.LBB94_74:
	s_or_b64 exec, exec, s[10:11]
	v_mov_b32_e32 v16, 0x4000
	v_cmp_eq_u32_e64 s[8:9], 0, v18
	s_xor_b64 s[10:11], s[2:3], -1
	v_lshl_add_u32 v16, v17, 4, v16
	s_and_b64 s[36:37], s[8:9], s[10:11]
	s_and_saveexec_b64 s[2:3], s[36:37]
	s_cbranch_execz .LBB94_76
; %bb.75:
	v_mov_b32_e32 v19, 0
	ds_read_b128 v[19:22], v19 offset:1056
	s_waitcnt lgkmcnt(0)
	v_mul_f64 v[23:24], v[13:14], v[21:22]
	v_mul_f64 v[21:22], v[11:12], v[21:22]
	v_fma_f64 v[11:12], v[11:12], v[19:20], -v[23:24]
	v_fma_f64 v[13:14], v[13:14], v[19:20], v[21:22]
	ds_write_b128 v16, v[11:14]
.LBB94_76:
	s_or_b64 exec, exec, s[2:3]
	v_cmp_ne_u32_e64 s[2:3], 0, v18
	s_and_b64 s[34:35], s[2:3], s[10:11]
	s_waitcnt lgkmcnt(0)
	s_barrier
	s_and_saveexec_b64 s[2:3], s[34:35]
	s_cbranch_execz .LBB94_78
; %bb.77:
	v_mov_b32_e32 v22, 0
	ds_read_b128 v[18:21], v16
	ds_read_b128 v[22:25], v22 offset:1072
	s_waitcnt lgkmcnt(0)
	v_mul_f64 v[26:27], v[20:21], v[24:25]
	v_mul_f64 v[24:25], v[18:19], v[24:25]
	v_fma_f64 v[18:19], v[18:19], v[22:23], -v[26:27]
	v_fma_f64 v[20:21], v[20:21], v[22:23], v[24:25]
	v_add_f64 v[11:12], v[11:12], v[18:19]
	v_add_f64 v[13:14], v[13:14], v[20:21]
.LBB94_78:
	s_or_b64 exec, exec, s[2:3]
	s_barrier
	s_and_saveexec_b64 s[2:3], s[34:35]
	s_cbranch_execz .LBB94_80
; %bb.79:
	v_mov_b32_e32 v18, 0
	ds_read_b128 v[18:21], v18 offset:1584
	s_waitcnt lgkmcnt(0)
	v_mul_f64 v[22:23], v[13:14], v[20:21]
	v_mul_f64 v[20:21], v[11:12], v[20:21]
	v_fma_f64 v[11:12], v[11:12], v[18:19], -v[22:23]
	v_fma_f64 v[13:14], v[13:14], v[18:19], v[20:21]
	ds_write_b128 v16, v[11:14]
.LBB94_80:
	s_or_b64 exec, exec, s[2:3]
	s_waitcnt lgkmcnt(0)
	s_barrier
	s_barrier
	s_and_saveexec_b64 s[2:3], s[0:1]
; %bb.81:
	v_xor_b32_e32 v12, 0x80000000, v12
	v_xor_b32_e32 v14, 0x80000000, v14
	ds_write_b128 v15, v[11:14] offset:32
; %bb.82:
	s_or_b64 exec, exec, s[2:3]
	s_waitcnt lgkmcnt(0)
	s_barrier
	s_barrier
	s_and_saveexec_b64 s[2:3], vcc
	s_cbranch_execz .LBB94_84
; %bb.83:
	v_mov_b32_e32 v28, 0
	ds_read_b128 v[11:14], v28 offset:1584
	ds_read_b128 v[18:21], v28 offset:1056
	;; [unrolled: 1-line block ×3, first 2 shown]
	s_waitcnt lgkmcnt(1)
	v_mul_f64 v[26:27], v[11:12], v[20:21]
	v_mul_f64 v[20:21], v[13:14], v[20:21]
	v_fma_f64 v[13:14], v[13:14], v[18:19], v[26:27]
	v_fma_f64 v[11:12], v[11:12], v[18:19], -v[20:21]
	s_waitcnt lgkmcnt(0)
	v_mul_f64 v[18:19], v[13:14], v[24:25]
	v_mul_f64 v[20:21], v[11:12], v[24:25]
	v_fma_f64 v[11:12], v[22:23], v[11:12], -v[18:19]
	v_fma_f64 v[13:14], v[22:23], v[13:14], v[20:21]
	ds_write_b128 v28, v[11:14] offset:1072
.LBB94_84:
	s_or_b64 exec, exec, s[2:3]
	v_and_b32_e32 v21, 3, v0
	v_lshrrev_b32_e32 v22, 2, v1
	v_lshlrev_b32_e32 v19, 4, v21
	v_mov_b32_e32 v13, 0
	v_mov_b32_e32 v11, 0
	v_cmp_lt_u32_e64 s[8:9], 15, v1
	v_cmp_gt_u32_e64 s[2:3], 16, v1
	v_mov_b32_e32 v14, 0
	v_mov_b32_e32 v12, 0
	v_lshl_or_b32 v18, v22, 9, v19
	s_waitcnt lgkmcnt(0)
	s_barrier
	s_and_saveexec_b64 s[12:13], s[2:3]
	s_cbranch_execz .LBB94_90
; %bb.85:
	v_mul_u32_u24_e32 v20, 0x210, v22
	ds_read_b128 v[11:14], v20
	ds_read_b128 v[23:26], v18 offset:64
	v_cmp_gt_u32_e64 s[10:11], 12, v1
	s_waitcnt lgkmcnt(0)
	v_mul_f64 v[27:28], v[13:14], v[25:26]
	v_mul_f64 v[25:26], v[11:12], v[25:26]
	v_fma_f64 v[11:12], v[11:12], v[23:24], -v[27:28]
	v_fma_f64 v[13:14], v[13:14], v[23:24], v[25:26]
	v_add_f64 v[11:12], v[11:12], 0
	v_add_f64 v[13:14], v[13:14], 0
	s_and_saveexec_b64 s[14:15], s[10:11]
	s_cbranch_execnz .LBB94_521
; %bb.86:
	s_or_b64 exec, exec, s[14:15]
	v_cmp_gt_u32_e64 s[10:11], 8, v1
	s_and_saveexec_b64 s[14:15], s[10:11]
	s_cbranch_execnz .LBB94_522
.LBB94_87:
	s_or_b64 exec, exec, s[14:15]
	v_cmp_gt_u32_e64 s[10:11], 4, v1
	s_and_saveexec_b64 s[14:15], s[10:11]
	s_cbranch_execz .LBB94_89
.LBB94_88:
	v_mov_b32_e32 v23, 0
	v_lshlrev_b32_e32 v20, 4, v0
	ds_read_b128 v[23:26], v23 offset:48
	ds_read_b128 v[27:30], v20 offset:1600
	s_waitcnt lgkmcnt(0)
	v_mul_f64 v[31:32], v[25:26], v[29:30]
	v_mul_f64 v[29:30], v[23:24], v[29:30]
	v_fma_f64 v[23:24], v[23:24], v[27:28], -v[31:32]
	v_fma_f64 v[25:26], v[25:26], v[27:28], v[29:30]
	v_add_f64 v[11:12], v[11:12], v[23:24]
	v_add_f64 v[13:14], v[13:14], v[25:26]
.LBB94_89:
	s_or_b64 exec, exec, s[14:15]
	v_xor_b32_e32 v12, 0x80000000, v12
	v_xor_b32_e32 v14, 0x80000000, v14
.LBB94_90:
	s_or_b64 exec, exec, s[12:13]
	v_mov_b32_e32 v20, 0x4000
	v_cmp_eq_u32_e64 s[10:11], 0, v21
	s_xor_b64 s[12:13], s[8:9], -1
	v_lshl_add_u32 v20, v22, 4, v20
	s_and_b64 s[40:41], s[10:11], s[12:13]
	s_and_saveexec_b64 s[8:9], s[40:41]
	s_cbranch_execz .LBB94_92
; %bb.91:
	v_mov_b32_e32 v23, 0
	ds_read_b128 v[23:26], v23 offset:2112
	s_waitcnt lgkmcnt(0)
	v_mul_f64 v[27:28], v[13:14], v[25:26]
	v_mul_f64 v[25:26], v[11:12], v[25:26]
	v_fma_f64 v[11:12], v[11:12], v[23:24], -v[27:28]
	v_fma_f64 v[13:14], v[13:14], v[23:24], v[25:26]
	ds_write_b128 v20, v[11:14]
.LBB94_92:
	s_or_b64 exec, exec, s[8:9]
	v_cmp_ne_u32_e64 s[8:9], 0, v21
	s_and_b64 s[42:43], s[8:9], s[12:13]
	s_waitcnt lgkmcnt(0)
	s_barrier
	s_and_saveexec_b64 s[8:9], s[42:43]
	s_cbranch_execz .LBB94_94
; %bb.93:
	ds_read_b128 v[23:26], v20
	ds_read_b128 v[27:30], v19 offset:2112
	s_waitcnt lgkmcnt(0)
	v_mul_f64 v[31:32], v[25:26], v[29:30]
	v_mul_f64 v[29:30], v[23:24], v[29:30]
	v_fma_f64 v[23:24], v[23:24], v[27:28], -v[31:32]
	v_fma_f64 v[25:26], v[25:26], v[27:28], v[29:30]
	v_add_f64 v[11:12], v[11:12], v[23:24]
	v_add_f64 v[13:14], v[13:14], v[25:26]
.LBB94_94:
	s_or_b64 exec, exec, s[8:9]
	v_cmp_eq_u32_e64 s[8:9], 1, v21
	s_and_b64 s[44:45], s[8:9], s[12:13]
	s_barrier
	s_and_saveexec_b64 s[8:9], s[44:45]
	s_cbranch_execz .LBB94_96
; %bb.95:
	v_mov_b32_e32 v23, 0
	ds_read_b128 v[23:26], v23 offset:2640
	s_waitcnt lgkmcnt(0)
	v_mul_f64 v[27:28], v[13:14], v[25:26]
	v_mul_f64 v[25:26], v[11:12], v[25:26]
	v_fma_f64 v[11:12], v[11:12], v[23:24], -v[27:28]
	v_fma_f64 v[13:14], v[13:14], v[23:24], v[25:26]
	ds_write_b128 v20, v[11:14]
.LBB94_96:
	s_or_b64 exec, exec, s[8:9]
	v_cmp_lt_u32_e64 s[8:9], 1, v21
	s_and_b64 s[46:47], s[8:9], s[12:13]
	s_waitcnt lgkmcnt(0)
	s_barrier
	s_and_saveexec_b64 s[8:9], s[46:47]
	s_cbranch_execz .LBB94_98
; %bb.97:
	ds_read_b128 v[23:26], v20
	ds_read_b128 v[27:30], v19 offset:2624
	s_waitcnt lgkmcnt(0)
	v_mul_f64 v[31:32], v[25:26], v[29:30]
	v_mul_f64 v[29:30], v[23:24], v[29:30]
	v_fma_f64 v[23:24], v[23:24], v[27:28], -v[31:32]
	v_fma_f64 v[25:26], v[25:26], v[27:28], v[29:30]
	v_add_f64 v[11:12], v[11:12], v[23:24]
	v_add_f64 v[13:14], v[13:14], v[25:26]
.LBB94_98:
	s_or_b64 exec, exec, s[8:9]
	v_cmp_eq_u32_e64 s[8:9], 2, v21
	s_and_b64 s[48:49], s[8:9], s[12:13]
	s_barrier
	s_and_saveexec_b64 s[8:9], s[48:49]
	s_cbranch_execz .LBB94_100
; %bb.99:
	v_mov_b32_e32 v23, 0
	ds_read_b128 v[23:26], v23 offset:3168
	s_waitcnt lgkmcnt(0)
	v_mul_f64 v[27:28], v[13:14], v[25:26]
	v_mul_f64 v[25:26], v[11:12], v[25:26]
	v_fma_f64 v[11:12], v[11:12], v[23:24], -v[27:28]
	v_fma_f64 v[13:14], v[13:14], v[23:24], v[25:26]
	ds_write_b128 v20, v[11:14]
.LBB94_100:
	s_or_b64 exec, exec, s[8:9]
	v_cmp_eq_u32_e64 s[8:9], 3, v21
	s_and_b64 s[38:39], s[8:9], s[12:13]
	s_waitcnt lgkmcnt(0)
	s_barrier
	s_and_saveexec_b64 s[8:9], s[38:39]
	s_cbranch_execz .LBB94_102
; %bb.101:
	v_mov_b32_e32 v27, 0
	ds_read_b128 v[23:26], v20
	ds_read_b128 v[27:30], v27 offset:3184
	s_waitcnt lgkmcnt(0)
	v_mul_f64 v[31:32], v[25:26], v[29:30]
	v_mul_f64 v[29:30], v[23:24], v[29:30]
	v_fma_f64 v[23:24], v[23:24], v[27:28], -v[31:32]
	v_fma_f64 v[25:26], v[25:26], v[27:28], v[29:30]
	v_add_f64 v[11:12], v[11:12], v[23:24]
	v_add_f64 v[13:14], v[13:14], v[25:26]
.LBB94_102:
	s_or_b64 exec, exec, s[8:9]
	s_barrier
	s_and_saveexec_b64 s[8:9], s[38:39]
	s_cbranch_execz .LBB94_104
; %bb.103:
	v_mov_b32_e32 v23, 0
	ds_read_b128 v[23:26], v23 offset:3696
	s_waitcnt lgkmcnt(0)
	v_mul_f64 v[27:28], v[13:14], v[25:26]
	v_mul_f64 v[25:26], v[11:12], v[25:26]
	v_fma_f64 v[11:12], v[11:12], v[23:24], -v[27:28]
	v_fma_f64 v[13:14], v[13:14], v[23:24], v[25:26]
	ds_write_b128 v20, v[11:14]
.LBB94_104:
	s_or_b64 exec, exec, s[8:9]
	s_waitcnt lgkmcnt(0)
	s_barrier
	s_barrier
	s_and_saveexec_b64 s[8:9], s[2:3]
; %bb.105:
	v_xor_b32_e32 v14, 0x80000000, v14
	v_xor_b32_e32 v12, 0x80000000, v12
	ds_write_b128 v18, v[11:14] offset:64
; %bb.106:
	s_or_b64 exec, exec, s[8:9]
	s_waitcnt lgkmcnt(0)
	s_barrier
	s_barrier
	s_and_saveexec_b64 s[8:9], vcc
	s_cbranch_execz .LBB94_108
; %bb.107:
	v_mov_b32_e32 v33, 0
	ds_read_b128 v[11:14], v33 offset:2640
	ds_read_b128 v[23:26], v33 offset:2112
	;; [unrolled: 1-line block ×3, first 2 shown]
	s_waitcnt lgkmcnt(1)
	v_mul_f64 v[31:32], v[11:12], v[25:26]
	v_mul_f64 v[25:26], v[13:14], v[25:26]
	v_fma_f64 v[13:14], v[13:14], v[23:24], v[31:32]
	v_fma_f64 v[11:12], v[11:12], v[23:24], -v[25:26]
	s_waitcnt lgkmcnt(0)
	v_mul_f64 v[23:24], v[13:14], v[29:30]
	v_mul_f64 v[25:26], v[11:12], v[29:30]
	v_fma_f64 v[11:12], v[27:28], v[11:12], -v[23:24]
	v_fma_f64 v[13:14], v[27:28], v[13:14], v[25:26]
	ds_write_b128 v33, v[11:14] offset:2128
.LBB94_108:
	s_or_b64 exec, exec, s[8:9]
	v_mov_b32_e32 v13, 0
	v_mov_b32_e32 v11, 0
	;; [unrolled: 1-line block ×4, first 2 shown]
	s_waitcnt lgkmcnt(0)
	s_barrier
	s_and_saveexec_b64 s[10:11], s[0:1]
	s_cbranch_execz .LBB94_112
; %bb.109:
	v_mul_u32_u24_e32 v11, 0x210, v17
	ds_read_b128 v[11:14], v11 offset:2112
	ds_read_b128 v[23:26], v15 offset:2144
	v_cmp_gt_u32_e64 s[8:9], 2, v1
	s_waitcnt lgkmcnt(0)
	v_mul_f64 v[27:28], v[13:14], v[25:26]
	v_mul_f64 v[25:26], v[11:12], v[25:26]
	v_fma_f64 v[11:12], v[11:12], v[23:24], -v[27:28]
	v_fma_f64 v[13:14], v[13:14], v[23:24], v[25:26]
	v_add_f64 v[11:12], v[11:12], 0
	v_add_f64 v[13:14], v[13:14], 0
	s_and_saveexec_b64 s[12:13], s[8:9]
	s_cbranch_execz .LBB94_111
; %bb.110:
	v_lshlrev_b32_e32 v27, 4, v0
	v_mov_b32_e32 v23, 0
	ds_read_b128 v[23:26], v23 offset:2128
	ds_read_b128 v[27:30], v27 offset:2656
	s_waitcnt lgkmcnt(0)
	v_mul_f64 v[31:32], v[25:26], v[29:30]
	v_mul_f64 v[29:30], v[23:24], v[29:30]
	v_fma_f64 v[23:24], v[23:24], v[27:28], -v[31:32]
	v_fma_f64 v[25:26], v[25:26], v[27:28], v[29:30]
	v_add_f64 v[11:12], v[11:12], v[23:24]
	v_add_f64 v[13:14], v[13:14], v[25:26]
.LBB94_111:
	s_or_b64 exec, exec, s[12:13]
	v_xor_b32_e32 v12, 0x80000000, v12
	v_xor_b32_e32 v14, 0x80000000, v14
.LBB94_112:
	s_or_b64 exec, exec, s[10:11]
	s_and_saveexec_b64 s[8:9], s[36:37]
	s_cbranch_execz .LBB94_114
; %bb.113:
	v_mov_b32_e32 v23, 0
	ds_read_b128 v[23:26], v23 offset:3168
	s_waitcnt lgkmcnt(0)
	v_mul_f64 v[27:28], v[13:14], v[25:26]
	v_mul_f64 v[25:26], v[11:12], v[25:26]
	v_fma_f64 v[11:12], v[11:12], v[23:24], -v[27:28]
	v_fma_f64 v[13:14], v[13:14], v[23:24], v[25:26]
	ds_write_b128 v16, v[11:14]
.LBB94_114:
	s_or_b64 exec, exec, s[8:9]
	s_waitcnt lgkmcnt(0)
	s_barrier
	s_and_saveexec_b64 s[8:9], s[34:35]
	s_cbranch_execz .LBB94_116
; %bb.115:
	v_mov_b32_e32 v27, 0
	ds_read_b128 v[23:26], v16
	ds_read_b128 v[27:30], v27 offset:3184
	s_waitcnt lgkmcnt(0)
	v_mul_f64 v[31:32], v[25:26], v[29:30]
	v_mul_f64 v[29:30], v[23:24], v[29:30]
	v_fma_f64 v[23:24], v[23:24], v[27:28], -v[31:32]
	v_fma_f64 v[25:26], v[25:26], v[27:28], v[29:30]
	v_add_f64 v[11:12], v[11:12], v[23:24]
	v_add_f64 v[13:14], v[13:14], v[25:26]
.LBB94_116:
	s_or_b64 exec, exec, s[8:9]
	s_barrier
	s_and_saveexec_b64 s[8:9], s[34:35]
	s_cbranch_execz .LBB94_118
; %bb.117:
	v_mov_b32_e32 v23, 0
	ds_read_b128 v[23:26], v23 offset:3696
	s_waitcnt lgkmcnt(0)
	v_mul_f64 v[27:28], v[13:14], v[25:26]
	v_mul_f64 v[25:26], v[11:12], v[25:26]
	v_fma_f64 v[11:12], v[11:12], v[23:24], -v[27:28]
	v_fma_f64 v[13:14], v[13:14], v[23:24], v[25:26]
	ds_write_b128 v16, v[11:14]
.LBB94_118:
	s_or_b64 exec, exec, s[8:9]
	s_waitcnt lgkmcnt(0)
	s_barrier
	s_barrier
	s_and_saveexec_b64 s[8:9], s[0:1]
; %bb.119:
	v_xor_b32_e32 v12, 0x80000000, v12
	v_xor_b32_e32 v14, 0x80000000, v14
	ds_write_b128 v15, v[11:14] offset:2144
; %bb.120:
	s_or_b64 exec, exec, s[8:9]
	s_waitcnt lgkmcnt(0)
	s_barrier
	s_barrier
	s_and_saveexec_b64 s[8:9], vcc
	s_cbranch_execz .LBB94_122
; %bb.121:
	v_mov_b32_e32 v33, 0
	ds_read_b128 v[11:14], v33 offset:3696
	ds_read_b128 v[23:26], v33 offset:3168
	;; [unrolled: 1-line block ×3, first 2 shown]
	s_waitcnt lgkmcnt(1)
	v_mul_f64 v[31:32], v[11:12], v[25:26]
	v_mul_f64 v[25:26], v[13:14], v[25:26]
	v_fma_f64 v[13:14], v[13:14], v[23:24], v[31:32]
	v_fma_f64 v[11:12], v[11:12], v[23:24], -v[25:26]
	s_waitcnt lgkmcnt(0)
	v_mul_f64 v[23:24], v[13:14], v[29:30]
	v_mul_f64 v[25:26], v[11:12], v[29:30]
	v_fma_f64 v[11:12], v[27:28], v[11:12], -v[23:24]
	v_fma_f64 v[13:14], v[27:28], v[13:14], v[25:26]
	ds_write_b128 v33, v[11:14] offset:3184
.LBB94_122:
	s_or_b64 exec, exec, s[8:9]
	v_and_b32_e32 v26, 7, v0
	v_lshrrev_b32_e32 v27, 3, v1
	v_lshlrev_b32_e32 v24, 4, v26
	v_mov_b32_e32 v13, 0
	v_mov_b32_e32 v11, 0
	v_cmp_lt_u32_e64 s[8:9], 63, v1
	v_cmp_gt_u32_e64 s[12:13], 64, v1
	v_mov_b32_e32 v14, 0
	v_mov_b32_e32 v12, 0
	v_lshl_or_b32 v23, v27, 9, v24
	s_waitcnt lgkmcnt(0)
	s_barrier
	s_and_saveexec_b64 s[14:15], s[12:13]
	s_cbranch_execz .LBB94_132
; %bb.123:
	v_mul_u32_u24_e32 v25, 0x210, v27
	ds_read_b128 v[11:14], v25
	ds_read_b128 v[28:31], v23 offset:128
	v_cmp_gt_u32_e64 s[10:11], 56, v1
	s_waitcnt lgkmcnt(0)
	v_mul_f64 v[32:33], v[13:14], v[30:31]
	v_mul_f64 v[30:31], v[11:12], v[30:31]
	v_fma_f64 v[11:12], v[11:12], v[28:29], -v[32:33]
	v_fma_f64 v[13:14], v[13:14], v[28:29], v[30:31]
	v_add_f64 v[11:12], v[11:12], 0
	v_add_f64 v[13:14], v[13:14], 0
	s_and_saveexec_b64 s[50:51], s[10:11]
	s_cbranch_execnz .LBB94_523
; %bb.124:
	s_or_b64 exec, exec, s[50:51]
	v_cmp_gt_u32_e64 s[10:11], 48, v1
	s_and_saveexec_b64 s[50:51], s[10:11]
	s_cbranch_execnz .LBB94_524
.LBB94_125:
	s_or_b64 exec, exec, s[50:51]
	v_cmp_gt_u32_e64 s[10:11], 40, v1
	s_and_saveexec_b64 s[50:51], s[10:11]
	s_cbranch_execnz .LBB94_525
.LBB94_126:
	s_or_b64 exec, exec, s[50:51]
	v_cmp_gt_u32_e64 s[10:11], 32, v1
	s_and_saveexec_b64 s[50:51], s[10:11]
	s_cbranch_execnz .LBB94_526
.LBB94_127:
	s_or_b64 exec, exec, s[50:51]
	v_cmp_gt_u32_e64 s[10:11], 24, v1
	s_and_saveexec_b64 s[50:51], s[10:11]
	s_cbranch_execnz .LBB94_527
.LBB94_128:
	s_or_b64 exec, exec, s[50:51]
	v_cmp_gt_u32_e64 s[10:11], 16, v1
	s_and_saveexec_b64 s[50:51], s[10:11]
	s_cbranch_execnz .LBB94_528
.LBB94_129:
	s_or_b64 exec, exec, s[50:51]
	v_cmp_gt_u32_e64 s[10:11], 8, v1
	s_and_saveexec_b64 s[50:51], s[10:11]
	s_cbranch_execz .LBB94_131
.LBB94_130:
	v_mov_b32_e32 v28, 0
	v_lshlrev_b32_e32 v25, 4, v0
	ds_read_b128 v[28:31], v28 offset:112
	ds_read_b128 v[32:35], v25 offset:3712
	s_waitcnt lgkmcnt(0)
	v_mul_f64 v[36:37], v[30:31], v[34:35]
	v_mul_f64 v[34:35], v[28:29], v[34:35]
	v_fma_f64 v[28:29], v[28:29], v[32:33], -v[36:37]
	v_fma_f64 v[30:31], v[30:31], v[32:33], v[34:35]
	v_add_f64 v[11:12], v[11:12], v[28:29]
	v_add_f64 v[13:14], v[13:14], v[30:31]
.LBB94_131:
	s_or_b64 exec, exec, s[50:51]
	v_xor_b32_e32 v12, 0x80000000, v12
	v_xor_b32_e32 v14, 0x80000000, v14
.LBB94_132:
	s_or_b64 exec, exec, s[14:15]
	v_mov_b32_e32 v25, 0x4000
	v_cmp_eq_u32_e64 s[10:11], 0, v26
	s_xor_b64 s[14:15], s[8:9], -1
	v_lshl_add_u32 v25, v27, 4, v25
	s_and_b64 s[52:53], s[10:11], s[14:15]
	s_and_saveexec_b64 s[8:9], s[52:53]
	s_cbranch_execz .LBB94_134
; %bb.133:
	v_mov_b32_e32 v28, 0
	ds_read_b128 v[28:31], v28 offset:4224
	s_waitcnt lgkmcnt(0)
	v_mul_f64 v[32:33], v[13:14], v[30:31]
	v_mul_f64 v[30:31], v[11:12], v[30:31]
	v_fma_f64 v[11:12], v[11:12], v[28:29], -v[32:33]
	v_fma_f64 v[13:14], v[13:14], v[28:29], v[30:31]
	ds_write_b128 v25, v[11:14]
.LBB94_134:
	s_or_b64 exec, exec, s[8:9]
	v_cmp_ne_u32_e64 s[8:9], 0, v26
	s_and_b64 s[54:55], s[8:9], s[14:15]
	s_waitcnt lgkmcnt(0)
	s_barrier
	s_and_saveexec_b64 s[8:9], s[54:55]
	s_cbranch_execz .LBB94_136
; %bb.135:
	ds_read_b128 v[28:31], v25
	ds_read_b128 v[32:35], v24 offset:4224
	s_waitcnt lgkmcnt(0)
	v_mul_f64 v[36:37], v[30:31], v[34:35]
	v_mul_f64 v[34:35], v[28:29], v[34:35]
	v_fma_f64 v[28:29], v[28:29], v[32:33], -v[36:37]
	v_fma_f64 v[30:31], v[30:31], v[32:33], v[34:35]
	v_add_f64 v[11:12], v[11:12], v[28:29]
	v_add_f64 v[13:14], v[13:14], v[30:31]
.LBB94_136:
	s_or_b64 exec, exec, s[8:9]
	v_cmp_eq_u32_e64 s[8:9], 1, v26
	s_and_b64 s[56:57], s[8:9], s[14:15]
	s_barrier
	s_and_saveexec_b64 s[8:9], s[56:57]
	s_cbranch_execz .LBB94_138
; %bb.137:
	v_mov_b32_e32 v28, 0
	ds_read_b128 v[28:31], v28 offset:4752
	s_waitcnt lgkmcnt(0)
	v_mul_f64 v[32:33], v[13:14], v[30:31]
	v_mul_f64 v[30:31], v[11:12], v[30:31]
	v_fma_f64 v[11:12], v[11:12], v[28:29], -v[32:33]
	v_fma_f64 v[13:14], v[13:14], v[28:29], v[30:31]
	ds_write_b128 v25, v[11:14]
.LBB94_138:
	s_or_b64 exec, exec, s[8:9]
	v_cmp_lt_u32_e64 s[8:9], 1, v26
	s_and_b64 s[58:59], s[8:9], s[14:15]
	s_waitcnt lgkmcnt(0)
	s_barrier
	s_and_saveexec_b64 s[8:9], s[58:59]
	s_cbranch_execz .LBB94_140
; %bb.139:
	ds_read_b128 v[28:31], v25
	ds_read_b128 v[32:35], v24 offset:4736
	s_waitcnt lgkmcnt(0)
	v_mul_f64 v[36:37], v[30:31], v[34:35]
	v_mul_f64 v[34:35], v[28:29], v[34:35]
	v_fma_f64 v[28:29], v[28:29], v[32:33], -v[36:37]
	v_fma_f64 v[30:31], v[30:31], v[32:33], v[34:35]
	v_add_f64 v[11:12], v[11:12], v[28:29]
	v_add_f64 v[13:14], v[13:14], v[30:31]
.LBB94_140:
	s_or_b64 exec, exec, s[8:9]
	v_cmp_eq_u32_e64 s[8:9], 2, v26
	s_and_b64 s[60:61], s[8:9], s[14:15]
	s_barrier
	s_and_saveexec_b64 s[8:9], s[60:61]
	s_cbranch_execz .LBB94_142
; %bb.141:
	v_mov_b32_e32 v28, 0
	ds_read_b128 v[28:31], v28 offset:5280
	s_waitcnt lgkmcnt(0)
	v_mul_f64 v[32:33], v[13:14], v[30:31]
	v_mul_f64 v[30:31], v[11:12], v[30:31]
	v_fma_f64 v[11:12], v[11:12], v[28:29], -v[32:33]
	v_fma_f64 v[13:14], v[13:14], v[28:29], v[30:31]
	ds_write_b128 v25, v[11:14]
.LBB94_142:
	s_or_b64 exec, exec, s[8:9]
	v_cmp_lt_u32_e64 s[8:9], 2, v26
	;; [unrolled: 34-line block ×5, first 2 shown]
	s_and_b64 s[74:75], s[8:9], s[14:15]
	s_waitcnt lgkmcnt(0)
	s_barrier
	s_and_saveexec_b64 s[8:9], s[74:75]
	s_cbranch_execz .LBB94_156
; %bb.155:
	ds_read_b128 v[28:31], v25
	ds_read_b128 v[32:35], v24 offset:6784
	s_waitcnt lgkmcnt(0)
	v_mul_f64 v[36:37], v[30:31], v[34:35]
	v_mul_f64 v[34:35], v[28:29], v[34:35]
	v_fma_f64 v[28:29], v[28:29], v[32:33], -v[36:37]
	v_fma_f64 v[30:31], v[30:31], v[32:33], v[34:35]
	v_add_f64 v[11:12], v[11:12], v[28:29]
	v_add_f64 v[13:14], v[13:14], v[30:31]
.LBB94_156:
	s_or_b64 exec, exec, s[8:9]
	v_cmp_eq_u32_e64 s[8:9], 6, v26
	s_and_b64 s[76:77], s[8:9], s[14:15]
	s_barrier
	s_and_saveexec_b64 s[8:9], s[76:77]
	s_cbranch_execz .LBB94_158
; %bb.157:
	v_mov_b32_e32 v28, 0
	ds_read_b128 v[28:31], v28 offset:7392
	s_waitcnt lgkmcnt(0)
	v_mul_f64 v[32:33], v[13:14], v[30:31]
	v_mul_f64 v[30:31], v[11:12], v[30:31]
	v_fma_f64 v[11:12], v[11:12], v[28:29], -v[32:33]
	v_fma_f64 v[13:14], v[13:14], v[28:29], v[30:31]
	ds_write_b128 v25, v[11:14]
.LBB94_158:
	s_or_b64 exec, exec, s[8:9]
	v_cmp_eq_u32_e64 s[8:9], 7, v26
	s_and_b64 s[50:51], s[8:9], s[14:15]
	s_waitcnt lgkmcnt(0)
	s_barrier
	s_and_saveexec_b64 s[8:9], s[50:51]
	s_cbranch_execz .LBB94_160
; %bb.159:
	v_mov_b32_e32 v32, 0
	ds_read_b128 v[28:31], v25
	ds_read_b128 v[32:35], v32 offset:7408
	s_waitcnt lgkmcnt(0)
	v_mul_f64 v[36:37], v[30:31], v[34:35]
	v_mul_f64 v[34:35], v[28:29], v[34:35]
	v_fma_f64 v[28:29], v[28:29], v[32:33], -v[36:37]
	v_fma_f64 v[30:31], v[30:31], v[32:33], v[34:35]
	v_add_f64 v[11:12], v[11:12], v[28:29]
	v_add_f64 v[13:14], v[13:14], v[30:31]
.LBB94_160:
	s_or_b64 exec, exec, s[8:9]
	s_barrier
	s_and_saveexec_b64 s[8:9], s[50:51]
	s_cbranch_execz .LBB94_162
; %bb.161:
	v_mov_b32_e32 v28, 0
	ds_read_b128 v[28:31], v28 offset:7920
	s_waitcnt lgkmcnt(0)
	v_mul_f64 v[32:33], v[13:14], v[30:31]
	v_mul_f64 v[30:31], v[11:12], v[30:31]
	v_fma_f64 v[11:12], v[11:12], v[28:29], -v[32:33]
	v_fma_f64 v[13:14], v[13:14], v[28:29], v[30:31]
	ds_write_b128 v25, v[11:14]
.LBB94_162:
	s_or_b64 exec, exec, s[8:9]
	s_waitcnt lgkmcnt(0)
	s_barrier
	s_barrier
	s_and_saveexec_b64 s[8:9], s[12:13]
; %bb.163:
	v_xor_b32_e32 v12, 0x80000000, v12
	v_xor_b32_e32 v14, 0x80000000, v14
	ds_write_b128 v23, v[11:14] offset:128
; %bb.164:
	s_or_b64 exec, exec, s[8:9]
	s_waitcnt lgkmcnt(0)
	s_barrier
	s_barrier
	s_and_saveexec_b64 s[8:9], vcc
	s_cbranch_execz .LBB94_166
; %bb.165:
	v_mov_b32_e32 v38, 0
	ds_read_b128 v[11:14], v38 offset:4752
	ds_read_b128 v[28:31], v38 offset:4224
	;; [unrolled: 1-line block ×3, first 2 shown]
	s_waitcnt lgkmcnt(1)
	v_mul_f64 v[36:37], v[11:12], v[30:31]
	v_mul_f64 v[30:31], v[13:14], v[30:31]
	v_fma_f64 v[13:14], v[13:14], v[28:29], v[36:37]
	v_fma_f64 v[11:12], v[11:12], v[28:29], -v[30:31]
	s_waitcnt lgkmcnt(0)
	v_mul_f64 v[28:29], v[13:14], v[34:35]
	v_mul_f64 v[30:31], v[11:12], v[34:35]
	v_fma_f64 v[11:12], v[32:33], v[11:12], -v[28:29]
	v_fma_f64 v[13:14], v[32:33], v[13:14], v[30:31]
	ds_write_b128 v38, v[11:14] offset:4240
.LBB94_166:
	s_or_b64 exec, exec, s[8:9]
	v_mov_b32_e32 v13, 0
	v_mov_b32_e32 v11, 0
	;; [unrolled: 1-line block ×4, first 2 shown]
	s_waitcnt lgkmcnt(0)
	s_barrier
	s_and_saveexec_b64 s[10:11], s[0:1]
	s_cbranch_execz .LBB94_170
; %bb.167:
	v_mul_u32_u24_e32 v11, 0x210, v17
	ds_read_b128 v[11:14], v11 offset:4224
	ds_read_b128 v[28:31], v15 offset:4256
	v_cmp_gt_u32_e64 s[8:9], 2, v1
	s_waitcnt lgkmcnt(0)
	v_mul_f64 v[32:33], v[13:14], v[30:31]
	v_mul_f64 v[30:31], v[11:12], v[30:31]
	v_fma_f64 v[11:12], v[11:12], v[28:29], -v[32:33]
	v_fma_f64 v[13:14], v[13:14], v[28:29], v[30:31]
	v_add_f64 v[11:12], v[11:12], 0
	v_add_f64 v[13:14], v[13:14], 0
	s_and_saveexec_b64 s[14:15], s[8:9]
	s_cbranch_execz .LBB94_169
; %bb.168:
	v_lshlrev_b32_e32 v32, 4, v0
	v_mov_b32_e32 v28, 0
	ds_read_b128 v[28:31], v28 offset:4240
	ds_read_b128 v[32:35], v32 offset:4768
	s_waitcnt lgkmcnt(0)
	v_mul_f64 v[36:37], v[30:31], v[34:35]
	v_mul_f64 v[34:35], v[28:29], v[34:35]
	v_fma_f64 v[28:29], v[28:29], v[32:33], -v[36:37]
	v_fma_f64 v[30:31], v[30:31], v[32:33], v[34:35]
	v_add_f64 v[11:12], v[11:12], v[28:29]
	v_add_f64 v[13:14], v[13:14], v[30:31]
.LBB94_169:
	s_or_b64 exec, exec, s[14:15]
	v_xor_b32_e32 v12, 0x80000000, v12
	v_xor_b32_e32 v14, 0x80000000, v14
.LBB94_170:
	s_or_b64 exec, exec, s[10:11]
	s_and_saveexec_b64 s[8:9], s[36:37]
	s_cbranch_execz .LBB94_172
; %bb.171:
	v_mov_b32_e32 v28, 0
	ds_read_b128 v[28:31], v28 offset:5280
	s_waitcnt lgkmcnt(0)
	v_mul_f64 v[32:33], v[13:14], v[30:31]
	v_mul_f64 v[30:31], v[11:12], v[30:31]
	v_fma_f64 v[11:12], v[11:12], v[28:29], -v[32:33]
	v_fma_f64 v[13:14], v[13:14], v[28:29], v[30:31]
	ds_write_b128 v16, v[11:14]
.LBB94_172:
	s_or_b64 exec, exec, s[8:9]
	s_waitcnt lgkmcnt(0)
	s_barrier
	s_and_saveexec_b64 s[8:9], s[34:35]
	s_cbranch_execz .LBB94_174
; %bb.173:
	v_mov_b32_e32 v32, 0
	ds_read_b128 v[28:31], v16
	ds_read_b128 v[32:35], v32 offset:5296
	s_waitcnt lgkmcnt(0)
	v_mul_f64 v[36:37], v[30:31], v[34:35]
	v_mul_f64 v[34:35], v[28:29], v[34:35]
	v_fma_f64 v[28:29], v[28:29], v[32:33], -v[36:37]
	v_fma_f64 v[30:31], v[30:31], v[32:33], v[34:35]
	v_add_f64 v[11:12], v[11:12], v[28:29]
	v_add_f64 v[13:14], v[13:14], v[30:31]
.LBB94_174:
	s_or_b64 exec, exec, s[8:9]
	s_barrier
	s_and_saveexec_b64 s[8:9], s[34:35]
	s_cbranch_execz .LBB94_176
; %bb.175:
	v_mov_b32_e32 v28, 0
	ds_read_b128 v[28:31], v28 offset:5808
	s_waitcnt lgkmcnt(0)
	v_mul_f64 v[32:33], v[13:14], v[30:31]
	v_mul_f64 v[30:31], v[11:12], v[30:31]
	v_fma_f64 v[11:12], v[11:12], v[28:29], -v[32:33]
	v_fma_f64 v[13:14], v[13:14], v[28:29], v[30:31]
	ds_write_b128 v16, v[11:14]
.LBB94_176:
	s_or_b64 exec, exec, s[8:9]
	s_waitcnt lgkmcnt(0)
	s_barrier
	s_barrier
	s_and_saveexec_b64 s[8:9], s[0:1]
; %bb.177:
	v_xor_b32_e32 v12, 0x80000000, v12
	v_xor_b32_e32 v14, 0x80000000, v14
	ds_write_b128 v15, v[11:14] offset:4256
; %bb.178:
	s_or_b64 exec, exec, s[8:9]
	s_waitcnt lgkmcnt(0)
	s_barrier
	s_barrier
	s_and_saveexec_b64 s[8:9], vcc
	s_cbranch_execz .LBB94_180
; %bb.179:
	v_mov_b32_e32 v38, 0
	ds_read_b128 v[11:14], v38 offset:5808
	ds_read_b128 v[28:31], v38 offset:5280
	;; [unrolled: 1-line block ×3, first 2 shown]
	s_waitcnt lgkmcnt(1)
	v_mul_f64 v[36:37], v[11:12], v[30:31]
	v_mul_f64 v[30:31], v[13:14], v[30:31]
	v_fma_f64 v[13:14], v[13:14], v[28:29], v[36:37]
	v_fma_f64 v[11:12], v[11:12], v[28:29], -v[30:31]
	s_waitcnt lgkmcnt(0)
	v_mul_f64 v[28:29], v[13:14], v[34:35]
	v_mul_f64 v[30:31], v[11:12], v[34:35]
	v_fma_f64 v[11:12], v[32:33], v[11:12], -v[28:29]
	v_fma_f64 v[13:14], v[32:33], v[13:14], v[30:31]
	ds_write_b128 v38, v[11:14] offset:5296
.LBB94_180:
	s_or_b64 exec, exec, s[8:9]
	v_mov_b32_e32 v13, 0
	v_mov_b32_e32 v11, 0
	v_mov_b32_e32 v14, 0
	v_mov_b32_e32 v12, 0
	s_waitcnt lgkmcnt(0)
	s_barrier
	s_and_saveexec_b64 s[10:11], s[2:3]
	s_cbranch_execz .LBB94_186
; %bb.181:
	v_mul_u32_u24_e32 v28, 0x210, v22
	ds_read_b128 v[11:14], v28 offset:4224
	ds_read_b128 v[29:32], v18 offset:4288
	v_cmp_gt_u32_e64 s[8:9], 12, v1
	s_waitcnt lgkmcnt(0)
	v_mul_f64 v[33:34], v[13:14], v[31:32]
	v_mul_f64 v[31:32], v[11:12], v[31:32]
	v_fma_f64 v[11:12], v[11:12], v[29:30], -v[33:34]
	v_fma_f64 v[13:14], v[13:14], v[29:30], v[31:32]
	v_add_f64 v[11:12], v[11:12], 0
	v_add_f64 v[13:14], v[13:14], 0
	s_and_saveexec_b64 s[14:15], s[8:9]
	s_cbranch_execnz .LBB94_529
; %bb.182:
	s_or_b64 exec, exec, s[14:15]
	v_cmp_gt_u32_e64 s[8:9], 8, v1
	s_and_saveexec_b64 s[14:15], s[8:9]
	s_cbranch_execnz .LBB94_530
.LBB94_183:
	s_or_b64 exec, exec, s[14:15]
	v_cmp_gt_u32_e64 s[8:9], 4, v1
	s_and_saveexec_b64 s[14:15], s[8:9]
	s_cbranch_execz .LBB94_185
.LBB94_184:
	v_lshlrev_b32_e32 v32, 4, v0
	v_mov_b32_e32 v28, 0
	ds_read_b128 v[28:31], v28 offset:4272
	ds_read_b128 v[32:35], v32 offset:5824
	s_waitcnt lgkmcnt(0)
	v_mul_f64 v[36:37], v[30:31], v[34:35]
	v_mul_f64 v[34:35], v[28:29], v[34:35]
	v_fma_f64 v[28:29], v[28:29], v[32:33], -v[36:37]
	v_fma_f64 v[30:31], v[30:31], v[32:33], v[34:35]
	v_add_f64 v[11:12], v[11:12], v[28:29]
	v_add_f64 v[13:14], v[13:14], v[30:31]
.LBB94_185:
	s_or_b64 exec, exec, s[14:15]
	v_xor_b32_e32 v12, 0x80000000, v12
	v_xor_b32_e32 v14, 0x80000000, v14
.LBB94_186:
	s_or_b64 exec, exec, s[10:11]
	s_and_saveexec_b64 s[8:9], s[40:41]
	s_cbranch_execz .LBB94_188
; %bb.187:
	v_mov_b32_e32 v28, 0
	ds_read_b128 v[28:31], v28 offset:6336
	s_waitcnt lgkmcnt(0)
	v_mul_f64 v[32:33], v[13:14], v[30:31]
	v_mul_f64 v[30:31], v[11:12], v[30:31]
	v_fma_f64 v[11:12], v[11:12], v[28:29], -v[32:33]
	v_fma_f64 v[13:14], v[13:14], v[28:29], v[30:31]
	ds_write_b128 v20, v[11:14]
.LBB94_188:
	s_or_b64 exec, exec, s[8:9]
	s_waitcnt lgkmcnt(0)
	s_barrier
	s_and_saveexec_b64 s[8:9], s[42:43]
	s_cbranch_execz .LBB94_190
; %bb.189:
	ds_read_b128 v[28:31], v20
	ds_read_b128 v[32:35], v19 offset:6336
	s_waitcnt lgkmcnt(0)
	v_mul_f64 v[36:37], v[30:31], v[34:35]
	v_mul_f64 v[34:35], v[28:29], v[34:35]
	v_fma_f64 v[28:29], v[28:29], v[32:33], -v[36:37]
	v_fma_f64 v[30:31], v[30:31], v[32:33], v[34:35]
	v_add_f64 v[11:12], v[11:12], v[28:29]
	v_add_f64 v[13:14], v[13:14], v[30:31]
.LBB94_190:
	s_or_b64 exec, exec, s[8:9]
	s_barrier
	s_and_saveexec_b64 s[8:9], s[44:45]
	s_cbranch_execz .LBB94_192
; %bb.191:
	v_mov_b32_e32 v28, 0
	ds_read_b128 v[28:31], v28 offset:6864
	s_waitcnt lgkmcnt(0)
	v_mul_f64 v[32:33], v[13:14], v[30:31]
	v_mul_f64 v[30:31], v[11:12], v[30:31]
	v_fma_f64 v[11:12], v[11:12], v[28:29], -v[32:33]
	v_fma_f64 v[13:14], v[13:14], v[28:29], v[30:31]
	ds_write_b128 v20, v[11:14]
.LBB94_192:
	s_or_b64 exec, exec, s[8:9]
	s_waitcnt lgkmcnt(0)
	s_barrier
	s_and_saveexec_b64 s[8:9], s[46:47]
	s_cbranch_execz .LBB94_194
; %bb.193:
	ds_read_b128 v[28:31], v20
	ds_read_b128 v[32:35], v19 offset:6848
	s_waitcnt lgkmcnt(0)
	v_mul_f64 v[36:37], v[30:31], v[34:35]
	v_mul_f64 v[34:35], v[28:29], v[34:35]
	v_fma_f64 v[28:29], v[28:29], v[32:33], -v[36:37]
	v_fma_f64 v[30:31], v[30:31], v[32:33], v[34:35]
	v_add_f64 v[11:12], v[11:12], v[28:29]
	v_add_f64 v[13:14], v[13:14], v[30:31]
.LBB94_194:
	s_or_b64 exec, exec, s[8:9]
	s_barrier
	s_and_saveexec_b64 s[8:9], s[48:49]
	s_cbranch_execz .LBB94_196
; %bb.195:
	v_mov_b32_e32 v28, 0
	ds_read_b128 v[28:31], v28 offset:7392
	s_waitcnt lgkmcnt(0)
	v_mul_f64 v[32:33], v[13:14], v[30:31]
	v_mul_f64 v[30:31], v[11:12], v[30:31]
	v_fma_f64 v[11:12], v[11:12], v[28:29], -v[32:33]
	v_fma_f64 v[13:14], v[13:14], v[28:29], v[30:31]
	ds_write_b128 v20, v[11:14]
.LBB94_196:
	s_or_b64 exec, exec, s[8:9]
	s_waitcnt lgkmcnt(0)
	s_barrier
	s_and_saveexec_b64 s[8:9], s[38:39]
	s_cbranch_execz .LBB94_198
; %bb.197:
	v_mov_b32_e32 v32, 0
	ds_read_b128 v[28:31], v20
	ds_read_b128 v[32:35], v32 offset:7408
	s_waitcnt lgkmcnt(0)
	v_mul_f64 v[36:37], v[30:31], v[34:35]
	v_mul_f64 v[34:35], v[28:29], v[34:35]
	v_fma_f64 v[28:29], v[28:29], v[32:33], -v[36:37]
	v_fma_f64 v[30:31], v[30:31], v[32:33], v[34:35]
	v_add_f64 v[11:12], v[11:12], v[28:29]
	v_add_f64 v[13:14], v[13:14], v[30:31]
.LBB94_198:
	s_or_b64 exec, exec, s[8:9]
	s_barrier
	s_and_saveexec_b64 s[8:9], s[38:39]
	s_cbranch_execz .LBB94_200
; %bb.199:
	v_mov_b32_e32 v28, 0
	ds_read_b128 v[28:31], v28 offset:7920
	s_waitcnt lgkmcnt(0)
	v_mul_f64 v[32:33], v[13:14], v[30:31]
	v_mul_f64 v[30:31], v[11:12], v[30:31]
	v_fma_f64 v[11:12], v[11:12], v[28:29], -v[32:33]
	v_fma_f64 v[13:14], v[13:14], v[28:29], v[30:31]
	ds_write_b128 v20, v[11:14]
.LBB94_200:
	s_or_b64 exec, exec, s[8:9]
	s_waitcnt lgkmcnt(0)
	s_barrier
	s_barrier
	s_and_saveexec_b64 s[8:9], s[2:3]
; %bb.201:
	v_xor_b32_e32 v14, 0x80000000, v14
	v_xor_b32_e32 v12, 0x80000000, v12
	ds_write_b128 v18, v[11:14] offset:4288
; %bb.202:
	s_or_b64 exec, exec, s[8:9]
	s_waitcnt lgkmcnt(0)
	s_barrier
	s_barrier
	s_and_saveexec_b64 s[8:9], vcc
	s_cbranch_execz .LBB94_204
; %bb.203:
	v_mov_b32_e32 v38, 0
	ds_read_b128 v[11:14], v38 offset:6864
	ds_read_b128 v[28:31], v38 offset:6336
	;; [unrolled: 1-line block ×3, first 2 shown]
	s_waitcnt lgkmcnt(1)
	v_mul_f64 v[36:37], v[11:12], v[30:31]
	v_mul_f64 v[30:31], v[13:14], v[30:31]
	v_fma_f64 v[13:14], v[13:14], v[28:29], v[36:37]
	v_fma_f64 v[11:12], v[11:12], v[28:29], -v[30:31]
	s_waitcnt lgkmcnt(0)
	v_mul_f64 v[28:29], v[13:14], v[34:35]
	v_mul_f64 v[30:31], v[11:12], v[34:35]
	v_fma_f64 v[11:12], v[32:33], v[11:12], -v[28:29]
	v_fma_f64 v[13:14], v[32:33], v[13:14], v[30:31]
	ds_write_b128 v38, v[11:14] offset:6352
.LBB94_204:
	s_or_b64 exec, exec, s[8:9]
	v_mov_b32_e32 v13, 0
	v_mov_b32_e32 v11, 0
	;; [unrolled: 1-line block ×4, first 2 shown]
	s_waitcnt lgkmcnt(0)
	s_barrier
	s_and_saveexec_b64 s[10:11], s[0:1]
	s_cbranch_execz .LBB94_208
; %bb.205:
	v_mul_u32_u24_e32 v11, 0x210, v17
	ds_read_b128 v[11:14], v11 offset:6336
	ds_read_b128 v[28:31], v15 offset:6368
	v_cmp_gt_u32_e64 s[8:9], 2, v1
	s_waitcnt lgkmcnt(0)
	v_mul_f64 v[32:33], v[13:14], v[30:31]
	v_mul_f64 v[30:31], v[11:12], v[30:31]
	v_fma_f64 v[11:12], v[11:12], v[28:29], -v[32:33]
	v_fma_f64 v[13:14], v[13:14], v[28:29], v[30:31]
	v_add_f64 v[11:12], v[11:12], 0
	v_add_f64 v[13:14], v[13:14], 0
	s_and_saveexec_b64 s[14:15], s[8:9]
	s_cbranch_execz .LBB94_207
; %bb.206:
	v_lshlrev_b32_e32 v32, 4, v0
	v_mov_b32_e32 v28, 0
	ds_read_b128 v[28:31], v28 offset:6352
	ds_read_b128 v[32:35], v32 offset:6880
	s_waitcnt lgkmcnt(0)
	v_mul_f64 v[36:37], v[30:31], v[34:35]
	v_mul_f64 v[34:35], v[28:29], v[34:35]
	v_fma_f64 v[28:29], v[28:29], v[32:33], -v[36:37]
	v_fma_f64 v[30:31], v[30:31], v[32:33], v[34:35]
	v_add_f64 v[11:12], v[11:12], v[28:29]
	v_add_f64 v[13:14], v[13:14], v[30:31]
.LBB94_207:
	s_or_b64 exec, exec, s[14:15]
	v_xor_b32_e32 v12, 0x80000000, v12
	v_xor_b32_e32 v14, 0x80000000, v14
.LBB94_208:
	s_or_b64 exec, exec, s[10:11]
	s_and_saveexec_b64 s[8:9], s[36:37]
	s_cbranch_execz .LBB94_210
; %bb.209:
	v_mov_b32_e32 v28, 0
	ds_read_b128 v[28:31], v28 offset:7392
	s_waitcnt lgkmcnt(0)
	v_mul_f64 v[32:33], v[13:14], v[30:31]
	v_mul_f64 v[30:31], v[11:12], v[30:31]
	v_fma_f64 v[11:12], v[11:12], v[28:29], -v[32:33]
	v_fma_f64 v[13:14], v[13:14], v[28:29], v[30:31]
	ds_write_b128 v16, v[11:14]
.LBB94_210:
	s_or_b64 exec, exec, s[8:9]
	s_waitcnt lgkmcnt(0)
	s_barrier
	s_and_saveexec_b64 s[8:9], s[34:35]
	s_cbranch_execz .LBB94_212
; %bb.211:
	v_mov_b32_e32 v32, 0
	ds_read_b128 v[28:31], v16
	ds_read_b128 v[32:35], v32 offset:7408
	s_waitcnt lgkmcnt(0)
	v_mul_f64 v[36:37], v[30:31], v[34:35]
	v_mul_f64 v[34:35], v[28:29], v[34:35]
	v_fma_f64 v[28:29], v[28:29], v[32:33], -v[36:37]
	v_fma_f64 v[30:31], v[30:31], v[32:33], v[34:35]
	v_add_f64 v[11:12], v[11:12], v[28:29]
	v_add_f64 v[13:14], v[13:14], v[30:31]
.LBB94_212:
	s_or_b64 exec, exec, s[8:9]
	s_barrier
	s_and_saveexec_b64 s[8:9], s[34:35]
	s_cbranch_execz .LBB94_214
; %bb.213:
	v_mov_b32_e32 v28, 0
	ds_read_b128 v[28:31], v28 offset:7920
	s_waitcnt lgkmcnt(0)
	v_mul_f64 v[32:33], v[13:14], v[30:31]
	v_mul_f64 v[30:31], v[11:12], v[30:31]
	v_fma_f64 v[11:12], v[11:12], v[28:29], -v[32:33]
	v_fma_f64 v[13:14], v[13:14], v[28:29], v[30:31]
	ds_write_b128 v16, v[11:14]
.LBB94_214:
	s_or_b64 exec, exec, s[8:9]
	s_waitcnt lgkmcnt(0)
	s_barrier
	s_barrier
	s_and_saveexec_b64 s[8:9], s[0:1]
; %bb.215:
	v_xor_b32_e32 v12, 0x80000000, v12
	v_xor_b32_e32 v14, 0x80000000, v14
	ds_write_b128 v15, v[11:14] offset:6368
; %bb.216:
	s_or_b64 exec, exec, s[8:9]
	s_waitcnt lgkmcnt(0)
	s_barrier
	s_barrier
	s_and_saveexec_b64 s[8:9], vcc
	s_cbranch_execz .LBB94_218
; %bb.217:
	v_mov_b32_e32 v38, 0
	ds_read_b128 v[11:14], v38 offset:7920
	ds_read_b128 v[28:31], v38 offset:7392
	;; [unrolled: 1-line block ×3, first 2 shown]
	s_waitcnt lgkmcnt(1)
	v_mul_f64 v[36:37], v[11:12], v[30:31]
	v_mul_f64 v[30:31], v[13:14], v[30:31]
	v_fma_f64 v[13:14], v[13:14], v[28:29], v[36:37]
	v_fma_f64 v[11:12], v[11:12], v[28:29], -v[30:31]
	s_waitcnt lgkmcnt(0)
	v_mul_f64 v[28:29], v[13:14], v[34:35]
	v_mul_f64 v[30:31], v[11:12], v[34:35]
	v_fma_f64 v[11:12], v[32:33], v[11:12], -v[28:29]
	v_fma_f64 v[13:14], v[32:33], v[13:14], v[30:31]
	ds_write_b128 v38, v[11:14] offset:7408
.LBB94_218:
	s_or_b64 exec, exec, s[8:9]
	v_and_b32_e32 v29, 15, v0
	s_movk_i32 s8, 0xff
	v_lshrrev_b32_e32 v31, 4, v1
	v_cmp_lt_u32_e64 s[10:11], s8, v1
	s_movk_i32 s8, 0x100
	v_lshlrev_b32_e32 v30, 4, v29
	v_mov_b32_e32 v13, 0
	v_mov_b32_e32 v11, 0
	v_cmp_gt_u32_e64 s[8:9], s8, v1
	v_mov_b32_e32 v14, 0
	v_mov_b32_e32 v12, 0
	v_lshl_or_b32 v28, v31, 9, v30
	s_waitcnt lgkmcnt(0)
	s_barrier
	s_and_saveexec_b64 s[78:79], s[8:9]
	s_cbranch_execz .LBB94_246
; %bb.219:
	v_mul_u32_u24_e32 v32, 0x210, v31
	ds_read_b128 v[11:14], v32
	ds_read_b128 v[33:36], v28 offset:256
	s_movk_i32 s14, 0xf0
	v_cmp_gt_u32_e64 s[14:15], s14, v1
	s_waitcnt lgkmcnt(0)
	v_mul_f64 v[37:38], v[13:14], v[35:36]
	v_mul_f64 v[35:36], v[11:12], v[35:36]
	v_fma_f64 v[11:12], v[11:12], v[33:34], -v[37:38]
	v_fma_f64 v[13:14], v[13:14], v[33:34], v[35:36]
	v_add_f64 v[11:12], v[11:12], 0
	v_add_f64 v[13:14], v[13:14], 0
	s_and_saveexec_b64 s[80:81], s[14:15]
	s_cbranch_execz .LBB94_221
; %bb.220:
	ds_read_b128 v[33:36], v32 offset:16
	ds_read_b128 v[37:40], v28 offset:768
	s_waitcnt lgkmcnt(0)
	v_mul_f64 v[41:42], v[35:36], v[39:40]
	v_mul_f64 v[39:40], v[33:34], v[39:40]
	v_fma_f64 v[33:34], v[33:34], v[37:38], -v[41:42]
	v_fma_f64 v[35:36], v[35:36], v[37:38], v[39:40]
	v_add_f64 v[11:12], v[11:12], v[33:34]
	v_add_f64 v[13:14], v[13:14], v[35:36]
.LBB94_221:
	s_or_b64 exec, exec, s[80:81]
	s_movk_i32 s14, 0xe0
	v_cmp_gt_u32_e64 s[14:15], s14, v1
	s_and_saveexec_b64 s[80:81], s[14:15]
	s_cbranch_execz .LBB94_223
; %bb.222:
	ds_read_b128 v[33:36], v32 offset:32
	ds_read_b128 v[37:40], v28 offset:1280
	s_waitcnt lgkmcnt(0)
	v_mul_f64 v[41:42], v[35:36], v[39:40]
	v_mul_f64 v[39:40], v[33:34], v[39:40]
	v_fma_f64 v[33:34], v[33:34], v[37:38], -v[41:42]
	v_fma_f64 v[35:36], v[35:36], v[37:38], v[39:40]
	v_add_f64 v[11:12], v[11:12], v[33:34]
	v_add_f64 v[13:14], v[13:14], v[35:36]
.LBB94_223:
	s_or_b64 exec, exec, s[80:81]
	s_movk_i32 s14, 0xd0
	v_cmp_gt_u32_e64 s[14:15], s14, v1
	;; [unrolled: 16-line block ×10, first 2 shown]
	s_and_saveexec_b64 s[80:81], s[14:15]
	s_cbranch_execnz .LBB94_531
; %bb.240:
	s_or_b64 exec, exec, s[80:81]
	v_cmp_gt_u32_e64 s[14:15], 64, v1
	s_and_saveexec_b64 s[80:81], s[14:15]
	s_cbranch_execnz .LBB94_532
.LBB94_241:
	s_or_b64 exec, exec, s[80:81]
	v_cmp_gt_u32_e64 s[14:15], 48, v1
	s_and_saveexec_b64 s[80:81], s[14:15]
	s_cbranch_execnz .LBB94_533
.LBB94_242:
	s_or_b64 exec, exec, s[80:81]
	v_cmp_gt_u32_e64 s[14:15], 32, v1
	s_and_saveexec_b64 s[80:81], s[14:15]
	s_cbranch_execnz .LBB94_534
.LBB94_243:
	s_or_b64 exec, exec, s[80:81]
	v_cmp_gt_u32_e64 s[14:15], 16, v1
	s_and_saveexec_b64 s[80:81], s[14:15]
	s_cbranch_execz .LBB94_245
.LBB94_244:
	v_lshlrev_b32_e32 v36, 4, v0
	v_mov_b32_e32 v32, 0
	ds_read_b128 v[32:35], v32 offset:240
	ds_read_b128 v[36:39], v36 offset:7936
	s_waitcnt lgkmcnt(0)
	v_mul_f64 v[40:41], v[34:35], v[38:39]
	v_mul_f64 v[38:39], v[32:33], v[38:39]
	v_fma_f64 v[32:33], v[32:33], v[36:37], -v[40:41]
	v_fma_f64 v[34:35], v[34:35], v[36:37], v[38:39]
	v_add_f64 v[11:12], v[11:12], v[32:33]
	v_add_f64 v[13:14], v[13:14], v[34:35]
.LBB94_245:
	s_or_b64 exec, exec, s[80:81]
	v_xor_b32_e32 v12, 0x80000000, v12
	v_xor_b32_e32 v14, 0x80000000, v14
.LBB94_246:
	s_or_b64 exec, exec, s[78:79]
	v_mov_b32_e32 v32, 0x4000
	v_cmp_eq_u32_e64 s[14:15], 0, v29
	s_xor_b64 s[78:79], s[10:11], -1
	v_lshl_add_u32 v31, v31, 4, v32
	s_and_b64 s[14:15], s[14:15], s[78:79]
	s_and_saveexec_b64 s[10:11], s[14:15]
	s_cbranch_execz .LBB94_248
; %bb.247:
	v_mov_b32_e32 v32, 0
	ds_read_b128 v[32:35], v32 offset:8448
	s_waitcnt lgkmcnt(0)
	v_mul_f64 v[36:37], v[13:14], v[34:35]
	v_mul_f64 v[34:35], v[11:12], v[34:35]
	v_fma_f64 v[11:12], v[11:12], v[32:33], -v[36:37]
	v_fma_f64 v[13:14], v[13:14], v[32:33], v[34:35]
	ds_write_b128 v31, v[11:14]
.LBB94_248:
	s_or_b64 exec, exec, s[10:11]
	v_cmp_ne_u32_e64 s[10:11], 0, v29
	s_and_b64 s[14:15], s[10:11], s[78:79]
	s_waitcnt lgkmcnt(0)
	s_barrier
	s_and_saveexec_b64 s[10:11], s[14:15]
	s_cbranch_execz .LBB94_250
; %bb.249:
	ds_read_b128 v[32:35], v31
	ds_read_b128 v[36:39], v30 offset:8448
	s_waitcnt lgkmcnt(0)
	v_mul_f64 v[40:41], v[34:35], v[38:39]
	v_mul_f64 v[38:39], v[32:33], v[38:39]
	v_fma_f64 v[32:33], v[32:33], v[36:37], -v[40:41]
	v_fma_f64 v[34:35], v[34:35], v[36:37], v[38:39]
	v_add_f64 v[11:12], v[11:12], v[32:33]
	v_add_f64 v[13:14], v[13:14], v[34:35]
.LBB94_250:
	s_or_b64 exec, exec, s[10:11]
	v_cmp_eq_u32_e64 s[10:11], 1, v29
	s_and_b64 s[14:15], s[10:11], s[78:79]
	s_barrier
	s_and_saveexec_b64 s[10:11], s[14:15]
	s_cbranch_execz .LBB94_252
; %bb.251:
	v_mov_b32_e32 v32, 0
	ds_read_b128 v[32:35], v32 offset:8976
	s_waitcnt lgkmcnt(0)
	v_mul_f64 v[36:37], v[13:14], v[34:35]
	v_mul_f64 v[34:35], v[11:12], v[34:35]
	v_fma_f64 v[11:12], v[11:12], v[32:33], -v[36:37]
	v_fma_f64 v[13:14], v[13:14], v[32:33], v[34:35]
	ds_write_b128 v31, v[11:14]
.LBB94_252:
	s_or_b64 exec, exec, s[10:11]
	v_cmp_lt_u32_e64 s[10:11], 1, v29
	s_and_b64 s[14:15], s[10:11], s[78:79]
	s_waitcnt lgkmcnt(0)
	s_barrier
	s_and_saveexec_b64 s[10:11], s[14:15]
	s_cbranch_execz .LBB94_254
; %bb.253:
	ds_read_b128 v[32:35], v31
	ds_read_b128 v[36:39], v30 offset:8960
	s_waitcnt lgkmcnt(0)
	v_mul_f64 v[40:41], v[34:35], v[38:39]
	v_mul_f64 v[38:39], v[32:33], v[38:39]
	v_fma_f64 v[32:33], v[32:33], v[36:37], -v[40:41]
	v_fma_f64 v[34:35], v[34:35], v[36:37], v[38:39]
	v_add_f64 v[11:12], v[11:12], v[32:33]
	v_add_f64 v[13:14], v[13:14], v[34:35]
.LBB94_254:
	s_or_b64 exec, exec, s[10:11]
	v_cmp_eq_u32_e64 s[10:11], 2, v29
	s_and_b64 s[14:15], s[10:11], s[78:79]
	s_barrier
	s_and_saveexec_b64 s[10:11], s[14:15]
	s_cbranch_execz .LBB94_256
; %bb.255:
	v_mov_b32_e32 v32, 0
	ds_read_b128 v[32:35], v32 offset:9504
	s_waitcnt lgkmcnt(0)
	v_mul_f64 v[36:37], v[13:14], v[34:35]
	v_mul_f64 v[34:35], v[11:12], v[34:35]
	v_fma_f64 v[11:12], v[11:12], v[32:33], -v[36:37]
	v_fma_f64 v[13:14], v[13:14], v[32:33], v[34:35]
	ds_write_b128 v31, v[11:14]
.LBB94_256:
	s_or_b64 exec, exec, s[10:11]
	v_cmp_lt_u32_e64 s[10:11], 2, v29
	s_and_b64 s[14:15], s[10:11], s[78:79]
	s_waitcnt lgkmcnt(0)
	s_barrier
	s_and_saveexec_b64 s[10:11], s[14:15]
	s_cbranch_execz .LBB94_258
; %bb.257:
	ds_read_b128 v[32:35], v31
	ds_read_b128 v[36:39], v30 offset:9472
	s_waitcnt lgkmcnt(0)
	v_mul_f64 v[40:41], v[34:35], v[38:39]
	v_mul_f64 v[38:39], v[32:33], v[38:39]
	v_fma_f64 v[32:33], v[32:33], v[36:37], -v[40:41]
	v_fma_f64 v[34:35], v[34:35], v[36:37], v[38:39]
	v_add_f64 v[11:12], v[11:12], v[32:33]
	v_add_f64 v[13:14], v[13:14], v[34:35]
.LBB94_258:
	s_or_b64 exec, exec, s[10:11]
	v_cmp_eq_u32_e64 s[10:11], 3, v29
	s_and_b64 s[14:15], s[10:11], s[78:79]
	s_barrier
	s_and_saveexec_b64 s[10:11], s[14:15]
	s_cbranch_execz .LBB94_260
; %bb.259:
	v_mov_b32_e32 v32, 0
	ds_read_b128 v[32:35], v32 offset:10032
	s_waitcnt lgkmcnt(0)
	v_mul_f64 v[36:37], v[13:14], v[34:35]
	v_mul_f64 v[34:35], v[11:12], v[34:35]
	v_fma_f64 v[11:12], v[11:12], v[32:33], -v[36:37]
	v_fma_f64 v[13:14], v[13:14], v[32:33], v[34:35]
	ds_write_b128 v31, v[11:14]
.LBB94_260:
	s_or_b64 exec, exec, s[10:11]
	v_cmp_lt_u32_e64 s[10:11], 3, v29
	s_and_b64 s[14:15], s[10:11], s[78:79]
	s_waitcnt lgkmcnt(0)
	s_barrier
	s_and_saveexec_b64 s[10:11], s[14:15]
	s_cbranch_execz .LBB94_262
; %bb.261:
	ds_read_b128 v[32:35], v31
	ds_read_b128 v[36:39], v30 offset:9984
	s_waitcnt lgkmcnt(0)
	v_mul_f64 v[40:41], v[34:35], v[38:39]
	v_mul_f64 v[38:39], v[32:33], v[38:39]
	v_fma_f64 v[32:33], v[32:33], v[36:37], -v[40:41]
	v_fma_f64 v[34:35], v[34:35], v[36:37], v[38:39]
	v_add_f64 v[11:12], v[11:12], v[32:33]
	v_add_f64 v[13:14], v[13:14], v[34:35]
.LBB94_262:
	s_or_b64 exec, exec, s[10:11]
	v_cmp_eq_u32_e64 s[10:11], 4, v29
	s_and_b64 s[14:15], s[10:11], s[78:79]
	s_barrier
	s_and_saveexec_b64 s[10:11], s[14:15]
	s_cbranch_execz .LBB94_264
; %bb.263:
	v_mov_b32_e32 v32, 0
	ds_read_b128 v[32:35], v32 offset:10560
	s_waitcnt lgkmcnt(0)
	v_mul_f64 v[36:37], v[13:14], v[34:35]
	v_mul_f64 v[34:35], v[11:12], v[34:35]
	v_fma_f64 v[11:12], v[11:12], v[32:33], -v[36:37]
	v_fma_f64 v[13:14], v[13:14], v[32:33], v[34:35]
	ds_write_b128 v31, v[11:14]
.LBB94_264:
	s_or_b64 exec, exec, s[10:11]
	v_cmp_lt_u32_e64 s[10:11], 4, v29
	s_and_b64 s[14:15], s[10:11], s[78:79]
	s_waitcnt lgkmcnt(0)
	s_barrier
	s_and_saveexec_b64 s[10:11], s[14:15]
	s_cbranch_execz .LBB94_266
; %bb.265:
	ds_read_b128 v[32:35], v31
	ds_read_b128 v[36:39], v30 offset:10496
	s_waitcnt lgkmcnt(0)
	v_mul_f64 v[40:41], v[34:35], v[38:39]
	v_mul_f64 v[38:39], v[32:33], v[38:39]
	v_fma_f64 v[32:33], v[32:33], v[36:37], -v[40:41]
	v_fma_f64 v[34:35], v[34:35], v[36:37], v[38:39]
	v_add_f64 v[11:12], v[11:12], v[32:33]
	v_add_f64 v[13:14], v[13:14], v[34:35]
.LBB94_266:
	s_or_b64 exec, exec, s[10:11]
	v_cmp_eq_u32_e64 s[10:11], 5, v29
	s_and_b64 s[14:15], s[10:11], s[78:79]
	s_barrier
	s_and_saveexec_b64 s[10:11], s[14:15]
	s_cbranch_execz .LBB94_268
; %bb.267:
	v_mov_b32_e32 v32, 0
	ds_read_b128 v[32:35], v32 offset:11088
	s_waitcnt lgkmcnt(0)
	v_mul_f64 v[36:37], v[13:14], v[34:35]
	v_mul_f64 v[34:35], v[11:12], v[34:35]
	v_fma_f64 v[11:12], v[11:12], v[32:33], -v[36:37]
	v_fma_f64 v[13:14], v[13:14], v[32:33], v[34:35]
	ds_write_b128 v31, v[11:14]
.LBB94_268:
	s_or_b64 exec, exec, s[10:11]
	v_cmp_lt_u32_e64 s[10:11], 5, v29
	s_and_b64 s[14:15], s[10:11], s[78:79]
	s_waitcnt lgkmcnt(0)
	s_barrier
	s_and_saveexec_b64 s[10:11], s[14:15]
	s_cbranch_execz .LBB94_270
; %bb.269:
	ds_read_b128 v[32:35], v31
	ds_read_b128 v[36:39], v30 offset:11008
	s_waitcnt lgkmcnt(0)
	v_mul_f64 v[40:41], v[34:35], v[38:39]
	v_mul_f64 v[38:39], v[32:33], v[38:39]
	v_fma_f64 v[32:33], v[32:33], v[36:37], -v[40:41]
	v_fma_f64 v[34:35], v[34:35], v[36:37], v[38:39]
	v_add_f64 v[11:12], v[11:12], v[32:33]
	v_add_f64 v[13:14], v[13:14], v[34:35]
.LBB94_270:
	s_or_b64 exec, exec, s[10:11]
	v_cmp_eq_u32_e64 s[10:11], 6, v29
	s_and_b64 s[14:15], s[10:11], s[78:79]
	s_barrier
	s_and_saveexec_b64 s[10:11], s[14:15]
	s_cbranch_execz .LBB94_272
; %bb.271:
	v_mov_b32_e32 v32, 0
	ds_read_b128 v[32:35], v32 offset:11616
	s_waitcnt lgkmcnt(0)
	v_mul_f64 v[36:37], v[13:14], v[34:35]
	v_mul_f64 v[34:35], v[11:12], v[34:35]
	v_fma_f64 v[11:12], v[11:12], v[32:33], -v[36:37]
	v_fma_f64 v[13:14], v[13:14], v[32:33], v[34:35]
	ds_write_b128 v31, v[11:14]
.LBB94_272:
	s_or_b64 exec, exec, s[10:11]
	v_cmp_lt_u32_e64 s[10:11], 6, v29
	s_and_b64 s[14:15], s[10:11], s[78:79]
	s_waitcnt lgkmcnt(0)
	s_barrier
	s_and_saveexec_b64 s[10:11], s[14:15]
	s_cbranch_execz .LBB94_274
; %bb.273:
	ds_read_b128 v[32:35], v31
	ds_read_b128 v[36:39], v30 offset:11520
	s_waitcnt lgkmcnt(0)
	v_mul_f64 v[40:41], v[34:35], v[38:39]
	v_mul_f64 v[38:39], v[32:33], v[38:39]
	v_fma_f64 v[32:33], v[32:33], v[36:37], -v[40:41]
	v_fma_f64 v[34:35], v[34:35], v[36:37], v[38:39]
	v_add_f64 v[11:12], v[11:12], v[32:33]
	v_add_f64 v[13:14], v[13:14], v[34:35]
.LBB94_274:
	s_or_b64 exec, exec, s[10:11]
	v_cmp_eq_u32_e64 s[10:11], 7, v29
	s_and_b64 s[14:15], s[10:11], s[78:79]
	s_barrier
	s_and_saveexec_b64 s[10:11], s[14:15]
	s_cbranch_execz .LBB94_276
; %bb.275:
	v_mov_b32_e32 v32, 0
	ds_read_b128 v[32:35], v32 offset:12144
	s_waitcnt lgkmcnt(0)
	v_mul_f64 v[36:37], v[13:14], v[34:35]
	v_mul_f64 v[34:35], v[11:12], v[34:35]
	v_fma_f64 v[11:12], v[11:12], v[32:33], -v[36:37]
	v_fma_f64 v[13:14], v[13:14], v[32:33], v[34:35]
	ds_write_b128 v31, v[11:14]
.LBB94_276:
	s_or_b64 exec, exec, s[10:11]
	v_cmp_lt_u32_e64 s[10:11], 7, v29
	s_and_b64 s[14:15], s[10:11], s[78:79]
	s_waitcnt lgkmcnt(0)
	s_barrier
	s_and_saveexec_b64 s[10:11], s[14:15]
	s_cbranch_execz .LBB94_278
; %bb.277:
	ds_read_b128 v[32:35], v31
	ds_read_b128 v[36:39], v30 offset:12032
	s_waitcnt lgkmcnt(0)
	v_mul_f64 v[40:41], v[34:35], v[38:39]
	v_mul_f64 v[38:39], v[32:33], v[38:39]
	v_fma_f64 v[32:33], v[32:33], v[36:37], -v[40:41]
	v_fma_f64 v[34:35], v[34:35], v[36:37], v[38:39]
	v_add_f64 v[11:12], v[11:12], v[32:33]
	v_add_f64 v[13:14], v[13:14], v[34:35]
.LBB94_278:
	s_or_b64 exec, exec, s[10:11]
	v_cmp_eq_u32_e64 s[10:11], 8, v29
	s_and_b64 s[14:15], s[10:11], s[78:79]
	s_barrier
	s_and_saveexec_b64 s[10:11], s[14:15]
	s_cbranch_execz .LBB94_280
; %bb.279:
	v_mov_b32_e32 v32, 0
	ds_read_b128 v[32:35], v32 offset:12672
	s_waitcnt lgkmcnt(0)
	v_mul_f64 v[36:37], v[13:14], v[34:35]
	v_mul_f64 v[34:35], v[11:12], v[34:35]
	v_fma_f64 v[11:12], v[11:12], v[32:33], -v[36:37]
	v_fma_f64 v[13:14], v[13:14], v[32:33], v[34:35]
	ds_write_b128 v31, v[11:14]
.LBB94_280:
	s_or_b64 exec, exec, s[10:11]
	v_cmp_lt_u32_e64 s[10:11], 8, v29
	s_and_b64 s[14:15], s[10:11], s[78:79]
	s_waitcnt lgkmcnt(0)
	s_barrier
	s_and_saveexec_b64 s[10:11], s[14:15]
	s_cbranch_execz .LBB94_282
; %bb.281:
	ds_read_b128 v[32:35], v31
	ds_read_b128 v[36:39], v30 offset:12544
	s_waitcnt lgkmcnt(0)
	v_mul_f64 v[40:41], v[34:35], v[38:39]
	v_mul_f64 v[38:39], v[32:33], v[38:39]
	v_fma_f64 v[32:33], v[32:33], v[36:37], -v[40:41]
	v_fma_f64 v[34:35], v[34:35], v[36:37], v[38:39]
	v_add_f64 v[11:12], v[11:12], v[32:33]
	v_add_f64 v[13:14], v[13:14], v[34:35]
.LBB94_282:
	s_or_b64 exec, exec, s[10:11]
	v_cmp_eq_u32_e64 s[10:11], 9, v29
	s_and_b64 s[14:15], s[10:11], s[78:79]
	s_barrier
	s_and_saveexec_b64 s[10:11], s[14:15]
	s_cbranch_execz .LBB94_284
; %bb.283:
	v_mov_b32_e32 v32, 0
	ds_read_b128 v[32:35], v32 offset:13200
	s_waitcnt lgkmcnt(0)
	v_mul_f64 v[36:37], v[13:14], v[34:35]
	v_mul_f64 v[34:35], v[11:12], v[34:35]
	v_fma_f64 v[11:12], v[11:12], v[32:33], -v[36:37]
	v_fma_f64 v[13:14], v[13:14], v[32:33], v[34:35]
	ds_write_b128 v31, v[11:14]
.LBB94_284:
	s_or_b64 exec, exec, s[10:11]
	v_cmp_lt_u32_e64 s[10:11], 9, v29
	s_and_b64 s[14:15], s[10:11], s[78:79]
	s_waitcnt lgkmcnt(0)
	s_barrier
	s_and_saveexec_b64 s[10:11], s[14:15]
	s_cbranch_execz .LBB94_286
; %bb.285:
	ds_read_b128 v[32:35], v31
	ds_read_b128 v[36:39], v30 offset:13056
	s_waitcnt lgkmcnt(0)
	v_mul_f64 v[40:41], v[34:35], v[38:39]
	v_mul_f64 v[38:39], v[32:33], v[38:39]
	v_fma_f64 v[32:33], v[32:33], v[36:37], -v[40:41]
	v_fma_f64 v[34:35], v[34:35], v[36:37], v[38:39]
	v_add_f64 v[11:12], v[11:12], v[32:33]
	v_add_f64 v[13:14], v[13:14], v[34:35]
.LBB94_286:
	s_or_b64 exec, exec, s[10:11]
	v_cmp_eq_u32_e64 s[10:11], 10, v29
	s_and_b64 s[14:15], s[10:11], s[78:79]
	s_barrier
	s_and_saveexec_b64 s[10:11], s[14:15]
	s_cbranch_execz .LBB94_288
; %bb.287:
	v_mov_b32_e32 v32, 0
	ds_read_b128 v[32:35], v32 offset:13728
	s_waitcnt lgkmcnt(0)
	v_mul_f64 v[36:37], v[13:14], v[34:35]
	v_mul_f64 v[34:35], v[11:12], v[34:35]
	v_fma_f64 v[11:12], v[11:12], v[32:33], -v[36:37]
	v_fma_f64 v[13:14], v[13:14], v[32:33], v[34:35]
	ds_write_b128 v31, v[11:14]
.LBB94_288:
	s_or_b64 exec, exec, s[10:11]
	v_cmp_lt_u32_e64 s[10:11], 10, v29
	s_and_b64 s[14:15], s[10:11], s[78:79]
	s_waitcnt lgkmcnt(0)
	s_barrier
	s_and_saveexec_b64 s[10:11], s[14:15]
	s_cbranch_execz .LBB94_290
; %bb.289:
	ds_read_b128 v[32:35], v31
	ds_read_b128 v[36:39], v30 offset:13568
	s_waitcnt lgkmcnt(0)
	v_mul_f64 v[40:41], v[34:35], v[38:39]
	v_mul_f64 v[38:39], v[32:33], v[38:39]
	v_fma_f64 v[32:33], v[32:33], v[36:37], -v[40:41]
	v_fma_f64 v[34:35], v[34:35], v[36:37], v[38:39]
	v_add_f64 v[11:12], v[11:12], v[32:33]
	v_add_f64 v[13:14], v[13:14], v[34:35]
.LBB94_290:
	s_or_b64 exec, exec, s[10:11]
	v_cmp_eq_u32_e64 s[10:11], 11, v29
	s_and_b64 s[14:15], s[10:11], s[78:79]
	s_barrier
	s_and_saveexec_b64 s[10:11], s[14:15]
	s_cbranch_execz .LBB94_292
; %bb.291:
	v_mov_b32_e32 v32, 0
	ds_read_b128 v[32:35], v32 offset:14256
	s_waitcnt lgkmcnt(0)
	v_mul_f64 v[36:37], v[13:14], v[34:35]
	v_mul_f64 v[34:35], v[11:12], v[34:35]
	v_fma_f64 v[11:12], v[11:12], v[32:33], -v[36:37]
	v_fma_f64 v[13:14], v[13:14], v[32:33], v[34:35]
	ds_write_b128 v31, v[11:14]
.LBB94_292:
	s_or_b64 exec, exec, s[10:11]
	v_cmp_lt_u32_e64 s[10:11], 11, v29
	s_and_b64 s[14:15], s[10:11], s[78:79]
	s_waitcnt lgkmcnt(0)
	s_barrier
	s_and_saveexec_b64 s[10:11], s[14:15]
	s_cbranch_execz .LBB94_294
; %bb.293:
	ds_read_b128 v[32:35], v31
	ds_read_b128 v[36:39], v30 offset:14080
	s_waitcnt lgkmcnt(0)
	v_mul_f64 v[40:41], v[34:35], v[38:39]
	v_mul_f64 v[38:39], v[32:33], v[38:39]
	v_fma_f64 v[32:33], v[32:33], v[36:37], -v[40:41]
	v_fma_f64 v[34:35], v[34:35], v[36:37], v[38:39]
	v_add_f64 v[11:12], v[11:12], v[32:33]
	v_add_f64 v[13:14], v[13:14], v[34:35]
.LBB94_294:
	s_or_b64 exec, exec, s[10:11]
	v_cmp_eq_u32_e64 s[10:11], 12, v29
	s_and_b64 s[14:15], s[10:11], s[78:79]
	s_barrier
	s_and_saveexec_b64 s[10:11], s[14:15]
	s_cbranch_execz .LBB94_296
; %bb.295:
	v_mov_b32_e32 v32, 0
	ds_read_b128 v[32:35], v32 offset:14784
	s_waitcnt lgkmcnt(0)
	v_mul_f64 v[36:37], v[13:14], v[34:35]
	v_mul_f64 v[34:35], v[11:12], v[34:35]
	v_fma_f64 v[11:12], v[11:12], v[32:33], -v[36:37]
	v_fma_f64 v[13:14], v[13:14], v[32:33], v[34:35]
	ds_write_b128 v31, v[11:14]
.LBB94_296:
	s_or_b64 exec, exec, s[10:11]
	v_cmp_lt_u32_e64 s[10:11], 12, v29
	s_and_b64 s[14:15], s[10:11], s[78:79]
	s_waitcnt lgkmcnt(0)
	s_barrier
	s_and_saveexec_b64 s[10:11], s[14:15]
	s_cbranch_execz .LBB94_298
; %bb.297:
	ds_read_b128 v[32:35], v31
	ds_read_b128 v[36:39], v30 offset:14592
	s_waitcnt lgkmcnt(0)
	v_mul_f64 v[40:41], v[34:35], v[38:39]
	v_mul_f64 v[38:39], v[32:33], v[38:39]
	v_fma_f64 v[32:33], v[32:33], v[36:37], -v[40:41]
	v_fma_f64 v[34:35], v[34:35], v[36:37], v[38:39]
	v_add_f64 v[11:12], v[11:12], v[32:33]
	v_add_f64 v[13:14], v[13:14], v[34:35]
.LBB94_298:
	s_or_b64 exec, exec, s[10:11]
	v_cmp_eq_u32_e64 s[10:11], 13, v29
	s_and_b64 s[14:15], s[10:11], s[78:79]
	s_barrier
	s_and_saveexec_b64 s[10:11], s[14:15]
	s_cbranch_execz .LBB94_300
; %bb.299:
	v_mov_b32_e32 v32, 0
	ds_read_b128 v[32:35], v32 offset:15312
	s_waitcnt lgkmcnt(0)
	v_mul_f64 v[36:37], v[13:14], v[34:35]
	v_mul_f64 v[34:35], v[11:12], v[34:35]
	v_fma_f64 v[11:12], v[11:12], v[32:33], -v[36:37]
	v_fma_f64 v[13:14], v[13:14], v[32:33], v[34:35]
	ds_write_b128 v31, v[11:14]
.LBB94_300:
	s_or_b64 exec, exec, s[10:11]
	v_cmp_lt_u32_e64 s[10:11], 13, v29
	s_and_b64 s[14:15], s[10:11], s[78:79]
	s_waitcnt lgkmcnt(0)
	s_barrier
	s_and_saveexec_b64 s[10:11], s[14:15]
	s_cbranch_execz .LBB94_302
; %bb.301:
	ds_read_b128 v[32:35], v31
	ds_read_b128 v[36:39], v30 offset:15104
	s_waitcnt lgkmcnt(0)
	v_mul_f64 v[40:41], v[34:35], v[38:39]
	v_mul_f64 v[38:39], v[32:33], v[38:39]
	v_fma_f64 v[32:33], v[32:33], v[36:37], -v[40:41]
	v_fma_f64 v[34:35], v[34:35], v[36:37], v[38:39]
	v_add_f64 v[11:12], v[11:12], v[32:33]
	v_add_f64 v[13:14], v[13:14], v[34:35]
.LBB94_302:
	s_or_b64 exec, exec, s[10:11]
	v_cmp_eq_u32_e64 s[10:11], 14, v29
	s_and_b64 s[14:15], s[10:11], s[78:79]
	s_barrier
	s_and_saveexec_b64 s[10:11], s[14:15]
	s_cbranch_execz .LBB94_304
; %bb.303:
	v_mov_b32_e32 v30, 0
	ds_read_b128 v[32:35], v30 offset:15840
	s_waitcnt lgkmcnt(0)
	v_mul_f64 v[36:37], v[13:14], v[34:35]
	v_mul_f64 v[34:35], v[11:12], v[34:35]
	v_fma_f64 v[11:12], v[11:12], v[32:33], -v[36:37]
	v_fma_f64 v[13:14], v[13:14], v[32:33], v[34:35]
	ds_write_b128 v31, v[11:14]
.LBB94_304:
	s_or_b64 exec, exec, s[10:11]
	v_cmp_eq_u32_e64 s[10:11], 15, v29
	s_and_b64 s[10:11], s[10:11], s[78:79]
	s_waitcnt lgkmcnt(0)
	s_barrier
	s_and_saveexec_b64 s[14:15], s[10:11]
	s_cbranch_execz .LBB94_306
; %bb.305:
	v_mov_b32_e32 v29, 0
	ds_read_b128 v[32:35], v31
	ds_read_b128 v[36:39], v29 offset:15856
	s_waitcnt lgkmcnt(0)
	v_mul_f64 v[29:30], v[34:35], v[38:39]
	v_mul_f64 v[38:39], v[32:33], v[38:39]
	v_fma_f64 v[29:30], v[32:33], v[36:37], -v[29:30]
	v_fma_f64 v[32:33], v[34:35], v[36:37], v[38:39]
	v_add_f64 v[11:12], v[11:12], v[29:30]
	v_add_f64 v[13:14], v[13:14], v[32:33]
.LBB94_306:
	s_or_b64 exec, exec, s[14:15]
	s_barrier
	s_and_saveexec_b64 s[14:15], s[10:11]
	s_cbranch_execz .LBB94_308
; %bb.307:
	v_mov_b32_e32 v29, 0
	ds_read_b128 v[32:35], v29 offset:16368
	s_waitcnt lgkmcnt(0)
	v_mul_f64 v[29:30], v[13:14], v[34:35]
	v_mul_f64 v[34:35], v[11:12], v[34:35]
	v_fma_f64 v[11:12], v[11:12], v[32:33], -v[29:30]
	v_fma_f64 v[13:14], v[13:14], v[32:33], v[34:35]
	ds_write_b128 v31, v[11:14]
.LBB94_308:
	s_or_b64 exec, exec, s[14:15]
	s_waitcnt lgkmcnt(0)
	s_barrier
	s_barrier
	s_and_saveexec_b64 s[10:11], s[8:9]
; %bb.309:
	v_xor_b32_e32 v14, 0x80000000, v14
	v_xor_b32_e32 v12, 0x80000000, v12
	ds_write_b128 v28, v[11:14] offset:256
; %bb.310:
	s_or_b64 exec, exec, s[10:11]
	s_waitcnt lgkmcnt(0)
	s_barrier
	s_barrier
	s_and_saveexec_b64 s[8:9], vcc
	s_cbranch_execz .LBB94_312
; %bb.311:
	v_mov_b32_e32 v38, 0
	ds_read_b128 v[11:14], v38 offset:8976
	ds_read_b128 v[28:31], v38 offset:8448
	;; [unrolled: 1-line block ×3, first 2 shown]
	s_waitcnt lgkmcnt(1)
	v_mul_f64 v[36:37], v[11:12], v[30:31]
	v_mul_f64 v[30:31], v[13:14], v[30:31]
	v_fma_f64 v[13:14], v[13:14], v[28:29], v[36:37]
	v_fma_f64 v[11:12], v[11:12], v[28:29], -v[30:31]
	s_waitcnt lgkmcnt(0)
	v_mul_f64 v[28:29], v[13:14], v[34:35]
	v_mul_f64 v[30:31], v[11:12], v[34:35]
	v_fma_f64 v[11:12], v[32:33], v[11:12], -v[28:29]
	v_fma_f64 v[13:14], v[32:33], v[13:14], v[30:31]
	ds_write_b128 v38, v[11:14] offset:8464
.LBB94_312:
	s_or_b64 exec, exec, s[8:9]
	v_mov_b32_e32 v13, 0
	v_mov_b32_e32 v11, 0
	;; [unrolled: 1-line block ×4, first 2 shown]
	s_waitcnt lgkmcnt(0)
	s_barrier
	s_and_saveexec_b64 s[10:11], s[0:1]
	s_cbranch_execz .LBB94_316
; %bb.313:
	v_mul_u32_u24_e32 v11, 0x210, v17
	ds_read_b128 v[11:14], v11 offset:8448
	ds_read_b128 v[28:31], v15 offset:8480
	v_cmp_gt_u32_e64 s[8:9], 2, v1
	s_waitcnt lgkmcnt(0)
	v_mul_f64 v[32:33], v[13:14], v[30:31]
	v_mul_f64 v[30:31], v[11:12], v[30:31]
	v_fma_f64 v[11:12], v[11:12], v[28:29], -v[32:33]
	v_fma_f64 v[13:14], v[13:14], v[28:29], v[30:31]
	v_add_f64 v[11:12], v[11:12], 0
	v_add_f64 v[13:14], v[13:14], 0
	s_and_saveexec_b64 s[14:15], s[8:9]
	s_cbranch_execz .LBB94_315
; %bb.314:
	v_lshlrev_b32_e32 v32, 4, v0
	v_mov_b32_e32 v28, 0
	ds_read_b128 v[28:31], v28 offset:8464
	ds_read_b128 v[32:35], v32 offset:8992
	s_waitcnt lgkmcnt(0)
	v_mul_f64 v[36:37], v[30:31], v[34:35]
	v_mul_f64 v[34:35], v[28:29], v[34:35]
	v_fma_f64 v[28:29], v[28:29], v[32:33], -v[36:37]
	v_fma_f64 v[30:31], v[30:31], v[32:33], v[34:35]
	v_add_f64 v[11:12], v[11:12], v[28:29]
	v_add_f64 v[13:14], v[13:14], v[30:31]
.LBB94_315:
	s_or_b64 exec, exec, s[14:15]
	v_xor_b32_e32 v12, 0x80000000, v12
	v_xor_b32_e32 v14, 0x80000000, v14
.LBB94_316:
	s_or_b64 exec, exec, s[10:11]
	s_and_saveexec_b64 s[8:9], s[36:37]
	s_cbranch_execz .LBB94_318
; %bb.317:
	v_mov_b32_e32 v28, 0
	ds_read_b128 v[28:31], v28 offset:9504
	s_waitcnt lgkmcnt(0)
	v_mul_f64 v[32:33], v[13:14], v[30:31]
	v_mul_f64 v[30:31], v[11:12], v[30:31]
	v_fma_f64 v[11:12], v[11:12], v[28:29], -v[32:33]
	v_fma_f64 v[13:14], v[13:14], v[28:29], v[30:31]
	ds_write_b128 v16, v[11:14]
.LBB94_318:
	s_or_b64 exec, exec, s[8:9]
	s_waitcnt lgkmcnt(0)
	s_barrier
	s_and_saveexec_b64 s[8:9], s[34:35]
	s_cbranch_execz .LBB94_320
; %bb.319:
	v_mov_b32_e32 v32, 0
	ds_read_b128 v[28:31], v16
	ds_read_b128 v[32:35], v32 offset:9520
	s_waitcnt lgkmcnt(0)
	v_mul_f64 v[36:37], v[30:31], v[34:35]
	v_mul_f64 v[34:35], v[28:29], v[34:35]
	v_fma_f64 v[28:29], v[28:29], v[32:33], -v[36:37]
	v_fma_f64 v[30:31], v[30:31], v[32:33], v[34:35]
	v_add_f64 v[11:12], v[11:12], v[28:29]
	v_add_f64 v[13:14], v[13:14], v[30:31]
.LBB94_320:
	s_or_b64 exec, exec, s[8:9]
	s_barrier
	s_and_saveexec_b64 s[8:9], s[34:35]
	s_cbranch_execz .LBB94_322
; %bb.321:
	v_mov_b32_e32 v28, 0
	ds_read_b128 v[28:31], v28 offset:10032
	s_waitcnt lgkmcnt(0)
	v_mul_f64 v[32:33], v[13:14], v[30:31]
	v_mul_f64 v[30:31], v[11:12], v[30:31]
	v_fma_f64 v[11:12], v[11:12], v[28:29], -v[32:33]
	v_fma_f64 v[13:14], v[13:14], v[28:29], v[30:31]
	ds_write_b128 v16, v[11:14]
.LBB94_322:
	s_or_b64 exec, exec, s[8:9]
	s_waitcnt lgkmcnt(0)
	s_barrier
	s_barrier
	s_and_saveexec_b64 s[8:9], s[0:1]
; %bb.323:
	v_xor_b32_e32 v12, 0x80000000, v12
	v_xor_b32_e32 v14, 0x80000000, v14
	ds_write_b128 v15, v[11:14] offset:8480
; %bb.324:
	s_or_b64 exec, exec, s[8:9]
	s_waitcnt lgkmcnt(0)
	s_barrier
	s_barrier
	s_and_saveexec_b64 s[8:9], vcc
	s_cbranch_execz .LBB94_326
; %bb.325:
	v_mov_b32_e32 v38, 0
	ds_read_b128 v[11:14], v38 offset:10032
	ds_read_b128 v[28:31], v38 offset:9504
	;; [unrolled: 1-line block ×3, first 2 shown]
	s_waitcnt lgkmcnt(1)
	v_mul_f64 v[36:37], v[11:12], v[30:31]
	v_mul_f64 v[30:31], v[13:14], v[30:31]
	v_fma_f64 v[13:14], v[13:14], v[28:29], v[36:37]
	v_fma_f64 v[11:12], v[11:12], v[28:29], -v[30:31]
	s_waitcnt lgkmcnt(0)
	v_mul_f64 v[28:29], v[13:14], v[34:35]
	v_mul_f64 v[30:31], v[11:12], v[34:35]
	v_fma_f64 v[11:12], v[32:33], v[11:12], -v[28:29]
	v_fma_f64 v[13:14], v[32:33], v[13:14], v[30:31]
	ds_write_b128 v38, v[11:14] offset:9520
.LBB94_326:
	s_or_b64 exec, exec, s[8:9]
	v_mov_b32_e32 v13, 0
	v_mov_b32_e32 v11, 0
	v_mov_b32_e32 v14, 0
	v_mov_b32_e32 v12, 0
	s_waitcnt lgkmcnt(0)
	s_barrier
	s_and_saveexec_b64 s[10:11], s[2:3]
	s_cbranch_execz .LBB94_332
; %bb.327:
	v_mul_u32_u24_e32 v28, 0x210, v22
	ds_read_b128 v[11:14], v28 offset:8448
	ds_read_b128 v[29:32], v18 offset:8512
	v_cmp_gt_u32_e64 s[8:9], 12, v1
	s_waitcnt lgkmcnt(0)
	v_mul_f64 v[33:34], v[13:14], v[31:32]
	v_mul_f64 v[31:32], v[11:12], v[31:32]
	v_fma_f64 v[11:12], v[11:12], v[29:30], -v[33:34]
	v_fma_f64 v[13:14], v[13:14], v[29:30], v[31:32]
	v_add_f64 v[11:12], v[11:12], 0
	v_add_f64 v[13:14], v[13:14], 0
	s_and_saveexec_b64 s[14:15], s[8:9]
	s_cbranch_execnz .LBB94_535
; %bb.328:
	s_or_b64 exec, exec, s[14:15]
	v_cmp_gt_u32_e64 s[8:9], 8, v1
	s_and_saveexec_b64 s[14:15], s[8:9]
	s_cbranch_execnz .LBB94_536
.LBB94_329:
	s_or_b64 exec, exec, s[14:15]
	v_cmp_gt_u32_e64 s[8:9], 4, v1
	s_and_saveexec_b64 s[14:15], s[8:9]
	s_cbranch_execz .LBB94_331
.LBB94_330:
	v_lshlrev_b32_e32 v32, 4, v0
	v_mov_b32_e32 v28, 0
	ds_read_b128 v[28:31], v28 offset:8496
	ds_read_b128 v[32:35], v32 offset:10048
	s_waitcnt lgkmcnt(0)
	v_mul_f64 v[36:37], v[30:31], v[34:35]
	v_mul_f64 v[34:35], v[28:29], v[34:35]
	v_fma_f64 v[28:29], v[28:29], v[32:33], -v[36:37]
	v_fma_f64 v[30:31], v[30:31], v[32:33], v[34:35]
	v_add_f64 v[11:12], v[11:12], v[28:29]
	v_add_f64 v[13:14], v[13:14], v[30:31]
.LBB94_331:
	s_or_b64 exec, exec, s[14:15]
	v_xor_b32_e32 v12, 0x80000000, v12
	v_xor_b32_e32 v14, 0x80000000, v14
.LBB94_332:
	s_or_b64 exec, exec, s[10:11]
	s_and_saveexec_b64 s[8:9], s[40:41]
	s_cbranch_execz .LBB94_334
; %bb.333:
	v_mov_b32_e32 v28, 0
	ds_read_b128 v[28:31], v28 offset:10560
	s_waitcnt lgkmcnt(0)
	v_mul_f64 v[32:33], v[13:14], v[30:31]
	v_mul_f64 v[30:31], v[11:12], v[30:31]
	v_fma_f64 v[11:12], v[11:12], v[28:29], -v[32:33]
	v_fma_f64 v[13:14], v[13:14], v[28:29], v[30:31]
	ds_write_b128 v20, v[11:14]
.LBB94_334:
	s_or_b64 exec, exec, s[8:9]
	s_waitcnt lgkmcnt(0)
	s_barrier
	s_and_saveexec_b64 s[8:9], s[42:43]
	s_cbranch_execz .LBB94_336
; %bb.335:
	ds_read_b128 v[28:31], v20
	ds_read_b128 v[32:35], v19 offset:10560
	s_waitcnt lgkmcnt(0)
	v_mul_f64 v[36:37], v[30:31], v[34:35]
	v_mul_f64 v[34:35], v[28:29], v[34:35]
	v_fma_f64 v[28:29], v[28:29], v[32:33], -v[36:37]
	v_fma_f64 v[30:31], v[30:31], v[32:33], v[34:35]
	v_add_f64 v[11:12], v[11:12], v[28:29]
	v_add_f64 v[13:14], v[13:14], v[30:31]
.LBB94_336:
	s_or_b64 exec, exec, s[8:9]
	s_barrier
	s_and_saveexec_b64 s[8:9], s[44:45]
	s_cbranch_execz .LBB94_338
; %bb.337:
	v_mov_b32_e32 v28, 0
	ds_read_b128 v[28:31], v28 offset:11088
	s_waitcnt lgkmcnt(0)
	v_mul_f64 v[32:33], v[13:14], v[30:31]
	v_mul_f64 v[30:31], v[11:12], v[30:31]
	v_fma_f64 v[11:12], v[11:12], v[28:29], -v[32:33]
	v_fma_f64 v[13:14], v[13:14], v[28:29], v[30:31]
	ds_write_b128 v20, v[11:14]
.LBB94_338:
	s_or_b64 exec, exec, s[8:9]
	s_waitcnt lgkmcnt(0)
	s_barrier
	s_and_saveexec_b64 s[8:9], s[46:47]
	s_cbranch_execz .LBB94_340
; %bb.339:
	ds_read_b128 v[28:31], v20
	ds_read_b128 v[32:35], v19 offset:11072
	s_waitcnt lgkmcnt(0)
	v_mul_f64 v[36:37], v[30:31], v[34:35]
	v_mul_f64 v[34:35], v[28:29], v[34:35]
	v_fma_f64 v[28:29], v[28:29], v[32:33], -v[36:37]
	v_fma_f64 v[30:31], v[30:31], v[32:33], v[34:35]
	v_add_f64 v[11:12], v[11:12], v[28:29]
	v_add_f64 v[13:14], v[13:14], v[30:31]
.LBB94_340:
	s_or_b64 exec, exec, s[8:9]
	s_barrier
	s_and_saveexec_b64 s[8:9], s[48:49]
	s_cbranch_execz .LBB94_342
; %bb.341:
	v_mov_b32_e32 v28, 0
	ds_read_b128 v[28:31], v28 offset:11616
	s_waitcnt lgkmcnt(0)
	v_mul_f64 v[32:33], v[13:14], v[30:31]
	v_mul_f64 v[30:31], v[11:12], v[30:31]
	v_fma_f64 v[11:12], v[11:12], v[28:29], -v[32:33]
	v_fma_f64 v[13:14], v[13:14], v[28:29], v[30:31]
	ds_write_b128 v20, v[11:14]
.LBB94_342:
	s_or_b64 exec, exec, s[8:9]
	s_waitcnt lgkmcnt(0)
	s_barrier
	s_and_saveexec_b64 s[8:9], s[38:39]
	s_cbranch_execz .LBB94_344
; %bb.343:
	v_mov_b32_e32 v32, 0
	ds_read_b128 v[28:31], v20
	ds_read_b128 v[32:35], v32 offset:11632
	s_waitcnt lgkmcnt(0)
	v_mul_f64 v[36:37], v[30:31], v[34:35]
	v_mul_f64 v[34:35], v[28:29], v[34:35]
	v_fma_f64 v[28:29], v[28:29], v[32:33], -v[36:37]
	v_fma_f64 v[30:31], v[30:31], v[32:33], v[34:35]
	v_add_f64 v[11:12], v[11:12], v[28:29]
	v_add_f64 v[13:14], v[13:14], v[30:31]
.LBB94_344:
	s_or_b64 exec, exec, s[8:9]
	s_barrier
	s_and_saveexec_b64 s[8:9], s[38:39]
	s_cbranch_execz .LBB94_346
; %bb.345:
	v_mov_b32_e32 v28, 0
	ds_read_b128 v[28:31], v28 offset:12144
	s_waitcnt lgkmcnt(0)
	v_mul_f64 v[32:33], v[13:14], v[30:31]
	v_mul_f64 v[30:31], v[11:12], v[30:31]
	v_fma_f64 v[11:12], v[11:12], v[28:29], -v[32:33]
	v_fma_f64 v[13:14], v[13:14], v[28:29], v[30:31]
	ds_write_b128 v20, v[11:14]
.LBB94_346:
	s_or_b64 exec, exec, s[8:9]
	s_waitcnt lgkmcnt(0)
	s_barrier
	s_barrier
	s_and_saveexec_b64 s[8:9], s[2:3]
; %bb.347:
	v_xor_b32_e32 v14, 0x80000000, v14
	v_xor_b32_e32 v12, 0x80000000, v12
	ds_write_b128 v18, v[11:14] offset:8512
; %bb.348:
	s_or_b64 exec, exec, s[8:9]
	s_waitcnt lgkmcnt(0)
	s_barrier
	s_barrier
	s_and_saveexec_b64 s[8:9], vcc
	s_cbranch_execz .LBB94_350
; %bb.349:
	v_mov_b32_e32 v38, 0
	ds_read_b128 v[11:14], v38 offset:11088
	ds_read_b128 v[28:31], v38 offset:10560
	;; [unrolled: 1-line block ×3, first 2 shown]
	s_waitcnt lgkmcnt(1)
	v_mul_f64 v[36:37], v[11:12], v[30:31]
	v_mul_f64 v[30:31], v[13:14], v[30:31]
	v_fma_f64 v[13:14], v[13:14], v[28:29], v[36:37]
	v_fma_f64 v[11:12], v[11:12], v[28:29], -v[30:31]
	s_waitcnt lgkmcnt(0)
	v_mul_f64 v[28:29], v[13:14], v[34:35]
	v_mul_f64 v[30:31], v[11:12], v[34:35]
	v_fma_f64 v[11:12], v[32:33], v[11:12], -v[28:29]
	v_fma_f64 v[13:14], v[32:33], v[13:14], v[30:31]
	ds_write_b128 v38, v[11:14] offset:10576
.LBB94_350:
	s_or_b64 exec, exec, s[8:9]
	v_mov_b32_e32 v13, 0
	v_mov_b32_e32 v11, 0
	;; [unrolled: 1-line block ×4, first 2 shown]
	s_waitcnt lgkmcnt(0)
	s_barrier
	s_and_saveexec_b64 s[10:11], s[0:1]
	s_cbranch_execz .LBB94_354
; %bb.351:
	v_mul_u32_u24_e32 v11, 0x210, v17
	ds_read_b128 v[11:14], v11 offset:10560
	ds_read_b128 v[28:31], v15 offset:10592
	v_cmp_gt_u32_e64 s[8:9], 2, v1
	s_waitcnt lgkmcnt(0)
	v_mul_f64 v[32:33], v[13:14], v[30:31]
	v_mul_f64 v[30:31], v[11:12], v[30:31]
	v_fma_f64 v[11:12], v[11:12], v[28:29], -v[32:33]
	v_fma_f64 v[13:14], v[13:14], v[28:29], v[30:31]
	v_add_f64 v[11:12], v[11:12], 0
	v_add_f64 v[13:14], v[13:14], 0
	s_and_saveexec_b64 s[14:15], s[8:9]
	s_cbranch_execz .LBB94_353
; %bb.352:
	v_lshlrev_b32_e32 v32, 4, v0
	v_mov_b32_e32 v28, 0
	ds_read_b128 v[28:31], v28 offset:10576
	ds_read_b128 v[32:35], v32 offset:11104
	s_waitcnt lgkmcnt(0)
	v_mul_f64 v[36:37], v[30:31], v[34:35]
	v_mul_f64 v[34:35], v[28:29], v[34:35]
	v_fma_f64 v[28:29], v[28:29], v[32:33], -v[36:37]
	v_fma_f64 v[30:31], v[30:31], v[32:33], v[34:35]
	v_add_f64 v[11:12], v[11:12], v[28:29]
	v_add_f64 v[13:14], v[13:14], v[30:31]
.LBB94_353:
	s_or_b64 exec, exec, s[14:15]
	v_xor_b32_e32 v12, 0x80000000, v12
	v_xor_b32_e32 v14, 0x80000000, v14
.LBB94_354:
	s_or_b64 exec, exec, s[10:11]
	s_and_saveexec_b64 s[8:9], s[36:37]
	s_cbranch_execz .LBB94_356
; %bb.355:
	v_mov_b32_e32 v28, 0
	ds_read_b128 v[28:31], v28 offset:11616
	s_waitcnt lgkmcnt(0)
	v_mul_f64 v[32:33], v[13:14], v[30:31]
	v_mul_f64 v[30:31], v[11:12], v[30:31]
	v_fma_f64 v[11:12], v[11:12], v[28:29], -v[32:33]
	v_fma_f64 v[13:14], v[13:14], v[28:29], v[30:31]
	ds_write_b128 v16, v[11:14]
.LBB94_356:
	s_or_b64 exec, exec, s[8:9]
	s_waitcnt lgkmcnt(0)
	s_barrier
	s_and_saveexec_b64 s[8:9], s[34:35]
	s_cbranch_execz .LBB94_358
; %bb.357:
	v_mov_b32_e32 v32, 0
	ds_read_b128 v[28:31], v16
	ds_read_b128 v[32:35], v32 offset:11632
	s_waitcnt lgkmcnt(0)
	v_mul_f64 v[36:37], v[30:31], v[34:35]
	v_mul_f64 v[34:35], v[28:29], v[34:35]
	v_fma_f64 v[28:29], v[28:29], v[32:33], -v[36:37]
	v_fma_f64 v[30:31], v[30:31], v[32:33], v[34:35]
	v_add_f64 v[11:12], v[11:12], v[28:29]
	v_add_f64 v[13:14], v[13:14], v[30:31]
.LBB94_358:
	s_or_b64 exec, exec, s[8:9]
	s_barrier
	s_and_saveexec_b64 s[8:9], s[34:35]
	s_cbranch_execz .LBB94_360
; %bb.359:
	v_mov_b32_e32 v28, 0
	ds_read_b128 v[28:31], v28 offset:12144
	s_waitcnt lgkmcnt(0)
	v_mul_f64 v[32:33], v[13:14], v[30:31]
	v_mul_f64 v[30:31], v[11:12], v[30:31]
	v_fma_f64 v[11:12], v[11:12], v[28:29], -v[32:33]
	v_fma_f64 v[13:14], v[13:14], v[28:29], v[30:31]
	ds_write_b128 v16, v[11:14]
.LBB94_360:
	s_or_b64 exec, exec, s[8:9]
	s_waitcnt lgkmcnt(0)
	s_barrier
	s_barrier
	s_and_saveexec_b64 s[8:9], s[0:1]
; %bb.361:
	v_xor_b32_e32 v12, 0x80000000, v12
	v_xor_b32_e32 v14, 0x80000000, v14
	ds_write_b128 v15, v[11:14] offset:10592
; %bb.362:
	s_or_b64 exec, exec, s[8:9]
	s_waitcnt lgkmcnt(0)
	s_barrier
	s_barrier
	s_and_saveexec_b64 s[8:9], vcc
	s_cbranch_execz .LBB94_364
; %bb.363:
	v_mov_b32_e32 v38, 0
	ds_read_b128 v[11:14], v38 offset:12144
	ds_read_b128 v[28:31], v38 offset:11616
	;; [unrolled: 1-line block ×3, first 2 shown]
	s_waitcnt lgkmcnt(1)
	v_mul_f64 v[36:37], v[11:12], v[30:31]
	v_mul_f64 v[30:31], v[13:14], v[30:31]
	v_fma_f64 v[13:14], v[13:14], v[28:29], v[36:37]
	v_fma_f64 v[11:12], v[11:12], v[28:29], -v[30:31]
	s_waitcnt lgkmcnt(0)
	v_mul_f64 v[28:29], v[13:14], v[34:35]
	v_mul_f64 v[30:31], v[11:12], v[34:35]
	v_fma_f64 v[11:12], v[32:33], v[11:12], -v[28:29]
	v_fma_f64 v[13:14], v[32:33], v[13:14], v[30:31]
	ds_write_b128 v38, v[11:14] offset:11632
.LBB94_364:
	s_or_b64 exec, exec, s[8:9]
	v_mov_b32_e32 v13, 0
	v_mov_b32_e32 v11, 0
	;; [unrolled: 1-line block ×4, first 2 shown]
	s_waitcnt lgkmcnt(0)
	s_barrier
	s_and_saveexec_b64 s[10:11], s[12:13]
	s_cbranch_execz .LBB94_374
; %bb.365:
	v_mul_u32_u24_e32 v28, 0x210, v27
	ds_read_b128 v[11:14], v28 offset:8448
	ds_read_b128 v[29:32], v23 offset:8576
	v_cmp_gt_u32_e64 s[8:9], 56, v1
	s_waitcnt lgkmcnt(0)
	v_mul_f64 v[33:34], v[13:14], v[31:32]
	v_mul_f64 v[31:32], v[11:12], v[31:32]
	v_fma_f64 v[11:12], v[11:12], v[29:30], -v[33:34]
	v_fma_f64 v[13:14], v[13:14], v[29:30], v[31:32]
	v_add_f64 v[11:12], v[11:12], 0
	v_add_f64 v[13:14], v[13:14], 0
	s_and_saveexec_b64 s[14:15], s[8:9]
	s_cbranch_execnz .LBB94_537
; %bb.366:
	s_or_b64 exec, exec, s[14:15]
	v_cmp_gt_u32_e64 s[8:9], 48, v1
	s_and_saveexec_b64 s[14:15], s[8:9]
	s_cbranch_execnz .LBB94_538
.LBB94_367:
	s_or_b64 exec, exec, s[14:15]
	v_cmp_gt_u32_e64 s[8:9], 40, v1
	s_and_saveexec_b64 s[14:15], s[8:9]
	s_cbranch_execnz .LBB94_539
.LBB94_368:
	s_or_b64 exec, exec, s[14:15]
	v_cmp_gt_u32_e64 s[8:9], 32, v1
	s_and_saveexec_b64 s[14:15], s[8:9]
	s_cbranch_execnz .LBB94_540
.LBB94_369:
	s_or_b64 exec, exec, s[14:15]
	v_cmp_gt_u32_e64 s[8:9], 24, v1
	s_and_saveexec_b64 s[14:15], s[8:9]
	s_cbranch_execnz .LBB94_541
.LBB94_370:
	s_or_b64 exec, exec, s[14:15]
	v_cmp_gt_u32_e64 s[8:9], 16, v1
	s_and_saveexec_b64 s[14:15], s[8:9]
	s_cbranch_execnz .LBB94_542
.LBB94_371:
	s_or_b64 exec, exec, s[14:15]
	v_cmp_gt_u32_e64 s[8:9], 8, v1
	s_and_saveexec_b64 s[14:15], s[8:9]
	s_cbranch_execz .LBB94_373
.LBB94_372:
	v_lshlrev_b32_e32 v30, 4, v0
	v_mov_b32_e32 v26, 0
	ds_read_b128 v[26:29], v26 offset:8560
	ds_read_b128 v[30:33], v30 offset:12160
	s_waitcnt lgkmcnt(0)
	v_mul_f64 v[34:35], v[28:29], v[32:33]
	v_mul_f64 v[32:33], v[26:27], v[32:33]
	v_fma_f64 v[26:27], v[26:27], v[30:31], -v[34:35]
	v_fma_f64 v[28:29], v[28:29], v[30:31], v[32:33]
	v_add_f64 v[11:12], v[11:12], v[26:27]
	v_add_f64 v[13:14], v[13:14], v[28:29]
.LBB94_373:
	s_or_b64 exec, exec, s[14:15]
	v_xor_b32_e32 v12, 0x80000000, v12
	v_xor_b32_e32 v14, 0x80000000, v14
.LBB94_374:
	s_or_b64 exec, exec, s[10:11]
	s_and_saveexec_b64 s[8:9], s[52:53]
	s_cbranch_execz .LBB94_376
; %bb.375:
	v_mov_b32_e32 v26, 0
	ds_read_b128 v[26:29], v26 offset:12672
	s_waitcnt lgkmcnt(0)
	v_mul_f64 v[30:31], v[13:14], v[28:29]
	v_mul_f64 v[28:29], v[11:12], v[28:29]
	v_fma_f64 v[11:12], v[11:12], v[26:27], -v[30:31]
	v_fma_f64 v[13:14], v[13:14], v[26:27], v[28:29]
	ds_write_b128 v25, v[11:14]
.LBB94_376:
	s_or_b64 exec, exec, s[8:9]
	s_waitcnt lgkmcnt(0)
	s_barrier
	s_and_saveexec_b64 s[8:9], s[54:55]
	s_cbranch_execz .LBB94_378
; %bb.377:
	ds_read_b128 v[26:29], v25
	ds_read_b128 v[30:33], v24 offset:12672
	s_waitcnt lgkmcnt(0)
	v_mul_f64 v[34:35], v[28:29], v[32:33]
	v_mul_f64 v[32:33], v[26:27], v[32:33]
	v_fma_f64 v[26:27], v[26:27], v[30:31], -v[34:35]
	v_fma_f64 v[28:29], v[28:29], v[30:31], v[32:33]
	v_add_f64 v[11:12], v[11:12], v[26:27]
	v_add_f64 v[13:14], v[13:14], v[28:29]
.LBB94_378:
	s_or_b64 exec, exec, s[8:9]
	s_barrier
	s_and_saveexec_b64 s[8:9], s[56:57]
	s_cbranch_execz .LBB94_380
; %bb.379:
	v_mov_b32_e32 v26, 0
	ds_read_b128 v[26:29], v26 offset:13200
	s_waitcnt lgkmcnt(0)
	v_mul_f64 v[30:31], v[13:14], v[28:29]
	v_mul_f64 v[28:29], v[11:12], v[28:29]
	v_fma_f64 v[11:12], v[11:12], v[26:27], -v[30:31]
	v_fma_f64 v[13:14], v[13:14], v[26:27], v[28:29]
	ds_write_b128 v25, v[11:14]
.LBB94_380:
	s_or_b64 exec, exec, s[8:9]
	s_waitcnt lgkmcnt(0)
	s_barrier
	s_and_saveexec_b64 s[8:9], s[58:59]
	s_cbranch_execz .LBB94_382
; %bb.381:
	ds_read_b128 v[26:29], v25
	ds_read_b128 v[30:33], v24 offset:13184
	s_waitcnt lgkmcnt(0)
	v_mul_f64 v[34:35], v[28:29], v[32:33]
	v_mul_f64 v[32:33], v[26:27], v[32:33]
	v_fma_f64 v[26:27], v[26:27], v[30:31], -v[34:35]
	v_fma_f64 v[28:29], v[28:29], v[30:31], v[32:33]
	v_add_f64 v[11:12], v[11:12], v[26:27]
	v_add_f64 v[13:14], v[13:14], v[28:29]
.LBB94_382:
	s_or_b64 exec, exec, s[8:9]
	s_barrier
	;; [unrolled: 30-line block ×6, first 2 shown]
	s_and_saveexec_b64 s[8:9], s[76:77]
	s_cbranch_execz .LBB94_400
; %bb.399:
	v_mov_b32_e32 v24, 0
	ds_read_b128 v[26:29], v24 offset:15840
	s_waitcnt lgkmcnt(0)
	v_mul_f64 v[30:31], v[13:14], v[28:29]
	v_mul_f64 v[28:29], v[11:12], v[28:29]
	v_fma_f64 v[11:12], v[11:12], v[26:27], -v[30:31]
	v_fma_f64 v[13:14], v[13:14], v[26:27], v[28:29]
	ds_write_b128 v25, v[11:14]
.LBB94_400:
	s_or_b64 exec, exec, s[8:9]
	s_waitcnt lgkmcnt(0)
	s_barrier
	s_and_saveexec_b64 s[8:9], s[50:51]
	s_cbranch_execz .LBB94_402
; %bb.401:
	v_mov_b32_e32 v24, 0
	ds_read_b128 v[26:29], v25
	ds_read_b128 v[30:33], v24 offset:15856
	s_waitcnt lgkmcnt(0)
	v_mul_f64 v[34:35], v[28:29], v[32:33]
	v_mul_f64 v[32:33], v[26:27], v[32:33]
	v_fma_f64 v[26:27], v[26:27], v[30:31], -v[34:35]
	v_fma_f64 v[28:29], v[28:29], v[30:31], v[32:33]
	v_add_f64 v[11:12], v[11:12], v[26:27]
	v_add_f64 v[13:14], v[13:14], v[28:29]
.LBB94_402:
	s_or_b64 exec, exec, s[8:9]
	s_barrier
	s_and_saveexec_b64 s[8:9], s[50:51]
	s_cbranch_execz .LBB94_404
; %bb.403:
	v_mov_b32_e32 v24, 0
	ds_read_b128 v[26:29], v24 offset:16368
	s_waitcnt lgkmcnt(0)
	v_mul_f64 v[30:31], v[13:14], v[28:29]
	v_mul_f64 v[28:29], v[11:12], v[28:29]
	v_fma_f64 v[11:12], v[11:12], v[26:27], -v[30:31]
	v_fma_f64 v[13:14], v[13:14], v[26:27], v[28:29]
	ds_write_b128 v25, v[11:14]
.LBB94_404:
	s_or_b64 exec, exec, s[8:9]
	s_waitcnt lgkmcnt(0)
	s_barrier
	s_barrier
	s_and_saveexec_b64 s[8:9], s[12:13]
; %bb.405:
	v_xor_b32_e32 v12, 0x80000000, v12
	v_xor_b32_e32 v14, 0x80000000, v14
	ds_write_b128 v23, v[11:14] offset:8576
; %bb.406:
	s_or_b64 exec, exec, s[8:9]
	s_waitcnt lgkmcnt(0)
	s_barrier
	s_barrier
	s_and_saveexec_b64 s[8:9], vcc
	s_cbranch_execz .LBB94_408
; %bb.407:
	v_mov_b32_e32 v33, 0
	ds_read_b128 v[11:14], v33 offset:13200
	ds_read_b128 v[23:26], v33 offset:12672
	;; [unrolled: 1-line block ×3, first 2 shown]
	s_waitcnt lgkmcnt(1)
	v_mul_f64 v[31:32], v[11:12], v[25:26]
	v_mul_f64 v[25:26], v[13:14], v[25:26]
	v_fma_f64 v[13:14], v[13:14], v[23:24], v[31:32]
	v_fma_f64 v[11:12], v[11:12], v[23:24], -v[25:26]
	s_waitcnt lgkmcnt(0)
	v_mul_f64 v[23:24], v[13:14], v[29:30]
	v_mul_f64 v[25:26], v[11:12], v[29:30]
	v_fma_f64 v[11:12], v[27:28], v[11:12], -v[23:24]
	v_fma_f64 v[13:14], v[27:28], v[13:14], v[25:26]
	ds_write_b128 v33, v[11:14] offset:12688
.LBB94_408:
	s_or_b64 exec, exec, s[8:9]
	v_mov_b32_e32 v13, 0
	v_mov_b32_e32 v11, 0
	;; [unrolled: 1-line block ×4, first 2 shown]
	s_waitcnt lgkmcnt(0)
	s_barrier
	s_and_saveexec_b64 s[10:11], s[0:1]
	s_cbranch_execz .LBB94_412
; %bb.409:
	v_mul_u32_u24_e32 v11, 0x210, v17
	ds_read_b128 v[11:14], v11 offset:12672
	ds_read_b128 v[23:26], v15 offset:12704
	v_cmp_gt_u32_e64 s[8:9], 2, v1
	s_waitcnt lgkmcnt(0)
	v_mul_f64 v[27:28], v[13:14], v[25:26]
	v_mul_f64 v[25:26], v[11:12], v[25:26]
	v_fma_f64 v[11:12], v[11:12], v[23:24], -v[27:28]
	v_fma_f64 v[13:14], v[13:14], v[23:24], v[25:26]
	v_add_f64 v[11:12], v[11:12], 0
	v_add_f64 v[13:14], v[13:14], 0
	s_and_saveexec_b64 s[12:13], s[8:9]
	s_cbranch_execz .LBB94_411
; %bb.410:
	v_lshlrev_b32_e32 v27, 4, v0
	v_mov_b32_e32 v23, 0
	ds_read_b128 v[23:26], v23 offset:12688
	ds_read_b128 v[27:30], v27 offset:13216
	s_waitcnt lgkmcnt(0)
	v_mul_f64 v[31:32], v[25:26], v[29:30]
	v_mul_f64 v[29:30], v[23:24], v[29:30]
	v_fma_f64 v[23:24], v[23:24], v[27:28], -v[31:32]
	v_fma_f64 v[25:26], v[25:26], v[27:28], v[29:30]
	v_add_f64 v[11:12], v[11:12], v[23:24]
	v_add_f64 v[13:14], v[13:14], v[25:26]
.LBB94_411:
	s_or_b64 exec, exec, s[12:13]
	v_xor_b32_e32 v12, 0x80000000, v12
	v_xor_b32_e32 v14, 0x80000000, v14
.LBB94_412:
	s_or_b64 exec, exec, s[10:11]
	s_and_saveexec_b64 s[8:9], s[36:37]
	s_cbranch_execz .LBB94_414
; %bb.413:
	v_mov_b32_e32 v23, 0
	ds_read_b128 v[23:26], v23 offset:13728
	s_waitcnt lgkmcnt(0)
	v_mul_f64 v[27:28], v[13:14], v[25:26]
	v_mul_f64 v[25:26], v[11:12], v[25:26]
	v_fma_f64 v[11:12], v[11:12], v[23:24], -v[27:28]
	v_fma_f64 v[13:14], v[13:14], v[23:24], v[25:26]
	ds_write_b128 v16, v[11:14]
.LBB94_414:
	s_or_b64 exec, exec, s[8:9]
	s_waitcnt lgkmcnt(0)
	s_barrier
	s_and_saveexec_b64 s[8:9], s[34:35]
	s_cbranch_execz .LBB94_416
; %bb.415:
	v_mov_b32_e32 v27, 0
	ds_read_b128 v[23:26], v16
	ds_read_b128 v[27:30], v27 offset:13744
	s_waitcnt lgkmcnt(0)
	v_mul_f64 v[31:32], v[25:26], v[29:30]
	v_mul_f64 v[29:30], v[23:24], v[29:30]
	v_fma_f64 v[23:24], v[23:24], v[27:28], -v[31:32]
	v_fma_f64 v[25:26], v[25:26], v[27:28], v[29:30]
	v_add_f64 v[11:12], v[11:12], v[23:24]
	v_add_f64 v[13:14], v[13:14], v[25:26]
.LBB94_416:
	s_or_b64 exec, exec, s[8:9]
	s_barrier
	s_and_saveexec_b64 s[8:9], s[34:35]
	s_cbranch_execz .LBB94_418
; %bb.417:
	v_mov_b32_e32 v23, 0
	ds_read_b128 v[23:26], v23 offset:14256
	s_waitcnt lgkmcnt(0)
	v_mul_f64 v[27:28], v[13:14], v[25:26]
	v_mul_f64 v[25:26], v[11:12], v[25:26]
	v_fma_f64 v[11:12], v[11:12], v[23:24], -v[27:28]
	v_fma_f64 v[13:14], v[13:14], v[23:24], v[25:26]
	ds_write_b128 v16, v[11:14]
.LBB94_418:
	s_or_b64 exec, exec, s[8:9]
	s_waitcnt lgkmcnt(0)
	s_barrier
	s_barrier
	s_and_saveexec_b64 s[8:9], s[0:1]
; %bb.419:
	v_xor_b32_e32 v12, 0x80000000, v12
	v_xor_b32_e32 v14, 0x80000000, v14
	ds_write_b128 v15, v[11:14] offset:12704
; %bb.420:
	s_or_b64 exec, exec, s[8:9]
	s_waitcnt lgkmcnt(0)
	s_barrier
	s_barrier
	s_and_saveexec_b64 s[8:9], vcc
	s_cbranch_execz .LBB94_422
; %bb.421:
	v_mov_b32_e32 v33, 0
	ds_read_b128 v[11:14], v33 offset:14256
	ds_read_b128 v[23:26], v33 offset:13728
	ds_read_b128 v[27:30], v33 offset:13744
	s_waitcnt lgkmcnt(1)
	v_mul_f64 v[31:32], v[11:12], v[25:26]
	v_mul_f64 v[25:26], v[13:14], v[25:26]
	v_fma_f64 v[13:14], v[13:14], v[23:24], v[31:32]
	v_fma_f64 v[11:12], v[11:12], v[23:24], -v[25:26]
	s_waitcnt lgkmcnt(0)
	v_mul_f64 v[23:24], v[13:14], v[29:30]
	v_mul_f64 v[25:26], v[11:12], v[29:30]
	v_fma_f64 v[11:12], v[27:28], v[11:12], -v[23:24]
	v_fma_f64 v[13:14], v[27:28], v[13:14], v[25:26]
	ds_write_b128 v33, v[11:14] offset:13744
.LBB94_422:
	s_or_b64 exec, exec, s[8:9]
	v_mov_b32_e32 v13, 0
	v_mov_b32_e32 v11, 0
	;; [unrolled: 1-line block ×4, first 2 shown]
	s_waitcnt lgkmcnt(0)
	s_barrier
	s_and_saveexec_b64 s[10:11], s[2:3]
	s_cbranch_execz .LBB94_428
; %bb.423:
	v_mul_u32_u24_e32 v23, 0x210, v22
	ds_read_b128 v[11:14], v23 offset:12672
	ds_read_b128 v[24:27], v18 offset:12736
	v_cmp_gt_u32_e64 s[8:9], 12, v1
	s_waitcnt lgkmcnt(0)
	v_mul_f64 v[28:29], v[13:14], v[26:27]
	v_mul_f64 v[26:27], v[11:12], v[26:27]
	v_fma_f64 v[11:12], v[11:12], v[24:25], -v[28:29]
	v_fma_f64 v[13:14], v[13:14], v[24:25], v[26:27]
	v_add_f64 v[11:12], v[11:12], 0
	v_add_f64 v[13:14], v[13:14], 0
	s_and_saveexec_b64 s[12:13], s[8:9]
	s_cbranch_execnz .LBB94_543
; %bb.424:
	s_or_b64 exec, exec, s[12:13]
	v_cmp_gt_u32_e64 s[8:9], 8, v1
	s_and_saveexec_b64 s[12:13], s[8:9]
	s_cbranch_execnz .LBB94_544
.LBB94_425:
	s_or_b64 exec, exec, s[12:13]
	v_cmp_gt_u32_e64 s[8:9], 4, v1
	s_and_saveexec_b64 s[12:13], s[8:9]
	s_cbranch_execz .LBB94_427
.LBB94_426:
	v_lshlrev_b32_e32 v25, 4, v0
	v_mov_b32_e32 v21, 0
	ds_read_b128 v[21:24], v21 offset:12720
	ds_read_b128 v[25:28], v25 offset:14272
	s_waitcnt lgkmcnt(0)
	v_mul_f64 v[29:30], v[23:24], v[27:28]
	v_mul_f64 v[27:28], v[21:22], v[27:28]
	v_fma_f64 v[21:22], v[21:22], v[25:26], -v[29:30]
	v_fma_f64 v[23:24], v[23:24], v[25:26], v[27:28]
	v_add_f64 v[11:12], v[11:12], v[21:22]
	v_add_f64 v[13:14], v[13:14], v[23:24]
.LBB94_427:
	s_or_b64 exec, exec, s[12:13]
	v_xor_b32_e32 v12, 0x80000000, v12
	v_xor_b32_e32 v14, 0x80000000, v14
.LBB94_428:
	s_or_b64 exec, exec, s[10:11]
	s_and_saveexec_b64 s[8:9], s[40:41]
	s_cbranch_execz .LBB94_430
; %bb.429:
	v_mov_b32_e32 v21, 0
	ds_read_b128 v[21:24], v21 offset:14784
	s_waitcnt lgkmcnt(0)
	v_mul_f64 v[25:26], v[13:14], v[23:24]
	v_mul_f64 v[23:24], v[11:12], v[23:24]
	v_fma_f64 v[11:12], v[11:12], v[21:22], -v[25:26]
	v_fma_f64 v[13:14], v[13:14], v[21:22], v[23:24]
	ds_write_b128 v20, v[11:14]
.LBB94_430:
	s_or_b64 exec, exec, s[8:9]
	s_waitcnt lgkmcnt(0)
	s_barrier
	s_and_saveexec_b64 s[8:9], s[42:43]
	s_cbranch_execz .LBB94_432
; %bb.431:
	ds_read_b128 v[21:24], v20
	ds_read_b128 v[25:28], v19 offset:14784
	s_waitcnt lgkmcnt(0)
	v_mul_f64 v[29:30], v[23:24], v[27:28]
	v_mul_f64 v[27:28], v[21:22], v[27:28]
	v_fma_f64 v[21:22], v[21:22], v[25:26], -v[29:30]
	v_fma_f64 v[23:24], v[23:24], v[25:26], v[27:28]
	v_add_f64 v[11:12], v[11:12], v[21:22]
	v_add_f64 v[13:14], v[13:14], v[23:24]
.LBB94_432:
	s_or_b64 exec, exec, s[8:9]
	s_barrier
	s_and_saveexec_b64 s[8:9], s[44:45]
	s_cbranch_execz .LBB94_434
; %bb.433:
	v_mov_b32_e32 v21, 0
	ds_read_b128 v[21:24], v21 offset:15312
	s_waitcnt lgkmcnt(0)
	v_mul_f64 v[25:26], v[13:14], v[23:24]
	v_mul_f64 v[23:24], v[11:12], v[23:24]
	v_fma_f64 v[11:12], v[11:12], v[21:22], -v[25:26]
	v_fma_f64 v[13:14], v[13:14], v[21:22], v[23:24]
	ds_write_b128 v20, v[11:14]
.LBB94_434:
	s_or_b64 exec, exec, s[8:9]
	s_waitcnt lgkmcnt(0)
	s_barrier
	s_and_saveexec_b64 s[8:9], s[46:47]
	s_cbranch_execz .LBB94_436
; %bb.435:
	ds_read_b128 v[21:24], v20
	ds_read_b128 v[25:28], v19 offset:15296
	s_waitcnt lgkmcnt(0)
	v_mul_f64 v[29:30], v[23:24], v[27:28]
	v_mul_f64 v[27:28], v[21:22], v[27:28]
	v_fma_f64 v[21:22], v[21:22], v[25:26], -v[29:30]
	v_fma_f64 v[23:24], v[23:24], v[25:26], v[27:28]
	v_add_f64 v[11:12], v[11:12], v[21:22]
	v_add_f64 v[13:14], v[13:14], v[23:24]
.LBB94_436:
	s_or_b64 exec, exec, s[8:9]
	s_barrier
	s_and_saveexec_b64 s[8:9], s[48:49]
	s_cbranch_execz .LBB94_438
; %bb.437:
	v_mov_b32_e32 v19, 0
	ds_read_b128 v[21:24], v19 offset:15840
	s_waitcnt lgkmcnt(0)
	v_mul_f64 v[25:26], v[13:14], v[23:24]
	v_mul_f64 v[23:24], v[11:12], v[23:24]
	v_fma_f64 v[11:12], v[11:12], v[21:22], -v[25:26]
	v_fma_f64 v[13:14], v[13:14], v[21:22], v[23:24]
	ds_write_b128 v20, v[11:14]
.LBB94_438:
	s_or_b64 exec, exec, s[8:9]
	s_waitcnt lgkmcnt(0)
	s_barrier
	s_and_saveexec_b64 s[8:9], s[38:39]
	s_cbranch_execz .LBB94_440
; %bb.439:
	v_mov_b32_e32 v19, 0
	ds_read_b128 v[21:24], v20
	ds_read_b128 v[25:28], v19 offset:15856
	s_waitcnt lgkmcnt(0)
	v_mul_f64 v[29:30], v[23:24], v[27:28]
	v_mul_f64 v[27:28], v[21:22], v[27:28]
	v_fma_f64 v[21:22], v[21:22], v[25:26], -v[29:30]
	v_fma_f64 v[23:24], v[23:24], v[25:26], v[27:28]
	v_add_f64 v[11:12], v[11:12], v[21:22]
	v_add_f64 v[13:14], v[13:14], v[23:24]
.LBB94_440:
	s_or_b64 exec, exec, s[8:9]
	s_barrier
	s_and_saveexec_b64 s[8:9], s[38:39]
	s_cbranch_execz .LBB94_442
; %bb.441:
	v_mov_b32_e32 v19, 0
	ds_read_b128 v[21:24], v19 offset:16368
	s_waitcnt lgkmcnt(0)
	v_mul_f64 v[25:26], v[13:14], v[23:24]
	v_mul_f64 v[23:24], v[11:12], v[23:24]
	v_fma_f64 v[11:12], v[11:12], v[21:22], -v[25:26]
	v_fma_f64 v[13:14], v[13:14], v[21:22], v[23:24]
	ds_write_b128 v20, v[11:14]
.LBB94_442:
	s_or_b64 exec, exec, s[8:9]
	s_waitcnt lgkmcnt(0)
	s_barrier
	s_barrier
	s_and_saveexec_b64 s[8:9], s[2:3]
; %bb.443:
	v_xor_b32_e32 v14, 0x80000000, v14
	v_xor_b32_e32 v12, 0x80000000, v12
	ds_write_b128 v18, v[11:14] offset:12736
; %bb.444:
	s_or_b64 exec, exec, s[8:9]
	s_waitcnt lgkmcnt(0)
	s_barrier
	s_barrier
	s_and_saveexec_b64 s[2:3], vcc
	s_cbranch_execz .LBB94_446
; %bb.445:
	v_mov_b32_e32 v28, 0
	ds_read_b128 v[11:14], v28 offset:15312
	ds_read_b128 v[18:21], v28 offset:14784
	;; [unrolled: 1-line block ×3, first 2 shown]
	s_waitcnt lgkmcnt(1)
	v_mul_f64 v[26:27], v[11:12], v[20:21]
	v_mul_f64 v[20:21], v[13:14], v[20:21]
	v_fma_f64 v[13:14], v[13:14], v[18:19], v[26:27]
	v_fma_f64 v[11:12], v[11:12], v[18:19], -v[20:21]
	s_waitcnt lgkmcnt(0)
	v_mul_f64 v[18:19], v[13:14], v[24:25]
	v_mul_f64 v[20:21], v[11:12], v[24:25]
	v_fma_f64 v[11:12], v[22:23], v[11:12], -v[18:19]
	v_fma_f64 v[13:14], v[22:23], v[13:14], v[20:21]
	ds_write_b128 v28, v[11:14] offset:14800
.LBB94_446:
	s_or_b64 exec, exec, s[2:3]
	v_mov_b32_e32 v13, 0
	v_mov_b32_e32 v11, 0
	;; [unrolled: 1-line block ×4, first 2 shown]
	s_waitcnt lgkmcnt(0)
	s_barrier
	s_and_saveexec_b64 s[8:9], s[0:1]
	s_cbranch_execz .LBB94_450
; %bb.447:
	v_mul_u32_u24_e32 v11, 0x210, v17
	ds_read_b128 v[11:14], v11 offset:14784
	ds_read_b128 v[17:20], v15 offset:14816
	v_cmp_gt_u32_e64 s[2:3], 2, v1
	s_waitcnt lgkmcnt(0)
	v_mul_f64 v[21:22], v[13:14], v[19:20]
	v_mul_f64 v[19:20], v[11:12], v[19:20]
	v_fma_f64 v[11:12], v[11:12], v[17:18], -v[21:22]
	v_fma_f64 v[13:14], v[13:14], v[17:18], v[19:20]
	v_add_f64 v[11:12], v[11:12], 0
	v_add_f64 v[13:14], v[13:14], 0
	s_and_saveexec_b64 s[10:11], s[2:3]
	s_cbranch_execz .LBB94_449
; %bb.448:
	v_lshlrev_b32_e32 v21, 4, v0
	v_mov_b32_e32 v17, 0
	ds_read_b128 v[17:20], v17 offset:14800
	ds_read_b128 v[21:24], v21 offset:15328
	s_waitcnt lgkmcnt(0)
	v_mul_f64 v[25:26], v[19:20], v[23:24]
	v_mul_f64 v[23:24], v[17:18], v[23:24]
	v_fma_f64 v[17:18], v[17:18], v[21:22], -v[25:26]
	v_fma_f64 v[19:20], v[19:20], v[21:22], v[23:24]
	v_add_f64 v[11:12], v[11:12], v[17:18]
	v_add_f64 v[13:14], v[13:14], v[19:20]
.LBB94_449:
	s_or_b64 exec, exec, s[10:11]
	v_xor_b32_e32 v12, 0x80000000, v12
	v_xor_b32_e32 v14, 0x80000000, v14
.LBB94_450:
	s_or_b64 exec, exec, s[8:9]
	s_and_saveexec_b64 s[2:3], s[36:37]
	s_cbranch_execz .LBB94_452
; %bb.451:
	v_mov_b32_e32 v17, 0
	ds_read_b128 v[17:20], v17 offset:15840
	s_waitcnt lgkmcnt(0)
	v_mul_f64 v[21:22], v[13:14], v[19:20]
	v_mul_f64 v[19:20], v[11:12], v[19:20]
	v_fma_f64 v[11:12], v[11:12], v[17:18], -v[21:22]
	v_fma_f64 v[13:14], v[13:14], v[17:18], v[19:20]
	ds_write_b128 v16, v[11:14]
.LBB94_452:
	s_or_b64 exec, exec, s[2:3]
	s_waitcnt lgkmcnt(0)
	s_barrier
	s_and_saveexec_b64 s[2:3], s[34:35]
	s_cbranch_execz .LBB94_454
; %bb.453:
	v_mov_b32_e32 v21, 0
	ds_read_b128 v[17:20], v16
	ds_read_b128 v[21:24], v21 offset:15856
	s_waitcnt lgkmcnt(0)
	v_mul_f64 v[25:26], v[19:20], v[23:24]
	v_mul_f64 v[23:24], v[17:18], v[23:24]
	v_fma_f64 v[17:18], v[17:18], v[21:22], -v[25:26]
	v_fma_f64 v[19:20], v[19:20], v[21:22], v[23:24]
	v_add_f64 v[11:12], v[11:12], v[17:18]
	v_add_f64 v[13:14], v[13:14], v[19:20]
.LBB94_454:
	s_or_b64 exec, exec, s[2:3]
	s_barrier
	s_and_saveexec_b64 s[2:3], s[34:35]
	s_cbranch_execz .LBB94_456
; %bb.455:
	v_mov_b32_e32 v17, 0
	ds_read_b128 v[17:20], v17 offset:16368
	s_waitcnt lgkmcnt(0)
	v_mul_f64 v[21:22], v[13:14], v[19:20]
	v_mul_f64 v[19:20], v[11:12], v[19:20]
	v_fma_f64 v[11:12], v[11:12], v[17:18], -v[21:22]
	v_fma_f64 v[13:14], v[13:14], v[17:18], v[19:20]
	ds_write_b128 v16, v[11:14]
.LBB94_456:
	s_or_b64 exec, exec, s[2:3]
	s_waitcnt lgkmcnt(0)
	s_barrier
	s_barrier
	s_and_saveexec_b64 s[2:3], s[0:1]
; %bb.457:
	v_xor_b32_e32 v12, 0x80000000, v12
	v_xor_b32_e32 v14, 0x80000000, v14
	ds_write_b128 v15, v[11:14] offset:14816
; %bb.458:
	s_or_b64 exec, exec, s[2:3]
	s_waitcnt lgkmcnt(0)
	s_barrier
	s_barrier
	s_and_saveexec_b64 s[0:1], vcc
	s_cbranch_execz .LBB94_460
; %bb.459:
	v_mov_b32_e32 v25, 0
	ds_read_b128 v[11:14], v25 offset:16368
	ds_read_b128 v[15:18], v25 offset:15840
	;; [unrolled: 1-line block ×3, first 2 shown]
	s_waitcnt lgkmcnt(1)
	v_mul_f64 v[23:24], v[11:12], v[17:18]
	v_mul_f64 v[17:18], v[13:14], v[17:18]
	v_fma_f64 v[13:14], v[13:14], v[15:16], v[23:24]
	v_fma_f64 v[11:12], v[11:12], v[15:16], -v[17:18]
	s_waitcnt lgkmcnt(0)
	v_mul_f64 v[15:16], v[13:14], v[21:22]
	v_mul_f64 v[17:18], v[11:12], v[21:22]
	v_fma_f64 v[11:12], v[19:20], v[11:12], -v[15:16]
	v_fma_f64 v[13:14], v[19:20], v[13:14], v[17:18]
	ds_write_b128 v25, v[11:14] offset:15856
.LBB94_460:
	s_or_b64 exec, exec, s[0:1]
.LBB94_461:
	s_load_dwordx4 s[12:15], s[4:5], 0x48
	s_load_dwordx2 s[34:35], s[4:5], 0x58
	v_cmp_le_i32_e32 vcc, s83, v0
	v_mov_b32_e32 v13, 0
	v_mov_b32_e32 v11, 0
	s_waitcnt lgkmcnt(0)
	s_mul_i32 s1, s15, s28
	s_mul_hi_u32 s2, s14, s28
	s_mul_i32 s0, s14, s28
	s_add_i32 s1, s2, s1
	s_lshl_b64 s[0:1], s[0:1], 4
	s_add_u32 s2, s24, s0
	s_addc_u32 s3, s25, s1
	s_lshl_b64 s[0:1], s[26:27], 4
	s_add_u32 s26, s2, s0
	s_addc_u32 s27, s3, s1
	s_and_b64 s[14:15], vcc, s[18:19]
	v_cmp_eq_u32_e64 s[0:1], 0, v2
	s_xor_b64 s[2:3], s[14:15], -1
	s_and_b64 s[4:5], s[0:1], s[2:3]
	v_mov_b32_e32 v14, 0
	v_mov_b32_e32 v12, 0
	v_add_u32_e32 v16, s33, v0
	s_barrier
	s_and_saveexec_b64 s[2:3], s[4:5]
	s_cbranch_execz .LBB94_463
; %bb.462:
	v_ashrrev_i32_e32 v13, 31, v16
	v_mul_lo_u32 v14, s13, v16
	v_mad_u64_u32 v[11:12], s[4:5], s12, v16, 0
	v_mul_lo_u32 v13, s12, v13
	v_add3_u32 v12, v12, v13, v14
	v_lshlrev_b64 v[11:12], 4, v[11:12]
	v_mov_b32_e32 v13, s27
	v_add_co_u32_e32 v11, vcc, s26, v11
	v_addc_co_u32_e32 v12, vcc, v13, v12, vcc
	global_load_dwordx4 v[11:14], v[11:12], off
	s_waitcnt vmcnt(0)
	v_mul_f64 v[17:18], s[20:21], v[11:12]
	v_mul_f64 v[19:20], s[20:21], v[13:14]
	v_fma_f64 v[13:14], s[22:23], v[13:14], -v[17:18]
	v_fma_f64 v[11:12], v[11:12], -s[22:23], -v[19:20]
.LBB94_463:
	s_or_b64 exec, exec, s[2:3]
	s_and_b32 s2, 0xffff, s86
	v_mad_u32_u24 v22, v2, s2, v0
	v_mov_b32_e32 v15, 0
	s_cmp_lt_i32 s6, 1
	v_cmp_eq_u32_e64 s[2:3], 0, v22
	s_cbranch_scc1 .LBB94_486
; %bb.464:
	v_mov_b32_e32 v17, v15
	v_cmp_gt_i32_e64 s[10:11], s7, v16
	v_lshlrev_b64 v[16:17], 4, v[16:17]
	s_lshl_b64 s[4:5], s[28:29], 2
	v_mov_b32_e32 v18, 0x6000
	s_add_u32 s20, s34, s4
	v_lshl_add_u32 v23, v22, 4, v18
	v_lshl_or_b32 v24, v2, 4, v18
	v_mov_b32_e32 v18, s85
	v_add_co_u32_e32 v25, vcc, s84, v16
	s_mov_b32 s36, 0
	s_addc_u32 s21, s35, s5
	v_cmp_gt_u32_e64 s[4:5], 32, v22
	s_add_i32 s37, s6, -1
	v_addc_co_u32_e32 v26, vcc, v18, v17, vcc
	s_lshl_b64 s[22:23], s[16:17], 8
	v_mov_b32_e32 v27, -1
	s_branch .LBB94_467
.LBB94_465:                             ;   in Loop: Header=BB94_467 Depth=1
	ds_read_b128 v[28:31], v24 offset:256
	s_waitcnt vmcnt(0) lgkmcnt(0)
	v_mul_f64 v[18:19], v[20:21], v[30:31]
	v_mul_f64 v[30:31], v[16:17], v[30:31]
	v_fma_f64 v[16:17], v[16:17], v[28:29], -v[18:19]
	v_fma_f64 v[18:19], v[20:21], v[28:29], v[30:31]
	v_add_f64 v[13:14], v[13:14], v[16:17]
	v_add_f64 v[11:12], v[11:12], v[18:19]
.LBB94_466:                             ;   in Loop: Header=BB94_467 Depth=1
	s_or_b64 exec, exec, s[24:25]
	s_add_i32 s36, s36, 1
	s_cmp_eq_u32 s36, s6
	s_cbranch_scc1 .LBB94_486
.LBB94_467:                             ; =>This Loop Header: Depth=1
                                        ;     Child Loop BB94_469 Depth 2
	v_cmp_gt_i32_e32 vcc, s36, v27
	s_and_b64 s[24:25], s[2:3], vcc
	s_and_saveexec_b64 s[8:9], s[24:25]
	s_cbranch_execz .LBB94_470
; %bb.468:                              ;   in Loop: Header=BB94_467 Depth=1
	global_load_dword v27, v15, s[20:21]
	s_waitcnt vmcnt(0)
	v_cmp_le_i32_e32 vcc, s36, v27
	s_cbranch_vccnz .LBB94_470
.LBB94_469:                             ;   Parent Loop BB94_467 Depth=1
                                        ; =>  This Inner Loop Header: Depth=2
	buffer_wbinvl1_vol
	global_load_dword v27, v15, s[20:21]
	s_waitcnt vmcnt(0)
	v_cmp_gt_i32_e32 vcc, s36, v27
	s_cbranch_vccnz .LBB94_469
.LBB94_470:                             ;   in Loop: Header=BB94_467 Depth=1
	s_or_b64 exec, exec, s[8:9]
	s_lshl_b32 s38, s36, 5
	buffer_wbinvl1_vol
	s_barrier
	s_and_saveexec_b64 s[8:9], s[4:5]
	s_cbranch_execz .LBB94_475
; %bb.471:                              ;   in Loop: Header=BB94_467 Depth=1
	v_or_b32_e32 v16, s38, v22
	v_cmp_le_i32_e32 vcc, s7, v16
	s_and_saveexec_b64 s[24:25], vcc
	s_xor_b64 s[24:25], exec, s[24:25]
; %bb.472:                              ;   in Loop: Header=BB94_467 Depth=1
	v_mov_b32_e32 v16, v15
	v_mov_b32_e32 v17, v15
	;; [unrolled: 1-line block ×3, first 2 shown]
	ds_write_b128 v23, v[15:18]
                                        ; implicit-def: $vgpr16
; %bb.473:                              ;   in Loop: Header=BB94_467 Depth=1
	s_andn2_saveexec_b64 s[24:25], s[24:25]
	s_cbranch_execz .LBB94_475
; %bb.474:                              ;   in Loop: Header=BB94_467 Depth=1
	v_mad_u64_u32 v[17:18], s[24:25], s12, v16, 0
	v_mad_u64_u32 v[18:19], s[24:25], s13, v16, v[18:19]
	v_mov_b32_e32 v19, s27
	v_lshlrev_b64 v[16:17], 4, v[17:18]
	v_add_co_u32_e32 v16, vcc, s26, v16
	v_addc_co_u32_e32 v17, vcc, v19, v17, vcc
	global_load_dwordx4 v[16:19], v[16:17], off
	s_waitcnt vmcnt(0)
	ds_write2_b64 v23, v[16:17], v[18:19] offset1:1
.LBB94_475:                             ;   in Loop: Header=BB94_467 Depth=1
	s_or_b64 exec, exec, s[8:9]
	v_add_u32_e32 v28, s38, v2
	v_mad_u64_u32 v[16:17], s[8:9], s16, v28, 0
	s_cmp_lg_u32 s36, s37
	s_waitcnt lgkmcnt(0)
	v_mad_u64_u32 v[17:18], s[8:9], s17, v28, v[17:18]
	s_cselect_b64 s[8:9], -1, 0
	v_cndmask_b32_e64 v18, 0, 1, s[8:9]
	v_lshlrev_b64 v[16:17], 4, v[16:17]
	v_cmp_ne_u32_e64 s[8:9], 1, v18
	v_add_co_u32_e32 v16, vcc, v25, v16
	v_addc_co_u32_e32 v17, vcc, v26, v17, vcc
	v_cmp_gt_i32_e32 vcc, s7, v28
	s_and_b64 s[38:39], s[10:11], vcc
	s_barrier
	s_and_saveexec_b64 s[24:25], s[38:39]
	s_cbranch_execz .LBB94_481
; %bb.476:                              ;   in Loop: Header=BB94_467 Depth=1
	v_mov_b32_e32 v19, v4
	s_and_b64 vcc, exec, s[8:9]
	v_mov_b32_e32 v18, v3
	s_cbranch_vccnz .LBB94_478
; %bb.477:                              ;   in Loop: Header=BB94_467 Depth=1
	global_load_dwordx2 v[18:19], v[16:17], off
.LBB94_478:                             ;   in Loop: Header=BB94_467 Depth=1
	v_mov_b32_e32 v21, v6
	s_and_b64 vcc, exec, s[8:9]
	v_mov_b32_e32 v20, v5
	s_cbranch_vccnz .LBB94_480
; %bb.479:                              ;   in Loop: Header=BB94_467 Depth=1
	global_load_dwordx2 v[20:21], v[16:17], off offset:8
.LBB94_480:                             ;   in Loop: Header=BB94_467 Depth=1
	ds_read_b128 v[29:32], v24
	s_waitcnt vmcnt(0) lgkmcnt(0)
	v_mul_f64 v[33:34], v[20:21], v[31:32]
	v_mul_f64 v[31:32], v[18:19], v[31:32]
	v_fma_f64 v[18:19], v[18:19], v[29:30], -v[33:34]
	v_fma_f64 v[20:21], v[20:21], v[29:30], v[31:32]
	v_add_f64 v[13:14], v[13:14], v[18:19]
	v_add_f64 v[11:12], v[11:12], v[20:21]
.LBB94_481:                             ;   in Loop: Header=BB94_467 Depth=1
	s_or_b64 exec, exec, s[24:25]
	v_add_u32_e32 v18, 16, v28
	v_cmp_gt_i32_e32 vcc, s7, v18
	s_and_b64 s[38:39], s[10:11], vcc
	s_and_saveexec_b64 s[24:25], s[38:39]
	s_cbranch_execz .LBB94_466
; %bb.482:                              ;   in Loop: Header=BB94_467 Depth=1
	v_mov_b32_e32 v19, s23
	v_add_co_u32_e32 v18, vcc, s22, v16
	v_addc_co_u32_e32 v19, vcc, v17, v19, vcc
	v_mov_b32_e32 v17, v8
	s_and_b64 vcc, exec, s[8:9]
	v_mov_b32_e32 v16, v7
	s_cbranch_vccnz .LBB94_484
; %bb.483:                              ;   in Loop: Header=BB94_467 Depth=1
	global_load_dwordx2 v[16:17], v[18:19], off
.LBB94_484:                             ;   in Loop: Header=BB94_467 Depth=1
	v_mov_b32_e32 v21, v10
	s_and_b64 vcc, exec, s[8:9]
	v_mov_b32_e32 v20, v9
	s_cbranch_vccnz .LBB94_465
; %bb.485:                              ;   in Loop: Header=BB94_467 Depth=1
	global_load_dwordx2 v[20:21], v[18:19], off offset:8
	s_branch .LBB94_465
.LBB94_486:
	s_xor_b64 s[2:3], s[18:19], -1
	s_xor_b64 s[4:5], s[30:31], -1
	v_lshlrev_b32_e32 v1, 4, v1
	v_mov_b32_e32 v15, v11
	v_mov_b32_e32 v16, v12
	ds_write_b128 v1, v[13:16] offset:16384
	s_waitcnt lgkmcnt(0)
	s_barrier
	s_and_saveexec_b64 s[6:7], s[0:1]
	s_cbranch_execz .LBB94_488
; %bb.487:
	v_lshlrev_b32_e32 v15, 4, v0
	ds_read_b128 v[3:6], v15 offset:16896
	ds_read_b128 v[7:10], v15 offset:17408
	s_waitcnt lgkmcnt(1)
	v_add_f64 v[3:4], v[13:14], v[3:4]
	v_add_f64 v[5:6], v[11:12], v[5:6]
	s_waitcnt lgkmcnt(0)
	v_add_f64 v[11:12], v[3:4], v[7:8]
	v_add_f64 v[13:14], v[5:6], v[9:10]
	ds_read_b128 v[3:6], v15 offset:17920
	ds_read_b128 v[7:10], v15 offset:18432
	s_waitcnt lgkmcnt(1)
	v_add_f64 v[3:4], v[11:12], v[3:4]
	v_add_f64 v[5:6], v[13:14], v[5:6]
	s_waitcnt lgkmcnt(0)
	v_add_f64 v[11:12], v[3:4], v[7:8]
	v_add_f64 v[13:14], v[5:6], v[9:10]
	;; [unrolled: 8-line block ×7, first 2 shown]
	ds_read_b128 v[3:6], v15 offset:24064
	s_waitcnt lgkmcnt(0)
	v_add_f64 v[3:4], v[7:8], v[3:4]
	v_add_f64 v[5:6], v[9:10], v[5:6]
	v_xor_b32_e32 v4, 0x80000000, v4
	v_xor_b32_e32 v6, 0x80000000, v6
	v_cndmask_b32_e64 v13, v3, 0, s[14:15]
	v_cndmask_b32_e64 v14, v4, 0, s[14:15]
	;; [unrolled: 1-line block ×4, first 2 shown]
.LBB94_488:
	s_or_b64 exec, exec, s[6:7]
	s_andn2_b64 vcc, exec, s[4:5]
	s_cbranch_vccnz .LBB94_497
; %bb.489:
	v_mov_b32_e32 v3, 0x6000
	v_lshl_or_b32 v7, v2, 4, v3
	s_and_saveexec_b64 s[4:5], s[0:1]
; %bb.490:
	v_lshl_add_u32 v3, v0, 4, v7
	v_mov_b32_e32 v15, v11
	v_mov_b32_e32 v16, v12
	ds_write_b128 v3, v[13:16]
; %bb.491:
	s_or_b64 exec, exec, s[4:5]
	v_mov_b32_e32 v3, 0
	v_mov_b32_e32 v5, 0
	;; [unrolled: 1-line block ×4, first 2 shown]
	v_cmp_ge_u32_e32 vcc, v0, v2
	s_waitcnt lgkmcnt(0)
	s_barrier
	s_and_saveexec_b64 s[4:5], vcc
	s_cbranch_execz .LBB94_493
; %bb.492:
	ds_read_b128 v[3:6], v7
	ds_read_b128 v[15:18], v1
	s_waitcnt lgkmcnt(0)
	v_mul_f64 v[8:9], v[5:6], v[17:18]
	v_mul_f64 v[17:18], v[3:4], v[17:18]
	v_fma_f64 v[3:4], v[3:4], v[15:16], -v[8:9]
	v_fma_f64 v[5:6], v[5:6], v[15:16], v[17:18]
	v_add_f64 v[3:4], v[3:4], 0
	v_add_f64 v[5:6], v[5:6], 0
.LBB94_493:
	s_or_b64 exec, exec, s[4:5]
	v_add_u32_e32 v2, 16, v2
	v_add_u32_e32 v8, 0x4000, v1
	v_cmp_ge_u32_e32 vcc, v0, v2
	s_and_saveexec_b64 s[4:5], vcc
	s_cbranch_execz .LBB94_495
; %bb.494:
	ds_read_b128 v[15:18], v7 offset:256
	ds_read_b128 v[23:26], v1 offset:8192
	s_waitcnt lgkmcnt(0)
	v_mul_f64 v[1:2], v[17:18], v[25:26]
	v_mul_f64 v[9:10], v[15:16], v[25:26]
	v_fma_f64 v[1:2], v[15:16], v[23:24], -v[1:2]
	v_fma_f64 v[9:10], v[17:18], v[23:24], v[9:10]
	v_add_f64 v[3:4], v[3:4], v[1:2]
	v_add_f64 v[5:6], v[5:6], v[9:10]
.LBB94_495:
	s_or_b64 exec, exec, s[4:5]
	s_mov_b64 s[6:7], 0
	s_mov_b64 s[4:5], 0
	ds_write_b128 v8, v[3:6]
	s_waitcnt lgkmcnt(0)
	s_barrier
                                        ; implicit-def: $vgpr7_vgpr8
                                        ; implicit-def: $vgpr9_vgpr10
                                        ; implicit-def: $vgpr1_vgpr2
	s_and_saveexec_b64 s[8:9], s[0:1]
	s_cbranch_execz .LBB94_510
; %bb.496:
	v_lshlrev_b32_e32 v19, 4, v0
	ds_read_b128 v[7:10], v19 offset:16896
	ds_read_b128 v[15:18], v19 offset:17408
	s_mov_b64 s[4:5], exec
	s_waitcnt lgkmcnt(1)
	v_add_f64 v[1:2], v[3:4], v[7:8]
	v_add_f64 v[3:4], v[5:6], v[9:10]
	s_waitcnt lgkmcnt(0)
	v_add_f64 v[9:10], v[1:2], v[15:16]
	v_add_f64 v[15:16], v[3:4], v[17:18]
	ds_read_b128 v[1:4], v19 offset:17920
	ds_read_b128 v[5:8], v19 offset:18432
	s_waitcnt lgkmcnt(1)
	v_add_f64 v[1:2], v[9:10], v[1:2]
	v_add_f64 v[3:4], v[15:16], v[3:4]
	s_waitcnt lgkmcnt(0)
	v_add_f64 v[9:10], v[1:2], v[5:6]
	v_add_f64 v[15:16], v[3:4], v[7:8]
	ds_read_b128 v[1:4], v19 offset:18944
	ds_read_b128 v[5:8], v19 offset:19456
	;; [unrolled: 8-line block ×6, first 2 shown]
	s_waitcnt lgkmcnt(1)
	v_add_f64 v[1:2], v[9:10], v[1:2]
	v_add_f64 v[3:4], v[15:16], v[3:4]
	v_add_u32_e32 v15, s33, v22
	s_waitcnt lgkmcnt(0)
	v_add_f64 v[9:10], v[1:2], v[5:6]
	v_add_f64 v[7:8], v[3:4], v[7:8]
	ds_read_b128 v[3:6], v19 offset:24064
	v_mad_u64_u32 v[1:2], s[10:11], s12, v15, 0
	s_waitcnt lgkmcnt(0)
	v_add_f64 v[9:10], v[9:10], v[3:4]
	v_add_f64 v[7:8], v[7:8], v[5:6]
	v_mad_u64_u32 v[2:3], s[10:11], s13, v15, v[2:3]
	s_or_b64 exec, exec, s[8:9]
	s_and_b64 vcc, exec, s[6:7]
	s_cbranch_vccnz .LBB94_498
	s_branch .LBB94_511
.LBB94_497:
	s_mov_b64 s[4:5], 0
                                        ; implicit-def: $vgpr7_vgpr8
                                        ; implicit-def: $vgpr9_vgpr10
                                        ; implicit-def: $vgpr1_vgpr2
	s_cbranch_execz .LBB94_511
.LBB94_498:
	v_mul_u32_u24_e32 v1, 0x210, v0
	v_lshlrev_b32_e32 v2, 9, v0
	v_sub_u32_e32 v2, v1, v2
	s_mov_b32 s8, 0
	v_mov_b32_e32 v3, 0
	v_mov_b32_e32 v4, v0
	s_branch .LBB94_500
.LBB94_499:                             ;   in Loop: Header=BB94_500 Depth=1
	s_or_b64 exec, exec, s[6:7]
	s_add_i32 s8, s8, 2
	v_add_u32_e32 v2, 0x400, v2
	s_cmp_lg_u32 s8, 32
	v_add_u32_e32 v4, -2, v4
	s_barrier
	s_cbranch_scc0 .LBB94_508
.LBB94_500:                             ; =>This Inner Loop Header: Depth=1
	v_cmp_eq_u32_e32 vcc, 0, v4
	s_and_b64 s[10:11], s[0:1], vcc
	s_and_saveexec_b64 s[6:7], s[10:11]
	s_cbranch_execz .LBB94_502
; %bb.501:                              ;   in Loop: Header=BB94_500 Depth=1
	ds_read_b128 v[5:8], v1
	s_waitcnt lgkmcnt(0)
	v_mul_f64 v[9:10], v[11:12], v[7:8]
	v_mul_f64 v[7:8], v[13:14], v[7:8]
	v_fma_f64 v[9:10], v[13:14], v[5:6], -v[9:10]
	v_fma_f64 v[11:12], v[11:12], v[5:6], v[7:8]
	v_mov_b32_e32 v14, v10
	v_mov_b32_e32 v13, v9
	ds_write_b128 v3, v[9:12] offset:25088
.LBB94_502:                             ;   in Loop: Header=BB94_500 Depth=1
	s_or_b64 exec, exec, s[6:7]
	v_cmp_lt_u32_e32 vcc, s8, v0
	s_and_b64 s[10:11], s[0:1], vcc
	s_waitcnt lgkmcnt(0)
	s_barrier
	s_and_saveexec_b64 s[6:7], s[10:11]
	s_cbranch_execz .LBB94_504
; %bb.503:                              ;   in Loop: Header=BB94_500 Depth=1
	ds_read_b128 v[5:8], v3 offset:25088
	ds_read_b128 v[15:18], v2
	s_waitcnt lgkmcnt(0)
	v_mul_f64 v[9:10], v[7:8], v[17:18]
	v_mul_f64 v[17:18], v[5:6], v[17:18]
	v_fma_f64 v[5:6], v[5:6], v[15:16], -v[9:10]
	v_fma_f64 v[7:8], v[7:8], v[15:16], v[17:18]
	v_add_f64 v[13:14], v[13:14], v[5:6]
	v_add_f64 v[11:12], v[11:12], v[7:8]
.LBB94_504:                             ;   in Loop: Header=BB94_500 Depth=1
	s_or_b64 exec, exec, s[6:7]
	s_or_b32 s9, s8, 1
	v_cmp_eq_u32_e32 vcc, s9, v0
	s_and_b64 s[10:11], s[0:1], vcc
	s_barrier
	s_and_saveexec_b64 s[6:7], s[10:11]
	s_cbranch_execz .LBB94_506
; %bb.505:                              ;   in Loop: Header=BB94_500 Depth=1
	ds_read_b128 v[5:8], v1
	s_waitcnt lgkmcnt(0)
	v_mul_f64 v[9:10], v[11:12], v[7:8]
	v_mul_f64 v[7:8], v[13:14], v[7:8]
	v_fma_f64 v[9:10], v[13:14], v[5:6], -v[9:10]
	v_fma_f64 v[11:12], v[11:12], v[5:6], v[7:8]
	v_mov_b32_e32 v14, v10
	v_mov_b32_e32 v13, v9
	ds_write_b128 v3, v[9:12] offset:25088
.LBB94_506:                             ;   in Loop: Header=BB94_500 Depth=1
	s_or_b64 exec, exec, s[6:7]
	v_cmp_lt_u32_e32 vcc, s9, v0
	s_and_b64 s[10:11], s[0:1], vcc
	s_waitcnt lgkmcnt(0)
	s_barrier
	s_and_saveexec_b64 s[6:7], s[10:11]
	s_cbranch_execz .LBB94_499
; %bb.507:                              ;   in Loop: Header=BB94_500 Depth=1
	ds_read_b128 v[5:8], v3 offset:25088
	ds_read_b128 v[15:18], v2 offset:512
	s_waitcnt lgkmcnt(0)
	v_mul_f64 v[9:10], v[7:8], v[17:18]
	v_mul_f64 v[17:18], v[5:6], v[17:18]
	v_fma_f64 v[5:6], v[5:6], v[15:16], -v[9:10]
	v_fma_f64 v[7:8], v[7:8], v[15:16], v[17:18]
	v_add_f64 v[13:14], v[13:14], v[5:6]
	v_add_f64 v[11:12], v[11:12], v[7:8]
	s_branch .LBB94_499
.LBB94_508:
	s_and_b64 vcc, exec, s[2:3]
	s_cbranch_vccz .LBB94_512
; %bb.509:
	s_and_b64 s[2:3], s[0:1], exec
	s_cbranch_execz .LBB94_513
	s_branch .LBB94_514
.LBB94_510:
	s_or_b64 exec, exec, s[8:9]
	s_and_b64 vcc, exec, s[6:7]
	s_cbranch_vccnz .LBB94_498
.LBB94_511:
	v_mov_b32_e32 v12, v8
	v_mov_b32_e32 v14, v10
	;; [unrolled: 1-line block ×4, first 2 shown]
	s_and_saveexec_b64 s[0:1], s[4:5]
	s_cbranch_execnz .LBB94_517
	s_branch .LBB94_518
.LBB94_512:
	s_mov_b64 s[2:3], 0
.LBB94_513:
	v_cmp_gt_i32_e32 vcc, s83, v0
	s_and_b64 s[0:1], s[0:1], vcc
	s_andn2_b64 s[2:3], s[2:3], exec
	s_and_b64 s[0:1], s[0:1], exec
	s_or_b64 s[2:3], s[2:3], s[0:1]
.LBB94_514:
                                        ; implicit-def: $vgpr1_vgpr2
	s_and_saveexec_b64 s[0:1], s[2:3]
	s_cbranch_execz .LBB94_516
; %bb.515:
	v_mov_b32_e32 v0, s82
	v_add_co_u32_e32 v1, vcc, s33, v22
	v_addc_co_u32_e32 v0, vcc, 0, v0, vcc
	v_mul_lo_u32 v0, v0, s12
	v_mul_lo_u32 v3, v1, s13
	v_mad_u64_u32 v[1:2], s[2:3], v1, s12, 0
	s_or_b64 s[4:5], s[4:5], exec
	v_add3_u32 v2, v2, v3, v0
.LBB94_516:
	s_or_b64 exec, exec, s[0:1]
	s_and_saveexec_b64 s[0:1], s[4:5]
	s_cbranch_execz .LBB94_518
.LBB94_517:
	v_lshlrev_b64 v[0:1], 4, v[1:2]
	v_mov_b32_e32 v2, s27
	v_add_co_u32_e32 v0, vcc, s26, v0
	v_addc_co_u32_e32 v1, vcc, v2, v1, vcc
	v_mov_b32_e32 v15, v11
	v_mov_b32_e32 v16, v12
	global_store_dwordx4 v[0:1], v[13:16], off
.LBB94_518:
	s_or_b64 exec, exec, s[0:1]
	v_cmp_eq_u32_e32 vcc, 0, v22
	s_waitcnt vmcnt(0)
	buffer_wbinvl1_vol
	s_barrier
	s_and_saveexec_b64 s[0:1], vcc
	s_cbranch_execz .LBB94_520
; %bb.519:
	s_lshl_b64 s[2:3], s[28:29], 2
	s_add_u32 s2, s34, s2
	s_addc_u32 s3, s35, s3
	v_mov_b32_e32 v0, 0
	global_load_dword v1, v0, s[2:3]
	s_waitcnt vmcnt(0)
	v_add_u32_e32 v1, 1, v1
	global_store_dword v0, v1, s[2:3]
.LBB94_520:
	s_or_b64 exec, exec, s[0:1]
	s_waitcnt vmcnt(0)
	buffer_wbinvl1_vol
	s_endpgm
.LBB94_521:
	v_lshlrev_b32_e32 v23, 4, v22
	v_sub_u32_e32 v23, v20, v23
	v_lshl_add_u32 v27, v21, 4, v23
	ds_read_b128 v[23:26], v20 offset:16
	ds_read_b128 v[27:30], v27 offset:576
	s_waitcnt lgkmcnt(0)
	v_mul_f64 v[31:32], v[25:26], v[29:30]
	v_mul_f64 v[29:30], v[23:24], v[29:30]
	v_fma_f64 v[23:24], v[23:24], v[27:28], -v[31:32]
	v_fma_f64 v[25:26], v[25:26], v[27:28], v[29:30]
	v_add_f64 v[11:12], v[11:12], v[23:24]
	v_add_f64 v[13:14], v[13:14], v[25:26]
	s_or_b64 exec, exec, s[14:15]
	v_cmp_gt_u32_e64 s[10:11], 8, v1
	s_and_saveexec_b64 s[14:15], s[10:11]
	s_cbranch_execz .LBB94_87
.LBB94_522:
	ds_read_b128 v[23:26], v20 offset:32
	ds_read_b128 v[27:30], v18 offset:1088
	s_waitcnt lgkmcnt(0)
	v_mul_f64 v[31:32], v[25:26], v[29:30]
	v_mul_f64 v[29:30], v[23:24], v[29:30]
	v_fma_f64 v[23:24], v[23:24], v[27:28], -v[31:32]
	v_fma_f64 v[25:26], v[25:26], v[27:28], v[29:30]
	v_add_f64 v[11:12], v[11:12], v[23:24]
	v_add_f64 v[13:14], v[13:14], v[25:26]
	s_or_b64 exec, exec, s[14:15]
	v_cmp_gt_u32_e64 s[10:11], 4, v1
	s_and_saveexec_b64 s[14:15], s[10:11]
	s_cbranch_execnz .LBB94_88
	s_branch .LBB94_89
.LBB94_523:
	v_lshlrev_b32_e32 v28, 4, v27
	v_sub_u32_e32 v28, v25, v28
	v_lshl_add_u32 v32, v26, 4, v28
	ds_read_b128 v[28:31], v25 offset:16
	ds_read_b128 v[32:35], v32 offset:640
	s_waitcnt lgkmcnt(0)
	v_mul_f64 v[36:37], v[30:31], v[34:35]
	v_mul_f64 v[34:35], v[28:29], v[34:35]
	v_fma_f64 v[28:29], v[28:29], v[32:33], -v[36:37]
	v_fma_f64 v[30:31], v[30:31], v[32:33], v[34:35]
	v_add_f64 v[11:12], v[11:12], v[28:29]
	v_add_f64 v[13:14], v[13:14], v[30:31]
	s_or_b64 exec, exec, s[50:51]
	v_cmp_gt_u32_e64 s[10:11], 48, v1
	s_and_saveexec_b64 s[50:51], s[10:11]
	s_cbranch_execz .LBB94_125
.LBB94_524:
	v_lshlrev_b32_e32 v28, 4, v27
	v_sub_u32_e32 v28, v25, v28
	v_lshl_add_u32 v32, v26, 4, v28
	ds_read_b128 v[28:31], v25 offset:32
	ds_read_b128 v[32:35], v32 offset:1152
	s_waitcnt lgkmcnt(0)
	v_mul_f64 v[36:37], v[30:31], v[34:35]
	v_mul_f64 v[34:35], v[28:29], v[34:35]
	v_fma_f64 v[28:29], v[28:29], v[32:33], -v[36:37]
	v_fma_f64 v[30:31], v[30:31], v[32:33], v[34:35]
	v_add_f64 v[11:12], v[11:12], v[28:29]
	v_add_f64 v[13:14], v[13:14], v[30:31]
	s_or_b64 exec, exec, s[50:51]
	v_cmp_gt_u32_e64 s[10:11], 40, v1
	s_and_saveexec_b64 s[50:51], s[10:11]
	s_cbranch_execz .LBB94_126
.LBB94_525:
	v_lshlrev_b32_e32 v28, 4, v27
	v_sub_u32_e32 v28, v25, v28
	v_lshl_add_u32 v32, v26, 4, v28
	ds_read_b128 v[28:31], v25 offset:48
	ds_read_b128 v[32:35], v32 offset:1664
	s_waitcnt lgkmcnt(0)
	v_mul_f64 v[36:37], v[30:31], v[34:35]
	v_mul_f64 v[34:35], v[28:29], v[34:35]
	v_fma_f64 v[28:29], v[28:29], v[32:33], -v[36:37]
	v_fma_f64 v[30:31], v[30:31], v[32:33], v[34:35]
	v_add_f64 v[11:12], v[11:12], v[28:29]
	v_add_f64 v[13:14], v[13:14], v[30:31]
	s_or_b64 exec, exec, s[50:51]
	v_cmp_gt_u32_e64 s[10:11], 32, v1
	s_and_saveexec_b64 s[50:51], s[10:11]
	s_cbranch_execz .LBB94_127
.LBB94_526:
	ds_read_b128 v[28:31], v25 offset:64
	ds_read_b128 v[32:35], v23 offset:2176
	s_waitcnt lgkmcnt(0)
	v_mul_f64 v[36:37], v[30:31], v[34:35]
	v_mul_f64 v[34:35], v[28:29], v[34:35]
	v_fma_f64 v[28:29], v[28:29], v[32:33], -v[36:37]
	v_fma_f64 v[30:31], v[30:31], v[32:33], v[34:35]
	v_add_f64 v[11:12], v[11:12], v[28:29]
	v_add_f64 v[13:14], v[13:14], v[30:31]
	s_or_b64 exec, exec, s[50:51]
	v_cmp_gt_u32_e64 s[10:11], 24, v1
	s_and_saveexec_b64 s[50:51], s[10:11]
	s_cbranch_execz .LBB94_128
.LBB94_527:
	v_lshlrev_b32_e32 v28, 4, v27
	v_sub_u32_e32 v28, v25, v28
	v_lshl_add_u32 v32, v26, 4, v28
	ds_read_b128 v[28:31], v25 offset:80
	ds_read_b128 v[32:35], v32 offset:2688
	s_waitcnt lgkmcnt(0)
	v_mul_f64 v[36:37], v[30:31], v[34:35]
	v_mul_f64 v[34:35], v[28:29], v[34:35]
	v_fma_f64 v[28:29], v[28:29], v[32:33], -v[36:37]
	v_fma_f64 v[30:31], v[30:31], v[32:33], v[34:35]
	v_add_f64 v[11:12], v[11:12], v[28:29]
	v_add_f64 v[13:14], v[13:14], v[30:31]
	s_or_b64 exec, exec, s[50:51]
	v_cmp_gt_u32_e64 s[10:11], 16, v1
	s_and_saveexec_b64 s[50:51], s[10:11]
	s_cbranch_execz .LBB94_129
.LBB94_528:
	ds_read_b128 v[28:31], v25 offset:96
	ds_read_b128 v[32:35], v23 offset:3200
	s_waitcnt lgkmcnt(0)
	v_mul_f64 v[36:37], v[30:31], v[34:35]
	v_mul_f64 v[34:35], v[28:29], v[34:35]
	v_fma_f64 v[28:29], v[28:29], v[32:33], -v[36:37]
	v_fma_f64 v[30:31], v[30:31], v[32:33], v[34:35]
	v_add_f64 v[11:12], v[11:12], v[28:29]
	v_add_f64 v[13:14], v[13:14], v[30:31]
	s_or_b64 exec, exec, s[50:51]
	v_cmp_gt_u32_e64 s[10:11], 8, v1
	s_and_saveexec_b64 s[50:51], s[10:11]
	s_cbranch_execnz .LBB94_130
	s_branch .LBB94_131
.LBB94_529:
	v_lshlrev_b32_e32 v29, 4, v22
	v_sub_u32_e32 v29, v28, v29
	v_lshl_add_u32 v33, v21, 4, v29
	ds_read_b128 v[29:32], v28 offset:4240
	ds_read_b128 v[33:36], v33 offset:4800
	s_waitcnt lgkmcnt(0)
	v_mul_f64 v[37:38], v[31:32], v[35:36]
	v_mul_f64 v[35:36], v[29:30], v[35:36]
	v_fma_f64 v[29:30], v[29:30], v[33:34], -v[37:38]
	v_fma_f64 v[31:32], v[31:32], v[33:34], v[35:36]
	v_add_f64 v[11:12], v[11:12], v[29:30]
	v_add_f64 v[13:14], v[13:14], v[31:32]
	s_or_b64 exec, exec, s[14:15]
	v_cmp_gt_u32_e64 s[8:9], 8, v1
	s_and_saveexec_b64 s[14:15], s[8:9]
	s_cbranch_execz .LBB94_183
.LBB94_530:
	ds_read_b128 v[28:31], v28 offset:4256
	ds_read_b128 v[32:35], v18 offset:5312
	s_waitcnt lgkmcnt(0)
	v_mul_f64 v[36:37], v[30:31], v[34:35]
	v_mul_f64 v[34:35], v[28:29], v[34:35]
	v_fma_f64 v[28:29], v[28:29], v[32:33], -v[36:37]
	v_fma_f64 v[30:31], v[30:31], v[32:33], v[34:35]
	v_add_f64 v[11:12], v[11:12], v[28:29]
	v_add_f64 v[13:14], v[13:14], v[30:31]
	s_or_b64 exec, exec, s[14:15]
	v_cmp_gt_u32_e64 s[8:9], 4, v1
	s_and_saveexec_b64 s[14:15], s[8:9]
	s_cbranch_execnz .LBB94_184
	s_branch .LBB94_185
.LBB94_531:
	ds_read_b128 v[33:36], v32 offset:176
	ds_read_b128 v[37:40], v28 offset:5888
	s_waitcnt lgkmcnt(0)
	v_mul_f64 v[41:42], v[35:36], v[39:40]
	v_mul_f64 v[39:40], v[33:34], v[39:40]
	v_fma_f64 v[33:34], v[33:34], v[37:38], -v[41:42]
	v_fma_f64 v[35:36], v[35:36], v[37:38], v[39:40]
	v_add_f64 v[11:12], v[11:12], v[33:34]
	v_add_f64 v[13:14], v[13:14], v[35:36]
	s_or_b64 exec, exec, s[80:81]
	v_cmp_gt_u32_e64 s[14:15], 64, v1
	s_and_saveexec_b64 s[80:81], s[14:15]
	s_cbranch_execz .LBB94_241
.LBB94_532:
	ds_read_b128 v[33:36], v32 offset:192
	ds_read_b128 v[37:40], v28 offset:6400
	s_waitcnt lgkmcnt(0)
	v_mul_f64 v[41:42], v[35:36], v[39:40]
	v_mul_f64 v[39:40], v[33:34], v[39:40]
	v_fma_f64 v[33:34], v[33:34], v[37:38], -v[41:42]
	v_fma_f64 v[35:36], v[35:36], v[37:38], v[39:40]
	v_add_f64 v[11:12], v[11:12], v[33:34]
	v_add_f64 v[13:14], v[13:14], v[35:36]
	s_or_b64 exec, exec, s[80:81]
	v_cmp_gt_u32_e64 s[14:15], 48, v1
	s_and_saveexec_b64 s[80:81], s[14:15]
	s_cbranch_execz .LBB94_242
.LBB94_533:
	ds_read_b128 v[33:36], v32 offset:208
	ds_read_b128 v[37:40], v28 offset:6912
	s_waitcnt lgkmcnt(0)
	v_mul_f64 v[41:42], v[35:36], v[39:40]
	v_mul_f64 v[39:40], v[33:34], v[39:40]
	v_fma_f64 v[33:34], v[33:34], v[37:38], -v[41:42]
	v_fma_f64 v[35:36], v[35:36], v[37:38], v[39:40]
	v_add_f64 v[11:12], v[11:12], v[33:34]
	v_add_f64 v[13:14], v[13:14], v[35:36]
	s_or_b64 exec, exec, s[80:81]
	v_cmp_gt_u32_e64 s[14:15], 32, v1
	s_and_saveexec_b64 s[80:81], s[14:15]
	s_cbranch_execz .LBB94_243
.LBB94_534:
	ds_read_b128 v[32:35], v32 offset:224
	ds_read_b128 v[36:39], v28 offset:7424
	s_waitcnt lgkmcnt(0)
	v_mul_f64 v[40:41], v[34:35], v[38:39]
	v_mul_f64 v[38:39], v[32:33], v[38:39]
	v_fma_f64 v[32:33], v[32:33], v[36:37], -v[40:41]
	v_fma_f64 v[34:35], v[34:35], v[36:37], v[38:39]
	v_add_f64 v[11:12], v[11:12], v[32:33]
	v_add_f64 v[13:14], v[13:14], v[34:35]
	s_or_b64 exec, exec, s[80:81]
	v_cmp_gt_u32_e64 s[14:15], 16, v1
	s_and_saveexec_b64 s[80:81], s[14:15]
	s_cbranch_execnz .LBB94_244
	s_branch .LBB94_245
.LBB94_535:
	v_lshlrev_b32_e32 v29, 4, v22
	v_sub_u32_e32 v29, v28, v29
	v_lshl_add_u32 v33, v21, 4, v29
	ds_read_b128 v[29:32], v28 offset:8464
	ds_read_b128 v[33:36], v33 offset:9024
	s_waitcnt lgkmcnt(0)
	v_mul_f64 v[37:38], v[31:32], v[35:36]
	v_mul_f64 v[35:36], v[29:30], v[35:36]
	v_fma_f64 v[29:30], v[29:30], v[33:34], -v[37:38]
	v_fma_f64 v[31:32], v[31:32], v[33:34], v[35:36]
	v_add_f64 v[11:12], v[11:12], v[29:30]
	v_add_f64 v[13:14], v[13:14], v[31:32]
	s_or_b64 exec, exec, s[14:15]
	v_cmp_gt_u32_e64 s[8:9], 8, v1
	s_and_saveexec_b64 s[14:15], s[8:9]
	s_cbranch_execz .LBB94_329
.LBB94_536:
	ds_read_b128 v[28:31], v28 offset:8480
	ds_read_b128 v[32:35], v18 offset:9536
	s_waitcnt lgkmcnt(0)
	v_mul_f64 v[36:37], v[30:31], v[34:35]
	v_mul_f64 v[34:35], v[28:29], v[34:35]
	v_fma_f64 v[28:29], v[28:29], v[32:33], -v[36:37]
	v_fma_f64 v[30:31], v[30:31], v[32:33], v[34:35]
	v_add_f64 v[11:12], v[11:12], v[28:29]
	v_add_f64 v[13:14], v[13:14], v[30:31]
	s_or_b64 exec, exec, s[14:15]
	v_cmp_gt_u32_e64 s[8:9], 4, v1
	s_and_saveexec_b64 s[14:15], s[8:9]
	s_cbranch_execnz .LBB94_330
	s_branch .LBB94_331
.LBB94_537:
	v_lshlrev_b32_e32 v29, 4, v27
	v_sub_u32_e32 v29, v28, v29
	v_lshl_add_u32 v33, v26, 4, v29
	ds_read_b128 v[29:32], v28 offset:8464
	ds_read_b128 v[33:36], v33 offset:9088
	s_waitcnt lgkmcnt(0)
	v_mul_f64 v[37:38], v[31:32], v[35:36]
	v_mul_f64 v[35:36], v[29:30], v[35:36]
	v_fma_f64 v[29:30], v[29:30], v[33:34], -v[37:38]
	v_fma_f64 v[31:32], v[31:32], v[33:34], v[35:36]
	v_add_f64 v[11:12], v[11:12], v[29:30]
	v_add_f64 v[13:14], v[13:14], v[31:32]
	s_or_b64 exec, exec, s[14:15]
	v_cmp_gt_u32_e64 s[8:9], 48, v1
	s_and_saveexec_b64 s[14:15], s[8:9]
	s_cbranch_execz .LBB94_367
.LBB94_538:
	v_lshlrev_b32_e32 v29, 4, v27
	v_sub_u32_e32 v29, v28, v29
	v_lshl_add_u32 v33, v26, 4, v29
	ds_read_b128 v[29:32], v28 offset:8480
	ds_read_b128 v[33:36], v33 offset:9600
	s_waitcnt lgkmcnt(0)
	v_mul_f64 v[37:38], v[31:32], v[35:36]
	v_mul_f64 v[35:36], v[29:30], v[35:36]
	v_fma_f64 v[29:30], v[29:30], v[33:34], -v[37:38]
	v_fma_f64 v[31:32], v[31:32], v[33:34], v[35:36]
	v_add_f64 v[11:12], v[11:12], v[29:30]
	v_add_f64 v[13:14], v[13:14], v[31:32]
	s_or_b64 exec, exec, s[14:15]
	v_cmp_gt_u32_e64 s[8:9], 40, v1
	s_and_saveexec_b64 s[14:15], s[8:9]
	s_cbranch_execz .LBB94_368
.LBB94_539:
	v_lshlrev_b32_e32 v29, 4, v27
	v_sub_u32_e32 v29, v28, v29
	v_lshl_add_u32 v33, v26, 4, v29
	ds_read_b128 v[29:32], v28 offset:8496
	ds_read_b128 v[33:36], v33 offset:10112
	s_waitcnt lgkmcnt(0)
	v_mul_f64 v[37:38], v[31:32], v[35:36]
	v_mul_f64 v[35:36], v[29:30], v[35:36]
	v_fma_f64 v[29:30], v[29:30], v[33:34], -v[37:38]
	v_fma_f64 v[31:32], v[31:32], v[33:34], v[35:36]
	v_add_f64 v[11:12], v[11:12], v[29:30]
	v_add_f64 v[13:14], v[13:14], v[31:32]
	s_or_b64 exec, exec, s[14:15]
	v_cmp_gt_u32_e64 s[8:9], 32, v1
	s_and_saveexec_b64 s[14:15], s[8:9]
	s_cbranch_execz .LBB94_369
.LBB94_540:
	ds_read_b128 v[29:32], v28 offset:8512
	ds_read_b128 v[33:36], v23 offset:10624
	s_waitcnt lgkmcnt(0)
	v_mul_f64 v[37:38], v[31:32], v[35:36]
	v_mul_f64 v[35:36], v[29:30], v[35:36]
	v_fma_f64 v[29:30], v[29:30], v[33:34], -v[37:38]
	v_fma_f64 v[31:32], v[31:32], v[33:34], v[35:36]
	v_add_f64 v[11:12], v[11:12], v[29:30]
	v_add_f64 v[13:14], v[13:14], v[31:32]
	s_or_b64 exec, exec, s[14:15]
	v_cmp_gt_u32_e64 s[8:9], 24, v1
	s_and_saveexec_b64 s[14:15], s[8:9]
	s_cbranch_execz .LBB94_370
.LBB94_541:
	v_lshlrev_b32_e32 v27, 4, v27
	v_sub_u32_e32 v27, v28, v27
	v_lshl_add_u32 v26, v26, 4, v27
	ds_read_b128 v[29:32], v28 offset:8528
	ds_read_b128 v[33:36], v26 offset:11136
	s_waitcnt lgkmcnt(0)
	v_mul_f64 v[26:27], v[31:32], v[35:36]
	v_mul_f64 v[35:36], v[29:30], v[35:36]
	v_fma_f64 v[26:27], v[29:30], v[33:34], -v[26:27]
	v_fma_f64 v[29:30], v[31:32], v[33:34], v[35:36]
	v_add_f64 v[11:12], v[11:12], v[26:27]
	v_add_f64 v[13:14], v[13:14], v[29:30]
	s_or_b64 exec, exec, s[14:15]
	v_cmp_gt_u32_e64 s[8:9], 16, v1
	s_and_saveexec_b64 s[14:15], s[8:9]
	s_cbranch_execz .LBB94_371
.LBB94_542:
	ds_read_b128 v[26:29], v28 offset:8544
	ds_read_b128 v[30:33], v23 offset:11648
	s_waitcnt lgkmcnt(0)
	v_mul_f64 v[34:35], v[28:29], v[32:33]
	v_mul_f64 v[32:33], v[26:27], v[32:33]
	v_fma_f64 v[26:27], v[26:27], v[30:31], -v[34:35]
	v_fma_f64 v[28:29], v[28:29], v[30:31], v[32:33]
	v_add_f64 v[11:12], v[11:12], v[26:27]
	v_add_f64 v[13:14], v[13:14], v[28:29]
	s_or_b64 exec, exec, s[14:15]
	v_cmp_gt_u32_e64 s[8:9], 8, v1
	s_and_saveexec_b64 s[14:15], s[8:9]
	s_cbranch_execnz .LBB94_372
	s_branch .LBB94_373
.LBB94_543:
	v_lshlrev_b32_e32 v22, 4, v22
	v_sub_u32_e32 v22, v23, v22
	v_lshl_add_u32 v21, v21, 4, v22
	ds_read_b128 v[24:27], v23 offset:12688
	ds_read_b128 v[28:31], v21 offset:13248
	s_waitcnt lgkmcnt(0)
	v_mul_f64 v[21:22], v[26:27], v[30:31]
	v_mul_f64 v[30:31], v[24:25], v[30:31]
	v_fma_f64 v[21:22], v[24:25], v[28:29], -v[21:22]
	v_fma_f64 v[24:25], v[26:27], v[28:29], v[30:31]
	v_add_f64 v[11:12], v[11:12], v[21:22]
	v_add_f64 v[13:14], v[13:14], v[24:25]
	s_or_b64 exec, exec, s[12:13]
	v_cmp_gt_u32_e64 s[8:9], 8, v1
	s_and_saveexec_b64 s[12:13], s[8:9]
	s_cbranch_execz .LBB94_425
.LBB94_544:
	ds_read_b128 v[21:24], v23 offset:12704
	ds_read_b128 v[25:28], v18 offset:13760
	s_waitcnt lgkmcnt(0)
	v_mul_f64 v[29:30], v[23:24], v[27:28]
	v_mul_f64 v[27:28], v[21:22], v[27:28]
	v_fma_f64 v[21:22], v[21:22], v[25:26], -v[29:30]
	v_fma_f64 v[23:24], v[23:24], v[25:26], v[27:28]
	v_add_f64 v[11:12], v[11:12], v[21:22]
	v_add_f64 v[13:14], v[13:14], v[23:24]
	s_or_b64 exec, exec, s[12:13]
	v_cmp_gt_u32_e64 s[8:9], 4, v1
	s_and_saveexec_b64 s[12:13], s[8:9]
	s_cbranch_execnz .LBB94_426
	s_branch .LBB94_427
	.section	.rodata,"a",@progbits
	.p2align	6, 0x0
	.amdhsa_kernel _ZL19rocblas_trsv_deviceILi32ELi16ELb1ELb0ELb0ELb0E19rocblas_complex_numIdES1_PKS1_PS1_EviT7_lllT6_T8_lllPii
		.amdhsa_group_segment_fixed_size 25104
		.amdhsa_private_segment_fixed_size 0
		.amdhsa_kernarg_size 360
		.amdhsa_user_sgpr_count 6
		.amdhsa_user_sgpr_private_segment_buffer 1
		.amdhsa_user_sgpr_dispatch_ptr 0
		.amdhsa_user_sgpr_queue_ptr 0
		.amdhsa_user_sgpr_kernarg_segment_ptr 1
		.amdhsa_user_sgpr_dispatch_id 0
		.amdhsa_user_sgpr_flat_scratch_init 0
		.amdhsa_user_sgpr_private_segment_size 0
		.amdhsa_uses_dynamic_stack 0
		.amdhsa_system_sgpr_private_segment_wavefront_offset 0
		.amdhsa_system_sgpr_workgroup_id_x 1
		.amdhsa_system_sgpr_workgroup_id_y 0
		.amdhsa_system_sgpr_workgroup_id_z 1
		.amdhsa_system_sgpr_workgroup_info 0
		.amdhsa_system_vgpr_workitem_id 1
		.amdhsa_next_free_vgpr 49
		.amdhsa_next_free_sgpr 98
		.amdhsa_reserve_vcc 1
		.amdhsa_reserve_flat_scratch 0
		.amdhsa_float_round_mode_32 0
		.amdhsa_float_round_mode_16_64 0
		.amdhsa_float_denorm_mode_32 3
		.amdhsa_float_denorm_mode_16_64 3
		.amdhsa_dx10_clamp 1
		.amdhsa_ieee_mode 1
		.amdhsa_fp16_overflow 0
		.amdhsa_exception_fp_ieee_invalid_op 0
		.amdhsa_exception_fp_denorm_src 0
		.amdhsa_exception_fp_ieee_div_zero 0
		.amdhsa_exception_fp_ieee_overflow 0
		.amdhsa_exception_fp_ieee_underflow 0
		.amdhsa_exception_fp_ieee_inexact 0
		.amdhsa_exception_int_div_zero 0
	.end_amdhsa_kernel
	.section	.text._ZL19rocblas_trsv_deviceILi32ELi16ELb1ELb0ELb0ELb0E19rocblas_complex_numIdES1_PKS1_PS1_EviT7_lllT6_T8_lllPii,"axG",@progbits,_ZL19rocblas_trsv_deviceILi32ELi16ELb1ELb0ELb0ELb0E19rocblas_complex_numIdES1_PKS1_PS1_EviT7_lllT6_T8_lllPii,comdat
.Lfunc_end94:
	.size	_ZL19rocblas_trsv_deviceILi32ELi16ELb1ELb0ELb0ELb0E19rocblas_complex_numIdES1_PKS1_PS1_EviT7_lllT6_T8_lllPii, .Lfunc_end94-_ZL19rocblas_trsv_deviceILi32ELi16ELb1ELb0ELb0ELb0E19rocblas_complex_numIdES1_PKS1_PS1_EviT7_lllT6_T8_lllPii
                                        ; -- End function
	.set _ZL19rocblas_trsv_deviceILi32ELi16ELb1ELb0ELb0ELb0E19rocblas_complex_numIdES1_PKS1_PS1_EviT7_lllT6_T8_lllPii.num_vgpr, 43
	.set _ZL19rocblas_trsv_deviceILi32ELi16ELb1ELb0ELb0ELb0E19rocblas_complex_numIdES1_PKS1_PS1_EviT7_lllT6_T8_lllPii.num_agpr, 0
	.set _ZL19rocblas_trsv_deviceILi32ELi16ELb1ELb0ELb0ELb0E19rocblas_complex_numIdES1_PKS1_PS1_EviT7_lllT6_T8_lllPii.numbered_sgpr, 87
	.set _ZL19rocblas_trsv_deviceILi32ELi16ELb1ELb0ELb0ELb0E19rocblas_complex_numIdES1_PKS1_PS1_EviT7_lllT6_T8_lllPii.num_named_barrier, 0
	.set _ZL19rocblas_trsv_deviceILi32ELi16ELb1ELb0ELb0ELb0E19rocblas_complex_numIdES1_PKS1_PS1_EviT7_lllT6_T8_lllPii.private_seg_size, 0
	.set _ZL19rocblas_trsv_deviceILi32ELi16ELb1ELb0ELb0ELb0E19rocblas_complex_numIdES1_PKS1_PS1_EviT7_lllT6_T8_lllPii.uses_vcc, 1
	.set _ZL19rocblas_trsv_deviceILi32ELi16ELb1ELb0ELb0ELb0E19rocblas_complex_numIdES1_PKS1_PS1_EviT7_lllT6_T8_lllPii.uses_flat_scratch, 0
	.set _ZL19rocblas_trsv_deviceILi32ELi16ELb1ELb0ELb0ELb0E19rocblas_complex_numIdES1_PKS1_PS1_EviT7_lllT6_T8_lllPii.has_dyn_sized_stack, 0
	.set _ZL19rocblas_trsv_deviceILi32ELi16ELb1ELb0ELb0ELb0E19rocblas_complex_numIdES1_PKS1_PS1_EviT7_lllT6_T8_lllPii.has_recursion, 0
	.set _ZL19rocblas_trsv_deviceILi32ELi16ELb1ELb0ELb0ELb0E19rocblas_complex_numIdES1_PKS1_PS1_EviT7_lllT6_T8_lllPii.has_indirect_call, 0
	.section	.AMDGPU.csdata,"",@progbits
; Kernel info:
; codeLenInByte = 25656
; TotalNumSgprs: 91
; NumVgprs: 43
; ScratchSize: 0
; MemoryBound: 1
; FloatMode: 240
; IeeeMode: 1
; LDSByteSize: 25104 bytes/workgroup (compile time only)
; SGPRBlocks: 12
; VGPRBlocks: 12
; NumSGPRsForWavesPerEU: 102
; NumVGPRsForWavesPerEU: 49
; Occupancy: 4
; WaveLimiterHint : 0
; COMPUTE_PGM_RSRC2:SCRATCH_EN: 0
; COMPUTE_PGM_RSRC2:USER_SGPR: 6
; COMPUTE_PGM_RSRC2:TRAP_HANDLER: 0
; COMPUTE_PGM_RSRC2:TGID_X_EN: 1
; COMPUTE_PGM_RSRC2:TGID_Y_EN: 0
; COMPUTE_PGM_RSRC2:TGID_Z_EN: 1
; COMPUTE_PGM_RSRC2:TIDIG_COMP_CNT: 1
	.section	.text._ZL19rocblas_trsv_deviceILi32ELi16ELb1ELb1ELb0ELb0E19rocblas_complex_numIdES1_PKS1_PS1_EviT7_lllT6_T8_lllPii,"axG",@progbits,_ZL19rocblas_trsv_deviceILi32ELi16ELb1ELb1ELb0ELb0E19rocblas_complex_numIdES1_PKS1_PS1_EviT7_lllT6_T8_lllPii,comdat
	.globl	_ZL19rocblas_trsv_deviceILi32ELi16ELb1ELb1ELb0ELb0E19rocblas_complex_numIdES1_PKS1_PS1_EviT7_lllT6_T8_lllPii ; -- Begin function _ZL19rocblas_trsv_deviceILi32ELi16ELb1ELb1ELb0ELb0E19rocblas_complex_numIdES1_PKS1_PS1_EviT7_lllT6_T8_lllPii
	.p2align	8
	.type	_ZL19rocblas_trsv_deviceILi32ELi16ELb1ELb1ELb0ELb0E19rocblas_complex_numIdES1_PKS1_PS1_EviT7_lllT6_T8_lllPii,@function
_ZL19rocblas_trsv_deviceILi32ELi16ELb1ELb1ELb0ELb0E19rocblas_complex_numIdES1_PKS1_PS1_EviT7_lllT6_T8_lllPii: ; @_ZL19rocblas_trsv_deviceILi32ELi16ELb1ELb1ELb0ELb0E19rocblas_complex_numIdES1_PKS1_PS1_EviT7_lllT6_T8_lllPii
; %bb.0:
	s_load_dwordx16 s[16:31], s[4:5], 0x8
	s_load_dword s36, s[4:5], 0x0
	s_mov_b32 s34, s7
	v_mov_b32_e32 v2, v1
	s_mov_b32 s35, 0
	s_waitcnt lgkmcnt(0)
	s_mul_i32 s0, s23, s7
	s_mul_hi_u32 s1, s22, s7
	s_add_i32 s1, s1, s0
	s_mul_i32 s0, s22, s7
	s_load_dword s7, s[4:5], 0x68
	s_load_dword s41, s[4:5], 0x74
	s_lshl_b64 s[0:1], s[0:1], 4
	s_add_u32 s2, s16, s0
	s_addc_u32 s3, s17, s1
	s_lshl_b64 s[0:1], s[18:19], 4
	s_add_u32 s94, s2, s0
	s_addc_u32 s95, s3, s1
	s_waitcnt lgkmcnt(0)
	s_add_i32 s7, s7, -1
	s_sub_i32 s92, s7, s6
	s_cmp_lg_u32 s6, 0
	s_cbranch_scc0 .LBB95_545
; %bb.1:
	s_lshl_b32 s33, s92, 5
	v_add_u32_e32 v1, s33, v0
	v_ashrrev_i32_e32 v3, 31, v1
	v_mul_lo_u32 v7, s20, v3
	v_mul_lo_u32 v8, s21, v1
	v_mad_u64_u32 v[5:6], s[0:1], s20, v1, 0
	v_add3_u32 v3, v2, s33, 32
	v_ashrrev_i32_e32 v4, 31, v3
	v_add3_u32 v6, v6, v7, v8
	v_lshlrev_b64 v[5:6], 4, v[5:6]
	v_cmp_gt_i32_e32 vcc, s36, v1
	v_mov_b32_e32 v1, s95
	v_add_co_u32_e64 v7, s[0:1], s94, v5
	v_lshlrev_b64 v[4:5], 4, v[3:4]
	v_addc_co_u32_e64 v1, s[0:1], v1, v6, s[0:1]
	v_add_co_u32_e64 v11, s[0:1], v7, v4
	v_addc_co_u32_e64 v12, s[0:1], v1, v5, s[0:1]
	v_cmp_gt_i32_e64 s[0:1], s36, v3
	v_mov_b32_e32 v5, 0
	v_mov_b32_e32 v7, 0
	;; [unrolled: 1-line block ×6, first 2 shown]
	s_and_b64 s[2:3], s[0:1], vcc
	s_barrier
	s_and_saveexec_b64 s[0:1], s[2:3]
	s_cbranch_execz .LBB95_3
; %bb.2:
	global_load_dwordx4 v[7:10], v[11:12], off
.LBB95_3:
	s_or_b64 exec, exec, s[0:1]
	v_add_u32_e32 v1, 16, v3
	v_cmp_gt_i32_e64 s[0:1], s36, v1
	v_mov_b32_e32 v3, 0
	v_mov_b32_e32 v4, 0
	s_and_b64 s[2:3], s[0:1], vcc
	s_waitcnt vmcnt(0)
	s_barrier
	s_and_saveexec_b64 s[0:1], s[2:3]
	s_cbranch_execz .LBB95_5
; %bb.4:
	global_load_dwordx4 v[3:6], v[11:12], off offset:256
.LBB95_5:
	s_or_b64 exec, exec, s[0:1]
	s_branch .LBB95_7
.LBB95_6:
	s_lshl_b32 s33, s92, 5
                                        ; implicit-def: $vgpr7_vgpr8
                                        ; implicit-def: $vgpr3_vgpr4
.LBB95_7:
	s_ashr_i32 s37, s36, 31
	s_lshr_b32 s0, s37, 27
	s_add_i32 s0, s36, s0
	s_andn2_b32 s0, s0, 31
	s_sub_i32 s93, s36, s0
	s_add_i32 s0, s36, -1
	s_ashr_i32 s1, s0, 31
	s_lshr_b32 s1, s1, 27
	s_add_i32 s0, s0, s1
	s_ashr_i32 s0, s0, 5
	s_cmp_eq_u32 s0, s92
	s_cselect_b64 s[0:1], -1, 0
	s_cmp_lg_u32 s93, 0
	s_cselect_b64 s[2:3], -1, 0
	s_and_b64 s[22:23], s[2:3], s[0:1]
	s_cmp_lt_i32 s6, 5
	s_cselect_b64 s[2:3], -1, 0
	s_or_b64 s[0:1], s[2:3], s[22:23]
	s_ashr_i32 s40, s33, 31
	s_add_u32 s10, s20, 1
	v_mov_b32_e32 v1, 0
	v_mov_b32_e32 v11, s33
	v_mad_u64_u32 v[19:20], s[8:9], s10, v11, v[0:1]
	s_addc_u32 s11, s21, 0
	s_mul_i32 s8, s10, s40
	s_mul_i32 s11, s11, s33
	v_lshlrev_b32_e32 v21, 5, v0
	s_add_i32 s8, s8, s11
	s_mov_b64 s[12:13], -1
	v_add_u32_e32 v20, s8, v20
	s_and_b64 vcc, exec, s[22:23]
	v_add_u32_e32 v22, v2, v21
	v_cmp_le_u32_e64 s[8:9], v0, v2
	v_lshl_add_u32 v1, v2, 5, v0
	s_cbranch_vccnz .LBB95_37
; %bb.8:
	v_mad_u64_u32 v[11:12], s[10:11], s20, v2, v[19:20]
	v_cndmask_b32_e64 v23, v1, v22, s[2:3]
	v_mad_u64_u32 v[12:13], s[10:11], s21, v2, v[12:13]
	s_and_saveexec_b64 s[2:3], s[8:9]
	s_xor_b64 s[2:3], exec, s[2:3]
	s_cbranch_execz .LBB95_20
; %bb.9:
	v_cmp_ne_u32_e32 vcc, v0, v2
	s_and_saveexec_b64 s[8:9], vcc
	s_xor_b64 s[8:9], exec, s[8:9]
	s_cbranch_execz .LBB95_13
; %bb.10:
	v_or_b32_e32 v11, v2, v0
	v_cmp_gt_u32_e32 vcc, 32, v11
	s_and_saveexec_b64 s[10:11], vcc
	s_cbranch_execz .LBB95_12
; %bb.11:
	v_mov_b32_e32 v11, 0
	v_lshlrev_b32_e32 v15, 4, v23
	v_mov_b32_e32 v12, v11
	v_mov_b32_e32 v13, v11
	;; [unrolled: 1-line block ×3, first 2 shown]
	ds_write_b128 v15, v[11:14]
.LBB95_12:
	s_or_b64 exec, exec, s[10:11]
                                        ; implicit-def: $vgpr23
                                        ; implicit-def: $vgpr11_vgpr12
.LBB95_13:
	s_andn2_saveexec_b64 s[8:9], s[8:9]
	s_cbranch_execz .LBB95_19
; %bb.14:
	v_lshlrev_b64 v[11:12], 4, v[11:12]
	v_mov_b32_e32 v13, s95
	v_add_co_u32_e32 v11, vcc, s94, v11
	v_addc_co_u32_e32 v12, vcc, v13, v12, vcc
	global_load_dwordx4 v[11:14], v[11:12], off
                                        ; implicit-def: $vgpr15_vgpr16
	s_waitcnt vmcnt(0)
	v_cmp_ngt_f64_e64 s[10:11], |v[11:12]|, |v[13:14]|
	s_and_saveexec_b64 s[12:13], s[10:11]
	s_xor_b64 s[10:11], exec, s[12:13]
	s_cbranch_execz .LBB95_16
; %bb.15:
	v_div_scale_f64 v[15:16], s[12:13], v[13:14], v[13:14], v[11:12]
	v_rcp_f64_e32 v[17:18], v[15:16]
	v_fma_f64 v[24:25], -v[15:16], v[17:18], 1.0
	v_fma_f64 v[17:18], v[17:18], v[24:25], v[17:18]
	v_div_scale_f64 v[24:25], vcc, v[11:12], v[13:14], v[11:12]
	v_fma_f64 v[26:27], -v[15:16], v[17:18], 1.0
	v_fma_f64 v[17:18], v[17:18], v[26:27], v[17:18]
	v_mul_f64 v[26:27], v[24:25], v[17:18]
	v_fma_f64 v[15:16], -v[15:16], v[26:27], v[24:25]
	v_div_fmas_f64 v[15:16], v[15:16], v[17:18], v[26:27]
	v_div_fixup_f64 v[15:16], v[15:16], v[13:14], v[11:12]
	v_fma_f64 v[11:12], v[11:12], v[15:16], v[13:14]
	v_div_scale_f64 v[13:14], s[12:13], v[11:12], v[11:12], 1.0
	v_div_scale_f64 v[26:27], vcc, 1.0, v[11:12], 1.0
	v_rcp_f64_e32 v[17:18], v[13:14]
	v_fma_f64 v[24:25], -v[13:14], v[17:18], 1.0
	v_fma_f64 v[17:18], v[17:18], v[24:25], v[17:18]
	v_fma_f64 v[24:25], -v[13:14], v[17:18], 1.0
	v_fma_f64 v[17:18], v[17:18], v[24:25], v[17:18]
	v_mul_f64 v[24:25], v[26:27], v[17:18]
	v_fma_f64 v[13:14], -v[13:14], v[24:25], v[26:27]
	v_div_fmas_f64 v[13:14], v[13:14], v[17:18], v[24:25]
	v_div_fixup_f64 v[17:18], v[13:14], v[11:12], 1.0
                                        ; implicit-def: $vgpr11_vgpr12
	v_mul_f64 v[15:16], v[15:16], v[17:18]
	v_xor_b32_e32 v18, 0x80000000, v18
.LBB95_16:
	s_andn2_saveexec_b64 s[10:11], s[10:11]
	s_cbranch_execz .LBB95_18
; %bb.17:
	v_div_scale_f64 v[15:16], s[12:13], v[11:12], v[11:12], v[13:14]
	v_rcp_f64_e32 v[17:18], v[15:16]
	v_fma_f64 v[24:25], -v[15:16], v[17:18], 1.0
	v_fma_f64 v[17:18], v[17:18], v[24:25], v[17:18]
	v_div_scale_f64 v[24:25], vcc, v[13:14], v[11:12], v[13:14]
	v_fma_f64 v[26:27], -v[15:16], v[17:18], 1.0
	v_fma_f64 v[17:18], v[17:18], v[26:27], v[17:18]
	v_mul_f64 v[26:27], v[24:25], v[17:18]
	v_fma_f64 v[15:16], -v[15:16], v[26:27], v[24:25]
	v_div_fmas_f64 v[15:16], v[15:16], v[17:18], v[26:27]
	v_div_fixup_f64 v[17:18], v[15:16], v[11:12], v[13:14]
	v_fma_f64 v[11:12], v[13:14], v[17:18], v[11:12]
	v_div_scale_f64 v[13:14], s[12:13], v[11:12], v[11:12], 1.0
	v_div_scale_f64 v[26:27], vcc, 1.0, v[11:12], 1.0
	v_rcp_f64_e32 v[15:16], v[13:14]
	v_fma_f64 v[24:25], -v[13:14], v[15:16], 1.0
	v_fma_f64 v[15:16], v[15:16], v[24:25], v[15:16]
	v_fma_f64 v[24:25], -v[13:14], v[15:16], 1.0
	v_fma_f64 v[15:16], v[15:16], v[24:25], v[15:16]
	v_mul_f64 v[24:25], v[26:27], v[15:16]
	v_fma_f64 v[13:14], -v[13:14], v[24:25], v[26:27]
	v_div_fmas_f64 v[13:14], v[13:14], v[15:16], v[24:25]
	v_div_fixup_f64 v[15:16], v[13:14], v[11:12], 1.0
	v_mul_f64 v[17:18], v[17:18], -v[15:16]
.LBB95_18:
	s_or_b64 exec, exec, s[10:11]
	v_lshlrev_b32_e32 v11, 4, v23
	ds_write_b128 v11, v[15:18]
.LBB95_19:
	s_or_b64 exec, exec, s[8:9]
                                        ; implicit-def: $vgpr11_vgpr12
                                        ; implicit-def: $vgpr23
.LBB95_20:
	s_andn2_saveexec_b64 s[2:3], s[2:3]
	s_cbranch_execz .LBB95_22
; %bb.21:
	v_lshlrev_b64 v[11:12], 4, v[11:12]
	v_mov_b32_e32 v13, s95
	v_add_co_u32_e32 v11, vcc, s94, v11
	v_addc_co_u32_e32 v12, vcc, v13, v12, vcc
	global_load_dwordx4 v[11:14], v[11:12], off
	v_lshlrev_b32_e32 v15, 4, v23
	s_waitcnt vmcnt(0)
	v_xor_b32_e32 v12, 0x80000000, v12
	v_xor_b32_e32 v14, 0x80000000, v14
	ds_write_b128 v15, v[11:14]
.LBB95_22:
	s_or_b64 exec, exec, s[2:3]
	v_add_u32_e32 v13, 16, v2
	v_mad_u64_u32 v[11:12], s[2:3], s20, v13, v[19:20]
	v_cmp_le_u32_e32 vcc, v0, v13
	v_mad_u64_u32 v[14:15], s[2:3], s21, v13, v[12:13]
	v_add_u32_e32 v12, v13, v21
	v_lshl_add_u32 v15, v13, 5, v0
	v_cndmask_b32_e64 v23, v15, v12, s[0:1]
	v_mov_b32_e32 v12, v14
	s_and_saveexec_b64 s[2:3], vcc
	s_xor_b64 s[2:3], exec, s[2:3]
	s_cbranch_execz .LBB95_34
; %bb.23:
	v_cmp_ne_u32_e32 vcc, v0, v13
	s_and_saveexec_b64 s[8:9], vcc
	s_xor_b64 s[8:9], exec, s[8:9]
	s_cbranch_execz .LBB95_27
; %bb.24:
	v_or_b32_e32 v11, v13, v0
	v_cmp_gt_u32_e32 vcc, 32, v11
	s_and_saveexec_b64 s[10:11], vcc
	s_cbranch_execz .LBB95_26
; %bb.25:
	v_mov_b32_e32 v11, 0
	v_lshlrev_b32_e32 v15, 4, v23
	v_mov_b32_e32 v12, v11
	v_mov_b32_e32 v13, v11
	;; [unrolled: 1-line block ×3, first 2 shown]
	ds_write_b128 v15, v[11:14]
.LBB95_26:
	s_or_b64 exec, exec, s[10:11]
                                        ; implicit-def: $vgpr23
                                        ; implicit-def: $vgpr11_vgpr12
.LBB95_27:
	s_andn2_saveexec_b64 s[8:9], s[8:9]
	s_cbranch_execz .LBB95_33
; %bb.28:
	v_lshlrev_b64 v[11:12], 4, v[11:12]
	v_mov_b32_e32 v13, s95
	v_add_co_u32_e32 v11, vcc, s94, v11
	v_addc_co_u32_e32 v12, vcc, v13, v12, vcc
	global_load_dwordx4 v[11:14], v[11:12], off
                                        ; implicit-def: $vgpr15_vgpr16
	s_waitcnt vmcnt(0)
	v_cmp_ngt_f64_e64 s[10:11], |v[11:12]|, |v[13:14]|
	s_and_saveexec_b64 s[12:13], s[10:11]
	s_xor_b64 s[10:11], exec, s[12:13]
	s_cbranch_execz .LBB95_30
; %bb.29:
	v_div_scale_f64 v[15:16], s[12:13], v[13:14], v[13:14], v[11:12]
	v_rcp_f64_e32 v[17:18], v[15:16]
	v_fma_f64 v[24:25], -v[15:16], v[17:18], 1.0
	v_fma_f64 v[17:18], v[17:18], v[24:25], v[17:18]
	v_div_scale_f64 v[24:25], vcc, v[11:12], v[13:14], v[11:12]
	v_fma_f64 v[26:27], -v[15:16], v[17:18], 1.0
	v_fma_f64 v[17:18], v[17:18], v[26:27], v[17:18]
	v_mul_f64 v[26:27], v[24:25], v[17:18]
	v_fma_f64 v[15:16], -v[15:16], v[26:27], v[24:25]
	v_div_fmas_f64 v[15:16], v[15:16], v[17:18], v[26:27]
	v_div_fixup_f64 v[15:16], v[15:16], v[13:14], v[11:12]
	v_fma_f64 v[11:12], v[11:12], v[15:16], v[13:14]
	v_div_scale_f64 v[13:14], s[12:13], v[11:12], v[11:12], 1.0
	v_div_scale_f64 v[26:27], vcc, 1.0, v[11:12], 1.0
	v_rcp_f64_e32 v[17:18], v[13:14]
	v_fma_f64 v[24:25], -v[13:14], v[17:18], 1.0
	v_fma_f64 v[17:18], v[17:18], v[24:25], v[17:18]
	v_fma_f64 v[24:25], -v[13:14], v[17:18], 1.0
	v_fma_f64 v[17:18], v[17:18], v[24:25], v[17:18]
	v_mul_f64 v[24:25], v[26:27], v[17:18]
	v_fma_f64 v[13:14], -v[13:14], v[24:25], v[26:27]
	v_div_fmas_f64 v[13:14], v[13:14], v[17:18], v[24:25]
	v_div_fixup_f64 v[17:18], v[13:14], v[11:12], 1.0
                                        ; implicit-def: $vgpr11_vgpr12
	v_mul_f64 v[15:16], v[15:16], v[17:18]
	v_xor_b32_e32 v18, 0x80000000, v18
.LBB95_30:
	s_andn2_saveexec_b64 s[10:11], s[10:11]
	s_cbranch_execz .LBB95_32
; %bb.31:
	v_div_scale_f64 v[15:16], s[12:13], v[11:12], v[11:12], v[13:14]
	v_rcp_f64_e32 v[17:18], v[15:16]
	v_fma_f64 v[24:25], -v[15:16], v[17:18], 1.0
	v_fma_f64 v[17:18], v[17:18], v[24:25], v[17:18]
	v_div_scale_f64 v[24:25], vcc, v[13:14], v[11:12], v[13:14]
	v_fma_f64 v[26:27], -v[15:16], v[17:18], 1.0
	v_fma_f64 v[17:18], v[17:18], v[26:27], v[17:18]
	v_mul_f64 v[26:27], v[24:25], v[17:18]
	v_fma_f64 v[15:16], -v[15:16], v[26:27], v[24:25]
	v_div_fmas_f64 v[15:16], v[15:16], v[17:18], v[26:27]
	v_div_fixup_f64 v[17:18], v[15:16], v[11:12], v[13:14]
	v_fma_f64 v[11:12], v[13:14], v[17:18], v[11:12]
	v_div_scale_f64 v[13:14], s[12:13], v[11:12], v[11:12], 1.0
	v_div_scale_f64 v[26:27], vcc, 1.0, v[11:12], 1.0
	v_rcp_f64_e32 v[15:16], v[13:14]
	v_fma_f64 v[24:25], -v[13:14], v[15:16], 1.0
	v_fma_f64 v[15:16], v[15:16], v[24:25], v[15:16]
	v_fma_f64 v[24:25], -v[13:14], v[15:16], 1.0
	v_fma_f64 v[15:16], v[15:16], v[24:25], v[15:16]
	v_mul_f64 v[24:25], v[26:27], v[15:16]
	v_fma_f64 v[13:14], -v[13:14], v[24:25], v[26:27]
	v_div_fmas_f64 v[13:14], v[13:14], v[15:16], v[24:25]
	v_div_fixup_f64 v[15:16], v[13:14], v[11:12], 1.0
	v_mul_f64 v[17:18], v[17:18], -v[15:16]
.LBB95_32:
	s_or_b64 exec, exec, s[10:11]
	v_lshlrev_b32_e32 v11, 4, v23
	ds_write_b128 v11, v[15:18]
.LBB95_33:
	s_or_b64 exec, exec, s[8:9]
                                        ; implicit-def: $vgpr11_vgpr12
                                        ; implicit-def: $vgpr23
.LBB95_34:
	s_andn2_saveexec_b64 s[2:3], s[2:3]
	s_cbranch_execz .LBB95_36
; %bb.35:
	v_lshlrev_b64 v[11:12], 4, v[11:12]
	v_mov_b32_e32 v13, s95
	v_add_co_u32_e32 v11, vcc, s94, v11
	v_addc_co_u32_e32 v12, vcc, v13, v12, vcc
	global_load_dwordx4 v[11:14], v[11:12], off
	v_lshlrev_b32_e32 v15, 4, v23
	s_waitcnt vmcnt(0)
	v_xor_b32_e32 v12, 0x80000000, v12
	v_xor_b32_e32 v14, 0x80000000, v14
	ds_write_b128 v15, v[11:14]
.LBB95_36:
	s_or_b64 exec, exec, s[2:3]
	s_mov_b64 s[12:13], 0
.LBB95_37:
	s_xor_b64 s[10:11], s[0:1], -1
	s_and_b64 vcc, exec, s[12:13]
	s_cbranch_vccz .LBB95_67
; %bb.38:
	v_mad_u64_u32 v[11:12], s[2:3], s20, v2, v[19:20]
	v_cmp_le_u32_e32 vcc, v0, v2
	v_cmp_gt_i32_e64 s[2:3], s93, v0
	v_mad_u64_u32 v[12:13], s[8:9], s21, v2, v[12:13]
	v_max_i32_e32 v13, v2, v0
	v_cmp_le_i32_e64 s[8:9], s93, v13
	s_or_b64 s[8:9], s[8:9], vcc
	s_and_saveexec_b64 s[12:13], s[8:9]
	s_xor_b64 s[8:9], exec, s[12:13]
	s_cbranch_execz .LBB95_50
; %bb.39:
	v_cmp_ne_u32_e32 vcc, v0, v2
	s_xor_b64 s[12:13], s[2:3], -1
	s_or_b64 s[12:13], s[12:13], vcc
	s_and_saveexec_b64 s[14:15], s[12:13]
	s_xor_b64 s[12:13], exec, s[14:15]
	s_cbranch_execz .LBB95_43
; %bb.40:
	v_or_b32_e32 v11, v2, v0
	v_cmp_gt_u32_e32 vcc, 32, v11
	s_and_saveexec_b64 s[14:15], vcc
	s_cbranch_execz .LBB95_42
; %bb.41:
	v_mov_b32_e32 v11, 0
	v_lshlrev_b32_e32 v15, 4, v22
	v_mov_b32_e32 v12, v11
	v_mov_b32_e32 v13, v11
	;; [unrolled: 1-line block ×3, first 2 shown]
	ds_write_b128 v15, v[11:14]
.LBB95_42:
	s_or_b64 exec, exec, s[14:15]
                                        ; implicit-def: $vgpr22
                                        ; implicit-def: $vgpr11_vgpr12
.LBB95_43:
	s_andn2_saveexec_b64 s[12:13], s[12:13]
	s_cbranch_execz .LBB95_49
; %bb.44:
	v_lshlrev_b64 v[11:12], 4, v[11:12]
	v_mov_b32_e32 v13, s95
	v_add_co_u32_e32 v11, vcc, s94, v11
	v_addc_co_u32_e32 v12, vcc, v13, v12, vcc
	global_load_dwordx4 v[11:14], v[11:12], off
                                        ; implicit-def: $vgpr15_vgpr16
	s_waitcnt vmcnt(0)
	v_cmp_ngt_f64_e64 s[14:15], |v[11:12]|, |v[13:14]|
	s_and_saveexec_b64 s[16:17], s[14:15]
	s_xor_b64 s[14:15], exec, s[16:17]
	s_cbranch_execz .LBB95_46
; %bb.45:
	v_div_scale_f64 v[15:16], s[16:17], v[13:14], v[13:14], v[11:12]
	v_rcp_f64_e32 v[17:18], v[15:16]
	v_fma_f64 v[23:24], -v[15:16], v[17:18], 1.0
	v_fma_f64 v[17:18], v[17:18], v[23:24], v[17:18]
	v_div_scale_f64 v[23:24], vcc, v[11:12], v[13:14], v[11:12]
	v_fma_f64 v[25:26], -v[15:16], v[17:18], 1.0
	v_fma_f64 v[17:18], v[17:18], v[25:26], v[17:18]
	v_mul_f64 v[25:26], v[23:24], v[17:18]
	v_fma_f64 v[15:16], -v[15:16], v[25:26], v[23:24]
	v_div_fmas_f64 v[15:16], v[15:16], v[17:18], v[25:26]
	v_div_fixup_f64 v[15:16], v[15:16], v[13:14], v[11:12]
	v_fma_f64 v[11:12], v[11:12], v[15:16], v[13:14]
	v_div_scale_f64 v[13:14], s[16:17], v[11:12], v[11:12], 1.0
	v_div_scale_f64 v[25:26], vcc, 1.0, v[11:12], 1.0
	v_rcp_f64_e32 v[17:18], v[13:14]
	v_fma_f64 v[23:24], -v[13:14], v[17:18], 1.0
	v_fma_f64 v[17:18], v[17:18], v[23:24], v[17:18]
	v_fma_f64 v[23:24], -v[13:14], v[17:18], 1.0
	v_fma_f64 v[17:18], v[17:18], v[23:24], v[17:18]
	v_mul_f64 v[23:24], v[25:26], v[17:18]
	v_fma_f64 v[13:14], -v[13:14], v[23:24], v[25:26]
	v_div_fmas_f64 v[13:14], v[13:14], v[17:18], v[23:24]
	v_div_fixup_f64 v[17:18], v[13:14], v[11:12], 1.0
                                        ; implicit-def: $vgpr11_vgpr12
	v_mul_f64 v[15:16], v[15:16], v[17:18]
	v_xor_b32_e32 v18, 0x80000000, v18
.LBB95_46:
	s_andn2_saveexec_b64 s[14:15], s[14:15]
	s_cbranch_execz .LBB95_48
; %bb.47:
	v_div_scale_f64 v[15:16], s[16:17], v[11:12], v[11:12], v[13:14]
	v_rcp_f64_e32 v[17:18], v[15:16]
	v_fma_f64 v[23:24], -v[15:16], v[17:18], 1.0
	v_fma_f64 v[17:18], v[17:18], v[23:24], v[17:18]
	v_div_scale_f64 v[23:24], vcc, v[13:14], v[11:12], v[13:14]
	v_fma_f64 v[25:26], -v[15:16], v[17:18], 1.0
	v_fma_f64 v[17:18], v[17:18], v[25:26], v[17:18]
	v_mul_f64 v[25:26], v[23:24], v[17:18]
	v_fma_f64 v[15:16], -v[15:16], v[25:26], v[23:24]
	v_div_fmas_f64 v[15:16], v[15:16], v[17:18], v[25:26]
	v_div_fixup_f64 v[17:18], v[15:16], v[11:12], v[13:14]
	v_fma_f64 v[11:12], v[13:14], v[17:18], v[11:12]
	v_div_scale_f64 v[13:14], s[16:17], v[11:12], v[11:12], 1.0
	v_div_scale_f64 v[25:26], vcc, 1.0, v[11:12], 1.0
	v_rcp_f64_e32 v[15:16], v[13:14]
	v_fma_f64 v[23:24], -v[13:14], v[15:16], 1.0
	v_fma_f64 v[15:16], v[15:16], v[23:24], v[15:16]
	v_fma_f64 v[23:24], -v[13:14], v[15:16], 1.0
	v_fma_f64 v[15:16], v[15:16], v[23:24], v[15:16]
	v_mul_f64 v[23:24], v[25:26], v[15:16]
	v_fma_f64 v[13:14], -v[13:14], v[23:24], v[25:26]
	v_div_fmas_f64 v[13:14], v[13:14], v[15:16], v[23:24]
	v_div_fixup_f64 v[15:16], v[13:14], v[11:12], 1.0
	v_mul_f64 v[17:18], v[17:18], -v[15:16]
.LBB95_48:
	s_or_b64 exec, exec, s[14:15]
	v_lshlrev_b32_e32 v11, 4, v22
	ds_write_b128 v11, v[15:18]
.LBB95_49:
	s_or_b64 exec, exec, s[12:13]
                                        ; implicit-def: $vgpr11_vgpr12
                                        ; implicit-def: $vgpr22
.LBB95_50:
	s_andn2_saveexec_b64 s[8:9], s[8:9]
	s_cbranch_execz .LBB95_52
; %bb.51:
	v_lshlrev_b64 v[11:12], 4, v[11:12]
	v_mov_b32_e32 v13, s95
	v_add_co_u32_e32 v11, vcc, s94, v11
	v_addc_co_u32_e32 v12, vcc, v13, v12, vcc
	global_load_dwordx4 v[11:14], v[11:12], off
	v_lshlrev_b32_e32 v15, 4, v22
	s_waitcnt vmcnt(0)
	v_xor_b32_e32 v12, 0x80000000, v12
	v_xor_b32_e32 v14, 0x80000000, v14
	ds_write_b128 v15, v[11:14]
.LBB95_52:
	s_or_b64 exec, exec, s[8:9]
	v_add_u32_e32 v13, 16, v2
	v_mad_u64_u32 v[11:12], s[8:9], s20, v13, v[19:20]
	v_add_u32_e32 v16, v13, v21
	v_cmp_gt_u32_e32 vcc, v0, v13
	v_mad_u64_u32 v[14:15], s[8:9], s21, v13, v[12:13]
	v_lshl_add_u32 v12, v13, 5, v0
	v_cndmask_b32_e64 v19, v12, v16, s[0:1]
	v_cmp_gt_i32_e64 s[0:1], s93, v13
	s_and_b64 s[0:1], vcc, s[0:1]
	s_and_b64 s[0:1], s[2:3], s[0:1]
	v_mov_b32_e32 v12, v14
	s_xor_b64 s[0:1], s[0:1], -1
	s_and_saveexec_b64 s[8:9], s[0:1]
	s_xor_b64 s[0:1], exec, s[8:9]
	s_cbranch_execz .LBB95_64
; %bb.53:
	v_cmp_ne_u32_e32 vcc, v0, v13
	s_xor_b64 s[2:3], s[2:3], -1
	s_or_b64 s[2:3], s[2:3], vcc
	s_and_saveexec_b64 s[8:9], s[2:3]
	s_xor_b64 s[2:3], exec, s[8:9]
	s_cbranch_execz .LBB95_57
; %bb.54:
	v_or_b32_e32 v11, v13, v0
	v_cmp_gt_u32_e32 vcc, 32, v11
	s_and_saveexec_b64 s[8:9], vcc
	s_cbranch_execz .LBB95_56
; %bb.55:
	v_mov_b32_e32 v11, 0
	v_lshlrev_b32_e32 v15, 4, v19
	v_mov_b32_e32 v12, v11
	v_mov_b32_e32 v13, v11
	;; [unrolled: 1-line block ×3, first 2 shown]
	ds_write_b128 v15, v[11:14]
.LBB95_56:
	s_or_b64 exec, exec, s[8:9]
                                        ; implicit-def: $vgpr19
                                        ; implicit-def: $vgpr11_vgpr12
.LBB95_57:
	s_andn2_saveexec_b64 s[2:3], s[2:3]
	s_cbranch_execz .LBB95_63
; %bb.58:
	v_lshlrev_b64 v[11:12], 4, v[11:12]
	v_mov_b32_e32 v13, s95
	v_add_co_u32_e32 v11, vcc, s94, v11
	v_addc_co_u32_e32 v12, vcc, v13, v12, vcc
	global_load_dwordx4 v[11:14], v[11:12], off
                                        ; implicit-def: $vgpr15_vgpr16
	s_waitcnt vmcnt(0)
	v_cmp_ngt_f64_e64 s[8:9], |v[11:12]|, |v[13:14]|
	s_and_saveexec_b64 s[12:13], s[8:9]
	s_xor_b64 s[8:9], exec, s[12:13]
	s_cbranch_execz .LBB95_60
; %bb.59:
	v_div_scale_f64 v[15:16], s[12:13], v[13:14], v[13:14], v[11:12]
	v_rcp_f64_e32 v[17:18], v[15:16]
	v_fma_f64 v[20:21], -v[15:16], v[17:18], 1.0
	v_fma_f64 v[17:18], v[17:18], v[20:21], v[17:18]
	v_div_scale_f64 v[20:21], vcc, v[11:12], v[13:14], v[11:12]
	v_fma_f64 v[22:23], -v[15:16], v[17:18], 1.0
	v_fma_f64 v[17:18], v[17:18], v[22:23], v[17:18]
	v_mul_f64 v[22:23], v[20:21], v[17:18]
	v_fma_f64 v[15:16], -v[15:16], v[22:23], v[20:21]
	v_div_fmas_f64 v[15:16], v[15:16], v[17:18], v[22:23]
	v_div_fixup_f64 v[15:16], v[15:16], v[13:14], v[11:12]
	v_fma_f64 v[11:12], v[11:12], v[15:16], v[13:14]
	v_div_scale_f64 v[13:14], s[12:13], v[11:12], v[11:12], 1.0
	v_div_scale_f64 v[22:23], vcc, 1.0, v[11:12], 1.0
	v_rcp_f64_e32 v[17:18], v[13:14]
	v_fma_f64 v[20:21], -v[13:14], v[17:18], 1.0
	v_fma_f64 v[17:18], v[17:18], v[20:21], v[17:18]
	v_fma_f64 v[20:21], -v[13:14], v[17:18], 1.0
	v_fma_f64 v[17:18], v[17:18], v[20:21], v[17:18]
	v_mul_f64 v[20:21], v[22:23], v[17:18]
	v_fma_f64 v[13:14], -v[13:14], v[20:21], v[22:23]
	v_div_fmas_f64 v[13:14], v[13:14], v[17:18], v[20:21]
	v_div_fixup_f64 v[17:18], v[13:14], v[11:12], 1.0
                                        ; implicit-def: $vgpr11_vgpr12
	v_mul_f64 v[15:16], v[15:16], v[17:18]
	v_xor_b32_e32 v18, 0x80000000, v18
.LBB95_60:
	s_andn2_saveexec_b64 s[8:9], s[8:9]
	s_cbranch_execz .LBB95_62
; %bb.61:
	v_div_scale_f64 v[15:16], s[12:13], v[11:12], v[11:12], v[13:14]
	v_rcp_f64_e32 v[17:18], v[15:16]
	v_fma_f64 v[20:21], -v[15:16], v[17:18], 1.0
	v_fma_f64 v[17:18], v[17:18], v[20:21], v[17:18]
	v_div_scale_f64 v[20:21], vcc, v[13:14], v[11:12], v[13:14]
	v_fma_f64 v[22:23], -v[15:16], v[17:18], 1.0
	v_fma_f64 v[17:18], v[17:18], v[22:23], v[17:18]
	v_mul_f64 v[22:23], v[20:21], v[17:18]
	v_fma_f64 v[15:16], -v[15:16], v[22:23], v[20:21]
	v_div_fmas_f64 v[15:16], v[15:16], v[17:18], v[22:23]
	v_div_fixup_f64 v[17:18], v[15:16], v[11:12], v[13:14]
	v_fma_f64 v[11:12], v[13:14], v[17:18], v[11:12]
	v_div_scale_f64 v[13:14], s[12:13], v[11:12], v[11:12], 1.0
	v_div_scale_f64 v[22:23], vcc, 1.0, v[11:12], 1.0
	v_rcp_f64_e32 v[15:16], v[13:14]
	v_fma_f64 v[20:21], -v[13:14], v[15:16], 1.0
	v_fma_f64 v[15:16], v[15:16], v[20:21], v[15:16]
	v_fma_f64 v[20:21], -v[13:14], v[15:16], 1.0
	v_fma_f64 v[15:16], v[15:16], v[20:21], v[15:16]
	v_mul_f64 v[20:21], v[22:23], v[15:16]
	v_fma_f64 v[13:14], -v[13:14], v[20:21], v[22:23]
	v_div_fmas_f64 v[13:14], v[13:14], v[15:16], v[20:21]
	v_div_fixup_f64 v[15:16], v[13:14], v[11:12], 1.0
	v_mul_f64 v[17:18], v[17:18], -v[15:16]
.LBB95_62:
	s_or_b64 exec, exec, s[8:9]
	v_lshlrev_b32_e32 v11, 4, v19
	ds_write_b128 v11, v[15:18]
.LBB95_63:
	s_or_b64 exec, exec, s[2:3]
                                        ; implicit-def: $vgpr11_vgpr12
                                        ; implicit-def: $vgpr19
.LBB95_64:
	s_andn2_saveexec_b64 s[0:1], s[0:1]
	s_cbranch_execz .LBB95_66
; %bb.65:
	v_lshlrev_b64 v[11:12], 4, v[11:12]
	v_mov_b32_e32 v13, s95
	v_add_co_u32_e32 v11, vcc, s94, v11
	v_addc_co_u32_e32 v12, vcc, v13, v12, vcc
	global_load_dwordx4 v[11:14], v[11:12], off
	v_lshlrev_b32_e32 v15, 4, v19
	s_waitcnt vmcnt(0)
	v_xor_b32_e32 v12, 0x80000000, v12
	v_xor_b32_e32 v14, 0x80000000, v14
	ds_write_b128 v15, v[11:14]
.LBB95_66:
	s_or_b64 exec, exec, s[0:1]
.LBB95_67:
	v_cndmask_b32_e64 v11, 0, 1, s[10:11]
	v_cmp_ne_u32_e64 s[0:1], 1, v11
	s_andn2_b64 vcc, exec, s[10:11]
	s_waitcnt vmcnt(0) lgkmcnt(0)
	s_barrier
	s_cbranch_vccnz .LBB95_491
; %bb.68:
	v_or_b32_e32 v11, v0, v2
	v_cmp_eq_u32_e32 vcc, 0, v11
	s_and_saveexec_b64 s[2:3], vcc
	s_cbranch_execz .LBB95_70
; %bb.69:
	v_mov_b32_e32 v25, 0
	ds_read_b128 v[11:14], v25 offset:528
	ds_read_b128 v[15:18], v25
	ds_read_b128 v[19:22], v25 offset:16
	s_waitcnt lgkmcnt(1)
	v_mul_f64 v[23:24], v[11:12], v[17:18]
	v_mul_f64 v[17:18], v[13:14], v[17:18]
	v_fma_f64 v[13:14], v[13:14], v[15:16], v[23:24]
	v_fma_f64 v[11:12], v[11:12], v[15:16], -v[17:18]
	s_waitcnt lgkmcnt(0)
	v_mul_f64 v[15:16], v[13:14], v[21:22]
	v_mul_f64 v[17:18], v[11:12], v[21:22]
	v_fma_f64 v[11:12], v[19:20], v[11:12], -v[15:16]
	v_fma_f64 v[13:14], v[19:20], v[13:14], v[17:18]
	ds_write_b128 v25, v[11:14] offset:16
	ds_write_b128 v25, v[11:14] offset:512
.LBB95_70:
	s_or_b64 exec, exec, s[2:3]
	v_and_b32_e32 v18, 1, v0
	v_lshrrev_b32_e32 v17, 1, v1
	v_lshlrev_b32_e32 v15, 4, v18
	v_mov_b32_e32 v13, 0
	v_mov_b32_e32 v11, 0
	v_cmp_lt_u32_e64 s[8:9], 3, v1
	v_cmp_gt_u32_e64 s[2:3], 4, v1
	v_mov_b32_e32 v14, 0
	v_mov_b32_e32 v12, 0
	v_lshl_or_b32 v15, v17, 9, v15
	s_waitcnt lgkmcnt(0)
	s_barrier
	s_and_saveexec_b64 s[12:13], s[2:3]
	s_cbranch_execz .LBB95_74
; %bb.71:
	v_mul_u32_u24_e32 v11, 0x210, v17
	ds_read_b128 v[11:14], v11
	ds_read_b128 v[19:22], v15 offset:32
	v_cmp_gt_u32_e64 s[10:11], 2, v1
	s_waitcnt lgkmcnt(0)
	v_mul_f64 v[23:24], v[13:14], v[21:22]
	v_mul_f64 v[21:22], v[11:12], v[21:22]
	v_fma_f64 v[11:12], v[11:12], v[19:20], -v[23:24]
	v_fma_f64 v[13:14], v[13:14], v[19:20], v[21:22]
	v_add_f64 v[11:12], v[11:12], 0
	v_add_f64 v[13:14], v[13:14], 0
	s_and_saveexec_b64 s[14:15], s[10:11]
	s_cbranch_execz .LBB95_73
; %bb.72:
	v_mov_b32_e32 v19, 0
	v_lshlrev_b32_e32 v16, 4, v0
	ds_read_b128 v[19:22], v19 offset:16
	ds_read_b128 v[23:26], v16 offset:544
	s_waitcnt lgkmcnt(0)
	v_mul_f64 v[27:28], v[21:22], v[25:26]
	v_mul_f64 v[25:26], v[19:20], v[25:26]
	v_fma_f64 v[19:20], v[19:20], v[23:24], -v[27:28]
	v_fma_f64 v[21:22], v[21:22], v[23:24], v[25:26]
	v_add_f64 v[11:12], v[11:12], v[19:20]
	v_add_f64 v[13:14], v[13:14], v[21:22]
.LBB95_73:
	s_or_b64 exec, exec, s[14:15]
	v_xor_b32_e32 v12, 0x80000000, v12
	v_xor_b32_e32 v14, 0x80000000, v14
.LBB95_74:
                                        ; implicit-def: $vgpr43 : SGPR spill to VGPR lane
	v_writelane_b32 v43, s40, 0
	s_or_b64 exec, exec, s[12:13]
	v_mov_b32_e32 v16, 0x4000
	v_cmp_eq_u32_e64 s[10:11], 0, v18
	s_xor_b64 s[12:13], s[8:9], -1
	v_lshl_add_u32 v16, v17, 4, v16
	s_and_b64 s[40:41], s[10:11], s[12:13]
	s_and_saveexec_b64 s[8:9], s[40:41]
	s_cbranch_execz .LBB95_76
; %bb.75:
	v_mov_b32_e32 v19, 0
	ds_read_b128 v[19:22], v19 offset:1056
	s_waitcnt lgkmcnt(0)
	v_mul_f64 v[23:24], v[13:14], v[21:22]
	v_mul_f64 v[21:22], v[11:12], v[21:22]
	v_fma_f64 v[11:12], v[11:12], v[19:20], -v[23:24]
	v_fma_f64 v[13:14], v[13:14], v[19:20], v[21:22]
	ds_write_b128 v16, v[11:14]
.LBB95_76:
	s_or_b64 exec, exec, s[8:9]
	v_cmp_ne_u32_e64 s[8:9], 0, v18
	s_and_b64 s[38:39], s[8:9], s[12:13]
	s_waitcnt lgkmcnt(0)
	s_barrier
	s_and_saveexec_b64 s[8:9], s[38:39]
	s_cbranch_execz .LBB95_78
; %bb.77:
	v_mov_b32_e32 v22, 0
	ds_read_b128 v[18:21], v16
	ds_read_b128 v[22:25], v22 offset:1072
	s_waitcnt lgkmcnt(0)
	v_mul_f64 v[26:27], v[20:21], v[24:25]
	v_mul_f64 v[24:25], v[18:19], v[24:25]
	v_fma_f64 v[18:19], v[18:19], v[22:23], -v[26:27]
	v_fma_f64 v[20:21], v[20:21], v[22:23], v[24:25]
	v_add_f64 v[11:12], v[11:12], v[18:19]
	v_add_f64 v[13:14], v[13:14], v[20:21]
.LBB95_78:
	s_or_b64 exec, exec, s[8:9]
	s_barrier
	s_and_saveexec_b64 s[8:9], s[38:39]
	s_cbranch_execz .LBB95_80
; %bb.79:
	v_mov_b32_e32 v18, 0
	ds_read_b128 v[18:21], v18 offset:1584
	s_waitcnt lgkmcnt(0)
	v_mul_f64 v[22:23], v[13:14], v[20:21]
	v_mul_f64 v[20:21], v[11:12], v[20:21]
	v_fma_f64 v[11:12], v[11:12], v[18:19], -v[22:23]
	v_fma_f64 v[13:14], v[13:14], v[18:19], v[20:21]
	ds_write_b128 v16, v[11:14]
.LBB95_80:
	s_or_b64 exec, exec, s[8:9]
	s_waitcnt lgkmcnt(0)
	s_barrier
	s_barrier
	s_and_saveexec_b64 s[8:9], s[2:3]
; %bb.81:
	v_xor_b32_e32 v12, 0x80000000, v12
	v_xor_b32_e32 v14, 0x80000000, v14
	ds_write_b128 v15, v[11:14] offset:32
; %bb.82:
	s_or_b64 exec, exec, s[8:9]
	v_cmp_eq_u32_e64 s[10:11], 0, v2
	v_cmp_gt_u32_e64 s[8:9], 2, v0
	s_and_b64 s[42:43], s[10:11], s[8:9]
	s_waitcnt lgkmcnt(0)
	s_barrier
	s_barrier
	s_and_saveexec_b64 s[8:9], s[42:43]
	s_cbranch_execz .LBB95_84
; %bb.83:
	v_lshlrev_b32_e32 v18, 9, v0
	ds_read_b128 v[11:14], v18 offset:32
	s_movk_i32 s12, 0xfe10
	v_mad_i32_i24 v19, v0, s12, v18
	s_waitcnt lgkmcnt(0)
	ds_write_b128 v19, v[11:14] offset:1024
	ds_read_b128 v[11:14], v18 offset:48
	s_waitcnt lgkmcnt(0)
	ds_write_b128 v19, v[11:14] offset:1536
.LBB95_84:
	s_or_b64 exec, exec, s[8:9]
	s_waitcnt lgkmcnt(0)
	s_barrier
	s_and_saveexec_b64 s[8:9], vcc
	s_cbranch_execz .LBB95_86
; %bb.85:
	v_mov_b32_e32 v28, 0
	ds_read_b128 v[11:14], v28 offset:1584
	ds_read_b128 v[18:21], v28 offset:1056
	;; [unrolled: 1-line block ×3, first 2 shown]
	s_waitcnt lgkmcnt(1)
	v_mul_f64 v[26:27], v[11:12], v[20:21]
	v_mul_f64 v[20:21], v[13:14], v[20:21]
	v_fma_f64 v[13:14], v[13:14], v[18:19], v[26:27]
	v_fma_f64 v[11:12], v[11:12], v[18:19], -v[20:21]
	s_waitcnt lgkmcnt(0)
	v_mul_f64 v[18:19], v[13:14], v[24:25]
	v_mul_f64 v[20:21], v[11:12], v[24:25]
	v_fma_f64 v[11:12], v[22:23], v[11:12], -v[18:19]
	v_fma_f64 v[13:14], v[22:23], v[13:14], v[20:21]
	ds_write_b128 v28, v[11:14] offset:1072
	ds_write_b128 v28, v[11:14] offset:1568
.LBB95_86:
	s_or_b64 exec, exec, s[8:9]
	v_and_b32_e32 v21, 3, v0
	v_lshrrev_b32_e32 v22, 2, v1
	v_lshlrev_b32_e32 v19, 4, v21
	v_mov_b32_e32 v13, 0
	v_mov_b32_e32 v11, 0
	v_cmp_lt_u32_e64 s[8:9], 15, v1
	v_cmp_gt_u32_e64 s[16:17], 16, v1
	v_mov_b32_e32 v14, 0
	v_mov_b32_e32 v12, 0
	v_lshl_or_b32 v18, v22, 9, v19
	s_waitcnt lgkmcnt(0)
	s_barrier
	s_and_saveexec_b64 s[14:15], s[16:17]
	s_cbranch_execz .LBB95_92
; %bb.87:
	v_mul_u32_u24_e32 v20, 0x210, v22
	ds_read_b128 v[11:14], v20
	ds_read_b128 v[23:26], v18 offset:64
	v_cmp_gt_u32_e64 s[12:13], 12, v1
	s_waitcnt lgkmcnt(0)
	v_mul_f64 v[27:28], v[13:14], v[25:26]
	v_mul_f64 v[25:26], v[11:12], v[25:26]
	v_fma_f64 v[11:12], v[11:12], v[23:24], -v[27:28]
	v_fma_f64 v[13:14], v[13:14], v[23:24], v[25:26]
	v_add_f64 v[11:12], v[11:12], 0
	v_add_f64 v[13:14], v[13:14], 0
	s_and_saveexec_b64 s[18:19], s[12:13]
	s_cbranch_execnz .LBB95_550
; %bb.88:
	s_or_b64 exec, exec, s[18:19]
	v_cmp_gt_u32_e64 s[12:13], 8, v1
	s_and_saveexec_b64 s[18:19], s[12:13]
	s_cbranch_execnz .LBB95_551
.LBB95_89:
	s_or_b64 exec, exec, s[18:19]
	v_cmp_gt_u32_e64 s[12:13], 4, v1
	s_and_saveexec_b64 s[18:19], s[12:13]
	s_cbranch_execz .LBB95_91
.LBB95_90:
	v_mov_b32_e32 v23, 0
	v_lshlrev_b32_e32 v20, 4, v0
	ds_read_b128 v[23:26], v23 offset:48
	ds_read_b128 v[27:30], v20 offset:1600
	s_waitcnt lgkmcnt(0)
	v_mul_f64 v[31:32], v[25:26], v[29:30]
	v_mul_f64 v[29:30], v[23:24], v[29:30]
	v_fma_f64 v[23:24], v[23:24], v[27:28], -v[31:32]
	v_fma_f64 v[25:26], v[25:26], v[27:28], v[29:30]
	v_add_f64 v[11:12], v[11:12], v[23:24]
	v_add_f64 v[13:14], v[13:14], v[25:26]
.LBB95_91:
	s_or_b64 exec, exec, s[18:19]
	v_xor_b32_e32 v12, 0x80000000, v12
	v_xor_b32_e32 v14, 0x80000000, v14
.LBB95_92:
	s_or_b64 exec, exec, s[14:15]
	v_mov_b32_e32 v20, 0x4000
	v_cmp_eq_u32_e64 s[12:13], 0, v21
	s_xor_b64 s[14:15], s[8:9], -1
	v_lshl_add_u32 v20, v22, 4, v20
	s_and_b64 s[46:47], s[12:13], s[14:15]
	s_and_saveexec_b64 s[8:9], s[46:47]
	s_cbranch_execz .LBB95_94
; %bb.93:
	v_mov_b32_e32 v23, 0
	ds_read_b128 v[23:26], v23 offset:2112
	s_waitcnt lgkmcnt(0)
	v_mul_f64 v[27:28], v[13:14], v[25:26]
	v_mul_f64 v[25:26], v[11:12], v[25:26]
	v_fma_f64 v[11:12], v[11:12], v[23:24], -v[27:28]
	v_fma_f64 v[13:14], v[13:14], v[23:24], v[25:26]
	ds_write_b128 v20, v[11:14]
.LBB95_94:
	s_or_b64 exec, exec, s[8:9]
	v_cmp_ne_u32_e64 s[8:9], 0, v21
	s_and_b64 s[48:49], s[8:9], s[14:15]
	s_waitcnt lgkmcnt(0)
	s_barrier
	s_and_saveexec_b64 s[8:9], s[48:49]
	s_cbranch_execz .LBB95_96
; %bb.95:
	ds_read_b128 v[23:26], v20
	ds_read_b128 v[27:30], v19 offset:2112
	s_waitcnt lgkmcnt(0)
	v_mul_f64 v[31:32], v[25:26], v[29:30]
	v_mul_f64 v[29:30], v[23:24], v[29:30]
	v_fma_f64 v[23:24], v[23:24], v[27:28], -v[31:32]
	v_fma_f64 v[25:26], v[25:26], v[27:28], v[29:30]
	v_add_f64 v[11:12], v[11:12], v[23:24]
	v_add_f64 v[13:14], v[13:14], v[25:26]
.LBB95_96:
	s_or_b64 exec, exec, s[8:9]
	v_cmp_eq_u32_e64 s[8:9], 1, v21
	s_and_b64 s[50:51], s[8:9], s[14:15]
	s_barrier
	s_and_saveexec_b64 s[8:9], s[50:51]
	s_cbranch_execz .LBB95_98
; %bb.97:
	v_mov_b32_e32 v23, 0
	ds_read_b128 v[23:26], v23 offset:2640
	s_waitcnt lgkmcnt(0)
	v_mul_f64 v[27:28], v[13:14], v[25:26]
	v_mul_f64 v[25:26], v[11:12], v[25:26]
	v_fma_f64 v[11:12], v[11:12], v[23:24], -v[27:28]
	v_fma_f64 v[13:14], v[13:14], v[23:24], v[25:26]
	ds_write_b128 v20, v[11:14]
.LBB95_98:
	s_or_b64 exec, exec, s[8:9]
	v_cmp_lt_u32_e64 s[8:9], 1, v21
	s_and_b64 s[52:53], s[8:9], s[14:15]
	s_waitcnt lgkmcnt(0)
	s_barrier
	s_and_saveexec_b64 s[8:9], s[52:53]
	s_cbranch_execz .LBB95_100
; %bb.99:
	ds_read_b128 v[23:26], v20
	ds_read_b128 v[27:30], v19 offset:2624
	s_waitcnt lgkmcnt(0)
	v_mul_f64 v[31:32], v[25:26], v[29:30]
	v_mul_f64 v[29:30], v[23:24], v[29:30]
	v_fma_f64 v[23:24], v[23:24], v[27:28], -v[31:32]
	v_fma_f64 v[25:26], v[25:26], v[27:28], v[29:30]
	v_add_f64 v[11:12], v[11:12], v[23:24]
	v_add_f64 v[13:14], v[13:14], v[25:26]
.LBB95_100:
	s_or_b64 exec, exec, s[8:9]
	v_cmp_eq_u32_e64 s[8:9], 2, v21
	s_and_b64 s[54:55], s[8:9], s[14:15]
	s_barrier
	s_and_saveexec_b64 s[8:9], s[54:55]
	s_cbranch_execz .LBB95_102
; %bb.101:
	v_mov_b32_e32 v23, 0
	ds_read_b128 v[23:26], v23 offset:3168
	s_waitcnt lgkmcnt(0)
	v_mul_f64 v[27:28], v[13:14], v[25:26]
	v_mul_f64 v[25:26], v[11:12], v[25:26]
	v_fma_f64 v[11:12], v[11:12], v[23:24], -v[27:28]
	v_fma_f64 v[13:14], v[13:14], v[23:24], v[25:26]
	ds_write_b128 v20, v[11:14]
.LBB95_102:
	s_or_b64 exec, exec, s[8:9]
	v_cmp_eq_u32_e64 s[8:9], 3, v21
	s_and_b64 s[44:45], s[8:9], s[14:15]
	s_waitcnt lgkmcnt(0)
	s_barrier
	s_and_saveexec_b64 s[8:9], s[44:45]
	s_cbranch_execz .LBB95_104
; %bb.103:
	v_mov_b32_e32 v27, 0
	ds_read_b128 v[23:26], v20
	ds_read_b128 v[27:30], v27 offset:3184
	s_waitcnt lgkmcnt(0)
	v_mul_f64 v[31:32], v[25:26], v[29:30]
	v_mul_f64 v[29:30], v[23:24], v[29:30]
	v_fma_f64 v[23:24], v[23:24], v[27:28], -v[31:32]
	v_fma_f64 v[25:26], v[25:26], v[27:28], v[29:30]
	v_add_f64 v[11:12], v[11:12], v[23:24]
	v_add_f64 v[13:14], v[13:14], v[25:26]
.LBB95_104:
	s_or_b64 exec, exec, s[8:9]
	s_barrier
	s_and_saveexec_b64 s[8:9], s[44:45]
	s_cbranch_execz .LBB95_106
; %bb.105:
	v_mov_b32_e32 v23, 0
	ds_read_b128 v[23:26], v23 offset:3696
	s_waitcnt lgkmcnt(0)
	v_mul_f64 v[27:28], v[13:14], v[25:26]
	v_mul_f64 v[25:26], v[11:12], v[25:26]
	v_fma_f64 v[11:12], v[11:12], v[23:24], -v[27:28]
	v_fma_f64 v[13:14], v[13:14], v[23:24], v[25:26]
	ds_write_b128 v20, v[11:14]
.LBB95_106:
	s_or_b64 exec, exec, s[8:9]
	s_waitcnt lgkmcnt(0)
	s_barrier
	s_barrier
	s_and_saveexec_b64 s[8:9], s[16:17]
; %bb.107:
	v_xor_b32_e32 v14, 0x80000000, v14
	v_xor_b32_e32 v12, 0x80000000, v12
	ds_write_b128 v18, v[11:14] offset:64
; %bb.108:
	s_or_b64 exec, exec, s[8:9]
	v_cmp_gt_u32_e64 s[8:9], 4, v0
	s_and_b64 s[56:57], s[10:11], s[8:9]
	s_waitcnt lgkmcnt(0)
	s_barrier
	s_barrier
	s_and_saveexec_b64 s[8:9], s[56:57]
	s_cbranch_execz .LBB95_110
; %bb.109:
	v_lshlrev_b32_e32 v23, 4, v0
	s_movk_i32 s12, 0x1f0
	v_mad_u32_u24 v24, v0, s12, v23
	ds_read_b128 v[11:14], v24 offset:64
	s_waitcnt lgkmcnt(0)
	ds_write_b128 v23, v[11:14] offset:2048
	ds_read_b128 v[11:14], v24 offset:80
	s_waitcnt lgkmcnt(0)
	ds_write_b128 v23, v[11:14] offset:2560
	ds_read_b128 v[11:14], v24 offset:96
	s_waitcnt lgkmcnt(0)
	ds_write_b128 v23, v[11:14] offset:3072
	ds_read_b128 v[11:14], v24 offset:112
	s_waitcnt lgkmcnt(0)
	ds_write_b128 v23, v[11:14] offset:3584
.LBB95_110:
	s_or_b64 exec, exec, s[8:9]
	s_waitcnt lgkmcnt(0)
	s_barrier
	s_and_saveexec_b64 s[8:9], vcc
	s_cbranch_execz .LBB95_112
; %bb.111:
	v_mov_b32_e32 v33, 0
	ds_read_b128 v[11:14], v33 offset:2640
	ds_read_b128 v[23:26], v33 offset:2112
	;; [unrolled: 1-line block ×3, first 2 shown]
	s_waitcnt lgkmcnt(1)
	v_mul_f64 v[31:32], v[11:12], v[25:26]
	v_mul_f64 v[25:26], v[13:14], v[25:26]
	v_fma_f64 v[13:14], v[13:14], v[23:24], v[31:32]
	v_fma_f64 v[11:12], v[11:12], v[23:24], -v[25:26]
	s_waitcnt lgkmcnt(0)
	v_mul_f64 v[23:24], v[13:14], v[29:30]
	v_mul_f64 v[25:26], v[11:12], v[29:30]
	v_fma_f64 v[11:12], v[27:28], v[11:12], -v[23:24]
	v_fma_f64 v[13:14], v[27:28], v[13:14], v[25:26]
	ds_write_b128 v33, v[11:14] offset:2128
	ds_write_b128 v33, v[11:14] offset:2624
.LBB95_112:
	s_or_b64 exec, exec, s[8:9]
	v_mov_b32_e32 v13, 0
	v_mov_b32_e32 v11, 0
	;; [unrolled: 1-line block ×4, first 2 shown]
	s_waitcnt lgkmcnt(0)
	s_barrier
	s_and_saveexec_b64 s[12:13], s[2:3]
	s_cbranch_execz .LBB95_116
; %bb.113:
	v_mul_u32_u24_e32 v11, 0x210, v17
	ds_read_b128 v[11:14], v11 offset:2112
	ds_read_b128 v[23:26], v15 offset:2144
	v_cmp_gt_u32_e64 s[8:9], 2, v1
	s_waitcnt lgkmcnt(0)
	v_mul_f64 v[27:28], v[13:14], v[25:26]
	v_mul_f64 v[25:26], v[11:12], v[25:26]
	v_fma_f64 v[11:12], v[11:12], v[23:24], -v[27:28]
	v_fma_f64 v[13:14], v[13:14], v[23:24], v[25:26]
	v_add_f64 v[11:12], v[11:12], 0
	v_add_f64 v[13:14], v[13:14], 0
	s_and_saveexec_b64 s[14:15], s[8:9]
	s_cbranch_execz .LBB95_115
; %bb.114:
	v_lshlrev_b32_e32 v27, 4, v0
	v_mov_b32_e32 v23, 0
	ds_read_b128 v[23:26], v23 offset:2128
	ds_read_b128 v[27:30], v27 offset:2656
	s_waitcnt lgkmcnt(0)
	v_mul_f64 v[31:32], v[25:26], v[29:30]
	v_mul_f64 v[29:30], v[23:24], v[29:30]
	v_fma_f64 v[23:24], v[23:24], v[27:28], -v[31:32]
	v_fma_f64 v[25:26], v[25:26], v[27:28], v[29:30]
	v_add_f64 v[11:12], v[11:12], v[23:24]
	v_add_f64 v[13:14], v[13:14], v[25:26]
.LBB95_115:
	s_or_b64 exec, exec, s[14:15]
	v_xor_b32_e32 v12, 0x80000000, v12
	v_xor_b32_e32 v14, 0x80000000, v14
.LBB95_116:
	s_or_b64 exec, exec, s[12:13]
	s_and_saveexec_b64 s[8:9], s[40:41]
	s_cbranch_execz .LBB95_118
; %bb.117:
	v_mov_b32_e32 v23, 0
	ds_read_b128 v[23:26], v23 offset:3168
	s_waitcnt lgkmcnt(0)
	v_mul_f64 v[27:28], v[13:14], v[25:26]
	v_mul_f64 v[25:26], v[11:12], v[25:26]
	v_fma_f64 v[11:12], v[11:12], v[23:24], -v[27:28]
	v_fma_f64 v[13:14], v[13:14], v[23:24], v[25:26]
	ds_write_b128 v16, v[11:14]
.LBB95_118:
	s_or_b64 exec, exec, s[8:9]
	s_waitcnt lgkmcnt(0)
	s_barrier
	s_and_saveexec_b64 s[8:9], s[38:39]
	s_cbranch_execz .LBB95_120
; %bb.119:
	v_mov_b32_e32 v27, 0
	ds_read_b128 v[23:26], v16
	ds_read_b128 v[27:30], v27 offset:3184
	s_waitcnt lgkmcnt(0)
	v_mul_f64 v[31:32], v[25:26], v[29:30]
	v_mul_f64 v[29:30], v[23:24], v[29:30]
	v_fma_f64 v[23:24], v[23:24], v[27:28], -v[31:32]
	v_fma_f64 v[25:26], v[25:26], v[27:28], v[29:30]
	v_add_f64 v[11:12], v[11:12], v[23:24]
	v_add_f64 v[13:14], v[13:14], v[25:26]
.LBB95_120:
	s_or_b64 exec, exec, s[8:9]
	s_barrier
	s_and_saveexec_b64 s[8:9], s[38:39]
	s_cbranch_execz .LBB95_122
; %bb.121:
	v_mov_b32_e32 v23, 0
	ds_read_b128 v[23:26], v23 offset:3696
	s_waitcnt lgkmcnt(0)
	v_mul_f64 v[27:28], v[13:14], v[25:26]
	v_mul_f64 v[25:26], v[11:12], v[25:26]
	v_fma_f64 v[11:12], v[11:12], v[23:24], -v[27:28]
	v_fma_f64 v[13:14], v[13:14], v[23:24], v[25:26]
	ds_write_b128 v16, v[11:14]
.LBB95_122:
	s_or_b64 exec, exec, s[8:9]
	s_waitcnt lgkmcnt(0)
	s_barrier
	s_barrier
	s_and_saveexec_b64 s[8:9], s[2:3]
; %bb.123:
	v_xor_b32_e32 v12, 0x80000000, v12
	v_xor_b32_e32 v14, 0x80000000, v14
	ds_write_b128 v15, v[11:14] offset:2144
; %bb.124:
	s_or_b64 exec, exec, s[8:9]
	s_waitcnt lgkmcnt(0)
	s_barrier
	s_barrier
	s_and_saveexec_b64 s[8:9], s[42:43]
	s_cbranch_execz .LBB95_126
; %bb.125:
	v_lshlrev_b32_e32 v23, 9, v0
	ds_read_b128 v[11:14], v23 offset:2144
	s_movk_i32 s12, 0xfe10
	v_mad_i32_i24 v24, v0, s12, v23
	s_waitcnt lgkmcnt(0)
	ds_write_b128 v24, v[11:14] offset:3136
	ds_read_b128 v[11:14], v23 offset:2160
	s_waitcnt lgkmcnt(0)
	ds_write_b128 v24, v[11:14] offset:3648
.LBB95_126:
	s_or_b64 exec, exec, s[8:9]
	s_waitcnt lgkmcnt(0)
	s_barrier
	s_and_saveexec_b64 s[8:9], vcc
	s_cbranch_execz .LBB95_128
; %bb.127:
	v_mov_b32_e32 v33, 0
	ds_read_b128 v[11:14], v33 offset:3696
	ds_read_b128 v[23:26], v33 offset:3168
	;; [unrolled: 1-line block ×3, first 2 shown]
	s_waitcnt lgkmcnt(1)
	v_mul_f64 v[31:32], v[11:12], v[25:26]
	v_mul_f64 v[25:26], v[13:14], v[25:26]
	v_fma_f64 v[13:14], v[13:14], v[23:24], v[31:32]
	v_fma_f64 v[11:12], v[11:12], v[23:24], -v[25:26]
	s_waitcnt lgkmcnt(0)
	v_mul_f64 v[23:24], v[13:14], v[29:30]
	v_mul_f64 v[25:26], v[11:12], v[29:30]
	v_fma_f64 v[11:12], v[27:28], v[11:12], -v[23:24]
	v_fma_f64 v[13:14], v[27:28], v[13:14], v[25:26]
	ds_write_b128 v33, v[11:14] offset:3184
	ds_write_b128 v33, v[11:14] offset:3680
.LBB95_128:
	s_or_b64 exec, exec, s[8:9]
	v_and_b32_e32 v26, 7, v0
	v_lshrrev_b32_e32 v27, 3, v1
	v_lshlrev_b32_e32 v24, 4, v26
	v_mov_b32_e32 v13, 0
	v_mov_b32_e32 v11, 0
	v_cmp_lt_u32_e64 s[12:13], 63, v1
	v_cmp_gt_u32_e64 s[8:9], 64, v1
	v_mov_b32_e32 v14, 0
	v_mov_b32_e32 v12, 0
	v_lshl_or_b32 v23, v27, 9, v24
	s_waitcnt lgkmcnt(0)
	s_barrier
	s_and_saveexec_b64 s[18:19], s[8:9]
	s_cbranch_execz .LBB95_138
; %bb.129:
	v_mul_u32_u24_e32 v25, 0x210, v27
	ds_read_b128 v[11:14], v25
	ds_read_b128 v[28:31], v23 offset:128
	v_cmp_gt_u32_e64 s[14:15], 56, v1
	s_waitcnt lgkmcnt(0)
	v_mul_f64 v[32:33], v[13:14], v[30:31]
	v_mul_f64 v[30:31], v[11:12], v[30:31]
	v_fma_f64 v[11:12], v[11:12], v[28:29], -v[32:33]
	v_fma_f64 v[13:14], v[13:14], v[28:29], v[30:31]
	v_add_f64 v[11:12], v[11:12], 0
	v_add_f64 v[13:14], v[13:14], 0
	s_and_saveexec_b64 s[58:59], s[14:15]
	s_cbranch_execnz .LBB95_552
; %bb.130:
	s_or_b64 exec, exec, s[58:59]
	v_cmp_gt_u32_e64 s[14:15], 48, v1
	s_and_saveexec_b64 s[58:59], s[14:15]
	s_cbranch_execnz .LBB95_553
.LBB95_131:
	s_or_b64 exec, exec, s[58:59]
	v_cmp_gt_u32_e64 s[14:15], 40, v1
	s_and_saveexec_b64 s[58:59], s[14:15]
	s_cbranch_execnz .LBB95_554
.LBB95_132:
	s_or_b64 exec, exec, s[58:59]
	v_cmp_gt_u32_e64 s[14:15], 32, v1
	s_and_saveexec_b64 s[58:59], s[14:15]
	s_cbranch_execnz .LBB95_555
.LBB95_133:
	s_or_b64 exec, exec, s[58:59]
	v_cmp_gt_u32_e64 s[14:15], 24, v1
	s_and_saveexec_b64 s[58:59], s[14:15]
	s_cbranch_execnz .LBB95_556
.LBB95_134:
	s_or_b64 exec, exec, s[58:59]
	v_cmp_gt_u32_e64 s[14:15], 16, v1
	s_and_saveexec_b64 s[58:59], s[14:15]
	s_cbranch_execnz .LBB95_557
.LBB95_135:
	s_or_b64 exec, exec, s[58:59]
	v_cmp_gt_u32_e64 s[14:15], 8, v1
	s_and_saveexec_b64 s[58:59], s[14:15]
	s_cbranch_execz .LBB95_137
.LBB95_136:
	v_mov_b32_e32 v28, 0
	v_lshlrev_b32_e32 v25, 4, v0
	ds_read_b128 v[28:31], v28 offset:112
	ds_read_b128 v[32:35], v25 offset:3712
	s_waitcnt lgkmcnt(0)
	v_mul_f64 v[36:37], v[30:31], v[34:35]
	v_mul_f64 v[34:35], v[28:29], v[34:35]
	v_fma_f64 v[28:29], v[28:29], v[32:33], -v[36:37]
	v_fma_f64 v[30:31], v[30:31], v[32:33], v[34:35]
	v_add_f64 v[11:12], v[11:12], v[28:29]
	v_add_f64 v[13:14], v[13:14], v[30:31]
.LBB95_137:
	s_or_b64 exec, exec, s[58:59]
	v_xor_b32_e32 v12, 0x80000000, v12
	v_xor_b32_e32 v14, 0x80000000, v14
.LBB95_138:
	s_or_b64 exec, exec, s[18:19]
	v_mov_b32_e32 v25, 0x4000
	v_cmp_eq_u32_e64 s[14:15], 0, v26
	s_xor_b64 s[18:19], s[12:13], -1
	v_lshl_add_u32 v25, v27, 4, v25
	s_and_b64 s[60:61], s[14:15], s[18:19]
	s_and_saveexec_b64 s[12:13], s[60:61]
	s_cbranch_execz .LBB95_140
; %bb.139:
	v_mov_b32_e32 v28, 0
	ds_read_b128 v[28:31], v28 offset:4224
	s_waitcnt lgkmcnt(0)
	v_mul_f64 v[32:33], v[13:14], v[30:31]
	v_mul_f64 v[30:31], v[11:12], v[30:31]
	v_fma_f64 v[11:12], v[11:12], v[28:29], -v[32:33]
	v_fma_f64 v[13:14], v[13:14], v[28:29], v[30:31]
	ds_write_b128 v25, v[11:14]
.LBB95_140:
	s_or_b64 exec, exec, s[12:13]
	v_cmp_ne_u32_e64 s[12:13], 0, v26
	s_and_b64 s[62:63], s[12:13], s[18:19]
	s_waitcnt lgkmcnt(0)
	s_barrier
	s_and_saveexec_b64 s[12:13], s[62:63]
	s_cbranch_execz .LBB95_142
; %bb.141:
	ds_read_b128 v[28:31], v25
	ds_read_b128 v[32:35], v24 offset:4224
	s_waitcnt lgkmcnt(0)
	v_mul_f64 v[36:37], v[30:31], v[34:35]
	v_mul_f64 v[34:35], v[28:29], v[34:35]
	v_fma_f64 v[28:29], v[28:29], v[32:33], -v[36:37]
	v_fma_f64 v[30:31], v[30:31], v[32:33], v[34:35]
	v_add_f64 v[11:12], v[11:12], v[28:29]
	v_add_f64 v[13:14], v[13:14], v[30:31]
.LBB95_142:
	s_or_b64 exec, exec, s[12:13]
	v_cmp_eq_u32_e64 s[12:13], 1, v26
	s_and_b64 s[64:65], s[12:13], s[18:19]
	s_barrier
	s_and_saveexec_b64 s[12:13], s[64:65]
	s_cbranch_execz .LBB95_144
; %bb.143:
	v_mov_b32_e32 v28, 0
	ds_read_b128 v[28:31], v28 offset:4752
	s_waitcnt lgkmcnt(0)
	v_mul_f64 v[32:33], v[13:14], v[30:31]
	v_mul_f64 v[30:31], v[11:12], v[30:31]
	v_fma_f64 v[11:12], v[11:12], v[28:29], -v[32:33]
	v_fma_f64 v[13:14], v[13:14], v[28:29], v[30:31]
	ds_write_b128 v25, v[11:14]
.LBB95_144:
	s_or_b64 exec, exec, s[12:13]
	v_cmp_lt_u32_e64 s[12:13], 1, v26
	s_and_b64 s[66:67], s[12:13], s[18:19]
	s_waitcnt lgkmcnt(0)
	s_barrier
	s_and_saveexec_b64 s[12:13], s[66:67]
	s_cbranch_execz .LBB95_146
; %bb.145:
	ds_read_b128 v[28:31], v25
	ds_read_b128 v[32:35], v24 offset:4736
	s_waitcnt lgkmcnt(0)
	v_mul_f64 v[36:37], v[30:31], v[34:35]
	v_mul_f64 v[34:35], v[28:29], v[34:35]
	v_fma_f64 v[28:29], v[28:29], v[32:33], -v[36:37]
	v_fma_f64 v[30:31], v[30:31], v[32:33], v[34:35]
	v_add_f64 v[11:12], v[11:12], v[28:29]
	v_add_f64 v[13:14], v[13:14], v[30:31]
.LBB95_146:
	s_or_b64 exec, exec, s[12:13]
	v_cmp_eq_u32_e64 s[12:13], 2, v26
	s_and_b64 s[68:69], s[12:13], s[18:19]
	s_barrier
	s_and_saveexec_b64 s[12:13], s[68:69]
	s_cbranch_execz .LBB95_148
; %bb.147:
	v_mov_b32_e32 v28, 0
	ds_read_b128 v[28:31], v28 offset:5280
	s_waitcnt lgkmcnt(0)
	v_mul_f64 v[32:33], v[13:14], v[30:31]
	v_mul_f64 v[30:31], v[11:12], v[30:31]
	v_fma_f64 v[11:12], v[11:12], v[28:29], -v[32:33]
	v_fma_f64 v[13:14], v[13:14], v[28:29], v[30:31]
	ds_write_b128 v25, v[11:14]
.LBB95_148:
	s_or_b64 exec, exec, s[12:13]
	v_cmp_lt_u32_e64 s[12:13], 2, v26
	;; [unrolled: 34-line block ×5, first 2 shown]
	s_and_b64 s[82:83], s[12:13], s[18:19]
	s_waitcnt lgkmcnt(0)
	s_barrier
	s_and_saveexec_b64 s[12:13], s[82:83]
	s_cbranch_execz .LBB95_162
; %bb.161:
	ds_read_b128 v[28:31], v25
	ds_read_b128 v[32:35], v24 offset:6784
	s_waitcnt lgkmcnt(0)
	v_mul_f64 v[36:37], v[30:31], v[34:35]
	v_mul_f64 v[34:35], v[28:29], v[34:35]
	v_fma_f64 v[28:29], v[28:29], v[32:33], -v[36:37]
	v_fma_f64 v[30:31], v[30:31], v[32:33], v[34:35]
	v_add_f64 v[11:12], v[11:12], v[28:29]
	v_add_f64 v[13:14], v[13:14], v[30:31]
.LBB95_162:
	s_or_b64 exec, exec, s[12:13]
	v_cmp_eq_u32_e64 s[12:13], 6, v26
	s_and_b64 s[84:85], s[12:13], s[18:19]
	s_barrier
	s_and_saveexec_b64 s[12:13], s[84:85]
	s_cbranch_execz .LBB95_164
; %bb.163:
	v_mov_b32_e32 v28, 0
	ds_read_b128 v[28:31], v28 offset:7392
	s_waitcnt lgkmcnt(0)
	v_mul_f64 v[32:33], v[13:14], v[30:31]
	v_mul_f64 v[30:31], v[11:12], v[30:31]
	v_fma_f64 v[11:12], v[11:12], v[28:29], -v[32:33]
	v_fma_f64 v[13:14], v[13:14], v[28:29], v[30:31]
	ds_write_b128 v25, v[11:14]
.LBB95_164:
	s_or_b64 exec, exec, s[12:13]
	v_cmp_eq_u32_e64 s[12:13], 7, v26
	s_and_b64 s[58:59], s[12:13], s[18:19]
	s_waitcnt lgkmcnt(0)
	s_barrier
	s_and_saveexec_b64 s[12:13], s[58:59]
	s_cbranch_execz .LBB95_166
; %bb.165:
	v_mov_b32_e32 v32, 0
	ds_read_b128 v[28:31], v25
	ds_read_b128 v[32:35], v32 offset:7408
	s_waitcnt lgkmcnt(0)
	v_mul_f64 v[36:37], v[30:31], v[34:35]
	v_mul_f64 v[34:35], v[28:29], v[34:35]
	v_fma_f64 v[28:29], v[28:29], v[32:33], -v[36:37]
	v_fma_f64 v[30:31], v[30:31], v[32:33], v[34:35]
	v_add_f64 v[11:12], v[11:12], v[28:29]
	v_add_f64 v[13:14], v[13:14], v[30:31]
.LBB95_166:
	s_or_b64 exec, exec, s[12:13]
	s_barrier
	s_and_saveexec_b64 s[12:13], s[58:59]
	s_cbranch_execz .LBB95_168
; %bb.167:
	v_mov_b32_e32 v28, 0
	ds_read_b128 v[28:31], v28 offset:7920
	s_waitcnt lgkmcnt(0)
	v_mul_f64 v[32:33], v[13:14], v[30:31]
	v_mul_f64 v[30:31], v[11:12], v[30:31]
	v_fma_f64 v[11:12], v[11:12], v[28:29], -v[32:33]
	v_fma_f64 v[13:14], v[13:14], v[28:29], v[30:31]
	ds_write_b128 v25, v[11:14]
.LBB95_168:
	s_or_b64 exec, exec, s[12:13]
	s_waitcnt lgkmcnt(0)
	s_barrier
	s_barrier
	s_and_saveexec_b64 s[12:13], s[8:9]
; %bb.169:
	v_xor_b32_e32 v12, 0x80000000, v12
	v_xor_b32_e32 v14, 0x80000000, v14
	ds_write_b128 v23, v[11:14] offset:128
; %bb.170:
	s_or_b64 exec, exec, s[12:13]
	v_cmp_gt_u32_e64 s[12:13], 8, v0
	s_and_b64 s[86:87], s[10:11], s[12:13]
	s_waitcnt lgkmcnt(0)
	s_barrier
	s_barrier
	s_and_saveexec_b64 s[12:13], s[86:87]
	s_cbranch_execz .LBB95_172
; %bb.171:
	v_lshlrev_b32_e32 v28, 9, v0
	ds_read_b128 v[11:14], v28 offset:128
	s_movk_i32 s14, 0xfe10
	v_mad_i32_i24 v29, v0, s14, v28
	s_waitcnt lgkmcnt(0)
	ds_write_b128 v29, v[11:14] offset:4096
	ds_read_b128 v[11:14], v28 offset:144
	s_waitcnt lgkmcnt(0)
	ds_write_b128 v29, v[11:14] offset:4608
	ds_read_b128 v[11:14], v28 offset:160
	;; [unrolled: 3-line block ×7, first 2 shown]
	s_waitcnt lgkmcnt(0)
	ds_write_b128 v29, v[11:14] offset:7680
.LBB95_172:
	s_or_b64 exec, exec, s[12:13]
	s_waitcnt lgkmcnt(0)
	s_barrier
	s_and_saveexec_b64 s[12:13], vcc
	s_cbranch_execz .LBB95_174
; %bb.173:
	v_mov_b32_e32 v38, 0
	ds_read_b128 v[11:14], v38 offset:4752
	ds_read_b128 v[28:31], v38 offset:4224
	;; [unrolled: 1-line block ×3, first 2 shown]
	s_waitcnt lgkmcnt(1)
	v_mul_f64 v[36:37], v[11:12], v[30:31]
	v_mul_f64 v[30:31], v[13:14], v[30:31]
	v_fma_f64 v[13:14], v[13:14], v[28:29], v[36:37]
	v_fma_f64 v[11:12], v[11:12], v[28:29], -v[30:31]
	s_waitcnt lgkmcnt(0)
	v_mul_f64 v[28:29], v[13:14], v[34:35]
	v_mul_f64 v[30:31], v[11:12], v[34:35]
	v_fma_f64 v[11:12], v[32:33], v[11:12], -v[28:29]
	v_fma_f64 v[13:14], v[32:33], v[13:14], v[30:31]
	ds_write_b128 v38, v[11:14] offset:4240
	ds_write_b128 v38, v[11:14] offset:4736
.LBB95_174:
	s_or_b64 exec, exec, s[12:13]
	v_mov_b32_e32 v13, 0
	v_mov_b32_e32 v11, 0
	;; [unrolled: 1-line block ×4, first 2 shown]
	s_waitcnt lgkmcnt(0)
	s_barrier
	s_and_saveexec_b64 s[14:15], s[2:3]
	s_cbranch_execz .LBB95_178
; %bb.175:
	v_mul_u32_u24_e32 v11, 0x210, v17
	ds_read_b128 v[11:14], v11 offset:4224
	ds_read_b128 v[28:31], v15 offset:4256
	v_cmp_gt_u32_e64 s[12:13], 2, v1
	s_waitcnt lgkmcnt(0)
	v_mul_f64 v[32:33], v[13:14], v[30:31]
	v_mul_f64 v[30:31], v[11:12], v[30:31]
	v_fma_f64 v[11:12], v[11:12], v[28:29], -v[32:33]
	v_fma_f64 v[13:14], v[13:14], v[28:29], v[30:31]
	v_add_f64 v[11:12], v[11:12], 0
	v_add_f64 v[13:14], v[13:14], 0
	s_and_saveexec_b64 s[18:19], s[12:13]
	s_cbranch_execz .LBB95_177
; %bb.176:
	v_lshlrev_b32_e32 v32, 4, v0
	v_mov_b32_e32 v28, 0
	ds_read_b128 v[28:31], v28 offset:4240
	ds_read_b128 v[32:35], v32 offset:4768
	s_waitcnt lgkmcnt(0)
	v_mul_f64 v[36:37], v[30:31], v[34:35]
	v_mul_f64 v[34:35], v[28:29], v[34:35]
	v_fma_f64 v[28:29], v[28:29], v[32:33], -v[36:37]
	v_fma_f64 v[30:31], v[30:31], v[32:33], v[34:35]
	v_add_f64 v[11:12], v[11:12], v[28:29]
	v_add_f64 v[13:14], v[13:14], v[30:31]
.LBB95_177:
	s_or_b64 exec, exec, s[18:19]
	v_xor_b32_e32 v12, 0x80000000, v12
	v_xor_b32_e32 v14, 0x80000000, v14
.LBB95_178:
	s_or_b64 exec, exec, s[14:15]
	s_and_saveexec_b64 s[12:13], s[40:41]
	s_cbranch_execz .LBB95_180
; %bb.179:
	v_mov_b32_e32 v28, 0
	ds_read_b128 v[28:31], v28 offset:5280
	s_waitcnt lgkmcnt(0)
	v_mul_f64 v[32:33], v[13:14], v[30:31]
	v_mul_f64 v[30:31], v[11:12], v[30:31]
	v_fma_f64 v[11:12], v[11:12], v[28:29], -v[32:33]
	v_fma_f64 v[13:14], v[13:14], v[28:29], v[30:31]
	ds_write_b128 v16, v[11:14]
.LBB95_180:
	s_or_b64 exec, exec, s[12:13]
	s_waitcnt lgkmcnt(0)
	s_barrier
	s_and_saveexec_b64 s[12:13], s[38:39]
	s_cbranch_execz .LBB95_182
; %bb.181:
	v_mov_b32_e32 v32, 0
	ds_read_b128 v[28:31], v16
	ds_read_b128 v[32:35], v32 offset:5296
	s_waitcnt lgkmcnt(0)
	v_mul_f64 v[36:37], v[30:31], v[34:35]
	v_mul_f64 v[34:35], v[28:29], v[34:35]
	v_fma_f64 v[28:29], v[28:29], v[32:33], -v[36:37]
	v_fma_f64 v[30:31], v[30:31], v[32:33], v[34:35]
	v_add_f64 v[11:12], v[11:12], v[28:29]
	v_add_f64 v[13:14], v[13:14], v[30:31]
.LBB95_182:
	s_or_b64 exec, exec, s[12:13]
	s_barrier
	s_and_saveexec_b64 s[12:13], s[38:39]
	s_cbranch_execz .LBB95_184
; %bb.183:
	v_mov_b32_e32 v28, 0
	ds_read_b128 v[28:31], v28 offset:5808
	s_waitcnt lgkmcnt(0)
	v_mul_f64 v[32:33], v[13:14], v[30:31]
	v_mul_f64 v[30:31], v[11:12], v[30:31]
	v_fma_f64 v[11:12], v[11:12], v[28:29], -v[32:33]
	v_fma_f64 v[13:14], v[13:14], v[28:29], v[30:31]
	ds_write_b128 v16, v[11:14]
.LBB95_184:
	s_or_b64 exec, exec, s[12:13]
	s_waitcnt lgkmcnt(0)
	s_barrier
	s_barrier
	s_and_saveexec_b64 s[12:13], s[2:3]
; %bb.185:
	v_xor_b32_e32 v12, 0x80000000, v12
	v_xor_b32_e32 v14, 0x80000000, v14
	ds_write_b128 v15, v[11:14] offset:4256
; %bb.186:
	s_or_b64 exec, exec, s[12:13]
	s_waitcnt lgkmcnt(0)
	s_barrier
	s_barrier
	s_and_saveexec_b64 s[12:13], s[42:43]
	s_cbranch_execz .LBB95_188
; %bb.187:
	v_lshlrev_b32_e32 v28, 9, v0
	ds_read_b128 v[11:14], v28 offset:4256
	s_movk_i32 s14, 0xfe10
	v_mad_i32_i24 v29, v0, s14, v28
	s_waitcnt lgkmcnt(0)
	ds_write_b128 v29, v[11:14] offset:5248
	ds_read_b128 v[11:14], v28 offset:4272
	s_waitcnt lgkmcnt(0)
	ds_write_b128 v29, v[11:14] offset:5760
.LBB95_188:
	s_or_b64 exec, exec, s[12:13]
	s_waitcnt lgkmcnt(0)
	s_barrier
	s_and_saveexec_b64 s[12:13], vcc
	s_cbranch_execz .LBB95_190
; %bb.189:
	v_mov_b32_e32 v38, 0
	ds_read_b128 v[11:14], v38 offset:5808
	ds_read_b128 v[28:31], v38 offset:5280
	;; [unrolled: 1-line block ×3, first 2 shown]
	s_waitcnt lgkmcnt(1)
	v_mul_f64 v[36:37], v[11:12], v[30:31]
	v_mul_f64 v[30:31], v[13:14], v[30:31]
	v_fma_f64 v[13:14], v[13:14], v[28:29], v[36:37]
	v_fma_f64 v[11:12], v[11:12], v[28:29], -v[30:31]
	s_waitcnt lgkmcnt(0)
	v_mul_f64 v[28:29], v[13:14], v[34:35]
	v_mul_f64 v[30:31], v[11:12], v[34:35]
	v_fma_f64 v[11:12], v[32:33], v[11:12], -v[28:29]
	v_fma_f64 v[13:14], v[32:33], v[13:14], v[30:31]
	ds_write_b128 v38, v[11:14] offset:5296
	ds_write_b128 v38, v[11:14] offset:5792
.LBB95_190:
	s_or_b64 exec, exec, s[12:13]
	v_mov_b32_e32 v13, 0
	v_mov_b32_e32 v11, 0
	;; [unrolled: 1-line block ×4, first 2 shown]
	s_waitcnt lgkmcnt(0)
	s_barrier
	s_and_saveexec_b64 s[14:15], s[16:17]
	s_cbranch_execz .LBB95_196
; %bb.191:
	v_mul_u32_u24_e32 v28, 0x210, v22
	ds_read_b128 v[11:14], v28 offset:4224
	ds_read_b128 v[29:32], v18 offset:4288
	v_cmp_gt_u32_e64 s[12:13], 12, v1
	s_waitcnt lgkmcnt(0)
	v_mul_f64 v[33:34], v[13:14], v[31:32]
	v_mul_f64 v[31:32], v[11:12], v[31:32]
	v_fma_f64 v[11:12], v[11:12], v[29:30], -v[33:34]
	v_fma_f64 v[13:14], v[13:14], v[29:30], v[31:32]
	v_add_f64 v[11:12], v[11:12], 0
	v_add_f64 v[13:14], v[13:14], 0
	s_and_saveexec_b64 s[18:19], s[12:13]
	s_cbranch_execnz .LBB95_558
; %bb.192:
	s_or_b64 exec, exec, s[18:19]
	v_cmp_gt_u32_e64 s[12:13], 8, v1
	s_and_saveexec_b64 s[18:19], s[12:13]
	s_cbranch_execnz .LBB95_559
.LBB95_193:
	s_or_b64 exec, exec, s[18:19]
	v_cmp_gt_u32_e64 s[12:13], 4, v1
	s_and_saveexec_b64 s[18:19], s[12:13]
	s_cbranch_execz .LBB95_195
.LBB95_194:
	v_lshlrev_b32_e32 v32, 4, v0
	v_mov_b32_e32 v28, 0
	ds_read_b128 v[28:31], v28 offset:4272
	ds_read_b128 v[32:35], v32 offset:5824
	s_waitcnt lgkmcnt(0)
	v_mul_f64 v[36:37], v[30:31], v[34:35]
	v_mul_f64 v[34:35], v[28:29], v[34:35]
	v_fma_f64 v[28:29], v[28:29], v[32:33], -v[36:37]
	v_fma_f64 v[30:31], v[30:31], v[32:33], v[34:35]
	v_add_f64 v[11:12], v[11:12], v[28:29]
	v_add_f64 v[13:14], v[13:14], v[30:31]
.LBB95_195:
	s_or_b64 exec, exec, s[18:19]
	v_xor_b32_e32 v12, 0x80000000, v12
	v_xor_b32_e32 v14, 0x80000000, v14
.LBB95_196:
	s_or_b64 exec, exec, s[14:15]
	s_and_saveexec_b64 s[12:13], s[46:47]
	s_cbranch_execz .LBB95_198
; %bb.197:
	v_mov_b32_e32 v28, 0
	ds_read_b128 v[28:31], v28 offset:6336
	s_waitcnt lgkmcnt(0)
	v_mul_f64 v[32:33], v[13:14], v[30:31]
	v_mul_f64 v[30:31], v[11:12], v[30:31]
	v_fma_f64 v[11:12], v[11:12], v[28:29], -v[32:33]
	v_fma_f64 v[13:14], v[13:14], v[28:29], v[30:31]
	ds_write_b128 v20, v[11:14]
.LBB95_198:
	s_or_b64 exec, exec, s[12:13]
	s_waitcnt lgkmcnt(0)
	s_barrier
	s_and_saveexec_b64 s[12:13], s[48:49]
	s_cbranch_execz .LBB95_200
; %bb.199:
	ds_read_b128 v[28:31], v20
	ds_read_b128 v[32:35], v19 offset:6336
	s_waitcnt lgkmcnt(0)
	v_mul_f64 v[36:37], v[30:31], v[34:35]
	v_mul_f64 v[34:35], v[28:29], v[34:35]
	v_fma_f64 v[28:29], v[28:29], v[32:33], -v[36:37]
	v_fma_f64 v[30:31], v[30:31], v[32:33], v[34:35]
	v_add_f64 v[11:12], v[11:12], v[28:29]
	v_add_f64 v[13:14], v[13:14], v[30:31]
.LBB95_200:
	s_or_b64 exec, exec, s[12:13]
	s_barrier
	s_and_saveexec_b64 s[12:13], s[50:51]
	s_cbranch_execz .LBB95_202
; %bb.201:
	v_mov_b32_e32 v28, 0
	ds_read_b128 v[28:31], v28 offset:6864
	s_waitcnt lgkmcnt(0)
	v_mul_f64 v[32:33], v[13:14], v[30:31]
	v_mul_f64 v[30:31], v[11:12], v[30:31]
	v_fma_f64 v[11:12], v[11:12], v[28:29], -v[32:33]
	v_fma_f64 v[13:14], v[13:14], v[28:29], v[30:31]
	ds_write_b128 v20, v[11:14]
.LBB95_202:
	s_or_b64 exec, exec, s[12:13]
	s_waitcnt lgkmcnt(0)
	s_barrier
	s_and_saveexec_b64 s[12:13], s[52:53]
	s_cbranch_execz .LBB95_204
; %bb.203:
	ds_read_b128 v[28:31], v20
	ds_read_b128 v[32:35], v19 offset:6848
	s_waitcnt lgkmcnt(0)
	v_mul_f64 v[36:37], v[30:31], v[34:35]
	v_mul_f64 v[34:35], v[28:29], v[34:35]
	v_fma_f64 v[28:29], v[28:29], v[32:33], -v[36:37]
	v_fma_f64 v[30:31], v[30:31], v[32:33], v[34:35]
	v_add_f64 v[11:12], v[11:12], v[28:29]
	v_add_f64 v[13:14], v[13:14], v[30:31]
.LBB95_204:
	s_or_b64 exec, exec, s[12:13]
	s_barrier
	s_and_saveexec_b64 s[12:13], s[54:55]
	s_cbranch_execz .LBB95_206
; %bb.205:
	v_mov_b32_e32 v28, 0
	ds_read_b128 v[28:31], v28 offset:7392
	s_waitcnt lgkmcnt(0)
	v_mul_f64 v[32:33], v[13:14], v[30:31]
	v_mul_f64 v[30:31], v[11:12], v[30:31]
	v_fma_f64 v[11:12], v[11:12], v[28:29], -v[32:33]
	v_fma_f64 v[13:14], v[13:14], v[28:29], v[30:31]
	ds_write_b128 v20, v[11:14]
.LBB95_206:
	s_or_b64 exec, exec, s[12:13]
	s_waitcnt lgkmcnt(0)
	s_barrier
	s_and_saveexec_b64 s[12:13], s[44:45]
	s_cbranch_execz .LBB95_208
; %bb.207:
	v_mov_b32_e32 v32, 0
	ds_read_b128 v[28:31], v20
	ds_read_b128 v[32:35], v32 offset:7408
	s_waitcnt lgkmcnt(0)
	v_mul_f64 v[36:37], v[30:31], v[34:35]
	v_mul_f64 v[34:35], v[28:29], v[34:35]
	v_fma_f64 v[28:29], v[28:29], v[32:33], -v[36:37]
	v_fma_f64 v[30:31], v[30:31], v[32:33], v[34:35]
	v_add_f64 v[11:12], v[11:12], v[28:29]
	v_add_f64 v[13:14], v[13:14], v[30:31]
.LBB95_208:
	s_or_b64 exec, exec, s[12:13]
	s_barrier
	s_and_saveexec_b64 s[12:13], s[44:45]
	s_cbranch_execz .LBB95_210
; %bb.209:
	v_mov_b32_e32 v28, 0
	ds_read_b128 v[28:31], v28 offset:7920
	s_waitcnt lgkmcnt(0)
	v_mul_f64 v[32:33], v[13:14], v[30:31]
	v_mul_f64 v[30:31], v[11:12], v[30:31]
	v_fma_f64 v[11:12], v[11:12], v[28:29], -v[32:33]
	v_fma_f64 v[13:14], v[13:14], v[28:29], v[30:31]
	ds_write_b128 v20, v[11:14]
.LBB95_210:
	s_or_b64 exec, exec, s[12:13]
	s_waitcnt lgkmcnt(0)
	s_barrier
	s_barrier
	s_and_saveexec_b64 s[12:13], s[16:17]
; %bb.211:
	v_xor_b32_e32 v14, 0x80000000, v14
	v_xor_b32_e32 v12, 0x80000000, v12
	ds_write_b128 v18, v[11:14] offset:4288
; %bb.212:
	s_or_b64 exec, exec, s[12:13]
	s_waitcnt lgkmcnt(0)
	s_barrier
	s_barrier
	s_and_saveexec_b64 s[12:13], s[56:57]
	s_cbranch_execz .LBB95_214
; %bb.213:
	v_lshlrev_b32_e32 v28, 4, v0
	s_movk_i32 s14, 0x1f0
	v_mad_u32_u24 v29, v0, s14, v28
	ds_read_b128 v[11:14], v29 offset:4288
	s_waitcnt lgkmcnt(0)
	ds_write_b128 v28, v[11:14] offset:6272
	ds_read_b128 v[11:14], v29 offset:4304
	s_waitcnt lgkmcnt(0)
	ds_write_b128 v28, v[11:14] offset:6784
	;; [unrolled: 3-line block ×4, first 2 shown]
.LBB95_214:
	s_or_b64 exec, exec, s[12:13]
	s_waitcnt lgkmcnt(0)
	s_barrier
	s_and_saveexec_b64 s[12:13], vcc
	s_cbranch_execz .LBB95_216
; %bb.215:
	v_mov_b32_e32 v38, 0
	ds_read_b128 v[11:14], v38 offset:6864
	ds_read_b128 v[28:31], v38 offset:6336
	;; [unrolled: 1-line block ×3, first 2 shown]
	s_waitcnt lgkmcnt(1)
	v_mul_f64 v[36:37], v[11:12], v[30:31]
	v_mul_f64 v[30:31], v[13:14], v[30:31]
	v_fma_f64 v[13:14], v[13:14], v[28:29], v[36:37]
	v_fma_f64 v[11:12], v[11:12], v[28:29], -v[30:31]
	s_waitcnt lgkmcnt(0)
	v_mul_f64 v[28:29], v[13:14], v[34:35]
	v_mul_f64 v[30:31], v[11:12], v[34:35]
	v_fma_f64 v[11:12], v[32:33], v[11:12], -v[28:29]
	v_fma_f64 v[13:14], v[32:33], v[13:14], v[30:31]
	ds_write_b128 v38, v[11:14] offset:6352
	ds_write_b128 v38, v[11:14] offset:6848
.LBB95_216:
	s_or_b64 exec, exec, s[12:13]
	v_mov_b32_e32 v13, 0
	v_mov_b32_e32 v11, 0
	;; [unrolled: 1-line block ×4, first 2 shown]
	s_waitcnt lgkmcnt(0)
	s_barrier
	s_and_saveexec_b64 s[14:15], s[2:3]
	s_cbranch_execz .LBB95_220
; %bb.217:
	v_mul_u32_u24_e32 v11, 0x210, v17
	ds_read_b128 v[11:14], v11 offset:6336
	ds_read_b128 v[28:31], v15 offset:6368
	v_cmp_gt_u32_e64 s[12:13], 2, v1
	s_waitcnt lgkmcnt(0)
	v_mul_f64 v[32:33], v[13:14], v[30:31]
	v_mul_f64 v[30:31], v[11:12], v[30:31]
	v_fma_f64 v[11:12], v[11:12], v[28:29], -v[32:33]
	v_fma_f64 v[13:14], v[13:14], v[28:29], v[30:31]
	v_add_f64 v[11:12], v[11:12], 0
	v_add_f64 v[13:14], v[13:14], 0
	s_and_saveexec_b64 s[18:19], s[12:13]
	s_cbranch_execz .LBB95_219
; %bb.218:
	v_lshlrev_b32_e32 v32, 4, v0
	v_mov_b32_e32 v28, 0
	ds_read_b128 v[28:31], v28 offset:6352
	ds_read_b128 v[32:35], v32 offset:6880
	s_waitcnt lgkmcnt(0)
	v_mul_f64 v[36:37], v[30:31], v[34:35]
	v_mul_f64 v[34:35], v[28:29], v[34:35]
	v_fma_f64 v[28:29], v[28:29], v[32:33], -v[36:37]
	v_fma_f64 v[30:31], v[30:31], v[32:33], v[34:35]
	v_add_f64 v[11:12], v[11:12], v[28:29]
	v_add_f64 v[13:14], v[13:14], v[30:31]
.LBB95_219:
	s_or_b64 exec, exec, s[18:19]
	v_xor_b32_e32 v12, 0x80000000, v12
	v_xor_b32_e32 v14, 0x80000000, v14
.LBB95_220:
	s_or_b64 exec, exec, s[14:15]
	s_and_saveexec_b64 s[12:13], s[40:41]
	s_cbranch_execz .LBB95_222
; %bb.221:
	v_mov_b32_e32 v28, 0
	ds_read_b128 v[28:31], v28 offset:7392
	s_waitcnt lgkmcnt(0)
	v_mul_f64 v[32:33], v[13:14], v[30:31]
	v_mul_f64 v[30:31], v[11:12], v[30:31]
	v_fma_f64 v[11:12], v[11:12], v[28:29], -v[32:33]
	v_fma_f64 v[13:14], v[13:14], v[28:29], v[30:31]
	ds_write_b128 v16, v[11:14]
.LBB95_222:
	s_or_b64 exec, exec, s[12:13]
	s_waitcnt lgkmcnt(0)
	s_barrier
	s_and_saveexec_b64 s[12:13], s[38:39]
	s_cbranch_execz .LBB95_224
; %bb.223:
	v_mov_b32_e32 v32, 0
	ds_read_b128 v[28:31], v16
	ds_read_b128 v[32:35], v32 offset:7408
	s_waitcnt lgkmcnt(0)
	v_mul_f64 v[36:37], v[30:31], v[34:35]
	v_mul_f64 v[34:35], v[28:29], v[34:35]
	v_fma_f64 v[28:29], v[28:29], v[32:33], -v[36:37]
	v_fma_f64 v[30:31], v[30:31], v[32:33], v[34:35]
	v_add_f64 v[11:12], v[11:12], v[28:29]
	v_add_f64 v[13:14], v[13:14], v[30:31]
.LBB95_224:
	s_or_b64 exec, exec, s[12:13]
	s_barrier
	s_and_saveexec_b64 s[12:13], s[38:39]
	s_cbranch_execz .LBB95_226
; %bb.225:
	v_mov_b32_e32 v28, 0
	ds_read_b128 v[28:31], v28 offset:7920
	s_waitcnt lgkmcnt(0)
	v_mul_f64 v[32:33], v[13:14], v[30:31]
	v_mul_f64 v[30:31], v[11:12], v[30:31]
	v_fma_f64 v[11:12], v[11:12], v[28:29], -v[32:33]
	v_fma_f64 v[13:14], v[13:14], v[28:29], v[30:31]
	ds_write_b128 v16, v[11:14]
.LBB95_226:
	s_or_b64 exec, exec, s[12:13]
	s_waitcnt lgkmcnt(0)
	s_barrier
	s_barrier
	s_and_saveexec_b64 s[12:13], s[2:3]
; %bb.227:
	v_xor_b32_e32 v12, 0x80000000, v12
	v_xor_b32_e32 v14, 0x80000000, v14
	ds_write_b128 v15, v[11:14] offset:6368
; %bb.228:
	s_or_b64 exec, exec, s[12:13]
	s_waitcnt lgkmcnt(0)
	s_barrier
	s_barrier
	s_and_saveexec_b64 s[12:13], s[42:43]
	s_cbranch_execz .LBB95_230
; %bb.229:
	v_lshlrev_b32_e32 v28, 9, v0
	ds_read_b128 v[11:14], v28 offset:6368
	s_movk_i32 s14, 0xfe10
	v_mad_i32_i24 v29, v0, s14, v28
	s_waitcnt lgkmcnt(0)
	ds_write_b128 v29, v[11:14] offset:7360
	ds_read_b128 v[11:14], v28 offset:6384
	s_waitcnt lgkmcnt(0)
	ds_write_b128 v29, v[11:14] offset:7872
.LBB95_230:
	s_or_b64 exec, exec, s[12:13]
	s_waitcnt lgkmcnt(0)
	s_barrier
	s_and_saveexec_b64 s[12:13], vcc
	s_cbranch_execz .LBB95_232
; %bb.231:
	v_mov_b32_e32 v38, 0
	ds_read_b128 v[11:14], v38 offset:7920
	ds_read_b128 v[28:31], v38 offset:7392
	;; [unrolled: 1-line block ×3, first 2 shown]
	s_waitcnt lgkmcnt(1)
	v_mul_f64 v[36:37], v[11:12], v[30:31]
	v_mul_f64 v[30:31], v[13:14], v[30:31]
	v_fma_f64 v[13:14], v[13:14], v[28:29], v[36:37]
	v_fma_f64 v[11:12], v[11:12], v[28:29], -v[30:31]
	s_waitcnt lgkmcnt(0)
	v_mul_f64 v[28:29], v[13:14], v[34:35]
	v_mul_f64 v[30:31], v[11:12], v[34:35]
	v_fma_f64 v[11:12], v[32:33], v[11:12], -v[28:29]
	v_fma_f64 v[13:14], v[32:33], v[13:14], v[30:31]
	ds_write_b128 v38, v[11:14] offset:7408
	ds_write_b128 v38, v[11:14] offset:7904
.LBB95_232:
	s_or_b64 exec, exec, s[12:13]
	v_and_b32_e32 v29, 15, v0
	s_movk_i32 s12, 0xff
	v_lshrrev_b32_e32 v31, 4, v1
	v_cmp_lt_u32_e64 s[14:15], s12, v1
	s_movk_i32 s12, 0x100
	v_lshlrev_b32_e32 v30, 4, v29
	v_mov_b32_e32 v13, 0
	v_mov_b32_e32 v11, 0
	v_cmp_gt_u32_e64 s[12:13], s12, v1
	v_mov_b32_e32 v14, 0
	v_mov_b32_e32 v12, 0
	v_lshl_or_b32 v28, v31, 9, v30
	s_waitcnt lgkmcnt(0)
	s_barrier
	s_and_saveexec_b64 s[88:89], s[12:13]
	s_cbranch_execz .LBB95_260
; %bb.233:
	v_mul_u32_u24_e32 v32, 0x210, v31
	ds_read_b128 v[11:14], v32
	ds_read_b128 v[33:36], v28 offset:256
	s_movk_i32 s18, 0xf0
	v_cmp_gt_u32_e64 s[18:19], s18, v1
	s_waitcnt lgkmcnt(0)
	v_mul_f64 v[37:38], v[13:14], v[35:36]
	v_mul_f64 v[35:36], v[11:12], v[35:36]
	v_fma_f64 v[11:12], v[11:12], v[33:34], -v[37:38]
	v_fma_f64 v[13:14], v[13:14], v[33:34], v[35:36]
	v_add_f64 v[11:12], v[11:12], 0
	v_add_f64 v[13:14], v[13:14], 0
	s_and_saveexec_b64 s[90:91], s[18:19]
	s_cbranch_execz .LBB95_235
; %bb.234:
	ds_read_b128 v[33:36], v32 offset:16
	ds_read_b128 v[37:40], v28 offset:768
	s_waitcnt lgkmcnt(0)
	v_mul_f64 v[41:42], v[35:36], v[39:40]
	v_mul_f64 v[39:40], v[33:34], v[39:40]
	v_fma_f64 v[33:34], v[33:34], v[37:38], -v[41:42]
	v_fma_f64 v[35:36], v[35:36], v[37:38], v[39:40]
	v_add_f64 v[11:12], v[11:12], v[33:34]
	v_add_f64 v[13:14], v[13:14], v[35:36]
.LBB95_235:
	s_or_b64 exec, exec, s[90:91]
	s_movk_i32 s18, 0xe0
	v_cmp_gt_u32_e64 s[18:19], s18, v1
	s_and_saveexec_b64 s[90:91], s[18:19]
	s_cbranch_execz .LBB95_237
; %bb.236:
	ds_read_b128 v[33:36], v32 offset:32
	ds_read_b128 v[37:40], v28 offset:1280
	s_waitcnt lgkmcnt(0)
	v_mul_f64 v[41:42], v[35:36], v[39:40]
	v_mul_f64 v[39:40], v[33:34], v[39:40]
	v_fma_f64 v[33:34], v[33:34], v[37:38], -v[41:42]
	v_fma_f64 v[35:36], v[35:36], v[37:38], v[39:40]
	v_add_f64 v[11:12], v[11:12], v[33:34]
	v_add_f64 v[13:14], v[13:14], v[35:36]
.LBB95_237:
	s_or_b64 exec, exec, s[90:91]
	s_movk_i32 s18, 0xd0
	v_cmp_gt_u32_e64 s[18:19], s18, v1
	;; [unrolled: 16-line block ×10, first 2 shown]
	s_and_saveexec_b64 s[90:91], s[18:19]
	s_cbranch_execnz .LBB95_560
; %bb.254:
	s_or_b64 exec, exec, s[90:91]
	v_cmp_gt_u32_e64 s[18:19], 64, v1
	s_and_saveexec_b64 s[90:91], s[18:19]
	s_cbranch_execnz .LBB95_561
.LBB95_255:
	s_or_b64 exec, exec, s[90:91]
	v_cmp_gt_u32_e64 s[18:19], 48, v1
	s_and_saveexec_b64 s[90:91], s[18:19]
	s_cbranch_execnz .LBB95_562
.LBB95_256:
	s_or_b64 exec, exec, s[90:91]
	v_cmp_gt_u32_e64 s[18:19], 32, v1
	s_and_saveexec_b64 s[90:91], s[18:19]
	s_cbranch_execnz .LBB95_563
.LBB95_257:
	s_or_b64 exec, exec, s[90:91]
	v_cmp_gt_u32_e64 s[18:19], 16, v1
	s_and_saveexec_b64 s[90:91], s[18:19]
	s_cbranch_execz .LBB95_259
.LBB95_258:
	v_lshlrev_b32_e32 v36, 4, v0
	v_mov_b32_e32 v32, 0
	ds_read_b128 v[32:35], v32 offset:240
	ds_read_b128 v[36:39], v36 offset:7936
	s_waitcnt lgkmcnt(0)
	v_mul_f64 v[40:41], v[34:35], v[38:39]
	v_mul_f64 v[38:39], v[32:33], v[38:39]
	v_fma_f64 v[32:33], v[32:33], v[36:37], -v[40:41]
	v_fma_f64 v[34:35], v[34:35], v[36:37], v[38:39]
	v_add_f64 v[11:12], v[11:12], v[32:33]
	v_add_f64 v[13:14], v[13:14], v[34:35]
.LBB95_259:
	s_or_b64 exec, exec, s[90:91]
	v_xor_b32_e32 v12, 0x80000000, v12
	v_xor_b32_e32 v14, 0x80000000, v14
.LBB95_260:
	s_or_b64 exec, exec, s[88:89]
	v_mov_b32_e32 v32, 0x4000
	v_cmp_eq_u32_e64 s[18:19], 0, v29
	s_xor_b64 s[88:89], s[14:15], -1
	v_lshl_add_u32 v31, v31, 4, v32
	s_and_b64 s[18:19], s[18:19], s[88:89]
	s_and_saveexec_b64 s[14:15], s[18:19]
	s_cbranch_execz .LBB95_262
; %bb.261:
	v_mov_b32_e32 v32, 0
	ds_read_b128 v[32:35], v32 offset:8448
	s_waitcnt lgkmcnt(0)
	v_mul_f64 v[36:37], v[13:14], v[34:35]
	v_mul_f64 v[34:35], v[11:12], v[34:35]
	v_fma_f64 v[11:12], v[11:12], v[32:33], -v[36:37]
	v_fma_f64 v[13:14], v[13:14], v[32:33], v[34:35]
	ds_write_b128 v31, v[11:14]
.LBB95_262:
	s_or_b64 exec, exec, s[14:15]
	v_cmp_ne_u32_e64 s[14:15], 0, v29
	s_and_b64 s[18:19], s[14:15], s[88:89]
	s_waitcnt lgkmcnt(0)
	s_barrier
	s_and_saveexec_b64 s[14:15], s[18:19]
	s_cbranch_execz .LBB95_264
; %bb.263:
	ds_read_b128 v[32:35], v31
	ds_read_b128 v[36:39], v30 offset:8448
	s_waitcnt lgkmcnt(0)
	v_mul_f64 v[40:41], v[34:35], v[38:39]
	v_mul_f64 v[38:39], v[32:33], v[38:39]
	v_fma_f64 v[32:33], v[32:33], v[36:37], -v[40:41]
	v_fma_f64 v[34:35], v[34:35], v[36:37], v[38:39]
	v_add_f64 v[11:12], v[11:12], v[32:33]
	v_add_f64 v[13:14], v[13:14], v[34:35]
.LBB95_264:
	s_or_b64 exec, exec, s[14:15]
	v_cmp_eq_u32_e64 s[14:15], 1, v29
	s_and_b64 s[18:19], s[14:15], s[88:89]
	s_barrier
	s_and_saveexec_b64 s[14:15], s[18:19]
	s_cbranch_execz .LBB95_266
; %bb.265:
	v_mov_b32_e32 v32, 0
	ds_read_b128 v[32:35], v32 offset:8976
	s_waitcnt lgkmcnt(0)
	v_mul_f64 v[36:37], v[13:14], v[34:35]
	v_mul_f64 v[34:35], v[11:12], v[34:35]
	v_fma_f64 v[11:12], v[11:12], v[32:33], -v[36:37]
	v_fma_f64 v[13:14], v[13:14], v[32:33], v[34:35]
	ds_write_b128 v31, v[11:14]
.LBB95_266:
	s_or_b64 exec, exec, s[14:15]
	v_cmp_lt_u32_e64 s[14:15], 1, v29
	s_and_b64 s[18:19], s[14:15], s[88:89]
	s_waitcnt lgkmcnt(0)
	s_barrier
	s_and_saveexec_b64 s[14:15], s[18:19]
	s_cbranch_execz .LBB95_268
; %bb.267:
	ds_read_b128 v[32:35], v31
	ds_read_b128 v[36:39], v30 offset:8960
	s_waitcnt lgkmcnt(0)
	v_mul_f64 v[40:41], v[34:35], v[38:39]
	v_mul_f64 v[38:39], v[32:33], v[38:39]
	v_fma_f64 v[32:33], v[32:33], v[36:37], -v[40:41]
	v_fma_f64 v[34:35], v[34:35], v[36:37], v[38:39]
	v_add_f64 v[11:12], v[11:12], v[32:33]
	v_add_f64 v[13:14], v[13:14], v[34:35]
.LBB95_268:
	s_or_b64 exec, exec, s[14:15]
	v_cmp_eq_u32_e64 s[14:15], 2, v29
	s_and_b64 s[18:19], s[14:15], s[88:89]
	s_barrier
	s_and_saveexec_b64 s[14:15], s[18:19]
	s_cbranch_execz .LBB95_270
; %bb.269:
	v_mov_b32_e32 v32, 0
	ds_read_b128 v[32:35], v32 offset:9504
	s_waitcnt lgkmcnt(0)
	v_mul_f64 v[36:37], v[13:14], v[34:35]
	v_mul_f64 v[34:35], v[11:12], v[34:35]
	v_fma_f64 v[11:12], v[11:12], v[32:33], -v[36:37]
	v_fma_f64 v[13:14], v[13:14], v[32:33], v[34:35]
	ds_write_b128 v31, v[11:14]
.LBB95_270:
	s_or_b64 exec, exec, s[14:15]
	v_cmp_lt_u32_e64 s[14:15], 2, v29
	;; [unrolled: 34-line block ×13, first 2 shown]
	s_and_b64 s[18:19], s[14:15], s[88:89]
	s_waitcnt lgkmcnt(0)
	s_barrier
	s_and_saveexec_b64 s[14:15], s[18:19]
	s_cbranch_execz .LBB95_316
; %bb.315:
	ds_read_b128 v[32:35], v31
	ds_read_b128 v[36:39], v30 offset:15104
	s_waitcnt lgkmcnt(0)
	v_mul_f64 v[40:41], v[34:35], v[38:39]
	v_mul_f64 v[38:39], v[32:33], v[38:39]
	v_fma_f64 v[32:33], v[32:33], v[36:37], -v[40:41]
	v_fma_f64 v[34:35], v[34:35], v[36:37], v[38:39]
	v_add_f64 v[11:12], v[11:12], v[32:33]
	v_add_f64 v[13:14], v[13:14], v[34:35]
.LBB95_316:
	s_or_b64 exec, exec, s[14:15]
	v_cmp_eq_u32_e64 s[14:15], 14, v29
	s_and_b64 s[18:19], s[14:15], s[88:89]
	s_barrier
	s_and_saveexec_b64 s[14:15], s[18:19]
	s_cbranch_execz .LBB95_318
; %bb.317:
	v_mov_b32_e32 v30, 0
	ds_read_b128 v[32:35], v30 offset:15840
	s_waitcnt lgkmcnt(0)
	v_mul_f64 v[36:37], v[13:14], v[34:35]
	v_mul_f64 v[34:35], v[11:12], v[34:35]
	v_fma_f64 v[11:12], v[11:12], v[32:33], -v[36:37]
	v_fma_f64 v[13:14], v[13:14], v[32:33], v[34:35]
	ds_write_b128 v31, v[11:14]
.LBB95_318:
	s_or_b64 exec, exec, s[14:15]
	v_cmp_eq_u32_e64 s[14:15], 15, v29
	s_and_b64 s[14:15], s[14:15], s[88:89]
	s_waitcnt lgkmcnt(0)
	s_barrier
	s_and_saveexec_b64 s[18:19], s[14:15]
	s_cbranch_execz .LBB95_320
; %bb.319:
	v_mov_b32_e32 v29, 0
	ds_read_b128 v[32:35], v31
	ds_read_b128 v[36:39], v29 offset:15856
	s_waitcnt lgkmcnt(0)
	v_mul_f64 v[29:30], v[34:35], v[38:39]
	v_mul_f64 v[38:39], v[32:33], v[38:39]
	v_fma_f64 v[29:30], v[32:33], v[36:37], -v[29:30]
	v_fma_f64 v[32:33], v[34:35], v[36:37], v[38:39]
	v_add_f64 v[11:12], v[11:12], v[29:30]
	v_add_f64 v[13:14], v[13:14], v[32:33]
.LBB95_320:
	s_or_b64 exec, exec, s[18:19]
	s_barrier
	s_and_saveexec_b64 s[18:19], s[14:15]
	s_cbranch_execz .LBB95_322
; %bb.321:
	v_mov_b32_e32 v29, 0
	ds_read_b128 v[32:35], v29 offset:16368
	s_waitcnt lgkmcnt(0)
	v_mul_f64 v[29:30], v[13:14], v[34:35]
	v_mul_f64 v[34:35], v[11:12], v[34:35]
	v_fma_f64 v[11:12], v[11:12], v[32:33], -v[29:30]
	v_fma_f64 v[13:14], v[13:14], v[32:33], v[34:35]
	ds_write_b128 v31, v[11:14]
.LBB95_322:
	s_or_b64 exec, exec, s[18:19]
	s_waitcnt lgkmcnt(0)
	s_barrier
	s_barrier
	s_and_saveexec_b64 s[14:15], s[12:13]
; %bb.323:
	v_xor_b32_e32 v14, 0x80000000, v14
	v_xor_b32_e32 v12, 0x80000000, v12
	ds_write_b128 v28, v[11:14] offset:256
; %bb.324:
	s_or_b64 exec, exec, s[14:15]
	v_cmp_gt_u32_e64 s[12:13], 16, v0
	s_and_b64 s[12:13], s[10:11], s[12:13]
	s_waitcnt lgkmcnt(0)
	s_barrier
	s_barrier
	s_and_saveexec_b64 s[10:11], s[12:13]
	s_cbranch_execz .LBB95_326
; %bb.325:
	v_lshlrev_b32_e32 v28, 9, v0
	ds_read_b128 v[11:14], v28 offset:256
	s_movk_i32 s12, 0xfe10
	v_mad_i32_i24 v29, v0, s12, v28
	s_waitcnt lgkmcnt(0)
	ds_write_b128 v29, v[11:14] offset:8192
	ds_read_b128 v[11:14], v28 offset:272
	s_waitcnt lgkmcnt(0)
	ds_write_b128 v29, v[11:14] offset:8704
	ds_read_b128 v[11:14], v28 offset:288
	;; [unrolled: 3-line block ×15, first 2 shown]
	s_waitcnt lgkmcnt(0)
	ds_write_b128 v29, v[11:14] offset:15872
.LBB95_326:
	s_or_b64 exec, exec, s[10:11]
	s_waitcnt lgkmcnt(0)
	s_barrier
	s_and_saveexec_b64 s[10:11], vcc
	s_cbranch_execz .LBB95_328
; %bb.327:
	v_mov_b32_e32 v38, 0
	ds_read_b128 v[11:14], v38 offset:8976
	ds_read_b128 v[28:31], v38 offset:8448
	;; [unrolled: 1-line block ×3, first 2 shown]
	s_waitcnt lgkmcnt(1)
	v_mul_f64 v[36:37], v[11:12], v[30:31]
	v_mul_f64 v[30:31], v[13:14], v[30:31]
	v_fma_f64 v[13:14], v[13:14], v[28:29], v[36:37]
	v_fma_f64 v[11:12], v[11:12], v[28:29], -v[30:31]
	s_waitcnt lgkmcnt(0)
	v_mul_f64 v[28:29], v[13:14], v[34:35]
	v_mul_f64 v[30:31], v[11:12], v[34:35]
	v_fma_f64 v[11:12], v[32:33], v[11:12], -v[28:29]
	v_fma_f64 v[13:14], v[32:33], v[13:14], v[30:31]
	ds_write_b128 v38, v[11:14] offset:8464
	ds_write_b128 v38, v[11:14] offset:8960
.LBB95_328:
	s_or_b64 exec, exec, s[10:11]
	v_mov_b32_e32 v13, 0
	v_mov_b32_e32 v11, 0
	;; [unrolled: 1-line block ×4, first 2 shown]
	s_waitcnt lgkmcnt(0)
	s_barrier
	s_and_saveexec_b64 s[12:13], s[2:3]
	s_cbranch_execz .LBB95_332
; %bb.329:
	v_mul_u32_u24_e32 v11, 0x210, v17
	ds_read_b128 v[11:14], v11 offset:8448
	ds_read_b128 v[28:31], v15 offset:8480
	v_cmp_gt_u32_e64 s[10:11], 2, v1
	s_waitcnt lgkmcnt(0)
	v_mul_f64 v[32:33], v[13:14], v[30:31]
	v_mul_f64 v[30:31], v[11:12], v[30:31]
	v_fma_f64 v[11:12], v[11:12], v[28:29], -v[32:33]
	v_fma_f64 v[13:14], v[13:14], v[28:29], v[30:31]
	v_add_f64 v[11:12], v[11:12], 0
	v_add_f64 v[13:14], v[13:14], 0
	s_and_saveexec_b64 s[14:15], s[10:11]
	s_cbranch_execz .LBB95_331
; %bb.330:
	v_lshlrev_b32_e32 v32, 4, v0
	v_mov_b32_e32 v28, 0
	ds_read_b128 v[28:31], v28 offset:8464
	ds_read_b128 v[32:35], v32 offset:8992
	s_waitcnt lgkmcnt(0)
	v_mul_f64 v[36:37], v[30:31], v[34:35]
	v_mul_f64 v[34:35], v[28:29], v[34:35]
	v_fma_f64 v[28:29], v[28:29], v[32:33], -v[36:37]
	v_fma_f64 v[30:31], v[30:31], v[32:33], v[34:35]
	v_add_f64 v[11:12], v[11:12], v[28:29]
	v_add_f64 v[13:14], v[13:14], v[30:31]
.LBB95_331:
	s_or_b64 exec, exec, s[14:15]
	v_xor_b32_e32 v12, 0x80000000, v12
	v_xor_b32_e32 v14, 0x80000000, v14
.LBB95_332:
	s_or_b64 exec, exec, s[12:13]
	s_and_saveexec_b64 s[10:11], s[40:41]
	s_cbranch_execz .LBB95_334
; %bb.333:
	v_mov_b32_e32 v28, 0
	ds_read_b128 v[28:31], v28 offset:9504
	s_waitcnt lgkmcnt(0)
	v_mul_f64 v[32:33], v[13:14], v[30:31]
	v_mul_f64 v[30:31], v[11:12], v[30:31]
	v_fma_f64 v[11:12], v[11:12], v[28:29], -v[32:33]
	v_fma_f64 v[13:14], v[13:14], v[28:29], v[30:31]
	ds_write_b128 v16, v[11:14]
.LBB95_334:
	s_or_b64 exec, exec, s[10:11]
	s_waitcnt lgkmcnt(0)
	s_barrier
	s_and_saveexec_b64 s[10:11], s[38:39]
	s_cbranch_execz .LBB95_336
; %bb.335:
	v_mov_b32_e32 v32, 0
	ds_read_b128 v[28:31], v16
	ds_read_b128 v[32:35], v32 offset:9520
	s_waitcnt lgkmcnt(0)
	v_mul_f64 v[36:37], v[30:31], v[34:35]
	v_mul_f64 v[34:35], v[28:29], v[34:35]
	v_fma_f64 v[28:29], v[28:29], v[32:33], -v[36:37]
	v_fma_f64 v[30:31], v[30:31], v[32:33], v[34:35]
	v_add_f64 v[11:12], v[11:12], v[28:29]
	v_add_f64 v[13:14], v[13:14], v[30:31]
.LBB95_336:
	s_or_b64 exec, exec, s[10:11]
	s_barrier
	s_and_saveexec_b64 s[10:11], s[38:39]
	s_cbranch_execz .LBB95_338
; %bb.337:
	v_mov_b32_e32 v28, 0
	ds_read_b128 v[28:31], v28 offset:10032
	s_waitcnt lgkmcnt(0)
	v_mul_f64 v[32:33], v[13:14], v[30:31]
	v_mul_f64 v[30:31], v[11:12], v[30:31]
	v_fma_f64 v[11:12], v[11:12], v[28:29], -v[32:33]
	v_fma_f64 v[13:14], v[13:14], v[28:29], v[30:31]
	ds_write_b128 v16, v[11:14]
.LBB95_338:
	s_or_b64 exec, exec, s[10:11]
	s_waitcnt lgkmcnt(0)
	s_barrier
	s_barrier
	s_and_saveexec_b64 s[10:11], s[2:3]
; %bb.339:
	v_xor_b32_e32 v12, 0x80000000, v12
	v_xor_b32_e32 v14, 0x80000000, v14
	ds_write_b128 v15, v[11:14] offset:8480
; %bb.340:
	s_or_b64 exec, exec, s[10:11]
	s_waitcnt lgkmcnt(0)
	s_barrier
	s_barrier
	s_and_saveexec_b64 s[10:11], s[42:43]
	s_cbranch_execz .LBB95_342
; %bb.341:
	v_lshlrev_b32_e32 v28, 9, v0
	ds_read_b128 v[11:14], v28 offset:8480
	s_movk_i32 s12, 0xfe10
	v_mad_i32_i24 v29, v0, s12, v28
	s_waitcnt lgkmcnt(0)
	ds_write_b128 v29, v[11:14] offset:9472
	ds_read_b128 v[11:14], v28 offset:8496
	s_waitcnt lgkmcnt(0)
	ds_write_b128 v29, v[11:14] offset:9984
.LBB95_342:
	s_or_b64 exec, exec, s[10:11]
	s_waitcnt lgkmcnt(0)
	s_barrier
	s_and_saveexec_b64 s[10:11], vcc
	s_cbranch_execz .LBB95_344
; %bb.343:
	v_mov_b32_e32 v38, 0
	ds_read_b128 v[11:14], v38 offset:10032
	ds_read_b128 v[28:31], v38 offset:9504
	;; [unrolled: 1-line block ×3, first 2 shown]
	s_waitcnt lgkmcnt(1)
	v_mul_f64 v[36:37], v[11:12], v[30:31]
	v_mul_f64 v[30:31], v[13:14], v[30:31]
	v_fma_f64 v[13:14], v[13:14], v[28:29], v[36:37]
	v_fma_f64 v[11:12], v[11:12], v[28:29], -v[30:31]
	s_waitcnt lgkmcnt(0)
	v_mul_f64 v[28:29], v[13:14], v[34:35]
	v_mul_f64 v[30:31], v[11:12], v[34:35]
	v_fma_f64 v[11:12], v[32:33], v[11:12], -v[28:29]
	v_fma_f64 v[13:14], v[32:33], v[13:14], v[30:31]
	ds_write_b128 v38, v[11:14] offset:9520
	ds_write_b128 v38, v[11:14] offset:10016
.LBB95_344:
	s_or_b64 exec, exec, s[10:11]
	v_mov_b32_e32 v13, 0
	v_mov_b32_e32 v11, 0
	;; [unrolled: 1-line block ×4, first 2 shown]
	s_waitcnt lgkmcnt(0)
	s_barrier
	s_and_saveexec_b64 s[12:13], s[16:17]
	s_cbranch_execz .LBB95_350
; %bb.345:
	v_mul_u32_u24_e32 v28, 0x210, v22
	ds_read_b128 v[11:14], v28 offset:8448
	ds_read_b128 v[29:32], v18 offset:8512
	v_cmp_gt_u32_e64 s[10:11], 12, v1
	s_waitcnt lgkmcnt(0)
	v_mul_f64 v[33:34], v[13:14], v[31:32]
	v_mul_f64 v[31:32], v[11:12], v[31:32]
	v_fma_f64 v[11:12], v[11:12], v[29:30], -v[33:34]
	v_fma_f64 v[13:14], v[13:14], v[29:30], v[31:32]
	v_add_f64 v[11:12], v[11:12], 0
	v_add_f64 v[13:14], v[13:14], 0
	s_and_saveexec_b64 s[14:15], s[10:11]
	s_cbranch_execnz .LBB95_564
; %bb.346:
	s_or_b64 exec, exec, s[14:15]
	v_cmp_gt_u32_e64 s[10:11], 8, v1
	s_and_saveexec_b64 s[14:15], s[10:11]
	s_cbranch_execnz .LBB95_565
.LBB95_347:
	s_or_b64 exec, exec, s[14:15]
	v_cmp_gt_u32_e64 s[10:11], 4, v1
	s_and_saveexec_b64 s[14:15], s[10:11]
	s_cbranch_execz .LBB95_349
.LBB95_348:
	v_lshlrev_b32_e32 v32, 4, v0
	v_mov_b32_e32 v28, 0
	ds_read_b128 v[28:31], v28 offset:8496
	ds_read_b128 v[32:35], v32 offset:10048
	s_waitcnt lgkmcnt(0)
	v_mul_f64 v[36:37], v[30:31], v[34:35]
	v_mul_f64 v[34:35], v[28:29], v[34:35]
	v_fma_f64 v[28:29], v[28:29], v[32:33], -v[36:37]
	v_fma_f64 v[30:31], v[30:31], v[32:33], v[34:35]
	v_add_f64 v[11:12], v[11:12], v[28:29]
	v_add_f64 v[13:14], v[13:14], v[30:31]
.LBB95_349:
	s_or_b64 exec, exec, s[14:15]
	v_xor_b32_e32 v12, 0x80000000, v12
	v_xor_b32_e32 v14, 0x80000000, v14
.LBB95_350:
	s_or_b64 exec, exec, s[12:13]
	s_and_saveexec_b64 s[10:11], s[46:47]
	s_cbranch_execz .LBB95_352
; %bb.351:
	v_mov_b32_e32 v28, 0
	ds_read_b128 v[28:31], v28 offset:10560
	s_waitcnt lgkmcnt(0)
	v_mul_f64 v[32:33], v[13:14], v[30:31]
	v_mul_f64 v[30:31], v[11:12], v[30:31]
	v_fma_f64 v[11:12], v[11:12], v[28:29], -v[32:33]
	v_fma_f64 v[13:14], v[13:14], v[28:29], v[30:31]
	ds_write_b128 v20, v[11:14]
.LBB95_352:
	s_or_b64 exec, exec, s[10:11]
	s_waitcnt lgkmcnt(0)
	s_barrier
	s_and_saveexec_b64 s[10:11], s[48:49]
	s_cbranch_execz .LBB95_354
; %bb.353:
	ds_read_b128 v[28:31], v20
	ds_read_b128 v[32:35], v19 offset:10560
	s_waitcnt lgkmcnt(0)
	v_mul_f64 v[36:37], v[30:31], v[34:35]
	v_mul_f64 v[34:35], v[28:29], v[34:35]
	v_fma_f64 v[28:29], v[28:29], v[32:33], -v[36:37]
	v_fma_f64 v[30:31], v[30:31], v[32:33], v[34:35]
	v_add_f64 v[11:12], v[11:12], v[28:29]
	v_add_f64 v[13:14], v[13:14], v[30:31]
.LBB95_354:
	s_or_b64 exec, exec, s[10:11]
	s_barrier
	s_and_saveexec_b64 s[10:11], s[50:51]
	s_cbranch_execz .LBB95_356
; %bb.355:
	v_mov_b32_e32 v28, 0
	ds_read_b128 v[28:31], v28 offset:11088
	s_waitcnt lgkmcnt(0)
	v_mul_f64 v[32:33], v[13:14], v[30:31]
	v_mul_f64 v[30:31], v[11:12], v[30:31]
	v_fma_f64 v[11:12], v[11:12], v[28:29], -v[32:33]
	v_fma_f64 v[13:14], v[13:14], v[28:29], v[30:31]
	ds_write_b128 v20, v[11:14]
.LBB95_356:
	s_or_b64 exec, exec, s[10:11]
	s_waitcnt lgkmcnt(0)
	s_barrier
	s_and_saveexec_b64 s[10:11], s[52:53]
	s_cbranch_execz .LBB95_358
; %bb.357:
	ds_read_b128 v[28:31], v20
	ds_read_b128 v[32:35], v19 offset:11072
	s_waitcnt lgkmcnt(0)
	v_mul_f64 v[36:37], v[30:31], v[34:35]
	v_mul_f64 v[34:35], v[28:29], v[34:35]
	v_fma_f64 v[28:29], v[28:29], v[32:33], -v[36:37]
	v_fma_f64 v[30:31], v[30:31], v[32:33], v[34:35]
	v_add_f64 v[11:12], v[11:12], v[28:29]
	v_add_f64 v[13:14], v[13:14], v[30:31]
.LBB95_358:
	s_or_b64 exec, exec, s[10:11]
	s_barrier
	s_and_saveexec_b64 s[10:11], s[54:55]
	s_cbranch_execz .LBB95_360
; %bb.359:
	v_mov_b32_e32 v28, 0
	ds_read_b128 v[28:31], v28 offset:11616
	s_waitcnt lgkmcnt(0)
	v_mul_f64 v[32:33], v[13:14], v[30:31]
	v_mul_f64 v[30:31], v[11:12], v[30:31]
	v_fma_f64 v[11:12], v[11:12], v[28:29], -v[32:33]
	v_fma_f64 v[13:14], v[13:14], v[28:29], v[30:31]
	ds_write_b128 v20, v[11:14]
.LBB95_360:
	s_or_b64 exec, exec, s[10:11]
	s_waitcnt lgkmcnt(0)
	s_barrier
	s_and_saveexec_b64 s[10:11], s[44:45]
	s_cbranch_execz .LBB95_362
; %bb.361:
	v_mov_b32_e32 v32, 0
	ds_read_b128 v[28:31], v20
	ds_read_b128 v[32:35], v32 offset:11632
	s_waitcnt lgkmcnt(0)
	v_mul_f64 v[36:37], v[30:31], v[34:35]
	v_mul_f64 v[34:35], v[28:29], v[34:35]
	v_fma_f64 v[28:29], v[28:29], v[32:33], -v[36:37]
	v_fma_f64 v[30:31], v[30:31], v[32:33], v[34:35]
	v_add_f64 v[11:12], v[11:12], v[28:29]
	v_add_f64 v[13:14], v[13:14], v[30:31]
.LBB95_362:
	s_or_b64 exec, exec, s[10:11]
	s_barrier
	s_and_saveexec_b64 s[10:11], s[44:45]
	s_cbranch_execz .LBB95_364
; %bb.363:
	v_mov_b32_e32 v28, 0
	ds_read_b128 v[28:31], v28 offset:12144
	s_waitcnt lgkmcnt(0)
	v_mul_f64 v[32:33], v[13:14], v[30:31]
	v_mul_f64 v[30:31], v[11:12], v[30:31]
	v_fma_f64 v[11:12], v[11:12], v[28:29], -v[32:33]
	v_fma_f64 v[13:14], v[13:14], v[28:29], v[30:31]
	ds_write_b128 v20, v[11:14]
.LBB95_364:
	s_or_b64 exec, exec, s[10:11]
	s_waitcnt lgkmcnt(0)
	s_barrier
	s_barrier
	s_and_saveexec_b64 s[10:11], s[16:17]
; %bb.365:
	v_xor_b32_e32 v14, 0x80000000, v14
	v_xor_b32_e32 v12, 0x80000000, v12
	ds_write_b128 v18, v[11:14] offset:8512
; %bb.366:
	s_or_b64 exec, exec, s[10:11]
	s_waitcnt lgkmcnt(0)
	s_barrier
	s_barrier
	s_and_saveexec_b64 s[10:11], s[56:57]
	s_cbranch_execz .LBB95_368
; %bb.367:
	v_lshlrev_b32_e32 v28, 4, v0
	s_movk_i32 s12, 0x1f0
	v_mad_u32_u24 v29, v0, s12, v28
	ds_read_b128 v[11:14], v29 offset:8512
	s_waitcnt lgkmcnt(0)
	ds_write_b128 v28, v[11:14] offset:10496
	ds_read_b128 v[11:14], v29 offset:8528
	s_waitcnt lgkmcnt(0)
	ds_write_b128 v28, v[11:14] offset:11008
	;; [unrolled: 3-line block ×4, first 2 shown]
.LBB95_368:
	s_or_b64 exec, exec, s[10:11]
	s_waitcnt lgkmcnt(0)
	s_barrier
	s_and_saveexec_b64 s[10:11], vcc
	s_cbranch_execz .LBB95_370
; %bb.369:
	v_mov_b32_e32 v38, 0
	ds_read_b128 v[11:14], v38 offset:11088
	ds_read_b128 v[28:31], v38 offset:10560
	;; [unrolled: 1-line block ×3, first 2 shown]
	s_waitcnt lgkmcnt(1)
	v_mul_f64 v[36:37], v[11:12], v[30:31]
	v_mul_f64 v[30:31], v[13:14], v[30:31]
	v_fma_f64 v[13:14], v[13:14], v[28:29], v[36:37]
	v_fma_f64 v[11:12], v[11:12], v[28:29], -v[30:31]
	s_waitcnt lgkmcnt(0)
	v_mul_f64 v[28:29], v[13:14], v[34:35]
	v_mul_f64 v[30:31], v[11:12], v[34:35]
	v_fma_f64 v[11:12], v[32:33], v[11:12], -v[28:29]
	v_fma_f64 v[13:14], v[32:33], v[13:14], v[30:31]
	ds_write_b128 v38, v[11:14] offset:10576
	ds_write_b128 v38, v[11:14] offset:11072
.LBB95_370:
	s_or_b64 exec, exec, s[10:11]
	v_mov_b32_e32 v13, 0
	v_mov_b32_e32 v11, 0
	v_mov_b32_e32 v14, 0
	v_mov_b32_e32 v12, 0
	s_waitcnt lgkmcnt(0)
	s_barrier
	s_and_saveexec_b64 s[12:13], s[2:3]
	s_cbranch_execz .LBB95_374
; %bb.371:
	v_mul_u32_u24_e32 v11, 0x210, v17
	ds_read_b128 v[11:14], v11 offset:10560
	ds_read_b128 v[28:31], v15 offset:10592
	v_cmp_gt_u32_e64 s[10:11], 2, v1
	s_waitcnt lgkmcnt(0)
	v_mul_f64 v[32:33], v[13:14], v[30:31]
	v_mul_f64 v[30:31], v[11:12], v[30:31]
	v_fma_f64 v[11:12], v[11:12], v[28:29], -v[32:33]
	v_fma_f64 v[13:14], v[13:14], v[28:29], v[30:31]
	v_add_f64 v[11:12], v[11:12], 0
	v_add_f64 v[13:14], v[13:14], 0
	s_and_saveexec_b64 s[14:15], s[10:11]
	s_cbranch_execz .LBB95_373
; %bb.372:
	v_lshlrev_b32_e32 v32, 4, v0
	v_mov_b32_e32 v28, 0
	ds_read_b128 v[28:31], v28 offset:10576
	ds_read_b128 v[32:35], v32 offset:11104
	s_waitcnt lgkmcnt(0)
	v_mul_f64 v[36:37], v[30:31], v[34:35]
	v_mul_f64 v[34:35], v[28:29], v[34:35]
	v_fma_f64 v[28:29], v[28:29], v[32:33], -v[36:37]
	v_fma_f64 v[30:31], v[30:31], v[32:33], v[34:35]
	v_add_f64 v[11:12], v[11:12], v[28:29]
	v_add_f64 v[13:14], v[13:14], v[30:31]
.LBB95_373:
	s_or_b64 exec, exec, s[14:15]
	v_xor_b32_e32 v12, 0x80000000, v12
	v_xor_b32_e32 v14, 0x80000000, v14
.LBB95_374:
	s_or_b64 exec, exec, s[12:13]
	s_and_saveexec_b64 s[10:11], s[40:41]
	s_cbranch_execz .LBB95_376
; %bb.375:
	v_mov_b32_e32 v28, 0
	ds_read_b128 v[28:31], v28 offset:11616
	s_waitcnt lgkmcnt(0)
	v_mul_f64 v[32:33], v[13:14], v[30:31]
	v_mul_f64 v[30:31], v[11:12], v[30:31]
	v_fma_f64 v[11:12], v[11:12], v[28:29], -v[32:33]
	v_fma_f64 v[13:14], v[13:14], v[28:29], v[30:31]
	ds_write_b128 v16, v[11:14]
.LBB95_376:
	s_or_b64 exec, exec, s[10:11]
	s_waitcnt lgkmcnt(0)
	s_barrier
	s_and_saveexec_b64 s[10:11], s[38:39]
	s_cbranch_execz .LBB95_378
; %bb.377:
	v_mov_b32_e32 v32, 0
	ds_read_b128 v[28:31], v16
	ds_read_b128 v[32:35], v32 offset:11632
	s_waitcnt lgkmcnt(0)
	v_mul_f64 v[36:37], v[30:31], v[34:35]
	v_mul_f64 v[34:35], v[28:29], v[34:35]
	v_fma_f64 v[28:29], v[28:29], v[32:33], -v[36:37]
	v_fma_f64 v[30:31], v[30:31], v[32:33], v[34:35]
	v_add_f64 v[11:12], v[11:12], v[28:29]
	v_add_f64 v[13:14], v[13:14], v[30:31]
.LBB95_378:
	s_or_b64 exec, exec, s[10:11]
	s_barrier
	s_and_saveexec_b64 s[10:11], s[38:39]
	s_cbranch_execz .LBB95_380
; %bb.379:
	v_mov_b32_e32 v28, 0
	ds_read_b128 v[28:31], v28 offset:12144
	s_waitcnt lgkmcnt(0)
	v_mul_f64 v[32:33], v[13:14], v[30:31]
	v_mul_f64 v[30:31], v[11:12], v[30:31]
	v_fma_f64 v[11:12], v[11:12], v[28:29], -v[32:33]
	v_fma_f64 v[13:14], v[13:14], v[28:29], v[30:31]
	ds_write_b128 v16, v[11:14]
.LBB95_380:
	s_or_b64 exec, exec, s[10:11]
	s_waitcnt lgkmcnt(0)
	s_barrier
	s_barrier
	s_and_saveexec_b64 s[10:11], s[2:3]
; %bb.381:
	v_xor_b32_e32 v12, 0x80000000, v12
	v_xor_b32_e32 v14, 0x80000000, v14
	ds_write_b128 v15, v[11:14] offset:10592
; %bb.382:
	s_or_b64 exec, exec, s[10:11]
	s_waitcnt lgkmcnt(0)
	s_barrier
	s_barrier
	s_and_saveexec_b64 s[10:11], s[42:43]
	s_cbranch_execz .LBB95_384
; %bb.383:
	v_lshlrev_b32_e32 v28, 9, v0
	ds_read_b128 v[11:14], v28 offset:10592
	s_movk_i32 s12, 0xfe10
	v_mad_i32_i24 v29, v0, s12, v28
	s_waitcnt lgkmcnt(0)
	ds_write_b128 v29, v[11:14] offset:11584
	ds_read_b128 v[11:14], v28 offset:10608
	s_waitcnt lgkmcnt(0)
	ds_write_b128 v29, v[11:14] offset:12096
.LBB95_384:
	s_or_b64 exec, exec, s[10:11]
	s_waitcnt lgkmcnt(0)
	s_barrier
	s_and_saveexec_b64 s[10:11], vcc
	s_cbranch_execz .LBB95_386
; %bb.385:
	v_mov_b32_e32 v38, 0
	ds_read_b128 v[11:14], v38 offset:12144
	ds_read_b128 v[28:31], v38 offset:11616
	;; [unrolled: 1-line block ×3, first 2 shown]
	s_waitcnt lgkmcnt(1)
	v_mul_f64 v[36:37], v[11:12], v[30:31]
	v_mul_f64 v[30:31], v[13:14], v[30:31]
	v_fma_f64 v[13:14], v[13:14], v[28:29], v[36:37]
	v_fma_f64 v[11:12], v[11:12], v[28:29], -v[30:31]
	s_waitcnt lgkmcnt(0)
	v_mul_f64 v[28:29], v[13:14], v[34:35]
	v_mul_f64 v[30:31], v[11:12], v[34:35]
	v_fma_f64 v[11:12], v[32:33], v[11:12], -v[28:29]
	v_fma_f64 v[13:14], v[32:33], v[13:14], v[30:31]
	ds_write_b128 v38, v[11:14] offset:11632
	ds_write_b128 v38, v[11:14] offset:12128
.LBB95_386:
	s_or_b64 exec, exec, s[10:11]
	v_mov_b32_e32 v13, 0
	v_mov_b32_e32 v11, 0
	;; [unrolled: 1-line block ×4, first 2 shown]
	s_waitcnt lgkmcnt(0)
	s_barrier
	s_and_saveexec_b64 s[12:13], s[8:9]
	s_cbranch_execz .LBB95_396
; %bb.387:
	v_mul_u32_u24_e32 v28, 0x210, v27
	ds_read_b128 v[11:14], v28 offset:8448
	ds_read_b128 v[29:32], v23 offset:8576
	v_cmp_gt_u32_e64 s[10:11], 56, v1
	s_waitcnt lgkmcnt(0)
	v_mul_f64 v[33:34], v[13:14], v[31:32]
	v_mul_f64 v[31:32], v[11:12], v[31:32]
	v_fma_f64 v[11:12], v[11:12], v[29:30], -v[33:34]
	v_fma_f64 v[13:14], v[13:14], v[29:30], v[31:32]
	v_add_f64 v[11:12], v[11:12], 0
	v_add_f64 v[13:14], v[13:14], 0
	s_and_saveexec_b64 s[14:15], s[10:11]
	s_cbranch_execnz .LBB95_566
; %bb.388:
	s_or_b64 exec, exec, s[14:15]
	v_cmp_gt_u32_e64 s[10:11], 48, v1
	s_and_saveexec_b64 s[14:15], s[10:11]
	s_cbranch_execnz .LBB95_567
.LBB95_389:
	s_or_b64 exec, exec, s[14:15]
	v_cmp_gt_u32_e64 s[10:11], 40, v1
	s_and_saveexec_b64 s[14:15], s[10:11]
	s_cbranch_execnz .LBB95_568
.LBB95_390:
	s_or_b64 exec, exec, s[14:15]
	v_cmp_gt_u32_e64 s[10:11], 32, v1
	s_and_saveexec_b64 s[14:15], s[10:11]
	s_cbranch_execnz .LBB95_569
.LBB95_391:
	s_or_b64 exec, exec, s[14:15]
	v_cmp_gt_u32_e64 s[10:11], 24, v1
	s_and_saveexec_b64 s[14:15], s[10:11]
	s_cbranch_execnz .LBB95_570
.LBB95_392:
	s_or_b64 exec, exec, s[14:15]
	v_cmp_gt_u32_e64 s[10:11], 16, v1
	s_and_saveexec_b64 s[14:15], s[10:11]
	s_cbranch_execnz .LBB95_571
.LBB95_393:
	s_or_b64 exec, exec, s[14:15]
	v_cmp_gt_u32_e64 s[10:11], 8, v1
	s_and_saveexec_b64 s[14:15], s[10:11]
	s_cbranch_execz .LBB95_395
.LBB95_394:
	v_lshlrev_b32_e32 v30, 4, v0
	v_mov_b32_e32 v26, 0
	ds_read_b128 v[26:29], v26 offset:8560
	ds_read_b128 v[30:33], v30 offset:12160
	s_waitcnt lgkmcnt(0)
	v_mul_f64 v[34:35], v[28:29], v[32:33]
	v_mul_f64 v[32:33], v[26:27], v[32:33]
	v_fma_f64 v[26:27], v[26:27], v[30:31], -v[34:35]
	v_fma_f64 v[28:29], v[28:29], v[30:31], v[32:33]
	v_add_f64 v[11:12], v[11:12], v[26:27]
	v_add_f64 v[13:14], v[13:14], v[28:29]
.LBB95_395:
	s_or_b64 exec, exec, s[14:15]
	v_xor_b32_e32 v12, 0x80000000, v12
	v_xor_b32_e32 v14, 0x80000000, v14
.LBB95_396:
	s_or_b64 exec, exec, s[12:13]
	s_and_saveexec_b64 s[10:11], s[60:61]
	s_cbranch_execz .LBB95_398
; %bb.397:
	v_mov_b32_e32 v26, 0
	ds_read_b128 v[26:29], v26 offset:12672
	s_waitcnt lgkmcnt(0)
	v_mul_f64 v[30:31], v[13:14], v[28:29]
	v_mul_f64 v[28:29], v[11:12], v[28:29]
	v_fma_f64 v[11:12], v[11:12], v[26:27], -v[30:31]
	v_fma_f64 v[13:14], v[13:14], v[26:27], v[28:29]
	ds_write_b128 v25, v[11:14]
.LBB95_398:
	s_or_b64 exec, exec, s[10:11]
	s_waitcnt lgkmcnt(0)
	s_barrier
	s_and_saveexec_b64 s[10:11], s[62:63]
	s_cbranch_execz .LBB95_400
; %bb.399:
	ds_read_b128 v[26:29], v25
	ds_read_b128 v[30:33], v24 offset:12672
	s_waitcnt lgkmcnt(0)
	v_mul_f64 v[34:35], v[28:29], v[32:33]
	v_mul_f64 v[32:33], v[26:27], v[32:33]
	v_fma_f64 v[26:27], v[26:27], v[30:31], -v[34:35]
	v_fma_f64 v[28:29], v[28:29], v[30:31], v[32:33]
	v_add_f64 v[11:12], v[11:12], v[26:27]
	v_add_f64 v[13:14], v[13:14], v[28:29]
.LBB95_400:
	s_or_b64 exec, exec, s[10:11]
	s_barrier
	s_and_saveexec_b64 s[10:11], s[64:65]
	s_cbranch_execz .LBB95_402
; %bb.401:
	v_mov_b32_e32 v26, 0
	ds_read_b128 v[26:29], v26 offset:13200
	s_waitcnt lgkmcnt(0)
	v_mul_f64 v[30:31], v[13:14], v[28:29]
	v_mul_f64 v[28:29], v[11:12], v[28:29]
	v_fma_f64 v[11:12], v[11:12], v[26:27], -v[30:31]
	v_fma_f64 v[13:14], v[13:14], v[26:27], v[28:29]
	ds_write_b128 v25, v[11:14]
.LBB95_402:
	s_or_b64 exec, exec, s[10:11]
	s_waitcnt lgkmcnt(0)
	s_barrier
	s_and_saveexec_b64 s[10:11], s[66:67]
	s_cbranch_execz .LBB95_404
; %bb.403:
	ds_read_b128 v[26:29], v25
	ds_read_b128 v[30:33], v24 offset:13184
	s_waitcnt lgkmcnt(0)
	v_mul_f64 v[34:35], v[28:29], v[32:33]
	v_mul_f64 v[32:33], v[26:27], v[32:33]
	v_fma_f64 v[26:27], v[26:27], v[30:31], -v[34:35]
	v_fma_f64 v[28:29], v[28:29], v[30:31], v[32:33]
	v_add_f64 v[11:12], v[11:12], v[26:27]
	v_add_f64 v[13:14], v[13:14], v[28:29]
.LBB95_404:
	s_or_b64 exec, exec, s[10:11]
	s_barrier
	;; [unrolled: 30-line block ×6, first 2 shown]
	s_and_saveexec_b64 s[10:11], s[84:85]
	s_cbranch_execz .LBB95_422
; %bb.421:
	v_mov_b32_e32 v24, 0
	ds_read_b128 v[26:29], v24 offset:15840
	s_waitcnt lgkmcnt(0)
	v_mul_f64 v[30:31], v[13:14], v[28:29]
	v_mul_f64 v[28:29], v[11:12], v[28:29]
	v_fma_f64 v[11:12], v[11:12], v[26:27], -v[30:31]
	v_fma_f64 v[13:14], v[13:14], v[26:27], v[28:29]
	ds_write_b128 v25, v[11:14]
.LBB95_422:
	s_or_b64 exec, exec, s[10:11]
	s_waitcnt lgkmcnt(0)
	s_barrier
	s_and_saveexec_b64 s[10:11], s[58:59]
	s_cbranch_execz .LBB95_424
; %bb.423:
	v_mov_b32_e32 v24, 0
	ds_read_b128 v[26:29], v25
	ds_read_b128 v[30:33], v24 offset:15856
	s_waitcnt lgkmcnt(0)
	v_mul_f64 v[34:35], v[28:29], v[32:33]
	v_mul_f64 v[32:33], v[26:27], v[32:33]
	v_fma_f64 v[26:27], v[26:27], v[30:31], -v[34:35]
	v_fma_f64 v[28:29], v[28:29], v[30:31], v[32:33]
	v_add_f64 v[11:12], v[11:12], v[26:27]
	v_add_f64 v[13:14], v[13:14], v[28:29]
.LBB95_424:
	s_or_b64 exec, exec, s[10:11]
	s_barrier
	s_and_saveexec_b64 s[10:11], s[58:59]
	s_cbranch_execz .LBB95_426
; %bb.425:
	v_mov_b32_e32 v24, 0
	ds_read_b128 v[26:29], v24 offset:16368
	s_waitcnt lgkmcnt(0)
	v_mul_f64 v[30:31], v[13:14], v[28:29]
	v_mul_f64 v[28:29], v[11:12], v[28:29]
	v_fma_f64 v[11:12], v[11:12], v[26:27], -v[30:31]
	v_fma_f64 v[13:14], v[13:14], v[26:27], v[28:29]
	ds_write_b128 v25, v[11:14]
.LBB95_426:
	s_or_b64 exec, exec, s[10:11]
	s_waitcnt lgkmcnt(0)
	s_barrier
	s_barrier
	s_and_saveexec_b64 s[10:11], s[8:9]
; %bb.427:
	v_xor_b32_e32 v12, 0x80000000, v12
	v_xor_b32_e32 v14, 0x80000000, v14
	ds_write_b128 v23, v[11:14] offset:8576
; %bb.428:
	s_or_b64 exec, exec, s[10:11]
	s_waitcnt lgkmcnt(0)
	s_barrier
	s_barrier
	s_and_saveexec_b64 s[8:9], s[86:87]
	s_cbranch_execz .LBB95_430
; %bb.429:
	v_lshlrev_b32_e32 v23, 9, v0
	ds_read_b128 v[11:14], v23 offset:8576
	s_movk_i32 s10, 0xfe10
	v_mad_i32_i24 v24, v0, s10, v23
	s_waitcnt lgkmcnt(0)
	ds_write_b128 v24, v[11:14] offset:12544
	ds_read_b128 v[11:14], v23 offset:8592
	s_waitcnt lgkmcnt(0)
	ds_write_b128 v24, v[11:14] offset:13056
	ds_read_b128 v[11:14], v23 offset:8608
	;; [unrolled: 3-line block ×7, first 2 shown]
	s_waitcnt lgkmcnt(0)
	ds_write_b128 v24, v[11:14] offset:16128
.LBB95_430:
	s_or_b64 exec, exec, s[8:9]
	s_waitcnt lgkmcnt(0)
	s_barrier
	s_and_saveexec_b64 s[8:9], vcc
	s_cbranch_execz .LBB95_432
; %bb.431:
	v_mov_b32_e32 v33, 0
	ds_read_b128 v[11:14], v33 offset:13200
	ds_read_b128 v[23:26], v33 offset:12672
	;; [unrolled: 1-line block ×3, first 2 shown]
	s_waitcnt lgkmcnt(1)
	v_mul_f64 v[31:32], v[11:12], v[25:26]
	v_mul_f64 v[25:26], v[13:14], v[25:26]
	v_fma_f64 v[13:14], v[13:14], v[23:24], v[31:32]
	v_fma_f64 v[11:12], v[11:12], v[23:24], -v[25:26]
	s_waitcnt lgkmcnt(0)
	v_mul_f64 v[23:24], v[13:14], v[29:30]
	v_mul_f64 v[25:26], v[11:12], v[29:30]
	v_fma_f64 v[11:12], v[27:28], v[11:12], -v[23:24]
	v_fma_f64 v[13:14], v[27:28], v[13:14], v[25:26]
	ds_write_b128 v33, v[11:14] offset:12688
	ds_write_b128 v33, v[11:14] offset:13184
.LBB95_432:
	s_or_b64 exec, exec, s[8:9]
	v_mov_b32_e32 v13, 0
	v_mov_b32_e32 v11, 0
	;; [unrolled: 1-line block ×4, first 2 shown]
	s_waitcnt lgkmcnt(0)
	s_barrier
	s_and_saveexec_b64 s[10:11], s[2:3]
	s_cbranch_execz .LBB95_436
; %bb.433:
	v_mul_u32_u24_e32 v11, 0x210, v17
	ds_read_b128 v[11:14], v11 offset:12672
	ds_read_b128 v[23:26], v15 offset:12704
	v_cmp_gt_u32_e64 s[8:9], 2, v1
	s_waitcnt lgkmcnt(0)
	v_mul_f64 v[27:28], v[13:14], v[25:26]
	v_mul_f64 v[25:26], v[11:12], v[25:26]
	v_fma_f64 v[11:12], v[11:12], v[23:24], -v[27:28]
	v_fma_f64 v[13:14], v[13:14], v[23:24], v[25:26]
	v_add_f64 v[11:12], v[11:12], 0
	v_add_f64 v[13:14], v[13:14], 0
	s_and_saveexec_b64 s[12:13], s[8:9]
	s_cbranch_execz .LBB95_435
; %bb.434:
	v_lshlrev_b32_e32 v27, 4, v0
	v_mov_b32_e32 v23, 0
	ds_read_b128 v[23:26], v23 offset:12688
	ds_read_b128 v[27:30], v27 offset:13216
	s_waitcnt lgkmcnt(0)
	v_mul_f64 v[31:32], v[25:26], v[29:30]
	v_mul_f64 v[29:30], v[23:24], v[29:30]
	v_fma_f64 v[23:24], v[23:24], v[27:28], -v[31:32]
	v_fma_f64 v[25:26], v[25:26], v[27:28], v[29:30]
	v_add_f64 v[11:12], v[11:12], v[23:24]
	v_add_f64 v[13:14], v[13:14], v[25:26]
.LBB95_435:
	s_or_b64 exec, exec, s[12:13]
	v_xor_b32_e32 v12, 0x80000000, v12
	v_xor_b32_e32 v14, 0x80000000, v14
.LBB95_436:
	s_or_b64 exec, exec, s[10:11]
	s_and_saveexec_b64 s[8:9], s[40:41]
	s_cbranch_execz .LBB95_438
; %bb.437:
	v_mov_b32_e32 v23, 0
	ds_read_b128 v[23:26], v23 offset:13728
	s_waitcnt lgkmcnt(0)
	v_mul_f64 v[27:28], v[13:14], v[25:26]
	v_mul_f64 v[25:26], v[11:12], v[25:26]
	v_fma_f64 v[11:12], v[11:12], v[23:24], -v[27:28]
	v_fma_f64 v[13:14], v[13:14], v[23:24], v[25:26]
	ds_write_b128 v16, v[11:14]
.LBB95_438:
	s_or_b64 exec, exec, s[8:9]
	s_waitcnt lgkmcnt(0)
	s_barrier
	s_and_saveexec_b64 s[8:9], s[38:39]
	s_cbranch_execz .LBB95_440
; %bb.439:
	v_mov_b32_e32 v27, 0
	ds_read_b128 v[23:26], v16
	ds_read_b128 v[27:30], v27 offset:13744
	s_waitcnt lgkmcnt(0)
	v_mul_f64 v[31:32], v[25:26], v[29:30]
	v_mul_f64 v[29:30], v[23:24], v[29:30]
	v_fma_f64 v[23:24], v[23:24], v[27:28], -v[31:32]
	v_fma_f64 v[25:26], v[25:26], v[27:28], v[29:30]
	v_add_f64 v[11:12], v[11:12], v[23:24]
	v_add_f64 v[13:14], v[13:14], v[25:26]
.LBB95_440:
	s_or_b64 exec, exec, s[8:9]
	s_barrier
	s_and_saveexec_b64 s[8:9], s[38:39]
	s_cbranch_execz .LBB95_442
; %bb.441:
	v_mov_b32_e32 v23, 0
	ds_read_b128 v[23:26], v23 offset:14256
	s_waitcnt lgkmcnt(0)
	v_mul_f64 v[27:28], v[13:14], v[25:26]
	v_mul_f64 v[25:26], v[11:12], v[25:26]
	v_fma_f64 v[11:12], v[11:12], v[23:24], -v[27:28]
	v_fma_f64 v[13:14], v[13:14], v[23:24], v[25:26]
	ds_write_b128 v16, v[11:14]
.LBB95_442:
	s_or_b64 exec, exec, s[8:9]
	s_waitcnt lgkmcnt(0)
	s_barrier
	s_barrier
	s_and_saveexec_b64 s[8:9], s[2:3]
; %bb.443:
	v_xor_b32_e32 v12, 0x80000000, v12
	v_xor_b32_e32 v14, 0x80000000, v14
	ds_write_b128 v15, v[11:14] offset:12704
; %bb.444:
	s_or_b64 exec, exec, s[8:9]
	s_waitcnt lgkmcnt(0)
	s_barrier
	s_barrier
	s_and_saveexec_b64 s[8:9], s[42:43]
	s_cbranch_execz .LBB95_446
; %bb.445:
	v_lshlrev_b32_e32 v23, 9, v0
	ds_read_b128 v[11:14], v23 offset:12704
	s_movk_i32 s10, 0xfe10
	v_mad_i32_i24 v24, v0, s10, v23
	s_waitcnt lgkmcnt(0)
	ds_write_b128 v24, v[11:14] offset:13696
	ds_read_b128 v[11:14], v23 offset:12720
	s_waitcnt lgkmcnt(0)
	ds_write_b128 v24, v[11:14] offset:14208
.LBB95_446:
	s_or_b64 exec, exec, s[8:9]
	s_waitcnt lgkmcnt(0)
	s_barrier
	s_and_saveexec_b64 s[8:9], vcc
	s_cbranch_execz .LBB95_448
; %bb.447:
	v_mov_b32_e32 v33, 0
	ds_read_b128 v[11:14], v33 offset:14256
	ds_read_b128 v[23:26], v33 offset:13728
	;; [unrolled: 1-line block ×3, first 2 shown]
	s_waitcnt lgkmcnt(1)
	v_mul_f64 v[31:32], v[11:12], v[25:26]
	v_mul_f64 v[25:26], v[13:14], v[25:26]
	v_fma_f64 v[13:14], v[13:14], v[23:24], v[31:32]
	v_fma_f64 v[11:12], v[11:12], v[23:24], -v[25:26]
	s_waitcnt lgkmcnt(0)
	v_mul_f64 v[23:24], v[13:14], v[29:30]
	v_mul_f64 v[25:26], v[11:12], v[29:30]
	v_fma_f64 v[11:12], v[27:28], v[11:12], -v[23:24]
	v_fma_f64 v[13:14], v[27:28], v[13:14], v[25:26]
	ds_write_b128 v33, v[11:14] offset:13744
	ds_write_b128 v33, v[11:14] offset:14240
.LBB95_448:
	s_or_b64 exec, exec, s[8:9]
	v_mov_b32_e32 v13, 0
	v_mov_b32_e32 v11, 0
	;; [unrolled: 1-line block ×4, first 2 shown]
	s_waitcnt lgkmcnt(0)
	s_barrier
	s_and_saveexec_b64 s[10:11], s[16:17]
	s_cbranch_execz .LBB95_454
; %bb.449:
	v_mul_u32_u24_e32 v23, 0x210, v22
	ds_read_b128 v[11:14], v23 offset:12672
	ds_read_b128 v[24:27], v18 offset:12736
	v_cmp_gt_u32_e64 s[8:9], 12, v1
	s_waitcnt lgkmcnt(0)
	v_mul_f64 v[28:29], v[13:14], v[26:27]
	v_mul_f64 v[26:27], v[11:12], v[26:27]
	v_fma_f64 v[11:12], v[11:12], v[24:25], -v[28:29]
	v_fma_f64 v[13:14], v[13:14], v[24:25], v[26:27]
	v_add_f64 v[11:12], v[11:12], 0
	v_add_f64 v[13:14], v[13:14], 0
	s_and_saveexec_b64 s[12:13], s[8:9]
	s_cbranch_execnz .LBB95_572
; %bb.450:
	s_or_b64 exec, exec, s[12:13]
	v_cmp_gt_u32_e64 s[8:9], 8, v1
	s_and_saveexec_b64 s[12:13], s[8:9]
	s_cbranch_execnz .LBB95_573
.LBB95_451:
	s_or_b64 exec, exec, s[12:13]
	v_cmp_gt_u32_e64 s[8:9], 4, v1
	s_and_saveexec_b64 s[12:13], s[8:9]
	s_cbranch_execz .LBB95_453
.LBB95_452:
	v_lshlrev_b32_e32 v25, 4, v0
	v_mov_b32_e32 v21, 0
	ds_read_b128 v[21:24], v21 offset:12720
	ds_read_b128 v[25:28], v25 offset:14272
	s_waitcnt lgkmcnt(0)
	v_mul_f64 v[29:30], v[23:24], v[27:28]
	v_mul_f64 v[27:28], v[21:22], v[27:28]
	v_fma_f64 v[21:22], v[21:22], v[25:26], -v[29:30]
	v_fma_f64 v[23:24], v[23:24], v[25:26], v[27:28]
	v_add_f64 v[11:12], v[11:12], v[21:22]
	v_add_f64 v[13:14], v[13:14], v[23:24]
.LBB95_453:
	s_or_b64 exec, exec, s[12:13]
	v_xor_b32_e32 v12, 0x80000000, v12
	v_xor_b32_e32 v14, 0x80000000, v14
.LBB95_454:
	s_or_b64 exec, exec, s[10:11]
	s_and_saveexec_b64 s[8:9], s[46:47]
	s_cbranch_execz .LBB95_456
; %bb.455:
	v_mov_b32_e32 v21, 0
	ds_read_b128 v[21:24], v21 offset:14784
	s_waitcnt lgkmcnt(0)
	v_mul_f64 v[25:26], v[13:14], v[23:24]
	v_mul_f64 v[23:24], v[11:12], v[23:24]
	v_fma_f64 v[11:12], v[11:12], v[21:22], -v[25:26]
	v_fma_f64 v[13:14], v[13:14], v[21:22], v[23:24]
	ds_write_b128 v20, v[11:14]
.LBB95_456:
	s_or_b64 exec, exec, s[8:9]
	s_waitcnt lgkmcnt(0)
	s_barrier
	s_and_saveexec_b64 s[8:9], s[48:49]
	s_cbranch_execz .LBB95_458
; %bb.457:
	ds_read_b128 v[21:24], v20
	ds_read_b128 v[25:28], v19 offset:14784
	s_waitcnt lgkmcnt(0)
	v_mul_f64 v[29:30], v[23:24], v[27:28]
	v_mul_f64 v[27:28], v[21:22], v[27:28]
	v_fma_f64 v[21:22], v[21:22], v[25:26], -v[29:30]
	v_fma_f64 v[23:24], v[23:24], v[25:26], v[27:28]
	v_add_f64 v[11:12], v[11:12], v[21:22]
	v_add_f64 v[13:14], v[13:14], v[23:24]
.LBB95_458:
	s_or_b64 exec, exec, s[8:9]
	s_barrier
	s_and_saveexec_b64 s[8:9], s[50:51]
	s_cbranch_execz .LBB95_460
; %bb.459:
	v_mov_b32_e32 v21, 0
	ds_read_b128 v[21:24], v21 offset:15312
	s_waitcnt lgkmcnt(0)
	v_mul_f64 v[25:26], v[13:14], v[23:24]
	v_mul_f64 v[23:24], v[11:12], v[23:24]
	v_fma_f64 v[11:12], v[11:12], v[21:22], -v[25:26]
	v_fma_f64 v[13:14], v[13:14], v[21:22], v[23:24]
	ds_write_b128 v20, v[11:14]
.LBB95_460:
	s_or_b64 exec, exec, s[8:9]
	s_waitcnt lgkmcnt(0)
	s_barrier
	s_and_saveexec_b64 s[8:9], s[52:53]
	s_cbranch_execz .LBB95_462
; %bb.461:
	ds_read_b128 v[21:24], v20
	ds_read_b128 v[25:28], v19 offset:15296
	s_waitcnt lgkmcnt(0)
	v_mul_f64 v[29:30], v[23:24], v[27:28]
	v_mul_f64 v[27:28], v[21:22], v[27:28]
	v_fma_f64 v[21:22], v[21:22], v[25:26], -v[29:30]
	v_fma_f64 v[23:24], v[23:24], v[25:26], v[27:28]
	v_add_f64 v[11:12], v[11:12], v[21:22]
	v_add_f64 v[13:14], v[13:14], v[23:24]
.LBB95_462:
	s_or_b64 exec, exec, s[8:9]
	s_barrier
	s_and_saveexec_b64 s[8:9], s[54:55]
	s_cbranch_execz .LBB95_464
; %bb.463:
	v_mov_b32_e32 v19, 0
	ds_read_b128 v[21:24], v19 offset:15840
	s_waitcnt lgkmcnt(0)
	v_mul_f64 v[25:26], v[13:14], v[23:24]
	v_mul_f64 v[23:24], v[11:12], v[23:24]
	v_fma_f64 v[11:12], v[11:12], v[21:22], -v[25:26]
	v_fma_f64 v[13:14], v[13:14], v[21:22], v[23:24]
	ds_write_b128 v20, v[11:14]
.LBB95_464:
	s_or_b64 exec, exec, s[8:9]
	s_waitcnt lgkmcnt(0)
	s_barrier
	s_and_saveexec_b64 s[8:9], s[44:45]
	s_cbranch_execz .LBB95_466
; %bb.465:
	v_mov_b32_e32 v19, 0
	ds_read_b128 v[21:24], v20
	ds_read_b128 v[25:28], v19 offset:15856
	s_waitcnt lgkmcnt(0)
	v_mul_f64 v[29:30], v[23:24], v[27:28]
	v_mul_f64 v[27:28], v[21:22], v[27:28]
	v_fma_f64 v[21:22], v[21:22], v[25:26], -v[29:30]
	v_fma_f64 v[23:24], v[23:24], v[25:26], v[27:28]
	v_add_f64 v[11:12], v[11:12], v[21:22]
	v_add_f64 v[13:14], v[13:14], v[23:24]
.LBB95_466:
	s_or_b64 exec, exec, s[8:9]
	s_barrier
	s_and_saveexec_b64 s[8:9], s[44:45]
	s_cbranch_execz .LBB95_468
; %bb.467:
	v_mov_b32_e32 v19, 0
	ds_read_b128 v[21:24], v19 offset:16368
	s_waitcnt lgkmcnt(0)
	v_mul_f64 v[25:26], v[13:14], v[23:24]
	v_mul_f64 v[23:24], v[11:12], v[23:24]
	v_fma_f64 v[11:12], v[11:12], v[21:22], -v[25:26]
	v_fma_f64 v[13:14], v[13:14], v[21:22], v[23:24]
	ds_write_b128 v20, v[11:14]
.LBB95_468:
	s_or_b64 exec, exec, s[8:9]
	s_waitcnt lgkmcnt(0)
	s_barrier
	s_barrier
	s_and_saveexec_b64 s[8:9], s[16:17]
; %bb.469:
	v_xor_b32_e32 v14, 0x80000000, v14
	v_xor_b32_e32 v12, 0x80000000, v12
	ds_write_b128 v18, v[11:14] offset:12736
; %bb.470:
	s_or_b64 exec, exec, s[8:9]
	s_waitcnt lgkmcnt(0)
	s_barrier
	s_barrier
	s_and_saveexec_b64 s[8:9], s[56:57]
	s_cbranch_execz .LBB95_472
; %bb.471:
	v_lshlrev_b32_e32 v18, 4, v0
	s_movk_i32 s10, 0x1f0
	v_mad_u32_u24 v19, v0, s10, v18
	ds_read_b128 v[11:14], v19 offset:12736
	s_waitcnt lgkmcnt(0)
	ds_write_b128 v18, v[11:14] offset:14720
	ds_read_b128 v[11:14], v19 offset:12752
	s_waitcnt lgkmcnt(0)
	ds_write_b128 v18, v[11:14] offset:15232
	;; [unrolled: 3-line block ×4, first 2 shown]
.LBB95_472:
	s_or_b64 exec, exec, s[8:9]
	s_waitcnt lgkmcnt(0)
	s_barrier
	s_and_saveexec_b64 s[8:9], vcc
	s_cbranch_execz .LBB95_474
; %bb.473:
	v_mov_b32_e32 v28, 0
	ds_read_b128 v[11:14], v28 offset:15312
	ds_read_b128 v[18:21], v28 offset:14784
	;; [unrolled: 1-line block ×3, first 2 shown]
	s_waitcnt lgkmcnt(1)
	v_mul_f64 v[26:27], v[11:12], v[20:21]
	v_mul_f64 v[20:21], v[13:14], v[20:21]
	v_fma_f64 v[13:14], v[13:14], v[18:19], v[26:27]
	v_fma_f64 v[11:12], v[11:12], v[18:19], -v[20:21]
	s_waitcnt lgkmcnt(0)
	v_mul_f64 v[18:19], v[13:14], v[24:25]
	v_mul_f64 v[20:21], v[11:12], v[24:25]
	v_fma_f64 v[11:12], v[22:23], v[11:12], -v[18:19]
	v_fma_f64 v[13:14], v[22:23], v[13:14], v[20:21]
	ds_write_b128 v28, v[11:14] offset:14800
	ds_write_b128 v28, v[11:14] offset:15296
.LBB95_474:
	s_or_b64 exec, exec, s[8:9]
	v_mov_b32_e32 v13, 0
	v_mov_b32_e32 v11, 0
	;; [unrolled: 1-line block ×4, first 2 shown]
	s_waitcnt lgkmcnt(0)
	s_barrier
	s_and_saveexec_b64 s[10:11], s[2:3]
	s_cbranch_execz .LBB95_478
; %bb.475:
	v_mul_u32_u24_e32 v11, 0x210, v17
	ds_read_b128 v[11:14], v11 offset:14784
	ds_read_b128 v[17:20], v15 offset:14816
	v_cmp_gt_u32_e64 s[8:9], 2, v1
	s_waitcnt lgkmcnt(0)
	v_mul_f64 v[21:22], v[13:14], v[19:20]
	v_mul_f64 v[19:20], v[11:12], v[19:20]
	v_fma_f64 v[11:12], v[11:12], v[17:18], -v[21:22]
	v_fma_f64 v[13:14], v[13:14], v[17:18], v[19:20]
	v_add_f64 v[11:12], v[11:12], 0
	v_add_f64 v[13:14], v[13:14], 0
	s_and_saveexec_b64 s[12:13], s[8:9]
	s_cbranch_execz .LBB95_477
; %bb.476:
	v_lshlrev_b32_e32 v21, 4, v0
	v_mov_b32_e32 v17, 0
	ds_read_b128 v[17:20], v17 offset:14800
	ds_read_b128 v[21:24], v21 offset:15328
	s_waitcnt lgkmcnt(0)
	v_mul_f64 v[25:26], v[19:20], v[23:24]
	v_mul_f64 v[23:24], v[17:18], v[23:24]
	v_fma_f64 v[17:18], v[17:18], v[21:22], -v[25:26]
	v_fma_f64 v[19:20], v[19:20], v[21:22], v[23:24]
	v_add_f64 v[11:12], v[11:12], v[17:18]
	v_add_f64 v[13:14], v[13:14], v[19:20]
.LBB95_477:
	s_or_b64 exec, exec, s[12:13]
	v_xor_b32_e32 v12, 0x80000000, v12
	v_xor_b32_e32 v14, 0x80000000, v14
.LBB95_478:
	s_or_b64 exec, exec, s[10:11]
	s_and_saveexec_b64 s[8:9], s[40:41]
	s_cbranch_execz .LBB95_480
; %bb.479:
	v_mov_b32_e32 v17, 0
	ds_read_b128 v[17:20], v17 offset:15840
	s_waitcnt lgkmcnt(0)
	v_mul_f64 v[21:22], v[13:14], v[19:20]
	v_mul_f64 v[19:20], v[11:12], v[19:20]
	v_fma_f64 v[11:12], v[11:12], v[17:18], -v[21:22]
	v_fma_f64 v[13:14], v[13:14], v[17:18], v[19:20]
	ds_write_b128 v16, v[11:14]
.LBB95_480:
	s_or_b64 exec, exec, s[8:9]
	s_waitcnt lgkmcnt(0)
	s_barrier
	s_and_saveexec_b64 s[8:9], s[38:39]
	s_load_dword s41, s[4:5], 0x74
	v_readlane_b32 s40, v43, 0
	s_cbranch_execz .LBB95_482
; %bb.481:
	v_mov_b32_e32 v21, 0
	ds_read_b128 v[17:20], v16
	ds_read_b128 v[21:24], v21 offset:15856
	s_waitcnt lgkmcnt(0)
	v_mul_f64 v[25:26], v[19:20], v[23:24]
	v_mul_f64 v[23:24], v[17:18], v[23:24]
	v_fma_f64 v[17:18], v[17:18], v[21:22], -v[25:26]
	v_fma_f64 v[19:20], v[19:20], v[21:22], v[23:24]
	v_add_f64 v[11:12], v[11:12], v[17:18]
	v_add_f64 v[13:14], v[13:14], v[19:20]
.LBB95_482:
	s_or_b64 exec, exec, s[8:9]
	s_waitcnt lgkmcnt(0)
	s_barrier
	s_and_saveexec_b64 s[8:9], s[38:39]
	s_cbranch_execz .LBB95_484
; %bb.483:
	v_mov_b32_e32 v17, 0
	ds_read_b128 v[17:20], v17 offset:16368
	s_waitcnt lgkmcnt(0)
	v_mul_f64 v[21:22], v[13:14], v[19:20]
	v_mul_f64 v[19:20], v[11:12], v[19:20]
	v_fma_f64 v[11:12], v[11:12], v[17:18], -v[21:22]
	v_fma_f64 v[13:14], v[13:14], v[17:18], v[19:20]
	ds_write_b128 v16, v[11:14]
.LBB95_484:
	s_or_b64 exec, exec, s[8:9]
	s_waitcnt lgkmcnt(0)
	s_barrier
	s_barrier
	s_and_saveexec_b64 s[8:9], s[2:3]
; %bb.485:
	v_xor_b32_e32 v12, 0x80000000, v12
	v_xor_b32_e32 v14, 0x80000000, v14
	ds_write_b128 v15, v[11:14] offset:14816
; %bb.486:
	s_or_b64 exec, exec, s[8:9]
	s_waitcnt lgkmcnt(0)
	s_barrier
	s_barrier
	s_and_saveexec_b64 s[2:3], s[42:43]
	s_cbranch_execz .LBB95_488
; %bb.487:
	v_lshlrev_b32_e32 v15, 9, v0
	ds_read_b128 v[11:14], v15 offset:14816
	s_movk_i32 s8, 0xfe10
	v_mad_i32_i24 v16, v0, s8, v15
	s_waitcnt lgkmcnt(0)
	ds_write_b128 v16, v[11:14] offset:15808
	ds_read_b128 v[11:14], v15 offset:14832
	s_waitcnt lgkmcnt(0)
	ds_write_b128 v16, v[11:14] offset:16320
.LBB95_488:
	s_or_b64 exec, exec, s[2:3]
	s_waitcnt lgkmcnt(0)
	s_barrier
	s_and_saveexec_b64 s[2:3], vcc
	s_cbranch_execz .LBB95_490
; %bb.489:
	v_mov_b32_e32 v25, 0
	ds_read_b128 v[11:14], v25 offset:16368
	ds_read_b128 v[15:18], v25 offset:15840
	ds_read_b128 v[19:22], v25 offset:15856
	s_waitcnt lgkmcnt(1)
	v_mul_f64 v[23:24], v[11:12], v[17:18]
	v_mul_f64 v[17:18], v[13:14], v[17:18]
	v_fma_f64 v[13:14], v[13:14], v[15:16], v[23:24]
	v_fma_f64 v[11:12], v[11:12], v[15:16], -v[17:18]
	s_waitcnt lgkmcnt(0)
	v_mul_f64 v[15:16], v[13:14], v[21:22]
	v_mul_f64 v[17:18], v[11:12], v[21:22]
	v_fma_f64 v[11:12], v[19:20], v[11:12], -v[15:16]
	v_fma_f64 v[13:14], v[19:20], v[13:14], v[17:18]
	ds_write_b128 v25, v[11:14] offset:15856
	ds_write_b128 v25, v[11:14] offset:16352
.LBB95_490:
	s_or_b64 exec, exec, s[2:3]
.LBB95_491:
	s_load_dwordx4 s[16:19], s[4:5], 0x48
	s_load_dwordx2 s[14:15], s[4:5], 0x58
	v_cmp_le_i32_e32 vcc, s93, v0
	v_mov_b32_e32 v13, 0
	v_mov_b32_e32 v11, 0
	s_waitcnt lgkmcnt(0)
	s_mul_i32 s3, s19, s34
	s_mul_hi_u32 s4, s18, s34
	s_mul_i32 s2, s18, s34
	s_add_i32 s3, s4, s3
	s_lshl_b64 s[2:3], s[2:3], 4
	s_add_u32 s4, s28, s2
	s_addc_u32 s5, s29, s3
	s_lshl_b64 s[2:3], s[30:31], 4
	s_add_u32 s28, s4, s2
	s_addc_u32 s29, s5, s3
	s_and_b64 s[18:19], vcc, s[22:23]
	v_cmp_eq_u32_e64 s[2:3], 0, v2
	s_xor_b64 s[4:5], s[18:19], -1
	s_and_b64 s[8:9], s[2:3], s[4:5]
	v_mov_b32_e32 v14, 0
	v_mov_b32_e32 v12, 0
	v_add_u32_e32 v16, s33, v0
	s_barrier
	s_and_saveexec_b64 s[4:5], s[8:9]
	s_cbranch_execz .LBB95_493
; %bb.492:
	v_ashrrev_i32_e32 v13, 31, v16
	v_mul_lo_u32 v14, s17, v16
	v_mad_u64_u32 v[11:12], s[8:9], s16, v16, 0
	v_mul_lo_u32 v13, s16, v13
	v_add3_u32 v12, v12, v13, v14
	v_lshlrev_b64 v[11:12], 4, v[11:12]
	v_mov_b32_e32 v13, s29
	v_add_co_u32_e32 v11, vcc, s28, v11
	v_addc_co_u32_e32 v12, vcc, v13, v12, vcc
	global_load_dwordx4 v[11:14], v[11:12], off
	s_waitcnt vmcnt(0)
	v_mul_f64 v[17:18], s[24:25], v[11:12]
	v_mul_f64 v[19:20], s[24:25], v[13:14]
	v_fma_f64 v[13:14], s[26:27], v[13:14], -v[17:18]
	v_fma_f64 v[11:12], v[11:12], -s[26:27], -v[19:20]
.LBB95_493:
	s_or_b64 exec, exec, s[4:5]
	s_and_b32 s4, 0xffff, s41
	v_mad_u32_u24 v23, v2, s4, v0
	v_mov_b32_e32 v15, 0
	s_cmp_lt_i32 s6, 1
	v_cmp_eq_u32_e64 s[4:5], 0, v23
	s_cbranch_scc1 .LBB95_516
; %bb.494:
	v_ashrrev_i32_e32 v19, 31, v16
	v_mul_lo_u32 v20, s21, v16
	v_mad_u64_u32 v[17:18], s[8:9], s20, v16, 0
	v_mul_lo_u32 v19, s20, v19
	s_lshl_b64 s[8:9], s[34:35], 2
	s_add_u32 s20, s14, s8
	s_addc_u32 s21, s15, s9
	v_add3_u32 v18, v18, v19, v20
	v_cmp_gt_i32_e64 s[8:9], s36, v16
	v_lshlrev_b64 v[16:17], 4, v[17:18]
	v_mov_b32_e32 v19, 0x6000
	v_mov_b32_e32 v18, s95
	v_add_co_u32_e32 v26, vcc, s94, v16
	s_mov_b32 s26, 0
	v_cmp_gt_u32_e64 s[12:13], 32, v23
	v_lshl_add_u32 v24, v23, 4, v19
	v_lshl_or_b32 v25, v2, 4, v19
	s_add_i32 s92, s92, 1
	v_addc_co_u32_e32 v27, vcc, v18, v17, vcc
	v_mov_b32_e32 v28, -1
	s_branch .LBB95_497
.LBB95_495:                             ;   in Loop: Header=BB95_497 Depth=1
	ds_read_b128 v[29:32], v25 offset:256
	s_waitcnt vmcnt(0) lgkmcnt(0)
	v_mul_f64 v[16:17], v[20:21], v[31:32]
	v_mul_f64 v[31:32], v[18:19], v[31:32]
	v_fma_f64 v[16:17], v[18:19], v[29:30], -v[16:17]
	v_fma_f64 v[18:19], v[20:21], v[29:30], v[31:32]
	v_add_f64 v[13:14], v[13:14], v[16:17]
	v_add_f64 v[11:12], v[11:12], v[18:19]
.LBB95_496:                             ;   in Loop: Header=BB95_497 Depth=1
	s_or_b64 exec, exec, s[24:25]
	s_add_i32 s26, s26, 1
	s_cmp_eq_u32 s26, s6
	s_cbranch_scc1 .LBB95_516
.LBB95_497:                             ; =>This Loop Header: Depth=1
                                        ;     Child Loop BB95_499 Depth 2
	v_cmp_gt_i32_e32 vcc, s26, v28
	s_and_b64 s[24:25], s[4:5], vcc
	s_and_saveexec_b64 s[10:11], s[24:25]
	s_cbranch_execz .LBB95_500
; %bb.498:                              ;   in Loop: Header=BB95_497 Depth=1
	global_load_dword v28, v15, s[20:21]
	s_waitcnt vmcnt(0)
	v_cmp_le_i32_e32 vcc, s26, v28
	s_cbranch_vccnz .LBB95_500
.LBB95_499:                             ;   Parent Loop BB95_497 Depth=1
                                        ; =>  This Inner Loop Header: Depth=2
	buffer_wbinvl1_vol
	global_load_dword v28, v15, s[20:21]
	s_waitcnt vmcnt(0)
	v_cmp_gt_i32_e32 vcc, s26, v28
	s_cbranch_vccnz .LBB95_499
.LBB95_500:                             ;   in Loop: Header=BB95_497 Depth=1
	s_or_b64 exec, exec, s[10:11]
	s_sub_i32 s27, s7, s26
	s_lshl_b32 s30, s27, 5
	buffer_wbinvl1_vol
	s_barrier
	s_and_saveexec_b64 s[10:11], s[12:13]
	s_cbranch_execz .LBB95_505
; %bb.501:                              ;   in Loop: Header=BB95_497 Depth=1
	s_ashr_i32 s24, s30, 31
	v_mov_b32_e32 v17, s24
	v_or_b32_e32 v16, s30, v23
	v_cmp_le_i64_e32 vcc, s[36:37], v[16:17]
	s_and_saveexec_b64 s[24:25], vcc
	s_xor_b64 s[24:25], exec, s[24:25]
; %bb.502:                              ;   in Loop: Header=BB95_497 Depth=1
	v_mov_b32_e32 v16, v15
	v_mov_b32_e32 v17, v15
	;; [unrolled: 1-line block ×3, first 2 shown]
	ds_write_b128 v24, v[15:18]
                                        ; implicit-def: $vgpr16_vgpr17
; %bb.503:                              ;   in Loop: Header=BB95_497 Depth=1
	s_andn2_saveexec_b64 s[24:25], s[24:25]
	s_cbranch_execz .LBB95_505
; %bb.504:                              ;   in Loop: Header=BB95_497 Depth=1
	v_mul_lo_u32 v18, v17, s16
	v_mul_lo_u32 v19, v16, s17
	v_mad_u64_u32 v[16:17], s[24:25], v16, s16, 0
	v_add3_u32 v17, v17, v19, v18
	v_lshlrev_b64 v[16:17], 4, v[16:17]
	v_mov_b32_e32 v18, s29
	v_add_co_u32_e32 v16, vcc, s28, v16
	v_addc_co_u32_e32 v17, vcc, v18, v17, vcc
	global_load_dwordx4 v[16:19], v[16:17], off
	s_waitcnt vmcnt(0)
	ds_write2_b64 v24, v[16:17], v[18:19] offset1:1
.LBB95_505:                             ;   in Loop: Header=BB95_497 Depth=1
	s_or_b64 exec, exec, s[10:11]
	v_add_u32_e32 v18, s30, v2
	v_ashrrev_i32_e32 v19, 31, v18
	v_lshlrev_b64 v[16:17], 4, v[18:19]
	s_cmp_lg_u32 s27, s92
	v_add_co_u32_e32 v16, vcc, v26, v16
	s_cselect_b64 s[10:11], -1, 0
	v_addc_co_u32_e32 v17, vcc, v27, v17, vcc
	v_cmp_gt_i32_e32 vcc, s36, v18
	v_cndmask_b32_e64 v19, 0, 1, s[10:11]
	s_and_b64 s[30:31], vcc, s[8:9]
	v_cmp_ne_u32_e64 s[10:11], 1, v19
	s_waitcnt lgkmcnt(0)
	s_barrier
	s_and_saveexec_b64 s[24:25], s[30:31]
	s_cbranch_execz .LBB95_511
; %bb.506:                              ;   in Loop: Header=BB95_497 Depth=1
	v_mov_b32_e32 v20, v8
	s_and_b64 vcc, exec, s[10:11]
	v_mov_b32_e32 v19, v7
	s_cbranch_vccnz .LBB95_508
; %bb.507:                              ;   in Loop: Header=BB95_497 Depth=1
	global_load_dwordx2 v[19:20], v[16:17], off
.LBB95_508:                             ;   in Loop: Header=BB95_497 Depth=1
	v_mov_b32_e32 v22, v10
	s_and_b64 vcc, exec, s[10:11]
	v_mov_b32_e32 v21, v9
	s_cbranch_vccnz .LBB95_510
; %bb.509:                              ;   in Loop: Header=BB95_497 Depth=1
	global_load_dwordx2 v[21:22], v[16:17], off offset:8
.LBB95_510:                             ;   in Loop: Header=BB95_497 Depth=1
	ds_read_b128 v[29:32], v25
	s_waitcnt vmcnt(0) lgkmcnt(0)
	v_mul_f64 v[33:34], v[21:22], v[31:32]
	v_mul_f64 v[31:32], v[19:20], v[31:32]
	v_fma_f64 v[19:20], v[19:20], v[29:30], -v[33:34]
	v_fma_f64 v[21:22], v[21:22], v[29:30], v[31:32]
	v_add_f64 v[13:14], v[13:14], v[19:20]
	v_add_f64 v[11:12], v[11:12], v[21:22]
.LBB95_511:                             ;   in Loop: Header=BB95_497 Depth=1
	s_or_b64 exec, exec, s[24:25]
	v_add_u32_e32 v18, 16, v18
	v_cmp_gt_i32_e32 vcc, s36, v18
	s_and_b64 s[30:31], vcc, s[8:9]
	s_and_saveexec_b64 s[24:25], s[30:31]
	s_cbranch_execz .LBB95_496
; %bb.512:                              ;   in Loop: Header=BB95_497 Depth=1
	v_mov_b32_e32 v19, v4
	s_and_b64 vcc, exec, s[10:11]
	v_mov_b32_e32 v18, v3
	s_cbranch_vccnz .LBB95_514
; %bb.513:                              ;   in Loop: Header=BB95_497 Depth=1
	global_load_dwordx2 v[18:19], v[16:17], off offset:256
.LBB95_514:                             ;   in Loop: Header=BB95_497 Depth=1
	v_mov_b32_e32 v21, v6
	s_and_b64 vcc, exec, s[10:11]
	v_mov_b32_e32 v20, v5
	s_cbranch_vccnz .LBB95_495
; %bb.515:                              ;   in Loop: Header=BB95_497 Depth=1
	global_load_dwordx2 v[20:21], v[16:17], off offset:264
	s_branch .LBB95_495
.LBB95_516:
	s_xor_b64 s[4:5], s[22:23], -1
	v_lshlrev_b32_e32 v1, 4, v1
	v_mov_b32_e32 v15, v11
	v_mov_b32_e32 v16, v12
	ds_write_b128 v1, v[13:16] offset:16384
	s_waitcnt lgkmcnt(0)
	s_barrier
	s_and_saveexec_b64 s[6:7], s[2:3]
	s_cbranch_execz .LBB95_518
; %bb.517:
	v_lshlrev_b32_e32 v15, 4, v0
	ds_read_b128 v[3:6], v15 offset:16896
	ds_read_b128 v[7:10], v15 offset:17408
	s_waitcnt lgkmcnt(1)
	v_add_f64 v[3:4], v[13:14], v[3:4]
	v_add_f64 v[5:6], v[11:12], v[5:6]
	s_waitcnt lgkmcnt(0)
	v_add_f64 v[11:12], v[3:4], v[7:8]
	v_add_f64 v[13:14], v[5:6], v[9:10]
	ds_read_b128 v[3:6], v15 offset:17920
	ds_read_b128 v[7:10], v15 offset:18432
	s_waitcnt lgkmcnt(1)
	v_add_f64 v[3:4], v[11:12], v[3:4]
	v_add_f64 v[5:6], v[13:14], v[5:6]
	s_waitcnt lgkmcnt(0)
	v_add_f64 v[11:12], v[3:4], v[7:8]
	v_add_f64 v[13:14], v[5:6], v[9:10]
	;; [unrolled: 8-line block ×7, first 2 shown]
	ds_read_b128 v[3:6], v15 offset:24064
	s_waitcnt lgkmcnt(0)
	v_add_f64 v[3:4], v[7:8], v[3:4]
	v_add_f64 v[5:6], v[9:10], v[5:6]
	v_xor_b32_e32 v4, 0x80000000, v4
	v_xor_b32_e32 v6, 0x80000000, v6
	v_cndmask_b32_e64 v13, v3, 0, s[18:19]
	v_cndmask_b32_e64 v14, v4, 0, s[18:19]
	;; [unrolled: 1-line block ×4, first 2 shown]
.LBB95_518:
	s_or_b64 exec, exec, s[6:7]
	s_and_b64 vcc, exec, s[0:1]
	s_cbranch_vccnz .LBB95_527
; %bb.519:
	v_mov_b32_e32 v3, 0x6000
	v_lshl_or_b32 v7, v2, 4, v3
	s_and_saveexec_b64 s[0:1], s[2:3]
; %bb.520:
	v_lshl_add_u32 v3, v0, 4, v7
	v_mov_b32_e32 v15, v11
	v_mov_b32_e32 v16, v12
	ds_write_b128 v3, v[13:16]
; %bb.521:
	s_or_b64 exec, exec, s[0:1]
	v_mov_b32_e32 v3, 0
	v_mov_b32_e32 v5, 0
	;; [unrolled: 1-line block ×4, first 2 shown]
	v_cmp_le_u32_e32 vcc, v0, v2
	s_waitcnt lgkmcnt(0)
	s_barrier
	s_and_saveexec_b64 s[0:1], vcc
	s_cbranch_execz .LBB95_523
; %bb.522:
	ds_read_b128 v[3:6], v7
	ds_read_b128 v[15:18], v1
	s_waitcnt lgkmcnt(0)
	v_mul_f64 v[8:9], v[5:6], v[17:18]
	v_mul_f64 v[17:18], v[3:4], v[17:18]
	v_fma_f64 v[3:4], v[3:4], v[15:16], -v[8:9]
	v_fma_f64 v[5:6], v[5:6], v[15:16], v[17:18]
	v_add_f64 v[3:4], v[3:4], 0
	v_add_f64 v[5:6], v[5:6], 0
.LBB95_523:
	s_or_b64 exec, exec, s[0:1]
	v_add_u32_e32 v2, 16, v2
	v_add_u32_e32 v8, 0x4000, v1
	v_cmp_le_u32_e32 vcc, v0, v2
	s_and_saveexec_b64 s[0:1], vcc
	s_cbranch_execz .LBB95_525
; %bb.524:
	ds_read_b128 v[15:18], v7 offset:256
	ds_read_b128 v[19:22], v1 offset:8192
	s_waitcnt lgkmcnt(0)
	v_mul_f64 v[1:2], v[17:18], v[21:22]
	v_mul_f64 v[9:10], v[15:16], v[21:22]
	v_fma_f64 v[1:2], v[15:16], v[19:20], -v[1:2]
	v_fma_f64 v[9:10], v[17:18], v[19:20], v[9:10]
	v_add_f64 v[3:4], v[3:4], v[1:2]
	v_add_f64 v[5:6], v[5:6], v[9:10]
.LBB95_525:
	s_or_b64 exec, exec, s[0:1]
	s_mov_b64 s[6:7], 0
	s_mov_b64 s[0:1], 0
	ds_write_b128 v8, v[3:6]
	s_waitcnt lgkmcnt(0)
	s_barrier
                                        ; implicit-def: $vgpr1_vgpr2
                                        ; implicit-def: $vgpr7_vgpr8
	s_and_saveexec_b64 s[8:9], s[2:3]
	s_cbranch_execz .LBB95_546
; %bb.526:
	v_lshlrev_b32_e32 v19, 4, v0
	ds_read_b128 v[7:10], v19 offset:16896
	ds_read_b128 v[15:18], v19 offset:17408
	s_mov_b64 s[0:1], exec
	s_waitcnt lgkmcnt(1)
	v_add_f64 v[1:2], v[3:4], v[7:8]
	v_add_f64 v[3:4], v[5:6], v[9:10]
	s_waitcnt lgkmcnt(0)
	v_add_f64 v[9:10], v[1:2], v[15:16]
	v_add_f64 v[15:16], v[3:4], v[17:18]
	ds_read_b128 v[1:4], v19 offset:17920
	ds_read_b128 v[5:8], v19 offset:18432
	s_waitcnt lgkmcnt(1)
	v_add_f64 v[1:2], v[9:10], v[1:2]
	v_add_f64 v[3:4], v[15:16], v[3:4]
	s_waitcnt lgkmcnt(0)
	v_add_f64 v[9:10], v[1:2], v[5:6]
	v_add_f64 v[15:16], v[3:4], v[7:8]
	ds_read_b128 v[1:4], v19 offset:18944
	ds_read_b128 v[5:8], v19 offset:19456
	s_waitcnt lgkmcnt(1)
	v_add_f64 v[1:2], v[9:10], v[1:2]
	v_add_f64 v[3:4], v[15:16], v[3:4]
	s_waitcnt lgkmcnt(0)
	v_add_f64 v[9:10], v[1:2], v[5:6]
	v_add_f64 v[15:16], v[3:4], v[7:8]
	ds_read_b128 v[1:4], v19 offset:19968
	ds_read_b128 v[5:8], v19 offset:20480
	s_waitcnt lgkmcnt(1)
	v_add_f64 v[1:2], v[9:10], v[1:2]
	v_add_f64 v[3:4], v[15:16], v[3:4]
	s_waitcnt lgkmcnt(0)
	v_add_f64 v[9:10], v[1:2], v[5:6]
	v_add_f64 v[15:16], v[3:4], v[7:8]
	ds_read_b128 v[1:4], v19 offset:20992
	ds_read_b128 v[5:8], v19 offset:21504
	s_waitcnt lgkmcnt(1)
	v_add_f64 v[1:2], v[9:10], v[1:2]
	v_add_f64 v[3:4], v[15:16], v[3:4]
	s_waitcnt lgkmcnt(0)
	v_add_f64 v[9:10], v[1:2], v[5:6]
	v_add_f64 v[15:16], v[3:4], v[7:8]
	ds_read_b128 v[1:4], v19 offset:22016
	ds_read_b128 v[5:8], v19 offset:22528
	s_waitcnt lgkmcnt(1)
	v_add_f64 v[1:2], v[9:10], v[1:2]
	v_add_f64 v[3:4], v[15:16], v[3:4]
	s_waitcnt lgkmcnt(0)
	v_add_f64 v[9:10], v[1:2], v[5:6]
	v_add_f64 v[15:16], v[3:4], v[7:8]
	ds_read_b128 v[1:4], v19 offset:23040
	ds_read_b128 v[5:8], v19 offset:23552
	s_waitcnt lgkmcnt(1)
	v_add_f64 v[1:2], v[9:10], v[1:2]
	v_add_f64 v[3:4], v[15:16], v[3:4]
	s_waitcnt lgkmcnt(0)
	v_add_f64 v[5:6], v[1:2], v[5:6]
	v_add_f64 v[9:10], v[3:4], v[7:8]
	ds_read_b128 v[1:4], v19 offset:24064
	s_waitcnt lgkmcnt(0)
	v_add_f64 v[7:8], v[5:6], v[1:2]
	v_add_f64 v[1:2], v[9:10], v[3:4]
	s_or_b64 exec, exec, s[8:9]
	s_and_b64 vcc, exec, s[6:7]
	s_cbranch_vccnz .LBB95_528
	s_branch .LBB95_547
.LBB95_527:
	s_mov_b64 s[0:1], 0
                                        ; implicit-def: $vgpr1_vgpr2
                                        ; implicit-def: $vgpr7_vgpr8
	s_cbranch_execz .LBB95_547
.LBB95_528:
	s_movk_i32 s6, 0x210
	v_lshlrev_b32_e32 v2, 9, v0
	v_mov_b32_e32 v3, 0x3c00
	v_mul_u32_u24_e32 v1, 0x210, v0
	v_sub_u32_e32 v2, 0, v2
	v_mad_u32_u24 v3, v0, s6, v3
	s_mov_b32 s8, 31
	s_movk_i32 s9, 0xc200
	v_mov_b32_e32 v4, 0
	s_branch .LBB95_530
.LBB95_529:                             ;   in Loop: Header=BB95_530 Depth=1
	s_or_b64 exec, exec, s[6:7]
	s_add_i32 s8, s8, -2
	s_cmp_lg_u32 s10, 0
	v_add_u32_e32 v2, 0xfffffc00, v2
	s_barrier
	s_cbranch_scc0 .LBB95_538
.LBB95_530:                             ; =>This Inner Loop Header: Depth=1
	v_cmp_eq_u32_e32 vcc, s9, v2
	s_and_b64 s[10:11], s[2:3], vcc
	s_and_saveexec_b64 s[6:7], s[10:11]
	s_cbranch_execz .LBB95_532
; %bb.531:                              ;   in Loop: Header=BB95_530 Depth=1
	ds_read_b128 v[5:8], v1
	s_waitcnt lgkmcnt(0)
	v_mul_f64 v[9:10], v[11:12], v[7:8]
	v_mul_f64 v[7:8], v[13:14], v[7:8]
	v_fma_f64 v[9:10], v[13:14], v[5:6], -v[9:10]
	v_fma_f64 v[11:12], v[11:12], v[5:6], v[7:8]
	v_mov_b32_e32 v14, v10
	v_mov_b32_e32 v13, v9
	ds_write_b128 v4, v[9:12] offset:25088
.LBB95_532:                             ;   in Loop: Header=BB95_530 Depth=1
	s_or_b64 exec, exec, s[6:7]
	v_cmp_gt_u32_e32 vcc, s8, v0
	s_and_b64 s[10:11], s[2:3], vcc
	v_add_u32_e32 v5, v3, v2
	s_waitcnt lgkmcnt(0)
	s_barrier
	s_and_saveexec_b64 s[6:7], s[10:11]
	s_cbranch_execz .LBB95_534
; %bb.533:                              ;   in Loop: Header=BB95_530 Depth=1
	ds_read_b128 v[6:9], v4 offset:25088
	ds_read_b128 v[15:18], v5 offset:512
	s_waitcnt lgkmcnt(0)
	v_mul_f64 v[19:20], v[8:9], v[17:18]
	v_mul_f64 v[17:18], v[6:7], v[17:18]
	v_fma_f64 v[6:7], v[6:7], v[15:16], -v[19:20]
	v_fma_f64 v[8:9], v[8:9], v[15:16], v[17:18]
	v_add_f64 v[13:14], v[13:14], v[6:7]
	v_add_f64 v[11:12], v[11:12], v[8:9]
.LBB95_534:                             ;   in Loop: Header=BB95_530 Depth=1
	s_or_b64 exec, exec, s[6:7]
	s_add_i32 s10, s8, -1
	v_cmp_eq_u32_e32 vcc, s10, v0
	s_and_b64 s[12:13], s[2:3], vcc
	s_barrier
	s_and_saveexec_b64 s[6:7], s[12:13]
	s_cbranch_execz .LBB95_536
; %bb.535:                              ;   in Loop: Header=BB95_530 Depth=1
	ds_read_b128 v[6:9], v1
	s_waitcnt lgkmcnt(0)
	v_mul_f64 v[15:16], v[11:12], v[8:9]
	v_mul_f64 v[17:18], v[13:14], v[8:9]
	v_fma_f64 v[9:10], v[13:14], v[6:7], -v[15:16]
	v_fma_f64 v[11:12], v[11:12], v[6:7], v[17:18]
	v_mov_b32_e32 v14, v10
	v_mov_b32_e32 v13, v9
	ds_write_b128 v4, v[9:12] offset:25088
.LBB95_536:                             ;   in Loop: Header=BB95_530 Depth=1
	s_or_b64 exec, exec, s[6:7]
	v_cmp_gt_u32_e32 vcc, s10, v0
	s_and_b64 s[12:13], s[2:3], vcc
	s_waitcnt lgkmcnt(0)
	s_barrier
	s_and_saveexec_b64 s[6:7], s[12:13]
	s_cbranch_execz .LBB95_529
; %bb.537:                              ;   in Loop: Header=BB95_530 Depth=1
	ds_read_b128 v[6:9], v4 offset:25088
	ds_read_b128 v[15:18], v5
	s_waitcnt lgkmcnt(0)
	v_mul_f64 v[19:20], v[8:9], v[17:18]
	v_mul_f64 v[17:18], v[6:7], v[17:18]
	v_fma_f64 v[5:6], v[6:7], v[15:16], -v[19:20]
	v_fma_f64 v[7:8], v[8:9], v[15:16], v[17:18]
	v_add_f64 v[13:14], v[13:14], v[5:6]
	v_add_f64 v[11:12], v[11:12], v[7:8]
	s_branch .LBB95_529
.LBB95_538:
	s_mov_b64 s[6:7], -1
	s_and_b64 vcc, exec, s[4:5]
	s_cbranch_vccnz .LBB95_548
; %bb.539:
	s_andn2_b64 vcc, exec, s[6:7]
	s_cbranch_vccz .LBB95_549
.LBB95_540:
	s_and_saveexec_b64 s[2:3], s[0:1]
	s_cbranch_execz .LBB95_542
.LBB95_541:
	v_mov_b32_e32 v0, s40
	v_add_co_u32_e32 v1, vcc, s33, v23
	v_addc_co_u32_e32 v0, vcc, 0, v0, vcc
	v_mul_lo_u32 v2, v0, s16
	v_mul_lo_u32 v3, v1, s17
	v_mad_u64_u32 v[0:1], s[0:1], v1, s16, 0
	v_mov_b32_e32 v15, v11
	v_mov_b32_e32 v16, v12
	v_add3_u32 v1, v1, v3, v2
	v_lshlrev_b64 v[0:1], 4, v[0:1]
	v_mov_b32_e32 v2, s29
	v_add_co_u32_e32 v0, vcc, s28, v0
	v_addc_co_u32_e32 v1, vcc, v2, v1, vcc
	global_store_dwordx4 v[0:1], v[13:16], off
.LBB95_542:
	s_or_b64 exec, exec, s[2:3]
	v_cmp_eq_u32_e32 vcc, 0, v23
	s_waitcnt vmcnt(0)
	buffer_wbinvl1_vol
	s_barrier
	s_and_saveexec_b64 s[0:1], vcc
	s_cbranch_execz .LBB95_544
; %bb.543:
	s_lshl_b64 s[2:3], s[34:35], 2
	s_add_u32 s2, s14, s2
	s_addc_u32 s3, s15, s3
	v_mov_b32_e32 v0, 0
	global_load_dword v1, v0, s[2:3]
	s_waitcnt vmcnt(0)
	v_add_u32_e32 v1, 1, v1
	global_store_dword v0, v1, s[2:3]
.LBB95_544:
	s_or_b64 exec, exec, s[0:1]
	s_waitcnt vmcnt(0)
	buffer_wbinvl1_vol
	s_endpgm
.LBB95_545:
                                        ; implicit-def: $vgpr5_vgpr6
                                        ; implicit-def: $vgpr9_vgpr10
                                        ; implicit-def: $sgpr33
	s_cbranch_execnz .LBB95_6
	s_branch .LBB95_7
.LBB95_546:
	s_or_b64 exec, exec, s[8:9]
	s_and_b64 vcc, exec, s[6:7]
	s_cbranch_vccnz .LBB95_528
.LBB95_547:
	v_mov_b32_e32 v12, v2
	v_mov_b32_e32 v14, v8
	;; [unrolled: 1-line block ×4, first 2 shown]
	s_and_saveexec_b64 s[2:3], s[0:1]
	s_cbranch_execnz .LBB95_541
	s_branch .LBB95_542
.LBB95_548:
	s_andn2_b64 s[0:1], s[0:1], exec
	s_and_b64 s[4:5], s[2:3], exec
	s_or_b64 s[0:1], s[0:1], s[4:5]
	s_cbranch_execnz .LBB95_540
.LBB95_549:
	v_cmp_gt_i32_e32 vcc, s93, v0
	s_and_b64 s[2:3], s[2:3], vcc
	s_andn2_b64 s[0:1], s[0:1], exec
	s_and_b64 s[2:3], s[2:3], exec
	s_or_b64 s[0:1], s[0:1], s[2:3]
	s_and_saveexec_b64 s[2:3], s[0:1]
	s_cbranch_execnz .LBB95_541
	s_branch .LBB95_542
.LBB95_550:
	v_lshlrev_b32_e32 v23, 4, v22
	v_sub_u32_e32 v23, v20, v23
	v_lshl_add_u32 v27, v21, 4, v23
	ds_read_b128 v[23:26], v20 offset:16
	ds_read_b128 v[27:30], v27 offset:576
	s_waitcnt lgkmcnt(0)
	v_mul_f64 v[31:32], v[25:26], v[29:30]
	v_mul_f64 v[29:30], v[23:24], v[29:30]
	v_fma_f64 v[23:24], v[23:24], v[27:28], -v[31:32]
	v_fma_f64 v[25:26], v[25:26], v[27:28], v[29:30]
	v_add_f64 v[11:12], v[11:12], v[23:24]
	v_add_f64 v[13:14], v[13:14], v[25:26]
	s_or_b64 exec, exec, s[18:19]
	v_cmp_gt_u32_e64 s[12:13], 8, v1
	s_and_saveexec_b64 s[18:19], s[12:13]
	s_cbranch_execz .LBB95_89
.LBB95_551:
	ds_read_b128 v[23:26], v20 offset:32
	ds_read_b128 v[27:30], v18 offset:1088
	s_waitcnt lgkmcnt(0)
	v_mul_f64 v[31:32], v[25:26], v[29:30]
	v_mul_f64 v[29:30], v[23:24], v[29:30]
	v_fma_f64 v[23:24], v[23:24], v[27:28], -v[31:32]
	v_fma_f64 v[25:26], v[25:26], v[27:28], v[29:30]
	v_add_f64 v[11:12], v[11:12], v[23:24]
	v_add_f64 v[13:14], v[13:14], v[25:26]
	s_or_b64 exec, exec, s[18:19]
	v_cmp_gt_u32_e64 s[12:13], 4, v1
	s_and_saveexec_b64 s[18:19], s[12:13]
	s_cbranch_execnz .LBB95_90
	s_branch .LBB95_91
.LBB95_552:
	v_lshlrev_b32_e32 v28, 4, v27
	v_sub_u32_e32 v28, v25, v28
	v_lshl_add_u32 v32, v26, 4, v28
	ds_read_b128 v[28:31], v25 offset:16
	ds_read_b128 v[32:35], v32 offset:640
	s_waitcnt lgkmcnt(0)
	v_mul_f64 v[36:37], v[30:31], v[34:35]
	v_mul_f64 v[34:35], v[28:29], v[34:35]
	v_fma_f64 v[28:29], v[28:29], v[32:33], -v[36:37]
	v_fma_f64 v[30:31], v[30:31], v[32:33], v[34:35]
	v_add_f64 v[11:12], v[11:12], v[28:29]
	v_add_f64 v[13:14], v[13:14], v[30:31]
	s_or_b64 exec, exec, s[58:59]
	v_cmp_gt_u32_e64 s[14:15], 48, v1
	s_and_saveexec_b64 s[58:59], s[14:15]
	s_cbranch_execz .LBB95_131
.LBB95_553:
	v_lshlrev_b32_e32 v28, 4, v27
	v_sub_u32_e32 v28, v25, v28
	v_lshl_add_u32 v32, v26, 4, v28
	ds_read_b128 v[28:31], v25 offset:32
	ds_read_b128 v[32:35], v32 offset:1152
	s_waitcnt lgkmcnt(0)
	v_mul_f64 v[36:37], v[30:31], v[34:35]
	v_mul_f64 v[34:35], v[28:29], v[34:35]
	v_fma_f64 v[28:29], v[28:29], v[32:33], -v[36:37]
	v_fma_f64 v[30:31], v[30:31], v[32:33], v[34:35]
	v_add_f64 v[11:12], v[11:12], v[28:29]
	v_add_f64 v[13:14], v[13:14], v[30:31]
	s_or_b64 exec, exec, s[58:59]
	v_cmp_gt_u32_e64 s[14:15], 40, v1
	s_and_saveexec_b64 s[58:59], s[14:15]
	s_cbranch_execz .LBB95_132
.LBB95_554:
	v_lshlrev_b32_e32 v28, 4, v27
	v_sub_u32_e32 v28, v25, v28
	v_lshl_add_u32 v32, v26, 4, v28
	ds_read_b128 v[28:31], v25 offset:48
	ds_read_b128 v[32:35], v32 offset:1664
	s_waitcnt lgkmcnt(0)
	v_mul_f64 v[36:37], v[30:31], v[34:35]
	v_mul_f64 v[34:35], v[28:29], v[34:35]
	v_fma_f64 v[28:29], v[28:29], v[32:33], -v[36:37]
	v_fma_f64 v[30:31], v[30:31], v[32:33], v[34:35]
	v_add_f64 v[11:12], v[11:12], v[28:29]
	v_add_f64 v[13:14], v[13:14], v[30:31]
	s_or_b64 exec, exec, s[58:59]
	v_cmp_gt_u32_e64 s[14:15], 32, v1
	s_and_saveexec_b64 s[58:59], s[14:15]
	s_cbranch_execz .LBB95_133
.LBB95_555:
	ds_read_b128 v[28:31], v25 offset:64
	ds_read_b128 v[32:35], v23 offset:2176
	s_waitcnt lgkmcnt(0)
	v_mul_f64 v[36:37], v[30:31], v[34:35]
	v_mul_f64 v[34:35], v[28:29], v[34:35]
	v_fma_f64 v[28:29], v[28:29], v[32:33], -v[36:37]
	v_fma_f64 v[30:31], v[30:31], v[32:33], v[34:35]
	v_add_f64 v[11:12], v[11:12], v[28:29]
	v_add_f64 v[13:14], v[13:14], v[30:31]
	s_or_b64 exec, exec, s[58:59]
	v_cmp_gt_u32_e64 s[14:15], 24, v1
	s_and_saveexec_b64 s[58:59], s[14:15]
	s_cbranch_execz .LBB95_134
.LBB95_556:
	v_lshlrev_b32_e32 v28, 4, v27
	v_sub_u32_e32 v28, v25, v28
	v_lshl_add_u32 v32, v26, 4, v28
	ds_read_b128 v[28:31], v25 offset:80
	ds_read_b128 v[32:35], v32 offset:2688
	s_waitcnt lgkmcnt(0)
	v_mul_f64 v[36:37], v[30:31], v[34:35]
	v_mul_f64 v[34:35], v[28:29], v[34:35]
	v_fma_f64 v[28:29], v[28:29], v[32:33], -v[36:37]
	v_fma_f64 v[30:31], v[30:31], v[32:33], v[34:35]
	v_add_f64 v[11:12], v[11:12], v[28:29]
	v_add_f64 v[13:14], v[13:14], v[30:31]
	s_or_b64 exec, exec, s[58:59]
	v_cmp_gt_u32_e64 s[14:15], 16, v1
	s_and_saveexec_b64 s[58:59], s[14:15]
	s_cbranch_execz .LBB95_135
.LBB95_557:
	ds_read_b128 v[28:31], v25 offset:96
	ds_read_b128 v[32:35], v23 offset:3200
	s_waitcnt lgkmcnt(0)
	v_mul_f64 v[36:37], v[30:31], v[34:35]
	v_mul_f64 v[34:35], v[28:29], v[34:35]
	v_fma_f64 v[28:29], v[28:29], v[32:33], -v[36:37]
	v_fma_f64 v[30:31], v[30:31], v[32:33], v[34:35]
	v_add_f64 v[11:12], v[11:12], v[28:29]
	v_add_f64 v[13:14], v[13:14], v[30:31]
	s_or_b64 exec, exec, s[58:59]
	v_cmp_gt_u32_e64 s[14:15], 8, v1
	s_and_saveexec_b64 s[58:59], s[14:15]
	s_cbranch_execnz .LBB95_136
	s_branch .LBB95_137
.LBB95_558:
	v_lshlrev_b32_e32 v29, 4, v22
	v_sub_u32_e32 v29, v28, v29
	v_lshl_add_u32 v33, v21, 4, v29
	ds_read_b128 v[29:32], v28 offset:4240
	ds_read_b128 v[33:36], v33 offset:4800
	s_waitcnt lgkmcnt(0)
	v_mul_f64 v[37:38], v[31:32], v[35:36]
	v_mul_f64 v[35:36], v[29:30], v[35:36]
	v_fma_f64 v[29:30], v[29:30], v[33:34], -v[37:38]
	v_fma_f64 v[31:32], v[31:32], v[33:34], v[35:36]
	v_add_f64 v[11:12], v[11:12], v[29:30]
	v_add_f64 v[13:14], v[13:14], v[31:32]
	s_or_b64 exec, exec, s[18:19]
	v_cmp_gt_u32_e64 s[12:13], 8, v1
	s_and_saveexec_b64 s[18:19], s[12:13]
	s_cbranch_execz .LBB95_193
.LBB95_559:
	ds_read_b128 v[28:31], v28 offset:4256
	ds_read_b128 v[32:35], v18 offset:5312
	s_waitcnt lgkmcnt(0)
	v_mul_f64 v[36:37], v[30:31], v[34:35]
	v_mul_f64 v[34:35], v[28:29], v[34:35]
	v_fma_f64 v[28:29], v[28:29], v[32:33], -v[36:37]
	v_fma_f64 v[30:31], v[30:31], v[32:33], v[34:35]
	v_add_f64 v[11:12], v[11:12], v[28:29]
	v_add_f64 v[13:14], v[13:14], v[30:31]
	s_or_b64 exec, exec, s[18:19]
	v_cmp_gt_u32_e64 s[12:13], 4, v1
	s_and_saveexec_b64 s[18:19], s[12:13]
	s_cbranch_execnz .LBB95_194
	s_branch .LBB95_195
.LBB95_560:
	ds_read_b128 v[33:36], v32 offset:176
	ds_read_b128 v[37:40], v28 offset:5888
	s_waitcnt lgkmcnt(0)
	v_mul_f64 v[41:42], v[35:36], v[39:40]
	v_mul_f64 v[39:40], v[33:34], v[39:40]
	v_fma_f64 v[33:34], v[33:34], v[37:38], -v[41:42]
	v_fma_f64 v[35:36], v[35:36], v[37:38], v[39:40]
	v_add_f64 v[11:12], v[11:12], v[33:34]
	v_add_f64 v[13:14], v[13:14], v[35:36]
	s_or_b64 exec, exec, s[90:91]
	v_cmp_gt_u32_e64 s[18:19], 64, v1
	s_and_saveexec_b64 s[90:91], s[18:19]
	s_cbranch_execz .LBB95_255
.LBB95_561:
	ds_read_b128 v[33:36], v32 offset:192
	ds_read_b128 v[37:40], v28 offset:6400
	s_waitcnt lgkmcnt(0)
	v_mul_f64 v[41:42], v[35:36], v[39:40]
	v_mul_f64 v[39:40], v[33:34], v[39:40]
	v_fma_f64 v[33:34], v[33:34], v[37:38], -v[41:42]
	v_fma_f64 v[35:36], v[35:36], v[37:38], v[39:40]
	v_add_f64 v[11:12], v[11:12], v[33:34]
	v_add_f64 v[13:14], v[13:14], v[35:36]
	s_or_b64 exec, exec, s[90:91]
	v_cmp_gt_u32_e64 s[18:19], 48, v1
	s_and_saveexec_b64 s[90:91], s[18:19]
	s_cbranch_execz .LBB95_256
.LBB95_562:
	ds_read_b128 v[33:36], v32 offset:208
	ds_read_b128 v[37:40], v28 offset:6912
	s_waitcnt lgkmcnt(0)
	v_mul_f64 v[41:42], v[35:36], v[39:40]
	v_mul_f64 v[39:40], v[33:34], v[39:40]
	v_fma_f64 v[33:34], v[33:34], v[37:38], -v[41:42]
	v_fma_f64 v[35:36], v[35:36], v[37:38], v[39:40]
	v_add_f64 v[11:12], v[11:12], v[33:34]
	v_add_f64 v[13:14], v[13:14], v[35:36]
	s_or_b64 exec, exec, s[90:91]
	v_cmp_gt_u32_e64 s[18:19], 32, v1
	s_and_saveexec_b64 s[90:91], s[18:19]
	s_cbranch_execz .LBB95_257
.LBB95_563:
	ds_read_b128 v[32:35], v32 offset:224
	ds_read_b128 v[36:39], v28 offset:7424
	s_waitcnt lgkmcnt(0)
	v_mul_f64 v[40:41], v[34:35], v[38:39]
	v_mul_f64 v[38:39], v[32:33], v[38:39]
	v_fma_f64 v[32:33], v[32:33], v[36:37], -v[40:41]
	v_fma_f64 v[34:35], v[34:35], v[36:37], v[38:39]
	v_add_f64 v[11:12], v[11:12], v[32:33]
	v_add_f64 v[13:14], v[13:14], v[34:35]
	s_or_b64 exec, exec, s[90:91]
	v_cmp_gt_u32_e64 s[18:19], 16, v1
	s_and_saveexec_b64 s[90:91], s[18:19]
	s_cbranch_execnz .LBB95_258
	s_branch .LBB95_259
.LBB95_564:
	v_lshlrev_b32_e32 v29, 4, v22
	v_sub_u32_e32 v29, v28, v29
	v_lshl_add_u32 v33, v21, 4, v29
	ds_read_b128 v[29:32], v28 offset:8464
	ds_read_b128 v[33:36], v33 offset:9024
	s_waitcnt lgkmcnt(0)
	v_mul_f64 v[37:38], v[31:32], v[35:36]
	v_mul_f64 v[35:36], v[29:30], v[35:36]
	v_fma_f64 v[29:30], v[29:30], v[33:34], -v[37:38]
	v_fma_f64 v[31:32], v[31:32], v[33:34], v[35:36]
	v_add_f64 v[11:12], v[11:12], v[29:30]
	v_add_f64 v[13:14], v[13:14], v[31:32]
	s_or_b64 exec, exec, s[14:15]
	v_cmp_gt_u32_e64 s[10:11], 8, v1
	s_and_saveexec_b64 s[14:15], s[10:11]
	s_cbranch_execz .LBB95_347
.LBB95_565:
	ds_read_b128 v[28:31], v28 offset:8480
	ds_read_b128 v[32:35], v18 offset:9536
	s_waitcnt lgkmcnt(0)
	v_mul_f64 v[36:37], v[30:31], v[34:35]
	v_mul_f64 v[34:35], v[28:29], v[34:35]
	v_fma_f64 v[28:29], v[28:29], v[32:33], -v[36:37]
	v_fma_f64 v[30:31], v[30:31], v[32:33], v[34:35]
	v_add_f64 v[11:12], v[11:12], v[28:29]
	v_add_f64 v[13:14], v[13:14], v[30:31]
	s_or_b64 exec, exec, s[14:15]
	v_cmp_gt_u32_e64 s[10:11], 4, v1
	s_and_saveexec_b64 s[14:15], s[10:11]
	s_cbranch_execnz .LBB95_348
	s_branch .LBB95_349
.LBB95_566:
	v_lshlrev_b32_e32 v29, 4, v27
	v_sub_u32_e32 v29, v28, v29
	v_lshl_add_u32 v33, v26, 4, v29
	ds_read_b128 v[29:32], v28 offset:8464
	ds_read_b128 v[33:36], v33 offset:9088
	s_waitcnt lgkmcnt(0)
	v_mul_f64 v[37:38], v[31:32], v[35:36]
	v_mul_f64 v[35:36], v[29:30], v[35:36]
	v_fma_f64 v[29:30], v[29:30], v[33:34], -v[37:38]
	v_fma_f64 v[31:32], v[31:32], v[33:34], v[35:36]
	v_add_f64 v[11:12], v[11:12], v[29:30]
	v_add_f64 v[13:14], v[13:14], v[31:32]
	s_or_b64 exec, exec, s[14:15]
	v_cmp_gt_u32_e64 s[10:11], 48, v1
	s_and_saveexec_b64 s[14:15], s[10:11]
	s_cbranch_execz .LBB95_389
.LBB95_567:
	v_lshlrev_b32_e32 v29, 4, v27
	v_sub_u32_e32 v29, v28, v29
	v_lshl_add_u32 v33, v26, 4, v29
	ds_read_b128 v[29:32], v28 offset:8480
	ds_read_b128 v[33:36], v33 offset:9600
	s_waitcnt lgkmcnt(0)
	v_mul_f64 v[37:38], v[31:32], v[35:36]
	v_mul_f64 v[35:36], v[29:30], v[35:36]
	v_fma_f64 v[29:30], v[29:30], v[33:34], -v[37:38]
	v_fma_f64 v[31:32], v[31:32], v[33:34], v[35:36]
	v_add_f64 v[11:12], v[11:12], v[29:30]
	v_add_f64 v[13:14], v[13:14], v[31:32]
	s_or_b64 exec, exec, s[14:15]
	v_cmp_gt_u32_e64 s[10:11], 40, v1
	s_and_saveexec_b64 s[14:15], s[10:11]
	s_cbranch_execz .LBB95_390
.LBB95_568:
	v_lshlrev_b32_e32 v29, 4, v27
	v_sub_u32_e32 v29, v28, v29
	v_lshl_add_u32 v33, v26, 4, v29
	ds_read_b128 v[29:32], v28 offset:8496
	ds_read_b128 v[33:36], v33 offset:10112
	s_waitcnt lgkmcnt(0)
	v_mul_f64 v[37:38], v[31:32], v[35:36]
	v_mul_f64 v[35:36], v[29:30], v[35:36]
	v_fma_f64 v[29:30], v[29:30], v[33:34], -v[37:38]
	v_fma_f64 v[31:32], v[31:32], v[33:34], v[35:36]
	v_add_f64 v[11:12], v[11:12], v[29:30]
	v_add_f64 v[13:14], v[13:14], v[31:32]
	s_or_b64 exec, exec, s[14:15]
	v_cmp_gt_u32_e64 s[10:11], 32, v1
	s_and_saveexec_b64 s[14:15], s[10:11]
	s_cbranch_execz .LBB95_391
.LBB95_569:
	ds_read_b128 v[29:32], v28 offset:8512
	ds_read_b128 v[33:36], v23 offset:10624
	s_waitcnt lgkmcnt(0)
	v_mul_f64 v[37:38], v[31:32], v[35:36]
	v_mul_f64 v[35:36], v[29:30], v[35:36]
	v_fma_f64 v[29:30], v[29:30], v[33:34], -v[37:38]
	v_fma_f64 v[31:32], v[31:32], v[33:34], v[35:36]
	v_add_f64 v[11:12], v[11:12], v[29:30]
	v_add_f64 v[13:14], v[13:14], v[31:32]
	s_or_b64 exec, exec, s[14:15]
	v_cmp_gt_u32_e64 s[10:11], 24, v1
	s_and_saveexec_b64 s[14:15], s[10:11]
	s_cbranch_execz .LBB95_392
.LBB95_570:
	v_lshlrev_b32_e32 v27, 4, v27
	v_sub_u32_e32 v27, v28, v27
	v_lshl_add_u32 v26, v26, 4, v27
	ds_read_b128 v[29:32], v28 offset:8528
	ds_read_b128 v[33:36], v26 offset:11136
	s_waitcnt lgkmcnt(0)
	v_mul_f64 v[26:27], v[31:32], v[35:36]
	v_mul_f64 v[35:36], v[29:30], v[35:36]
	v_fma_f64 v[26:27], v[29:30], v[33:34], -v[26:27]
	v_fma_f64 v[29:30], v[31:32], v[33:34], v[35:36]
	v_add_f64 v[11:12], v[11:12], v[26:27]
	v_add_f64 v[13:14], v[13:14], v[29:30]
	s_or_b64 exec, exec, s[14:15]
	v_cmp_gt_u32_e64 s[10:11], 16, v1
	s_and_saveexec_b64 s[14:15], s[10:11]
	s_cbranch_execz .LBB95_393
.LBB95_571:
	ds_read_b128 v[26:29], v28 offset:8544
	ds_read_b128 v[30:33], v23 offset:11648
	s_waitcnt lgkmcnt(0)
	v_mul_f64 v[34:35], v[28:29], v[32:33]
	v_mul_f64 v[32:33], v[26:27], v[32:33]
	v_fma_f64 v[26:27], v[26:27], v[30:31], -v[34:35]
	v_fma_f64 v[28:29], v[28:29], v[30:31], v[32:33]
	v_add_f64 v[11:12], v[11:12], v[26:27]
	v_add_f64 v[13:14], v[13:14], v[28:29]
	s_or_b64 exec, exec, s[14:15]
	v_cmp_gt_u32_e64 s[10:11], 8, v1
	s_and_saveexec_b64 s[14:15], s[10:11]
	s_cbranch_execnz .LBB95_394
	s_branch .LBB95_395
.LBB95_572:
	v_lshlrev_b32_e32 v22, 4, v22
	v_sub_u32_e32 v22, v23, v22
	v_lshl_add_u32 v21, v21, 4, v22
	ds_read_b128 v[24:27], v23 offset:12688
	ds_read_b128 v[28:31], v21 offset:13248
	s_waitcnt lgkmcnt(0)
	v_mul_f64 v[21:22], v[26:27], v[30:31]
	v_mul_f64 v[30:31], v[24:25], v[30:31]
	v_fma_f64 v[21:22], v[24:25], v[28:29], -v[21:22]
	v_fma_f64 v[24:25], v[26:27], v[28:29], v[30:31]
	v_add_f64 v[11:12], v[11:12], v[21:22]
	v_add_f64 v[13:14], v[13:14], v[24:25]
	s_or_b64 exec, exec, s[12:13]
	v_cmp_gt_u32_e64 s[8:9], 8, v1
	s_and_saveexec_b64 s[12:13], s[8:9]
	s_cbranch_execz .LBB95_451
.LBB95_573:
	ds_read_b128 v[21:24], v23 offset:12704
	ds_read_b128 v[25:28], v18 offset:13760
	s_waitcnt lgkmcnt(0)
	v_mul_f64 v[29:30], v[23:24], v[27:28]
	v_mul_f64 v[27:28], v[21:22], v[27:28]
	v_fma_f64 v[21:22], v[21:22], v[25:26], -v[29:30]
	v_fma_f64 v[23:24], v[23:24], v[25:26], v[27:28]
	v_add_f64 v[11:12], v[11:12], v[21:22]
	v_add_f64 v[13:14], v[13:14], v[23:24]
	s_or_b64 exec, exec, s[12:13]
	v_cmp_gt_u32_e64 s[8:9], 4, v1
	s_and_saveexec_b64 s[12:13], s[8:9]
	s_cbranch_execnz .LBB95_452
	s_branch .LBB95_453
	.section	.rodata,"a",@progbits
	.p2align	6, 0x0
	.amdhsa_kernel _ZL19rocblas_trsv_deviceILi32ELi16ELb1ELb1ELb0ELb0E19rocblas_complex_numIdES1_PKS1_PS1_EviT7_lllT6_T8_lllPii
		.amdhsa_group_segment_fixed_size 25104
		.amdhsa_private_segment_fixed_size 0
		.amdhsa_kernarg_size 360
		.amdhsa_user_sgpr_count 6
		.amdhsa_user_sgpr_private_segment_buffer 1
		.amdhsa_user_sgpr_dispatch_ptr 0
		.amdhsa_user_sgpr_queue_ptr 0
		.amdhsa_user_sgpr_kernarg_segment_ptr 1
		.amdhsa_user_sgpr_dispatch_id 0
		.amdhsa_user_sgpr_flat_scratch_init 0
		.amdhsa_user_sgpr_private_segment_size 0
		.amdhsa_uses_dynamic_stack 0
		.amdhsa_system_sgpr_private_segment_wavefront_offset 0
		.amdhsa_system_sgpr_workgroup_id_x 1
		.amdhsa_system_sgpr_workgroup_id_y 0
		.amdhsa_system_sgpr_workgroup_id_z 1
		.amdhsa_system_sgpr_workgroup_info 0
		.amdhsa_system_vgpr_workitem_id 1
		.amdhsa_next_free_vgpr 49
		.amdhsa_next_free_sgpr 98
		.amdhsa_reserve_vcc 1
		.amdhsa_reserve_flat_scratch 0
		.amdhsa_float_round_mode_32 0
		.amdhsa_float_round_mode_16_64 0
		.amdhsa_float_denorm_mode_32 3
		.amdhsa_float_denorm_mode_16_64 3
		.amdhsa_dx10_clamp 1
		.amdhsa_ieee_mode 1
		.amdhsa_fp16_overflow 0
		.amdhsa_exception_fp_ieee_invalid_op 0
		.amdhsa_exception_fp_denorm_src 0
		.amdhsa_exception_fp_ieee_div_zero 0
		.amdhsa_exception_fp_ieee_overflow 0
		.amdhsa_exception_fp_ieee_underflow 0
		.amdhsa_exception_fp_ieee_inexact 0
		.amdhsa_exception_int_div_zero 0
	.end_amdhsa_kernel
	.section	.text._ZL19rocblas_trsv_deviceILi32ELi16ELb1ELb1ELb0ELb0E19rocblas_complex_numIdES1_PKS1_PS1_EviT7_lllT6_T8_lllPii,"axG",@progbits,_ZL19rocblas_trsv_deviceILi32ELi16ELb1ELb1ELb0ELb0E19rocblas_complex_numIdES1_PKS1_PS1_EviT7_lllT6_T8_lllPii,comdat
.Lfunc_end95:
	.size	_ZL19rocblas_trsv_deviceILi32ELi16ELb1ELb1ELb0ELb0E19rocblas_complex_numIdES1_PKS1_PS1_EviT7_lllT6_T8_lllPii, .Lfunc_end95-_ZL19rocblas_trsv_deviceILi32ELi16ELb1ELb1ELb0ELb0E19rocblas_complex_numIdES1_PKS1_PS1_EviT7_lllT6_T8_lllPii
                                        ; -- End function
	.set _ZL19rocblas_trsv_deviceILi32ELi16ELb1ELb1ELb0ELb0E19rocblas_complex_numIdES1_PKS1_PS1_EviT7_lllT6_T8_lllPii.num_vgpr, 44
	.set _ZL19rocblas_trsv_deviceILi32ELi16ELb1ELb1ELb0ELb0E19rocblas_complex_numIdES1_PKS1_PS1_EviT7_lllT6_T8_lllPii.num_agpr, 0
	.set _ZL19rocblas_trsv_deviceILi32ELi16ELb1ELb1ELb0ELb0E19rocblas_complex_numIdES1_PKS1_PS1_EviT7_lllT6_T8_lllPii.numbered_sgpr, 96
	.set _ZL19rocblas_trsv_deviceILi32ELi16ELb1ELb1ELb0ELb0E19rocblas_complex_numIdES1_PKS1_PS1_EviT7_lllT6_T8_lllPii.num_named_barrier, 0
	.set _ZL19rocblas_trsv_deviceILi32ELi16ELb1ELb1ELb0ELb0E19rocblas_complex_numIdES1_PKS1_PS1_EviT7_lllT6_T8_lllPii.private_seg_size, 0
	.set _ZL19rocblas_trsv_deviceILi32ELi16ELb1ELb1ELb0ELb0E19rocblas_complex_numIdES1_PKS1_PS1_EviT7_lllT6_T8_lllPii.uses_vcc, 1
	.set _ZL19rocblas_trsv_deviceILi32ELi16ELb1ELb1ELb0ELb0E19rocblas_complex_numIdES1_PKS1_PS1_EviT7_lllT6_T8_lllPii.uses_flat_scratch, 0
	.set _ZL19rocblas_trsv_deviceILi32ELi16ELb1ELb1ELb0ELb0E19rocblas_complex_numIdES1_PKS1_PS1_EviT7_lllT6_T8_lllPii.has_dyn_sized_stack, 0
	.set _ZL19rocblas_trsv_deviceILi32ELi16ELb1ELb1ELb0ELb0E19rocblas_complex_numIdES1_PKS1_PS1_EviT7_lllT6_T8_lllPii.has_recursion, 0
	.set _ZL19rocblas_trsv_deviceILi32ELi16ELb1ELb1ELb0ELb0E19rocblas_complex_numIdES1_PKS1_PS1_EviT7_lllT6_T8_lllPii.has_indirect_call, 0
	.section	.AMDGPU.csdata,"",@progbits
; Kernel info:
; codeLenInByte = 27796
; TotalNumSgprs: 100
; NumVgprs: 44
; ScratchSize: 0
; MemoryBound: 1
; FloatMode: 240
; IeeeMode: 1
; LDSByteSize: 25104 bytes/workgroup (compile time only)
; SGPRBlocks: 12
; VGPRBlocks: 12
; NumSGPRsForWavesPerEU: 102
; NumVGPRsForWavesPerEU: 49
; Occupancy: 4
; WaveLimiterHint : 0
; COMPUTE_PGM_RSRC2:SCRATCH_EN: 0
; COMPUTE_PGM_RSRC2:USER_SGPR: 6
; COMPUTE_PGM_RSRC2:TRAP_HANDLER: 0
; COMPUTE_PGM_RSRC2:TGID_X_EN: 1
; COMPUTE_PGM_RSRC2:TGID_Y_EN: 0
; COMPUTE_PGM_RSRC2:TGID_Z_EN: 1
; COMPUTE_PGM_RSRC2:TIDIG_COMP_CNT: 1
	.section	.text._ZL19rocblas_trsv_deviceILi32ELi16ELb1ELb1ELb1ELb0E19rocblas_complex_numIdES1_PKS1_PS1_EviT7_lllT6_T8_lllPii,"axG",@progbits,_ZL19rocblas_trsv_deviceILi32ELi16ELb1ELb1ELb1ELb0E19rocblas_complex_numIdES1_PKS1_PS1_EviT7_lllT6_T8_lllPii,comdat
	.globl	_ZL19rocblas_trsv_deviceILi32ELi16ELb1ELb1ELb1ELb0E19rocblas_complex_numIdES1_PKS1_PS1_EviT7_lllT6_T8_lllPii ; -- Begin function _ZL19rocblas_trsv_deviceILi32ELi16ELb1ELb1ELb1ELb0E19rocblas_complex_numIdES1_PKS1_PS1_EviT7_lllT6_T8_lllPii
	.p2align	8
	.type	_ZL19rocblas_trsv_deviceILi32ELi16ELb1ELb1ELb1ELb0E19rocblas_complex_numIdES1_PKS1_PS1_EviT7_lllT6_T8_lllPii,@function
_ZL19rocblas_trsv_deviceILi32ELi16ELb1ELb1ELb1ELb0E19rocblas_complex_numIdES1_PKS1_PS1_EviT7_lllT6_T8_lllPii: ; @_ZL19rocblas_trsv_deviceILi32ELi16ELb1ELb1ELb1ELb0E19rocblas_complex_numIdES1_PKS1_PS1_EviT7_lllT6_T8_lllPii
; %bb.0:
	s_load_dwordx16 s[16:31], s[4:5], 0x8
	s_load_dword s36, s[4:5], 0x0
	s_mov_b32 s34, s7
	v_mov_b32_e32 v2, v1
	s_mov_b32 s35, 0
	s_waitcnt lgkmcnt(0)
	s_mul_i32 s0, s23, s7
	s_mul_hi_u32 s1, s22, s7
	s_add_i32 s1, s1, s0
	s_mul_i32 s0, s22, s7
	s_load_dword s7, s[4:5], 0x68
	s_load_dword s41, s[4:5], 0x74
	s_lshl_b64 s[0:1], s[0:1], 4
	s_add_u32 s2, s16, s0
	s_addc_u32 s3, s17, s1
	s_lshl_b64 s[0:1], s[18:19], 4
	s_add_u32 s94, s2, s0
	s_addc_u32 s95, s3, s1
	s_waitcnt lgkmcnt(0)
	s_add_i32 s7, s7, -1
	s_sub_i32 s92, s7, s6
	s_cmp_lg_u32 s6, 0
	s_cbranch_scc0 .LBB96_545
; %bb.1:
	s_lshl_b32 s33, s92, 5
	v_add_u32_e32 v1, s33, v0
	v_ashrrev_i32_e32 v3, 31, v1
	v_mul_lo_u32 v7, s20, v3
	v_mul_lo_u32 v8, s21, v1
	v_mad_u64_u32 v[5:6], s[0:1], s20, v1, 0
	v_add3_u32 v3, v2, s33, 32
	v_ashrrev_i32_e32 v4, 31, v3
	v_add3_u32 v6, v6, v7, v8
	v_lshlrev_b64 v[5:6], 4, v[5:6]
	v_cmp_gt_i32_e32 vcc, s36, v1
	v_mov_b32_e32 v1, s95
	v_add_co_u32_e64 v7, s[0:1], s94, v5
	v_lshlrev_b64 v[4:5], 4, v[3:4]
	v_addc_co_u32_e64 v1, s[0:1], v1, v6, s[0:1]
	v_add_co_u32_e64 v11, s[0:1], v7, v4
	v_addc_co_u32_e64 v12, s[0:1], v1, v5, s[0:1]
	v_cmp_gt_i32_e64 s[0:1], s36, v3
	v_mov_b32_e32 v5, 0
	v_mov_b32_e32 v7, 0
	;; [unrolled: 1-line block ×6, first 2 shown]
	s_and_b64 s[2:3], s[0:1], vcc
	s_barrier
	s_and_saveexec_b64 s[0:1], s[2:3]
	s_cbranch_execz .LBB96_3
; %bb.2:
	global_load_dwordx4 v[7:10], v[11:12], off
.LBB96_3:
	s_or_b64 exec, exec, s[0:1]
	v_add_u32_e32 v1, 16, v3
	v_cmp_gt_i32_e64 s[0:1], s36, v1
	v_mov_b32_e32 v3, 0
	v_mov_b32_e32 v4, 0
	s_and_b64 s[2:3], s[0:1], vcc
	s_waitcnt vmcnt(0)
	s_barrier
	s_and_saveexec_b64 s[0:1], s[2:3]
	s_cbranch_execz .LBB96_5
; %bb.4:
	global_load_dwordx4 v[3:6], v[11:12], off offset:256
.LBB96_5:
	s_or_b64 exec, exec, s[0:1]
	s_branch .LBB96_7
.LBB96_6:
	s_lshl_b32 s33, s92, 5
                                        ; implicit-def: $vgpr7_vgpr8
                                        ; implicit-def: $vgpr3_vgpr4
.LBB96_7:
	s_ashr_i32 s37, s36, 31
	s_lshr_b32 s0, s37, 27
	s_add_i32 s0, s36, s0
	s_andn2_b32 s0, s0, 31
	s_sub_i32 s93, s36, s0
	s_add_i32 s0, s36, -1
	s_ashr_i32 s1, s0, 31
	s_lshr_b32 s1, s1, 27
	s_add_i32 s0, s0, s1
	s_ashr_i32 s0, s0, 5
	s_cmp_eq_u32 s0, s92
	s_cselect_b64 s[0:1], -1, 0
	s_cmp_lg_u32 s93, 0
	s_cselect_b64 s[2:3], -1, 0
	s_and_b64 s[22:23], s[2:3], s[0:1]
	s_cmp_lt_i32 s6, 5
	s_cselect_b64 s[2:3], -1, 0
	s_or_b64 s[0:1], s[2:3], s[22:23]
	s_ashr_i32 s40, s33, 31
	s_add_u32 s10, s20, 1
	v_mov_b32_e32 v1, 0
	v_mov_b32_e32 v11, s33
	v_mad_u64_u32 v[19:20], s[8:9], s10, v11, v[0:1]
	s_addc_u32 s11, s21, 0
	s_mul_i32 s8, s10, s40
	s_mul_i32 s11, s11, s33
	v_lshlrev_b32_e32 v21, 5, v0
	s_add_i32 s8, s8, s11
	s_mov_b64 s[12:13], -1
	v_add_u32_e32 v20, s8, v20
	s_and_b64 vcc, exec, s[22:23]
	v_add_u32_e32 v22, v2, v21
	v_cmp_le_u32_e64 s[8:9], v0, v2
	v_lshl_add_u32 v1, v2, 5, v0
	s_cbranch_vccnz .LBB96_37
; %bb.8:
	v_mad_u64_u32 v[11:12], s[10:11], s20, v2, v[19:20]
	v_cndmask_b32_e64 v23, v1, v22, s[2:3]
	v_mad_u64_u32 v[12:13], s[10:11], s21, v2, v[12:13]
	s_and_saveexec_b64 s[2:3], s[8:9]
	s_xor_b64 s[2:3], exec, s[2:3]
	s_cbranch_execz .LBB96_20
; %bb.9:
	v_cmp_ne_u32_e32 vcc, v0, v2
	s_and_saveexec_b64 s[8:9], vcc
	s_xor_b64 s[8:9], exec, s[8:9]
	s_cbranch_execz .LBB96_13
; %bb.10:
	v_or_b32_e32 v11, v2, v0
	v_cmp_gt_u32_e32 vcc, 32, v11
	s_and_saveexec_b64 s[10:11], vcc
	s_cbranch_execz .LBB96_12
; %bb.11:
	v_mov_b32_e32 v11, 0
	v_lshlrev_b32_e32 v15, 4, v23
	v_mov_b32_e32 v12, v11
	v_mov_b32_e32 v13, v11
	;; [unrolled: 1-line block ×3, first 2 shown]
	ds_write_b128 v15, v[11:14]
.LBB96_12:
	s_or_b64 exec, exec, s[10:11]
                                        ; implicit-def: $vgpr23
                                        ; implicit-def: $vgpr11_vgpr12
.LBB96_13:
	s_andn2_saveexec_b64 s[8:9], s[8:9]
	s_cbranch_execz .LBB96_19
; %bb.14:
	v_lshlrev_b64 v[11:12], 4, v[11:12]
	v_mov_b32_e32 v13, s95
	v_add_co_u32_e32 v11, vcc, s94, v11
	v_addc_co_u32_e32 v12, vcc, v13, v12, vcc
	global_load_dwordx4 v[11:14], v[11:12], off
                                        ; implicit-def: $vgpr15_vgpr16
	s_waitcnt vmcnt(0)
	v_cmp_ngt_f64_e64 s[10:11], |v[11:12]|, |v[13:14]|
	s_and_saveexec_b64 s[12:13], s[10:11]
	s_xor_b64 s[10:11], exec, s[12:13]
	s_cbranch_execz .LBB96_16
; %bb.15:
	v_div_scale_f64 v[15:16], s[12:13], -v[13:14], -v[13:14], v[11:12]
	v_rcp_f64_e32 v[17:18], v[15:16]
	v_fma_f64 v[24:25], -v[15:16], v[17:18], 1.0
	v_fma_f64 v[17:18], v[17:18], v[24:25], v[17:18]
	v_div_scale_f64 v[24:25], vcc, v[11:12], -v[13:14], v[11:12]
	v_fma_f64 v[26:27], -v[15:16], v[17:18], 1.0
	v_fma_f64 v[17:18], v[17:18], v[26:27], v[17:18]
	v_mul_f64 v[26:27], v[24:25], v[17:18]
	v_fma_f64 v[15:16], -v[15:16], v[26:27], v[24:25]
	v_div_fmas_f64 v[15:16], v[15:16], v[17:18], v[26:27]
	v_div_fixup_f64 v[15:16], v[15:16], -v[13:14], v[11:12]
	v_fma_f64 v[11:12], v[11:12], v[15:16], -v[13:14]
	v_div_scale_f64 v[13:14], s[12:13], v[11:12], v[11:12], 1.0
	v_div_scale_f64 v[26:27], vcc, 1.0, v[11:12], 1.0
	v_rcp_f64_e32 v[17:18], v[13:14]
	v_fma_f64 v[24:25], -v[13:14], v[17:18], 1.0
	v_fma_f64 v[17:18], v[17:18], v[24:25], v[17:18]
	v_fma_f64 v[24:25], -v[13:14], v[17:18], 1.0
	v_fma_f64 v[17:18], v[17:18], v[24:25], v[17:18]
	v_mul_f64 v[24:25], v[26:27], v[17:18]
	v_fma_f64 v[13:14], -v[13:14], v[24:25], v[26:27]
	v_div_fmas_f64 v[13:14], v[13:14], v[17:18], v[24:25]
	v_div_fixup_f64 v[17:18], v[13:14], v[11:12], 1.0
                                        ; implicit-def: $vgpr11_vgpr12
	v_mul_f64 v[15:16], v[15:16], v[17:18]
	v_xor_b32_e32 v18, 0x80000000, v18
.LBB96_16:
	s_andn2_saveexec_b64 s[10:11], s[10:11]
	s_cbranch_execz .LBB96_18
; %bb.17:
	v_div_scale_f64 v[15:16], s[12:13], v[11:12], v[11:12], -v[13:14]
	v_rcp_f64_e32 v[17:18], v[15:16]
	v_fma_f64 v[24:25], -v[15:16], v[17:18], 1.0
	v_fma_f64 v[17:18], v[17:18], v[24:25], v[17:18]
	v_div_scale_f64 v[24:25], vcc, -v[13:14], v[11:12], -v[13:14]
	v_fma_f64 v[26:27], -v[15:16], v[17:18], 1.0
	v_fma_f64 v[17:18], v[17:18], v[26:27], v[17:18]
	v_mul_f64 v[26:27], v[24:25], v[17:18]
	v_fma_f64 v[15:16], -v[15:16], v[26:27], v[24:25]
	v_div_fmas_f64 v[15:16], v[15:16], v[17:18], v[26:27]
	v_div_fixup_f64 v[17:18], v[15:16], v[11:12], -v[13:14]
	v_fma_f64 v[11:12], -v[13:14], v[17:18], v[11:12]
	v_div_scale_f64 v[13:14], s[12:13], v[11:12], v[11:12], 1.0
	v_div_scale_f64 v[26:27], vcc, 1.0, v[11:12], 1.0
	v_rcp_f64_e32 v[15:16], v[13:14]
	v_fma_f64 v[24:25], -v[13:14], v[15:16], 1.0
	v_fma_f64 v[15:16], v[15:16], v[24:25], v[15:16]
	v_fma_f64 v[24:25], -v[13:14], v[15:16], 1.0
	v_fma_f64 v[15:16], v[15:16], v[24:25], v[15:16]
	v_mul_f64 v[24:25], v[26:27], v[15:16]
	v_fma_f64 v[13:14], -v[13:14], v[24:25], v[26:27]
	v_div_fmas_f64 v[13:14], v[13:14], v[15:16], v[24:25]
	v_div_fixup_f64 v[15:16], v[13:14], v[11:12], 1.0
	v_mul_f64 v[17:18], v[17:18], -v[15:16]
.LBB96_18:
	s_or_b64 exec, exec, s[10:11]
	v_lshlrev_b32_e32 v11, 4, v23
	ds_write_b128 v11, v[15:18]
.LBB96_19:
	s_or_b64 exec, exec, s[8:9]
                                        ; implicit-def: $vgpr11_vgpr12
                                        ; implicit-def: $vgpr23
.LBB96_20:
	s_andn2_saveexec_b64 s[2:3], s[2:3]
	s_cbranch_execz .LBB96_22
; %bb.21:
	v_lshlrev_b64 v[11:12], 4, v[11:12]
	v_mov_b32_e32 v13, s95
	v_add_co_u32_e32 v11, vcc, s94, v11
	v_addc_co_u32_e32 v12, vcc, v13, v12, vcc
	global_load_dwordx4 v[11:14], v[11:12], off
	v_lshlrev_b32_e32 v15, 4, v23
	s_waitcnt vmcnt(0)
	v_xor_b32_e32 v12, 0x80000000, v12
	ds_write_b128 v15, v[11:14]
.LBB96_22:
	s_or_b64 exec, exec, s[2:3]
	v_add_u32_e32 v13, 16, v2
	v_mad_u64_u32 v[11:12], s[2:3], s20, v13, v[19:20]
	v_cmp_le_u32_e32 vcc, v0, v13
	v_mad_u64_u32 v[14:15], s[2:3], s21, v13, v[12:13]
	v_add_u32_e32 v12, v13, v21
	v_lshl_add_u32 v15, v13, 5, v0
	v_cndmask_b32_e64 v23, v15, v12, s[0:1]
	v_mov_b32_e32 v12, v14
	s_and_saveexec_b64 s[2:3], vcc
	s_xor_b64 s[2:3], exec, s[2:3]
	s_cbranch_execz .LBB96_34
; %bb.23:
	v_cmp_ne_u32_e32 vcc, v0, v13
	s_and_saveexec_b64 s[8:9], vcc
	s_xor_b64 s[8:9], exec, s[8:9]
	s_cbranch_execz .LBB96_27
; %bb.24:
	v_or_b32_e32 v11, v13, v0
	v_cmp_gt_u32_e32 vcc, 32, v11
	s_and_saveexec_b64 s[10:11], vcc
	s_cbranch_execz .LBB96_26
; %bb.25:
	v_mov_b32_e32 v11, 0
	v_lshlrev_b32_e32 v15, 4, v23
	v_mov_b32_e32 v12, v11
	v_mov_b32_e32 v13, v11
	;; [unrolled: 1-line block ×3, first 2 shown]
	ds_write_b128 v15, v[11:14]
.LBB96_26:
	s_or_b64 exec, exec, s[10:11]
                                        ; implicit-def: $vgpr23
                                        ; implicit-def: $vgpr11_vgpr12
.LBB96_27:
	s_andn2_saveexec_b64 s[8:9], s[8:9]
	s_cbranch_execz .LBB96_33
; %bb.28:
	v_lshlrev_b64 v[11:12], 4, v[11:12]
	v_mov_b32_e32 v13, s95
	v_add_co_u32_e32 v11, vcc, s94, v11
	v_addc_co_u32_e32 v12, vcc, v13, v12, vcc
	global_load_dwordx4 v[11:14], v[11:12], off
                                        ; implicit-def: $vgpr15_vgpr16
	s_waitcnt vmcnt(0)
	v_cmp_ngt_f64_e64 s[10:11], |v[11:12]|, |v[13:14]|
	s_and_saveexec_b64 s[12:13], s[10:11]
	s_xor_b64 s[10:11], exec, s[12:13]
	s_cbranch_execz .LBB96_30
; %bb.29:
	v_div_scale_f64 v[15:16], s[12:13], -v[13:14], -v[13:14], v[11:12]
	v_rcp_f64_e32 v[17:18], v[15:16]
	v_fma_f64 v[24:25], -v[15:16], v[17:18], 1.0
	v_fma_f64 v[17:18], v[17:18], v[24:25], v[17:18]
	v_div_scale_f64 v[24:25], vcc, v[11:12], -v[13:14], v[11:12]
	v_fma_f64 v[26:27], -v[15:16], v[17:18], 1.0
	v_fma_f64 v[17:18], v[17:18], v[26:27], v[17:18]
	v_mul_f64 v[26:27], v[24:25], v[17:18]
	v_fma_f64 v[15:16], -v[15:16], v[26:27], v[24:25]
	v_div_fmas_f64 v[15:16], v[15:16], v[17:18], v[26:27]
	v_div_fixup_f64 v[15:16], v[15:16], -v[13:14], v[11:12]
	v_fma_f64 v[11:12], v[11:12], v[15:16], -v[13:14]
	v_div_scale_f64 v[13:14], s[12:13], v[11:12], v[11:12], 1.0
	v_div_scale_f64 v[26:27], vcc, 1.0, v[11:12], 1.0
	v_rcp_f64_e32 v[17:18], v[13:14]
	v_fma_f64 v[24:25], -v[13:14], v[17:18], 1.0
	v_fma_f64 v[17:18], v[17:18], v[24:25], v[17:18]
	v_fma_f64 v[24:25], -v[13:14], v[17:18], 1.0
	v_fma_f64 v[17:18], v[17:18], v[24:25], v[17:18]
	v_mul_f64 v[24:25], v[26:27], v[17:18]
	v_fma_f64 v[13:14], -v[13:14], v[24:25], v[26:27]
	v_div_fmas_f64 v[13:14], v[13:14], v[17:18], v[24:25]
	v_div_fixup_f64 v[17:18], v[13:14], v[11:12], 1.0
                                        ; implicit-def: $vgpr11_vgpr12
	v_mul_f64 v[15:16], v[15:16], v[17:18]
	v_xor_b32_e32 v18, 0x80000000, v18
.LBB96_30:
	s_andn2_saveexec_b64 s[10:11], s[10:11]
	s_cbranch_execz .LBB96_32
; %bb.31:
	v_div_scale_f64 v[15:16], s[12:13], v[11:12], v[11:12], -v[13:14]
	v_rcp_f64_e32 v[17:18], v[15:16]
	v_fma_f64 v[24:25], -v[15:16], v[17:18], 1.0
	v_fma_f64 v[17:18], v[17:18], v[24:25], v[17:18]
	v_div_scale_f64 v[24:25], vcc, -v[13:14], v[11:12], -v[13:14]
	v_fma_f64 v[26:27], -v[15:16], v[17:18], 1.0
	v_fma_f64 v[17:18], v[17:18], v[26:27], v[17:18]
	v_mul_f64 v[26:27], v[24:25], v[17:18]
	v_fma_f64 v[15:16], -v[15:16], v[26:27], v[24:25]
	v_div_fmas_f64 v[15:16], v[15:16], v[17:18], v[26:27]
	v_div_fixup_f64 v[17:18], v[15:16], v[11:12], -v[13:14]
	v_fma_f64 v[11:12], -v[13:14], v[17:18], v[11:12]
	v_div_scale_f64 v[13:14], s[12:13], v[11:12], v[11:12], 1.0
	v_div_scale_f64 v[26:27], vcc, 1.0, v[11:12], 1.0
	v_rcp_f64_e32 v[15:16], v[13:14]
	v_fma_f64 v[24:25], -v[13:14], v[15:16], 1.0
	v_fma_f64 v[15:16], v[15:16], v[24:25], v[15:16]
	v_fma_f64 v[24:25], -v[13:14], v[15:16], 1.0
	v_fma_f64 v[15:16], v[15:16], v[24:25], v[15:16]
	v_mul_f64 v[24:25], v[26:27], v[15:16]
	v_fma_f64 v[13:14], -v[13:14], v[24:25], v[26:27]
	v_div_fmas_f64 v[13:14], v[13:14], v[15:16], v[24:25]
	v_div_fixup_f64 v[15:16], v[13:14], v[11:12], 1.0
	v_mul_f64 v[17:18], v[17:18], -v[15:16]
.LBB96_32:
	s_or_b64 exec, exec, s[10:11]
	v_lshlrev_b32_e32 v11, 4, v23
	ds_write_b128 v11, v[15:18]
.LBB96_33:
	s_or_b64 exec, exec, s[8:9]
                                        ; implicit-def: $vgpr11_vgpr12
                                        ; implicit-def: $vgpr23
.LBB96_34:
	s_andn2_saveexec_b64 s[2:3], s[2:3]
	s_cbranch_execz .LBB96_36
; %bb.35:
	v_lshlrev_b64 v[11:12], 4, v[11:12]
	v_mov_b32_e32 v13, s95
	v_add_co_u32_e32 v11, vcc, s94, v11
	v_addc_co_u32_e32 v12, vcc, v13, v12, vcc
	global_load_dwordx4 v[11:14], v[11:12], off
	v_lshlrev_b32_e32 v15, 4, v23
	s_waitcnt vmcnt(0)
	v_xor_b32_e32 v12, 0x80000000, v12
	ds_write_b128 v15, v[11:14]
.LBB96_36:
	s_or_b64 exec, exec, s[2:3]
	s_mov_b64 s[12:13], 0
.LBB96_37:
	s_xor_b64 s[10:11], s[0:1], -1
	s_and_b64 vcc, exec, s[12:13]
	s_cbranch_vccz .LBB96_67
; %bb.38:
	v_mad_u64_u32 v[11:12], s[2:3], s20, v2, v[19:20]
	v_cmp_le_u32_e32 vcc, v0, v2
	v_cmp_gt_i32_e64 s[2:3], s93, v0
	v_mad_u64_u32 v[12:13], s[8:9], s21, v2, v[12:13]
	v_max_i32_e32 v13, v2, v0
	v_cmp_le_i32_e64 s[8:9], s93, v13
	s_or_b64 s[8:9], s[8:9], vcc
	s_and_saveexec_b64 s[12:13], s[8:9]
	s_xor_b64 s[8:9], exec, s[12:13]
	s_cbranch_execz .LBB96_50
; %bb.39:
	v_cmp_ne_u32_e32 vcc, v0, v2
	s_xor_b64 s[12:13], s[2:3], -1
	s_or_b64 s[12:13], s[12:13], vcc
	s_and_saveexec_b64 s[14:15], s[12:13]
	s_xor_b64 s[12:13], exec, s[14:15]
	s_cbranch_execz .LBB96_43
; %bb.40:
	v_or_b32_e32 v11, v2, v0
	v_cmp_gt_u32_e32 vcc, 32, v11
	s_and_saveexec_b64 s[14:15], vcc
	s_cbranch_execz .LBB96_42
; %bb.41:
	v_mov_b32_e32 v11, 0
	v_lshlrev_b32_e32 v15, 4, v22
	v_mov_b32_e32 v12, v11
	v_mov_b32_e32 v13, v11
	v_mov_b32_e32 v14, v11
	ds_write_b128 v15, v[11:14]
.LBB96_42:
	s_or_b64 exec, exec, s[14:15]
                                        ; implicit-def: $vgpr22
                                        ; implicit-def: $vgpr11_vgpr12
.LBB96_43:
	s_andn2_saveexec_b64 s[12:13], s[12:13]
	s_cbranch_execz .LBB96_49
; %bb.44:
	v_lshlrev_b64 v[11:12], 4, v[11:12]
	v_mov_b32_e32 v13, s95
	v_add_co_u32_e32 v11, vcc, s94, v11
	v_addc_co_u32_e32 v12, vcc, v13, v12, vcc
	global_load_dwordx4 v[11:14], v[11:12], off
                                        ; implicit-def: $vgpr15_vgpr16
	s_waitcnt vmcnt(0)
	v_cmp_ngt_f64_e64 s[14:15], |v[11:12]|, |v[13:14]|
	s_and_saveexec_b64 s[16:17], s[14:15]
	s_xor_b64 s[14:15], exec, s[16:17]
	s_cbranch_execz .LBB96_46
; %bb.45:
	v_div_scale_f64 v[15:16], s[16:17], -v[13:14], -v[13:14], v[11:12]
	v_rcp_f64_e32 v[17:18], v[15:16]
	v_fma_f64 v[23:24], -v[15:16], v[17:18], 1.0
	v_fma_f64 v[17:18], v[17:18], v[23:24], v[17:18]
	v_div_scale_f64 v[23:24], vcc, v[11:12], -v[13:14], v[11:12]
	v_fma_f64 v[25:26], -v[15:16], v[17:18], 1.0
	v_fma_f64 v[17:18], v[17:18], v[25:26], v[17:18]
	v_mul_f64 v[25:26], v[23:24], v[17:18]
	v_fma_f64 v[15:16], -v[15:16], v[25:26], v[23:24]
	v_div_fmas_f64 v[15:16], v[15:16], v[17:18], v[25:26]
	v_div_fixup_f64 v[15:16], v[15:16], -v[13:14], v[11:12]
	v_fma_f64 v[11:12], v[11:12], v[15:16], -v[13:14]
	v_div_scale_f64 v[13:14], s[16:17], v[11:12], v[11:12], 1.0
	v_div_scale_f64 v[25:26], vcc, 1.0, v[11:12], 1.0
	v_rcp_f64_e32 v[17:18], v[13:14]
	v_fma_f64 v[23:24], -v[13:14], v[17:18], 1.0
	v_fma_f64 v[17:18], v[17:18], v[23:24], v[17:18]
	v_fma_f64 v[23:24], -v[13:14], v[17:18], 1.0
	v_fma_f64 v[17:18], v[17:18], v[23:24], v[17:18]
	v_mul_f64 v[23:24], v[25:26], v[17:18]
	v_fma_f64 v[13:14], -v[13:14], v[23:24], v[25:26]
	v_div_fmas_f64 v[13:14], v[13:14], v[17:18], v[23:24]
	v_div_fixup_f64 v[17:18], v[13:14], v[11:12], 1.0
                                        ; implicit-def: $vgpr11_vgpr12
	v_mul_f64 v[15:16], v[15:16], v[17:18]
	v_xor_b32_e32 v18, 0x80000000, v18
.LBB96_46:
	s_andn2_saveexec_b64 s[14:15], s[14:15]
	s_cbranch_execz .LBB96_48
; %bb.47:
	v_div_scale_f64 v[15:16], s[16:17], v[11:12], v[11:12], -v[13:14]
	v_rcp_f64_e32 v[17:18], v[15:16]
	v_fma_f64 v[23:24], -v[15:16], v[17:18], 1.0
	v_fma_f64 v[17:18], v[17:18], v[23:24], v[17:18]
	v_div_scale_f64 v[23:24], vcc, -v[13:14], v[11:12], -v[13:14]
	v_fma_f64 v[25:26], -v[15:16], v[17:18], 1.0
	v_fma_f64 v[17:18], v[17:18], v[25:26], v[17:18]
	v_mul_f64 v[25:26], v[23:24], v[17:18]
	v_fma_f64 v[15:16], -v[15:16], v[25:26], v[23:24]
	v_div_fmas_f64 v[15:16], v[15:16], v[17:18], v[25:26]
	v_div_fixup_f64 v[17:18], v[15:16], v[11:12], -v[13:14]
	v_fma_f64 v[11:12], -v[13:14], v[17:18], v[11:12]
	v_div_scale_f64 v[13:14], s[16:17], v[11:12], v[11:12], 1.0
	v_div_scale_f64 v[25:26], vcc, 1.0, v[11:12], 1.0
	v_rcp_f64_e32 v[15:16], v[13:14]
	v_fma_f64 v[23:24], -v[13:14], v[15:16], 1.0
	v_fma_f64 v[15:16], v[15:16], v[23:24], v[15:16]
	v_fma_f64 v[23:24], -v[13:14], v[15:16], 1.0
	v_fma_f64 v[15:16], v[15:16], v[23:24], v[15:16]
	v_mul_f64 v[23:24], v[25:26], v[15:16]
	v_fma_f64 v[13:14], -v[13:14], v[23:24], v[25:26]
	v_div_fmas_f64 v[13:14], v[13:14], v[15:16], v[23:24]
	v_div_fixup_f64 v[15:16], v[13:14], v[11:12], 1.0
	v_mul_f64 v[17:18], v[17:18], -v[15:16]
.LBB96_48:
	s_or_b64 exec, exec, s[14:15]
	v_lshlrev_b32_e32 v11, 4, v22
	ds_write_b128 v11, v[15:18]
.LBB96_49:
	s_or_b64 exec, exec, s[12:13]
                                        ; implicit-def: $vgpr11_vgpr12
                                        ; implicit-def: $vgpr22
.LBB96_50:
	s_andn2_saveexec_b64 s[8:9], s[8:9]
	s_cbranch_execz .LBB96_52
; %bb.51:
	v_lshlrev_b64 v[11:12], 4, v[11:12]
	v_mov_b32_e32 v13, s95
	v_add_co_u32_e32 v11, vcc, s94, v11
	v_addc_co_u32_e32 v12, vcc, v13, v12, vcc
	global_load_dwordx4 v[11:14], v[11:12], off
	v_lshlrev_b32_e32 v15, 4, v22
	s_waitcnt vmcnt(0)
	v_xor_b32_e32 v12, 0x80000000, v12
	ds_write_b128 v15, v[11:14]
.LBB96_52:
	s_or_b64 exec, exec, s[8:9]
	v_add_u32_e32 v13, 16, v2
	v_mad_u64_u32 v[11:12], s[8:9], s20, v13, v[19:20]
	v_add_u32_e32 v16, v13, v21
	v_cmp_gt_u32_e32 vcc, v0, v13
	v_mad_u64_u32 v[14:15], s[8:9], s21, v13, v[12:13]
	v_lshl_add_u32 v12, v13, 5, v0
	v_cndmask_b32_e64 v19, v12, v16, s[0:1]
	v_cmp_gt_i32_e64 s[0:1], s93, v13
	s_and_b64 s[0:1], vcc, s[0:1]
	s_and_b64 s[0:1], s[2:3], s[0:1]
	v_mov_b32_e32 v12, v14
	s_xor_b64 s[0:1], s[0:1], -1
	s_and_saveexec_b64 s[8:9], s[0:1]
	s_xor_b64 s[0:1], exec, s[8:9]
	s_cbranch_execz .LBB96_64
; %bb.53:
	v_cmp_ne_u32_e32 vcc, v0, v13
	s_xor_b64 s[2:3], s[2:3], -1
	s_or_b64 s[2:3], s[2:3], vcc
	s_and_saveexec_b64 s[8:9], s[2:3]
	s_xor_b64 s[2:3], exec, s[8:9]
	s_cbranch_execz .LBB96_57
; %bb.54:
	v_or_b32_e32 v11, v13, v0
	v_cmp_gt_u32_e32 vcc, 32, v11
	s_and_saveexec_b64 s[8:9], vcc
	s_cbranch_execz .LBB96_56
; %bb.55:
	v_mov_b32_e32 v11, 0
	v_lshlrev_b32_e32 v15, 4, v19
	v_mov_b32_e32 v12, v11
	v_mov_b32_e32 v13, v11
	;; [unrolled: 1-line block ×3, first 2 shown]
	ds_write_b128 v15, v[11:14]
.LBB96_56:
	s_or_b64 exec, exec, s[8:9]
                                        ; implicit-def: $vgpr19
                                        ; implicit-def: $vgpr11_vgpr12
.LBB96_57:
	s_andn2_saveexec_b64 s[2:3], s[2:3]
	s_cbranch_execz .LBB96_63
; %bb.58:
	v_lshlrev_b64 v[11:12], 4, v[11:12]
	v_mov_b32_e32 v13, s95
	v_add_co_u32_e32 v11, vcc, s94, v11
	v_addc_co_u32_e32 v12, vcc, v13, v12, vcc
	global_load_dwordx4 v[11:14], v[11:12], off
                                        ; implicit-def: $vgpr15_vgpr16
	s_waitcnt vmcnt(0)
	v_cmp_ngt_f64_e64 s[8:9], |v[11:12]|, |v[13:14]|
	s_and_saveexec_b64 s[12:13], s[8:9]
	s_xor_b64 s[8:9], exec, s[12:13]
	s_cbranch_execz .LBB96_60
; %bb.59:
	v_div_scale_f64 v[15:16], s[12:13], -v[13:14], -v[13:14], v[11:12]
	v_rcp_f64_e32 v[17:18], v[15:16]
	v_fma_f64 v[20:21], -v[15:16], v[17:18], 1.0
	v_fma_f64 v[17:18], v[17:18], v[20:21], v[17:18]
	v_div_scale_f64 v[20:21], vcc, v[11:12], -v[13:14], v[11:12]
	v_fma_f64 v[22:23], -v[15:16], v[17:18], 1.0
	v_fma_f64 v[17:18], v[17:18], v[22:23], v[17:18]
	v_mul_f64 v[22:23], v[20:21], v[17:18]
	v_fma_f64 v[15:16], -v[15:16], v[22:23], v[20:21]
	v_div_fmas_f64 v[15:16], v[15:16], v[17:18], v[22:23]
	v_div_fixup_f64 v[15:16], v[15:16], -v[13:14], v[11:12]
	v_fma_f64 v[11:12], v[11:12], v[15:16], -v[13:14]
	v_div_scale_f64 v[13:14], s[12:13], v[11:12], v[11:12], 1.0
	v_div_scale_f64 v[22:23], vcc, 1.0, v[11:12], 1.0
	v_rcp_f64_e32 v[17:18], v[13:14]
	v_fma_f64 v[20:21], -v[13:14], v[17:18], 1.0
	v_fma_f64 v[17:18], v[17:18], v[20:21], v[17:18]
	v_fma_f64 v[20:21], -v[13:14], v[17:18], 1.0
	v_fma_f64 v[17:18], v[17:18], v[20:21], v[17:18]
	v_mul_f64 v[20:21], v[22:23], v[17:18]
	v_fma_f64 v[13:14], -v[13:14], v[20:21], v[22:23]
	v_div_fmas_f64 v[13:14], v[13:14], v[17:18], v[20:21]
	v_div_fixup_f64 v[17:18], v[13:14], v[11:12], 1.0
                                        ; implicit-def: $vgpr11_vgpr12
	v_mul_f64 v[15:16], v[15:16], v[17:18]
	v_xor_b32_e32 v18, 0x80000000, v18
.LBB96_60:
	s_andn2_saveexec_b64 s[8:9], s[8:9]
	s_cbranch_execz .LBB96_62
; %bb.61:
	v_div_scale_f64 v[15:16], s[12:13], v[11:12], v[11:12], -v[13:14]
	v_rcp_f64_e32 v[17:18], v[15:16]
	v_fma_f64 v[20:21], -v[15:16], v[17:18], 1.0
	v_fma_f64 v[17:18], v[17:18], v[20:21], v[17:18]
	v_div_scale_f64 v[20:21], vcc, -v[13:14], v[11:12], -v[13:14]
	v_fma_f64 v[22:23], -v[15:16], v[17:18], 1.0
	v_fma_f64 v[17:18], v[17:18], v[22:23], v[17:18]
	v_mul_f64 v[22:23], v[20:21], v[17:18]
	v_fma_f64 v[15:16], -v[15:16], v[22:23], v[20:21]
	v_div_fmas_f64 v[15:16], v[15:16], v[17:18], v[22:23]
	v_div_fixup_f64 v[17:18], v[15:16], v[11:12], -v[13:14]
	v_fma_f64 v[11:12], -v[13:14], v[17:18], v[11:12]
	v_div_scale_f64 v[13:14], s[12:13], v[11:12], v[11:12], 1.0
	v_div_scale_f64 v[22:23], vcc, 1.0, v[11:12], 1.0
	v_rcp_f64_e32 v[15:16], v[13:14]
	v_fma_f64 v[20:21], -v[13:14], v[15:16], 1.0
	v_fma_f64 v[15:16], v[15:16], v[20:21], v[15:16]
	v_fma_f64 v[20:21], -v[13:14], v[15:16], 1.0
	v_fma_f64 v[15:16], v[15:16], v[20:21], v[15:16]
	v_mul_f64 v[20:21], v[22:23], v[15:16]
	v_fma_f64 v[13:14], -v[13:14], v[20:21], v[22:23]
	v_div_fmas_f64 v[13:14], v[13:14], v[15:16], v[20:21]
	v_div_fixup_f64 v[15:16], v[13:14], v[11:12], 1.0
	v_mul_f64 v[17:18], v[17:18], -v[15:16]
.LBB96_62:
	s_or_b64 exec, exec, s[8:9]
	v_lshlrev_b32_e32 v11, 4, v19
	ds_write_b128 v11, v[15:18]
.LBB96_63:
	s_or_b64 exec, exec, s[2:3]
                                        ; implicit-def: $vgpr11_vgpr12
                                        ; implicit-def: $vgpr19
.LBB96_64:
	s_andn2_saveexec_b64 s[0:1], s[0:1]
	s_cbranch_execz .LBB96_66
; %bb.65:
	v_lshlrev_b64 v[11:12], 4, v[11:12]
	v_mov_b32_e32 v13, s95
	v_add_co_u32_e32 v11, vcc, s94, v11
	v_addc_co_u32_e32 v12, vcc, v13, v12, vcc
	global_load_dwordx4 v[11:14], v[11:12], off
	v_lshlrev_b32_e32 v15, 4, v19
	s_waitcnt vmcnt(0)
	v_xor_b32_e32 v12, 0x80000000, v12
	ds_write_b128 v15, v[11:14]
.LBB96_66:
	s_or_b64 exec, exec, s[0:1]
.LBB96_67:
	v_cndmask_b32_e64 v11, 0, 1, s[10:11]
	v_cmp_ne_u32_e64 s[0:1], 1, v11
	s_andn2_b64 vcc, exec, s[10:11]
	s_waitcnt vmcnt(0) lgkmcnt(0)
	s_barrier
	s_cbranch_vccnz .LBB96_491
; %bb.68:
	v_or_b32_e32 v11, v0, v2
	v_cmp_eq_u32_e32 vcc, 0, v11
	s_and_saveexec_b64 s[2:3], vcc
	s_cbranch_execz .LBB96_70
; %bb.69:
	v_mov_b32_e32 v25, 0
	ds_read_b128 v[11:14], v25 offset:528
	ds_read_b128 v[15:18], v25
	ds_read_b128 v[19:22], v25 offset:16
	s_waitcnt lgkmcnt(1)
	v_mul_f64 v[23:24], v[11:12], v[17:18]
	v_mul_f64 v[17:18], v[13:14], v[17:18]
	v_fma_f64 v[13:14], v[13:14], v[15:16], v[23:24]
	v_fma_f64 v[11:12], v[11:12], v[15:16], -v[17:18]
	s_waitcnt lgkmcnt(0)
	v_mul_f64 v[15:16], v[13:14], v[21:22]
	v_mul_f64 v[17:18], v[11:12], v[21:22]
	v_fma_f64 v[11:12], v[19:20], v[11:12], -v[15:16]
	v_fma_f64 v[13:14], v[19:20], v[13:14], v[17:18]
	ds_write_b128 v25, v[11:14] offset:16
	ds_write_b128 v25, v[11:14] offset:512
.LBB96_70:
	s_or_b64 exec, exec, s[2:3]
	v_and_b32_e32 v18, 1, v0
	v_lshrrev_b32_e32 v17, 1, v1
	v_lshlrev_b32_e32 v15, 4, v18
	v_mov_b32_e32 v13, 0
	v_mov_b32_e32 v11, 0
	v_cmp_lt_u32_e64 s[8:9], 3, v1
	v_cmp_gt_u32_e64 s[2:3], 4, v1
	v_mov_b32_e32 v14, 0
	v_mov_b32_e32 v12, 0
	v_lshl_or_b32 v15, v17, 9, v15
	s_waitcnt lgkmcnt(0)
	s_barrier
	s_and_saveexec_b64 s[12:13], s[2:3]
	s_cbranch_execz .LBB96_74
; %bb.71:
	v_mul_u32_u24_e32 v11, 0x210, v17
	ds_read_b128 v[11:14], v11
	ds_read_b128 v[19:22], v15 offset:32
	v_cmp_gt_u32_e64 s[10:11], 2, v1
	s_waitcnt lgkmcnt(0)
	v_mul_f64 v[23:24], v[13:14], v[21:22]
	v_mul_f64 v[21:22], v[11:12], v[21:22]
	v_fma_f64 v[11:12], v[11:12], v[19:20], -v[23:24]
	v_fma_f64 v[13:14], v[13:14], v[19:20], v[21:22]
	v_add_f64 v[11:12], v[11:12], 0
	v_add_f64 v[13:14], v[13:14], 0
	s_and_saveexec_b64 s[14:15], s[10:11]
	s_cbranch_execz .LBB96_73
; %bb.72:
	v_mov_b32_e32 v19, 0
	v_lshlrev_b32_e32 v16, 4, v0
	ds_read_b128 v[19:22], v19 offset:16
	ds_read_b128 v[23:26], v16 offset:544
	s_waitcnt lgkmcnt(0)
	v_mul_f64 v[27:28], v[21:22], v[25:26]
	v_mul_f64 v[25:26], v[19:20], v[25:26]
	v_fma_f64 v[19:20], v[19:20], v[23:24], -v[27:28]
	v_fma_f64 v[21:22], v[21:22], v[23:24], v[25:26]
	v_add_f64 v[11:12], v[11:12], v[19:20]
	v_add_f64 v[13:14], v[13:14], v[21:22]
.LBB96_73:
	s_or_b64 exec, exec, s[14:15]
	v_xor_b32_e32 v12, 0x80000000, v12
	v_xor_b32_e32 v14, 0x80000000, v14
.LBB96_74:
                                        ; implicit-def: $vgpr43 : SGPR spill to VGPR lane
	v_writelane_b32 v43, s40, 0
	s_or_b64 exec, exec, s[12:13]
	v_mov_b32_e32 v16, 0x4000
	v_cmp_eq_u32_e64 s[10:11], 0, v18
	s_xor_b64 s[12:13], s[8:9], -1
	v_lshl_add_u32 v16, v17, 4, v16
	s_and_b64 s[40:41], s[10:11], s[12:13]
	s_and_saveexec_b64 s[8:9], s[40:41]
	s_cbranch_execz .LBB96_76
; %bb.75:
	v_mov_b32_e32 v19, 0
	ds_read_b128 v[19:22], v19 offset:1056
	s_waitcnt lgkmcnt(0)
	v_mul_f64 v[23:24], v[13:14], v[21:22]
	v_mul_f64 v[21:22], v[11:12], v[21:22]
	v_fma_f64 v[11:12], v[11:12], v[19:20], -v[23:24]
	v_fma_f64 v[13:14], v[13:14], v[19:20], v[21:22]
	ds_write_b128 v16, v[11:14]
.LBB96_76:
	s_or_b64 exec, exec, s[8:9]
	v_cmp_ne_u32_e64 s[8:9], 0, v18
	s_and_b64 s[38:39], s[8:9], s[12:13]
	s_waitcnt lgkmcnt(0)
	s_barrier
	s_and_saveexec_b64 s[8:9], s[38:39]
	s_cbranch_execz .LBB96_78
; %bb.77:
	v_mov_b32_e32 v22, 0
	ds_read_b128 v[18:21], v16
	ds_read_b128 v[22:25], v22 offset:1072
	s_waitcnt lgkmcnt(0)
	v_mul_f64 v[26:27], v[20:21], v[24:25]
	v_mul_f64 v[24:25], v[18:19], v[24:25]
	v_fma_f64 v[18:19], v[18:19], v[22:23], -v[26:27]
	v_fma_f64 v[20:21], v[20:21], v[22:23], v[24:25]
	v_add_f64 v[11:12], v[11:12], v[18:19]
	v_add_f64 v[13:14], v[13:14], v[20:21]
.LBB96_78:
	s_or_b64 exec, exec, s[8:9]
	s_barrier
	s_and_saveexec_b64 s[8:9], s[38:39]
	s_cbranch_execz .LBB96_80
; %bb.79:
	v_mov_b32_e32 v18, 0
	ds_read_b128 v[18:21], v18 offset:1584
	s_waitcnt lgkmcnt(0)
	v_mul_f64 v[22:23], v[13:14], v[20:21]
	v_mul_f64 v[20:21], v[11:12], v[20:21]
	v_fma_f64 v[11:12], v[11:12], v[18:19], -v[22:23]
	v_fma_f64 v[13:14], v[13:14], v[18:19], v[20:21]
	ds_write_b128 v16, v[11:14]
.LBB96_80:
	s_or_b64 exec, exec, s[8:9]
	s_waitcnt lgkmcnt(0)
	s_barrier
	s_barrier
	s_and_saveexec_b64 s[8:9], s[2:3]
; %bb.81:
	v_xor_b32_e32 v12, 0x80000000, v12
	v_xor_b32_e32 v14, 0x80000000, v14
	ds_write_b128 v15, v[11:14] offset:32
; %bb.82:
	s_or_b64 exec, exec, s[8:9]
	v_cmp_eq_u32_e64 s[10:11], 0, v2
	v_cmp_gt_u32_e64 s[8:9], 2, v0
	s_and_b64 s[42:43], s[10:11], s[8:9]
	s_waitcnt lgkmcnt(0)
	s_barrier
	s_barrier
	s_and_saveexec_b64 s[8:9], s[42:43]
	s_cbranch_execz .LBB96_84
; %bb.83:
	v_lshlrev_b32_e32 v18, 9, v0
	ds_read_b128 v[11:14], v18 offset:32
	s_movk_i32 s12, 0xfe10
	v_mad_i32_i24 v19, v0, s12, v18
	s_waitcnt lgkmcnt(0)
	ds_write_b128 v19, v[11:14] offset:1024
	ds_read_b128 v[11:14], v18 offset:48
	s_waitcnt lgkmcnt(0)
	ds_write_b128 v19, v[11:14] offset:1536
.LBB96_84:
	s_or_b64 exec, exec, s[8:9]
	s_waitcnt lgkmcnt(0)
	s_barrier
	s_and_saveexec_b64 s[8:9], vcc
	s_cbranch_execz .LBB96_86
; %bb.85:
	v_mov_b32_e32 v28, 0
	ds_read_b128 v[11:14], v28 offset:1584
	ds_read_b128 v[18:21], v28 offset:1056
	;; [unrolled: 1-line block ×3, first 2 shown]
	s_waitcnt lgkmcnt(1)
	v_mul_f64 v[26:27], v[11:12], v[20:21]
	v_mul_f64 v[20:21], v[13:14], v[20:21]
	v_fma_f64 v[13:14], v[13:14], v[18:19], v[26:27]
	v_fma_f64 v[11:12], v[11:12], v[18:19], -v[20:21]
	s_waitcnt lgkmcnt(0)
	v_mul_f64 v[18:19], v[13:14], v[24:25]
	v_mul_f64 v[20:21], v[11:12], v[24:25]
	v_fma_f64 v[11:12], v[22:23], v[11:12], -v[18:19]
	v_fma_f64 v[13:14], v[22:23], v[13:14], v[20:21]
	ds_write_b128 v28, v[11:14] offset:1072
	ds_write_b128 v28, v[11:14] offset:1568
.LBB96_86:
	s_or_b64 exec, exec, s[8:9]
	v_and_b32_e32 v21, 3, v0
	v_lshrrev_b32_e32 v22, 2, v1
	v_lshlrev_b32_e32 v19, 4, v21
	v_mov_b32_e32 v13, 0
	v_mov_b32_e32 v11, 0
	v_cmp_lt_u32_e64 s[8:9], 15, v1
	v_cmp_gt_u32_e64 s[16:17], 16, v1
	v_mov_b32_e32 v14, 0
	v_mov_b32_e32 v12, 0
	v_lshl_or_b32 v18, v22, 9, v19
	s_waitcnt lgkmcnt(0)
	s_barrier
	s_and_saveexec_b64 s[14:15], s[16:17]
	s_cbranch_execz .LBB96_92
; %bb.87:
	v_mul_u32_u24_e32 v20, 0x210, v22
	ds_read_b128 v[11:14], v20
	ds_read_b128 v[23:26], v18 offset:64
	v_cmp_gt_u32_e64 s[12:13], 12, v1
	s_waitcnt lgkmcnt(0)
	v_mul_f64 v[27:28], v[13:14], v[25:26]
	v_mul_f64 v[25:26], v[11:12], v[25:26]
	v_fma_f64 v[11:12], v[11:12], v[23:24], -v[27:28]
	v_fma_f64 v[13:14], v[13:14], v[23:24], v[25:26]
	v_add_f64 v[11:12], v[11:12], 0
	v_add_f64 v[13:14], v[13:14], 0
	s_and_saveexec_b64 s[18:19], s[12:13]
	s_cbranch_execnz .LBB96_550
; %bb.88:
	s_or_b64 exec, exec, s[18:19]
	v_cmp_gt_u32_e64 s[12:13], 8, v1
	s_and_saveexec_b64 s[18:19], s[12:13]
	s_cbranch_execnz .LBB96_551
.LBB96_89:
	s_or_b64 exec, exec, s[18:19]
	v_cmp_gt_u32_e64 s[12:13], 4, v1
	s_and_saveexec_b64 s[18:19], s[12:13]
	s_cbranch_execz .LBB96_91
.LBB96_90:
	v_mov_b32_e32 v23, 0
	v_lshlrev_b32_e32 v20, 4, v0
	ds_read_b128 v[23:26], v23 offset:48
	ds_read_b128 v[27:30], v20 offset:1600
	s_waitcnt lgkmcnt(0)
	v_mul_f64 v[31:32], v[25:26], v[29:30]
	v_mul_f64 v[29:30], v[23:24], v[29:30]
	v_fma_f64 v[23:24], v[23:24], v[27:28], -v[31:32]
	v_fma_f64 v[25:26], v[25:26], v[27:28], v[29:30]
	v_add_f64 v[11:12], v[11:12], v[23:24]
	v_add_f64 v[13:14], v[13:14], v[25:26]
.LBB96_91:
	s_or_b64 exec, exec, s[18:19]
	v_xor_b32_e32 v12, 0x80000000, v12
	v_xor_b32_e32 v14, 0x80000000, v14
.LBB96_92:
	s_or_b64 exec, exec, s[14:15]
	v_mov_b32_e32 v20, 0x4000
	v_cmp_eq_u32_e64 s[12:13], 0, v21
	s_xor_b64 s[14:15], s[8:9], -1
	v_lshl_add_u32 v20, v22, 4, v20
	s_and_b64 s[46:47], s[12:13], s[14:15]
	s_and_saveexec_b64 s[8:9], s[46:47]
	s_cbranch_execz .LBB96_94
; %bb.93:
	v_mov_b32_e32 v23, 0
	ds_read_b128 v[23:26], v23 offset:2112
	s_waitcnt lgkmcnt(0)
	v_mul_f64 v[27:28], v[13:14], v[25:26]
	v_mul_f64 v[25:26], v[11:12], v[25:26]
	v_fma_f64 v[11:12], v[11:12], v[23:24], -v[27:28]
	v_fma_f64 v[13:14], v[13:14], v[23:24], v[25:26]
	ds_write_b128 v20, v[11:14]
.LBB96_94:
	s_or_b64 exec, exec, s[8:9]
	v_cmp_ne_u32_e64 s[8:9], 0, v21
	s_and_b64 s[48:49], s[8:9], s[14:15]
	s_waitcnt lgkmcnt(0)
	s_barrier
	s_and_saveexec_b64 s[8:9], s[48:49]
	s_cbranch_execz .LBB96_96
; %bb.95:
	ds_read_b128 v[23:26], v20
	ds_read_b128 v[27:30], v19 offset:2112
	s_waitcnt lgkmcnt(0)
	v_mul_f64 v[31:32], v[25:26], v[29:30]
	v_mul_f64 v[29:30], v[23:24], v[29:30]
	v_fma_f64 v[23:24], v[23:24], v[27:28], -v[31:32]
	v_fma_f64 v[25:26], v[25:26], v[27:28], v[29:30]
	v_add_f64 v[11:12], v[11:12], v[23:24]
	v_add_f64 v[13:14], v[13:14], v[25:26]
.LBB96_96:
	s_or_b64 exec, exec, s[8:9]
	v_cmp_eq_u32_e64 s[8:9], 1, v21
	s_and_b64 s[50:51], s[8:9], s[14:15]
	s_barrier
	s_and_saveexec_b64 s[8:9], s[50:51]
	s_cbranch_execz .LBB96_98
; %bb.97:
	v_mov_b32_e32 v23, 0
	ds_read_b128 v[23:26], v23 offset:2640
	s_waitcnt lgkmcnt(0)
	v_mul_f64 v[27:28], v[13:14], v[25:26]
	v_mul_f64 v[25:26], v[11:12], v[25:26]
	v_fma_f64 v[11:12], v[11:12], v[23:24], -v[27:28]
	v_fma_f64 v[13:14], v[13:14], v[23:24], v[25:26]
	ds_write_b128 v20, v[11:14]
.LBB96_98:
	s_or_b64 exec, exec, s[8:9]
	v_cmp_lt_u32_e64 s[8:9], 1, v21
	s_and_b64 s[52:53], s[8:9], s[14:15]
	s_waitcnt lgkmcnt(0)
	s_barrier
	s_and_saveexec_b64 s[8:9], s[52:53]
	s_cbranch_execz .LBB96_100
; %bb.99:
	ds_read_b128 v[23:26], v20
	ds_read_b128 v[27:30], v19 offset:2624
	s_waitcnt lgkmcnt(0)
	v_mul_f64 v[31:32], v[25:26], v[29:30]
	v_mul_f64 v[29:30], v[23:24], v[29:30]
	v_fma_f64 v[23:24], v[23:24], v[27:28], -v[31:32]
	v_fma_f64 v[25:26], v[25:26], v[27:28], v[29:30]
	v_add_f64 v[11:12], v[11:12], v[23:24]
	v_add_f64 v[13:14], v[13:14], v[25:26]
.LBB96_100:
	s_or_b64 exec, exec, s[8:9]
	v_cmp_eq_u32_e64 s[8:9], 2, v21
	s_and_b64 s[54:55], s[8:9], s[14:15]
	s_barrier
	s_and_saveexec_b64 s[8:9], s[54:55]
	s_cbranch_execz .LBB96_102
; %bb.101:
	v_mov_b32_e32 v23, 0
	ds_read_b128 v[23:26], v23 offset:3168
	s_waitcnt lgkmcnt(0)
	v_mul_f64 v[27:28], v[13:14], v[25:26]
	v_mul_f64 v[25:26], v[11:12], v[25:26]
	v_fma_f64 v[11:12], v[11:12], v[23:24], -v[27:28]
	v_fma_f64 v[13:14], v[13:14], v[23:24], v[25:26]
	ds_write_b128 v20, v[11:14]
.LBB96_102:
	s_or_b64 exec, exec, s[8:9]
	v_cmp_eq_u32_e64 s[8:9], 3, v21
	s_and_b64 s[44:45], s[8:9], s[14:15]
	s_waitcnt lgkmcnt(0)
	s_barrier
	s_and_saveexec_b64 s[8:9], s[44:45]
	s_cbranch_execz .LBB96_104
; %bb.103:
	v_mov_b32_e32 v27, 0
	ds_read_b128 v[23:26], v20
	ds_read_b128 v[27:30], v27 offset:3184
	s_waitcnt lgkmcnt(0)
	v_mul_f64 v[31:32], v[25:26], v[29:30]
	v_mul_f64 v[29:30], v[23:24], v[29:30]
	v_fma_f64 v[23:24], v[23:24], v[27:28], -v[31:32]
	v_fma_f64 v[25:26], v[25:26], v[27:28], v[29:30]
	v_add_f64 v[11:12], v[11:12], v[23:24]
	v_add_f64 v[13:14], v[13:14], v[25:26]
.LBB96_104:
	s_or_b64 exec, exec, s[8:9]
	s_barrier
	s_and_saveexec_b64 s[8:9], s[44:45]
	s_cbranch_execz .LBB96_106
; %bb.105:
	v_mov_b32_e32 v23, 0
	ds_read_b128 v[23:26], v23 offset:3696
	s_waitcnt lgkmcnt(0)
	v_mul_f64 v[27:28], v[13:14], v[25:26]
	v_mul_f64 v[25:26], v[11:12], v[25:26]
	v_fma_f64 v[11:12], v[11:12], v[23:24], -v[27:28]
	v_fma_f64 v[13:14], v[13:14], v[23:24], v[25:26]
	ds_write_b128 v20, v[11:14]
.LBB96_106:
	s_or_b64 exec, exec, s[8:9]
	s_waitcnt lgkmcnt(0)
	s_barrier
	s_barrier
	s_and_saveexec_b64 s[8:9], s[16:17]
; %bb.107:
	v_xor_b32_e32 v14, 0x80000000, v14
	v_xor_b32_e32 v12, 0x80000000, v12
	ds_write_b128 v18, v[11:14] offset:64
; %bb.108:
	s_or_b64 exec, exec, s[8:9]
	v_cmp_gt_u32_e64 s[8:9], 4, v0
	s_and_b64 s[56:57], s[10:11], s[8:9]
	s_waitcnt lgkmcnt(0)
	s_barrier
	s_barrier
	s_and_saveexec_b64 s[8:9], s[56:57]
	s_cbranch_execz .LBB96_110
; %bb.109:
	v_lshlrev_b32_e32 v23, 4, v0
	s_movk_i32 s12, 0x1f0
	v_mad_u32_u24 v24, v0, s12, v23
	ds_read_b128 v[11:14], v24 offset:64
	s_waitcnt lgkmcnt(0)
	ds_write_b128 v23, v[11:14] offset:2048
	ds_read_b128 v[11:14], v24 offset:80
	s_waitcnt lgkmcnt(0)
	ds_write_b128 v23, v[11:14] offset:2560
	;; [unrolled: 3-line block ×4, first 2 shown]
.LBB96_110:
	s_or_b64 exec, exec, s[8:9]
	s_waitcnt lgkmcnt(0)
	s_barrier
	s_and_saveexec_b64 s[8:9], vcc
	s_cbranch_execz .LBB96_112
; %bb.111:
	v_mov_b32_e32 v33, 0
	ds_read_b128 v[11:14], v33 offset:2640
	ds_read_b128 v[23:26], v33 offset:2112
	;; [unrolled: 1-line block ×3, first 2 shown]
	s_waitcnt lgkmcnt(1)
	v_mul_f64 v[31:32], v[11:12], v[25:26]
	v_mul_f64 v[25:26], v[13:14], v[25:26]
	v_fma_f64 v[13:14], v[13:14], v[23:24], v[31:32]
	v_fma_f64 v[11:12], v[11:12], v[23:24], -v[25:26]
	s_waitcnt lgkmcnt(0)
	v_mul_f64 v[23:24], v[13:14], v[29:30]
	v_mul_f64 v[25:26], v[11:12], v[29:30]
	v_fma_f64 v[11:12], v[27:28], v[11:12], -v[23:24]
	v_fma_f64 v[13:14], v[27:28], v[13:14], v[25:26]
	ds_write_b128 v33, v[11:14] offset:2128
	ds_write_b128 v33, v[11:14] offset:2624
.LBB96_112:
	s_or_b64 exec, exec, s[8:9]
	v_mov_b32_e32 v13, 0
	v_mov_b32_e32 v11, 0
	;; [unrolled: 1-line block ×4, first 2 shown]
	s_waitcnt lgkmcnt(0)
	s_barrier
	s_and_saveexec_b64 s[12:13], s[2:3]
	s_cbranch_execz .LBB96_116
; %bb.113:
	v_mul_u32_u24_e32 v11, 0x210, v17
	ds_read_b128 v[11:14], v11 offset:2112
	ds_read_b128 v[23:26], v15 offset:2144
	v_cmp_gt_u32_e64 s[8:9], 2, v1
	s_waitcnt lgkmcnt(0)
	v_mul_f64 v[27:28], v[13:14], v[25:26]
	v_mul_f64 v[25:26], v[11:12], v[25:26]
	v_fma_f64 v[11:12], v[11:12], v[23:24], -v[27:28]
	v_fma_f64 v[13:14], v[13:14], v[23:24], v[25:26]
	v_add_f64 v[11:12], v[11:12], 0
	v_add_f64 v[13:14], v[13:14], 0
	s_and_saveexec_b64 s[14:15], s[8:9]
	s_cbranch_execz .LBB96_115
; %bb.114:
	v_lshlrev_b32_e32 v27, 4, v0
	v_mov_b32_e32 v23, 0
	ds_read_b128 v[23:26], v23 offset:2128
	ds_read_b128 v[27:30], v27 offset:2656
	s_waitcnt lgkmcnt(0)
	v_mul_f64 v[31:32], v[25:26], v[29:30]
	v_mul_f64 v[29:30], v[23:24], v[29:30]
	v_fma_f64 v[23:24], v[23:24], v[27:28], -v[31:32]
	v_fma_f64 v[25:26], v[25:26], v[27:28], v[29:30]
	v_add_f64 v[11:12], v[11:12], v[23:24]
	v_add_f64 v[13:14], v[13:14], v[25:26]
.LBB96_115:
	s_or_b64 exec, exec, s[14:15]
	v_xor_b32_e32 v12, 0x80000000, v12
	v_xor_b32_e32 v14, 0x80000000, v14
.LBB96_116:
	s_or_b64 exec, exec, s[12:13]
	s_and_saveexec_b64 s[8:9], s[40:41]
	s_cbranch_execz .LBB96_118
; %bb.117:
	v_mov_b32_e32 v23, 0
	ds_read_b128 v[23:26], v23 offset:3168
	s_waitcnt lgkmcnt(0)
	v_mul_f64 v[27:28], v[13:14], v[25:26]
	v_mul_f64 v[25:26], v[11:12], v[25:26]
	v_fma_f64 v[11:12], v[11:12], v[23:24], -v[27:28]
	v_fma_f64 v[13:14], v[13:14], v[23:24], v[25:26]
	ds_write_b128 v16, v[11:14]
.LBB96_118:
	s_or_b64 exec, exec, s[8:9]
	s_waitcnt lgkmcnt(0)
	s_barrier
	s_and_saveexec_b64 s[8:9], s[38:39]
	s_cbranch_execz .LBB96_120
; %bb.119:
	v_mov_b32_e32 v27, 0
	ds_read_b128 v[23:26], v16
	ds_read_b128 v[27:30], v27 offset:3184
	s_waitcnt lgkmcnt(0)
	v_mul_f64 v[31:32], v[25:26], v[29:30]
	v_mul_f64 v[29:30], v[23:24], v[29:30]
	v_fma_f64 v[23:24], v[23:24], v[27:28], -v[31:32]
	v_fma_f64 v[25:26], v[25:26], v[27:28], v[29:30]
	v_add_f64 v[11:12], v[11:12], v[23:24]
	v_add_f64 v[13:14], v[13:14], v[25:26]
.LBB96_120:
	s_or_b64 exec, exec, s[8:9]
	s_barrier
	s_and_saveexec_b64 s[8:9], s[38:39]
	s_cbranch_execz .LBB96_122
; %bb.121:
	v_mov_b32_e32 v23, 0
	ds_read_b128 v[23:26], v23 offset:3696
	s_waitcnt lgkmcnt(0)
	v_mul_f64 v[27:28], v[13:14], v[25:26]
	v_mul_f64 v[25:26], v[11:12], v[25:26]
	v_fma_f64 v[11:12], v[11:12], v[23:24], -v[27:28]
	v_fma_f64 v[13:14], v[13:14], v[23:24], v[25:26]
	ds_write_b128 v16, v[11:14]
.LBB96_122:
	s_or_b64 exec, exec, s[8:9]
	s_waitcnt lgkmcnt(0)
	s_barrier
	s_barrier
	s_and_saveexec_b64 s[8:9], s[2:3]
; %bb.123:
	v_xor_b32_e32 v12, 0x80000000, v12
	v_xor_b32_e32 v14, 0x80000000, v14
	ds_write_b128 v15, v[11:14] offset:2144
; %bb.124:
	s_or_b64 exec, exec, s[8:9]
	s_waitcnt lgkmcnt(0)
	s_barrier
	s_barrier
	s_and_saveexec_b64 s[8:9], s[42:43]
	s_cbranch_execz .LBB96_126
; %bb.125:
	v_lshlrev_b32_e32 v23, 9, v0
	ds_read_b128 v[11:14], v23 offset:2144
	s_movk_i32 s12, 0xfe10
	v_mad_i32_i24 v24, v0, s12, v23
	s_waitcnt lgkmcnt(0)
	ds_write_b128 v24, v[11:14] offset:3136
	ds_read_b128 v[11:14], v23 offset:2160
	s_waitcnt lgkmcnt(0)
	ds_write_b128 v24, v[11:14] offset:3648
.LBB96_126:
	s_or_b64 exec, exec, s[8:9]
	s_waitcnt lgkmcnt(0)
	s_barrier
	s_and_saveexec_b64 s[8:9], vcc
	s_cbranch_execz .LBB96_128
; %bb.127:
	v_mov_b32_e32 v33, 0
	ds_read_b128 v[11:14], v33 offset:3696
	ds_read_b128 v[23:26], v33 offset:3168
	;; [unrolled: 1-line block ×3, first 2 shown]
	s_waitcnt lgkmcnt(1)
	v_mul_f64 v[31:32], v[11:12], v[25:26]
	v_mul_f64 v[25:26], v[13:14], v[25:26]
	v_fma_f64 v[13:14], v[13:14], v[23:24], v[31:32]
	v_fma_f64 v[11:12], v[11:12], v[23:24], -v[25:26]
	s_waitcnt lgkmcnt(0)
	v_mul_f64 v[23:24], v[13:14], v[29:30]
	v_mul_f64 v[25:26], v[11:12], v[29:30]
	v_fma_f64 v[11:12], v[27:28], v[11:12], -v[23:24]
	v_fma_f64 v[13:14], v[27:28], v[13:14], v[25:26]
	ds_write_b128 v33, v[11:14] offset:3184
	ds_write_b128 v33, v[11:14] offset:3680
.LBB96_128:
	s_or_b64 exec, exec, s[8:9]
	v_and_b32_e32 v26, 7, v0
	v_lshrrev_b32_e32 v27, 3, v1
	v_lshlrev_b32_e32 v24, 4, v26
	v_mov_b32_e32 v13, 0
	v_mov_b32_e32 v11, 0
	v_cmp_lt_u32_e64 s[12:13], 63, v1
	v_cmp_gt_u32_e64 s[8:9], 64, v1
	v_mov_b32_e32 v14, 0
	v_mov_b32_e32 v12, 0
	v_lshl_or_b32 v23, v27, 9, v24
	s_waitcnt lgkmcnt(0)
	s_barrier
	s_and_saveexec_b64 s[18:19], s[8:9]
	s_cbranch_execz .LBB96_138
; %bb.129:
	v_mul_u32_u24_e32 v25, 0x210, v27
	ds_read_b128 v[11:14], v25
	ds_read_b128 v[28:31], v23 offset:128
	v_cmp_gt_u32_e64 s[14:15], 56, v1
	s_waitcnt lgkmcnt(0)
	v_mul_f64 v[32:33], v[13:14], v[30:31]
	v_mul_f64 v[30:31], v[11:12], v[30:31]
	v_fma_f64 v[11:12], v[11:12], v[28:29], -v[32:33]
	v_fma_f64 v[13:14], v[13:14], v[28:29], v[30:31]
	v_add_f64 v[11:12], v[11:12], 0
	v_add_f64 v[13:14], v[13:14], 0
	s_and_saveexec_b64 s[58:59], s[14:15]
	s_cbranch_execnz .LBB96_552
; %bb.130:
	s_or_b64 exec, exec, s[58:59]
	v_cmp_gt_u32_e64 s[14:15], 48, v1
	s_and_saveexec_b64 s[58:59], s[14:15]
	s_cbranch_execnz .LBB96_553
.LBB96_131:
	s_or_b64 exec, exec, s[58:59]
	v_cmp_gt_u32_e64 s[14:15], 40, v1
	s_and_saveexec_b64 s[58:59], s[14:15]
	s_cbranch_execnz .LBB96_554
.LBB96_132:
	s_or_b64 exec, exec, s[58:59]
	v_cmp_gt_u32_e64 s[14:15], 32, v1
	s_and_saveexec_b64 s[58:59], s[14:15]
	s_cbranch_execnz .LBB96_555
.LBB96_133:
	s_or_b64 exec, exec, s[58:59]
	v_cmp_gt_u32_e64 s[14:15], 24, v1
	s_and_saveexec_b64 s[58:59], s[14:15]
	s_cbranch_execnz .LBB96_556
.LBB96_134:
	s_or_b64 exec, exec, s[58:59]
	v_cmp_gt_u32_e64 s[14:15], 16, v1
	s_and_saveexec_b64 s[58:59], s[14:15]
	s_cbranch_execnz .LBB96_557
.LBB96_135:
	s_or_b64 exec, exec, s[58:59]
	v_cmp_gt_u32_e64 s[14:15], 8, v1
	s_and_saveexec_b64 s[58:59], s[14:15]
	s_cbranch_execz .LBB96_137
.LBB96_136:
	v_mov_b32_e32 v28, 0
	v_lshlrev_b32_e32 v25, 4, v0
	ds_read_b128 v[28:31], v28 offset:112
	ds_read_b128 v[32:35], v25 offset:3712
	s_waitcnt lgkmcnt(0)
	v_mul_f64 v[36:37], v[30:31], v[34:35]
	v_mul_f64 v[34:35], v[28:29], v[34:35]
	v_fma_f64 v[28:29], v[28:29], v[32:33], -v[36:37]
	v_fma_f64 v[30:31], v[30:31], v[32:33], v[34:35]
	v_add_f64 v[11:12], v[11:12], v[28:29]
	v_add_f64 v[13:14], v[13:14], v[30:31]
.LBB96_137:
	s_or_b64 exec, exec, s[58:59]
	v_xor_b32_e32 v12, 0x80000000, v12
	v_xor_b32_e32 v14, 0x80000000, v14
.LBB96_138:
	s_or_b64 exec, exec, s[18:19]
	v_mov_b32_e32 v25, 0x4000
	v_cmp_eq_u32_e64 s[14:15], 0, v26
	s_xor_b64 s[18:19], s[12:13], -1
	v_lshl_add_u32 v25, v27, 4, v25
	s_and_b64 s[60:61], s[14:15], s[18:19]
	s_and_saveexec_b64 s[12:13], s[60:61]
	s_cbranch_execz .LBB96_140
; %bb.139:
	v_mov_b32_e32 v28, 0
	ds_read_b128 v[28:31], v28 offset:4224
	s_waitcnt lgkmcnt(0)
	v_mul_f64 v[32:33], v[13:14], v[30:31]
	v_mul_f64 v[30:31], v[11:12], v[30:31]
	v_fma_f64 v[11:12], v[11:12], v[28:29], -v[32:33]
	v_fma_f64 v[13:14], v[13:14], v[28:29], v[30:31]
	ds_write_b128 v25, v[11:14]
.LBB96_140:
	s_or_b64 exec, exec, s[12:13]
	v_cmp_ne_u32_e64 s[12:13], 0, v26
	s_and_b64 s[62:63], s[12:13], s[18:19]
	s_waitcnt lgkmcnt(0)
	s_barrier
	s_and_saveexec_b64 s[12:13], s[62:63]
	s_cbranch_execz .LBB96_142
; %bb.141:
	ds_read_b128 v[28:31], v25
	ds_read_b128 v[32:35], v24 offset:4224
	s_waitcnt lgkmcnt(0)
	v_mul_f64 v[36:37], v[30:31], v[34:35]
	v_mul_f64 v[34:35], v[28:29], v[34:35]
	v_fma_f64 v[28:29], v[28:29], v[32:33], -v[36:37]
	v_fma_f64 v[30:31], v[30:31], v[32:33], v[34:35]
	v_add_f64 v[11:12], v[11:12], v[28:29]
	v_add_f64 v[13:14], v[13:14], v[30:31]
.LBB96_142:
	s_or_b64 exec, exec, s[12:13]
	v_cmp_eq_u32_e64 s[12:13], 1, v26
	s_and_b64 s[64:65], s[12:13], s[18:19]
	s_barrier
	s_and_saveexec_b64 s[12:13], s[64:65]
	s_cbranch_execz .LBB96_144
; %bb.143:
	v_mov_b32_e32 v28, 0
	ds_read_b128 v[28:31], v28 offset:4752
	s_waitcnt lgkmcnt(0)
	v_mul_f64 v[32:33], v[13:14], v[30:31]
	v_mul_f64 v[30:31], v[11:12], v[30:31]
	v_fma_f64 v[11:12], v[11:12], v[28:29], -v[32:33]
	v_fma_f64 v[13:14], v[13:14], v[28:29], v[30:31]
	ds_write_b128 v25, v[11:14]
.LBB96_144:
	s_or_b64 exec, exec, s[12:13]
	v_cmp_lt_u32_e64 s[12:13], 1, v26
	s_and_b64 s[66:67], s[12:13], s[18:19]
	s_waitcnt lgkmcnt(0)
	s_barrier
	s_and_saveexec_b64 s[12:13], s[66:67]
	s_cbranch_execz .LBB96_146
; %bb.145:
	ds_read_b128 v[28:31], v25
	ds_read_b128 v[32:35], v24 offset:4736
	s_waitcnt lgkmcnt(0)
	v_mul_f64 v[36:37], v[30:31], v[34:35]
	v_mul_f64 v[34:35], v[28:29], v[34:35]
	v_fma_f64 v[28:29], v[28:29], v[32:33], -v[36:37]
	v_fma_f64 v[30:31], v[30:31], v[32:33], v[34:35]
	v_add_f64 v[11:12], v[11:12], v[28:29]
	v_add_f64 v[13:14], v[13:14], v[30:31]
.LBB96_146:
	s_or_b64 exec, exec, s[12:13]
	v_cmp_eq_u32_e64 s[12:13], 2, v26
	s_and_b64 s[68:69], s[12:13], s[18:19]
	s_barrier
	s_and_saveexec_b64 s[12:13], s[68:69]
	s_cbranch_execz .LBB96_148
; %bb.147:
	v_mov_b32_e32 v28, 0
	ds_read_b128 v[28:31], v28 offset:5280
	s_waitcnt lgkmcnt(0)
	v_mul_f64 v[32:33], v[13:14], v[30:31]
	v_mul_f64 v[30:31], v[11:12], v[30:31]
	v_fma_f64 v[11:12], v[11:12], v[28:29], -v[32:33]
	v_fma_f64 v[13:14], v[13:14], v[28:29], v[30:31]
	ds_write_b128 v25, v[11:14]
.LBB96_148:
	s_or_b64 exec, exec, s[12:13]
	v_cmp_lt_u32_e64 s[12:13], 2, v26
	;; [unrolled: 34-line block ×5, first 2 shown]
	s_and_b64 s[82:83], s[12:13], s[18:19]
	s_waitcnt lgkmcnt(0)
	s_barrier
	s_and_saveexec_b64 s[12:13], s[82:83]
	s_cbranch_execz .LBB96_162
; %bb.161:
	ds_read_b128 v[28:31], v25
	ds_read_b128 v[32:35], v24 offset:6784
	s_waitcnt lgkmcnt(0)
	v_mul_f64 v[36:37], v[30:31], v[34:35]
	v_mul_f64 v[34:35], v[28:29], v[34:35]
	v_fma_f64 v[28:29], v[28:29], v[32:33], -v[36:37]
	v_fma_f64 v[30:31], v[30:31], v[32:33], v[34:35]
	v_add_f64 v[11:12], v[11:12], v[28:29]
	v_add_f64 v[13:14], v[13:14], v[30:31]
.LBB96_162:
	s_or_b64 exec, exec, s[12:13]
	v_cmp_eq_u32_e64 s[12:13], 6, v26
	s_and_b64 s[84:85], s[12:13], s[18:19]
	s_barrier
	s_and_saveexec_b64 s[12:13], s[84:85]
	s_cbranch_execz .LBB96_164
; %bb.163:
	v_mov_b32_e32 v28, 0
	ds_read_b128 v[28:31], v28 offset:7392
	s_waitcnt lgkmcnt(0)
	v_mul_f64 v[32:33], v[13:14], v[30:31]
	v_mul_f64 v[30:31], v[11:12], v[30:31]
	v_fma_f64 v[11:12], v[11:12], v[28:29], -v[32:33]
	v_fma_f64 v[13:14], v[13:14], v[28:29], v[30:31]
	ds_write_b128 v25, v[11:14]
.LBB96_164:
	s_or_b64 exec, exec, s[12:13]
	v_cmp_eq_u32_e64 s[12:13], 7, v26
	s_and_b64 s[58:59], s[12:13], s[18:19]
	s_waitcnt lgkmcnt(0)
	s_barrier
	s_and_saveexec_b64 s[12:13], s[58:59]
	s_cbranch_execz .LBB96_166
; %bb.165:
	v_mov_b32_e32 v32, 0
	ds_read_b128 v[28:31], v25
	ds_read_b128 v[32:35], v32 offset:7408
	s_waitcnt lgkmcnt(0)
	v_mul_f64 v[36:37], v[30:31], v[34:35]
	v_mul_f64 v[34:35], v[28:29], v[34:35]
	v_fma_f64 v[28:29], v[28:29], v[32:33], -v[36:37]
	v_fma_f64 v[30:31], v[30:31], v[32:33], v[34:35]
	v_add_f64 v[11:12], v[11:12], v[28:29]
	v_add_f64 v[13:14], v[13:14], v[30:31]
.LBB96_166:
	s_or_b64 exec, exec, s[12:13]
	s_barrier
	s_and_saveexec_b64 s[12:13], s[58:59]
	s_cbranch_execz .LBB96_168
; %bb.167:
	v_mov_b32_e32 v28, 0
	ds_read_b128 v[28:31], v28 offset:7920
	s_waitcnt lgkmcnt(0)
	v_mul_f64 v[32:33], v[13:14], v[30:31]
	v_mul_f64 v[30:31], v[11:12], v[30:31]
	v_fma_f64 v[11:12], v[11:12], v[28:29], -v[32:33]
	v_fma_f64 v[13:14], v[13:14], v[28:29], v[30:31]
	ds_write_b128 v25, v[11:14]
.LBB96_168:
	s_or_b64 exec, exec, s[12:13]
	s_waitcnt lgkmcnt(0)
	s_barrier
	s_barrier
	s_and_saveexec_b64 s[12:13], s[8:9]
; %bb.169:
	v_xor_b32_e32 v12, 0x80000000, v12
	v_xor_b32_e32 v14, 0x80000000, v14
	ds_write_b128 v23, v[11:14] offset:128
; %bb.170:
	s_or_b64 exec, exec, s[12:13]
	v_cmp_gt_u32_e64 s[12:13], 8, v0
	s_and_b64 s[86:87], s[10:11], s[12:13]
	s_waitcnt lgkmcnt(0)
	s_barrier
	s_barrier
	s_and_saveexec_b64 s[12:13], s[86:87]
	s_cbranch_execz .LBB96_172
; %bb.171:
	v_lshlrev_b32_e32 v28, 9, v0
	ds_read_b128 v[11:14], v28 offset:128
	s_movk_i32 s14, 0xfe10
	v_mad_i32_i24 v29, v0, s14, v28
	s_waitcnt lgkmcnt(0)
	ds_write_b128 v29, v[11:14] offset:4096
	ds_read_b128 v[11:14], v28 offset:144
	s_waitcnt lgkmcnt(0)
	ds_write_b128 v29, v[11:14] offset:4608
	ds_read_b128 v[11:14], v28 offset:160
	;; [unrolled: 3-line block ×7, first 2 shown]
	s_waitcnt lgkmcnt(0)
	ds_write_b128 v29, v[11:14] offset:7680
.LBB96_172:
	s_or_b64 exec, exec, s[12:13]
	s_waitcnt lgkmcnt(0)
	s_barrier
	s_and_saveexec_b64 s[12:13], vcc
	s_cbranch_execz .LBB96_174
; %bb.173:
	v_mov_b32_e32 v38, 0
	ds_read_b128 v[11:14], v38 offset:4752
	ds_read_b128 v[28:31], v38 offset:4224
	;; [unrolled: 1-line block ×3, first 2 shown]
	s_waitcnt lgkmcnt(1)
	v_mul_f64 v[36:37], v[11:12], v[30:31]
	v_mul_f64 v[30:31], v[13:14], v[30:31]
	v_fma_f64 v[13:14], v[13:14], v[28:29], v[36:37]
	v_fma_f64 v[11:12], v[11:12], v[28:29], -v[30:31]
	s_waitcnt lgkmcnt(0)
	v_mul_f64 v[28:29], v[13:14], v[34:35]
	v_mul_f64 v[30:31], v[11:12], v[34:35]
	v_fma_f64 v[11:12], v[32:33], v[11:12], -v[28:29]
	v_fma_f64 v[13:14], v[32:33], v[13:14], v[30:31]
	ds_write_b128 v38, v[11:14] offset:4240
	ds_write_b128 v38, v[11:14] offset:4736
.LBB96_174:
	s_or_b64 exec, exec, s[12:13]
	v_mov_b32_e32 v13, 0
	v_mov_b32_e32 v11, 0
	;; [unrolled: 1-line block ×4, first 2 shown]
	s_waitcnt lgkmcnt(0)
	s_barrier
	s_and_saveexec_b64 s[14:15], s[2:3]
	s_cbranch_execz .LBB96_178
; %bb.175:
	v_mul_u32_u24_e32 v11, 0x210, v17
	ds_read_b128 v[11:14], v11 offset:4224
	ds_read_b128 v[28:31], v15 offset:4256
	v_cmp_gt_u32_e64 s[12:13], 2, v1
	s_waitcnt lgkmcnt(0)
	v_mul_f64 v[32:33], v[13:14], v[30:31]
	v_mul_f64 v[30:31], v[11:12], v[30:31]
	v_fma_f64 v[11:12], v[11:12], v[28:29], -v[32:33]
	v_fma_f64 v[13:14], v[13:14], v[28:29], v[30:31]
	v_add_f64 v[11:12], v[11:12], 0
	v_add_f64 v[13:14], v[13:14], 0
	s_and_saveexec_b64 s[18:19], s[12:13]
	s_cbranch_execz .LBB96_177
; %bb.176:
	v_lshlrev_b32_e32 v32, 4, v0
	v_mov_b32_e32 v28, 0
	ds_read_b128 v[28:31], v28 offset:4240
	ds_read_b128 v[32:35], v32 offset:4768
	s_waitcnt lgkmcnt(0)
	v_mul_f64 v[36:37], v[30:31], v[34:35]
	v_mul_f64 v[34:35], v[28:29], v[34:35]
	v_fma_f64 v[28:29], v[28:29], v[32:33], -v[36:37]
	v_fma_f64 v[30:31], v[30:31], v[32:33], v[34:35]
	v_add_f64 v[11:12], v[11:12], v[28:29]
	v_add_f64 v[13:14], v[13:14], v[30:31]
.LBB96_177:
	s_or_b64 exec, exec, s[18:19]
	v_xor_b32_e32 v12, 0x80000000, v12
	v_xor_b32_e32 v14, 0x80000000, v14
.LBB96_178:
	s_or_b64 exec, exec, s[14:15]
	s_and_saveexec_b64 s[12:13], s[40:41]
	s_cbranch_execz .LBB96_180
; %bb.179:
	v_mov_b32_e32 v28, 0
	ds_read_b128 v[28:31], v28 offset:5280
	s_waitcnt lgkmcnt(0)
	v_mul_f64 v[32:33], v[13:14], v[30:31]
	v_mul_f64 v[30:31], v[11:12], v[30:31]
	v_fma_f64 v[11:12], v[11:12], v[28:29], -v[32:33]
	v_fma_f64 v[13:14], v[13:14], v[28:29], v[30:31]
	ds_write_b128 v16, v[11:14]
.LBB96_180:
	s_or_b64 exec, exec, s[12:13]
	s_waitcnt lgkmcnt(0)
	s_barrier
	s_and_saveexec_b64 s[12:13], s[38:39]
	s_cbranch_execz .LBB96_182
; %bb.181:
	v_mov_b32_e32 v32, 0
	ds_read_b128 v[28:31], v16
	ds_read_b128 v[32:35], v32 offset:5296
	s_waitcnt lgkmcnt(0)
	v_mul_f64 v[36:37], v[30:31], v[34:35]
	v_mul_f64 v[34:35], v[28:29], v[34:35]
	v_fma_f64 v[28:29], v[28:29], v[32:33], -v[36:37]
	v_fma_f64 v[30:31], v[30:31], v[32:33], v[34:35]
	v_add_f64 v[11:12], v[11:12], v[28:29]
	v_add_f64 v[13:14], v[13:14], v[30:31]
.LBB96_182:
	s_or_b64 exec, exec, s[12:13]
	s_barrier
	s_and_saveexec_b64 s[12:13], s[38:39]
	s_cbranch_execz .LBB96_184
; %bb.183:
	v_mov_b32_e32 v28, 0
	ds_read_b128 v[28:31], v28 offset:5808
	s_waitcnt lgkmcnt(0)
	v_mul_f64 v[32:33], v[13:14], v[30:31]
	v_mul_f64 v[30:31], v[11:12], v[30:31]
	v_fma_f64 v[11:12], v[11:12], v[28:29], -v[32:33]
	v_fma_f64 v[13:14], v[13:14], v[28:29], v[30:31]
	ds_write_b128 v16, v[11:14]
.LBB96_184:
	s_or_b64 exec, exec, s[12:13]
	s_waitcnt lgkmcnt(0)
	s_barrier
	s_barrier
	s_and_saveexec_b64 s[12:13], s[2:3]
; %bb.185:
	v_xor_b32_e32 v12, 0x80000000, v12
	v_xor_b32_e32 v14, 0x80000000, v14
	ds_write_b128 v15, v[11:14] offset:4256
; %bb.186:
	s_or_b64 exec, exec, s[12:13]
	s_waitcnt lgkmcnt(0)
	s_barrier
	s_barrier
	s_and_saveexec_b64 s[12:13], s[42:43]
	s_cbranch_execz .LBB96_188
; %bb.187:
	v_lshlrev_b32_e32 v28, 9, v0
	ds_read_b128 v[11:14], v28 offset:4256
	s_movk_i32 s14, 0xfe10
	v_mad_i32_i24 v29, v0, s14, v28
	s_waitcnt lgkmcnt(0)
	ds_write_b128 v29, v[11:14] offset:5248
	ds_read_b128 v[11:14], v28 offset:4272
	s_waitcnt lgkmcnt(0)
	ds_write_b128 v29, v[11:14] offset:5760
.LBB96_188:
	s_or_b64 exec, exec, s[12:13]
	s_waitcnt lgkmcnt(0)
	s_barrier
	s_and_saveexec_b64 s[12:13], vcc
	s_cbranch_execz .LBB96_190
; %bb.189:
	v_mov_b32_e32 v38, 0
	ds_read_b128 v[11:14], v38 offset:5808
	ds_read_b128 v[28:31], v38 offset:5280
	;; [unrolled: 1-line block ×3, first 2 shown]
	s_waitcnt lgkmcnt(1)
	v_mul_f64 v[36:37], v[11:12], v[30:31]
	v_mul_f64 v[30:31], v[13:14], v[30:31]
	v_fma_f64 v[13:14], v[13:14], v[28:29], v[36:37]
	v_fma_f64 v[11:12], v[11:12], v[28:29], -v[30:31]
	s_waitcnt lgkmcnt(0)
	v_mul_f64 v[28:29], v[13:14], v[34:35]
	v_mul_f64 v[30:31], v[11:12], v[34:35]
	v_fma_f64 v[11:12], v[32:33], v[11:12], -v[28:29]
	v_fma_f64 v[13:14], v[32:33], v[13:14], v[30:31]
	ds_write_b128 v38, v[11:14] offset:5296
	ds_write_b128 v38, v[11:14] offset:5792
.LBB96_190:
	s_or_b64 exec, exec, s[12:13]
	v_mov_b32_e32 v13, 0
	v_mov_b32_e32 v11, 0
	v_mov_b32_e32 v14, 0
	v_mov_b32_e32 v12, 0
	s_waitcnt lgkmcnt(0)
	s_barrier
	s_and_saveexec_b64 s[14:15], s[16:17]
	s_cbranch_execz .LBB96_196
; %bb.191:
	v_mul_u32_u24_e32 v28, 0x210, v22
	ds_read_b128 v[11:14], v28 offset:4224
	ds_read_b128 v[29:32], v18 offset:4288
	v_cmp_gt_u32_e64 s[12:13], 12, v1
	s_waitcnt lgkmcnt(0)
	v_mul_f64 v[33:34], v[13:14], v[31:32]
	v_mul_f64 v[31:32], v[11:12], v[31:32]
	v_fma_f64 v[11:12], v[11:12], v[29:30], -v[33:34]
	v_fma_f64 v[13:14], v[13:14], v[29:30], v[31:32]
	v_add_f64 v[11:12], v[11:12], 0
	v_add_f64 v[13:14], v[13:14], 0
	s_and_saveexec_b64 s[18:19], s[12:13]
	s_cbranch_execnz .LBB96_558
; %bb.192:
	s_or_b64 exec, exec, s[18:19]
	v_cmp_gt_u32_e64 s[12:13], 8, v1
	s_and_saveexec_b64 s[18:19], s[12:13]
	s_cbranch_execnz .LBB96_559
.LBB96_193:
	s_or_b64 exec, exec, s[18:19]
	v_cmp_gt_u32_e64 s[12:13], 4, v1
	s_and_saveexec_b64 s[18:19], s[12:13]
	s_cbranch_execz .LBB96_195
.LBB96_194:
	v_lshlrev_b32_e32 v32, 4, v0
	v_mov_b32_e32 v28, 0
	ds_read_b128 v[28:31], v28 offset:4272
	ds_read_b128 v[32:35], v32 offset:5824
	s_waitcnt lgkmcnt(0)
	v_mul_f64 v[36:37], v[30:31], v[34:35]
	v_mul_f64 v[34:35], v[28:29], v[34:35]
	v_fma_f64 v[28:29], v[28:29], v[32:33], -v[36:37]
	v_fma_f64 v[30:31], v[30:31], v[32:33], v[34:35]
	v_add_f64 v[11:12], v[11:12], v[28:29]
	v_add_f64 v[13:14], v[13:14], v[30:31]
.LBB96_195:
	s_or_b64 exec, exec, s[18:19]
	v_xor_b32_e32 v12, 0x80000000, v12
	v_xor_b32_e32 v14, 0x80000000, v14
.LBB96_196:
	s_or_b64 exec, exec, s[14:15]
	s_and_saveexec_b64 s[12:13], s[46:47]
	s_cbranch_execz .LBB96_198
; %bb.197:
	v_mov_b32_e32 v28, 0
	ds_read_b128 v[28:31], v28 offset:6336
	s_waitcnt lgkmcnt(0)
	v_mul_f64 v[32:33], v[13:14], v[30:31]
	v_mul_f64 v[30:31], v[11:12], v[30:31]
	v_fma_f64 v[11:12], v[11:12], v[28:29], -v[32:33]
	v_fma_f64 v[13:14], v[13:14], v[28:29], v[30:31]
	ds_write_b128 v20, v[11:14]
.LBB96_198:
	s_or_b64 exec, exec, s[12:13]
	s_waitcnt lgkmcnt(0)
	s_barrier
	s_and_saveexec_b64 s[12:13], s[48:49]
	s_cbranch_execz .LBB96_200
; %bb.199:
	ds_read_b128 v[28:31], v20
	ds_read_b128 v[32:35], v19 offset:6336
	s_waitcnt lgkmcnt(0)
	v_mul_f64 v[36:37], v[30:31], v[34:35]
	v_mul_f64 v[34:35], v[28:29], v[34:35]
	v_fma_f64 v[28:29], v[28:29], v[32:33], -v[36:37]
	v_fma_f64 v[30:31], v[30:31], v[32:33], v[34:35]
	v_add_f64 v[11:12], v[11:12], v[28:29]
	v_add_f64 v[13:14], v[13:14], v[30:31]
.LBB96_200:
	s_or_b64 exec, exec, s[12:13]
	s_barrier
	s_and_saveexec_b64 s[12:13], s[50:51]
	s_cbranch_execz .LBB96_202
; %bb.201:
	v_mov_b32_e32 v28, 0
	ds_read_b128 v[28:31], v28 offset:6864
	s_waitcnt lgkmcnt(0)
	v_mul_f64 v[32:33], v[13:14], v[30:31]
	v_mul_f64 v[30:31], v[11:12], v[30:31]
	v_fma_f64 v[11:12], v[11:12], v[28:29], -v[32:33]
	v_fma_f64 v[13:14], v[13:14], v[28:29], v[30:31]
	ds_write_b128 v20, v[11:14]
.LBB96_202:
	s_or_b64 exec, exec, s[12:13]
	s_waitcnt lgkmcnt(0)
	s_barrier
	s_and_saveexec_b64 s[12:13], s[52:53]
	s_cbranch_execz .LBB96_204
; %bb.203:
	ds_read_b128 v[28:31], v20
	ds_read_b128 v[32:35], v19 offset:6848
	s_waitcnt lgkmcnt(0)
	v_mul_f64 v[36:37], v[30:31], v[34:35]
	v_mul_f64 v[34:35], v[28:29], v[34:35]
	v_fma_f64 v[28:29], v[28:29], v[32:33], -v[36:37]
	v_fma_f64 v[30:31], v[30:31], v[32:33], v[34:35]
	v_add_f64 v[11:12], v[11:12], v[28:29]
	v_add_f64 v[13:14], v[13:14], v[30:31]
.LBB96_204:
	s_or_b64 exec, exec, s[12:13]
	s_barrier
	s_and_saveexec_b64 s[12:13], s[54:55]
	s_cbranch_execz .LBB96_206
; %bb.205:
	v_mov_b32_e32 v28, 0
	ds_read_b128 v[28:31], v28 offset:7392
	s_waitcnt lgkmcnt(0)
	v_mul_f64 v[32:33], v[13:14], v[30:31]
	v_mul_f64 v[30:31], v[11:12], v[30:31]
	v_fma_f64 v[11:12], v[11:12], v[28:29], -v[32:33]
	v_fma_f64 v[13:14], v[13:14], v[28:29], v[30:31]
	ds_write_b128 v20, v[11:14]
.LBB96_206:
	s_or_b64 exec, exec, s[12:13]
	s_waitcnt lgkmcnt(0)
	s_barrier
	s_and_saveexec_b64 s[12:13], s[44:45]
	s_cbranch_execz .LBB96_208
; %bb.207:
	v_mov_b32_e32 v32, 0
	ds_read_b128 v[28:31], v20
	ds_read_b128 v[32:35], v32 offset:7408
	s_waitcnt lgkmcnt(0)
	v_mul_f64 v[36:37], v[30:31], v[34:35]
	v_mul_f64 v[34:35], v[28:29], v[34:35]
	v_fma_f64 v[28:29], v[28:29], v[32:33], -v[36:37]
	v_fma_f64 v[30:31], v[30:31], v[32:33], v[34:35]
	v_add_f64 v[11:12], v[11:12], v[28:29]
	v_add_f64 v[13:14], v[13:14], v[30:31]
.LBB96_208:
	s_or_b64 exec, exec, s[12:13]
	s_barrier
	s_and_saveexec_b64 s[12:13], s[44:45]
	s_cbranch_execz .LBB96_210
; %bb.209:
	v_mov_b32_e32 v28, 0
	ds_read_b128 v[28:31], v28 offset:7920
	s_waitcnt lgkmcnt(0)
	v_mul_f64 v[32:33], v[13:14], v[30:31]
	v_mul_f64 v[30:31], v[11:12], v[30:31]
	v_fma_f64 v[11:12], v[11:12], v[28:29], -v[32:33]
	v_fma_f64 v[13:14], v[13:14], v[28:29], v[30:31]
	ds_write_b128 v20, v[11:14]
.LBB96_210:
	s_or_b64 exec, exec, s[12:13]
	s_waitcnt lgkmcnt(0)
	s_barrier
	s_barrier
	s_and_saveexec_b64 s[12:13], s[16:17]
; %bb.211:
	v_xor_b32_e32 v14, 0x80000000, v14
	v_xor_b32_e32 v12, 0x80000000, v12
	ds_write_b128 v18, v[11:14] offset:4288
; %bb.212:
	s_or_b64 exec, exec, s[12:13]
	s_waitcnt lgkmcnt(0)
	s_barrier
	s_barrier
	s_and_saveexec_b64 s[12:13], s[56:57]
	s_cbranch_execz .LBB96_214
; %bb.213:
	v_lshlrev_b32_e32 v28, 4, v0
	s_movk_i32 s14, 0x1f0
	v_mad_u32_u24 v29, v0, s14, v28
	ds_read_b128 v[11:14], v29 offset:4288
	s_waitcnt lgkmcnt(0)
	ds_write_b128 v28, v[11:14] offset:6272
	ds_read_b128 v[11:14], v29 offset:4304
	s_waitcnt lgkmcnt(0)
	ds_write_b128 v28, v[11:14] offset:6784
	;; [unrolled: 3-line block ×4, first 2 shown]
.LBB96_214:
	s_or_b64 exec, exec, s[12:13]
	s_waitcnt lgkmcnt(0)
	s_barrier
	s_and_saveexec_b64 s[12:13], vcc
	s_cbranch_execz .LBB96_216
; %bb.215:
	v_mov_b32_e32 v38, 0
	ds_read_b128 v[11:14], v38 offset:6864
	ds_read_b128 v[28:31], v38 offset:6336
	;; [unrolled: 1-line block ×3, first 2 shown]
	s_waitcnt lgkmcnt(1)
	v_mul_f64 v[36:37], v[11:12], v[30:31]
	v_mul_f64 v[30:31], v[13:14], v[30:31]
	v_fma_f64 v[13:14], v[13:14], v[28:29], v[36:37]
	v_fma_f64 v[11:12], v[11:12], v[28:29], -v[30:31]
	s_waitcnt lgkmcnt(0)
	v_mul_f64 v[28:29], v[13:14], v[34:35]
	v_mul_f64 v[30:31], v[11:12], v[34:35]
	v_fma_f64 v[11:12], v[32:33], v[11:12], -v[28:29]
	v_fma_f64 v[13:14], v[32:33], v[13:14], v[30:31]
	ds_write_b128 v38, v[11:14] offset:6352
	ds_write_b128 v38, v[11:14] offset:6848
.LBB96_216:
	s_or_b64 exec, exec, s[12:13]
	v_mov_b32_e32 v13, 0
	v_mov_b32_e32 v11, 0
	;; [unrolled: 1-line block ×4, first 2 shown]
	s_waitcnt lgkmcnt(0)
	s_barrier
	s_and_saveexec_b64 s[14:15], s[2:3]
	s_cbranch_execz .LBB96_220
; %bb.217:
	v_mul_u32_u24_e32 v11, 0x210, v17
	ds_read_b128 v[11:14], v11 offset:6336
	ds_read_b128 v[28:31], v15 offset:6368
	v_cmp_gt_u32_e64 s[12:13], 2, v1
	s_waitcnt lgkmcnt(0)
	v_mul_f64 v[32:33], v[13:14], v[30:31]
	v_mul_f64 v[30:31], v[11:12], v[30:31]
	v_fma_f64 v[11:12], v[11:12], v[28:29], -v[32:33]
	v_fma_f64 v[13:14], v[13:14], v[28:29], v[30:31]
	v_add_f64 v[11:12], v[11:12], 0
	v_add_f64 v[13:14], v[13:14], 0
	s_and_saveexec_b64 s[18:19], s[12:13]
	s_cbranch_execz .LBB96_219
; %bb.218:
	v_lshlrev_b32_e32 v32, 4, v0
	v_mov_b32_e32 v28, 0
	ds_read_b128 v[28:31], v28 offset:6352
	ds_read_b128 v[32:35], v32 offset:6880
	s_waitcnt lgkmcnt(0)
	v_mul_f64 v[36:37], v[30:31], v[34:35]
	v_mul_f64 v[34:35], v[28:29], v[34:35]
	v_fma_f64 v[28:29], v[28:29], v[32:33], -v[36:37]
	v_fma_f64 v[30:31], v[30:31], v[32:33], v[34:35]
	v_add_f64 v[11:12], v[11:12], v[28:29]
	v_add_f64 v[13:14], v[13:14], v[30:31]
.LBB96_219:
	s_or_b64 exec, exec, s[18:19]
	v_xor_b32_e32 v12, 0x80000000, v12
	v_xor_b32_e32 v14, 0x80000000, v14
.LBB96_220:
	s_or_b64 exec, exec, s[14:15]
	s_and_saveexec_b64 s[12:13], s[40:41]
	s_cbranch_execz .LBB96_222
; %bb.221:
	v_mov_b32_e32 v28, 0
	ds_read_b128 v[28:31], v28 offset:7392
	s_waitcnt lgkmcnt(0)
	v_mul_f64 v[32:33], v[13:14], v[30:31]
	v_mul_f64 v[30:31], v[11:12], v[30:31]
	v_fma_f64 v[11:12], v[11:12], v[28:29], -v[32:33]
	v_fma_f64 v[13:14], v[13:14], v[28:29], v[30:31]
	ds_write_b128 v16, v[11:14]
.LBB96_222:
	s_or_b64 exec, exec, s[12:13]
	s_waitcnt lgkmcnt(0)
	s_barrier
	s_and_saveexec_b64 s[12:13], s[38:39]
	s_cbranch_execz .LBB96_224
; %bb.223:
	v_mov_b32_e32 v32, 0
	ds_read_b128 v[28:31], v16
	ds_read_b128 v[32:35], v32 offset:7408
	s_waitcnt lgkmcnt(0)
	v_mul_f64 v[36:37], v[30:31], v[34:35]
	v_mul_f64 v[34:35], v[28:29], v[34:35]
	v_fma_f64 v[28:29], v[28:29], v[32:33], -v[36:37]
	v_fma_f64 v[30:31], v[30:31], v[32:33], v[34:35]
	v_add_f64 v[11:12], v[11:12], v[28:29]
	v_add_f64 v[13:14], v[13:14], v[30:31]
.LBB96_224:
	s_or_b64 exec, exec, s[12:13]
	s_barrier
	s_and_saveexec_b64 s[12:13], s[38:39]
	s_cbranch_execz .LBB96_226
; %bb.225:
	v_mov_b32_e32 v28, 0
	ds_read_b128 v[28:31], v28 offset:7920
	s_waitcnt lgkmcnt(0)
	v_mul_f64 v[32:33], v[13:14], v[30:31]
	v_mul_f64 v[30:31], v[11:12], v[30:31]
	v_fma_f64 v[11:12], v[11:12], v[28:29], -v[32:33]
	v_fma_f64 v[13:14], v[13:14], v[28:29], v[30:31]
	ds_write_b128 v16, v[11:14]
.LBB96_226:
	s_or_b64 exec, exec, s[12:13]
	s_waitcnt lgkmcnt(0)
	s_barrier
	s_barrier
	s_and_saveexec_b64 s[12:13], s[2:3]
; %bb.227:
	v_xor_b32_e32 v12, 0x80000000, v12
	v_xor_b32_e32 v14, 0x80000000, v14
	ds_write_b128 v15, v[11:14] offset:6368
; %bb.228:
	s_or_b64 exec, exec, s[12:13]
	s_waitcnt lgkmcnt(0)
	s_barrier
	s_barrier
	s_and_saveexec_b64 s[12:13], s[42:43]
	s_cbranch_execz .LBB96_230
; %bb.229:
	v_lshlrev_b32_e32 v28, 9, v0
	ds_read_b128 v[11:14], v28 offset:6368
	s_movk_i32 s14, 0xfe10
	v_mad_i32_i24 v29, v0, s14, v28
	s_waitcnt lgkmcnt(0)
	ds_write_b128 v29, v[11:14] offset:7360
	ds_read_b128 v[11:14], v28 offset:6384
	s_waitcnt lgkmcnt(0)
	ds_write_b128 v29, v[11:14] offset:7872
.LBB96_230:
	s_or_b64 exec, exec, s[12:13]
	s_waitcnt lgkmcnt(0)
	s_barrier
	s_and_saveexec_b64 s[12:13], vcc
	s_cbranch_execz .LBB96_232
; %bb.231:
	v_mov_b32_e32 v38, 0
	ds_read_b128 v[11:14], v38 offset:7920
	ds_read_b128 v[28:31], v38 offset:7392
	;; [unrolled: 1-line block ×3, first 2 shown]
	s_waitcnt lgkmcnt(1)
	v_mul_f64 v[36:37], v[11:12], v[30:31]
	v_mul_f64 v[30:31], v[13:14], v[30:31]
	v_fma_f64 v[13:14], v[13:14], v[28:29], v[36:37]
	v_fma_f64 v[11:12], v[11:12], v[28:29], -v[30:31]
	s_waitcnt lgkmcnt(0)
	v_mul_f64 v[28:29], v[13:14], v[34:35]
	v_mul_f64 v[30:31], v[11:12], v[34:35]
	v_fma_f64 v[11:12], v[32:33], v[11:12], -v[28:29]
	v_fma_f64 v[13:14], v[32:33], v[13:14], v[30:31]
	ds_write_b128 v38, v[11:14] offset:7408
	ds_write_b128 v38, v[11:14] offset:7904
.LBB96_232:
	s_or_b64 exec, exec, s[12:13]
	v_and_b32_e32 v29, 15, v0
	s_movk_i32 s12, 0xff
	v_lshrrev_b32_e32 v31, 4, v1
	v_cmp_lt_u32_e64 s[14:15], s12, v1
	s_movk_i32 s12, 0x100
	v_lshlrev_b32_e32 v30, 4, v29
	v_mov_b32_e32 v13, 0
	v_mov_b32_e32 v11, 0
	v_cmp_gt_u32_e64 s[12:13], s12, v1
	v_mov_b32_e32 v14, 0
	v_mov_b32_e32 v12, 0
	v_lshl_or_b32 v28, v31, 9, v30
	s_waitcnt lgkmcnt(0)
	s_barrier
	s_and_saveexec_b64 s[88:89], s[12:13]
	s_cbranch_execz .LBB96_260
; %bb.233:
	v_mul_u32_u24_e32 v32, 0x210, v31
	ds_read_b128 v[11:14], v32
	ds_read_b128 v[33:36], v28 offset:256
	s_movk_i32 s18, 0xf0
	v_cmp_gt_u32_e64 s[18:19], s18, v1
	s_waitcnt lgkmcnt(0)
	v_mul_f64 v[37:38], v[13:14], v[35:36]
	v_mul_f64 v[35:36], v[11:12], v[35:36]
	v_fma_f64 v[11:12], v[11:12], v[33:34], -v[37:38]
	v_fma_f64 v[13:14], v[13:14], v[33:34], v[35:36]
	v_add_f64 v[11:12], v[11:12], 0
	v_add_f64 v[13:14], v[13:14], 0
	s_and_saveexec_b64 s[90:91], s[18:19]
	s_cbranch_execz .LBB96_235
; %bb.234:
	ds_read_b128 v[33:36], v32 offset:16
	ds_read_b128 v[37:40], v28 offset:768
	s_waitcnt lgkmcnt(0)
	v_mul_f64 v[41:42], v[35:36], v[39:40]
	v_mul_f64 v[39:40], v[33:34], v[39:40]
	v_fma_f64 v[33:34], v[33:34], v[37:38], -v[41:42]
	v_fma_f64 v[35:36], v[35:36], v[37:38], v[39:40]
	v_add_f64 v[11:12], v[11:12], v[33:34]
	v_add_f64 v[13:14], v[13:14], v[35:36]
.LBB96_235:
	s_or_b64 exec, exec, s[90:91]
	s_movk_i32 s18, 0xe0
	v_cmp_gt_u32_e64 s[18:19], s18, v1
	s_and_saveexec_b64 s[90:91], s[18:19]
	s_cbranch_execz .LBB96_237
; %bb.236:
	ds_read_b128 v[33:36], v32 offset:32
	ds_read_b128 v[37:40], v28 offset:1280
	s_waitcnt lgkmcnt(0)
	v_mul_f64 v[41:42], v[35:36], v[39:40]
	v_mul_f64 v[39:40], v[33:34], v[39:40]
	v_fma_f64 v[33:34], v[33:34], v[37:38], -v[41:42]
	v_fma_f64 v[35:36], v[35:36], v[37:38], v[39:40]
	v_add_f64 v[11:12], v[11:12], v[33:34]
	v_add_f64 v[13:14], v[13:14], v[35:36]
.LBB96_237:
	s_or_b64 exec, exec, s[90:91]
	s_movk_i32 s18, 0xd0
	v_cmp_gt_u32_e64 s[18:19], s18, v1
	s_and_saveexec_b64 s[90:91], s[18:19]
	s_cbranch_execz .LBB96_239
; %bb.238:
	ds_read_b128 v[33:36], v32 offset:48
	ds_read_b128 v[37:40], v28 offset:1792
	s_waitcnt lgkmcnt(0)
	v_mul_f64 v[41:42], v[35:36], v[39:40]
	v_mul_f64 v[39:40], v[33:34], v[39:40]
	v_fma_f64 v[33:34], v[33:34], v[37:38], -v[41:42]
	v_fma_f64 v[35:36], v[35:36], v[37:38], v[39:40]
	v_add_f64 v[11:12], v[11:12], v[33:34]
	v_add_f64 v[13:14], v[13:14], v[35:36]
.LBB96_239:
	s_or_b64 exec, exec, s[90:91]
	s_movk_i32 s18, 0xc0
	v_cmp_gt_u32_e64 s[18:19], s18, v1
	s_and_saveexec_b64 s[90:91], s[18:19]
	s_cbranch_execz .LBB96_241
; %bb.240:
	ds_read_b128 v[33:36], v32 offset:64
	ds_read_b128 v[37:40], v28 offset:2304
	s_waitcnt lgkmcnt(0)
	v_mul_f64 v[41:42], v[35:36], v[39:40]
	v_mul_f64 v[39:40], v[33:34], v[39:40]
	v_fma_f64 v[33:34], v[33:34], v[37:38], -v[41:42]
	v_fma_f64 v[35:36], v[35:36], v[37:38], v[39:40]
	v_add_f64 v[11:12], v[11:12], v[33:34]
	v_add_f64 v[13:14], v[13:14], v[35:36]
.LBB96_241:
	s_or_b64 exec, exec, s[90:91]
	s_movk_i32 s18, 0xb0
	v_cmp_gt_u32_e64 s[18:19], s18, v1
	s_and_saveexec_b64 s[90:91], s[18:19]
	s_cbranch_execz .LBB96_243
; %bb.242:
	ds_read_b128 v[33:36], v32 offset:80
	ds_read_b128 v[37:40], v28 offset:2816
	s_waitcnt lgkmcnt(0)
	v_mul_f64 v[41:42], v[35:36], v[39:40]
	v_mul_f64 v[39:40], v[33:34], v[39:40]
	v_fma_f64 v[33:34], v[33:34], v[37:38], -v[41:42]
	v_fma_f64 v[35:36], v[35:36], v[37:38], v[39:40]
	v_add_f64 v[11:12], v[11:12], v[33:34]
	v_add_f64 v[13:14], v[13:14], v[35:36]
.LBB96_243:
	s_or_b64 exec, exec, s[90:91]
	s_movk_i32 s18, 0xa0
	v_cmp_gt_u32_e64 s[18:19], s18, v1
	s_and_saveexec_b64 s[90:91], s[18:19]
	s_cbranch_execz .LBB96_245
; %bb.244:
	ds_read_b128 v[33:36], v32 offset:96
	ds_read_b128 v[37:40], v28 offset:3328
	s_waitcnt lgkmcnt(0)
	v_mul_f64 v[41:42], v[35:36], v[39:40]
	v_mul_f64 v[39:40], v[33:34], v[39:40]
	v_fma_f64 v[33:34], v[33:34], v[37:38], -v[41:42]
	v_fma_f64 v[35:36], v[35:36], v[37:38], v[39:40]
	v_add_f64 v[11:12], v[11:12], v[33:34]
	v_add_f64 v[13:14], v[13:14], v[35:36]
.LBB96_245:
	s_or_b64 exec, exec, s[90:91]
	s_movk_i32 s18, 0x90
	v_cmp_gt_u32_e64 s[18:19], s18, v1
	s_and_saveexec_b64 s[90:91], s[18:19]
	s_cbranch_execz .LBB96_247
; %bb.246:
	ds_read_b128 v[33:36], v32 offset:112
	ds_read_b128 v[37:40], v28 offset:3840
	s_waitcnt lgkmcnt(0)
	v_mul_f64 v[41:42], v[35:36], v[39:40]
	v_mul_f64 v[39:40], v[33:34], v[39:40]
	v_fma_f64 v[33:34], v[33:34], v[37:38], -v[41:42]
	v_fma_f64 v[35:36], v[35:36], v[37:38], v[39:40]
	v_add_f64 v[11:12], v[11:12], v[33:34]
	v_add_f64 v[13:14], v[13:14], v[35:36]
.LBB96_247:
	s_or_b64 exec, exec, s[90:91]
	s_movk_i32 s18, 0x80
	v_cmp_gt_u32_e64 s[18:19], s18, v1
	s_and_saveexec_b64 s[90:91], s[18:19]
	s_cbranch_execz .LBB96_249
; %bb.248:
	ds_read_b128 v[33:36], v32 offset:128
	ds_read_b128 v[37:40], v28 offset:4352
	s_waitcnt lgkmcnt(0)
	v_mul_f64 v[41:42], v[35:36], v[39:40]
	v_mul_f64 v[39:40], v[33:34], v[39:40]
	v_fma_f64 v[33:34], v[33:34], v[37:38], -v[41:42]
	v_fma_f64 v[35:36], v[35:36], v[37:38], v[39:40]
	v_add_f64 v[11:12], v[11:12], v[33:34]
	v_add_f64 v[13:14], v[13:14], v[35:36]
.LBB96_249:
	s_or_b64 exec, exec, s[90:91]
	s_movk_i32 s18, 0x70
	v_cmp_gt_u32_e64 s[18:19], s18, v1
	s_and_saveexec_b64 s[90:91], s[18:19]
	s_cbranch_execz .LBB96_251
; %bb.250:
	ds_read_b128 v[33:36], v32 offset:144
	ds_read_b128 v[37:40], v28 offset:4864
	s_waitcnt lgkmcnt(0)
	v_mul_f64 v[41:42], v[35:36], v[39:40]
	v_mul_f64 v[39:40], v[33:34], v[39:40]
	v_fma_f64 v[33:34], v[33:34], v[37:38], -v[41:42]
	v_fma_f64 v[35:36], v[35:36], v[37:38], v[39:40]
	v_add_f64 v[11:12], v[11:12], v[33:34]
	v_add_f64 v[13:14], v[13:14], v[35:36]
.LBB96_251:
	s_or_b64 exec, exec, s[90:91]
	s_movk_i32 s18, 0x60
	v_cmp_gt_u32_e64 s[18:19], s18, v1
	s_and_saveexec_b64 s[90:91], s[18:19]
	s_cbranch_execz .LBB96_253
; %bb.252:
	ds_read_b128 v[33:36], v32 offset:160
	ds_read_b128 v[37:40], v28 offset:5376
	s_waitcnt lgkmcnt(0)
	v_mul_f64 v[41:42], v[35:36], v[39:40]
	v_mul_f64 v[39:40], v[33:34], v[39:40]
	v_fma_f64 v[33:34], v[33:34], v[37:38], -v[41:42]
	v_fma_f64 v[35:36], v[35:36], v[37:38], v[39:40]
	v_add_f64 v[11:12], v[11:12], v[33:34]
	v_add_f64 v[13:14], v[13:14], v[35:36]
.LBB96_253:
	s_or_b64 exec, exec, s[90:91]
	s_movk_i32 s18, 0x50
	v_cmp_gt_u32_e64 s[18:19], s18, v1
	s_and_saveexec_b64 s[90:91], s[18:19]
	s_cbranch_execnz .LBB96_560
; %bb.254:
	s_or_b64 exec, exec, s[90:91]
	v_cmp_gt_u32_e64 s[18:19], 64, v1
	s_and_saveexec_b64 s[90:91], s[18:19]
	s_cbranch_execnz .LBB96_561
.LBB96_255:
	s_or_b64 exec, exec, s[90:91]
	v_cmp_gt_u32_e64 s[18:19], 48, v1
	s_and_saveexec_b64 s[90:91], s[18:19]
	s_cbranch_execnz .LBB96_562
.LBB96_256:
	s_or_b64 exec, exec, s[90:91]
	v_cmp_gt_u32_e64 s[18:19], 32, v1
	s_and_saveexec_b64 s[90:91], s[18:19]
	s_cbranch_execnz .LBB96_563
.LBB96_257:
	s_or_b64 exec, exec, s[90:91]
	v_cmp_gt_u32_e64 s[18:19], 16, v1
	s_and_saveexec_b64 s[90:91], s[18:19]
	s_cbranch_execz .LBB96_259
.LBB96_258:
	v_lshlrev_b32_e32 v36, 4, v0
	v_mov_b32_e32 v32, 0
	ds_read_b128 v[32:35], v32 offset:240
	ds_read_b128 v[36:39], v36 offset:7936
	s_waitcnt lgkmcnt(0)
	v_mul_f64 v[40:41], v[34:35], v[38:39]
	v_mul_f64 v[38:39], v[32:33], v[38:39]
	v_fma_f64 v[32:33], v[32:33], v[36:37], -v[40:41]
	v_fma_f64 v[34:35], v[34:35], v[36:37], v[38:39]
	v_add_f64 v[11:12], v[11:12], v[32:33]
	v_add_f64 v[13:14], v[13:14], v[34:35]
.LBB96_259:
	s_or_b64 exec, exec, s[90:91]
	v_xor_b32_e32 v12, 0x80000000, v12
	v_xor_b32_e32 v14, 0x80000000, v14
.LBB96_260:
	s_or_b64 exec, exec, s[88:89]
	v_mov_b32_e32 v32, 0x4000
	v_cmp_eq_u32_e64 s[18:19], 0, v29
	s_xor_b64 s[88:89], s[14:15], -1
	v_lshl_add_u32 v31, v31, 4, v32
	s_and_b64 s[18:19], s[18:19], s[88:89]
	s_and_saveexec_b64 s[14:15], s[18:19]
	s_cbranch_execz .LBB96_262
; %bb.261:
	v_mov_b32_e32 v32, 0
	ds_read_b128 v[32:35], v32 offset:8448
	s_waitcnt lgkmcnt(0)
	v_mul_f64 v[36:37], v[13:14], v[34:35]
	v_mul_f64 v[34:35], v[11:12], v[34:35]
	v_fma_f64 v[11:12], v[11:12], v[32:33], -v[36:37]
	v_fma_f64 v[13:14], v[13:14], v[32:33], v[34:35]
	ds_write_b128 v31, v[11:14]
.LBB96_262:
	s_or_b64 exec, exec, s[14:15]
	v_cmp_ne_u32_e64 s[14:15], 0, v29
	s_and_b64 s[18:19], s[14:15], s[88:89]
	s_waitcnt lgkmcnt(0)
	s_barrier
	s_and_saveexec_b64 s[14:15], s[18:19]
	s_cbranch_execz .LBB96_264
; %bb.263:
	ds_read_b128 v[32:35], v31
	ds_read_b128 v[36:39], v30 offset:8448
	s_waitcnt lgkmcnt(0)
	v_mul_f64 v[40:41], v[34:35], v[38:39]
	v_mul_f64 v[38:39], v[32:33], v[38:39]
	v_fma_f64 v[32:33], v[32:33], v[36:37], -v[40:41]
	v_fma_f64 v[34:35], v[34:35], v[36:37], v[38:39]
	v_add_f64 v[11:12], v[11:12], v[32:33]
	v_add_f64 v[13:14], v[13:14], v[34:35]
.LBB96_264:
	s_or_b64 exec, exec, s[14:15]
	v_cmp_eq_u32_e64 s[14:15], 1, v29
	s_and_b64 s[18:19], s[14:15], s[88:89]
	s_barrier
	s_and_saveexec_b64 s[14:15], s[18:19]
	s_cbranch_execz .LBB96_266
; %bb.265:
	v_mov_b32_e32 v32, 0
	ds_read_b128 v[32:35], v32 offset:8976
	s_waitcnt lgkmcnt(0)
	v_mul_f64 v[36:37], v[13:14], v[34:35]
	v_mul_f64 v[34:35], v[11:12], v[34:35]
	v_fma_f64 v[11:12], v[11:12], v[32:33], -v[36:37]
	v_fma_f64 v[13:14], v[13:14], v[32:33], v[34:35]
	ds_write_b128 v31, v[11:14]
.LBB96_266:
	s_or_b64 exec, exec, s[14:15]
	v_cmp_lt_u32_e64 s[14:15], 1, v29
	s_and_b64 s[18:19], s[14:15], s[88:89]
	s_waitcnt lgkmcnt(0)
	s_barrier
	s_and_saveexec_b64 s[14:15], s[18:19]
	s_cbranch_execz .LBB96_268
; %bb.267:
	ds_read_b128 v[32:35], v31
	ds_read_b128 v[36:39], v30 offset:8960
	s_waitcnt lgkmcnt(0)
	v_mul_f64 v[40:41], v[34:35], v[38:39]
	v_mul_f64 v[38:39], v[32:33], v[38:39]
	v_fma_f64 v[32:33], v[32:33], v[36:37], -v[40:41]
	v_fma_f64 v[34:35], v[34:35], v[36:37], v[38:39]
	v_add_f64 v[11:12], v[11:12], v[32:33]
	v_add_f64 v[13:14], v[13:14], v[34:35]
.LBB96_268:
	s_or_b64 exec, exec, s[14:15]
	v_cmp_eq_u32_e64 s[14:15], 2, v29
	s_and_b64 s[18:19], s[14:15], s[88:89]
	s_barrier
	s_and_saveexec_b64 s[14:15], s[18:19]
	s_cbranch_execz .LBB96_270
; %bb.269:
	v_mov_b32_e32 v32, 0
	ds_read_b128 v[32:35], v32 offset:9504
	s_waitcnt lgkmcnt(0)
	v_mul_f64 v[36:37], v[13:14], v[34:35]
	v_mul_f64 v[34:35], v[11:12], v[34:35]
	v_fma_f64 v[11:12], v[11:12], v[32:33], -v[36:37]
	v_fma_f64 v[13:14], v[13:14], v[32:33], v[34:35]
	ds_write_b128 v31, v[11:14]
.LBB96_270:
	s_or_b64 exec, exec, s[14:15]
	v_cmp_lt_u32_e64 s[14:15], 2, v29
	;; [unrolled: 34-line block ×13, first 2 shown]
	s_and_b64 s[18:19], s[14:15], s[88:89]
	s_waitcnt lgkmcnt(0)
	s_barrier
	s_and_saveexec_b64 s[14:15], s[18:19]
	s_cbranch_execz .LBB96_316
; %bb.315:
	ds_read_b128 v[32:35], v31
	ds_read_b128 v[36:39], v30 offset:15104
	s_waitcnt lgkmcnt(0)
	v_mul_f64 v[40:41], v[34:35], v[38:39]
	v_mul_f64 v[38:39], v[32:33], v[38:39]
	v_fma_f64 v[32:33], v[32:33], v[36:37], -v[40:41]
	v_fma_f64 v[34:35], v[34:35], v[36:37], v[38:39]
	v_add_f64 v[11:12], v[11:12], v[32:33]
	v_add_f64 v[13:14], v[13:14], v[34:35]
.LBB96_316:
	s_or_b64 exec, exec, s[14:15]
	v_cmp_eq_u32_e64 s[14:15], 14, v29
	s_and_b64 s[18:19], s[14:15], s[88:89]
	s_barrier
	s_and_saveexec_b64 s[14:15], s[18:19]
	s_cbranch_execz .LBB96_318
; %bb.317:
	v_mov_b32_e32 v30, 0
	ds_read_b128 v[32:35], v30 offset:15840
	s_waitcnt lgkmcnt(0)
	v_mul_f64 v[36:37], v[13:14], v[34:35]
	v_mul_f64 v[34:35], v[11:12], v[34:35]
	v_fma_f64 v[11:12], v[11:12], v[32:33], -v[36:37]
	v_fma_f64 v[13:14], v[13:14], v[32:33], v[34:35]
	ds_write_b128 v31, v[11:14]
.LBB96_318:
	s_or_b64 exec, exec, s[14:15]
	v_cmp_eq_u32_e64 s[14:15], 15, v29
	s_and_b64 s[14:15], s[14:15], s[88:89]
	s_waitcnt lgkmcnt(0)
	s_barrier
	s_and_saveexec_b64 s[18:19], s[14:15]
	s_cbranch_execz .LBB96_320
; %bb.319:
	v_mov_b32_e32 v29, 0
	ds_read_b128 v[32:35], v31
	ds_read_b128 v[36:39], v29 offset:15856
	s_waitcnt lgkmcnt(0)
	v_mul_f64 v[29:30], v[34:35], v[38:39]
	v_mul_f64 v[38:39], v[32:33], v[38:39]
	v_fma_f64 v[29:30], v[32:33], v[36:37], -v[29:30]
	v_fma_f64 v[32:33], v[34:35], v[36:37], v[38:39]
	v_add_f64 v[11:12], v[11:12], v[29:30]
	v_add_f64 v[13:14], v[13:14], v[32:33]
.LBB96_320:
	s_or_b64 exec, exec, s[18:19]
	s_barrier
	s_and_saveexec_b64 s[18:19], s[14:15]
	s_cbranch_execz .LBB96_322
; %bb.321:
	v_mov_b32_e32 v29, 0
	ds_read_b128 v[32:35], v29 offset:16368
	s_waitcnt lgkmcnt(0)
	v_mul_f64 v[29:30], v[13:14], v[34:35]
	v_mul_f64 v[34:35], v[11:12], v[34:35]
	v_fma_f64 v[11:12], v[11:12], v[32:33], -v[29:30]
	v_fma_f64 v[13:14], v[13:14], v[32:33], v[34:35]
	ds_write_b128 v31, v[11:14]
.LBB96_322:
	s_or_b64 exec, exec, s[18:19]
	s_waitcnt lgkmcnt(0)
	s_barrier
	s_barrier
	s_and_saveexec_b64 s[14:15], s[12:13]
; %bb.323:
	v_xor_b32_e32 v14, 0x80000000, v14
	v_xor_b32_e32 v12, 0x80000000, v12
	ds_write_b128 v28, v[11:14] offset:256
; %bb.324:
	s_or_b64 exec, exec, s[14:15]
	v_cmp_gt_u32_e64 s[12:13], 16, v0
	s_and_b64 s[12:13], s[10:11], s[12:13]
	s_waitcnt lgkmcnt(0)
	s_barrier
	s_barrier
	s_and_saveexec_b64 s[10:11], s[12:13]
	s_cbranch_execz .LBB96_326
; %bb.325:
	v_lshlrev_b32_e32 v28, 9, v0
	ds_read_b128 v[11:14], v28 offset:256
	s_movk_i32 s12, 0xfe10
	v_mad_i32_i24 v29, v0, s12, v28
	s_waitcnt lgkmcnt(0)
	ds_write_b128 v29, v[11:14] offset:8192
	ds_read_b128 v[11:14], v28 offset:272
	s_waitcnt lgkmcnt(0)
	ds_write_b128 v29, v[11:14] offset:8704
	ds_read_b128 v[11:14], v28 offset:288
	;; [unrolled: 3-line block ×15, first 2 shown]
	s_waitcnt lgkmcnt(0)
	ds_write_b128 v29, v[11:14] offset:15872
.LBB96_326:
	s_or_b64 exec, exec, s[10:11]
	s_waitcnt lgkmcnt(0)
	s_barrier
	s_and_saveexec_b64 s[10:11], vcc
	s_cbranch_execz .LBB96_328
; %bb.327:
	v_mov_b32_e32 v38, 0
	ds_read_b128 v[11:14], v38 offset:8976
	ds_read_b128 v[28:31], v38 offset:8448
	;; [unrolled: 1-line block ×3, first 2 shown]
	s_waitcnt lgkmcnt(1)
	v_mul_f64 v[36:37], v[11:12], v[30:31]
	v_mul_f64 v[30:31], v[13:14], v[30:31]
	v_fma_f64 v[13:14], v[13:14], v[28:29], v[36:37]
	v_fma_f64 v[11:12], v[11:12], v[28:29], -v[30:31]
	s_waitcnt lgkmcnt(0)
	v_mul_f64 v[28:29], v[13:14], v[34:35]
	v_mul_f64 v[30:31], v[11:12], v[34:35]
	v_fma_f64 v[11:12], v[32:33], v[11:12], -v[28:29]
	v_fma_f64 v[13:14], v[32:33], v[13:14], v[30:31]
	ds_write_b128 v38, v[11:14] offset:8464
	ds_write_b128 v38, v[11:14] offset:8960
.LBB96_328:
	s_or_b64 exec, exec, s[10:11]
	v_mov_b32_e32 v13, 0
	v_mov_b32_e32 v11, 0
	;; [unrolled: 1-line block ×4, first 2 shown]
	s_waitcnt lgkmcnt(0)
	s_barrier
	s_and_saveexec_b64 s[12:13], s[2:3]
	s_cbranch_execz .LBB96_332
; %bb.329:
	v_mul_u32_u24_e32 v11, 0x210, v17
	ds_read_b128 v[11:14], v11 offset:8448
	ds_read_b128 v[28:31], v15 offset:8480
	v_cmp_gt_u32_e64 s[10:11], 2, v1
	s_waitcnt lgkmcnt(0)
	v_mul_f64 v[32:33], v[13:14], v[30:31]
	v_mul_f64 v[30:31], v[11:12], v[30:31]
	v_fma_f64 v[11:12], v[11:12], v[28:29], -v[32:33]
	v_fma_f64 v[13:14], v[13:14], v[28:29], v[30:31]
	v_add_f64 v[11:12], v[11:12], 0
	v_add_f64 v[13:14], v[13:14], 0
	s_and_saveexec_b64 s[14:15], s[10:11]
	s_cbranch_execz .LBB96_331
; %bb.330:
	v_lshlrev_b32_e32 v32, 4, v0
	v_mov_b32_e32 v28, 0
	ds_read_b128 v[28:31], v28 offset:8464
	ds_read_b128 v[32:35], v32 offset:8992
	s_waitcnt lgkmcnt(0)
	v_mul_f64 v[36:37], v[30:31], v[34:35]
	v_mul_f64 v[34:35], v[28:29], v[34:35]
	v_fma_f64 v[28:29], v[28:29], v[32:33], -v[36:37]
	v_fma_f64 v[30:31], v[30:31], v[32:33], v[34:35]
	v_add_f64 v[11:12], v[11:12], v[28:29]
	v_add_f64 v[13:14], v[13:14], v[30:31]
.LBB96_331:
	s_or_b64 exec, exec, s[14:15]
	v_xor_b32_e32 v12, 0x80000000, v12
	v_xor_b32_e32 v14, 0x80000000, v14
.LBB96_332:
	s_or_b64 exec, exec, s[12:13]
	s_and_saveexec_b64 s[10:11], s[40:41]
	s_cbranch_execz .LBB96_334
; %bb.333:
	v_mov_b32_e32 v28, 0
	ds_read_b128 v[28:31], v28 offset:9504
	s_waitcnt lgkmcnt(0)
	v_mul_f64 v[32:33], v[13:14], v[30:31]
	v_mul_f64 v[30:31], v[11:12], v[30:31]
	v_fma_f64 v[11:12], v[11:12], v[28:29], -v[32:33]
	v_fma_f64 v[13:14], v[13:14], v[28:29], v[30:31]
	ds_write_b128 v16, v[11:14]
.LBB96_334:
	s_or_b64 exec, exec, s[10:11]
	s_waitcnt lgkmcnt(0)
	s_barrier
	s_and_saveexec_b64 s[10:11], s[38:39]
	s_cbranch_execz .LBB96_336
; %bb.335:
	v_mov_b32_e32 v32, 0
	ds_read_b128 v[28:31], v16
	ds_read_b128 v[32:35], v32 offset:9520
	s_waitcnt lgkmcnt(0)
	v_mul_f64 v[36:37], v[30:31], v[34:35]
	v_mul_f64 v[34:35], v[28:29], v[34:35]
	v_fma_f64 v[28:29], v[28:29], v[32:33], -v[36:37]
	v_fma_f64 v[30:31], v[30:31], v[32:33], v[34:35]
	v_add_f64 v[11:12], v[11:12], v[28:29]
	v_add_f64 v[13:14], v[13:14], v[30:31]
.LBB96_336:
	s_or_b64 exec, exec, s[10:11]
	s_barrier
	s_and_saveexec_b64 s[10:11], s[38:39]
	s_cbranch_execz .LBB96_338
; %bb.337:
	v_mov_b32_e32 v28, 0
	ds_read_b128 v[28:31], v28 offset:10032
	s_waitcnt lgkmcnt(0)
	v_mul_f64 v[32:33], v[13:14], v[30:31]
	v_mul_f64 v[30:31], v[11:12], v[30:31]
	v_fma_f64 v[11:12], v[11:12], v[28:29], -v[32:33]
	v_fma_f64 v[13:14], v[13:14], v[28:29], v[30:31]
	ds_write_b128 v16, v[11:14]
.LBB96_338:
	s_or_b64 exec, exec, s[10:11]
	s_waitcnt lgkmcnt(0)
	s_barrier
	s_barrier
	s_and_saveexec_b64 s[10:11], s[2:3]
; %bb.339:
	v_xor_b32_e32 v12, 0x80000000, v12
	v_xor_b32_e32 v14, 0x80000000, v14
	ds_write_b128 v15, v[11:14] offset:8480
; %bb.340:
	s_or_b64 exec, exec, s[10:11]
	s_waitcnt lgkmcnt(0)
	s_barrier
	s_barrier
	s_and_saveexec_b64 s[10:11], s[42:43]
	s_cbranch_execz .LBB96_342
; %bb.341:
	v_lshlrev_b32_e32 v28, 9, v0
	ds_read_b128 v[11:14], v28 offset:8480
	s_movk_i32 s12, 0xfe10
	v_mad_i32_i24 v29, v0, s12, v28
	s_waitcnt lgkmcnt(0)
	ds_write_b128 v29, v[11:14] offset:9472
	ds_read_b128 v[11:14], v28 offset:8496
	s_waitcnt lgkmcnt(0)
	ds_write_b128 v29, v[11:14] offset:9984
.LBB96_342:
	s_or_b64 exec, exec, s[10:11]
	s_waitcnt lgkmcnt(0)
	s_barrier
	s_and_saveexec_b64 s[10:11], vcc
	s_cbranch_execz .LBB96_344
; %bb.343:
	v_mov_b32_e32 v38, 0
	ds_read_b128 v[11:14], v38 offset:10032
	ds_read_b128 v[28:31], v38 offset:9504
	;; [unrolled: 1-line block ×3, first 2 shown]
	s_waitcnt lgkmcnt(1)
	v_mul_f64 v[36:37], v[11:12], v[30:31]
	v_mul_f64 v[30:31], v[13:14], v[30:31]
	v_fma_f64 v[13:14], v[13:14], v[28:29], v[36:37]
	v_fma_f64 v[11:12], v[11:12], v[28:29], -v[30:31]
	s_waitcnt lgkmcnt(0)
	v_mul_f64 v[28:29], v[13:14], v[34:35]
	v_mul_f64 v[30:31], v[11:12], v[34:35]
	v_fma_f64 v[11:12], v[32:33], v[11:12], -v[28:29]
	v_fma_f64 v[13:14], v[32:33], v[13:14], v[30:31]
	ds_write_b128 v38, v[11:14] offset:9520
	ds_write_b128 v38, v[11:14] offset:10016
.LBB96_344:
	s_or_b64 exec, exec, s[10:11]
	v_mov_b32_e32 v13, 0
	v_mov_b32_e32 v11, 0
	;; [unrolled: 1-line block ×4, first 2 shown]
	s_waitcnt lgkmcnt(0)
	s_barrier
	s_and_saveexec_b64 s[12:13], s[16:17]
	s_cbranch_execz .LBB96_350
; %bb.345:
	v_mul_u32_u24_e32 v28, 0x210, v22
	ds_read_b128 v[11:14], v28 offset:8448
	ds_read_b128 v[29:32], v18 offset:8512
	v_cmp_gt_u32_e64 s[10:11], 12, v1
	s_waitcnt lgkmcnt(0)
	v_mul_f64 v[33:34], v[13:14], v[31:32]
	v_mul_f64 v[31:32], v[11:12], v[31:32]
	v_fma_f64 v[11:12], v[11:12], v[29:30], -v[33:34]
	v_fma_f64 v[13:14], v[13:14], v[29:30], v[31:32]
	v_add_f64 v[11:12], v[11:12], 0
	v_add_f64 v[13:14], v[13:14], 0
	s_and_saveexec_b64 s[14:15], s[10:11]
	s_cbranch_execnz .LBB96_564
; %bb.346:
	s_or_b64 exec, exec, s[14:15]
	v_cmp_gt_u32_e64 s[10:11], 8, v1
	s_and_saveexec_b64 s[14:15], s[10:11]
	s_cbranch_execnz .LBB96_565
.LBB96_347:
	s_or_b64 exec, exec, s[14:15]
	v_cmp_gt_u32_e64 s[10:11], 4, v1
	s_and_saveexec_b64 s[14:15], s[10:11]
	s_cbranch_execz .LBB96_349
.LBB96_348:
	v_lshlrev_b32_e32 v32, 4, v0
	v_mov_b32_e32 v28, 0
	ds_read_b128 v[28:31], v28 offset:8496
	ds_read_b128 v[32:35], v32 offset:10048
	s_waitcnt lgkmcnt(0)
	v_mul_f64 v[36:37], v[30:31], v[34:35]
	v_mul_f64 v[34:35], v[28:29], v[34:35]
	v_fma_f64 v[28:29], v[28:29], v[32:33], -v[36:37]
	v_fma_f64 v[30:31], v[30:31], v[32:33], v[34:35]
	v_add_f64 v[11:12], v[11:12], v[28:29]
	v_add_f64 v[13:14], v[13:14], v[30:31]
.LBB96_349:
	s_or_b64 exec, exec, s[14:15]
	v_xor_b32_e32 v12, 0x80000000, v12
	v_xor_b32_e32 v14, 0x80000000, v14
.LBB96_350:
	s_or_b64 exec, exec, s[12:13]
	s_and_saveexec_b64 s[10:11], s[46:47]
	s_cbranch_execz .LBB96_352
; %bb.351:
	v_mov_b32_e32 v28, 0
	ds_read_b128 v[28:31], v28 offset:10560
	s_waitcnt lgkmcnt(0)
	v_mul_f64 v[32:33], v[13:14], v[30:31]
	v_mul_f64 v[30:31], v[11:12], v[30:31]
	v_fma_f64 v[11:12], v[11:12], v[28:29], -v[32:33]
	v_fma_f64 v[13:14], v[13:14], v[28:29], v[30:31]
	ds_write_b128 v20, v[11:14]
.LBB96_352:
	s_or_b64 exec, exec, s[10:11]
	s_waitcnt lgkmcnt(0)
	s_barrier
	s_and_saveexec_b64 s[10:11], s[48:49]
	s_cbranch_execz .LBB96_354
; %bb.353:
	ds_read_b128 v[28:31], v20
	ds_read_b128 v[32:35], v19 offset:10560
	s_waitcnt lgkmcnt(0)
	v_mul_f64 v[36:37], v[30:31], v[34:35]
	v_mul_f64 v[34:35], v[28:29], v[34:35]
	v_fma_f64 v[28:29], v[28:29], v[32:33], -v[36:37]
	v_fma_f64 v[30:31], v[30:31], v[32:33], v[34:35]
	v_add_f64 v[11:12], v[11:12], v[28:29]
	v_add_f64 v[13:14], v[13:14], v[30:31]
.LBB96_354:
	s_or_b64 exec, exec, s[10:11]
	s_barrier
	s_and_saveexec_b64 s[10:11], s[50:51]
	s_cbranch_execz .LBB96_356
; %bb.355:
	v_mov_b32_e32 v28, 0
	ds_read_b128 v[28:31], v28 offset:11088
	s_waitcnt lgkmcnt(0)
	v_mul_f64 v[32:33], v[13:14], v[30:31]
	v_mul_f64 v[30:31], v[11:12], v[30:31]
	v_fma_f64 v[11:12], v[11:12], v[28:29], -v[32:33]
	v_fma_f64 v[13:14], v[13:14], v[28:29], v[30:31]
	ds_write_b128 v20, v[11:14]
.LBB96_356:
	s_or_b64 exec, exec, s[10:11]
	s_waitcnt lgkmcnt(0)
	s_barrier
	s_and_saveexec_b64 s[10:11], s[52:53]
	s_cbranch_execz .LBB96_358
; %bb.357:
	ds_read_b128 v[28:31], v20
	ds_read_b128 v[32:35], v19 offset:11072
	s_waitcnt lgkmcnt(0)
	v_mul_f64 v[36:37], v[30:31], v[34:35]
	v_mul_f64 v[34:35], v[28:29], v[34:35]
	v_fma_f64 v[28:29], v[28:29], v[32:33], -v[36:37]
	v_fma_f64 v[30:31], v[30:31], v[32:33], v[34:35]
	v_add_f64 v[11:12], v[11:12], v[28:29]
	v_add_f64 v[13:14], v[13:14], v[30:31]
.LBB96_358:
	s_or_b64 exec, exec, s[10:11]
	s_barrier
	s_and_saveexec_b64 s[10:11], s[54:55]
	s_cbranch_execz .LBB96_360
; %bb.359:
	v_mov_b32_e32 v28, 0
	ds_read_b128 v[28:31], v28 offset:11616
	s_waitcnt lgkmcnt(0)
	v_mul_f64 v[32:33], v[13:14], v[30:31]
	v_mul_f64 v[30:31], v[11:12], v[30:31]
	v_fma_f64 v[11:12], v[11:12], v[28:29], -v[32:33]
	v_fma_f64 v[13:14], v[13:14], v[28:29], v[30:31]
	ds_write_b128 v20, v[11:14]
.LBB96_360:
	s_or_b64 exec, exec, s[10:11]
	s_waitcnt lgkmcnt(0)
	s_barrier
	s_and_saveexec_b64 s[10:11], s[44:45]
	s_cbranch_execz .LBB96_362
; %bb.361:
	v_mov_b32_e32 v32, 0
	ds_read_b128 v[28:31], v20
	ds_read_b128 v[32:35], v32 offset:11632
	s_waitcnt lgkmcnt(0)
	v_mul_f64 v[36:37], v[30:31], v[34:35]
	v_mul_f64 v[34:35], v[28:29], v[34:35]
	v_fma_f64 v[28:29], v[28:29], v[32:33], -v[36:37]
	v_fma_f64 v[30:31], v[30:31], v[32:33], v[34:35]
	v_add_f64 v[11:12], v[11:12], v[28:29]
	v_add_f64 v[13:14], v[13:14], v[30:31]
.LBB96_362:
	s_or_b64 exec, exec, s[10:11]
	s_barrier
	s_and_saveexec_b64 s[10:11], s[44:45]
	s_cbranch_execz .LBB96_364
; %bb.363:
	v_mov_b32_e32 v28, 0
	ds_read_b128 v[28:31], v28 offset:12144
	s_waitcnt lgkmcnt(0)
	v_mul_f64 v[32:33], v[13:14], v[30:31]
	v_mul_f64 v[30:31], v[11:12], v[30:31]
	v_fma_f64 v[11:12], v[11:12], v[28:29], -v[32:33]
	v_fma_f64 v[13:14], v[13:14], v[28:29], v[30:31]
	ds_write_b128 v20, v[11:14]
.LBB96_364:
	s_or_b64 exec, exec, s[10:11]
	s_waitcnt lgkmcnt(0)
	s_barrier
	s_barrier
	s_and_saveexec_b64 s[10:11], s[16:17]
; %bb.365:
	v_xor_b32_e32 v14, 0x80000000, v14
	v_xor_b32_e32 v12, 0x80000000, v12
	ds_write_b128 v18, v[11:14] offset:8512
; %bb.366:
	s_or_b64 exec, exec, s[10:11]
	s_waitcnt lgkmcnt(0)
	s_barrier
	s_barrier
	s_and_saveexec_b64 s[10:11], s[56:57]
	s_cbranch_execz .LBB96_368
; %bb.367:
	v_lshlrev_b32_e32 v28, 4, v0
	s_movk_i32 s12, 0x1f0
	v_mad_u32_u24 v29, v0, s12, v28
	ds_read_b128 v[11:14], v29 offset:8512
	s_waitcnt lgkmcnt(0)
	ds_write_b128 v28, v[11:14] offset:10496
	ds_read_b128 v[11:14], v29 offset:8528
	s_waitcnt lgkmcnt(0)
	ds_write_b128 v28, v[11:14] offset:11008
	;; [unrolled: 3-line block ×4, first 2 shown]
.LBB96_368:
	s_or_b64 exec, exec, s[10:11]
	s_waitcnt lgkmcnt(0)
	s_barrier
	s_and_saveexec_b64 s[10:11], vcc
	s_cbranch_execz .LBB96_370
; %bb.369:
	v_mov_b32_e32 v38, 0
	ds_read_b128 v[11:14], v38 offset:11088
	ds_read_b128 v[28:31], v38 offset:10560
	;; [unrolled: 1-line block ×3, first 2 shown]
	s_waitcnt lgkmcnt(1)
	v_mul_f64 v[36:37], v[11:12], v[30:31]
	v_mul_f64 v[30:31], v[13:14], v[30:31]
	v_fma_f64 v[13:14], v[13:14], v[28:29], v[36:37]
	v_fma_f64 v[11:12], v[11:12], v[28:29], -v[30:31]
	s_waitcnt lgkmcnt(0)
	v_mul_f64 v[28:29], v[13:14], v[34:35]
	v_mul_f64 v[30:31], v[11:12], v[34:35]
	v_fma_f64 v[11:12], v[32:33], v[11:12], -v[28:29]
	v_fma_f64 v[13:14], v[32:33], v[13:14], v[30:31]
	ds_write_b128 v38, v[11:14] offset:10576
	ds_write_b128 v38, v[11:14] offset:11072
.LBB96_370:
	s_or_b64 exec, exec, s[10:11]
	v_mov_b32_e32 v13, 0
	v_mov_b32_e32 v11, 0
	;; [unrolled: 1-line block ×4, first 2 shown]
	s_waitcnt lgkmcnt(0)
	s_barrier
	s_and_saveexec_b64 s[12:13], s[2:3]
	s_cbranch_execz .LBB96_374
; %bb.371:
	v_mul_u32_u24_e32 v11, 0x210, v17
	ds_read_b128 v[11:14], v11 offset:10560
	ds_read_b128 v[28:31], v15 offset:10592
	v_cmp_gt_u32_e64 s[10:11], 2, v1
	s_waitcnt lgkmcnt(0)
	v_mul_f64 v[32:33], v[13:14], v[30:31]
	v_mul_f64 v[30:31], v[11:12], v[30:31]
	v_fma_f64 v[11:12], v[11:12], v[28:29], -v[32:33]
	v_fma_f64 v[13:14], v[13:14], v[28:29], v[30:31]
	v_add_f64 v[11:12], v[11:12], 0
	v_add_f64 v[13:14], v[13:14], 0
	s_and_saveexec_b64 s[14:15], s[10:11]
	s_cbranch_execz .LBB96_373
; %bb.372:
	v_lshlrev_b32_e32 v32, 4, v0
	v_mov_b32_e32 v28, 0
	ds_read_b128 v[28:31], v28 offset:10576
	ds_read_b128 v[32:35], v32 offset:11104
	s_waitcnt lgkmcnt(0)
	v_mul_f64 v[36:37], v[30:31], v[34:35]
	v_mul_f64 v[34:35], v[28:29], v[34:35]
	v_fma_f64 v[28:29], v[28:29], v[32:33], -v[36:37]
	v_fma_f64 v[30:31], v[30:31], v[32:33], v[34:35]
	v_add_f64 v[11:12], v[11:12], v[28:29]
	v_add_f64 v[13:14], v[13:14], v[30:31]
.LBB96_373:
	s_or_b64 exec, exec, s[14:15]
	v_xor_b32_e32 v12, 0x80000000, v12
	v_xor_b32_e32 v14, 0x80000000, v14
.LBB96_374:
	s_or_b64 exec, exec, s[12:13]
	s_and_saveexec_b64 s[10:11], s[40:41]
	s_cbranch_execz .LBB96_376
; %bb.375:
	v_mov_b32_e32 v28, 0
	ds_read_b128 v[28:31], v28 offset:11616
	s_waitcnt lgkmcnt(0)
	v_mul_f64 v[32:33], v[13:14], v[30:31]
	v_mul_f64 v[30:31], v[11:12], v[30:31]
	v_fma_f64 v[11:12], v[11:12], v[28:29], -v[32:33]
	v_fma_f64 v[13:14], v[13:14], v[28:29], v[30:31]
	ds_write_b128 v16, v[11:14]
.LBB96_376:
	s_or_b64 exec, exec, s[10:11]
	s_waitcnt lgkmcnt(0)
	s_barrier
	s_and_saveexec_b64 s[10:11], s[38:39]
	s_cbranch_execz .LBB96_378
; %bb.377:
	v_mov_b32_e32 v32, 0
	ds_read_b128 v[28:31], v16
	ds_read_b128 v[32:35], v32 offset:11632
	s_waitcnt lgkmcnt(0)
	v_mul_f64 v[36:37], v[30:31], v[34:35]
	v_mul_f64 v[34:35], v[28:29], v[34:35]
	v_fma_f64 v[28:29], v[28:29], v[32:33], -v[36:37]
	v_fma_f64 v[30:31], v[30:31], v[32:33], v[34:35]
	v_add_f64 v[11:12], v[11:12], v[28:29]
	v_add_f64 v[13:14], v[13:14], v[30:31]
.LBB96_378:
	s_or_b64 exec, exec, s[10:11]
	s_barrier
	s_and_saveexec_b64 s[10:11], s[38:39]
	s_cbranch_execz .LBB96_380
; %bb.379:
	v_mov_b32_e32 v28, 0
	ds_read_b128 v[28:31], v28 offset:12144
	s_waitcnt lgkmcnt(0)
	v_mul_f64 v[32:33], v[13:14], v[30:31]
	v_mul_f64 v[30:31], v[11:12], v[30:31]
	v_fma_f64 v[11:12], v[11:12], v[28:29], -v[32:33]
	v_fma_f64 v[13:14], v[13:14], v[28:29], v[30:31]
	ds_write_b128 v16, v[11:14]
.LBB96_380:
	s_or_b64 exec, exec, s[10:11]
	s_waitcnt lgkmcnt(0)
	s_barrier
	s_barrier
	s_and_saveexec_b64 s[10:11], s[2:3]
; %bb.381:
	v_xor_b32_e32 v12, 0x80000000, v12
	v_xor_b32_e32 v14, 0x80000000, v14
	ds_write_b128 v15, v[11:14] offset:10592
; %bb.382:
	s_or_b64 exec, exec, s[10:11]
	s_waitcnt lgkmcnt(0)
	s_barrier
	s_barrier
	s_and_saveexec_b64 s[10:11], s[42:43]
	s_cbranch_execz .LBB96_384
; %bb.383:
	v_lshlrev_b32_e32 v28, 9, v0
	ds_read_b128 v[11:14], v28 offset:10592
	s_movk_i32 s12, 0xfe10
	v_mad_i32_i24 v29, v0, s12, v28
	s_waitcnt lgkmcnt(0)
	ds_write_b128 v29, v[11:14] offset:11584
	ds_read_b128 v[11:14], v28 offset:10608
	s_waitcnt lgkmcnt(0)
	ds_write_b128 v29, v[11:14] offset:12096
.LBB96_384:
	s_or_b64 exec, exec, s[10:11]
	s_waitcnt lgkmcnt(0)
	s_barrier
	s_and_saveexec_b64 s[10:11], vcc
	s_cbranch_execz .LBB96_386
; %bb.385:
	v_mov_b32_e32 v38, 0
	ds_read_b128 v[11:14], v38 offset:12144
	ds_read_b128 v[28:31], v38 offset:11616
	;; [unrolled: 1-line block ×3, first 2 shown]
	s_waitcnt lgkmcnt(1)
	v_mul_f64 v[36:37], v[11:12], v[30:31]
	v_mul_f64 v[30:31], v[13:14], v[30:31]
	v_fma_f64 v[13:14], v[13:14], v[28:29], v[36:37]
	v_fma_f64 v[11:12], v[11:12], v[28:29], -v[30:31]
	s_waitcnt lgkmcnt(0)
	v_mul_f64 v[28:29], v[13:14], v[34:35]
	v_mul_f64 v[30:31], v[11:12], v[34:35]
	v_fma_f64 v[11:12], v[32:33], v[11:12], -v[28:29]
	v_fma_f64 v[13:14], v[32:33], v[13:14], v[30:31]
	ds_write_b128 v38, v[11:14] offset:11632
	ds_write_b128 v38, v[11:14] offset:12128
.LBB96_386:
	s_or_b64 exec, exec, s[10:11]
	v_mov_b32_e32 v13, 0
	v_mov_b32_e32 v11, 0
	;; [unrolled: 1-line block ×4, first 2 shown]
	s_waitcnt lgkmcnt(0)
	s_barrier
	s_and_saveexec_b64 s[12:13], s[8:9]
	s_cbranch_execz .LBB96_396
; %bb.387:
	v_mul_u32_u24_e32 v28, 0x210, v27
	ds_read_b128 v[11:14], v28 offset:8448
	ds_read_b128 v[29:32], v23 offset:8576
	v_cmp_gt_u32_e64 s[10:11], 56, v1
	s_waitcnt lgkmcnt(0)
	v_mul_f64 v[33:34], v[13:14], v[31:32]
	v_mul_f64 v[31:32], v[11:12], v[31:32]
	v_fma_f64 v[11:12], v[11:12], v[29:30], -v[33:34]
	v_fma_f64 v[13:14], v[13:14], v[29:30], v[31:32]
	v_add_f64 v[11:12], v[11:12], 0
	v_add_f64 v[13:14], v[13:14], 0
	s_and_saveexec_b64 s[14:15], s[10:11]
	s_cbranch_execnz .LBB96_566
; %bb.388:
	s_or_b64 exec, exec, s[14:15]
	v_cmp_gt_u32_e64 s[10:11], 48, v1
	s_and_saveexec_b64 s[14:15], s[10:11]
	s_cbranch_execnz .LBB96_567
.LBB96_389:
	s_or_b64 exec, exec, s[14:15]
	v_cmp_gt_u32_e64 s[10:11], 40, v1
	s_and_saveexec_b64 s[14:15], s[10:11]
	s_cbranch_execnz .LBB96_568
.LBB96_390:
	s_or_b64 exec, exec, s[14:15]
	v_cmp_gt_u32_e64 s[10:11], 32, v1
	s_and_saveexec_b64 s[14:15], s[10:11]
	s_cbranch_execnz .LBB96_569
.LBB96_391:
	s_or_b64 exec, exec, s[14:15]
	v_cmp_gt_u32_e64 s[10:11], 24, v1
	s_and_saveexec_b64 s[14:15], s[10:11]
	s_cbranch_execnz .LBB96_570
.LBB96_392:
	s_or_b64 exec, exec, s[14:15]
	v_cmp_gt_u32_e64 s[10:11], 16, v1
	s_and_saveexec_b64 s[14:15], s[10:11]
	s_cbranch_execnz .LBB96_571
.LBB96_393:
	s_or_b64 exec, exec, s[14:15]
	v_cmp_gt_u32_e64 s[10:11], 8, v1
	s_and_saveexec_b64 s[14:15], s[10:11]
	s_cbranch_execz .LBB96_395
.LBB96_394:
	v_lshlrev_b32_e32 v30, 4, v0
	v_mov_b32_e32 v26, 0
	ds_read_b128 v[26:29], v26 offset:8560
	ds_read_b128 v[30:33], v30 offset:12160
	s_waitcnt lgkmcnt(0)
	v_mul_f64 v[34:35], v[28:29], v[32:33]
	v_mul_f64 v[32:33], v[26:27], v[32:33]
	v_fma_f64 v[26:27], v[26:27], v[30:31], -v[34:35]
	v_fma_f64 v[28:29], v[28:29], v[30:31], v[32:33]
	v_add_f64 v[11:12], v[11:12], v[26:27]
	v_add_f64 v[13:14], v[13:14], v[28:29]
.LBB96_395:
	s_or_b64 exec, exec, s[14:15]
	v_xor_b32_e32 v12, 0x80000000, v12
	v_xor_b32_e32 v14, 0x80000000, v14
.LBB96_396:
	s_or_b64 exec, exec, s[12:13]
	s_and_saveexec_b64 s[10:11], s[60:61]
	s_cbranch_execz .LBB96_398
; %bb.397:
	v_mov_b32_e32 v26, 0
	ds_read_b128 v[26:29], v26 offset:12672
	s_waitcnt lgkmcnt(0)
	v_mul_f64 v[30:31], v[13:14], v[28:29]
	v_mul_f64 v[28:29], v[11:12], v[28:29]
	v_fma_f64 v[11:12], v[11:12], v[26:27], -v[30:31]
	v_fma_f64 v[13:14], v[13:14], v[26:27], v[28:29]
	ds_write_b128 v25, v[11:14]
.LBB96_398:
	s_or_b64 exec, exec, s[10:11]
	s_waitcnt lgkmcnt(0)
	s_barrier
	s_and_saveexec_b64 s[10:11], s[62:63]
	s_cbranch_execz .LBB96_400
; %bb.399:
	ds_read_b128 v[26:29], v25
	ds_read_b128 v[30:33], v24 offset:12672
	s_waitcnt lgkmcnt(0)
	v_mul_f64 v[34:35], v[28:29], v[32:33]
	v_mul_f64 v[32:33], v[26:27], v[32:33]
	v_fma_f64 v[26:27], v[26:27], v[30:31], -v[34:35]
	v_fma_f64 v[28:29], v[28:29], v[30:31], v[32:33]
	v_add_f64 v[11:12], v[11:12], v[26:27]
	v_add_f64 v[13:14], v[13:14], v[28:29]
.LBB96_400:
	s_or_b64 exec, exec, s[10:11]
	s_barrier
	s_and_saveexec_b64 s[10:11], s[64:65]
	s_cbranch_execz .LBB96_402
; %bb.401:
	v_mov_b32_e32 v26, 0
	ds_read_b128 v[26:29], v26 offset:13200
	s_waitcnt lgkmcnt(0)
	v_mul_f64 v[30:31], v[13:14], v[28:29]
	v_mul_f64 v[28:29], v[11:12], v[28:29]
	v_fma_f64 v[11:12], v[11:12], v[26:27], -v[30:31]
	v_fma_f64 v[13:14], v[13:14], v[26:27], v[28:29]
	ds_write_b128 v25, v[11:14]
.LBB96_402:
	s_or_b64 exec, exec, s[10:11]
	s_waitcnt lgkmcnt(0)
	s_barrier
	s_and_saveexec_b64 s[10:11], s[66:67]
	s_cbranch_execz .LBB96_404
; %bb.403:
	ds_read_b128 v[26:29], v25
	ds_read_b128 v[30:33], v24 offset:13184
	s_waitcnt lgkmcnt(0)
	v_mul_f64 v[34:35], v[28:29], v[32:33]
	v_mul_f64 v[32:33], v[26:27], v[32:33]
	v_fma_f64 v[26:27], v[26:27], v[30:31], -v[34:35]
	v_fma_f64 v[28:29], v[28:29], v[30:31], v[32:33]
	v_add_f64 v[11:12], v[11:12], v[26:27]
	v_add_f64 v[13:14], v[13:14], v[28:29]
.LBB96_404:
	s_or_b64 exec, exec, s[10:11]
	s_barrier
	s_and_saveexec_b64 s[10:11], s[68:69]
	s_cbranch_execz .LBB96_406
; %bb.405:
	v_mov_b32_e32 v26, 0
	ds_read_b128 v[26:29], v26 offset:13728
	s_waitcnt lgkmcnt(0)
	v_mul_f64 v[30:31], v[13:14], v[28:29]
	v_mul_f64 v[28:29], v[11:12], v[28:29]
	v_fma_f64 v[11:12], v[11:12], v[26:27], -v[30:31]
	v_fma_f64 v[13:14], v[13:14], v[26:27], v[28:29]
	ds_write_b128 v25, v[11:14]
.LBB96_406:
	s_or_b64 exec, exec, s[10:11]
	s_waitcnt lgkmcnt(0)
	s_barrier
	s_and_saveexec_b64 s[10:11], s[70:71]
	s_cbranch_execz .LBB96_408
; %bb.407:
	ds_read_b128 v[26:29], v25
	ds_read_b128 v[30:33], v24 offset:13696
	s_waitcnt lgkmcnt(0)
	v_mul_f64 v[34:35], v[28:29], v[32:33]
	v_mul_f64 v[32:33], v[26:27], v[32:33]
	v_fma_f64 v[26:27], v[26:27], v[30:31], -v[34:35]
	v_fma_f64 v[28:29], v[28:29], v[30:31], v[32:33]
	v_add_f64 v[11:12], v[11:12], v[26:27]
	v_add_f64 v[13:14], v[13:14], v[28:29]
.LBB96_408:
	s_or_b64 exec, exec, s[10:11]
	s_barrier
	s_and_saveexec_b64 s[10:11], s[72:73]
	s_cbranch_execz .LBB96_410
; %bb.409:
	v_mov_b32_e32 v26, 0
	ds_read_b128 v[26:29], v26 offset:14256
	s_waitcnt lgkmcnt(0)
	v_mul_f64 v[30:31], v[13:14], v[28:29]
	v_mul_f64 v[28:29], v[11:12], v[28:29]
	v_fma_f64 v[11:12], v[11:12], v[26:27], -v[30:31]
	v_fma_f64 v[13:14], v[13:14], v[26:27], v[28:29]
	ds_write_b128 v25, v[11:14]
.LBB96_410:
	s_or_b64 exec, exec, s[10:11]
	s_waitcnt lgkmcnt(0)
	s_barrier
	s_and_saveexec_b64 s[10:11], s[74:75]
	s_cbranch_execz .LBB96_412
; %bb.411:
	ds_read_b128 v[26:29], v25
	ds_read_b128 v[30:33], v24 offset:14208
	s_waitcnt lgkmcnt(0)
	v_mul_f64 v[34:35], v[28:29], v[32:33]
	v_mul_f64 v[32:33], v[26:27], v[32:33]
	v_fma_f64 v[26:27], v[26:27], v[30:31], -v[34:35]
	v_fma_f64 v[28:29], v[28:29], v[30:31], v[32:33]
	v_add_f64 v[11:12], v[11:12], v[26:27]
	v_add_f64 v[13:14], v[13:14], v[28:29]
.LBB96_412:
	s_or_b64 exec, exec, s[10:11]
	s_barrier
	s_and_saveexec_b64 s[10:11], s[76:77]
	s_cbranch_execz .LBB96_414
; %bb.413:
	v_mov_b32_e32 v26, 0
	ds_read_b128 v[26:29], v26 offset:14784
	s_waitcnt lgkmcnt(0)
	v_mul_f64 v[30:31], v[13:14], v[28:29]
	v_mul_f64 v[28:29], v[11:12], v[28:29]
	v_fma_f64 v[11:12], v[11:12], v[26:27], -v[30:31]
	v_fma_f64 v[13:14], v[13:14], v[26:27], v[28:29]
	ds_write_b128 v25, v[11:14]
.LBB96_414:
	s_or_b64 exec, exec, s[10:11]
	s_waitcnt lgkmcnt(0)
	s_barrier
	s_and_saveexec_b64 s[10:11], s[78:79]
	s_cbranch_execz .LBB96_416
; %bb.415:
	ds_read_b128 v[26:29], v25
	ds_read_b128 v[30:33], v24 offset:14720
	s_waitcnt lgkmcnt(0)
	v_mul_f64 v[34:35], v[28:29], v[32:33]
	v_mul_f64 v[32:33], v[26:27], v[32:33]
	v_fma_f64 v[26:27], v[26:27], v[30:31], -v[34:35]
	v_fma_f64 v[28:29], v[28:29], v[30:31], v[32:33]
	v_add_f64 v[11:12], v[11:12], v[26:27]
	v_add_f64 v[13:14], v[13:14], v[28:29]
.LBB96_416:
	s_or_b64 exec, exec, s[10:11]
	s_barrier
	s_and_saveexec_b64 s[10:11], s[80:81]
	s_cbranch_execz .LBB96_418
; %bb.417:
	v_mov_b32_e32 v26, 0
	ds_read_b128 v[26:29], v26 offset:15312
	s_waitcnt lgkmcnt(0)
	v_mul_f64 v[30:31], v[13:14], v[28:29]
	v_mul_f64 v[28:29], v[11:12], v[28:29]
	v_fma_f64 v[11:12], v[11:12], v[26:27], -v[30:31]
	v_fma_f64 v[13:14], v[13:14], v[26:27], v[28:29]
	ds_write_b128 v25, v[11:14]
.LBB96_418:
	s_or_b64 exec, exec, s[10:11]
	s_waitcnt lgkmcnt(0)
	s_barrier
	s_and_saveexec_b64 s[10:11], s[82:83]
	s_cbranch_execz .LBB96_420
; %bb.419:
	ds_read_b128 v[26:29], v25
	ds_read_b128 v[30:33], v24 offset:15232
	s_waitcnt lgkmcnt(0)
	v_mul_f64 v[34:35], v[28:29], v[32:33]
	v_mul_f64 v[32:33], v[26:27], v[32:33]
	v_fma_f64 v[26:27], v[26:27], v[30:31], -v[34:35]
	v_fma_f64 v[28:29], v[28:29], v[30:31], v[32:33]
	v_add_f64 v[11:12], v[11:12], v[26:27]
	v_add_f64 v[13:14], v[13:14], v[28:29]
.LBB96_420:
	s_or_b64 exec, exec, s[10:11]
	s_barrier
	s_and_saveexec_b64 s[10:11], s[84:85]
	s_cbranch_execz .LBB96_422
; %bb.421:
	v_mov_b32_e32 v24, 0
	ds_read_b128 v[26:29], v24 offset:15840
	s_waitcnt lgkmcnt(0)
	v_mul_f64 v[30:31], v[13:14], v[28:29]
	v_mul_f64 v[28:29], v[11:12], v[28:29]
	v_fma_f64 v[11:12], v[11:12], v[26:27], -v[30:31]
	v_fma_f64 v[13:14], v[13:14], v[26:27], v[28:29]
	ds_write_b128 v25, v[11:14]
.LBB96_422:
	s_or_b64 exec, exec, s[10:11]
	s_waitcnt lgkmcnt(0)
	s_barrier
	s_and_saveexec_b64 s[10:11], s[58:59]
	s_cbranch_execz .LBB96_424
; %bb.423:
	v_mov_b32_e32 v24, 0
	ds_read_b128 v[26:29], v25
	ds_read_b128 v[30:33], v24 offset:15856
	s_waitcnt lgkmcnt(0)
	v_mul_f64 v[34:35], v[28:29], v[32:33]
	v_mul_f64 v[32:33], v[26:27], v[32:33]
	v_fma_f64 v[26:27], v[26:27], v[30:31], -v[34:35]
	v_fma_f64 v[28:29], v[28:29], v[30:31], v[32:33]
	v_add_f64 v[11:12], v[11:12], v[26:27]
	v_add_f64 v[13:14], v[13:14], v[28:29]
.LBB96_424:
	s_or_b64 exec, exec, s[10:11]
	s_barrier
	s_and_saveexec_b64 s[10:11], s[58:59]
	s_cbranch_execz .LBB96_426
; %bb.425:
	v_mov_b32_e32 v24, 0
	ds_read_b128 v[26:29], v24 offset:16368
	s_waitcnt lgkmcnt(0)
	v_mul_f64 v[30:31], v[13:14], v[28:29]
	v_mul_f64 v[28:29], v[11:12], v[28:29]
	v_fma_f64 v[11:12], v[11:12], v[26:27], -v[30:31]
	v_fma_f64 v[13:14], v[13:14], v[26:27], v[28:29]
	ds_write_b128 v25, v[11:14]
.LBB96_426:
	s_or_b64 exec, exec, s[10:11]
	s_waitcnt lgkmcnt(0)
	s_barrier
	s_barrier
	s_and_saveexec_b64 s[10:11], s[8:9]
; %bb.427:
	v_xor_b32_e32 v12, 0x80000000, v12
	v_xor_b32_e32 v14, 0x80000000, v14
	ds_write_b128 v23, v[11:14] offset:8576
; %bb.428:
	s_or_b64 exec, exec, s[10:11]
	s_waitcnt lgkmcnt(0)
	s_barrier
	s_barrier
	s_and_saveexec_b64 s[8:9], s[86:87]
	s_cbranch_execz .LBB96_430
; %bb.429:
	v_lshlrev_b32_e32 v23, 9, v0
	ds_read_b128 v[11:14], v23 offset:8576
	s_movk_i32 s10, 0xfe10
	v_mad_i32_i24 v24, v0, s10, v23
	s_waitcnt lgkmcnt(0)
	ds_write_b128 v24, v[11:14] offset:12544
	ds_read_b128 v[11:14], v23 offset:8592
	s_waitcnt lgkmcnt(0)
	ds_write_b128 v24, v[11:14] offset:13056
	ds_read_b128 v[11:14], v23 offset:8608
	;; [unrolled: 3-line block ×7, first 2 shown]
	s_waitcnt lgkmcnt(0)
	ds_write_b128 v24, v[11:14] offset:16128
.LBB96_430:
	s_or_b64 exec, exec, s[8:9]
	s_waitcnt lgkmcnt(0)
	s_barrier
	s_and_saveexec_b64 s[8:9], vcc
	s_cbranch_execz .LBB96_432
; %bb.431:
	v_mov_b32_e32 v33, 0
	ds_read_b128 v[11:14], v33 offset:13200
	ds_read_b128 v[23:26], v33 offset:12672
	;; [unrolled: 1-line block ×3, first 2 shown]
	s_waitcnt lgkmcnt(1)
	v_mul_f64 v[31:32], v[11:12], v[25:26]
	v_mul_f64 v[25:26], v[13:14], v[25:26]
	v_fma_f64 v[13:14], v[13:14], v[23:24], v[31:32]
	v_fma_f64 v[11:12], v[11:12], v[23:24], -v[25:26]
	s_waitcnt lgkmcnt(0)
	v_mul_f64 v[23:24], v[13:14], v[29:30]
	v_mul_f64 v[25:26], v[11:12], v[29:30]
	v_fma_f64 v[11:12], v[27:28], v[11:12], -v[23:24]
	v_fma_f64 v[13:14], v[27:28], v[13:14], v[25:26]
	ds_write_b128 v33, v[11:14] offset:12688
	ds_write_b128 v33, v[11:14] offset:13184
.LBB96_432:
	s_or_b64 exec, exec, s[8:9]
	v_mov_b32_e32 v13, 0
	v_mov_b32_e32 v11, 0
	v_mov_b32_e32 v14, 0
	v_mov_b32_e32 v12, 0
	s_waitcnt lgkmcnt(0)
	s_barrier
	s_and_saveexec_b64 s[10:11], s[2:3]
	s_cbranch_execz .LBB96_436
; %bb.433:
	v_mul_u32_u24_e32 v11, 0x210, v17
	ds_read_b128 v[11:14], v11 offset:12672
	ds_read_b128 v[23:26], v15 offset:12704
	v_cmp_gt_u32_e64 s[8:9], 2, v1
	s_waitcnt lgkmcnt(0)
	v_mul_f64 v[27:28], v[13:14], v[25:26]
	v_mul_f64 v[25:26], v[11:12], v[25:26]
	v_fma_f64 v[11:12], v[11:12], v[23:24], -v[27:28]
	v_fma_f64 v[13:14], v[13:14], v[23:24], v[25:26]
	v_add_f64 v[11:12], v[11:12], 0
	v_add_f64 v[13:14], v[13:14], 0
	s_and_saveexec_b64 s[12:13], s[8:9]
	s_cbranch_execz .LBB96_435
; %bb.434:
	v_lshlrev_b32_e32 v27, 4, v0
	v_mov_b32_e32 v23, 0
	ds_read_b128 v[23:26], v23 offset:12688
	ds_read_b128 v[27:30], v27 offset:13216
	s_waitcnt lgkmcnt(0)
	v_mul_f64 v[31:32], v[25:26], v[29:30]
	v_mul_f64 v[29:30], v[23:24], v[29:30]
	v_fma_f64 v[23:24], v[23:24], v[27:28], -v[31:32]
	v_fma_f64 v[25:26], v[25:26], v[27:28], v[29:30]
	v_add_f64 v[11:12], v[11:12], v[23:24]
	v_add_f64 v[13:14], v[13:14], v[25:26]
.LBB96_435:
	s_or_b64 exec, exec, s[12:13]
	v_xor_b32_e32 v12, 0x80000000, v12
	v_xor_b32_e32 v14, 0x80000000, v14
.LBB96_436:
	s_or_b64 exec, exec, s[10:11]
	s_and_saveexec_b64 s[8:9], s[40:41]
	s_cbranch_execz .LBB96_438
; %bb.437:
	v_mov_b32_e32 v23, 0
	ds_read_b128 v[23:26], v23 offset:13728
	s_waitcnt lgkmcnt(0)
	v_mul_f64 v[27:28], v[13:14], v[25:26]
	v_mul_f64 v[25:26], v[11:12], v[25:26]
	v_fma_f64 v[11:12], v[11:12], v[23:24], -v[27:28]
	v_fma_f64 v[13:14], v[13:14], v[23:24], v[25:26]
	ds_write_b128 v16, v[11:14]
.LBB96_438:
	s_or_b64 exec, exec, s[8:9]
	s_waitcnt lgkmcnt(0)
	s_barrier
	s_and_saveexec_b64 s[8:9], s[38:39]
	s_cbranch_execz .LBB96_440
; %bb.439:
	v_mov_b32_e32 v27, 0
	ds_read_b128 v[23:26], v16
	ds_read_b128 v[27:30], v27 offset:13744
	s_waitcnt lgkmcnt(0)
	v_mul_f64 v[31:32], v[25:26], v[29:30]
	v_mul_f64 v[29:30], v[23:24], v[29:30]
	v_fma_f64 v[23:24], v[23:24], v[27:28], -v[31:32]
	v_fma_f64 v[25:26], v[25:26], v[27:28], v[29:30]
	v_add_f64 v[11:12], v[11:12], v[23:24]
	v_add_f64 v[13:14], v[13:14], v[25:26]
.LBB96_440:
	s_or_b64 exec, exec, s[8:9]
	s_barrier
	s_and_saveexec_b64 s[8:9], s[38:39]
	s_cbranch_execz .LBB96_442
; %bb.441:
	v_mov_b32_e32 v23, 0
	ds_read_b128 v[23:26], v23 offset:14256
	s_waitcnt lgkmcnt(0)
	v_mul_f64 v[27:28], v[13:14], v[25:26]
	v_mul_f64 v[25:26], v[11:12], v[25:26]
	v_fma_f64 v[11:12], v[11:12], v[23:24], -v[27:28]
	v_fma_f64 v[13:14], v[13:14], v[23:24], v[25:26]
	ds_write_b128 v16, v[11:14]
.LBB96_442:
	s_or_b64 exec, exec, s[8:9]
	s_waitcnt lgkmcnt(0)
	s_barrier
	s_barrier
	s_and_saveexec_b64 s[8:9], s[2:3]
; %bb.443:
	v_xor_b32_e32 v12, 0x80000000, v12
	v_xor_b32_e32 v14, 0x80000000, v14
	ds_write_b128 v15, v[11:14] offset:12704
; %bb.444:
	s_or_b64 exec, exec, s[8:9]
	s_waitcnt lgkmcnt(0)
	s_barrier
	s_barrier
	s_and_saveexec_b64 s[8:9], s[42:43]
	s_cbranch_execz .LBB96_446
; %bb.445:
	v_lshlrev_b32_e32 v23, 9, v0
	ds_read_b128 v[11:14], v23 offset:12704
	s_movk_i32 s10, 0xfe10
	v_mad_i32_i24 v24, v0, s10, v23
	s_waitcnt lgkmcnt(0)
	ds_write_b128 v24, v[11:14] offset:13696
	ds_read_b128 v[11:14], v23 offset:12720
	s_waitcnt lgkmcnt(0)
	ds_write_b128 v24, v[11:14] offset:14208
.LBB96_446:
	s_or_b64 exec, exec, s[8:9]
	s_waitcnt lgkmcnt(0)
	s_barrier
	s_and_saveexec_b64 s[8:9], vcc
	s_cbranch_execz .LBB96_448
; %bb.447:
	v_mov_b32_e32 v33, 0
	ds_read_b128 v[11:14], v33 offset:14256
	ds_read_b128 v[23:26], v33 offset:13728
	;; [unrolled: 1-line block ×3, first 2 shown]
	s_waitcnt lgkmcnt(1)
	v_mul_f64 v[31:32], v[11:12], v[25:26]
	v_mul_f64 v[25:26], v[13:14], v[25:26]
	v_fma_f64 v[13:14], v[13:14], v[23:24], v[31:32]
	v_fma_f64 v[11:12], v[11:12], v[23:24], -v[25:26]
	s_waitcnt lgkmcnt(0)
	v_mul_f64 v[23:24], v[13:14], v[29:30]
	v_mul_f64 v[25:26], v[11:12], v[29:30]
	v_fma_f64 v[11:12], v[27:28], v[11:12], -v[23:24]
	v_fma_f64 v[13:14], v[27:28], v[13:14], v[25:26]
	ds_write_b128 v33, v[11:14] offset:13744
	ds_write_b128 v33, v[11:14] offset:14240
.LBB96_448:
	s_or_b64 exec, exec, s[8:9]
	v_mov_b32_e32 v13, 0
	v_mov_b32_e32 v11, 0
	;; [unrolled: 1-line block ×4, first 2 shown]
	s_waitcnt lgkmcnt(0)
	s_barrier
	s_and_saveexec_b64 s[10:11], s[16:17]
	s_cbranch_execz .LBB96_454
; %bb.449:
	v_mul_u32_u24_e32 v23, 0x210, v22
	ds_read_b128 v[11:14], v23 offset:12672
	ds_read_b128 v[24:27], v18 offset:12736
	v_cmp_gt_u32_e64 s[8:9], 12, v1
	s_waitcnt lgkmcnt(0)
	v_mul_f64 v[28:29], v[13:14], v[26:27]
	v_mul_f64 v[26:27], v[11:12], v[26:27]
	v_fma_f64 v[11:12], v[11:12], v[24:25], -v[28:29]
	v_fma_f64 v[13:14], v[13:14], v[24:25], v[26:27]
	v_add_f64 v[11:12], v[11:12], 0
	v_add_f64 v[13:14], v[13:14], 0
	s_and_saveexec_b64 s[12:13], s[8:9]
	s_cbranch_execnz .LBB96_572
; %bb.450:
	s_or_b64 exec, exec, s[12:13]
	v_cmp_gt_u32_e64 s[8:9], 8, v1
	s_and_saveexec_b64 s[12:13], s[8:9]
	s_cbranch_execnz .LBB96_573
.LBB96_451:
	s_or_b64 exec, exec, s[12:13]
	v_cmp_gt_u32_e64 s[8:9], 4, v1
	s_and_saveexec_b64 s[12:13], s[8:9]
	s_cbranch_execz .LBB96_453
.LBB96_452:
	v_lshlrev_b32_e32 v25, 4, v0
	v_mov_b32_e32 v21, 0
	ds_read_b128 v[21:24], v21 offset:12720
	ds_read_b128 v[25:28], v25 offset:14272
	s_waitcnt lgkmcnt(0)
	v_mul_f64 v[29:30], v[23:24], v[27:28]
	v_mul_f64 v[27:28], v[21:22], v[27:28]
	v_fma_f64 v[21:22], v[21:22], v[25:26], -v[29:30]
	v_fma_f64 v[23:24], v[23:24], v[25:26], v[27:28]
	v_add_f64 v[11:12], v[11:12], v[21:22]
	v_add_f64 v[13:14], v[13:14], v[23:24]
.LBB96_453:
	s_or_b64 exec, exec, s[12:13]
	v_xor_b32_e32 v12, 0x80000000, v12
	v_xor_b32_e32 v14, 0x80000000, v14
.LBB96_454:
	s_or_b64 exec, exec, s[10:11]
	s_and_saveexec_b64 s[8:9], s[46:47]
	s_cbranch_execz .LBB96_456
; %bb.455:
	v_mov_b32_e32 v21, 0
	ds_read_b128 v[21:24], v21 offset:14784
	s_waitcnt lgkmcnt(0)
	v_mul_f64 v[25:26], v[13:14], v[23:24]
	v_mul_f64 v[23:24], v[11:12], v[23:24]
	v_fma_f64 v[11:12], v[11:12], v[21:22], -v[25:26]
	v_fma_f64 v[13:14], v[13:14], v[21:22], v[23:24]
	ds_write_b128 v20, v[11:14]
.LBB96_456:
	s_or_b64 exec, exec, s[8:9]
	s_waitcnt lgkmcnt(0)
	s_barrier
	s_and_saveexec_b64 s[8:9], s[48:49]
	s_cbranch_execz .LBB96_458
; %bb.457:
	ds_read_b128 v[21:24], v20
	ds_read_b128 v[25:28], v19 offset:14784
	s_waitcnt lgkmcnt(0)
	v_mul_f64 v[29:30], v[23:24], v[27:28]
	v_mul_f64 v[27:28], v[21:22], v[27:28]
	v_fma_f64 v[21:22], v[21:22], v[25:26], -v[29:30]
	v_fma_f64 v[23:24], v[23:24], v[25:26], v[27:28]
	v_add_f64 v[11:12], v[11:12], v[21:22]
	v_add_f64 v[13:14], v[13:14], v[23:24]
.LBB96_458:
	s_or_b64 exec, exec, s[8:9]
	s_barrier
	s_and_saveexec_b64 s[8:9], s[50:51]
	s_cbranch_execz .LBB96_460
; %bb.459:
	v_mov_b32_e32 v21, 0
	ds_read_b128 v[21:24], v21 offset:15312
	s_waitcnt lgkmcnt(0)
	v_mul_f64 v[25:26], v[13:14], v[23:24]
	v_mul_f64 v[23:24], v[11:12], v[23:24]
	v_fma_f64 v[11:12], v[11:12], v[21:22], -v[25:26]
	v_fma_f64 v[13:14], v[13:14], v[21:22], v[23:24]
	ds_write_b128 v20, v[11:14]
.LBB96_460:
	s_or_b64 exec, exec, s[8:9]
	s_waitcnt lgkmcnt(0)
	s_barrier
	s_and_saveexec_b64 s[8:9], s[52:53]
	s_cbranch_execz .LBB96_462
; %bb.461:
	ds_read_b128 v[21:24], v20
	ds_read_b128 v[25:28], v19 offset:15296
	s_waitcnt lgkmcnt(0)
	v_mul_f64 v[29:30], v[23:24], v[27:28]
	v_mul_f64 v[27:28], v[21:22], v[27:28]
	v_fma_f64 v[21:22], v[21:22], v[25:26], -v[29:30]
	v_fma_f64 v[23:24], v[23:24], v[25:26], v[27:28]
	v_add_f64 v[11:12], v[11:12], v[21:22]
	v_add_f64 v[13:14], v[13:14], v[23:24]
.LBB96_462:
	s_or_b64 exec, exec, s[8:9]
	s_barrier
	s_and_saveexec_b64 s[8:9], s[54:55]
	s_cbranch_execz .LBB96_464
; %bb.463:
	v_mov_b32_e32 v19, 0
	ds_read_b128 v[21:24], v19 offset:15840
	s_waitcnt lgkmcnt(0)
	v_mul_f64 v[25:26], v[13:14], v[23:24]
	v_mul_f64 v[23:24], v[11:12], v[23:24]
	v_fma_f64 v[11:12], v[11:12], v[21:22], -v[25:26]
	v_fma_f64 v[13:14], v[13:14], v[21:22], v[23:24]
	ds_write_b128 v20, v[11:14]
.LBB96_464:
	s_or_b64 exec, exec, s[8:9]
	s_waitcnt lgkmcnt(0)
	s_barrier
	s_and_saveexec_b64 s[8:9], s[44:45]
	s_cbranch_execz .LBB96_466
; %bb.465:
	v_mov_b32_e32 v19, 0
	ds_read_b128 v[21:24], v20
	ds_read_b128 v[25:28], v19 offset:15856
	s_waitcnt lgkmcnt(0)
	v_mul_f64 v[29:30], v[23:24], v[27:28]
	v_mul_f64 v[27:28], v[21:22], v[27:28]
	v_fma_f64 v[21:22], v[21:22], v[25:26], -v[29:30]
	v_fma_f64 v[23:24], v[23:24], v[25:26], v[27:28]
	v_add_f64 v[11:12], v[11:12], v[21:22]
	v_add_f64 v[13:14], v[13:14], v[23:24]
.LBB96_466:
	s_or_b64 exec, exec, s[8:9]
	s_barrier
	s_and_saveexec_b64 s[8:9], s[44:45]
	s_cbranch_execz .LBB96_468
; %bb.467:
	v_mov_b32_e32 v19, 0
	ds_read_b128 v[21:24], v19 offset:16368
	s_waitcnt lgkmcnt(0)
	v_mul_f64 v[25:26], v[13:14], v[23:24]
	v_mul_f64 v[23:24], v[11:12], v[23:24]
	v_fma_f64 v[11:12], v[11:12], v[21:22], -v[25:26]
	v_fma_f64 v[13:14], v[13:14], v[21:22], v[23:24]
	ds_write_b128 v20, v[11:14]
.LBB96_468:
	s_or_b64 exec, exec, s[8:9]
	s_waitcnt lgkmcnt(0)
	s_barrier
	s_barrier
	s_and_saveexec_b64 s[8:9], s[16:17]
; %bb.469:
	v_xor_b32_e32 v14, 0x80000000, v14
	v_xor_b32_e32 v12, 0x80000000, v12
	ds_write_b128 v18, v[11:14] offset:12736
; %bb.470:
	s_or_b64 exec, exec, s[8:9]
	s_waitcnt lgkmcnt(0)
	s_barrier
	s_barrier
	s_and_saveexec_b64 s[8:9], s[56:57]
	s_cbranch_execz .LBB96_472
; %bb.471:
	v_lshlrev_b32_e32 v18, 4, v0
	s_movk_i32 s10, 0x1f0
	v_mad_u32_u24 v19, v0, s10, v18
	ds_read_b128 v[11:14], v19 offset:12736
	s_waitcnt lgkmcnt(0)
	ds_write_b128 v18, v[11:14] offset:14720
	ds_read_b128 v[11:14], v19 offset:12752
	s_waitcnt lgkmcnt(0)
	ds_write_b128 v18, v[11:14] offset:15232
	;; [unrolled: 3-line block ×4, first 2 shown]
.LBB96_472:
	s_or_b64 exec, exec, s[8:9]
	s_waitcnt lgkmcnt(0)
	s_barrier
	s_and_saveexec_b64 s[8:9], vcc
	s_cbranch_execz .LBB96_474
; %bb.473:
	v_mov_b32_e32 v28, 0
	ds_read_b128 v[11:14], v28 offset:15312
	ds_read_b128 v[18:21], v28 offset:14784
	;; [unrolled: 1-line block ×3, first 2 shown]
	s_waitcnt lgkmcnt(1)
	v_mul_f64 v[26:27], v[11:12], v[20:21]
	v_mul_f64 v[20:21], v[13:14], v[20:21]
	v_fma_f64 v[13:14], v[13:14], v[18:19], v[26:27]
	v_fma_f64 v[11:12], v[11:12], v[18:19], -v[20:21]
	s_waitcnt lgkmcnt(0)
	v_mul_f64 v[18:19], v[13:14], v[24:25]
	v_mul_f64 v[20:21], v[11:12], v[24:25]
	v_fma_f64 v[11:12], v[22:23], v[11:12], -v[18:19]
	v_fma_f64 v[13:14], v[22:23], v[13:14], v[20:21]
	ds_write_b128 v28, v[11:14] offset:14800
	ds_write_b128 v28, v[11:14] offset:15296
.LBB96_474:
	s_or_b64 exec, exec, s[8:9]
	v_mov_b32_e32 v13, 0
	v_mov_b32_e32 v11, 0
	;; [unrolled: 1-line block ×4, first 2 shown]
	s_waitcnt lgkmcnt(0)
	s_barrier
	s_and_saveexec_b64 s[10:11], s[2:3]
	s_cbranch_execz .LBB96_478
; %bb.475:
	v_mul_u32_u24_e32 v11, 0x210, v17
	ds_read_b128 v[11:14], v11 offset:14784
	ds_read_b128 v[17:20], v15 offset:14816
	v_cmp_gt_u32_e64 s[8:9], 2, v1
	s_waitcnt lgkmcnt(0)
	v_mul_f64 v[21:22], v[13:14], v[19:20]
	v_mul_f64 v[19:20], v[11:12], v[19:20]
	v_fma_f64 v[11:12], v[11:12], v[17:18], -v[21:22]
	v_fma_f64 v[13:14], v[13:14], v[17:18], v[19:20]
	v_add_f64 v[11:12], v[11:12], 0
	v_add_f64 v[13:14], v[13:14], 0
	s_and_saveexec_b64 s[12:13], s[8:9]
	s_cbranch_execz .LBB96_477
; %bb.476:
	v_lshlrev_b32_e32 v21, 4, v0
	v_mov_b32_e32 v17, 0
	ds_read_b128 v[17:20], v17 offset:14800
	ds_read_b128 v[21:24], v21 offset:15328
	s_waitcnt lgkmcnt(0)
	v_mul_f64 v[25:26], v[19:20], v[23:24]
	v_mul_f64 v[23:24], v[17:18], v[23:24]
	v_fma_f64 v[17:18], v[17:18], v[21:22], -v[25:26]
	v_fma_f64 v[19:20], v[19:20], v[21:22], v[23:24]
	v_add_f64 v[11:12], v[11:12], v[17:18]
	v_add_f64 v[13:14], v[13:14], v[19:20]
.LBB96_477:
	s_or_b64 exec, exec, s[12:13]
	v_xor_b32_e32 v12, 0x80000000, v12
	v_xor_b32_e32 v14, 0x80000000, v14
.LBB96_478:
	s_or_b64 exec, exec, s[10:11]
	s_and_saveexec_b64 s[8:9], s[40:41]
	s_cbranch_execz .LBB96_480
; %bb.479:
	v_mov_b32_e32 v17, 0
	ds_read_b128 v[17:20], v17 offset:15840
	s_waitcnt lgkmcnt(0)
	v_mul_f64 v[21:22], v[13:14], v[19:20]
	v_mul_f64 v[19:20], v[11:12], v[19:20]
	v_fma_f64 v[11:12], v[11:12], v[17:18], -v[21:22]
	v_fma_f64 v[13:14], v[13:14], v[17:18], v[19:20]
	ds_write_b128 v16, v[11:14]
.LBB96_480:
	s_or_b64 exec, exec, s[8:9]
	s_waitcnt lgkmcnt(0)
	s_barrier
	s_and_saveexec_b64 s[8:9], s[38:39]
	s_load_dword s41, s[4:5], 0x74
	v_readlane_b32 s40, v43, 0
	s_cbranch_execz .LBB96_482
; %bb.481:
	v_mov_b32_e32 v21, 0
	ds_read_b128 v[17:20], v16
	ds_read_b128 v[21:24], v21 offset:15856
	s_waitcnt lgkmcnt(0)
	v_mul_f64 v[25:26], v[19:20], v[23:24]
	v_mul_f64 v[23:24], v[17:18], v[23:24]
	v_fma_f64 v[17:18], v[17:18], v[21:22], -v[25:26]
	v_fma_f64 v[19:20], v[19:20], v[21:22], v[23:24]
	v_add_f64 v[11:12], v[11:12], v[17:18]
	v_add_f64 v[13:14], v[13:14], v[19:20]
.LBB96_482:
	s_or_b64 exec, exec, s[8:9]
	s_waitcnt lgkmcnt(0)
	s_barrier
	s_and_saveexec_b64 s[8:9], s[38:39]
	s_cbranch_execz .LBB96_484
; %bb.483:
	v_mov_b32_e32 v17, 0
	ds_read_b128 v[17:20], v17 offset:16368
	s_waitcnt lgkmcnt(0)
	v_mul_f64 v[21:22], v[13:14], v[19:20]
	v_mul_f64 v[19:20], v[11:12], v[19:20]
	v_fma_f64 v[11:12], v[11:12], v[17:18], -v[21:22]
	v_fma_f64 v[13:14], v[13:14], v[17:18], v[19:20]
	ds_write_b128 v16, v[11:14]
.LBB96_484:
	s_or_b64 exec, exec, s[8:9]
	s_waitcnt lgkmcnt(0)
	s_barrier
	s_barrier
	s_and_saveexec_b64 s[8:9], s[2:3]
; %bb.485:
	v_xor_b32_e32 v12, 0x80000000, v12
	v_xor_b32_e32 v14, 0x80000000, v14
	ds_write_b128 v15, v[11:14] offset:14816
; %bb.486:
	s_or_b64 exec, exec, s[8:9]
	s_waitcnt lgkmcnt(0)
	s_barrier
	s_barrier
	s_and_saveexec_b64 s[2:3], s[42:43]
	s_cbranch_execz .LBB96_488
; %bb.487:
	v_lshlrev_b32_e32 v15, 9, v0
	ds_read_b128 v[11:14], v15 offset:14816
	s_movk_i32 s8, 0xfe10
	v_mad_i32_i24 v16, v0, s8, v15
	s_waitcnt lgkmcnt(0)
	ds_write_b128 v16, v[11:14] offset:15808
	ds_read_b128 v[11:14], v15 offset:14832
	s_waitcnt lgkmcnt(0)
	ds_write_b128 v16, v[11:14] offset:16320
.LBB96_488:
	s_or_b64 exec, exec, s[2:3]
	s_waitcnt lgkmcnt(0)
	s_barrier
	s_and_saveexec_b64 s[2:3], vcc
	s_cbranch_execz .LBB96_490
; %bb.489:
	v_mov_b32_e32 v25, 0
	ds_read_b128 v[11:14], v25 offset:16368
	ds_read_b128 v[15:18], v25 offset:15840
	;; [unrolled: 1-line block ×3, first 2 shown]
	s_waitcnt lgkmcnt(1)
	v_mul_f64 v[23:24], v[11:12], v[17:18]
	v_mul_f64 v[17:18], v[13:14], v[17:18]
	v_fma_f64 v[13:14], v[13:14], v[15:16], v[23:24]
	v_fma_f64 v[11:12], v[11:12], v[15:16], -v[17:18]
	s_waitcnt lgkmcnt(0)
	v_mul_f64 v[15:16], v[13:14], v[21:22]
	v_mul_f64 v[17:18], v[11:12], v[21:22]
	v_fma_f64 v[11:12], v[19:20], v[11:12], -v[15:16]
	v_fma_f64 v[13:14], v[19:20], v[13:14], v[17:18]
	ds_write_b128 v25, v[11:14] offset:15856
	ds_write_b128 v25, v[11:14] offset:16352
.LBB96_490:
	s_or_b64 exec, exec, s[2:3]
.LBB96_491:
	s_load_dwordx4 s[16:19], s[4:5], 0x48
	s_load_dwordx2 s[14:15], s[4:5], 0x58
	v_cmp_le_i32_e32 vcc, s93, v0
	v_mov_b32_e32 v13, 0
	v_mov_b32_e32 v11, 0
	s_waitcnt lgkmcnt(0)
	s_mul_i32 s3, s19, s34
	s_mul_hi_u32 s4, s18, s34
	s_mul_i32 s2, s18, s34
	s_add_i32 s3, s4, s3
	s_lshl_b64 s[2:3], s[2:3], 4
	s_add_u32 s4, s28, s2
	s_addc_u32 s5, s29, s3
	s_lshl_b64 s[2:3], s[30:31], 4
	s_add_u32 s28, s4, s2
	s_addc_u32 s29, s5, s3
	s_and_b64 s[18:19], vcc, s[22:23]
	v_cmp_eq_u32_e64 s[2:3], 0, v2
	s_xor_b64 s[4:5], s[18:19], -1
	s_and_b64 s[8:9], s[2:3], s[4:5]
	v_mov_b32_e32 v14, 0
	v_mov_b32_e32 v12, 0
	v_add_u32_e32 v16, s33, v0
	s_barrier
	s_and_saveexec_b64 s[4:5], s[8:9]
	s_cbranch_execz .LBB96_493
; %bb.492:
	v_ashrrev_i32_e32 v13, 31, v16
	v_mul_lo_u32 v14, s17, v16
	v_mad_u64_u32 v[11:12], s[8:9], s16, v16, 0
	v_mul_lo_u32 v13, s16, v13
	v_add3_u32 v12, v12, v13, v14
	v_lshlrev_b64 v[11:12], 4, v[11:12]
	v_mov_b32_e32 v13, s29
	v_add_co_u32_e32 v11, vcc, s28, v11
	v_addc_co_u32_e32 v12, vcc, v13, v12, vcc
	global_load_dwordx4 v[11:14], v[11:12], off
	s_waitcnt vmcnt(0)
	v_mul_f64 v[17:18], s[24:25], v[11:12]
	v_mul_f64 v[19:20], s[24:25], v[13:14]
	v_fma_f64 v[13:14], s[26:27], v[13:14], -v[17:18]
	v_fma_f64 v[11:12], v[11:12], -s[26:27], -v[19:20]
.LBB96_493:
	s_or_b64 exec, exec, s[4:5]
	s_and_b32 s4, 0xffff, s41
	v_mad_u32_u24 v23, v2, s4, v0
	v_mov_b32_e32 v15, 0
	s_cmp_lt_i32 s6, 1
	v_cmp_eq_u32_e64 s[4:5], 0, v23
	s_cbranch_scc1 .LBB96_516
; %bb.494:
	v_ashrrev_i32_e32 v19, 31, v16
	v_mul_lo_u32 v20, s21, v16
	v_mad_u64_u32 v[17:18], s[8:9], s20, v16, 0
	v_mul_lo_u32 v19, s20, v19
	s_lshl_b64 s[8:9], s[34:35], 2
	s_add_u32 s20, s14, s8
	s_addc_u32 s21, s15, s9
	v_add3_u32 v18, v18, v19, v20
	v_cmp_gt_i32_e64 s[8:9], s36, v16
	v_lshlrev_b64 v[16:17], 4, v[17:18]
	v_mov_b32_e32 v19, 0x6000
	v_mov_b32_e32 v18, s95
	v_add_co_u32_e32 v26, vcc, s94, v16
	s_mov_b32 s26, 0
	v_cmp_gt_u32_e64 s[12:13], 32, v23
	v_lshl_add_u32 v24, v23, 4, v19
	v_lshl_or_b32 v25, v2, 4, v19
	s_add_i32 s92, s92, 1
	v_addc_co_u32_e32 v27, vcc, v18, v17, vcc
	v_mov_b32_e32 v28, -1
	s_branch .LBB96_497
.LBB96_495:                             ;   in Loop: Header=BB96_497 Depth=1
	ds_read_b128 v[29:32], v25 offset:256
	s_waitcnt vmcnt(0) lgkmcnt(0)
	v_mul_f64 v[16:17], v[20:21], v[31:32]
	v_mul_f64 v[20:21], v[20:21], v[29:30]
	v_fma_f64 v[16:17], v[18:19], v[29:30], v[16:17]
	v_fma_f64 v[18:19], v[18:19], v[31:32], -v[20:21]
	v_add_f64 v[13:14], v[13:14], v[16:17]
	v_add_f64 v[11:12], v[11:12], v[18:19]
.LBB96_496:                             ;   in Loop: Header=BB96_497 Depth=1
	s_or_b64 exec, exec, s[24:25]
	s_add_i32 s26, s26, 1
	s_cmp_eq_u32 s26, s6
	s_cbranch_scc1 .LBB96_516
.LBB96_497:                             ; =>This Loop Header: Depth=1
                                        ;     Child Loop BB96_499 Depth 2
	v_cmp_gt_i32_e32 vcc, s26, v28
	s_and_b64 s[24:25], s[4:5], vcc
	s_and_saveexec_b64 s[10:11], s[24:25]
	s_cbranch_execz .LBB96_500
; %bb.498:                              ;   in Loop: Header=BB96_497 Depth=1
	global_load_dword v28, v15, s[20:21]
	s_waitcnt vmcnt(0)
	v_cmp_le_i32_e32 vcc, s26, v28
	s_cbranch_vccnz .LBB96_500
.LBB96_499:                             ;   Parent Loop BB96_497 Depth=1
                                        ; =>  This Inner Loop Header: Depth=2
	buffer_wbinvl1_vol
	global_load_dword v28, v15, s[20:21]
	s_waitcnt vmcnt(0)
	v_cmp_gt_i32_e32 vcc, s26, v28
	s_cbranch_vccnz .LBB96_499
.LBB96_500:                             ;   in Loop: Header=BB96_497 Depth=1
	s_or_b64 exec, exec, s[10:11]
	s_sub_i32 s27, s7, s26
	s_lshl_b32 s30, s27, 5
	buffer_wbinvl1_vol
	s_barrier
	s_and_saveexec_b64 s[10:11], s[12:13]
	s_cbranch_execz .LBB96_505
; %bb.501:                              ;   in Loop: Header=BB96_497 Depth=1
	s_ashr_i32 s24, s30, 31
	v_mov_b32_e32 v17, s24
	v_or_b32_e32 v16, s30, v23
	v_cmp_le_i64_e32 vcc, s[36:37], v[16:17]
	s_and_saveexec_b64 s[24:25], vcc
	s_xor_b64 s[24:25], exec, s[24:25]
; %bb.502:                              ;   in Loop: Header=BB96_497 Depth=1
	v_mov_b32_e32 v16, v15
	v_mov_b32_e32 v17, v15
	;; [unrolled: 1-line block ×3, first 2 shown]
	ds_write_b128 v24, v[15:18]
                                        ; implicit-def: $vgpr16_vgpr17
; %bb.503:                              ;   in Loop: Header=BB96_497 Depth=1
	s_andn2_saveexec_b64 s[24:25], s[24:25]
	s_cbranch_execz .LBB96_505
; %bb.504:                              ;   in Loop: Header=BB96_497 Depth=1
	v_mul_lo_u32 v18, v17, s16
	v_mul_lo_u32 v19, v16, s17
	v_mad_u64_u32 v[16:17], s[24:25], v16, s16, 0
	v_add3_u32 v17, v17, v19, v18
	v_lshlrev_b64 v[16:17], 4, v[16:17]
	v_mov_b32_e32 v18, s29
	v_add_co_u32_e32 v16, vcc, s28, v16
	v_addc_co_u32_e32 v17, vcc, v18, v17, vcc
	global_load_dwordx4 v[16:19], v[16:17], off
	s_waitcnt vmcnt(0)
	ds_write2_b64 v24, v[16:17], v[18:19] offset1:1
.LBB96_505:                             ;   in Loop: Header=BB96_497 Depth=1
	s_or_b64 exec, exec, s[10:11]
	v_add_u32_e32 v18, s30, v2
	v_ashrrev_i32_e32 v19, 31, v18
	v_lshlrev_b64 v[16:17], 4, v[18:19]
	s_cmp_lg_u32 s27, s92
	v_add_co_u32_e32 v16, vcc, v26, v16
	s_cselect_b64 s[10:11], -1, 0
	v_addc_co_u32_e32 v17, vcc, v27, v17, vcc
	v_cmp_gt_i32_e32 vcc, s36, v18
	v_cndmask_b32_e64 v19, 0, 1, s[10:11]
	s_and_b64 s[30:31], vcc, s[8:9]
	v_cmp_ne_u32_e64 s[10:11], 1, v19
	s_waitcnt lgkmcnt(0)
	s_barrier
	s_and_saveexec_b64 s[24:25], s[30:31]
	s_cbranch_execz .LBB96_511
; %bb.506:                              ;   in Loop: Header=BB96_497 Depth=1
	v_mov_b32_e32 v20, v8
	s_and_b64 vcc, exec, s[10:11]
	v_mov_b32_e32 v19, v7
	s_cbranch_vccnz .LBB96_508
; %bb.507:                              ;   in Loop: Header=BB96_497 Depth=1
	global_load_dwordx2 v[19:20], v[16:17], off
.LBB96_508:                             ;   in Loop: Header=BB96_497 Depth=1
	v_mov_b32_e32 v22, v10
	s_and_b64 vcc, exec, s[10:11]
	v_mov_b32_e32 v21, v9
	s_cbranch_vccnz .LBB96_510
; %bb.509:                              ;   in Loop: Header=BB96_497 Depth=1
	global_load_dwordx2 v[21:22], v[16:17], off offset:8
.LBB96_510:                             ;   in Loop: Header=BB96_497 Depth=1
	ds_read_b128 v[29:32], v25
	s_waitcnt vmcnt(0) lgkmcnt(0)
	v_mul_f64 v[33:34], v[21:22], v[31:32]
	v_mul_f64 v[21:22], v[21:22], v[29:30]
	v_fma_f64 v[29:30], v[19:20], v[29:30], v[33:34]
	v_fma_f64 v[19:20], v[19:20], v[31:32], -v[21:22]
	v_add_f64 v[13:14], v[13:14], v[29:30]
	v_add_f64 v[11:12], v[11:12], v[19:20]
.LBB96_511:                             ;   in Loop: Header=BB96_497 Depth=1
	s_or_b64 exec, exec, s[24:25]
	v_add_u32_e32 v18, 16, v18
	v_cmp_gt_i32_e32 vcc, s36, v18
	s_and_b64 s[30:31], vcc, s[8:9]
	s_and_saveexec_b64 s[24:25], s[30:31]
	s_cbranch_execz .LBB96_496
; %bb.512:                              ;   in Loop: Header=BB96_497 Depth=1
	v_mov_b32_e32 v19, v4
	s_and_b64 vcc, exec, s[10:11]
	v_mov_b32_e32 v18, v3
	s_cbranch_vccnz .LBB96_514
; %bb.513:                              ;   in Loop: Header=BB96_497 Depth=1
	global_load_dwordx2 v[18:19], v[16:17], off offset:256
.LBB96_514:                             ;   in Loop: Header=BB96_497 Depth=1
	v_mov_b32_e32 v21, v6
	s_and_b64 vcc, exec, s[10:11]
	v_mov_b32_e32 v20, v5
	s_cbranch_vccnz .LBB96_495
; %bb.515:                              ;   in Loop: Header=BB96_497 Depth=1
	global_load_dwordx2 v[20:21], v[16:17], off offset:264
	s_branch .LBB96_495
.LBB96_516:
	s_xor_b64 s[4:5], s[22:23], -1
	v_lshlrev_b32_e32 v1, 4, v1
	v_mov_b32_e32 v15, v11
	v_mov_b32_e32 v16, v12
	ds_write_b128 v1, v[13:16] offset:16384
	s_waitcnt lgkmcnt(0)
	s_barrier
	s_and_saveexec_b64 s[6:7], s[2:3]
	s_cbranch_execz .LBB96_518
; %bb.517:
	v_lshlrev_b32_e32 v15, 4, v0
	ds_read_b128 v[3:6], v15 offset:16896
	ds_read_b128 v[7:10], v15 offset:17408
	s_waitcnt lgkmcnt(1)
	v_add_f64 v[3:4], v[13:14], v[3:4]
	v_add_f64 v[5:6], v[11:12], v[5:6]
	s_waitcnt lgkmcnt(0)
	v_add_f64 v[11:12], v[3:4], v[7:8]
	v_add_f64 v[13:14], v[5:6], v[9:10]
	ds_read_b128 v[3:6], v15 offset:17920
	ds_read_b128 v[7:10], v15 offset:18432
	s_waitcnt lgkmcnt(1)
	v_add_f64 v[3:4], v[11:12], v[3:4]
	v_add_f64 v[5:6], v[13:14], v[5:6]
	s_waitcnt lgkmcnt(0)
	v_add_f64 v[11:12], v[3:4], v[7:8]
	v_add_f64 v[13:14], v[5:6], v[9:10]
	;; [unrolled: 8-line block ×7, first 2 shown]
	ds_read_b128 v[3:6], v15 offset:24064
	s_waitcnt lgkmcnt(0)
	v_add_f64 v[3:4], v[7:8], v[3:4]
	v_add_f64 v[5:6], v[9:10], v[5:6]
	v_xor_b32_e32 v4, 0x80000000, v4
	v_xor_b32_e32 v6, 0x80000000, v6
	v_cndmask_b32_e64 v13, v3, 0, s[18:19]
	v_cndmask_b32_e64 v14, v4, 0, s[18:19]
	;; [unrolled: 1-line block ×4, first 2 shown]
.LBB96_518:
	s_or_b64 exec, exec, s[6:7]
	s_and_b64 vcc, exec, s[0:1]
	s_cbranch_vccnz .LBB96_527
; %bb.519:
	v_mov_b32_e32 v3, 0x6000
	v_lshl_or_b32 v7, v2, 4, v3
	s_and_saveexec_b64 s[0:1], s[2:3]
; %bb.520:
	v_lshl_add_u32 v3, v0, 4, v7
	v_mov_b32_e32 v15, v11
	v_mov_b32_e32 v16, v12
	ds_write_b128 v3, v[13:16]
; %bb.521:
	s_or_b64 exec, exec, s[0:1]
	v_mov_b32_e32 v3, 0
	v_mov_b32_e32 v5, 0
	;; [unrolled: 1-line block ×4, first 2 shown]
	v_cmp_le_u32_e32 vcc, v0, v2
	s_waitcnt lgkmcnt(0)
	s_barrier
	s_and_saveexec_b64 s[0:1], vcc
	s_cbranch_execz .LBB96_523
; %bb.522:
	ds_read_b128 v[3:6], v7
	ds_read_b128 v[15:18], v1
	s_waitcnt lgkmcnt(0)
	v_mul_f64 v[8:9], v[5:6], v[17:18]
	v_mul_f64 v[17:18], v[3:4], v[17:18]
	v_fma_f64 v[3:4], v[3:4], v[15:16], -v[8:9]
	v_fma_f64 v[5:6], v[5:6], v[15:16], v[17:18]
	v_add_f64 v[3:4], v[3:4], 0
	v_add_f64 v[5:6], v[5:6], 0
.LBB96_523:
	s_or_b64 exec, exec, s[0:1]
	v_add_u32_e32 v2, 16, v2
	v_add_u32_e32 v8, 0x4000, v1
	v_cmp_le_u32_e32 vcc, v0, v2
	s_and_saveexec_b64 s[0:1], vcc
	s_cbranch_execz .LBB96_525
; %bb.524:
	ds_read_b128 v[15:18], v7 offset:256
	ds_read_b128 v[19:22], v1 offset:8192
	s_waitcnt lgkmcnt(0)
	v_mul_f64 v[1:2], v[17:18], v[21:22]
	v_mul_f64 v[9:10], v[15:16], v[21:22]
	v_fma_f64 v[1:2], v[15:16], v[19:20], -v[1:2]
	v_fma_f64 v[9:10], v[17:18], v[19:20], v[9:10]
	v_add_f64 v[3:4], v[3:4], v[1:2]
	v_add_f64 v[5:6], v[5:6], v[9:10]
.LBB96_525:
	s_or_b64 exec, exec, s[0:1]
	s_mov_b64 s[6:7], 0
	s_mov_b64 s[0:1], 0
	ds_write_b128 v8, v[3:6]
	s_waitcnt lgkmcnt(0)
	s_barrier
                                        ; implicit-def: $vgpr1_vgpr2
                                        ; implicit-def: $vgpr7_vgpr8
	s_and_saveexec_b64 s[8:9], s[2:3]
	s_cbranch_execz .LBB96_546
; %bb.526:
	v_lshlrev_b32_e32 v19, 4, v0
	ds_read_b128 v[7:10], v19 offset:16896
	ds_read_b128 v[15:18], v19 offset:17408
	s_mov_b64 s[0:1], exec
	s_waitcnt lgkmcnt(1)
	v_add_f64 v[1:2], v[3:4], v[7:8]
	v_add_f64 v[3:4], v[5:6], v[9:10]
	s_waitcnt lgkmcnt(0)
	v_add_f64 v[9:10], v[1:2], v[15:16]
	v_add_f64 v[15:16], v[3:4], v[17:18]
	ds_read_b128 v[1:4], v19 offset:17920
	ds_read_b128 v[5:8], v19 offset:18432
	s_waitcnt lgkmcnt(1)
	v_add_f64 v[1:2], v[9:10], v[1:2]
	v_add_f64 v[3:4], v[15:16], v[3:4]
	s_waitcnt lgkmcnt(0)
	v_add_f64 v[9:10], v[1:2], v[5:6]
	v_add_f64 v[15:16], v[3:4], v[7:8]
	ds_read_b128 v[1:4], v19 offset:18944
	ds_read_b128 v[5:8], v19 offset:19456
	;; [unrolled: 8-line block ×6, first 2 shown]
	s_waitcnt lgkmcnt(1)
	v_add_f64 v[1:2], v[9:10], v[1:2]
	v_add_f64 v[3:4], v[15:16], v[3:4]
	s_waitcnt lgkmcnt(0)
	v_add_f64 v[5:6], v[1:2], v[5:6]
	v_add_f64 v[9:10], v[3:4], v[7:8]
	ds_read_b128 v[1:4], v19 offset:24064
	s_waitcnt lgkmcnt(0)
	v_add_f64 v[7:8], v[5:6], v[1:2]
	v_add_f64 v[1:2], v[9:10], v[3:4]
	s_or_b64 exec, exec, s[8:9]
	s_and_b64 vcc, exec, s[6:7]
	s_cbranch_vccnz .LBB96_528
	s_branch .LBB96_547
.LBB96_527:
	s_mov_b64 s[0:1], 0
                                        ; implicit-def: $vgpr1_vgpr2
                                        ; implicit-def: $vgpr7_vgpr8
	s_cbranch_execz .LBB96_547
.LBB96_528:
	s_movk_i32 s6, 0x210
	v_lshlrev_b32_e32 v2, 9, v0
	v_mov_b32_e32 v3, 0x3c00
	v_mul_u32_u24_e32 v1, 0x210, v0
	v_sub_u32_e32 v2, 0, v2
	v_mad_u32_u24 v3, v0, s6, v3
	s_mov_b32 s8, 31
	s_movk_i32 s9, 0xc200
	v_mov_b32_e32 v4, 0
	s_branch .LBB96_530
.LBB96_529:                             ;   in Loop: Header=BB96_530 Depth=1
	s_or_b64 exec, exec, s[6:7]
	s_add_i32 s8, s8, -2
	s_cmp_lg_u32 s10, 0
	v_add_u32_e32 v2, 0xfffffc00, v2
	s_barrier
	s_cbranch_scc0 .LBB96_538
.LBB96_530:                             ; =>This Inner Loop Header: Depth=1
	v_cmp_eq_u32_e32 vcc, s9, v2
	s_and_b64 s[10:11], s[2:3], vcc
	s_and_saveexec_b64 s[6:7], s[10:11]
	s_cbranch_execz .LBB96_532
; %bb.531:                              ;   in Loop: Header=BB96_530 Depth=1
	ds_read_b128 v[5:8], v1
	s_waitcnt lgkmcnt(0)
	v_mul_f64 v[9:10], v[11:12], v[7:8]
	v_mul_f64 v[7:8], v[13:14], v[7:8]
	v_fma_f64 v[9:10], v[13:14], v[5:6], -v[9:10]
	v_fma_f64 v[11:12], v[11:12], v[5:6], v[7:8]
	v_mov_b32_e32 v14, v10
	v_mov_b32_e32 v13, v9
	ds_write_b128 v4, v[9:12] offset:25088
.LBB96_532:                             ;   in Loop: Header=BB96_530 Depth=1
	s_or_b64 exec, exec, s[6:7]
	v_cmp_gt_u32_e32 vcc, s8, v0
	s_and_b64 s[10:11], s[2:3], vcc
	v_add_u32_e32 v5, v3, v2
	s_waitcnt lgkmcnt(0)
	s_barrier
	s_and_saveexec_b64 s[6:7], s[10:11]
	s_cbranch_execz .LBB96_534
; %bb.533:                              ;   in Loop: Header=BB96_530 Depth=1
	ds_read_b128 v[6:9], v4 offset:25088
	ds_read_b128 v[15:18], v5 offset:512
	s_waitcnt lgkmcnt(0)
	v_mul_f64 v[19:20], v[8:9], v[17:18]
	v_mul_f64 v[17:18], v[6:7], v[17:18]
	v_fma_f64 v[6:7], v[6:7], v[15:16], -v[19:20]
	v_fma_f64 v[8:9], v[8:9], v[15:16], v[17:18]
	v_add_f64 v[13:14], v[13:14], v[6:7]
	v_add_f64 v[11:12], v[11:12], v[8:9]
.LBB96_534:                             ;   in Loop: Header=BB96_530 Depth=1
	s_or_b64 exec, exec, s[6:7]
	s_add_i32 s10, s8, -1
	v_cmp_eq_u32_e32 vcc, s10, v0
	s_and_b64 s[12:13], s[2:3], vcc
	s_barrier
	s_and_saveexec_b64 s[6:7], s[12:13]
	s_cbranch_execz .LBB96_536
; %bb.535:                              ;   in Loop: Header=BB96_530 Depth=1
	ds_read_b128 v[6:9], v1
	s_waitcnt lgkmcnt(0)
	v_mul_f64 v[15:16], v[11:12], v[8:9]
	v_mul_f64 v[17:18], v[13:14], v[8:9]
	v_fma_f64 v[9:10], v[13:14], v[6:7], -v[15:16]
	v_fma_f64 v[11:12], v[11:12], v[6:7], v[17:18]
	v_mov_b32_e32 v14, v10
	v_mov_b32_e32 v13, v9
	ds_write_b128 v4, v[9:12] offset:25088
.LBB96_536:                             ;   in Loop: Header=BB96_530 Depth=1
	s_or_b64 exec, exec, s[6:7]
	v_cmp_gt_u32_e32 vcc, s10, v0
	s_and_b64 s[12:13], s[2:3], vcc
	s_waitcnt lgkmcnt(0)
	s_barrier
	s_and_saveexec_b64 s[6:7], s[12:13]
	s_cbranch_execz .LBB96_529
; %bb.537:                              ;   in Loop: Header=BB96_530 Depth=1
	ds_read_b128 v[6:9], v4 offset:25088
	ds_read_b128 v[15:18], v5
	s_waitcnt lgkmcnt(0)
	v_mul_f64 v[19:20], v[8:9], v[17:18]
	v_mul_f64 v[17:18], v[6:7], v[17:18]
	v_fma_f64 v[5:6], v[6:7], v[15:16], -v[19:20]
	v_fma_f64 v[7:8], v[8:9], v[15:16], v[17:18]
	v_add_f64 v[13:14], v[13:14], v[5:6]
	v_add_f64 v[11:12], v[11:12], v[7:8]
	s_branch .LBB96_529
.LBB96_538:
	s_mov_b64 s[6:7], -1
	s_and_b64 vcc, exec, s[4:5]
	s_cbranch_vccnz .LBB96_548
; %bb.539:
	s_andn2_b64 vcc, exec, s[6:7]
	s_cbranch_vccz .LBB96_549
.LBB96_540:
	s_and_saveexec_b64 s[2:3], s[0:1]
	s_cbranch_execz .LBB96_542
.LBB96_541:
	v_mov_b32_e32 v0, s40
	v_add_co_u32_e32 v1, vcc, s33, v23
	v_addc_co_u32_e32 v0, vcc, 0, v0, vcc
	v_mul_lo_u32 v2, v0, s16
	v_mul_lo_u32 v3, v1, s17
	v_mad_u64_u32 v[0:1], s[0:1], v1, s16, 0
	v_mov_b32_e32 v15, v11
	v_mov_b32_e32 v16, v12
	v_add3_u32 v1, v1, v3, v2
	v_lshlrev_b64 v[0:1], 4, v[0:1]
	v_mov_b32_e32 v2, s29
	v_add_co_u32_e32 v0, vcc, s28, v0
	v_addc_co_u32_e32 v1, vcc, v2, v1, vcc
	global_store_dwordx4 v[0:1], v[13:16], off
.LBB96_542:
	s_or_b64 exec, exec, s[2:3]
	v_cmp_eq_u32_e32 vcc, 0, v23
	s_waitcnt vmcnt(0)
	buffer_wbinvl1_vol
	s_barrier
	s_and_saveexec_b64 s[0:1], vcc
	s_cbranch_execz .LBB96_544
; %bb.543:
	s_lshl_b64 s[2:3], s[34:35], 2
	s_add_u32 s2, s14, s2
	s_addc_u32 s3, s15, s3
	v_mov_b32_e32 v0, 0
	global_load_dword v1, v0, s[2:3]
	s_waitcnt vmcnt(0)
	v_add_u32_e32 v1, 1, v1
	global_store_dword v0, v1, s[2:3]
.LBB96_544:
	s_or_b64 exec, exec, s[0:1]
	s_waitcnt vmcnt(0)
	buffer_wbinvl1_vol
	s_endpgm
.LBB96_545:
                                        ; implicit-def: $vgpr5_vgpr6
                                        ; implicit-def: $vgpr9_vgpr10
                                        ; implicit-def: $sgpr33
	s_cbranch_execnz .LBB96_6
	s_branch .LBB96_7
.LBB96_546:
	s_or_b64 exec, exec, s[8:9]
	s_and_b64 vcc, exec, s[6:7]
	s_cbranch_vccnz .LBB96_528
.LBB96_547:
	v_mov_b32_e32 v12, v2
	v_mov_b32_e32 v14, v8
	;; [unrolled: 1-line block ×4, first 2 shown]
	s_and_saveexec_b64 s[2:3], s[0:1]
	s_cbranch_execnz .LBB96_541
	s_branch .LBB96_542
.LBB96_548:
	s_andn2_b64 s[0:1], s[0:1], exec
	s_and_b64 s[4:5], s[2:3], exec
	s_or_b64 s[0:1], s[0:1], s[4:5]
	s_cbranch_execnz .LBB96_540
.LBB96_549:
	v_cmp_gt_i32_e32 vcc, s93, v0
	s_and_b64 s[2:3], s[2:3], vcc
	s_andn2_b64 s[0:1], s[0:1], exec
	s_and_b64 s[2:3], s[2:3], exec
	s_or_b64 s[0:1], s[0:1], s[2:3]
	s_and_saveexec_b64 s[2:3], s[0:1]
	s_cbranch_execnz .LBB96_541
	s_branch .LBB96_542
.LBB96_550:
	v_lshlrev_b32_e32 v23, 4, v22
	v_sub_u32_e32 v23, v20, v23
	v_lshl_add_u32 v27, v21, 4, v23
	ds_read_b128 v[23:26], v20 offset:16
	ds_read_b128 v[27:30], v27 offset:576
	s_waitcnt lgkmcnt(0)
	v_mul_f64 v[31:32], v[25:26], v[29:30]
	v_mul_f64 v[29:30], v[23:24], v[29:30]
	v_fma_f64 v[23:24], v[23:24], v[27:28], -v[31:32]
	v_fma_f64 v[25:26], v[25:26], v[27:28], v[29:30]
	v_add_f64 v[11:12], v[11:12], v[23:24]
	v_add_f64 v[13:14], v[13:14], v[25:26]
	s_or_b64 exec, exec, s[18:19]
	v_cmp_gt_u32_e64 s[12:13], 8, v1
	s_and_saveexec_b64 s[18:19], s[12:13]
	s_cbranch_execz .LBB96_89
.LBB96_551:
	ds_read_b128 v[23:26], v20 offset:32
	ds_read_b128 v[27:30], v18 offset:1088
	s_waitcnt lgkmcnt(0)
	v_mul_f64 v[31:32], v[25:26], v[29:30]
	v_mul_f64 v[29:30], v[23:24], v[29:30]
	v_fma_f64 v[23:24], v[23:24], v[27:28], -v[31:32]
	v_fma_f64 v[25:26], v[25:26], v[27:28], v[29:30]
	v_add_f64 v[11:12], v[11:12], v[23:24]
	v_add_f64 v[13:14], v[13:14], v[25:26]
	s_or_b64 exec, exec, s[18:19]
	v_cmp_gt_u32_e64 s[12:13], 4, v1
	s_and_saveexec_b64 s[18:19], s[12:13]
	s_cbranch_execnz .LBB96_90
	s_branch .LBB96_91
.LBB96_552:
	v_lshlrev_b32_e32 v28, 4, v27
	v_sub_u32_e32 v28, v25, v28
	v_lshl_add_u32 v32, v26, 4, v28
	ds_read_b128 v[28:31], v25 offset:16
	ds_read_b128 v[32:35], v32 offset:640
	s_waitcnt lgkmcnt(0)
	v_mul_f64 v[36:37], v[30:31], v[34:35]
	v_mul_f64 v[34:35], v[28:29], v[34:35]
	v_fma_f64 v[28:29], v[28:29], v[32:33], -v[36:37]
	v_fma_f64 v[30:31], v[30:31], v[32:33], v[34:35]
	v_add_f64 v[11:12], v[11:12], v[28:29]
	v_add_f64 v[13:14], v[13:14], v[30:31]
	s_or_b64 exec, exec, s[58:59]
	v_cmp_gt_u32_e64 s[14:15], 48, v1
	s_and_saveexec_b64 s[58:59], s[14:15]
	s_cbranch_execz .LBB96_131
.LBB96_553:
	v_lshlrev_b32_e32 v28, 4, v27
	v_sub_u32_e32 v28, v25, v28
	v_lshl_add_u32 v32, v26, 4, v28
	ds_read_b128 v[28:31], v25 offset:32
	ds_read_b128 v[32:35], v32 offset:1152
	s_waitcnt lgkmcnt(0)
	v_mul_f64 v[36:37], v[30:31], v[34:35]
	v_mul_f64 v[34:35], v[28:29], v[34:35]
	v_fma_f64 v[28:29], v[28:29], v[32:33], -v[36:37]
	v_fma_f64 v[30:31], v[30:31], v[32:33], v[34:35]
	v_add_f64 v[11:12], v[11:12], v[28:29]
	v_add_f64 v[13:14], v[13:14], v[30:31]
	s_or_b64 exec, exec, s[58:59]
	v_cmp_gt_u32_e64 s[14:15], 40, v1
	s_and_saveexec_b64 s[58:59], s[14:15]
	s_cbranch_execz .LBB96_132
.LBB96_554:
	v_lshlrev_b32_e32 v28, 4, v27
	v_sub_u32_e32 v28, v25, v28
	v_lshl_add_u32 v32, v26, 4, v28
	ds_read_b128 v[28:31], v25 offset:48
	ds_read_b128 v[32:35], v32 offset:1664
	s_waitcnt lgkmcnt(0)
	v_mul_f64 v[36:37], v[30:31], v[34:35]
	v_mul_f64 v[34:35], v[28:29], v[34:35]
	v_fma_f64 v[28:29], v[28:29], v[32:33], -v[36:37]
	v_fma_f64 v[30:31], v[30:31], v[32:33], v[34:35]
	v_add_f64 v[11:12], v[11:12], v[28:29]
	v_add_f64 v[13:14], v[13:14], v[30:31]
	s_or_b64 exec, exec, s[58:59]
	v_cmp_gt_u32_e64 s[14:15], 32, v1
	s_and_saveexec_b64 s[58:59], s[14:15]
	s_cbranch_execz .LBB96_133
.LBB96_555:
	ds_read_b128 v[28:31], v25 offset:64
	ds_read_b128 v[32:35], v23 offset:2176
	s_waitcnt lgkmcnt(0)
	v_mul_f64 v[36:37], v[30:31], v[34:35]
	v_mul_f64 v[34:35], v[28:29], v[34:35]
	v_fma_f64 v[28:29], v[28:29], v[32:33], -v[36:37]
	v_fma_f64 v[30:31], v[30:31], v[32:33], v[34:35]
	v_add_f64 v[11:12], v[11:12], v[28:29]
	v_add_f64 v[13:14], v[13:14], v[30:31]
	s_or_b64 exec, exec, s[58:59]
	v_cmp_gt_u32_e64 s[14:15], 24, v1
	s_and_saveexec_b64 s[58:59], s[14:15]
	s_cbranch_execz .LBB96_134
.LBB96_556:
	v_lshlrev_b32_e32 v28, 4, v27
	v_sub_u32_e32 v28, v25, v28
	v_lshl_add_u32 v32, v26, 4, v28
	ds_read_b128 v[28:31], v25 offset:80
	ds_read_b128 v[32:35], v32 offset:2688
	s_waitcnt lgkmcnt(0)
	v_mul_f64 v[36:37], v[30:31], v[34:35]
	v_mul_f64 v[34:35], v[28:29], v[34:35]
	v_fma_f64 v[28:29], v[28:29], v[32:33], -v[36:37]
	v_fma_f64 v[30:31], v[30:31], v[32:33], v[34:35]
	v_add_f64 v[11:12], v[11:12], v[28:29]
	v_add_f64 v[13:14], v[13:14], v[30:31]
	s_or_b64 exec, exec, s[58:59]
	v_cmp_gt_u32_e64 s[14:15], 16, v1
	s_and_saveexec_b64 s[58:59], s[14:15]
	s_cbranch_execz .LBB96_135
.LBB96_557:
	ds_read_b128 v[28:31], v25 offset:96
	ds_read_b128 v[32:35], v23 offset:3200
	s_waitcnt lgkmcnt(0)
	v_mul_f64 v[36:37], v[30:31], v[34:35]
	v_mul_f64 v[34:35], v[28:29], v[34:35]
	v_fma_f64 v[28:29], v[28:29], v[32:33], -v[36:37]
	v_fma_f64 v[30:31], v[30:31], v[32:33], v[34:35]
	v_add_f64 v[11:12], v[11:12], v[28:29]
	v_add_f64 v[13:14], v[13:14], v[30:31]
	s_or_b64 exec, exec, s[58:59]
	v_cmp_gt_u32_e64 s[14:15], 8, v1
	s_and_saveexec_b64 s[58:59], s[14:15]
	s_cbranch_execnz .LBB96_136
	s_branch .LBB96_137
.LBB96_558:
	v_lshlrev_b32_e32 v29, 4, v22
	v_sub_u32_e32 v29, v28, v29
	v_lshl_add_u32 v33, v21, 4, v29
	ds_read_b128 v[29:32], v28 offset:4240
	ds_read_b128 v[33:36], v33 offset:4800
	s_waitcnt lgkmcnt(0)
	v_mul_f64 v[37:38], v[31:32], v[35:36]
	v_mul_f64 v[35:36], v[29:30], v[35:36]
	v_fma_f64 v[29:30], v[29:30], v[33:34], -v[37:38]
	v_fma_f64 v[31:32], v[31:32], v[33:34], v[35:36]
	v_add_f64 v[11:12], v[11:12], v[29:30]
	v_add_f64 v[13:14], v[13:14], v[31:32]
	s_or_b64 exec, exec, s[18:19]
	v_cmp_gt_u32_e64 s[12:13], 8, v1
	s_and_saveexec_b64 s[18:19], s[12:13]
	s_cbranch_execz .LBB96_193
.LBB96_559:
	ds_read_b128 v[28:31], v28 offset:4256
	ds_read_b128 v[32:35], v18 offset:5312
	s_waitcnt lgkmcnt(0)
	v_mul_f64 v[36:37], v[30:31], v[34:35]
	v_mul_f64 v[34:35], v[28:29], v[34:35]
	v_fma_f64 v[28:29], v[28:29], v[32:33], -v[36:37]
	v_fma_f64 v[30:31], v[30:31], v[32:33], v[34:35]
	v_add_f64 v[11:12], v[11:12], v[28:29]
	v_add_f64 v[13:14], v[13:14], v[30:31]
	s_or_b64 exec, exec, s[18:19]
	v_cmp_gt_u32_e64 s[12:13], 4, v1
	s_and_saveexec_b64 s[18:19], s[12:13]
	s_cbranch_execnz .LBB96_194
	s_branch .LBB96_195
.LBB96_560:
	ds_read_b128 v[33:36], v32 offset:176
	ds_read_b128 v[37:40], v28 offset:5888
	s_waitcnt lgkmcnt(0)
	v_mul_f64 v[41:42], v[35:36], v[39:40]
	v_mul_f64 v[39:40], v[33:34], v[39:40]
	v_fma_f64 v[33:34], v[33:34], v[37:38], -v[41:42]
	v_fma_f64 v[35:36], v[35:36], v[37:38], v[39:40]
	v_add_f64 v[11:12], v[11:12], v[33:34]
	v_add_f64 v[13:14], v[13:14], v[35:36]
	s_or_b64 exec, exec, s[90:91]
	v_cmp_gt_u32_e64 s[18:19], 64, v1
	s_and_saveexec_b64 s[90:91], s[18:19]
	s_cbranch_execz .LBB96_255
.LBB96_561:
	ds_read_b128 v[33:36], v32 offset:192
	ds_read_b128 v[37:40], v28 offset:6400
	s_waitcnt lgkmcnt(0)
	v_mul_f64 v[41:42], v[35:36], v[39:40]
	v_mul_f64 v[39:40], v[33:34], v[39:40]
	v_fma_f64 v[33:34], v[33:34], v[37:38], -v[41:42]
	v_fma_f64 v[35:36], v[35:36], v[37:38], v[39:40]
	v_add_f64 v[11:12], v[11:12], v[33:34]
	v_add_f64 v[13:14], v[13:14], v[35:36]
	s_or_b64 exec, exec, s[90:91]
	v_cmp_gt_u32_e64 s[18:19], 48, v1
	s_and_saveexec_b64 s[90:91], s[18:19]
	s_cbranch_execz .LBB96_256
.LBB96_562:
	ds_read_b128 v[33:36], v32 offset:208
	ds_read_b128 v[37:40], v28 offset:6912
	s_waitcnt lgkmcnt(0)
	v_mul_f64 v[41:42], v[35:36], v[39:40]
	v_mul_f64 v[39:40], v[33:34], v[39:40]
	v_fma_f64 v[33:34], v[33:34], v[37:38], -v[41:42]
	v_fma_f64 v[35:36], v[35:36], v[37:38], v[39:40]
	v_add_f64 v[11:12], v[11:12], v[33:34]
	v_add_f64 v[13:14], v[13:14], v[35:36]
	s_or_b64 exec, exec, s[90:91]
	v_cmp_gt_u32_e64 s[18:19], 32, v1
	s_and_saveexec_b64 s[90:91], s[18:19]
	s_cbranch_execz .LBB96_257
.LBB96_563:
	ds_read_b128 v[32:35], v32 offset:224
	ds_read_b128 v[36:39], v28 offset:7424
	s_waitcnt lgkmcnt(0)
	v_mul_f64 v[40:41], v[34:35], v[38:39]
	v_mul_f64 v[38:39], v[32:33], v[38:39]
	v_fma_f64 v[32:33], v[32:33], v[36:37], -v[40:41]
	v_fma_f64 v[34:35], v[34:35], v[36:37], v[38:39]
	v_add_f64 v[11:12], v[11:12], v[32:33]
	v_add_f64 v[13:14], v[13:14], v[34:35]
	s_or_b64 exec, exec, s[90:91]
	v_cmp_gt_u32_e64 s[18:19], 16, v1
	s_and_saveexec_b64 s[90:91], s[18:19]
	s_cbranch_execnz .LBB96_258
	s_branch .LBB96_259
.LBB96_564:
	v_lshlrev_b32_e32 v29, 4, v22
	v_sub_u32_e32 v29, v28, v29
	v_lshl_add_u32 v33, v21, 4, v29
	ds_read_b128 v[29:32], v28 offset:8464
	ds_read_b128 v[33:36], v33 offset:9024
	s_waitcnt lgkmcnt(0)
	v_mul_f64 v[37:38], v[31:32], v[35:36]
	v_mul_f64 v[35:36], v[29:30], v[35:36]
	v_fma_f64 v[29:30], v[29:30], v[33:34], -v[37:38]
	v_fma_f64 v[31:32], v[31:32], v[33:34], v[35:36]
	v_add_f64 v[11:12], v[11:12], v[29:30]
	v_add_f64 v[13:14], v[13:14], v[31:32]
	s_or_b64 exec, exec, s[14:15]
	v_cmp_gt_u32_e64 s[10:11], 8, v1
	s_and_saveexec_b64 s[14:15], s[10:11]
	s_cbranch_execz .LBB96_347
.LBB96_565:
	ds_read_b128 v[28:31], v28 offset:8480
	ds_read_b128 v[32:35], v18 offset:9536
	s_waitcnt lgkmcnt(0)
	v_mul_f64 v[36:37], v[30:31], v[34:35]
	v_mul_f64 v[34:35], v[28:29], v[34:35]
	v_fma_f64 v[28:29], v[28:29], v[32:33], -v[36:37]
	v_fma_f64 v[30:31], v[30:31], v[32:33], v[34:35]
	v_add_f64 v[11:12], v[11:12], v[28:29]
	v_add_f64 v[13:14], v[13:14], v[30:31]
	s_or_b64 exec, exec, s[14:15]
	v_cmp_gt_u32_e64 s[10:11], 4, v1
	s_and_saveexec_b64 s[14:15], s[10:11]
	s_cbranch_execnz .LBB96_348
	s_branch .LBB96_349
.LBB96_566:
	v_lshlrev_b32_e32 v29, 4, v27
	v_sub_u32_e32 v29, v28, v29
	v_lshl_add_u32 v33, v26, 4, v29
	ds_read_b128 v[29:32], v28 offset:8464
	ds_read_b128 v[33:36], v33 offset:9088
	s_waitcnt lgkmcnt(0)
	v_mul_f64 v[37:38], v[31:32], v[35:36]
	v_mul_f64 v[35:36], v[29:30], v[35:36]
	v_fma_f64 v[29:30], v[29:30], v[33:34], -v[37:38]
	v_fma_f64 v[31:32], v[31:32], v[33:34], v[35:36]
	v_add_f64 v[11:12], v[11:12], v[29:30]
	v_add_f64 v[13:14], v[13:14], v[31:32]
	s_or_b64 exec, exec, s[14:15]
	v_cmp_gt_u32_e64 s[10:11], 48, v1
	s_and_saveexec_b64 s[14:15], s[10:11]
	s_cbranch_execz .LBB96_389
.LBB96_567:
	v_lshlrev_b32_e32 v29, 4, v27
	v_sub_u32_e32 v29, v28, v29
	v_lshl_add_u32 v33, v26, 4, v29
	ds_read_b128 v[29:32], v28 offset:8480
	ds_read_b128 v[33:36], v33 offset:9600
	s_waitcnt lgkmcnt(0)
	v_mul_f64 v[37:38], v[31:32], v[35:36]
	v_mul_f64 v[35:36], v[29:30], v[35:36]
	v_fma_f64 v[29:30], v[29:30], v[33:34], -v[37:38]
	v_fma_f64 v[31:32], v[31:32], v[33:34], v[35:36]
	v_add_f64 v[11:12], v[11:12], v[29:30]
	v_add_f64 v[13:14], v[13:14], v[31:32]
	s_or_b64 exec, exec, s[14:15]
	v_cmp_gt_u32_e64 s[10:11], 40, v1
	s_and_saveexec_b64 s[14:15], s[10:11]
	s_cbranch_execz .LBB96_390
.LBB96_568:
	v_lshlrev_b32_e32 v29, 4, v27
	v_sub_u32_e32 v29, v28, v29
	v_lshl_add_u32 v33, v26, 4, v29
	ds_read_b128 v[29:32], v28 offset:8496
	ds_read_b128 v[33:36], v33 offset:10112
	s_waitcnt lgkmcnt(0)
	v_mul_f64 v[37:38], v[31:32], v[35:36]
	v_mul_f64 v[35:36], v[29:30], v[35:36]
	v_fma_f64 v[29:30], v[29:30], v[33:34], -v[37:38]
	v_fma_f64 v[31:32], v[31:32], v[33:34], v[35:36]
	v_add_f64 v[11:12], v[11:12], v[29:30]
	v_add_f64 v[13:14], v[13:14], v[31:32]
	s_or_b64 exec, exec, s[14:15]
	v_cmp_gt_u32_e64 s[10:11], 32, v1
	s_and_saveexec_b64 s[14:15], s[10:11]
	s_cbranch_execz .LBB96_391
.LBB96_569:
	ds_read_b128 v[29:32], v28 offset:8512
	ds_read_b128 v[33:36], v23 offset:10624
	s_waitcnt lgkmcnt(0)
	v_mul_f64 v[37:38], v[31:32], v[35:36]
	v_mul_f64 v[35:36], v[29:30], v[35:36]
	v_fma_f64 v[29:30], v[29:30], v[33:34], -v[37:38]
	v_fma_f64 v[31:32], v[31:32], v[33:34], v[35:36]
	v_add_f64 v[11:12], v[11:12], v[29:30]
	v_add_f64 v[13:14], v[13:14], v[31:32]
	s_or_b64 exec, exec, s[14:15]
	v_cmp_gt_u32_e64 s[10:11], 24, v1
	s_and_saveexec_b64 s[14:15], s[10:11]
	s_cbranch_execz .LBB96_392
.LBB96_570:
	v_lshlrev_b32_e32 v27, 4, v27
	v_sub_u32_e32 v27, v28, v27
	v_lshl_add_u32 v26, v26, 4, v27
	ds_read_b128 v[29:32], v28 offset:8528
	ds_read_b128 v[33:36], v26 offset:11136
	s_waitcnt lgkmcnt(0)
	v_mul_f64 v[26:27], v[31:32], v[35:36]
	v_mul_f64 v[35:36], v[29:30], v[35:36]
	v_fma_f64 v[26:27], v[29:30], v[33:34], -v[26:27]
	v_fma_f64 v[29:30], v[31:32], v[33:34], v[35:36]
	v_add_f64 v[11:12], v[11:12], v[26:27]
	v_add_f64 v[13:14], v[13:14], v[29:30]
	s_or_b64 exec, exec, s[14:15]
	v_cmp_gt_u32_e64 s[10:11], 16, v1
	s_and_saveexec_b64 s[14:15], s[10:11]
	s_cbranch_execz .LBB96_393
.LBB96_571:
	ds_read_b128 v[26:29], v28 offset:8544
	ds_read_b128 v[30:33], v23 offset:11648
	s_waitcnt lgkmcnt(0)
	v_mul_f64 v[34:35], v[28:29], v[32:33]
	v_mul_f64 v[32:33], v[26:27], v[32:33]
	v_fma_f64 v[26:27], v[26:27], v[30:31], -v[34:35]
	v_fma_f64 v[28:29], v[28:29], v[30:31], v[32:33]
	v_add_f64 v[11:12], v[11:12], v[26:27]
	v_add_f64 v[13:14], v[13:14], v[28:29]
	s_or_b64 exec, exec, s[14:15]
	v_cmp_gt_u32_e64 s[10:11], 8, v1
	s_and_saveexec_b64 s[14:15], s[10:11]
	s_cbranch_execnz .LBB96_394
	s_branch .LBB96_395
.LBB96_572:
	v_lshlrev_b32_e32 v22, 4, v22
	v_sub_u32_e32 v22, v23, v22
	v_lshl_add_u32 v21, v21, 4, v22
	ds_read_b128 v[24:27], v23 offset:12688
	ds_read_b128 v[28:31], v21 offset:13248
	s_waitcnt lgkmcnt(0)
	v_mul_f64 v[21:22], v[26:27], v[30:31]
	v_mul_f64 v[30:31], v[24:25], v[30:31]
	v_fma_f64 v[21:22], v[24:25], v[28:29], -v[21:22]
	v_fma_f64 v[24:25], v[26:27], v[28:29], v[30:31]
	v_add_f64 v[11:12], v[11:12], v[21:22]
	v_add_f64 v[13:14], v[13:14], v[24:25]
	s_or_b64 exec, exec, s[12:13]
	v_cmp_gt_u32_e64 s[8:9], 8, v1
	s_and_saveexec_b64 s[12:13], s[8:9]
	s_cbranch_execz .LBB96_451
.LBB96_573:
	ds_read_b128 v[21:24], v23 offset:12704
	ds_read_b128 v[25:28], v18 offset:13760
	s_waitcnt lgkmcnt(0)
	v_mul_f64 v[29:30], v[23:24], v[27:28]
	v_mul_f64 v[27:28], v[21:22], v[27:28]
	v_fma_f64 v[21:22], v[21:22], v[25:26], -v[29:30]
	v_fma_f64 v[23:24], v[23:24], v[25:26], v[27:28]
	v_add_f64 v[11:12], v[11:12], v[21:22]
	v_add_f64 v[13:14], v[13:14], v[23:24]
	s_or_b64 exec, exec, s[12:13]
	v_cmp_gt_u32_e64 s[8:9], 4, v1
	s_and_saveexec_b64 s[12:13], s[8:9]
	s_cbranch_execnz .LBB96_452
	s_branch .LBB96_453
	.section	.rodata,"a",@progbits
	.p2align	6, 0x0
	.amdhsa_kernel _ZL19rocblas_trsv_deviceILi32ELi16ELb1ELb1ELb1ELb0E19rocblas_complex_numIdES1_PKS1_PS1_EviT7_lllT6_T8_lllPii
		.amdhsa_group_segment_fixed_size 25104
		.amdhsa_private_segment_fixed_size 0
		.amdhsa_kernarg_size 360
		.amdhsa_user_sgpr_count 6
		.amdhsa_user_sgpr_private_segment_buffer 1
		.amdhsa_user_sgpr_dispatch_ptr 0
		.amdhsa_user_sgpr_queue_ptr 0
		.amdhsa_user_sgpr_kernarg_segment_ptr 1
		.amdhsa_user_sgpr_dispatch_id 0
		.amdhsa_user_sgpr_flat_scratch_init 0
		.amdhsa_user_sgpr_private_segment_size 0
		.amdhsa_uses_dynamic_stack 0
		.amdhsa_system_sgpr_private_segment_wavefront_offset 0
		.amdhsa_system_sgpr_workgroup_id_x 1
		.amdhsa_system_sgpr_workgroup_id_y 0
		.amdhsa_system_sgpr_workgroup_id_z 1
		.amdhsa_system_sgpr_workgroup_info 0
		.amdhsa_system_vgpr_workitem_id 1
		.amdhsa_next_free_vgpr 49
		.amdhsa_next_free_sgpr 98
		.amdhsa_reserve_vcc 1
		.amdhsa_reserve_flat_scratch 0
		.amdhsa_float_round_mode_32 0
		.amdhsa_float_round_mode_16_64 0
		.amdhsa_float_denorm_mode_32 3
		.amdhsa_float_denorm_mode_16_64 3
		.amdhsa_dx10_clamp 1
		.amdhsa_ieee_mode 1
		.amdhsa_fp16_overflow 0
		.amdhsa_exception_fp_ieee_invalid_op 0
		.amdhsa_exception_fp_denorm_src 0
		.amdhsa_exception_fp_ieee_div_zero 0
		.amdhsa_exception_fp_ieee_overflow 0
		.amdhsa_exception_fp_ieee_underflow 0
		.amdhsa_exception_fp_ieee_inexact 0
		.amdhsa_exception_int_div_zero 0
	.end_amdhsa_kernel
	.section	.text._ZL19rocblas_trsv_deviceILi32ELi16ELb1ELb1ELb1ELb0E19rocblas_complex_numIdES1_PKS1_PS1_EviT7_lllT6_T8_lllPii,"axG",@progbits,_ZL19rocblas_trsv_deviceILi32ELi16ELb1ELb1ELb1ELb0E19rocblas_complex_numIdES1_PKS1_PS1_EviT7_lllT6_T8_lllPii,comdat
.Lfunc_end96:
	.size	_ZL19rocblas_trsv_deviceILi32ELi16ELb1ELb1ELb1ELb0E19rocblas_complex_numIdES1_PKS1_PS1_EviT7_lllT6_T8_lllPii, .Lfunc_end96-_ZL19rocblas_trsv_deviceILi32ELi16ELb1ELb1ELb1ELb0E19rocblas_complex_numIdES1_PKS1_PS1_EviT7_lllT6_T8_lllPii
                                        ; -- End function
	.set _ZL19rocblas_trsv_deviceILi32ELi16ELb1ELb1ELb1ELb0E19rocblas_complex_numIdES1_PKS1_PS1_EviT7_lllT6_T8_lllPii.num_vgpr, 44
	.set _ZL19rocblas_trsv_deviceILi32ELi16ELb1ELb1ELb1ELb0E19rocblas_complex_numIdES1_PKS1_PS1_EviT7_lllT6_T8_lllPii.num_agpr, 0
	.set _ZL19rocblas_trsv_deviceILi32ELi16ELb1ELb1ELb1ELb0E19rocblas_complex_numIdES1_PKS1_PS1_EviT7_lllT6_T8_lllPii.numbered_sgpr, 96
	.set _ZL19rocblas_trsv_deviceILi32ELi16ELb1ELb1ELb1ELb0E19rocblas_complex_numIdES1_PKS1_PS1_EviT7_lllT6_T8_lllPii.num_named_barrier, 0
	.set _ZL19rocblas_trsv_deviceILi32ELi16ELb1ELb1ELb1ELb0E19rocblas_complex_numIdES1_PKS1_PS1_EviT7_lllT6_T8_lllPii.private_seg_size, 0
	.set _ZL19rocblas_trsv_deviceILi32ELi16ELb1ELb1ELb1ELb0E19rocblas_complex_numIdES1_PKS1_PS1_EviT7_lllT6_T8_lllPii.uses_vcc, 1
	.set _ZL19rocblas_trsv_deviceILi32ELi16ELb1ELb1ELb1ELb0E19rocblas_complex_numIdES1_PKS1_PS1_EviT7_lllT6_T8_lllPii.uses_flat_scratch, 0
	.set _ZL19rocblas_trsv_deviceILi32ELi16ELb1ELb1ELb1ELb0E19rocblas_complex_numIdES1_PKS1_PS1_EviT7_lllT6_T8_lllPii.has_dyn_sized_stack, 0
	.set _ZL19rocblas_trsv_deviceILi32ELi16ELb1ELb1ELb1ELb0E19rocblas_complex_numIdES1_PKS1_PS1_EviT7_lllT6_T8_lllPii.has_recursion, 0
	.set _ZL19rocblas_trsv_deviceILi32ELi16ELb1ELb1ELb1ELb0E19rocblas_complex_numIdES1_PKS1_PS1_EviT7_lllT6_T8_lllPii.has_indirect_call, 0
	.section	.AMDGPU.csdata,"",@progbits
; Kernel info:
; codeLenInByte = 27764
; TotalNumSgprs: 100
; NumVgprs: 44
; ScratchSize: 0
; MemoryBound: 1
; FloatMode: 240
; IeeeMode: 1
; LDSByteSize: 25104 bytes/workgroup (compile time only)
; SGPRBlocks: 12
; VGPRBlocks: 12
; NumSGPRsForWavesPerEU: 102
; NumVGPRsForWavesPerEU: 49
; Occupancy: 4
; WaveLimiterHint : 0
; COMPUTE_PGM_RSRC2:SCRATCH_EN: 0
; COMPUTE_PGM_RSRC2:USER_SGPR: 6
; COMPUTE_PGM_RSRC2:TRAP_HANDLER: 0
; COMPUTE_PGM_RSRC2:TGID_X_EN: 1
; COMPUTE_PGM_RSRC2:TGID_Y_EN: 0
; COMPUTE_PGM_RSRC2:TGID_Z_EN: 1
; COMPUTE_PGM_RSRC2:TIDIG_COMP_CNT: 1
	.section	.text._ZL19rocblas_trsv_deviceILi64ELi16ELb0ELb0ELb0ELb1EfPKfPKS1_PKPfEviT7_lllT6_T8_lllPii,"axG",@progbits,_ZL19rocblas_trsv_deviceILi64ELi16ELb0ELb0ELb0ELb1EfPKfPKS1_PKPfEviT7_lllT6_T8_lllPii,comdat
	.globl	_ZL19rocblas_trsv_deviceILi64ELi16ELb0ELb0ELb0ELb1EfPKfPKS1_PKPfEviT7_lllT6_T8_lllPii ; -- Begin function _ZL19rocblas_trsv_deviceILi64ELi16ELb0ELb0ELb0ELb1EfPKfPKS1_PKPfEviT7_lllT6_T8_lllPii
	.p2align	8
	.type	_ZL19rocblas_trsv_deviceILi64ELi16ELb0ELb0ELb0ELb1EfPKfPKS1_PKPfEviT7_lllT6_T8_lllPii,@function
_ZL19rocblas_trsv_deviceILi64ELi16ELb0ELb0ELb0ELb1EfPKfPKS1_PKPfEviT7_lllT6_T8_lllPii: ; @_ZL19rocblas_trsv_deviceILi64ELi16ELb0ELb0ELb0ELb1EfPKfPKS1_PKPfEviT7_lllT6_T8_lllPii
; %bb.0:
	s_load_dwordx4 s[0:3], s[4:5], 0x8
	s_mov_b32 s24, s7
	s_mov_b32 s25, 0
	s_lshl_b64 s[8:9], s[24:25], 3
	s_waitcnt lgkmcnt(0)
	s_add_u32 s0, s0, s8
	s_addc_u32 s1, s1, s9
	s_load_dwordx2 s[10:11], s[0:1], 0x0
	s_load_dword s26, s[4:5], 0x0
	s_load_dwordx8 s[16:23], s[4:5], 0x28
	s_load_dwordx2 s[28:29], s[4:5], 0x18
	s_lshl_b64 s[0:1], s[2:3], 2
	s_waitcnt lgkmcnt(0)
	s_add_u32 s83, s10, s0
	s_addc_u32 s84, s11, s1
	s_add_u32 s0, s18, s8
	s_load_dword s7, s[4:5], 0x60
	s_addc_u32 s1, s19, s9
	s_load_dwordx2 s[30:31], s[0:1], 0x0
	s_load_dword s42, s[16:17], 0x0
	s_load_dword s85, s[4:5], 0x6c
	s_waitcnt lgkmcnt(0)
	s_add_i32 s7, s7, -1
	s_sub_i32 s33, s7, s6
	s_cmp_eq_u32 s6, 0
	s_cbranch_scc1 .LBB97_10
; %bb.1:
	s_lshl_b32 s2, s33, 6
	v_add3_u32 v8, v1, s2, 64
	v_ashrrev_i32_e32 v2, 31, v8
	v_mul_lo_u32 v6, s28, v2
	v_mul_lo_u32 v7, s29, v8
	v_mad_u64_u32 v[2:3], s[0:1], s28, v8, 0
	v_add_u32_e32 v4, s2, v0
	v_ashrrev_i32_e32 v5, 31, v4
	v_add3_u32 v3, v3, v6, v7
	v_lshlrev_b64 v[2:3], 2, v[2:3]
	v_mov_b32_e32 v6, s84
	v_add_co_u32_e64 v7, s[0:1], s83, v2
	v_addc_co_u32_e64 v6, s[0:1], v6, v3, s[0:1]
	v_lshlrev_b64 v[2:3], 2, v[4:5]
	v_cmp_gt_i32_e32 vcc, s26, v4
	v_add_co_u32_e64 v2, s[0:1], v7, v2
	v_addc_co_u32_e64 v3, s[0:1], v6, v3, s[0:1]
	v_cmp_gt_i32_e64 s[0:1], s26, v8
	s_and_b64 s[2:3], vcc, s[0:1]
	v_mov_b32_e32 v5, 0
	v_mov_b32_e32 v4, 0
	s_barrier
	s_and_saveexec_b64 s[0:1], s[2:3]
	s_cbranch_execz .LBB97_3
; %bb.2:
	flat_load_dword v4, v[2:3]
.LBB97_3:
	s_or_b64 exec, exec, s[0:1]
	v_add_u32_e32 v6, 16, v8
	v_cmp_gt_i32_e64 s[0:1], s26, v6
	s_and_b64 s[0:1], vcc, s[0:1]
	s_waitcnt vmcnt(0) lgkmcnt(0)
	s_barrier
	s_and_saveexec_b64 s[2:3], s[0:1]
	s_cbranch_execz .LBB97_5
; %bb.4:
	s_lshl_b64 s[0:1], s[28:29], 6
	v_mov_b32_e32 v6, s1
	v_add_co_u32_e64 v5, s[0:1], s0, v2
	v_addc_co_u32_e64 v6, s[0:1], v3, v6, s[0:1]
	flat_load_dword v5, v[5:6]
.LBB97_5:
	s_or_b64 exec, exec, s[2:3]
	v_add_u32_e32 v6, 32, v8
	v_cmp_gt_i32_e64 s[0:1], s26, v6
	s_and_b64 s[0:1], vcc, s[0:1]
	v_mov_b32_e32 v6, 0
	v_mov_b32_e32 v7, 0
	s_waitcnt vmcnt(0) lgkmcnt(0)
	s_barrier
	s_and_saveexec_b64 s[2:3], s[0:1]
	s_cbranch_execz .LBB97_7
; %bb.6:
	s_lshl_b64 s[0:1], s[28:29], 7
	v_mov_b32_e32 v7, s1
	v_add_co_u32_e64 v9, s[0:1], s0, v2
	v_addc_co_u32_e64 v10, s[0:1], v3, v7, s[0:1]
	flat_load_dword v7, v[9:10]
.LBB97_7:
	s_or_b64 exec, exec, s[2:3]
	v_add_u32_e32 v8, 48, v8
	v_cmp_gt_i32_e64 s[0:1], s26, v8
	s_and_b64 s[2:3], vcc, s[0:1]
	s_waitcnt vmcnt(0) lgkmcnt(0)
	s_barrier
	s_and_saveexec_b64 s[0:1], s[2:3]
	s_cbranch_execz .LBB97_9
; %bb.8:
	v_mov_b32_e32 v6, 0xc0
	v_mad_u64_u32 v[2:3], s[2:3], s28, v6, v[2:3]
	s_mul_i32 s2, s29, 0xc0
	v_add_u32_e32 v3, s2, v3
	flat_load_dword v6, v[2:3]
.LBB97_9:
	s_or_b64 exec, exec, s[0:1]
	s_branch .LBB97_11
.LBB97_10:
                                        ; implicit-def: $vgpr6
                                        ; implicit-def: $vgpr7
                                        ; implicit-def: $vgpr5
                                        ; implicit-def: $vgpr4
.LBB97_11:
	s_ashr_i32 s27, s26, 31
	s_lshr_b32 s0, s27, 26
	s_add_i32 s0, s26, s0
	s_andn2_b32 s0, s0, 63
	s_sub_i32 s82, s26, s0
	s_add_i32 s0, s26, -1
	s_ashr_i32 s1, s0, 31
	s_lshr_b32 s1, s1, 26
	s_add_i32 s0, s0, s1
	s_ashr_i32 s0, s0, 6
	s_cmp_eq_u32 s0, s33
	s_cselect_b64 s[0:1], -1, 0
	s_cmp_lg_u32 s82, 0
	s_cselect_b64 s[2:3], -1, 0
	s_and_b64 s[18:19], s[2:3], s[0:1]
	s_mov_b64 s[2:3], -1
	s_and_b64 vcc, exec, s[18:19]
	v_cmp_le_u32_e64 s[0:1], v1, v0
	s_cbranch_vccnz .LBB97_27
; %bb.12:
	s_add_u32 s2, s28, 1
	s_addc_u32 s3, s29, 0
	s_lshl_b32 s8, s33, 6
	s_ashr_i32 s9, s8, 31
	s_mul_hi_u32 s10, s2, s8
	s_mul_i32 s9, s2, s9
	s_add_i32 s9, s10, s9
	s_mul_i32 s3, s3, s8
	s_add_i32 s3, s9, s3
	s_mul_i32 s2, s2, s8
	s_lshl_b64 s[2:3], s[2:3], 2
	s_add_u32 s2, s83, s2
	s_addc_u32 s3, s84, s3
	v_lshlrev_b32_e32 v8, 2, v0
	v_mov_b32_e32 v3, s3
	v_add_co_u32_e32 v2, vcc, s2, v8
	v_mov_b32_e32 v9, 0
	v_addc_co_u32_e32 v3, vcc, 0, v3, vcc
	s_mov_b64 s[2:3], 0
	s_and_saveexec_b64 s[8:9], s[0:1]
	s_xor_b64 s[0:1], exec, s[8:9]
	s_cbranch_execnz .LBB97_1092
; %bb.13:
	s_andn2_saveexec_b64 s[0:1], s[0:1]
	s_cbranch_execnz .LBB97_1093
.LBB97_14:
	s_or_b64 exec, exec, s[0:1]
	s_and_saveexec_b64 s[0:1], s[2:3]
.LBB97_15:
	v_lshl_add_u32 v10, v1, 8, v8
	ds_write_b32 v10, v9
.LBB97_16:
	s_or_b64 exec, exec, s[0:1]
	v_add_u32_e32 v9, 16, v1
	v_cmp_le_u32_e32 vcc, v9, v0
	s_mov_b64 s[0:1], 0
	s_and_saveexec_b64 s[2:3], vcc
	s_xor_b64 s[2:3], exec, s[2:3]
	s_cbranch_execnz .LBB97_1094
; %bb.17:
	s_or_saveexec_b64 s[2:3], s[2:3]
	v_mov_b32_e32 v10, 0
	s_xor_b64 exec, exec, s[2:3]
	s_cbranch_execnz .LBB97_1095
.LBB97_18:
	s_or_b64 exec, exec, s[2:3]
	s_and_saveexec_b64 s[2:3], s[0:1]
.LBB97_19:
	v_lshl_add_u32 v9, v9, 8, v8
	ds_write_b32 v9, v10
.LBB97_20:
	s_or_b64 exec, exec, s[2:3]
	v_add_u32_e32 v9, 32, v1
	v_cmp_le_u32_e32 vcc, v9, v0
	s_mov_b64 s[0:1], 0
	s_and_saveexec_b64 s[2:3], vcc
	s_xor_b64 s[2:3], exec, s[2:3]
	s_cbranch_execnz .LBB97_1096
; %bb.21:
	s_or_saveexec_b64 s[2:3], s[2:3]
	v_mov_b32_e32 v10, 0
	s_xor_b64 exec, exec, s[2:3]
	s_cbranch_execnz .LBB97_1097
.LBB97_22:
	s_or_b64 exec, exec, s[2:3]
	s_and_saveexec_b64 s[2:3], s[0:1]
.LBB97_23:
	v_lshl_add_u32 v8, v9, 8, v8
	ds_write_b32 v8, v10
.LBB97_24:
	s_or_b64 exec, exec, s[2:3]
	v_add_u32_e32 v8, 48, v1
	v_cmp_le_u32_e32 vcc, v8, v0
	s_mov_b64 s[0:1], -1
	s_mov_b64 s[2:3], 0
	s_mov_b64 s[8:9], 0
	s_and_saveexec_b64 s[10:11], vcc
	s_xor_b64 s[10:11], exec, s[10:11]
; %bb.25:
	v_or_b32_e32 v9, v8, v0
	v_cmp_gt_u32_e32 vcc, 64, v9
	s_and_b64 s[8:9], vcc, exec
	s_xor_b64 s[0:1], exec, -1
; %bb.26:
	s_or_b64 exec, exec, s[10:11]
	v_lshl_add_u32 v9, v8, 6, v0
	s_and_b64 vcc, exec, s[2:3]
	s_cbranch_vccnz .LBB97_28
	s_branch .LBB97_43
.LBB97_27:
	s_mov_b64 s[0:1], 0
	s_mov_b64 s[8:9], 0
                                        ; implicit-def: $vgpr9
                                        ; implicit-def: $vgpr2_vgpr3
                                        ; implicit-def: $vgpr8
	s_and_b64 vcc, exec, s[2:3]
	s_cbranch_vccz .LBB97_43
.LBB97_28:
	s_add_u32 s0, s28, 1
	s_addc_u32 s1, s29, 0
	s_lshl_b32 s2, s33, 6
	s_ashr_i32 s3, s2, 31
	s_mul_hi_u32 s10, s0, s2
	s_mul_i32 s3, s0, s3
	s_add_i32 s3, s10, s3
	s_mul_i32 s1, s1, s2
	s_add_i32 s1, s3, s1
	s_mul_i32 s0, s0, s2
	s_lshl_b64 s[0:1], s[0:1], 2
	s_add_u32 s0, s83, s0
	s_addc_u32 s1, s84, s1
	v_lshlrev_b32_e32 v8, 2, v0
	v_mov_b32_e32 v3, s1
	v_add_co_u32_e64 v2, s[0:1], s0, v8
	v_addc_co_u32_e64 v3, s[0:1], 0, v3, s[0:1]
	v_max_i32_e32 v10, v1, v0
	v_cmp_le_u32_e64 s[0:1], v1, v0
	v_cmp_le_i32_e64 s[2:3], s82, v10
	v_cmp_gt_i32_e32 vcc, s82, v0
	v_mov_b32_e32 v9, 0
	s_or_b64 s[0:1], s[2:3], s[0:1]
	s_mov_b64 s[2:3], 0
	s_and_saveexec_b64 s[10:11], s[0:1]
	s_xor_b64 s[10:11], exec, s[10:11]
	s_cbranch_execnz .LBB97_1098
; %bb.29:
	s_andn2_saveexec_b64 s[10:11], s[10:11]
	s_cbranch_execnz .LBB97_1099
.LBB97_30:
	s_or_b64 exec, exec, s[10:11]
	s_and_saveexec_b64 s[0:1], s[2:3]
.LBB97_31:
	v_lshl_add_u32 v10, v1, 8, v8
	ds_write_b32 v10, v9
.LBB97_32:
	s_or_b64 exec, exec, s[0:1]
	v_add_u32_e32 v9, 16, v1
	v_cmp_gt_u32_e64 s[0:1], v9, v0
	v_cmp_gt_i32_e64 s[2:3], s82, v9
	s_and_b64 s[0:1], s[0:1], s[2:3]
	s_and_b64 s[0:1], s[0:1], vcc
	s_xor_b64 s[0:1], s[0:1], -1
	s_mov_b64 s[2:3], 0
	s_and_saveexec_b64 s[10:11], s[0:1]
	s_xor_b64 s[10:11], exec, s[10:11]
	s_cbranch_execnz .LBB97_1100
; %bb.33:
	s_or_saveexec_b64 s[10:11], s[10:11]
	v_mov_b32_e32 v10, 0
	s_xor_b64 exec, exec, s[10:11]
	s_cbranch_execnz .LBB97_1101
.LBB97_34:
	s_or_b64 exec, exec, s[10:11]
	s_and_saveexec_b64 s[0:1], s[2:3]
.LBB97_35:
	v_lshl_add_u32 v9, v9, 8, v8
	ds_write_b32 v9, v10
.LBB97_36:
	s_or_b64 exec, exec, s[0:1]
	v_add_u32_e32 v9, 32, v1
	v_cmp_gt_u32_e64 s[0:1], v9, v0
	v_cmp_gt_i32_e64 s[2:3], s82, v9
	s_and_b64 s[0:1], s[0:1], s[2:3]
	s_and_b64 s[0:1], s[0:1], vcc
	s_xor_b64 s[0:1], s[0:1], -1
	s_mov_b64 s[2:3], 0
	s_and_saveexec_b64 s[10:11], s[0:1]
	s_xor_b64 s[10:11], exec, s[10:11]
	s_cbranch_execnz .LBB97_1102
; %bb.37:
	s_or_saveexec_b64 s[10:11], s[10:11]
	v_mov_b32_e32 v10, 0
	s_xor_b64 exec, exec, s[10:11]
	s_cbranch_execnz .LBB97_1103
.LBB97_38:
	s_or_b64 exec, exec, s[10:11]
	s_and_saveexec_b64 s[0:1], s[2:3]
.LBB97_39:
	v_lshl_add_u32 v8, v9, 8, v8
	ds_write_b32 v8, v10
.LBB97_40:
	s_or_b64 exec, exec, s[0:1]
	v_add_u32_e32 v8, 48, v1
	v_cmp_gt_u32_e64 s[0:1], v8, v0
	v_cmp_gt_i32_e64 s[2:3], s82, v8
	s_and_b64 s[0:1], s[0:1], s[2:3]
	s_and_b64 s[2:3], s[0:1], vcc
	s_mov_b64 s[0:1], -1
	s_xor_b64 s[10:11], s[2:3], -1
	s_and_saveexec_b64 s[2:3], s[10:11]
; %bb.41:
	v_or_b32_e32 v9, v8, v0
	v_cmp_gt_u32_e32 vcc, 64, v9
	s_andn2_b64 s[0:1], s[8:9], exec
	s_and_b64 s[8:9], vcc, exec
	s_or_b64 s[8:9], s[0:1], s[8:9]
	s_xor_b64 s[0:1], exec, -1
; %bb.42:
	s_or_b64 exec, exec, s[2:3]
	v_lshl_add_u32 v9, v8, 6, v0
.LBB97_43:
	v_mov_b32_e32 v10, 0
	s_and_saveexec_b64 s[2:3], s[0:1]
	s_cbranch_execnz .LBB97_1065
; %bb.44:
	s_or_b64 exec, exec, s[2:3]
	s_and_saveexec_b64 s[0:1], s[8:9]
.LBB97_45:
	v_lshlrev_b32_e32 v2, 2, v9
	ds_write_b32 v2, v10
.LBB97_46:
	s_or_b64 exec, exec, s[0:1]
	s_cmp_lt_i32 s6, 5
	s_cselect_b64 s[0:1], -1, 0
	s_or_b64 s[34:35], s[0:1], s[18:19]
	s_and_b64 vcc, exec, s[34:35]
	s_waitcnt vmcnt(0) lgkmcnt(0)
	s_barrier
	s_cbranch_vccnz .LBB97_1022
; %bb.47:
	v_or_b32_e32 v2, v0, v1
	v_cmp_eq_u32_e32 vcc, 0, v2
	s_and_saveexec_b64 s[0:1], vcc
; %bb.48:
	s_movk_i32 s2, 0x3c00
	v_mov_b32_e32 v2, 1.0
	v_add_u32_e64 v3, s2, 0
	ds_write2_b32 v3, v2, v2 offset0:190 offset1:255
; %bb.49:
	s_or_b64 exec, exec, s[0:1]
	v_lshlrev_b32_e32 v3, 6, v1
	v_add_u32_e32 v9, v3, v0
	v_and_b32_e32 v8, v3, v0
	v_xor_b32_e32 v3, v3, v0
	v_lshrrev_b16_e32 v3, 1, v3
	v_add_u16_e32 v8, v8, v3
	v_and_b32_e32 v2, 1, v0
	v_sub_u32_e32 v3, 1, v8
	v_cmp_lt_u32_e64 s[2:3], 3, v9
	v_cmp_gt_u32_e64 s[0:1], 4, v9
	v_mov_b32_e32 v10, 0
	s_waitcnt lgkmcnt(0)
	s_barrier
	buffer_wbinvl1_vol
	s_and_saveexec_b64 s[10:11], s[0:1]
	s_cbranch_execz .LBB97_53
; %bb.50:
	v_lshlrev_b32_e32 v10, 8, v3
	v_lshlrev_b32_e32 v11, 2, v2
	ds_read_b32 v12, v11 offset:16112
	ds_read_b32 v10, v10 offset:16120
	v_mov_b32_e32 v11, 0
	v_cmp_gt_u32_e64 s[8:9], 2, v9
	s_waitcnt lgkmcnt(0)
	v_fma_f32 v10, v12, v10, 0
	s_and_saveexec_b64 s[12:13], s[8:9]
	s_cbranch_execz .LBB97_52
; %bb.51:
	v_lshlrev_b32_e32 v12, 2, v0
	ds_read_b32 v12, v12 offset:16368
	ds_read_b32 v11, v11 offset:16380
	s_waitcnt lgkmcnt(0)
	v_fmac_f32_e32 v10, v12, v11
.LBB97_52:
	s_or_b64 exec, exec, s[12:13]
.LBB97_53:
	s_or_b64 exec, exec, s[10:11]
	v_mov_b32_e32 v11, 0x4000
	v_cmp_ne_u32_e64 s[8:9], 0, v2
	s_xor_b64 s[10:11], s[2:3], -1
	v_lshl_add_u32 v8, v8, 2, v11
	s_and_b64 s[38:39], s[8:9], s[10:11]
	s_and_saveexec_b64 s[2:3], s[38:39]
; %bb.54:
	v_xor_b32_e32 v11, 0x80000000, v10
	ds_write_b32 v8, v11
; %bb.55:
	s_or_b64 exec, exec, s[2:3]
	v_cmp_eq_u32_e64 s[2:3], 0, v2
	s_and_b64 s[36:37], s[2:3], s[10:11]
	s_waitcnt lgkmcnt(0)
	s_barrier
	s_and_saveexec_b64 s[2:3], s[36:37]
	s_cbranch_execz .LBB97_57
; %bb.56:
	v_mov_b32_e32 v11, 0
	ds_read_b32 v11, v11 offset:15856
	ds_read_b32 v12, v8
	s_waitcnt lgkmcnt(0)
	v_fma_f32 v10, -v11, v12, v10
.LBB97_57:
	s_or_b64 exec, exec, s[2:3]
	s_barrier
	s_and_saveexec_b64 s[2:3], s[36:37]
; %bb.58:
	v_xor_b32_e32 v11, 0x80000000, v10
	ds_write_b32 v8, v11
; %bb.59:
	s_or_b64 exec, exec, s[2:3]
	s_waitcnt lgkmcnt(0)
	s_barrier
	s_barrier
	s_and_saveexec_b64 s[2:3], s[0:1]
; %bb.60:
	v_lshlrev_b32_e32 v11, 2, v2
	v_lshl_or_b32 v11, v3, 8, v11
	ds_write_b32 v11, v10 offset:16112
; %bb.61:
	s_or_b64 exec, exec, s[2:3]
	s_waitcnt lgkmcnt(0)
	s_barrier
	s_barrier
	s_and_saveexec_b64 s[2:3], vcc
; %bb.62:
	s_movk_i32 s8, 0x3c00
	v_mov_b32_e32 v10, 1.0
	v_add_u32_e64 v11, s8, 0
	ds_write2_b32 v11, v10, v10 offset0:60 offset1:125
; %bb.63:
	s_or_b64 exec, exec, s[2:3]
	v_lshrrev_b32_e32 v12, 2, v9
	v_and_b32_e32 v10, 3, v0
	v_sub_u32_e32 v11, 3, v12
	v_cmp_lt_u32_e64 s[8:9], 15, v9
	v_cmp_gt_u32_e64 s[2:3], 16, v9
	v_mov_b32_e32 v13, 0
	s_waitcnt lgkmcnt(0)
	s_barrier
	buffer_wbinvl1_vol
	s_and_saveexec_b64 s[12:13], s[2:3]
	s_cbranch_execz .LBB97_69
; %bb.64:
	v_lshlrev_b32_e32 v15, 2, v10
	v_lshlrev_b32_e32 v14, 8, v11
	ds_read_b32 v13, v15 offset:15584
	ds_read_b32 v16, v14 offset:15600
	v_cmp_gt_u32_e64 s[10:11], 12, v9
	s_waitcnt lgkmcnt(0)
	v_fma_f32 v13, v13, v16, 0
	s_and_saveexec_b64 s[14:15], s[10:11]
	s_cbranch_execnz .LBB97_1108
; %bb.65:
	s_or_b64 exec, exec, s[14:15]
	v_cmp_gt_u32_e64 s[10:11], 8, v9
	s_and_saveexec_b64 s[14:15], s[10:11]
	s_cbranch_execnz .LBB97_1109
.LBB97_66:
	s_or_b64 exec, exec, s[14:15]
	v_cmp_gt_u32_e64 s[10:11], 4, v9
	s_and_saveexec_b64 s[14:15], s[10:11]
	s_cbranch_execz .LBB97_68
.LBB97_67:
	v_lshlrev_b32_e32 v14, 2, v0
	v_mov_b32_e32 v15, 0
	ds_read_b32 v14, v14 offset:16352
	ds_read_b32 v15, v15 offset:16380
	s_waitcnt lgkmcnt(0)
	v_fmac_f32_e32 v13, v14, v15
.LBB97_68:
	s_or_b64 exec, exec, s[14:15]
.LBB97_69:
                                        ; implicit-def: $vgpr27 : SGPR spill to VGPR lane
	v_writelane_b32 v27, s42, 0
	s_or_b64 exec, exec, s[12:13]
	v_mov_b32_e32 v14, 0x4000
	v_cmp_eq_u32_e64 s[10:11], 3, v10
	s_xor_b64 s[12:13], s[8:9], -1
	v_lshl_add_u32 v12, v12, 2, v14
	s_and_b64 s[42:43], s[10:11], s[12:13]
	s_and_saveexec_b64 s[8:9], s[42:43]
; %bb.70:
	v_xor_b32_e32 v14, 0x80000000, v13
	ds_write_b32 v12, v14
; %bb.71:
	s_or_b64 exec, exec, s[8:9]
	v_cmp_ne_u32_e64 s[8:9], 3, v10
	s_and_b64 s[44:45], s[8:9], s[12:13]
	s_waitcnt lgkmcnt(0)
	s_barrier
	s_and_saveexec_b64 s[8:9], s[44:45]
	s_cbranch_execz .LBB97_73
; %bb.72:
	v_lshlrev_b32_e32 v14, 2, v10
	ds_read_b32 v14, v14 offset:15328
	ds_read_b32 v15, v12
	s_waitcnt lgkmcnt(0)
	v_fma_f32 v13, -v14, v15, v13
.LBB97_73:
	s_or_b64 exec, exec, s[8:9]
	v_cmp_eq_u32_e64 s[8:9], 2, v10
	s_and_b64 s[46:47], s[8:9], s[12:13]
	s_barrier
	s_and_saveexec_b64 s[8:9], s[46:47]
; %bb.74:
	v_xor_b32_e32 v14, 0x80000000, v13
	ds_write_b32 v12, v14
; %bb.75:
	s_or_b64 exec, exec, s[8:9]
	v_cmp_gt_u32_e64 s[8:9], 2, v10
	s_and_b64 s[48:49], s[8:9], s[12:13]
	s_waitcnt lgkmcnt(0)
	s_barrier
	s_and_saveexec_b64 s[8:9], s[48:49]
	s_cbranch_execz .LBB97_77
; %bb.76:
	v_lshlrev_b32_e32 v14, 2, v10
	ds_read_b32 v14, v14 offset:15072
	ds_read_b32 v15, v12
	s_waitcnt lgkmcnt(0)
	v_fma_f32 v13, -v14, v15, v13
.LBB97_77:
	s_or_b64 exec, exec, s[8:9]
	v_cmp_eq_u32_e64 s[8:9], 1, v10
	s_and_b64 s[50:51], s[8:9], s[12:13]
	s_barrier
	s_and_saveexec_b64 s[8:9], s[50:51]
; %bb.78:
	v_xor_b32_e32 v14, 0x80000000, v13
	ds_write_b32 v12, v14
; %bb.79:
	s_or_b64 exec, exec, s[8:9]
	v_cmp_eq_u32_e64 s[8:9], 0, v10
	s_and_b64 s[40:41], s[8:9], s[12:13]
	s_waitcnt lgkmcnt(0)
	s_barrier
	s_and_saveexec_b64 s[8:9], s[40:41]
	s_cbranch_execz .LBB97_81
; %bb.80:
	v_mov_b32_e32 v14, 0
	ds_read_b32 v14, v14 offset:14816
	ds_read_b32 v15, v12
	s_waitcnt lgkmcnt(0)
	v_fma_f32 v13, -v14, v15, v13
.LBB97_81:
	s_or_b64 exec, exec, s[8:9]
	s_barrier
	s_and_saveexec_b64 s[8:9], s[40:41]
; %bb.82:
	v_xor_b32_e32 v14, 0x80000000, v13
	ds_write_b32 v12, v14
; %bb.83:
	s_or_b64 exec, exec, s[8:9]
	s_waitcnt lgkmcnt(0)
	s_barrier
	s_barrier
	s_and_saveexec_b64 s[8:9], s[2:3]
; %bb.84:
	v_lshlrev_b32_e32 v14, 2, v10
	v_lshl_or_b32 v14, v11, 8, v14
	ds_write_b32 v14, v13 offset:15584
; %bb.85:
	s_or_b64 exec, exec, s[8:9]
	s_waitcnt lgkmcnt(0)
	s_barrier
	s_barrier
	s_and_saveexec_b64 s[8:9], vcc
; %bb.86:
	s_movk_i32 s10, 0x3800
	v_mov_b32_e32 v13, 1.0
	v_add_u32_e64 v14, s10, 0
	ds_write2_b32 v14, v13, v13 offset0:186 offset1:251
; %bb.87:
	s_or_b64 exec, exec, s[8:9]
	v_mov_b32_e32 v13, 0
	s_waitcnt lgkmcnt(0)
	s_barrier
	buffer_wbinvl1_vol
	s_and_saveexec_b64 s[10:11], s[0:1]
	s_cbranch_execz .LBB97_91
; %bb.88:
	v_lshlrev_b32_e32 v13, 8, v3
	v_lshlrev_b32_e32 v14, 2, v2
	ds_read_b32 v15, v14 offset:15072
	ds_read_b32 v13, v13 offset:15080
	v_mov_b32_e32 v14, 0
	v_cmp_gt_u32_e64 s[8:9], 2, v9
	s_waitcnt lgkmcnt(0)
	v_fma_f32 v13, v15, v13, 0
	s_and_saveexec_b64 s[12:13], s[8:9]
	s_cbranch_execz .LBB97_90
; %bb.89:
	v_lshlrev_b32_e32 v15, 2, v0
	ds_read_b32 v15, v15 offset:15328
	ds_read_b32 v14, v14 offset:15340
	s_waitcnt lgkmcnt(0)
	v_fmac_f32_e32 v13, v15, v14
.LBB97_90:
	s_or_b64 exec, exec, s[12:13]
.LBB97_91:
	s_or_b64 exec, exec, s[10:11]
	s_and_saveexec_b64 s[8:9], s[38:39]
; %bb.92:
	v_xor_b32_e32 v14, 0x80000000, v13
	ds_write_b32 v8, v14
; %bb.93:
	s_or_b64 exec, exec, s[8:9]
	s_waitcnt lgkmcnt(0)
	s_barrier
	s_and_saveexec_b64 s[8:9], s[36:37]
	s_cbranch_execz .LBB97_95
; %bb.94:
	v_mov_b32_e32 v14, 0
	ds_read_b32 v14, v14 offset:14816
	ds_read_b32 v15, v8
	s_waitcnt lgkmcnt(0)
	v_fma_f32 v13, -v14, v15, v13
.LBB97_95:
	s_or_b64 exec, exec, s[8:9]
	s_barrier
	s_and_saveexec_b64 s[8:9], s[36:37]
; %bb.96:
	v_xor_b32_e32 v14, 0x80000000, v13
	ds_write_b32 v8, v14
; %bb.97:
	s_or_b64 exec, exec, s[8:9]
	s_waitcnt lgkmcnt(0)
	s_barrier
	s_barrier
	s_and_saveexec_b64 s[8:9], s[0:1]
; %bb.98:
	v_lshlrev_b32_e32 v14, 2, v2
	v_lshl_or_b32 v14, v3, 8, v14
	ds_write_b32 v14, v13 offset:15072
; %bb.99:
	s_or_b64 exec, exec, s[8:9]
	s_waitcnt lgkmcnt(0)
	s_barrier
	s_barrier
	s_and_saveexec_b64 s[8:9], vcc
; %bb.100:
	s_movk_i32 s10, 0x3800
	v_mov_b32_e32 v13, 1.0
	v_add_u32_e64 v14, s10, 0
	ds_write2_b32 v14, v13, v13 offset0:56 offset1:121
; %bb.101:
	s_or_b64 exec, exec, s[8:9]
	v_lshrrev_b32_e32 v15, 3, v9
	v_and_b32_e32 v13, 7, v0
	v_sub_u32_e32 v14, 7, v15
	v_cmp_lt_u32_e64 s[8:9], 63, v9
	v_cmp_gt_u32_e64 s[14:15], 64, v9
	v_mov_b32_e32 v16, 0
	s_waitcnt lgkmcnt(0)
	s_barrier
	buffer_wbinvl1_vol
	s_and_saveexec_b64 s[12:13], s[14:15]
	s_cbranch_execz .LBB97_111
; %bb.102:
	v_lshlrev_b32_e32 v18, 2, v13
	v_lshlrev_b32_e32 v17, 8, v14
	ds_read_b32 v16, v18 offset:14528
	ds_read_b32 v19, v17 offset:14560
	v_cmp_gt_u32_e64 s[10:11], 56, v9
	s_waitcnt lgkmcnt(0)
	v_fma_f32 v16, v16, v19, 0
	s_and_saveexec_b64 s[16:17], s[10:11]
	s_cbranch_execnz .LBB97_1110
; %bb.103:
	s_or_b64 exec, exec, s[16:17]
	v_cmp_gt_u32_e64 s[10:11], 48, v9
	s_and_saveexec_b64 s[16:17], s[10:11]
	s_cbranch_execnz .LBB97_1111
.LBB97_104:
	s_or_b64 exec, exec, s[16:17]
	v_cmp_gt_u32_e64 s[10:11], 40, v9
	s_and_saveexec_b64 s[16:17], s[10:11]
	s_cbranch_execnz .LBB97_1112
.LBB97_105:
	s_or_b64 exec, exec, s[16:17]
	v_cmp_gt_u32_e64 s[10:11], 32, v9
	s_and_saveexec_b64 s[16:17], s[10:11]
	s_cbranch_execnz .LBB97_1113
.LBB97_106:
	s_or_b64 exec, exec, s[16:17]
	v_cmp_gt_u32_e64 s[10:11], 24, v9
	s_and_saveexec_b64 s[16:17], s[10:11]
	s_cbranch_execnz .LBB97_1114
.LBB97_107:
	s_or_b64 exec, exec, s[16:17]
	s_and_saveexec_b64 s[10:11], s[2:3]
	s_cbranch_execnz .LBB97_1115
.LBB97_108:
	s_or_b64 exec, exec, s[10:11]
	v_cmp_gt_u32_e64 s[10:11], 8, v9
	s_and_saveexec_b64 s[16:17], s[10:11]
	s_cbranch_execz .LBB97_110
.LBB97_109:
	v_lshlrev_b32_e32 v17, 2, v0
	v_mov_b32_e32 v18, 0
	ds_read_b32 v17, v17 offset:16320
	ds_read_b32 v18, v18 offset:16380
	s_waitcnt lgkmcnt(0)
	v_fmac_f32_e32 v16, v17, v18
.LBB97_110:
	s_or_b64 exec, exec, s[16:17]
.LBB97_111:
	s_or_b64 exec, exec, s[12:13]
	v_mov_b32_e32 v17, 0x4000
	v_cmp_eq_u32_e64 s[10:11], 7, v13
	s_xor_b64 s[12:13], s[8:9], -1
	v_lshl_add_u32 v15, v15, 2, v17
	s_and_b64 s[52:53], s[10:11], s[12:13]
	s_and_saveexec_b64 s[8:9], s[52:53]
; %bb.112:
	v_xor_b32_e32 v17, 0x80000000, v16
	ds_write_b32 v15, v17
; %bb.113:
	s_or_b64 exec, exec, s[8:9]
	v_cmp_ne_u32_e64 s[8:9], 7, v13
	s_and_b64 s[54:55], s[8:9], s[12:13]
	s_waitcnt lgkmcnt(0)
	s_barrier
	s_and_saveexec_b64 s[8:9], s[54:55]
	s_cbranch_execz .LBB97_115
; %bb.114:
	v_lshlrev_b32_e32 v17, 2, v13
	ds_read_b32 v17, v17 offset:14272
	ds_read_b32 v18, v15
	s_waitcnt lgkmcnt(0)
	v_fma_f32 v16, -v17, v18, v16
.LBB97_115:
	s_or_b64 exec, exec, s[8:9]
	v_cmp_eq_u32_e64 s[8:9], 6, v13
	s_and_b64 s[56:57], s[8:9], s[12:13]
	s_barrier
	s_and_saveexec_b64 s[8:9], s[56:57]
; %bb.116:
	v_xor_b32_e32 v17, 0x80000000, v16
	ds_write_b32 v15, v17
; %bb.117:
	s_or_b64 exec, exec, s[8:9]
	v_cmp_gt_u32_e64 s[8:9], 6, v13
	s_and_b64 s[58:59], s[8:9], s[12:13]
	s_waitcnt lgkmcnt(0)
	s_barrier
	s_and_saveexec_b64 s[8:9], s[58:59]
	s_cbranch_execz .LBB97_119
; %bb.118:
	v_lshlrev_b32_e32 v17, 2, v13
	ds_read_b32 v17, v17 offset:14016
	ds_read_b32 v18, v15
	s_waitcnt lgkmcnt(0)
	v_fma_f32 v16, -v17, v18, v16
.LBB97_119:
	s_or_b64 exec, exec, s[8:9]
	v_cmp_eq_u32_e64 s[8:9], 5, v13
	s_and_b64 s[60:61], s[8:9], s[12:13]
	s_barrier
	s_and_saveexec_b64 s[8:9], s[60:61]
; %bb.120:
	v_xor_b32_e32 v17, 0x80000000, v16
	ds_write_b32 v15, v17
; %bb.121:
	s_or_b64 exec, exec, s[8:9]
	v_cmp_gt_u32_e64 s[8:9], 5, v13
	;; [unrolled: 23-line block ×5, first 2 shown]
	s_and_b64 s[76:77], s[8:9], s[12:13]
	s_waitcnt lgkmcnt(0)
	s_barrier
	s_and_saveexec_b64 s[8:9], s[76:77]
	s_cbranch_execz .LBB97_135
; %bb.134:
	v_lshlrev_b32_e32 v17, 2, v13
	ds_read_b32 v17, v17 offset:12992
	ds_read_b32 v18, v15
	s_waitcnt lgkmcnt(0)
	v_fma_f32 v16, -v17, v18, v16
.LBB97_135:
	s_or_b64 exec, exec, s[8:9]
	v_cmp_eq_u32_e64 s[8:9], 1, v13
	s_and_b64 s[78:79], s[8:9], s[12:13]
	s_barrier
	s_and_saveexec_b64 s[8:9], s[78:79]
; %bb.136:
	v_xor_b32_e32 v17, 0x80000000, v16
	ds_write_b32 v15, v17
; %bb.137:
	s_or_b64 exec, exec, s[8:9]
	v_cmp_eq_u32_e64 s[8:9], 0, v13
	s_and_b64 s[62:63], s[8:9], s[12:13]
	s_waitcnt lgkmcnt(0)
	s_barrier
	s_and_saveexec_b64 s[8:9], s[62:63]
	s_cbranch_execz .LBB97_139
; %bb.138:
	v_mov_b32_e32 v17, 0
	ds_read_b32 v17, v17 offset:12736
	ds_read_b32 v18, v15
	s_waitcnt lgkmcnt(0)
	v_fma_f32 v16, -v17, v18, v16
.LBB97_139:
	s_or_b64 exec, exec, s[8:9]
	s_barrier
	s_and_saveexec_b64 s[8:9], s[62:63]
; %bb.140:
	v_xor_b32_e32 v17, 0x80000000, v16
	ds_write_b32 v15, v17
; %bb.141:
	s_or_b64 exec, exec, s[8:9]
	s_waitcnt lgkmcnt(0)
	s_barrier
	s_barrier
	s_and_saveexec_b64 s[8:9], s[14:15]
; %bb.142:
	v_lshlrev_b32_e32 v17, 2, v13
	v_lshl_or_b32 v17, v14, 8, v17
	ds_write_b32 v17, v16 offset:14528
; %bb.143:
	s_or_b64 exec, exec, s[8:9]
	s_waitcnt lgkmcnt(0)
	s_barrier
	s_barrier
	s_and_saveexec_b64 s[8:9], vcc
; %bb.144:
	s_movk_i32 s10, 0x3400
	v_mov_b32_e32 v16, 1.0
	v_add_u32_e64 v17, s10, 0
	ds_write2_b32 v17, v16, v16 offset0:182 offset1:247
; %bb.145:
	s_or_b64 exec, exec, s[8:9]
	v_mov_b32_e32 v16, 0
	s_waitcnt lgkmcnt(0)
	s_barrier
	buffer_wbinvl1_vol
	s_and_saveexec_b64 s[10:11], s[0:1]
	s_cbranch_execz .LBB97_149
; %bb.146:
	v_lshlrev_b32_e32 v16, 8, v3
	v_lshlrev_b32_e32 v17, 2, v2
	ds_read_b32 v18, v17 offset:14032
	ds_read_b32 v16, v16 offset:14040
	v_mov_b32_e32 v17, 0
	v_cmp_gt_u32_e64 s[8:9], 2, v9
	s_waitcnt lgkmcnt(0)
	v_fma_f32 v16, v18, v16, 0
	s_and_saveexec_b64 s[12:13], s[8:9]
	s_cbranch_execz .LBB97_148
; %bb.147:
	v_lshlrev_b32_e32 v18, 2, v0
	ds_read_b32 v18, v18 offset:14288
	ds_read_b32 v17, v17 offset:14300
	s_waitcnt lgkmcnt(0)
	v_fmac_f32_e32 v16, v18, v17
.LBB97_148:
	s_or_b64 exec, exec, s[12:13]
.LBB97_149:
	s_or_b64 exec, exec, s[10:11]
	s_and_saveexec_b64 s[8:9], s[38:39]
; %bb.150:
	v_xor_b32_e32 v17, 0x80000000, v16
	ds_write_b32 v8, v17
; %bb.151:
	s_or_b64 exec, exec, s[8:9]
	s_waitcnt lgkmcnt(0)
	s_barrier
	s_and_saveexec_b64 s[8:9], s[36:37]
	s_cbranch_execz .LBB97_153
; %bb.152:
	v_mov_b32_e32 v17, 0
	ds_read_b32 v17, v17 offset:13776
	ds_read_b32 v18, v8
	s_waitcnt lgkmcnt(0)
	v_fma_f32 v16, -v17, v18, v16
.LBB97_153:
	s_or_b64 exec, exec, s[8:9]
	s_barrier
	s_and_saveexec_b64 s[8:9], s[36:37]
; %bb.154:
	v_xor_b32_e32 v17, 0x80000000, v16
	ds_write_b32 v8, v17
; %bb.155:
	s_or_b64 exec, exec, s[8:9]
	s_waitcnt lgkmcnt(0)
	s_barrier
	s_barrier
	s_and_saveexec_b64 s[8:9], s[0:1]
; %bb.156:
	v_lshlrev_b32_e32 v17, 2, v2
	v_lshl_or_b32 v17, v3, 8, v17
	ds_write_b32 v17, v16 offset:14032
; %bb.157:
	s_or_b64 exec, exec, s[8:9]
	s_waitcnt lgkmcnt(0)
	s_barrier
	s_barrier
	s_and_saveexec_b64 s[8:9], vcc
; %bb.158:
	s_movk_i32 s10, 0x3400
	v_mov_b32_e32 v16, 1.0
	v_add_u32_e64 v17, s10, 0
	ds_write2_b32 v17, v16, v16 offset0:52 offset1:117
; %bb.159:
	s_or_b64 exec, exec, s[8:9]
	v_mov_b32_e32 v16, 0
	s_waitcnt lgkmcnt(0)
	s_barrier
	buffer_wbinvl1_vol
	s_and_saveexec_b64 s[10:11], s[2:3]
	s_cbranch_execz .LBB97_165
; %bb.160:
	v_lshlrev_b32_e32 v18, 2, v10
	v_lshlrev_b32_e32 v17, 8, v11
	ds_read_b32 v16, v18 offset:13504
	ds_read_b32 v19, v17 offset:13520
	v_cmp_gt_u32_e64 s[8:9], 12, v9
	s_waitcnt lgkmcnt(0)
	v_fma_f32 v16, v16, v19, 0
	s_and_saveexec_b64 s[12:13], s[8:9]
	s_cbranch_execnz .LBB97_1116
; %bb.161:
	s_or_b64 exec, exec, s[12:13]
	v_cmp_gt_u32_e64 s[8:9], 8, v9
	s_and_saveexec_b64 s[12:13], s[8:9]
	s_cbranch_execnz .LBB97_1117
.LBB97_162:
	s_or_b64 exec, exec, s[12:13]
	v_cmp_gt_u32_e64 s[8:9], 4, v9
	s_and_saveexec_b64 s[12:13], s[8:9]
	s_cbranch_execz .LBB97_164
.LBB97_163:
	v_lshlrev_b32_e32 v17, 2, v0
	v_mov_b32_e32 v18, 0
	ds_read_b32 v17, v17 offset:14272
	ds_read_b32 v18, v18 offset:14300
	s_waitcnt lgkmcnt(0)
	v_fmac_f32_e32 v16, v17, v18
.LBB97_164:
	s_or_b64 exec, exec, s[12:13]
.LBB97_165:
	s_or_b64 exec, exec, s[10:11]
	s_and_saveexec_b64 s[8:9], s[42:43]
; %bb.166:
	v_xor_b32_e32 v17, 0x80000000, v16
	ds_write_b32 v12, v17
; %bb.167:
	s_or_b64 exec, exec, s[8:9]
	s_waitcnt lgkmcnt(0)
	s_barrier
	s_and_saveexec_b64 s[8:9], s[44:45]
	s_cbranch_execz .LBB97_169
; %bb.168:
	v_lshlrev_b32_e32 v17, 2, v10
	ds_read_b32 v17, v17 offset:13248
	ds_read_b32 v18, v12
	s_waitcnt lgkmcnt(0)
	v_fma_f32 v16, -v17, v18, v16
.LBB97_169:
	s_or_b64 exec, exec, s[8:9]
	s_barrier
	s_and_saveexec_b64 s[8:9], s[46:47]
; %bb.170:
	v_xor_b32_e32 v17, 0x80000000, v16
	ds_write_b32 v12, v17
; %bb.171:
	s_or_b64 exec, exec, s[8:9]
	s_waitcnt lgkmcnt(0)
	s_barrier
	s_and_saveexec_b64 s[8:9], s[48:49]
	s_cbranch_execz .LBB97_173
; %bb.172:
	v_lshlrev_b32_e32 v17, 2, v10
	ds_read_b32 v17, v17 offset:12992
	ds_read_b32 v18, v12
	s_waitcnt lgkmcnt(0)
	v_fma_f32 v16, -v17, v18, v16
.LBB97_173:
	s_or_b64 exec, exec, s[8:9]
	s_barrier
	s_and_saveexec_b64 s[8:9], s[50:51]
; %bb.174:
	v_xor_b32_e32 v17, 0x80000000, v16
	ds_write_b32 v12, v17
; %bb.175:
	s_or_b64 exec, exec, s[8:9]
	s_waitcnt lgkmcnt(0)
	s_barrier
	s_and_saveexec_b64 s[8:9], s[40:41]
	s_cbranch_execz .LBB97_177
; %bb.176:
	v_mov_b32_e32 v17, 0
	ds_read_b32 v17, v17 offset:12736
	ds_read_b32 v18, v12
	s_waitcnt lgkmcnt(0)
	v_fma_f32 v16, -v17, v18, v16
.LBB97_177:
	s_or_b64 exec, exec, s[8:9]
	s_barrier
	s_and_saveexec_b64 s[8:9], s[40:41]
; %bb.178:
	v_xor_b32_e32 v17, 0x80000000, v16
	ds_write_b32 v12, v17
; %bb.179:
	s_or_b64 exec, exec, s[8:9]
	s_waitcnt lgkmcnt(0)
	s_barrier
	s_barrier
	s_and_saveexec_b64 s[8:9], s[2:3]
; %bb.180:
	v_lshlrev_b32_e32 v17, 2, v10
	v_lshl_or_b32 v17, v11, 8, v17
	ds_write_b32 v17, v16 offset:13504
; %bb.181:
	s_or_b64 exec, exec, s[8:9]
	s_waitcnt lgkmcnt(0)
	s_barrier
	s_barrier
	s_and_saveexec_b64 s[8:9], vcc
; %bb.182:
	s_movk_i32 s10, 0x3000
	v_mov_b32_e32 v16, 1.0
	v_add_u32_e64 v17, s10, 0
	ds_write2_b32 v17, v16, v16 offset0:178 offset1:243
; %bb.183:
	s_or_b64 exec, exec, s[8:9]
	v_mov_b32_e32 v16, 0
	s_waitcnt lgkmcnt(0)
	s_barrier
	buffer_wbinvl1_vol
	s_and_saveexec_b64 s[10:11], s[0:1]
	s_cbranch_execz .LBB97_187
; %bb.184:
	v_lshlrev_b32_e32 v16, 8, v3
	v_lshlrev_b32_e32 v17, 2, v2
	ds_read_b32 v18, v17 offset:12992
	ds_read_b32 v16, v16 offset:13000
	v_mov_b32_e32 v17, 0
	v_cmp_gt_u32_e64 s[8:9], 2, v9
	s_waitcnt lgkmcnt(0)
	v_fma_f32 v16, v18, v16, 0
	s_and_saveexec_b64 s[12:13], s[8:9]
	s_cbranch_execz .LBB97_186
; %bb.185:
	v_lshlrev_b32_e32 v18, 2, v0
	ds_read_b32 v18, v18 offset:13248
	ds_read_b32 v17, v17 offset:13260
	s_waitcnt lgkmcnt(0)
	v_fmac_f32_e32 v16, v18, v17
.LBB97_186:
	s_or_b64 exec, exec, s[12:13]
.LBB97_187:
	s_or_b64 exec, exec, s[10:11]
	s_and_saveexec_b64 s[8:9], s[38:39]
; %bb.188:
	v_xor_b32_e32 v17, 0x80000000, v16
	ds_write_b32 v8, v17
; %bb.189:
	s_or_b64 exec, exec, s[8:9]
	s_waitcnt lgkmcnt(0)
	s_barrier
	s_and_saveexec_b64 s[8:9], s[36:37]
	s_cbranch_execz .LBB97_191
; %bb.190:
	v_mov_b32_e32 v17, 0
	ds_read_b32 v17, v17 offset:12736
	ds_read_b32 v18, v8
	s_waitcnt lgkmcnt(0)
	v_fma_f32 v16, -v17, v18, v16
.LBB97_191:
	s_or_b64 exec, exec, s[8:9]
	s_barrier
	s_and_saveexec_b64 s[8:9], s[36:37]
; %bb.192:
	v_xor_b32_e32 v17, 0x80000000, v16
	ds_write_b32 v8, v17
; %bb.193:
	s_or_b64 exec, exec, s[8:9]
	s_waitcnt lgkmcnt(0)
	s_barrier
	s_barrier
	s_and_saveexec_b64 s[8:9], s[0:1]
; %bb.194:
	v_lshlrev_b32_e32 v17, 2, v2
	v_lshl_or_b32 v17, v3, 8, v17
	ds_write_b32 v17, v16 offset:12992
; %bb.195:
	s_or_b64 exec, exec, s[8:9]
	s_waitcnt lgkmcnt(0)
	s_barrier
	s_barrier
	s_and_saveexec_b64 s[8:9], vcc
; %bb.196:
	s_movk_i32 s10, 0x3000
	v_mov_b32_e32 v16, 1.0
	v_add_u32_e64 v17, s10, 0
	ds_write2_b32 v17, v16, v16 offset0:48 offset1:113
; %bb.197:
	s_or_b64 exec, exec, s[8:9]
	s_movk_i32 s8, 0xff
	v_lshrrev_b32_e32 v18, 4, v9
	v_cmp_lt_u32_e64 s[10:11], s8, v9
	s_movk_i32 s8, 0x100
	v_and_b32_e32 v16, 15, v0
	v_sub_u32_e32 v17, 15, v18
	v_cmp_gt_u32_e64 s[8:9], s8, v9
	v_mov_b32_e32 v19, 0
	s_waitcnt lgkmcnt(0)
	s_barrier
	buffer_wbinvl1_vol
	s_and_saveexec_b64 s[16:17], s[8:9]
	s_cbranch_execz .LBB97_225
; %bb.198:
	v_lshlrev_b32_e32 v21, 2, v16
	v_lshlrev_b32_e32 v20, 8, v17
	ds_read_b32 v19, v21 offset:12416
	ds_read_b32 v22, v20 offset:12480
	s_movk_i32 s12, 0xf0
	v_cmp_gt_u32_e64 s[12:13], s12, v9
	s_waitcnt lgkmcnt(0)
	v_fma_f32 v19, v19, v22, 0
	s_and_saveexec_b64 s[80:81], s[12:13]
	s_cbranch_execz .LBB97_200
; %bb.199:
	ds_read_b32 v22, v21 offset:12672
	ds_read_b32 v23, v20 offset:12484
	s_waitcnt lgkmcnt(0)
	v_fmac_f32_e32 v19, v22, v23
.LBB97_200:
	s_or_b64 exec, exec, s[80:81]
	s_movk_i32 s12, 0xe0
	v_cmp_gt_u32_e64 s[12:13], s12, v9
	s_and_saveexec_b64 s[80:81], s[12:13]
	s_cbranch_execz .LBB97_202
; %bb.201:
	ds_read_b32 v22, v21 offset:12928
	ds_read_b32 v23, v20 offset:12488
	s_waitcnt lgkmcnt(0)
	v_fmac_f32_e32 v19, v22, v23
.LBB97_202:
	s_or_b64 exec, exec, s[80:81]
	s_movk_i32 s12, 0xd0
	v_cmp_gt_u32_e64 s[12:13], s12, v9
	;; [unrolled: 11-line block ×10, first 2 shown]
	s_and_saveexec_b64 s[80:81], s[12:13]
	s_cbranch_execnz .LBB97_1118
; %bb.219:
	s_or_b64 exec, exec, s[80:81]
	s_and_saveexec_b64 s[12:13], s[14:15]
	s_cbranch_execnz .LBB97_1119
.LBB97_220:
	s_or_b64 exec, exec, s[12:13]
	v_cmp_gt_u32_e64 s[12:13], 48, v9
	s_and_saveexec_b64 s[80:81], s[12:13]
	s_cbranch_execnz .LBB97_1120
.LBB97_221:
	s_or_b64 exec, exec, s[80:81]
	v_cmp_gt_u32_e64 s[12:13], 32, v9
	s_and_saveexec_b64 s[80:81], s[12:13]
	s_cbranch_execnz .LBB97_1121
.LBB97_222:
	s_or_b64 exec, exec, s[80:81]
	v_cmp_gt_u32_e64 s[12:13], 16, v9
	s_and_saveexec_b64 s[80:81], s[12:13]
	s_cbranch_execz .LBB97_224
.LBB97_223:
	v_lshlrev_b32_e32 v20, 2, v0
	v_mov_b32_e32 v21, 0
	ds_read_b32 v20, v20 offset:16256
	ds_read_b32 v21, v21 offset:16380
	s_waitcnt lgkmcnt(0)
	v_fmac_f32_e32 v19, v20, v21
.LBB97_224:
	s_or_b64 exec, exec, s[80:81]
.LBB97_225:
	s_or_b64 exec, exec, s[16:17]
	v_mov_b32_e32 v20, 0x4000
	v_lshl_add_u32 v18, v18, 2, v20
	v_cmp_eq_u32_e64 s[12:13], 15, v16
	s_xor_b64 s[16:17], s[10:11], -1
	s_and_b64 s[12:13], s[12:13], s[16:17]
	s_mov_b64 s[10:11], exec
	v_writelane_b32 v27, s12, 1
	v_writelane_b32 v27, s13, 2
	s_and_b64 s[12:13], s[10:11], s[12:13]
	s_mov_b64 exec, s[12:13]
; %bb.226:
	v_xor_b32_e32 v20, 0x80000000, v19
	ds_write_b32 v18, v20
; %bb.227:
	s_or_b64 exec, exec, s[10:11]
	v_cmp_ne_u32_e64 s[10:11], 15, v16
	s_waitcnt lgkmcnt(0)
	s_barrier
	s_and_b64 s[12:13], s[10:11], s[16:17]
	s_mov_b64 s[10:11], exec
	v_writelane_b32 v27, s12, 3
	v_writelane_b32 v27, s13, 4
	s_and_b64 s[12:13], s[10:11], s[12:13]
	s_mov_b64 exec, s[12:13]
	s_cbranch_execz .LBB97_229
; %bb.228:
	v_lshlrev_b32_e32 v20, 2, v16
	ds_read_b32 v20, v20 offset:12160
	ds_read_b32 v21, v18
	s_waitcnt lgkmcnt(0)
	v_fma_f32 v19, -v20, v21, v19
.LBB97_229:
	s_or_b64 exec, exec, s[10:11]
	v_cmp_eq_u32_e64 s[10:11], 14, v16
	s_barrier
	s_and_b64 s[12:13], s[10:11], s[16:17]
	s_mov_b64 s[10:11], exec
	v_writelane_b32 v27, s12, 5
	v_writelane_b32 v27, s13, 6
	s_and_b64 s[12:13], s[10:11], s[12:13]
	s_mov_b64 exec, s[12:13]
; %bb.230:
	v_xor_b32_e32 v20, 0x80000000, v19
	ds_write_b32 v18, v20
; %bb.231:
	s_or_b64 exec, exec, s[10:11]
	v_cmp_gt_u32_e64 s[10:11], 14, v16
	s_waitcnt lgkmcnt(0)
	s_barrier
	s_and_b64 s[12:13], s[10:11], s[16:17]
	s_mov_b64 s[10:11], exec
	v_writelane_b32 v27, s12, 7
	v_writelane_b32 v27, s13, 8
	s_and_b64 s[12:13], s[10:11], s[12:13]
	s_mov_b64 exec, s[12:13]
	s_cbranch_execz .LBB97_233
; %bb.232:
	v_lshlrev_b32_e32 v20, 2, v16
	ds_read_b32 v20, v20 offset:11904
	ds_read_b32 v21, v18
	s_waitcnt lgkmcnt(0)
	v_fma_f32 v19, -v20, v21, v19
.LBB97_233:
	s_or_b64 exec, exec, s[10:11]
	v_cmp_eq_u32_e64 s[10:11], 13, v16
	s_barrier
	s_and_b64 s[12:13], s[10:11], s[16:17]
	s_mov_b64 s[10:11], exec
	v_writelane_b32 v27, s12, 9
	v_writelane_b32 v27, s13, 10
	s_and_b64 s[12:13], s[10:11], s[12:13]
	s_mov_b64 exec, s[12:13]
; %bb.234:
	v_xor_b32_e32 v20, 0x80000000, v19
	ds_write_b32 v18, v20
; %bb.235:
	s_or_b64 exec, exec, s[10:11]
	v_cmp_gt_u32_e64 s[10:11], 13, v16
	;; [unrolled: 31-line block ×12, first 2 shown]
	s_waitcnt lgkmcnt(0)
	s_barrier
	s_and_b64 s[12:13], s[10:11], s[16:17]
	s_mov_b64 s[10:11], exec
	v_writelane_b32 v27, s12, 51
	v_writelane_b32 v27, s13, 52
	s_and_b64 s[12:13], s[10:11], s[12:13]
	s_mov_b64 exec, s[12:13]
	s_cbranch_execz .LBB97_277
; %bb.276:
	v_lshlrev_b32_e32 v20, 2, v16
	ds_read_b32 v20, v20 offset:9088
	ds_read_b32 v21, v18
	s_waitcnt lgkmcnt(0)
	v_fma_f32 v19, -v20, v21, v19
.LBB97_277:
	s_or_b64 exec, exec, s[10:11]
	v_cmp_eq_u32_e64 s[10:11], 2, v16
	s_and_b64 s[86:87], s[10:11], s[16:17]
	s_barrier
	s_and_saveexec_b64 s[10:11], s[86:87]
; %bb.278:
	v_xor_b32_e32 v20, 0x80000000, v19
	ds_write_b32 v18, v20
; %bb.279:
	s_or_b64 exec, exec, s[10:11]
	v_cmp_gt_u32_e64 s[10:11], 2, v16
	s_and_b64 s[88:89], s[10:11], s[16:17]
	s_waitcnt lgkmcnt(0)
	s_barrier
	s_and_saveexec_b64 s[10:11], s[88:89]
	s_cbranch_execz .LBB97_281
; %bb.280:
	v_lshlrev_b32_e32 v20, 2, v16
	ds_read_b32 v20, v20 offset:8832
	ds_read_b32 v21, v18
	s_waitcnt lgkmcnt(0)
	v_fma_f32 v19, -v20, v21, v19
.LBB97_281:
	s_or_b64 exec, exec, s[10:11]
	v_cmp_eq_u32_e64 s[10:11], 1, v16
	s_and_b64 s[92:93], s[10:11], s[16:17]
	s_barrier
	s_and_saveexec_b64 s[10:11], s[92:93]
; %bb.282:
	v_xor_b32_e32 v20, 0x80000000, v19
	ds_write_b32 v18, v20
; %bb.283:
	s_or_b64 exec, exec, s[10:11]
	v_cmp_eq_u32_e64 s[10:11], 0, v16
	s_and_b64 s[90:91], s[10:11], s[16:17]
	s_waitcnt lgkmcnt(0)
	s_barrier
	s_and_saveexec_b64 s[10:11], s[90:91]
	s_cbranch_execz .LBB97_285
; %bb.284:
	v_mov_b32_e32 v20, 0
	ds_read_b32 v20, v20 offset:8576
	ds_read_b32 v21, v18
	s_waitcnt lgkmcnt(0)
	v_fma_f32 v19, -v20, v21, v19
.LBB97_285:
	s_or_b64 exec, exec, s[10:11]
	s_barrier
	s_and_saveexec_b64 s[10:11], s[90:91]
; %bb.286:
	v_xor_b32_e32 v20, 0x80000000, v19
	ds_write_b32 v18, v20
; %bb.287:
	s_or_b64 exec, exec, s[10:11]
	s_waitcnt lgkmcnt(0)
	s_barrier
	s_barrier
	s_and_saveexec_b64 s[10:11], s[8:9]
; %bb.288:
	v_lshlrev_b32_e32 v20, 2, v16
	v_lshl_or_b32 v20, v17, 8, v20
	ds_write_b32 v20, v19 offset:12416
; %bb.289:
	s_or_b64 exec, exec, s[10:11]
	s_waitcnt lgkmcnt(0)
	s_barrier
	s_barrier
	s_and_saveexec_b64 s[10:11], vcc
; %bb.290:
	s_movk_i32 s12, 0x2c00
	v_mov_b32_e32 v19, 1.0
	v_add_u32_e64 v20, s12, 0
	ds_write2_b32 v20, v19, v19 offset0:174 offset1:239
; %bb.291:
	s_or_b64 exec, exec, s[10:11]
	v_mov_b32_e32 v19, 0
	s_waitcnt lgkmcnt(0)
	s_barrier
	buffer_wbinvl1_vol
	s_and_saveexec_b64 s[12:13], s[0:1]
	s_cbranch_execz .LBB97_295
; %bb.292:
	v_lshlrev_b32_e32 v19, 8, v3
	v_lshlrev_b32_e32 v20, 2, v2
	ds_read_b32 v21, v20 offset:11952
	ds_read_b32 v19, v19 offset:11960
	v_mov_b32_e32 v20, 0
	v_cmp_gt_u32_e64 s[10:11], 2, v9
	s_waitcnt lgkmcnt(0)
	v_fma_f32 v19, v21, v19, 0
	s_and_saveexec_b64 s[16:17], s[10:11]
	s_cbranch_execz .LBB97_294
; %bb.293:
	v_lshlrev_b32_e32 v21, 2, v0
	ds_read_b32 v21, v21 offset:12208
	ds_read_b32 v20, v20 offset:12220
	s_waitcnt lgkmcnt(0)
	v_fmac_f32_e32 v19, v21, v20
.LBB97_294:
	s_or_b64 exec, exec, s[16:17]
.LBB97_295:
	s_or_b64 exec, exec, s[12:13]
	s_and_saveexec_b64 s[10:11], s[38:39]
; %bb.296:
	v_xor_b32_e32 v20, 0x80000000, v19
	ds_write_b32 v8, v20
; %bb.297:
	s_or_b64 exec, exec, s[10:11]
	s_waitcnt lgkmcnt(0)
	s_barrier
	s_and_saveexec_b64 s[10:11], s[36:37]
	s_cbranch_execz .LBB97_299
; %bb.298:
	v_mov_b32_e32 v20, 0
	ds_read_b32 v20, v20 offset:11696
	ds_read_b32 v21, v8
	s_waitcnt lgkmcnt(0)
	v_fma_f32 v19, -v20, v21, v19
.LBB97_299:
	s_or_b64 exec, exec, s[10:11]
	s_barrier
	s_and_saveexec_b64 s[10:11], s[36:37]
; %bb.300:
	v_xor_b32_e32 v20, 0x80000000, v19
	ds_write_b32 v8, v20
; %bb.301:
	s_or_b64 exec, exec, s[10:11]
	s_waitcnt lgkmcnt(0)
	s_barrier
	s_barrier
	s_and_saveexec_b64 s[10:11], s[0:1]
; %bb.302:
	v_lshlrev_b32_e32 v20, 2, v2
	v_lshl_or_b32 v20, v3, 8, v20
	ds_write_b32 v20, v19 offset:11952
; %bb.303:
	s_or_b64 exec, exec, s[10:11]
	s_waitcnt lgkmcnt(0)
	s_barrier
	s_barrier
	s_and_saveexec_b64 s[10:11], vcc
; %bb.304:
	s_movk_i32 s12, 0x2c00
	v_mov_b32_e32 v19, 1.0
	v_add_u32_e64 v20, s12, 0
	ds_write2_b32 v20, v19, v19 offset0:44 offset1:109
; %bb.305:
	s_or_b64 exec, exec, s[10:11]
	v_mov_b32_e32 v19, 0
	s_waitcnt lgkmcnt(0)
	s_barrier
	buffer_wbinvl1_vol
	s_and_saveexec_b64 s[12:13], s[2:3]
	s_cbranch_execz .LBB97_311
; %bb.306:
	v_lshlrev_b32_e32 v21, 2, v10
	v_lshlrev_b32_e32 v20, 8, v11
	ds_read_b32 v19, v21 offset:11424
	ds_read_b32 v22, v20 offset:11440
	v_cmp_gt_u32_e64 s[10:11], 12, v9
	s_waitcnt lgkmcnt(0)
	v_fma_f32 v19, v19, v22, 0
	s_and_saveexec_b64 s[16:17], s[10:11]
	s_cbranch_execnz .LBB97_1122
; %bb.307:
	s_or_b64 exec, exec, s[16:17]
	v_cmp_gt_u32_e64 s[10:11], 8, v9
	s_and_saveexec_b64 s[16:17], s[10:11]
	s_cbranch_execnz .LBB97_1123
.LBB97_308:
	s_or_b64 exec, exec, s[16:17]
	v_cmp_gt_u32_e64 s[10:11], 4, v9
	s_and_saveexec_b64 s[16:17], s[10:11]
	s_cbranch_execz .LBB97_310
.LBB97_309:
	v_lshlrev_b32_e32 v20, 2, v0
	v_mov_b32_e32 v21, 0
	ds_read_b32 v20, v20 offset:12192
	ds_read_b32 v21, v21 offset:12220
	s_waitcnt lgkmcnt(0)
	v_fmac_f32_e32 v19, v20, v21
.LBB97_310:
	s_or_b64 exec, exec, s[16:17]
.LBB97_311:
	s_or_b64 exec, exec, s[12:13]
	s_and_saveexec_b64 s[10:11], s[42:43]
; %bb.312:
	v_xor_b32_e32 v20, 0x80000000, v19
	ds_write_b32 v12, v20
; %bb.313:
	s_or_b64 exec, exec, s[10:11]
	s_waitcnt lgkmcnt(0)
	s_barrier
	s_and_saveexec_b64 s[10:11], s[44:45]
	s_cbranch_execz .LBB97_315
; %bb.314:
	v_lshlrev_b32_e32 v20, 2, v10
	ds_read_b32 v20, v20 offset:11168
	ds_read_b32 v21, v12
	s_waitcnt lgkmcnt(0)
	v_fma_f32 v19, -v20, v21, v19
.LBB97_315:
	s_or_b64 exec, exec, s[10:11]
	s_barrier
	s_and_saveexec_b64 s[10:11], s[46:47]
; %bb.316:
	v_xor_b32_e32 v20, 0x80000000, v19
	ds_write_b32 v12, v20
; %bb.317:
	s_or_b64 exec, exec, s[10:11]
	s_waitcnt lgkmcnt(0)
	s_barrier
	s_and_saveexec_b64 s[10:11], s[48:49]
	s_cbranch_execz .LBB97_319
; %bb.318:
	v_lshlrev_b32_e32 v20, 2, v10
	ds_read_b32 v20, v20 offset:10912
	ds_read_b32 v21, v12
	s_waitcnt lgkmcnt(0)
	v_fma_f32 v19, -v20, v21, v19
.LBB97_319:
	s_or_b64 exec, exec, s[10:11]
	s_barrier
	s_and_saveexec_b64 s[10:11], s[50:51]
; %bb.320:
	v_xor_b32_e32 v20, 0x80000000, v19
	ds_write_b32 v12, v20
; %bb.321:
	s_or_b64 exec, exec, s[10:11]
	s_waitcnt lgkmcnt(0)
	s_barrier
	s_and_saveexec_b64 s[10:11], s[40:41]
	s_cbranch_execz .LBB97_323
; %bb.322:
	v_mov_b32_e32 v20, 0
	ds_read_b32 v20, v20 offset:10656
	ds_read_b32 v21, v12
	s_waitcnt lgkmcnt(0)
	v_fma_f32 v19, -v20, v21, v19
.LBB97_323:
	s_or_b64 exec, exec, s[10:11]
	s_barrier
	s_and_saveexec_b64 s[10:11], s[40:41]
; %bb.324:
	v_xor_b32_e32 v20, 0x80000000, v19
	ds_write_b32 v12, v20
; %bb.325:
	s_or_b64 exec, exec, s[10:11]
	s_waitcnt lgkmcnt(0)
	s_barrier
	s_barrier
	s_and_saveexec_b64 s[10:11], s[2:3]
; %bb.326:
	v_lshlrev_b32_e32 v20, 2, v10
	v_lshl_or_b32 v20, v11, 8, v20
	ds_write_b32 v20, v19 offset:11424
; %bb.327:
	s_or_b64 exec, exec, s[10:11]
	s_waitcnt lgkmcnt(0)
	s_barrier
	s_barrier
	s_and_saveexec_b64 s[10:11], vcc
; %bb.328:
	s_movk_i32 s12, 0x2800
	v_mov_b32_e32 v19, 1.0
	v_add_u32_e64 v20, s12, 0
	ds_write2_b32 v20, v19, v19 offset0:170 offset1:235
; %bb.329:
	s_or_b64 exec, exec, s[10:11]
	v_mov_b32_e32 v19, 0
	s_waitcnt lgkmcnt(0)
	s_barrier
	buffer_wbinvl1_vol
	s_and_saveexec_b64 s[12:13], s[0:1]
	s_cbranch_execz .LBB97_333
; %bb.330:
	v_lshlrev_b32_e32 v19, 8, v3
	v_lshlrev_b32_e32 v20, 2, v2
	ds_read_b32 v21, v20 offset:10912
	ds_read_b32 v19, v19 offset:10920
	v_mov_b32_e32 v20, 0
	v_cmp_gt_u32_e64 s[10:11], 2, v9
	s_waitcnt lgkmcnt(0)
	v_fma_f32 v19, v21, v19, 0
	s_and_saveexec_b64 s[16:17], s[10:11]
	s_cbranch_execz .LBB97_332
; %bb.331:
	v_lshlrev_b32_e32 v21, 2, v0
	ds_read_b32 v21, v21 offset:11168
	ds_read_b32 v20, v20 offset:11180
	s_waitcnt lgkmcnt(0)
	v_fmac_f32_e32 v19, v21, v20
.LBB97_332:
	s_or_b64 exec, exec, s[16:17]
.LBB97_333:
	s_or_b64 exec, exec, s[12:13]
	s_and_saveexec_b64 s[10:11], s[38:39]
; %bb.334:
	v_xor_b32_e32 v20, 0x80000000, v19
	ds_write_b32 v8, v20
; %bb.335:
	s_or_b64 exec, exec, s[10:11]
	s_waitcnt lgkmcnt(0)
	s_barrier
	s_and_saveexec_b64 s[10:11], s[36:37]
	s_cbranch_execz .LBB97_337
; %bb.336:
	v_mov_b32_e32 v20, 0
	ds_read_b32 v20, v20 offset:10656
	ds_read_b32 v21, v8
	s_waitcnt lgkmcnt(0)
	v_fma_f32 v19, -v20, v21, v19
.LBB97_337:
	s_or_b64 exec, exec, s[10:11]
	s_barrier
	s_and_saveexec_b64 s[10:11], s[36:37]
; %bb.338:
	v_xor_b32_e32 v20, 0x80000000, v19
	ds_write_b32 v8, v20
; %bb.339:
	s_or_b64 exec, exec, s[10:11]
	s_waitcnt lgkmcnt(0)
	s_barrier
	s_barrier
	s_and_saveexec_b64 s[10:11], s[0:1]
; %bb.340:
	v_lshlrev_b32_e32 v20, 2, v2
	v_lshl_or_b32 v20, v3, 8, v20
	ds_write_b32 v20, v19 offset:10912
; %bb.341:
	s_or_b64 exec, exec, s[10:11]
	s_waitcnt lgkmcnt(0)
	s_barrier
	s_barrier
	s_and_saveexec_b64 s[10:11], vcc
; %bb.342:
	s_movk_i32 s12, 0x2800
	v_mov_b32_e32 v19, 1.0
	v_add_u32_e64 v20, s12, 0
	ds_write2_b32 v20, v19, v19 offset0:40 offset1:105
; %bb.343:
	s_or_b64 exec, exec, s[10:11]
	v_mov_b32_e32 v19, 0
	s_waitcnt lgkmcnt(0)
	s_barrier
	buffer_wbinvl1_vol
	s_and_saveexec_b64 s[12:13], s[14:15]
	s_cbranch_execz .LBB97_353
; %bb.344:
	v_lshlrev_b32_e32 v21, 2, v13
	v_lshlrev_b32_e32 v20, 8, v14
	ds_read_b32 v19, v21 offset:10368
	ds_read_b32 v22, v20 offset:10400
	v_cmp_gt_u32_e64 s[10:11], 56, v9
	s_waitcnt lgkmcnt(0)
	v_fma_f32 v19, v19, v22, 0
	s_and_saveexec_b64 s[16:17], s[10:11]
	s_cbranch_execnz .LBB97_1124
; %bb.345:
	s_or_b64 exec, exec, s[16:17]
	v_cmp_gt_u32_e64 s[10:11], 48, v9
	s_and_saveexec_b64 s[16:17], s[10:11]
	s_cbranch_execnz .LBB97_1125
.LBB97_346:
	s_or_b64 exec, exec, s[16:17]
	v_cmp_gt_u32_e64 s[10:11], 40, v9
	s_and_saveexec_b64 s[16:17], s[10:11]
	s_cbranch_execnz .LBB97_1126
.LBB97_347:
	s_or_b64 exec, exec, s[16:17]
	v_cmp_gt_u32_e64 s[10:11], 32, v9
	s_and_saveexec_b64 s[16:17], s[10:11]
	s_cbranch_execnz .LBB97_1127
.LBB97_348:
	s_or_b64 exec, exec, s[16:17]
	v_cmp_gt_u32_e64 s[10:11], 24, v9
	s_and_saveexec_b64 s[16:17], s[10:11]
	s_cbranch_execnz .LBB97_1128
.LBB97_349:
	s_or_b64 exec, exec, s[16:17]
	s_and_saveexec_b64 s[10:11], s[2:3]
	s_cbranch_execnz .LBB97_1129
.LBB97_350:
	s_or_b64 exec, exec, s[10:11]
	v_cmp_gt_u32_e64 s[10:11], 8, v9
	s_and_saveexec_b64 s[16:17], s[10:11]
	s_cbranch_execz .LBB97_352
.LBB97_351:
	v_lshlrev_b32_e32 v20, 2, v0
	v_mov_b32_e32 v21, 0
	ds_read_b32 v20, v20 offset:12160
	ds_read_b32 v21, v21 offset:12220
	s_waitcnt lgkmcnt(0)
	v_fmac_f32_e32 v19, v20, v21
.LBB97_352:
	s_or_b64 exec, exec, s[16:17]
.LBB97_353:
	s_or_b64 exec, exec, s[12:13]
	s_and_saveexec_b64 s[10:11], s[52:53]
; %bb.354:
	v_xor_b32_e32 v20, 0x80000000, v19
	ds_write_b32 v15, v20
; %bb.355:
	s_or_b64 exec, exec, s[10:11]
	s_waitcnt lgkmcnt(0)
	s_barrier
	s_and_saveexec_b64 s[10:11], s[54:55]
	s_cbranch_execz .LBB97_357
; %bb.356:
	v_lshlrev_b32_e32 v20, 2, v13
	ds_read_b32 v20, v20 offset:10112
	ds_read_b32 v21, v15
	s_waitcnt lgkmcnt(0)
	v_fma_f32 v19, -v20, v21, v19
.LBB97_357:
	s_or_b64 exec, exec, s[10:11]
	s_barrier
	s_and_saveexec_b64 s[10:11], s[56:57]
; %bb.358:
	v_xor_b32_e32 v20, 0x80000000, v19
	ds_write_b32 v15, v20
; %bb.359:
	s_or_b64 exec, exec, s[10:11]
	s_waitcnt lgkmcnt(0)
	s_barrier
	s_and_saveexec_b64 s[10:11], s[58:59]
	s_cbranch_execz .LBB97_361
; %bb.360:
	v_lshlrev_b32_e32 v20, 2, v13
	ds_read_b32 v20, v20 offset:9856
	ds_read_b32 v21, v15
	s_waitcnt lgkmcnt(0)
	v_fma_f32 v19, -v20, v21, v19
.LBB97_361:
	s_or_b64 exec, exec, s[10:11]
	s_barrier
	;; [unrolled: 19-line block ×6, first 2 shown]
	s_and_saveexec_b64 s[10:11], s[78:79]
; %bb.378:
	v_xor_b32_e32 v20, 0x80000000, v19
	ds_write_b32 v15, v20
; %bb.379:
	s_or_b64 exec, exec, s[10:11]
	s_waitcnt lgkmcnt(0)
	s_barrier
	s_and_saveexec_b64 s[10:11], s[62:63]
	s_cbranch_execz .LBB97_381
; %bb.380:
	v_mov_b32_e32 v20, 0
	ds_read_b32 v20, v20 offset:8576
	ds_read_b32 v21, v15
	s_waitcnt lgkmcnt(0)
	v_fma_f32 v19, -v20, v21, v19
.LBB97_381:
	s_or_b64 exec, exec, s[10:11]
	s_barrier
	s_and_saveexec_b64 s[10:11], s[62:63]
; %bb.382:
	v_xor_b32_e32 v20, 0x80000000, v19
	ds_write_b32 v15, v20
; %bb.383:
	s_or_b64 exec, exec, s[10:11]
	s_waitcnt lgkmcnt(0)
	s_barrier
	s_barrier
	s_and_saveexec_b64 s[10:11], s[14:15]
; %bb.384:
	v_lshlrev_b32_e32 v20, 2, v13
	v_lshl_or_b32 v20, v14, 8, v20
	ds_write_b32 v20, v19 offset:10368
; %bb.385:
	s_or_b64 exec, exec, s[10:11]
	s_waitcnt lgkmcnt(0)
	s_barrier
	s_barrier
	s_and_saveexec_b64 s[10:11], vcc
; %bb.386:
	s_movk_i32 s12, 0x2400
	v_mov_b32_e32 v19, 1.0
	v_add_u32_e64 v20, s12, 0
	ds_write2_b32 v20, v19, v19 offset0:166 offset1:231
; %bb.387:
	s_or_b64 exec, exec, s[10:11]
	v_mov_b32_e32 v19, 0
	s_waitcnt lgkmcnt(0)
	s_barrier
	buffer_wbinvl1_vol
	s_and_saveexec_b64 s[12:13], s[0:1]
	s_cbranch_execz .LBB97_391
; %bb.388:
	v_lshlrev_b32_e32 v19, 8, v3
	v_lshlrev_b32_e32 v20, 2, v2
	ds_read_b32 v21, v20 offset:9872
	ds_read_b32 v19, v19 offset:9880
	v_mov_b32_e32 v20, 0
	v_cmp_gt_u32_e64 s[10:11], 2, v9
	s_waitcnt lgkmcnt(0)
	v_fma_f32 v19, v21, v19, 0
	s_and_saveexec_b64 s[16:17], s[10:11]
	s_cbranch_execz .LBB97_390
; %bb.389:
	v_lshlrev_b32_e32 v21, 2, v0
	ds_read_b32 v21, v21 offset:10128
	ds_read_b32 v20, v20 offset:10140
	s_waitcnt lgkmcnt(0)
	v_fmac_f32_e32 v19, v21, v20
.LBB97_390:
	s_or_b64 exec, exec, s[16:17]
.LBB97_391:
	s_or_b64 exec, exec, s[12:13]
	s_and_saveexec_b64 s[10:11], s[38:39]
; %bb.392:
	v_xor_b32_e32 v20, 0x80000000, v19
	ds_write_b32 v8, v20
; %bb.393:
	s_or_b64 exec, exec, s[10:11]
	s_waitcnt lgkmcnt(0)
	s_barrier
	s_and_saveexec_b64 s[10:11], s[36:37]
	s_cbranch_execz .LBB97_395
; %bb.394:
	v_mov_b32_e32 v20, 0
	ds_read_b32 v20, v20 offset:9616
	ds_read_b32 v21, v8
	s_waitcnt lgkmcnt(0)
	v_fma_f32 v19, -v20, v21, v19
.LBB97_395:
	s_or_b64 exec, exec, s[10:11]
	s_barrier
	s_and_saveexec_b64 s[10:11], s[36:37]
; %bb.396:
	v_xor_b32_e32 v20, 0x80000000, v19
	ds_write_b32 v8, v20
; %bb.397:
	s_or_b64 exec, exec, s[10:11]
	s_waitcnt lgkmcnt(0)
	s_barrier
	s_barrier
	s_and_saveexec_b64 s[10:11], s[0:1]
; %bb.398:
	v_lshlrev_b32_e32 v20, 2, v2
	v_lshl_or_b32 v20, v3, 8, v20
	ds_write_b32 v20, v19 offset:9872
; %bb.399:
	s_or_b64 exec, exec, s[10:11]
	s_waitcnt lgkmcnt(0)
	s_barrier
	s_barrier
	s_and_saveexec_b64 s[10:11], vcc
; %bb.400:
	s_movk_i32 s12, 0x2400
	v_mov_b32_e32 v19, 1.0
	v_add_u32_e64 v20, s12, 0
	ds_write2_b32 v20, v19, v19 offset0:36 offset1:101
; %bb.401:
	s_or_b64 exec, exec, s[10:11]
	v_mov_b32_e32 v19, 0
	s_waitcnt lgkmcnt(0)
	s_barrier
	buffer_wbinvl1_vol
	s_and_saveexec_b64 s[12:13], s[2:3]
	s_cbranch_execz .LBB97_407
; %bb.402:
	v_lshlrev_b32_e32 v21, 2, v10
	v_lshlrev_b32_e32 v20, 8, v11
	ds_read_b32 v19, v21 offset:9344
	ds_read_b32 v22, v20 offset:9360
	v_cmp_gt_u32_e64 s[10:11], 12, v9
	s_waitcnt lgkmcnt(0)
	v_fma_f32 v19, v19, v22, 0
	s_and_saveexec_b64 s[16:17], s[10:11]
	s_cbranch_execnz .LBB97_1130
; %bb.403:
	s_or_b64 exec, exec, s[16:17]
	v_cmp_gt_u32_e64 s[10:11], 8, v9
	s_and_saveexec_b64 s[16:17], s[10:11]
	s_cbranch_execnz .LBB97_1131
.LBB97_404:
	s_or_b64 exec, exec, s[16:17]
	v_cmp_gt_u32_e64 s[10:11], 4, v9
	s_and_saveexec_b64 s[16:17], s[10:11]
	s_cbranch_execz .LBB97_406
.LBB97_405:
	v_lshlrev_b32_e32 v20, 2, v0
	v_mov_b32_e32 v21, 0
	ds_read_b32 v20, v20 offset:10112
	ds_read_b32 v21, v21 offset:10140
	s_waitcnt lgkmcnt(0)
	v_fmac_f32_e32 v19, v20, v21
.LBB97_406:
	s_or_b64 exec, exec, s[16:17]
.LBB97_407:
	s_or_b64 exec, exec, s[12:13]
	s_and_saveexec_b64 s[10:11], s[42:43]
; %bb.408:
	v_xor_b32_e32 v20, 0x80000000, v19
	ds_write_b32 v12, v20
; %bb.409:
	s_or_b64 exec, exec, s[10:11]
	s_waitcnt lgkmcnt(0)
	s_barrier
	s_and_saveexec_b64 s[10:11], s[44:45]
	s_cbranch_execz .LBB97_411
; %bb.410:
	v_lshlrev_b32_e32 v20, 2, v10
	ds_read_b32 v20, v20 offset:9088
	ds_read_b32 v21, v12
	s_waitcnt lgkmcnt(0)
	v_fma_f32 v19, -v20, v21, v19
.LBB97_411:
	s_or_b64 exec, exec, s[10:11]
	s_barrier
	s_and_saveexec_b64 s[10:11], s[46:47]
; %bb.412:
	v_xor_b32_e32 v20, 0x80000000, v19
	ds_write_b32 v12, v20
; %bb.413:
	s_or_b64 exec, exec, s[10:11]
	s_waitcnt lgkmcnt(0)
	s_barrier
	s_and_saveexec_b64 s[10:11], s[48:49]
	s_cbranch_execz .LBB97_415
; %bb.414:
	v_lshlrev_b32_e32 v20, 2, v10
	ds_read_b32 v20, v20 offset:8832
	ds_read_b32 v21, v12
	s_waitcnt lgkmcnt(0)
	v_fma_f32 v19, -v20, v21, v19
.LBB97_415:
	s_or_b64 exec, exec, s[10:11]
	s_barrier
	s_and_saveexec_b64 s[10:11], s[50:51]
; %bb.416:
	v_xor_b32_e32 v20, 0x80000000, v19
	ds_write_b32 v12, v20
; %bb.417:
	s_or_b64 exec, exec, s[10:11]
	s_waitcnt lgkmcnt(0)
	s_barrier
	s_and_saveexec_b64 s[10:11], s[40:41]
	s_cbranch_execz .LBB97_419
; %bb.418:
	v_mov_b32_e32 v20, 0
	ds_read_b32 v20, v20 offset:8576
	ds_read_b32 v21, v12
	s_waitcnt lgkmcnt(0)
	v_fma_f32 v19, -v20, v21, v19
.LBB97_419:
	s_or_b64 exec, exec, s[10:11]
	s_barrier
	s_and_saveexec_b64 s[10:11], s[40:41]
; %bb.420:
	v_xor_b32_e32 v20, 0x80000000, v19
	ds_write_b32 v12, v20
; %bb.421:
	s_or_b64 exec, exec, s[10:11]
	s_waitcnt lgkmcnt(0)
	s_barrier
	s_barrier
	s_and_saveexec_b64 s[10:11], s[2:3]
; %bb.422:
	v_lshlrev_b32_e32 v20, 2, v10
	v_lshl_or_b32 v20, v11, 8, v20
	ds_write_b32 v20, v19 offset:9344
; %bb.423:
	s_or_b64 exec, exec, s[10:11]
	s_waitcnt lgkmcnt(0)
	s_barrier
	s_barrier
	s_and_saveexec_b64 s[10:11], vcc
; %bb.424:
	s_movk_i32 s12, 0x2000
	v_mov_b32_e32 v19, 1.0
	v_add_u32_e64 v20, s12, 0
	ds_write2_b32 v20, v19, v19 offset0:162 offset1:227
; %bb.425:
	s_or_b64 exec, exec, s[10:11]
	v_mov_b32_e32 v19, 0
	s_waitcnt lgkmcnt(0)
	s_barrier
	buffer_wbinvl1_vol
	s_and_saveexec_b64 s[12:13], s[0:1]
	s_cbranch_execz .LBB97_429
; %bb.426:
	v_lshlrev_b32_e32 v19, 8, v3
	v_lshlrev_b32_e32 v20, 2, v2
	ds_read_b32 v21, v20 offset:8832
	ds_read_b32 v19, v19 offset:8840
	v_mov_b32_e32 v20, 0
	v_cmp_gt_u32_e64 s[10:11], 2, v9
	s_waitcnt lgkmcnt(0)
	v_fma_f32 v19, v21, v19, 0
	s_and_saveexec_b64 s[16:17], s[10:11]
	s_cbranch_execz .LBB97_428
; %bb.427:
	v_lshlrev_b32_e32 v21, 2, v0
	ds_read_b32 v21, v21 offset:9088
	ds_read_b32 v20, v20 offset:9100
	s_waitcnt lgkmcnt(0)
	v_fmac_f32_e32 v19, v21, v20
.LBB97_428:
	s_or_b64 exec, exec, s[16:17]
.LBB97_429:
	s_or_b64 exec, exec, s[12:13]
	s_and_saveexec_b64 s[10:11], s[38:39]
; %bb.430:
	v_xor_b32_e32 v20, 0x80000000, v19
	ds_write_b32 v8, v20
; %bb.431:
	s_or_b64 exec, exec, s[10:11]
	s_waitcnt lgkmcnt(0)
	s_barrier
	s_and_saveexec_b64 s[10:11], s[36:37]
	s_cbranch_execz .LBB97_433
; %bb.432:
	v_mov_b32_e32 v20, 0
	ds_read_b32 v20, v20 offset:8576
	ds_read_b32 v21, v8
	s_waitcnt lgkmcnt(0)
	v_fma_f32 v19, -v20, v21, v19
.LBB97_433:
	s_or_b64 exec, exec, s[10:11]
	s_barrier
	s_and_saveexec_b64 s[10:11], s[36:37]
; %bb.434:
	v_xor_b32_e32 v20, 0x80000000, v19
	ds_write_b32 v8, v20
; %bb.435:
	s_or_b64 exec, exec, s[10:11]
	s_waitcnt lgkmcnt(0)
	s_barrier
	s_barrier
	s_and_saveexec_b64 s[10:11], s[0:1]
; %bb.436:
	v_lshlrev_b32_e32 v20, 2, v2
	v_lshl_or_b32 v20, v3, 8, v20
	ds_write_b32 v20, v19 offset:8832
; %bb.437:
	s_or_b64 exec, exec, s[10:11]
	s_waitcnt lgkmcnt(0)
	s_barrier
	s_barrier
	s_and_saveexec_b64 s[10:11], vcc
; %bb.438:
	s_movk_i32 s12, 0x2000
	v_mov_b32_e32 v19, 1.0
	v_add_u32_e64 v20, s12, 0
	ds_write2_b32 v20, v19, v19 offset0:32 offset1:97
; %bb.439:
	s_or_b64 exec, exec, s[10:11]
	s_movk_i32 s10, 0x3ff
	v_lshrrev_b32_e32 v22, 5, v9
	v_cmp_lt_u32_e64 s[12:13], s10, v9
	s_movk_i32 s10, 0x400
	v_and_b32_e32 v19, 31, v0
	v_sub_u32_e32 v20, 31, v22
	v_cmp_gt_u32_e64 s[10:11], s10, v9
	v_mov_b32_e32 v21, 0
	s_waitcnt lgkmcnt(0)
	s_barrier
	buffer_wbinvl1_vol
	s_and_saveexec_b64 s[94:95], s[10:11]
	s_cbranch_execz .LBB97_501
; %bb.440:
	v_lshlrev_b32_e32 v24, 2, v19
	v_lshlrev_b32_e32 v23, 8, v20
	ds_read_b32 v21, v24 offset:8192
	ds_read_b32 v25, v23 offset:8320
	s_movk_i32 s16, 0x3e0
	v_cmp_gt_u32_e64 s[16:17], s16, v9
	s_waitcnt lgkmcnt(0)
	v_fma_f32 v21, v21, v25, 0
	s_and_saveexec_b64 s[80:81], s[16:17]
	s_cbranch_execz .LBB97_442
; %bb.441:
	ds_read_b32 v25, v24 offset:8448
	ds_read_b32 v26, v23 offset:8324
	s_waitcnt lgkmcnt(0)
	v_fmac_f32_e32 v21, v25, v26
.LBB97_442:
	s_or_b64 exec, exec, s[80:81]
	s_movk_i32 s16, 0x3c0
	v_cmp_gt_u32_e64 s[16:17], s16, v9
	s_and_saveexec_b64 s[80:81], s[16:17]
	s_cbranch_execz .LBB97_444
; %bb.443:
	ds_read_b32 v25, v24 offset:8704
	ds_read_b32 v26, v23 offset:8328
	s_waitcnt lgkmcnt(0)
	v_fmac_f32_e32 v21, v25, v26
.LBB97_444:
	s_or_b64 exec, exec, s[80:81]
	s_movk_i32 s16, 0x3a0
	v_cmp_gt_u32_e64 s[16:17], s16, v9
	;; [unrolled: 11-line block ×22, first 2 shown]
	s_and_saveexec_b64 s[80:81], s[16:17]
	s_cbranch_execz .LBB97_486
; %bb.485:
	ds_read_b32 v25, v24 offset:14080
	ds_read_b32 v26, v23 offset:8412
	s_waitcnt lgkmcnt(0)
	v_fmac_f32_e32 v21, v25, v26
.LBB97_486:
	s_or_b64 exec, exec, s[80:81]
	s_and_saveexec_b64 s[16:17], s[8:9]
	s_cbranch_execz .LBB97_488
; %bb.487:
	ds_read_b32 v25, v24 offset:14336
	ds_read_b32 v26, v23 offset:8416
	s_waitcnt lgkmcnt(0)
	v_fmac_f32_e32 v21, v25, v26
.LBB97_488:
	s_or_b64 exec, exec, s[16:17]
	s_movk_i32 s16, 0xe0
	v_cmp_gt_u32_e64 s[16:17], s16, v9
	s_and_saveexec_b64 s[80:81], s[16:17]
	s_cbranch_execz .LBB97_490
; %bb.489:
	ds_read_b32 v25, v24 offset:14592
	ds_read_b32 v26, v23 offset:8420
	s_waitcnt lgkmcnt(0)
	v_fmac_f32_e32 v21, v25, v26
.LBB97_490:
	s_or_b64 exec, exec, s[80:81]
	s_movk_i32 s16, 0xc0
	v_cmp_gt_u32_e64 s[16:17], s16, v9
	;; [unrolled: 11-line block ×5, first 2 shown]
	s_and_saveexec_b64 s[80:81], s[16:17]
	s_cbranch_execnz .LBB97_1132
; %bb.497:
	s_or_b64 exec, exec, s[80:81]
	s_and_saveexec_b64 s[16:17], s[14:15]
	s_cbranch_execnz .LBB97_1133
.LBB97_498:
	s_or_b64 exec, exec, s[16:17]
	v_cmp_gt_u32_e64 s[16:17], 32, v9
	s_and_saveexec_b64 s[80:81], s[16:17]
	s_cbranch_execz .LBB97_500
.LBB97_499:
	v_lshlrev_b32_e32 v23, 2, v0
	v_mov_b32_e32 v24, 0
	ds_read_b32 v23, v23 offset:16128
	ds_read_b32 v24, v24 offset:16380
	s_waitcnt lgkmcnt(0)
	v_fmac_f32_e32 v21, v23, v24
.LBB97_500:
	s_or_b64 exec, exec, s[80:81]
.LBB97_501:
	s_or_b64 exec, exec, s[94:95]
	v_mov_b32_e32 v23, 0x4000
	v_cmp_eq_u32_e64 s[16:17], 31, v19
	s_xor_b64 s[94:95], s[12:13], -1
	v_lshl_add_u32 v22, v22, 2, v23
	s_and_b64 s[16:17], s[16:17], s[94:95]
	s_and_saveexec_b64 s[12:13], s[16:17]
; %bb.502:
	v_xor_b32_e32 v23, 0x80000000, v21
	ds_write_b32 v22, v23
; %bb.503:
	s_or_b64 exec, exec, s[12:13]
	v_cmp_ne_u32_e64 s[12:13], 31, v19
	s_and_b64 s[16:17], s[12:13], s[94:95]
	s_waitcnt lgkmcnt(0)
	s_barrier
	s_and_saveexec_b64 s[12:13], s[16:17]
	s_cbranch_execz .LBB97_505
; %bb.504:
	v_lshlrev_b32_e32 v23, 2, v19
	ds_read_b32 v23, v23 offset:7936
	ds_read_b32 v24, v22
	s_waitcnt lgkmcnt(0)
	v_fma_f32 v21, -v23, v24, v21
.LBB97_505:
	s_or_b64 exec, exec, s[12:13]
	v_cmp_eq_u32_e64 s[12:13], 30, v19
	s_and_b64 s[16:17], s[12:13], s[94:95]
	s_barrier
	s_and_saveexec_b64 s[12:13], s[16:17]
; %bb.506:
	v_xor_b32_e32 v23, 0x80000000, v21
	ds_write_b32 v22, v23
; %bb.507:
	s_or_b64 exec, exec, s[12:13]
	v_cmp_gt_u32_e64 s[12:13], 30, v19
	s_and_b64 s[16:17], s[12:13], s[94:95]
	s_waitcnt lgkmcnt(0)
	s_barrier
	s_and_saveexec_b64 s[12:13], s[16:17]
	s_cbranch_execz .LBB97_509
; %bb.508:
	v_lshlrev_b32_e32 v23, 2, v19
	ds_read_b32 v23, v23 offset:7680
	ds_read_b32 v24, v22
	s_waitcnt lgkmcnt(0)
	v_fma_f32 v21, -v23, v24, v21
.LBB97_509:
	s_or_b64 exec, exec, s[12:13]
	v_cmp_eq_u32_e64 s[12:13], 29, v19
	s_and_b64 s[16:17], s[12:13], s[94:95]
	s_barrier
	s_and_saveexec_b64 s[12:13], s[16:17]
; %bb.510:
	v_xor_b32_e32 v23, 0x80000000, v21
	ds_write_b32 v22, v23
; %bb.511:
	s_or_b64 exec, exec, s[12:13]
	v_cmp_gt_u32_e64 s[12:13], 29, v19
	;; [unrolled: 23-line block ×29, first 2 shown]
	s_and_b64 s[16:17], s[12:13], s[94:95]
	s_waitcnt lgkmcnt(0)
	s_barrier
	s_and_saveexec_b64 s[12:13], s[16:17]
	s_cbranch_execz .LBB97_621
; %bb.620:
	v_lshlrev_b32_e32 v23, 2, v19
	ds_read_b32 v23, v23 offset:512
	ds_read_b32 v24, v22
	s_waitcnt lgkmcnt(0)
	v_fma_f32 v21, -v23, v24, v21
.LBB97_621:
	s_or_b64 exec, exec, s[12:13]
	v_cmp_eq_u32_e64 s[12:13], 1, v19
	s_and_b64 s[16:17], s[12:13], s[94:95]
	s_barrier
	s_and_saveexec_b64 s[12:13], s[16:17]
; %bb.622:
	v_xor_b32_e32 v23, 0x80000000, v21
	ds_write_b32 v22, v23
; %bb.623:
	s_or_b64 exec, exec, s[12:13]
	v_cmp_eq_u32_e64 s[12:13], 0, v19
	s_and_b64 s[12:13], s[12:13], s[94:95]
	s_waitcnt lgkmcnt(0)
	s_barrier
	s_and_saveexec_b64 s[16:17], s[12:13]
	s_cbranch_execz .LBB97_625
; %bb.624:
	v_mov_b32_e32 v23, 0
	ds_read_b32 v23, v23 offset:256
	ds_read_b32 v24, v22
	s_waitcnt lgkmcnt(0)
	v_fma_f32 v21, -v23, v24, v21
.LBB97_625:
	s_or_b64 exec, exec, s[16:17]
	s_barrier
	s_and_saveexec_b64 s[16:17], s[12:13]
; %bb.626:
	v_xor_b32_e32 v23, 0x80000000, v21
	ds_write_b32 v22, v23
; %bb.627:
	s_or_b64 exec, exec, s[16:17]
	s_waitcnt lgkmcnt(0)
	s_barrier
	s_barrier
	s_and_saveexec_b64 s[12:13], s[10:11]
; %bb.628:
	v_lshlrev_b32_e32 v19, 2, v19
	v_lshl_or_b32 v19, v20, 8, v19
	ds_write_b32 v19, v21 offset:8192
; %bb.629:
	s_or_b64 exec, exec, s[12:13]
	s_waitcnt lgkmcnt(0)
	s_barrier
	s_barrier
	s_and_saveexec_b64 s[10:11], vcc
; %bb.630:
	s_movk_i32 s12, 0x1c00
	v_mov_b32_e32 v19, 1.0
	v_add_u32_e64 v20, s12, 0
	ds_write2_b32 v20, v19, v19 offset0:158 offset1:223
; %bb.631:
	s_or_b64 exec, exec, s[10:11]
	v_mov_b32_e32 v19, 0
	s_waitcnt lgkmcnt(0)
	s_barrier
	buffer_wbinvl1_vol
	s_and_saveexec_b64 s[12:13], s[0:1]
	s_cbranch_execz .LBB97_635
; %bb.632:
	v_lshlrev_b32_e32 v19, 8, v3
	v_lshlrev_b32_e32 v20, 2, v2
	ds_read_b32 v21, v20 offset:7792
	ds_read_b32 v19, v19 offset:7800
	v_mov_b32_e32 v20, 0
	v_cmp_gt_u32_e64 s[10:11], 2, v9
	s_waitcnt lgkmcnt(0)
	v_fma_f32 v19, v21, v19, 0
	s_and_saveexec_b64 s[16:17], s[10:11]
	s_cbranch_execz .LBB97_634
; %bb.633:
	v_lshlrev_b32_e32 v21, 2, v0
	ds_read_b32 v21, v21 offset:8048
	ds_read_b32 v20, v20 offset:8060
	s_waitcnt lgkmcnt(0)
	v_fmac_f32_e32 v19, v21, v20
.LBB97_634:
	s_or_b64 exec, exec, s[16:17]
.LBB97_635:
	s_or_b64 exec, exec, s[12:13]
	s_and_saveexec_b64 s[10:11], s[38:39]
; %bb.636:
	v_xor_b32_e32 v20, 0x80000000, v19
	ds_write_b32 v8, v20
; %bb.637:
	s_or_b64 exec, exec, s[10:11]
	s_waitcnt lgkmcnt(0)
	s_barrier
	s_and_saveexec_b64 s[10:11], s[36:37]
	s_cbranch_execz .LBB97_639
; %bb.638:
	v_mov_b32_e32 v20, 0
	ds_read_b32 v20, v20 offset:7536
	ds_read_b32 v21, v8
	s_waitcnt lgkmcnt(0)
	v_fma_f32 v19, -v20, v21, v19
.LBB97_639:
	s_or_b64 exec, exec, s[10:11]
	s_barrier
	s_and_saveexec_b64 s[10:11], s[36:37]
; %bb.640:
	v_xor_b32_e32 v20, 0x80000000, v19
	ds_write_b32 v8, v20
; %bb.641:
	s_or_b64 exec, exec, s[10:11]
	s_waitcnt lgkmcnt(0)
	s_barrier
	s_barrier
	s_and_saveexec_b64 s[10:11], s[0:1]
; %bb.642:
	v_lshlrev_b32_e32 v20, 2, v2
	v_lshl_or_b32 v20, v3, 8, v20
	ds_write_b32 v20, v19 offset:7792
; %bb.643:
	s_or_b64 exec, exec, s[10:11]
	s_waitcnt lgkmcnt(0)
	s_barrier
	s_barrier
	s_and_saveexec_b64 s[10:11], vcc
; %bb.644:
	s_movk_i32 s12, 0x1c00
	v_mov_b32_e32 v19, 1.0
	v_add_u32_e64 v20, s12, 0
	ds_write2_b32 v20, v19, v19 offset0:28 offset1:93
; %bb.645:
	s_or_b64 exec, exec, s[10:11]
	v_mov_b32_e32 v19, 0
	s_waitcnt lgkmcnt(0)
	s_barrier
	buffer_wbinvl1_vol
	s_and_saveexec_b64 s[12:13], s[2:3]
	s_cbranch_execz .LBB97_651
; %bb.646:
	v_lshlrev_b32_e32 v21, 2, v10
	v_lshlrev_b32_e32 v20, 8, v11
	ds_read_b32 v19, v21 offset:7264
	ds_read_b32 v22, v20 offset:7280
	v_cmp_gt_u32_e64 s[10:11], 12, v9
	s_waitcnt lgkmcnt(0)
	v_fma_f32 v19, v19, v22, 0
	s_and_saveexec_b64 s[16:17], s[10:11]
	s_cbranch_execnz .LBB97_1134
; %bb.647:
	s_or_b64 exec, exec, s[16:17]
	v_cmp_gt_u32_e64 s[10:11], 8, v9
	s_and_saveexec_b64 s[16:17], s[10:11]
	s_cbranch_execnz .LBB97_1135
.LBB97_648:
	s_or_b64 exec, exec, s[16:17]
	v_cmp_gt_u32_e64 s[10:11], 4, v9
	s_and_saveexec_b64 s[16:17], s[10:11]
	s_cbranch_execz .LBB97_650
.LBB97_649:
	v_lshlrev_b32_e32 v20, 2, v0
	v_mov_b32_e32 v21, 0
	ds_read_b32 v20, v20 offset:8032
	ds_read_b32 v21, v21 offset:8060
	s_waitcnt lgkmcnt(0)
	v_fmac_f32_e32 v19, v20, v21
.LBB97_650:
	s_or_b64 exec, exec, s[16:17]
.LBB97_651:
	s_or_b64 exec, exec, s[12:13]
	s_and_saveexec_b64 s[10:11], s[42:43]
; %bb.652:
	v_xor_b32_e32 v20, 0x80000000, v19
	ds_write_b32 v12, v20
; %bb.653:
	s_or_b64 exec, exec, s[10:11]
	s_waitcnt lgkmcnt(0)
	s_barrier
	s_and_saveexec_b64 s[10:11], s[44:45]
	s_cbranch_execz .LBB97_655
; %bb.654:
	v_lshlrev_b32_e32 v20, 2, v10
	ds_read_b32 v20, v20 offset:7008
	ds_read_b32 v21, v12
	s_waitcnt lgkmcnt(0)
	v_fma_f32 v19, -v20, v21, v19
.LBB97_655:
	s_or_b64 exec, exec, s[10:11]
	s_barrier
	s_and_saveexec_b64 s[10:11], s[46:47]
; %bb.656:
	v_xor_b32_e32 v20, 0x80000000, v19
	ds_write_b32 v12, v20
; %bb.657:
	s_or_b64 exec, exec, s[10:11]
	s_waitcnt lgkmcnt(0)
	s_barrier
	s_and_saveexec_b64 s[10:11], s[48:49]
	s_cbranch_execz .LBB97_659
; %bb.658:
	v_lshlrev_b32_e32 v20, 2, v10
	ds_read_b32 v20, v20 offset:6752
	ds_read_b32 v21, v12
	s_waitcnt lgkmcnt(0)
	v_fma_f32 v19, -v20, v21, v19
.LBB97_659:
	s_or_b64 exec, exec, s[10:11]
	s_barrier
	s_and_saveexec_b64 s[10:11], s[50:51]
; %bb.660:
	v_xor_b32_e32 v20, 0x80000000, v19
	ds_write_b32 v12, v20
; %bb.661:
	s_or_b64 exec, exec, s[10:11]
	s_waitcnt lgkmcnt(0)
	s_barrier
	s_and_saveexec_b64 s[10:11], s[40:41]
	s_cbranch_execz .LBB97_663
; %bb.662:
	v_mov_b32_e32 v20, 0
	ds_read_b32 v20, v20 offset:6496
	ds_read_b32 v21, v12
	s_waitcnt lgkmcnt(0)
	v_fma_f32 v19, -v20, v21, v19
.LBB97_663:
	s_or_b64 exec, exec, s[10:11]
	s_barrier
	s_and_saveexec_b64 s[10:11], s[40:41]
; %bb.664:
	v_xor_b32_e32 v20, 0x80000000, v19
	ds_write_b32 v12, v20
; %bb.665:
	s_or_b64 exec, exec, s[10:11]
	s_waitcnt lgkmcnt(0)
	s_barrier
	s_barrier
	s_and_saveexec_b64 s[10:11], s[2:3]
; %bb.666:
	v_lshlrev_b32_e32 v20, 2, v10
	v_lshl_or_b32 v20, v11, 8, v20
	ds_write_b32 v20, v19 offset:7264
; %bb.667:
	s_or_b64 exec, exec, s[10:11]
	s_waitcnt lgkmcnt(0)
	s_barrier
	s_barrier
	s_and_saveexec_b64 s[10:11], vcc
; %bb.668:
	s_movk_i32 s12, 0x1800
	v_mov_b32_e32 v19, 1.0
	v_add_u32_e64 v20, s12, 0
	ds_write2_b32 v20, v19, v19 offset0:154 offset1:219
; %bb.669:
	s_or_b64 exec, exec, s[10:11]
	v_mov_b32_e32 v19, 0
	s_waitcnt lgkmcnt(0)
	s_barrier
	buffer_wbinvl1_vol
	s_and_saveexec_b64 s[12:13], s[0:1]
	s_cbranch_execz .LBB97_673
; %bb.670:
	v_lshlrev_b32_e32 v19, 8, v3
	v_lshlrev_b32_e32 v20, 2, v2
	ds_read_b32 v21, v20 offset:6752
	ds_read_b32 v19, v19 offset:6760
	v_mov_b32_e32 v20, 0
	v_cmp_gt_u32_e64 s[10:11], 2, v9
	s_waitcnt lgkmcnt(0)
	v_fma_f32 v19, v21, v19, 0
	s_and_saveexec_b64 s[16:17], s[10:11]
	s_cbranch_execz .LBB97_672
; %bb.671:
	v_lshlrev_b32_e32 v21, 2, v0
	ds_read_b32 v21, v21 offset:7008
	ds_read_b32 v20, v20 offset:7020
	s_waitcnt lgkmcnt(0)
	v_fmac_f32_e32 v19, v21, v20
.LBB97_672:
	s_or_b64 exec, exec, s[16:17]
.LBB97_673:
	s_or_b64 exec, exec, s[12:13]
	s_and_saveexec_b64 s[10:11], s[38:39]
; %bb.674:
	v_xor_b32_e32 v20, 0x80000000, v19
	ds_write_b32 v8, v20
; %bb.675:
	s_or_b64 exec, exec, s[10:11]
	s_waitcnt lgkmcnt(0)
	s_barrier
	s_and_saveexec_b64 s[10:11], s[36:37]
	s_cbranch_execz .LBB97_677
; %bb.676:
	v_mov_b32_e32 v20, 0
	ds_read_b32 v20, v20 offset:6496
	ds_read_b32 v21, v8
	s_waitcnt lgkmcnt(0)
	v_fma_f32 v19, -v20, v21, v19
.LBB97_677:
	s_or_b64 exec, exec, s[10:11]
	s_barrier
	s_and_saveexec_b64 s[10:11], s[36:37]
; %bb.678:
	v_xor_b32_e32 v20, 0x80000000, v19
	ds_write_b32 v8, v20
; %bb.679:
	s_or_b64 exec, exec, s[10:11]
	s_waitcnt lgkmcnt(0)
	s_barrier
	s_barrier
	s_and_saveexec_b64 s[10:11], s[0:1]
; %bb.680:
	v_lshlrev_b32_e32 v20, 2, v2
	v_lshl_or_b32 v20, v3, 8, v20
	ds_write_b32 v20, v19 offset:6752
; %bb.681:
	s_or_b64 exec, exec, s[10:11]
	s_waitcnt lgkmcnt(0)
	s_barrier
	s_barrier
	s_and_saveexec_b64 s[10:11], vcc
; %bb.682:
	s_movk_i32 s12, 0x1800
	v_mov_b32_e32 v19, 1.0
	v_add_u32_e64 v20, s12, 0
	ds_write2_b32 v20, v19, v19 offset0:24 offset1:89
; %bb.683:
	s_or_b64 exec, exec, s[10:11]
	v_mov_b32_e32 v19, 0
	s_waitcnt lgkmcnt(0)
	s_barrier
	buffer_wbinvl1_vol
	s_and_saveexec_b64 s[12:13], s[14:15]
	s_cbranch_execz .LBB97_693
; %bb.684:
	v_lshlrev_b32_e32 v21, 2, v13
	v_lshlrev_b32_e32 v20, 8, v14
	ds_read_b32 v19, v21 offset:6208
	ds_read_b32 v22, v20 offset:6240
	v_cmp_gt_u32_e64 s[10:11], 56, v9
	s_waitcnt lgkmcnt(0)
	v_fma_f32 v19, v19, v22, 0
	s_and_saveexec_b64 s[16:17], s[10:11]
	s_cbranch_execnz .LBB97_1136
; %bb.685:
	s_or_b64 exec, exec, s[16:17]
	v_cmp_gt_u32_e64 s[10:11], 48, v9
	s_and_saveexec_b64 s[16:17], s[10:11]
	s_cbranch_execnz .LBB97_1137
.LBB97_686:
	s_or_b64 exec, exec, s[16:17]
	v_cmp_gt_u32_e64 s[10:11], 40, v9
	s_and_saveexec_b64 s[16:17], s[10:11]
	s_cbranch_execnz .LBB97_1138
.LBB97_687:
	s_or_b64 exec, exec, s[16:17]
	v_cmp_gt_u32_e64 s[10:11], 32, v9
	s_and_saveexec_b64 s[16:17], s[10:11]
	s_cbranch_execnz .LBB97_1139
.LBB97_688:
	s_or_b64 exec, exec, s[16:17]
	v_cmp_gt_u32_e64 s[10:11], 24, v9
	s_and_saveexec_b64 s[16:17], s[10:11]
	s_cbranch_execnz .LBB97_1140
.LBB97_689:
	s_or_b64 exec, exec, s[16:17]
	s_and_saveexec_b64 s[10:11], s[2:3]
	s_cbranch_execnz .LBB97_1141
.LBB97_690:
	s_or_b64 exec, exec, s[10:11]
	v_cmp_gt_u32_e64 s[10:11], 8, v9
	s_and_saveexec_b64 s[16:17], s[10:11]
	s_cbranch_execz .LBB97_692
.LBB97_691:
	v_lshlrev_b32_e32 v20, 2, v0
	v_mov_b32_e32 v21, 0
	ds_read_b32 v20, v20 offset:8000
	ds_read_b32 v21, v21 offset:8060
	s_waitcnt lgkmcnt(0)
	v_fmac_f32_e32 v19, v20, v21
.LBB97_692:
	s_or_b64 exec, exec, s[16:17]
.LBB97_693:
	s_or_b64 exec, exec, s[12:13]
	s_and_saveexec_b64 s[10:11], s[52:53]
; %bb.694:
	v_xor_b32_e32 v20, 0x80000000, v19
	ds_write_b32 v15, v20
; %bb.695:
	s_or_b64 exec, exec, s[10:11]
	s_waitcnt lgkmcnt(0)
	s_barrier
	s_and_saveexec_b64 s[10:11], s[54:55]
	s_cbranch_execz .LBB97_697
; %bb.696:
	v_lshlrev_b32_e32 v20, 2, v13
	ds_read_b32 v20, v20 offset:5952
	ds_read_b32 v21, v15
	s_waitcnt lgkmcnt(0)
	v_fma_f32 v19, -v20, v21, v19
.LBB97_697:
	s_or_b64 exec, exec, s[10:11]
	s_barrier
	s_and_saveexec_b64 s[10:11], s[56:57]
; %bb.698:
	v_xor_b32_e32 v20, 0x80000000, v19
	ds_write_b32 v15, v20
; %bb.699:
	s_or_b64 exec, exec, s[10:11]
	s_waitcnt lgkmcnt(0)
	s_barrier
	s_and_saveexec_b64 s[10:11], s[58:59]
	s_cbranch_execz .LBB97_701
; %bb.700:
	v_lshlrev_b32_e32 v20, 2, v13
	ds_read_b32 v20, v20 offset:5696
	ds_read_b32 v21, v15
	s_waitcnt lgkmcnt(0)
	v_fma_f32 v19, -v20, v21, v19
.LBB97_701:
	s_or_b64 exec, exec, s[10:11]
	s_barrier
	;; [unrolled: 19-line block ×6, first 2 shown]
	s_and_saveexec_b64 s[10:11], s[78:79]
; %bb.718:
	v_xor_b32_e32 v20, 0x80000000, v19
	ds_write_b32 v15, v20
; %bb.719:
	s_or_b64 exec, exec, s[10:11]
	s_waitcnt lgkmcnt(0)
	s_barrier
	s_and_saveexec_b64 s[10:11], s[62:63]
	s_cbranch_execz .LBB97_721
; %bb.720:
	v_mov_b32_e32 v20, 0
	ds_read_b32 v20, v20 offset:4416
	ds_read_b32 v21, v15
	s_waitcnt lgkmcnt(0)
	v_fma_f32 v19, -v20, v21, v19
.LBB97_721:
	s_or_b64 exec, exec, s[10:11]
	s_barrier
	s_and_saveexec_b64 s[10:11], s[62:63]
; %bb.722:
	v_xor_b32_e32 v20, 0x80000000, v19
	ds_write_b32 v15, v20
; %bb.723:
	s_or_b64 exec, exec, s[10:11]
	s_waitcnt lgkmcnt(0)
	s_barrier
	s_barrier
	s_and_saveexec_b64 s[10:11], s[14:15]
; %bb.724:
	v_lshlrev_b32_e32 v20, 2, v13
	v_lshl_or_b32 v20, v14, 8, v20
	ds_write_b32 v20, v19 offset:6208
; %bb.725:
	s_or_b64 exec, exec, s[10:11]
	s_waitcnt lgkmcnt(0)
	s_barrier
	s_barrier
	s_and_saveexec_b64 s[10:11], vcc
; %bb.726:
	s_movk_i32 s12, 0x1400
	v_mov_b32_e32 v19, 1.0
	v_add_u32_e64 v20, s12, 0
	ds_write2_b32 v20, v19, v19 offset0:150 offset1:215
; %bb.727:
	s_or_b64 exec, exec, s[10:11]
	v_mov_b32_e32 v19, 0
	s_waitcnt lgkmcnt(0)
	s_barrier
	buffer_wbinvl1_vol
	s_and_saveexec_b64 s[12:13], s[0:1]
	s_cbranch_execz .LBB97_731
; %bb.728:
	v_lshlrev_b32_e32 v19, 8, v3
	v_lshlrev_b32_e32 v20, 2, v2
	ds_read_b32 v21, v20 offset:5712
	ds_read_b32 v19, v19 offset:5720
	v_mov_b32_e32 v20, 0
	v_cmp_gt_u32_e64 s[10:11], 2, v9
	s_waitcnt lgkmcnt(0)
	v_fma_f32 v19, v21, v19, 0
	s_and_saveexec_b64 s[16:17], s[10:11]
	s_cbranch_execz .LBB97_730
; %bb.729:
	v_lshlrev_b32_e32 v21, 2, v0
	ds_read_b32 v21, v21 offset:5968
	ds_read_b32 v20, v20 offset:5980
	s_waitcnt lgkmcnt(0)
	v_fmac_f32_e32 v19, v21, v20
.LBB97_730:
	s_or_b64 exec, exec, s[16:17]
.LBB97_731:
	s_or_b64 exec, exec, s[12:13]
	s_and_saveexec_b64 s[10:11], s[38:39]
; %bb.732:
	v_xor_b32_e32 v20, 0x80000000, v19
	ds_write_b32 v8, v20
; %bb.733:
	s_or_b64 exec, exec, s[10:11]
	s_waitcnt lgkmcnt(0)
	s_barrier
	s_and_saveexec_b64 s[10:11], s[36:37]
	s_cbranch_execz .LBB97_735
; %bb.734:
	v_mov_b32_e32 v20, 0
	ds_read_b32 v20, v20 offset:5456
	ds_read_b32 v21, v8
	s_waitcnt lgkmcnt(0)
	v_fma_f32 v19, -v20, v21, v19
.LBB97_735:
	s_or_b64 exec, exec, s[10:11]
	s_barrier
	s_and_saveexec_b64 s[10:11], s[36:37]
; %bb.736:
	v_xor_b32_e32 v20, 0x80000000, v19
	ds_write_b32 v8, v20
; %bb.737:
	s_or_b64 exec, exec, s[10:11]
	s_waitcnt lgkmcnt(0)
	s_barrier
	s_barrier
	s_and_saveexec_b64 s[10:11], s[0:1]
; %bb.738:
	v_lshlrev_b32_e32 v20, 2, v2
	v_lshl_or_b32 v20, v3, 8, v20
	ds_write_b32 v20, v19 offset:5712
; %bb.739:
	s_or_b64 exec, exec, s[10:11]
	s_waitcnt lgkmcnt(0)
	s_barrier
	s_barrier
	s_and_saveexec_b64 s[10:11], vcc
; %bb.740:
	s_movk_i32 s12, 0x1400
	v_mov_b32_e32 v19, 1.0
	v_add_u32_e64 v20, s12, 0
	ds_write2_b32 v20, v19, v19 offset0:20 offset1:85
; %bb.741:
	s_or_b64 exec, exec, s[10:11]
	v_mov_b32_e32 v19, 0
	s_waitcnt lgkmcnt(0)
	s_barrier
	buffer_wbinvl1_vol
	s_and_saveexec_b64 s[12:13], s[2:3]
	s_cbranch_execz .LBB97_747
; %bb.742:
	v_lshlrev_b32_e32 v21, 2, v10
	v_lshlrev_b32_e32 v20, 8, v11
	ds_read_b32 v19, v21 offset:5184
	ds_read_b32 v22, v20 offset:5200
	v_cmp_gt_u32_e64 s[10:11], 12, v9
	s_waitcnt lgkmcnt(0)
	v_fma_f32 v19, v19, v22, 0
	s_and_saveexec_b64 s[16:17], s[10:11]
	s_cbranch_execnz .LBB97_1142
; %bb.743:
	s_or_b64 exec, exec, s[16:17]
	v_cmp_gt_u32_e64 s[10:11], 8, v9
	s_and_saveexec_b64 s[16:17], s[10:11]
	s_cbranch_execnz .LBB97_1143
.LBB97_744:
	s_or_b64 exec, exec, s[16:17]
	v_cmp_gt_u32_e64 s[10:11], 4, v9
	s_and_saveexec_b64 s[16:17], s[10:11]
	s_cbranch_execz .LBB97_746
.LBB97_745:
	v_lshlrev_b32_e32 v20, 2, v0
	v_mov_b32_e32 v21, 0
	ds_read_b32 v20, v20 offset:5952
	ds_read_b32 v21, v21 offset:5980
	s_waitcnt lgkmcnt(0)
	v_fmac_f32_e32 v19, v20, v21
.LBB97_746:
	s_or_b64 exec, exec, s[16:17]
.LBB97_747:
	s_or_b64 exec, exec, s[12:13]
	s_and_saveexec_b64 s[10:11], s[42:43]
; %bb.748:
	v_xor_b32_e32 v20, 0x80000000, v19
	ds_write_b32 v12, v20
; %bb.749:
	s_or_b64 exec, exec, s[10:11]
	s_waitcnt lgkmcnt(0)
	s_barrier
	s_and_saveexec_b64 s[10:11], s[44:45]
	s_cbranch_execz .LBB97_751
; %bb.750:
	v_lshlrev_b32_e32 v20, 2, v10
	ds_read_b32 v20, v20 offset:4928
	ds_read_b32 v21, v12
	s_waitcnt lgkmcnt(0)
	v_fma_f32 v19, -v20, v21, v19
.LBB97_751:
	s_or_b64 exec, exec, s[10:11]
	s_barrier
	s_and_saveexec_b64 s[10:11], s[46:47]
; %bb.752:
	v_xor_b32_e32 v20, 0x80000000, v19
	ds_write_b32 v12, v20
; %bb.753:
	s_or_b64 exec, exec, s[10:11]
	s_waitcnt lgkmcnt(0)
	s_barrier
	s_and_saveexec_b64 s[10:11], s[48:49]
	s_cbranch_execz .LBB97_755
; %bb.754:
	v_lshlrev_b32_e32 v20, 2, v10
	ds_read_b32 v20, v20 offset:4672
	ds_read_b32 v21, v12
	s_waitcnt lgkmcnt(0)
	v_fma_f32 v19, -v20, v21, v19
.LBB97_755:
	s_or_b64 exec, exec, s[10:11]
	s_barrier
	s_and_saveexec_b64 s[10:11], s[50:51]
; %bb.756:
	v_xor_b32_e32 v20, 0x80000000, v19
	ds_write_b32 v12, v20
; %bb.757:
	s_or_b64 exec, exec, s[10:11]
	s_waitcnt lgkmcnt(0)
	s_barrier
	s_and_saveexec_b64 s[10:11], s[40:41]
	s_cbranch_execz .LBB97_759
; %bb.758:
	v_mov_b32_e32 v20, 0
	ds_read_b32 v20, v20 offset:4416
	ds_read_b32 v21, v12
	s_waitcnt lgkmcnt(0)
	v_fma_f32 v19, -v20, v21, v19
.LBB97_759:
	s_or_b64 exec, exec, s[10:11]
	s_barrier
	s_and_saveexec_b64 s[10:11], s[40:41]
; %bb.760:
	v_xor_b32_e32 v20, 0x80000000, v19
	ds_write_b32 v12, v20
; %bb.761:
	s_or_b64 exec, exec, s[10:11]
	s_waitcnt lgkmcnt(0)
	s_barrier
	s_barrier
	s_and_saveexec_b64 s[10:11], s[2:3]
; %bb.762:
	v_lshlrev_b32_e32 v20, 2, v10
	v_lshl_or_b32 v20, v11, 8, v20
	ds_write_b32 v20, v19 offset:5184
; %bb.763:
	s_or_b64 exec, exec, s[10:11]
	s_waitcnt lgkmcnt(0)
	s_barrier
	s_barrier
	s_and_saveexec_b64 s[10:11], vcc
; %bb.764:
	s_movk_i32 s12, 0x1000
	v_mov_b32_e32 v19, 1.0
	v_add_u32_e64 v20, s12, 0
	ds_write2_b32 v20, v19, v19 offset0:146 offset1:211
; %bb.765:
	s_or_b64 exec, exec, s[10:11]
	v_mov_b32_e32 v19, 0
	s_waitcnt lgkmcnt(0)
	s_barrier
	buffer_wbinvl1_vol
	s_and_saveexec_b64 s[12:13], s[0:1]
	s_cbranch_execz .LBB97_769
; %bb.766:
	v_lshlrev_b32_e32 v19, 8, v3
	v_lshlrev_b32_e32 v20, 2, v2
	ds_read_b32 v21, v20 offset:4672
	ds_read_b32 v19, v19 offset:4680
	v_mov_b32_e32 v20, 0
	v_cmp_gt_u32_e64 s[10:11], 2, v9
	s_waitcnt lgkmcnt(0)
	v_fma_f32 v19, v21, v19, 0
	s_and_saveexec_b64 s[16:17], s[10:11]
	s_cbranch_execz .LBB97_768
; %bb.767:
	v_lshlrev_b32_e32 v21, 2, v0
	ds_read_b32 v21, v21 offset:4928
	ds_read_b32 v20, v20 offset:4940
	s_waitcnt lgkmcnt(0)
	v_fmac_f32_e32 v19, v21, v20
.LBB97_768:
	s_or_b64 exec, exec, s[16:17]
.LBB97_769:
	s_or_b64 exec, exec, s[12:13]
	s_and_saveexec_b64 s[10:11], s[38:39]
; %bb.770:
	v_xor_b32_e32 v20, 0x80000000, v19
	ds_write_b32 v8, v20
; %bb.771:
	s_or_b64 exec, exec, s[10:11]
	s_waitcnt lgkmcnt(0)
	s_barrier
	s_and_saveexec_b64 s[10:11], s[36:37]
	s_cbranch_execz .LBB97_773
; %bb.772:
	v_mov_b32_e32 v20, 0
	ds_read_b32 v20, v20 offset:4416
	ds_read_b32 v21, v8
	s_waitcnt lgkmcnt(0)
	v_fma_f32 v19, -v20, v21, v19
.LBB97_773:
	s_or_b64 exec, exec, s[10:11]
	s_barrier
	s_and_saveexec_b64 s[10:11], s[36:37]
; %bb.774:
	v_xor_b32_e32 v20, 0x80000000, v19
	ds_write_b32 v8, v20
; %bb.775:
	s_or_b64 exec, exec, s[10:11]
	s_waitcnt lgkmcnt(0)
	s_barrier
	s_barrier
	s_and_saveexec_b64 s[10:11], s[0:1]
; %bb.776:
	v_lshlrev_b32_e32 v20, 2, v2
	v_lshl_or_b32 v20, v3, 8, v20
	ds_write_b32 v20, v19 offset:4672
; %bb.777:
	s_or_b64 exec, exec, s[10:11]
	s_waitcnt lgkmcnt(0)
	s_barrier
	s_barrier
	s_and_saveexec_b64 s[10:11], vcc
; %bb.778:
	s_movk_i32 s12, 0x1000
	v_mov_b32_e32 v19, 1.0
	v_add_u32_e64 v20, s12, 0
	ds_write2_b32 v20, v19, v19 offset0:16 offset1:81
; %bb.779:
	s_or_b64 exec, exec, s[10:11]
	v_mov_b32_e32 v19, 0
	s_waitcnt lgkmcnt(0)
	s_barrier
	buffer_wbinvl1_vol
	s_and_saveexec_b64 s[12:13], s[8:9]
	s_cbranch_execz .LBB97_807
; %bb.780:
	v_lshlrev_b32_e32 v21, 2, v16
	v_lshlrev_b32_e32 v20, 8, v17
	ds_read_b32 v19, v21 offset:4096
	ds_read_b32 v22, v20 offset:4160
	s_movk_i32 s10, 0xf0
	v_cmp_gt_u32_e64 s[10:11], s10, v9
	s_waitcnt lgkmcnt(0)
	v_fma_f32 v19, v19, v22, 0
	s_and_saveexec_b64 s[16:17], s[10:11]
	s_cbranch_execz .LBB97_782
; %bb.781:
	ds_read_b32 v22, v21 offset:4352
	ds_read_b32 v23, v20 offset:4164
	s_waitcnt lgkmcnt(0)
	v_fmac_f32_e32 v19, v22, v23
.LBB97_782:
	s_or_b64 exec, exec, s[16:17]
	s_movk_i32 s10, 0xe0
	v_cmp_gt_u32_e64 s[10:11], s10, v9
	s_and_saveexec_b64 s[16:17], s[10:11]
	s_cbranch_execz .LBB97_784
; %bb.783:
	ds_read_b32 v22, v21 offset:4608
	ds_read_b32 v23, v20 offset:4168
	s_waitcnt lgkmcnt(0)
	v_fmac_f32_e32 v19, v22, v23
.LBB97_784:
	s_or_b64 exec, exec, s[16:17]
	s_movk_i32 s10, 0xd0
	v_cmp_gt_u32_e64 s[10:11], s10, v9
	;; [unrolled: 11-line block ×10, first 2 shown]
	s_and_saveexec_b64 s[16:17], s[10:11]
	s_cbranch_execnz .LBB97_1144
; %bb.801:
	s_or_b64 exec, exec, s[16:17]
	s_and_saveexec_b64 s[10:11], s[14:15]
	s_cbranch_execnz .LBB97_1145
.LBB97_802:
	s_or_b64 exec, exec, s[10:11]
	v_cmp_gt_u32_e64 s[10:11], 48, v9
	s_and_saveexec_b64 s[16:17], s[10:11]
	s_cbranch_execnz .LBB97_1146
.LBB97_803:
	s_or_b64 exec, exec, s[16:17]
	v_cmp_gt_u32_e64 s[10:11], 32, v9
	s_and_saveexec_b64 s[16:17], s[10:11]
	s_cbranch_execnz .LBB97_1147
.LBB97_804:
	s_or_b64 exec, exec, s[16:17]
	v_cmp_gt_u32_e64 s[10:11], 16, v9
	s_and_saveexec_b64 s[16:17], s[10:11]
	s_cbranch_execz .LBB97_806
.LBB97_805:
	v_lshlrev_b32_e32 v20, 2, v0
	v_mov_b32_e32 v21, 0
	ds_read_b32 v20, v20 offset:7936
	ds_read_b32 v21, v21 offset:8060
	s_waitcnt lgkmcnt(0)
	v_fmac_f32_e32 v19, v20, v21
.LBB97_806:
	s_or_b64 exec, exec, s[16:17]
.LBB97_807:
	s_or_b64 exec, exec, s[12:13]
	s_mov_b64 s[10:11], exec
	v_readlane_b32 s12, v27, 1
	v_readlane_b32 s13, v27, 2
	s_and_b64 s[12:13], s[10:11], s[12:13]
	s_mov_b64 exec, s[12:13]
; %bb.808:
	v_xor_b32_e32 v20, 0x80000000, v19
	ds_write_b32 v18, v20
; %bb.809:
	s_or_b64 exec, exec, s[10:11]
	s_waitcnt lgkmcnt(0)
	s_barrier
	s_mov_b64 s[10:11], exec
	v_readlane_b32 s12, v27, 3
	v_readlane_b32 s13, v27, 4
	s_and_b64 s[12:13], s[10:11], s[12:13]
	s_mov_b64 exec, s[12:13]
	s_cbranch_execz .LBB97_811
; %bb.810:
	v_lshlrev_b32_e32 v20, 2, v16
	ds_read_b32 v20, v20 offset:3840
	ds_read_b32 v21, v18
	s_waitcnt lgkmcnt(0)
	v_fma_f32 v19, -v20, v21, v19
.LBB97_811:
	s_or_b64 exec, exec, s[10:11]
	s_barrier
	s_mov_b64 s[10:11], exec
	v_readlane_b32 s12, v27, 5
	v_readlane_b32 s13, v27, 6
	s_and_b64 s[12:13], s[10:11], s[12:13]
	s_mov_b64 exec, s[12:13]
; %bb.812:
	v_xor_b32_e32 v20, 0x80000000, v19
	ds_write_b32 v18, v20
; %bb.813:
	s_or_b64 exec, exec, s[10:11]
	s_waitcnt lgkmcnt(0)
	s_barrier
	s_mov_b64 s[10:11], exec
	v_readlane_b32 s12, v27, 7
	v_readlane_b32 s13, v27, 8
	s_and_b64 s[12:13], s[10:11], s[12:13]
	s_mov_b64 exec, s[12:13]
	s_cbranch_execz .LBB97_815
; %bb.814:
	v_lshlrev_b32_e32 v20, 2, v16
	ds_read_b32 v20, v20 offset:3584
	ds_read_b32 v21, v18
	s_waitcnt lgkmcnt(0)
	v_fma_f32 v19, -v20, v21, v19
.LBB97_815:
	s_or_b64 exec, exec, s[10:11]
	s_barrier
	s_mov_b64 s[10:11], exec
	v_readlane_b32 s12, v27, 9
	v_readlane_b32 s13, v27, 10
	s_and_b64 s[12:13], s[10:11], s[12:13]
	s_mov_b64 exec, s[12:13]
; %bb.816:
	v_xor_b32_e32 v20, 0x80000000, v19
	ds_write_b32 v18, v20
; %bb.817:
	s_or_b64 exec, exec, s[10:11]
	s_waitcnt lgkmcnt(0)
	s_barrier
	s_mov_b64 s[10:11], exec
	v_readlane_b32 s12, v27, 11
	v_readlane_b32 s13, v27, 12
	s_and_b64 s[12:13], s[10:11], s[12:13]
	s_mov_b64 exec, s[12:13]
	s_cbranch_execz .LBB97_819
; %bb.818:
	v_lshlrev_b32_e32 v20, 2, v16
	ds_read_b32 v20, v20 offset:3328
	ds_read_b32 v21, v18
	s_waitcnt lgkmcnt(0)
	v_fma_f32 v19, -v20, v21, v19
.LBB97_819:
	s_or_b64 exec, exec, s[10:11]
	s_barrier
	s_mov_b64 s[10:11], exec
	v_readlane_b32 s12, v27, 13
	v_readlane_b32 s13, v27, 14
	s_and_b64 s[12:13], s[10:11], s[12:13]
	s_mov_b64 exec, s[12:13]
; %bb.820:
	v_xor_b32_e32 v20, 0x80000000, v19
	ds_write_b32 v18, v20
; %bb.821:
	s_or_b64 exec, exec, s[10:11]
	s_waitcnt lgkmcnt(0)
	s_barrier
	s_mov_b64 s[10:11], exec
	v_readlane_b32 s12, v27, 15
	v_readlane_b32 s13, v27, 16
	s_and_b64 s[12:13], s[10:11], s[12:13]
	s_mov_b64 exec, s[12:13]
	s_cbranch_execz .LBB97_823
; %bb.822:
	v_lshlrev_b32_e32 v20, 2, v16
	ds_read_b32 v20, v20 offset:3072
	ds_read_b32 v21, v18
	s_waitcnt lgkmcnt(0)
	v_fma_f32 v19, -v20, v21, v19
.LBB97_823:
	s_or_b64 exec, exec, s[10:11]
	s_barrier
	s_mov_b64 s[10:11], exec
	v_readlane_b32 s12, v27, 17
	v_readlane_b32 s13, v27, 18
	s_and_b64 s[12:13], s[10:11], s[12:13]
	s_mov_b64 exec, s[12:13]
; %bb.824:
	v_xor_b32_e32 v20, 0x80000000, v19
	ds_write_b32 v18, v20
; %bb.825:
	s_or_b64 exec, exec, s[10:11]
	s_waitcnt lgkmcnt(0)
	s_barrier
	s_mov_b64 s[10:11], exec
	v_readlane_b32 s12, v27, 19
	v_readlane_b32 s13, v27, 20
	s_and_b64 s[12:13], s[10:11], s[12:13]
	s_mov_b64 exec, s[12:13]
	s_cbranch_execz .LBB97_827
; %bb.826:
	v_lshlrev_b32_e32 v20, 2, v16
	ds_read_b32 v20, v20 offset:2816
	ds_read_b32 v21, v18
	s_waitcnt lgkmcnt(0)
	v_fma_f32 v19, -v20, v21, v19
.LBB97_827:
	s_or_b64 exec, exec, s[10:11]
	s_barrier
	s_mov_b64 s[10:11], exec
	v_readlane_b32 s12, v27, 21
	v_readlane_b32 s13, v27, 22
	s_and_b64 s[12:13], s[10:11], s[12:13]
	s_mov_b64 exec, s[12:13]
; %bb.828:
	v_xor_b32_e32 v20, 0x80000000, v19
	ds_write_b32 v18, v20
; %bb.829:
	s_or_b64 exec, exec, s[10:11]
	s_waitcnt lgkmcnt(0)
	s_barrier
	s_mov_b64 s[10:11], exec
	v_readlane_b32 s12, v27, 23
	v_readlane_b32 s13, v27, 24
	s_and_b64 s[12:13], s[10:11], s[12:13]
	s_mov_b64 exec, s[12:13]
	s_cbranch_execz .LBB97_831
; %bb.830:
	v_lshlrev_b32_e32 v20, 2, v16
	ds_read_b32 v20, v20 offset:2560
	ds_read_b32 v21, v18
	s_waitcnt lgkmcnt(0)
	v_fma_f32 v19, -v20, v21, v19
.LBB97_831:
	s_or_b64 exec, exec, s[10:11]
	s_barrier
	s_mov_b64 s[10:11], exec
	v_readlane_b32 s12, v27, 25
	v_readlane_b32 s13, v27, 26
	s_and_b64 s[12:13], s[10:11], s[12:13]
	s_mov_b64 exec, s[12:13]
; %bb.832:
	v_xor_b32_e32 v20, 0x80000000, v19
	ds_write_b32 v18, v20
; %bb.833:
	s_or_b64 exec, exec, s[10:11]
	s_waitcnt lgkmcnt(0)
	s_barrier
	s_mov_b64 s[10:11], exec
	v_readlane_b32 s12, v27, 27
	v_readlane_b32 s13, v27, 28
	s_and_b64 s[12:13], s[10:11], s[12:13]
	s_mov_b64 exec, s[12:13]
	s_cbranch_execz .LBB97_835
; %bb.834:
	v_lshlrev_b32_e32 v20, 2, v16
	ds_read_b32 v20, v20 offset:2304
	ds_read_b32 v21, v18
	s_waitcnt lgkmcnt(0)
	v_fma_f32 v19, -v20, v21, v19
.LBB97_835:
	s_or_b64 exec, exec, s[10:11]
	s_barrier
	s_mov_b64 s[10:11], exec
	v_readlane_b32 s12, v27, 29
	v_readlane_b32 s13, v27, 30
	s_and_b64 s[12:13], s[10:11], s[12:13]
	s_mov_b64 exec, s[12:13]
; %bb.836:
	v_xor_b32_e32 v20, 0x80000000, v19
	ds_write_b32 v18, v20
; %bb.837:
	s_or_b64 exec, exec, s[10:11]
	s_waitcnt lgkmcnt(0)
	s_barrier
	s_mov_b64 s[10:11], exec
	v_readlane_b32 s12, v27, 31
	v_readlane_b32 s13, v27, 32
	s_and_b64 s[12:13], s[10:11], s[12:13]
	s_mov_b64 exec, s[12:13]
	s_cbranch_execz .LBB97_839
; %bb.838:
	v_lshlrev_b32_e32 v20, 2, v16
	ds_read_b32 v20, v20 offset:2048
	ds_read_b32 v21, v18
	s_waitcnt lgkmcnt(0)
	v_fma_f32 v19, -v20, v21, v19
.LBB97_839:
	s_or_b64 exec, exec, s[10:11]
	s_barrier
	s_mov_b64 s[10:11], exec
	v_readlane_b32 s12, v27, 33
	v_readlane_b32 s13, v27, 34
	s_and_b64 s[12:13], s[10:11], s[12:13]
	s_mov_b64 exec, s[12:13]
; %bb.840:
	v_xor_b32_e32 v20, 0x80000000, v19
	ds_write_b32 v18, v20
; %bb.841:
	s_or_b64 exec, exec, s[10:11]
	s_waitcnt lgkmcnt(0)
	s_barrier
	s_mov_b64 s[10:11], exec
	v_readlane_b32 s12, v27, 35
	v_readlane_b32 s13, v27, 36
	s_and_b64 s[12:13], s[10:11], s[12:13]
	s_mov_b64 exec, s[12:13]
	s_cbranch_execz .LBB97_843
; %bb.842:
	v_lshlrev_b32_e32 v20, 2, v16
	ds_read_b32 v20, v20 offset:1792
	ds_read_b32 v21, v18
	s_waitcnt lgkmcnt(0)
	v_fma_f32 v19, -v20, v21, v19
.LBB97_843:
	s_or_b64 exec, exec, s[10:11]
	s_barrier
	s_mov_b64 s[10:11], exec
	v_readlane_b32 s12, v27, 37
	v_readlane_b32 s13, v27, 38
	s_and_b64 s[12:13], s[10:11], s[12:13]
	s_mov_b64 exec, s[12:13]
; %bb.844:
	v_xor_b32_e32 v20, 0x80000000, v19
	ds_write_b32 v18, v20
; %bb.845:
	s_or_b64 exec, exec, s[10:11]
	s_waitcnt lgkmcnt(0)
	s_barrier
	s_mov_b64 s[10:11], exec
	v_readlane_b32 s12, v27, 39
	v_readlane_b32 s13, v27, 40
	s_and_b64 s[12:13], s[10:11], s[12:13]
	s_mov_b64 exec, s[12:13]
	s_cbranch_execz .LBB97_847
; %bb.846:
	v_lshlrev_b32_e32 v20, 2, v16
	ds_read_b32 v20, v20 offset:1536
	ds_read_b32 v21, v18
	s_waitcnt lgkmcnt(0)
	v_fma_f32 v19, -v20, v21, v19
.LBB97_847:
	s_or_b64 exec, exec, s[10:11]
	s_barrier
	s_mov_b64 s[10:11], exec
	v_readlane_b32 s12, v27, 41
	v_readlane_b32 s13, v27, 42
	s_and_b64 s[12:13], s[10:11], s[12:13]
	s_mov_b64 exec, s[12:13]
; %bb.848:
	v_xor_b32_e32 v20, 0x80000000, v19
	ds_write_b32 v18, v20
; %bb.849:
	s_or_b64 exec, exec, s[10:11]
	s_waitcnt lgkmcnt(0)
	s_barrier
	s_mov_b64 s[10:11], exec
	v_readlane_b32 s12, v27, 43
	v_readlane_b32 s13, v27, 44
	s_and_b64 s[12:13], s[10:11], s[12:13]
	s_mov_b64 exec, s[12:13]
	s_cbranch_execz .LBB97_851
; %bb.850:
	v_lshlrev_b32_e32 v20, 2, v16
	ds_read_b32 v20, v20 offset:1280
	ds_read_b32 v21, v18
	s_waitcnt lgkmcnt(0)
	v_fma_f32 v19, -v20, v21, v19
.LBB97_851:
	s_or_b64 exec, exec, s[10:11]
	s_barrier
	s_mov_b64 s[10:11], exec
	v_readlane_b32 s12, v27, 45
	v_readlane_b32 s13, v27, 46
	s_and_b64 s[12:13], s[10:11], s[12:13]
	s_mov_b64 exec, s[12:13]
; %bb.852:
	v_xor_b32_e32 v20, 0x80000000, v19
	ds_write_b32 v18, v20
; %bb.853:
	s_or_b64 exec, exec, s[10:11]
	s_waitcnt lgkmcnt(0)
	s_barrier
	s_mov_b64 s[10:11], exec
	v_readlane_b32 s12, v27, 47
	v_readlane_b32 s13, v27, 48
	s_and_b64 s[12:13], s[10:11], s[12:13]
	s_mov_b64 exec, s[12:13]
	s_cbranch_execz .LBB97_855
; %bb.854:
	v_lshlrev_b32_e32 v20, 2, v16
	ds_read_b32 v20, v20 offset:1024
	ds_read_b32 v21, v18
	s_waitcnt lgkmcnt(0)
	v_fma_f32 v19, -v20, v21, v19
.LBB97_855:
	s_or_b64 exec, exec, s[10:11]
	s_barrier
	s_mov_b64 s[10:11], exec
	v_readlane_b32 s12, v27, 49
	v_readlane_b32 s13, v27, 50
	s_and_b64 s[12:13], s[10:11], s[12:13]
	s_mov_b64 exec, s[12:13]
; %bb.856:
	v_xor_b32_e32 v20, 0x80000000, v19
	ds_write_b32 v18, v20
; %bb.857:
	s_or_b64 exec, exec, s[10:11]
	s_waitcnt lgkmcnt(0)
	s_barrier
	s_mov_b64 s[10:11], exec
	v_readlane_b32 s12, v27, 51
	v_readlane_b32 s13, v27, 52
	s_and_b64 s[12:13], s[10:11], s[12:13]
	s_mov_b64 exec, s[12:13]
	s_cbranch_execz .LBB97_859
; %bb.858:
	v_lshlrev_b32_e32 v20, 2, v16
	ds_read_b32 v20, v20 offset:768
	ds_read_b32 v21, v18
	s_waitcnt lgkmcnt(0)
	v_fma_f32 v19, -v20, v21, v19
.LBB97_859:
	s_or_b64 exec, exec, s[10:11]
	s_barrier
	s_and_saveexec_b64 s[10:11], s[86:87]
; %bb.860:
	v_xor_b32_e32 v20, 0x80000000, v19
	ds_write_b32 v18, v20
; %bb.861:
	s_or_b64 exec, exec, s[10:11]
	s_waitcnt lgkmcnt(0)
	s_barrier
	s_and_saveexec_b64 s[10:11], s[88:89]
	s_cbranch_execz .LBB97_863
; %bb.862:
	v_lshlrev_b32_e32 v20, 2, v16
	ds_read_b32 v20, v20 offset:512
	ds_read_b32 v21, v18
	s_waitcnt lgkmcnt(0)
	v_fma_f32 v19, -v20, v21, v19
.LBB97_863:
	s_or_b64 exec, exec, s[10:11]
	s_barrier
	s_and_saveexec_b64 s[10:11], s[92:93]
; %bb.864:
	v_xor_b32_e32 v20, 0x80000000, v19
	ds_write_b32 v18, v20
; %bb.865:
	s_or_b64 exec, exec, s[10:11]
	s_waitcnt lgkmcnt(0)
	s_barrier
	s_and_saveexec_b64 s[10:11], s[90:91]
	s_cbranch_execz .LBB97_867
; %bb.866:
	v_mov_b32_e32 v20, 0
	ds_read_b32 v20, v20 offset:256
	ds_read_b32 v21, v18
	s_waitcnt lgkmcnt(0)
	v_fma_f32 v19, -v20, v21, v19
.LBB97_867:
	s_or_b64 exec, exec, s[10:11]
	s_barrier
	s_and_saveexec_b64 s[10:11], s[90:91]
; %bb.868:
	v_xor_b32_e32 v20, 0x80000000, v19
	ds_write_b32 v18, v20
; %bb.869:
	s_or_b64 exec, exec, s[10:11]
	s_waitcnt lgkmcnt(0)
	s_barrier
	s_barrier
	s_and_saveexec_b64 s[10:11], s[8:9]
; %bb.870:
	v_lshlrev_b32_e32 v16, 2, v16
	v_lshl_or_b32 v16, v17, 8, v16
	ds_write_b32 v16, v19 offset:4096
; %bb.871:
	s_or_b64 exec, exec, s[10:11]
	s_waitcnt lgkmcnt(0)
	s_barrier
	s_barrier
	s_and_saveexec_b64 s[8:9], vcc
; %bb.872:
	s_movk_i32 s10, 0xc00
	v_mov_b32_e32 v16, 1.0
	v_add_u32_e64 v17, s10, 0
	ds_write2_b32 v17, v16, v16 offset0:142 offset1:207
; %bb.873:
	s_or_b64 exec, exec, s[8:9]
	v_mov_b32_e32 v16, 0
	s_waitcnt lgkmcnt(0)
	s_barrier
	buffer_wbinvl1_vol
	s_and_saveexec_b64 s[10:11], s[0:1]
	s_cbranch_execz .LBB97_877
; %bb.874:
	v_lshlrev_b32_e32 v16, 8, v3
	v_lshlrev_b32_e32 v17, 2, v2
	ds_read_b32 v18, v17 offset:3632
	ds_read_b32 v16, v16 offset:3640
	v_mov_b32_e32 v17, 0
	v_cmp_gt_u32_e64 s[8:9], 2, v9
	s_waitcnt lgkmcnt(0)
	v_fma_f32 v16, v18, v16, 0
	s_and_saveexec_b64 s[12:13], s[8:9]
	s_cbranch_execz .LBB97_876
; %bb.875:
	v_lshlrev_b32_e32 v18, 2, v0
	ds_read_b32 v18, v18 offset:3888
	ds_read_b32 v17, v17 offset:3900
	s_waitcnt lgkmcnt(0)
	v_fmac_f32_e32 v16, v18, v17
.LBB97_876:
	s_or_b64 exec, exec, s[12:13]
.LBB97_877:
	s_or_b64 exec, exec, s[10:11]
	s_and_saveexec_b64 s[8:9], s[38:39]
; %bb.878:
	v_xor_b32_e32 v17, 0x80000000, v16
	ds_write_b32 v8, v17
; %bb.879:
	s_or_b64 exec, exec, s[8:9]
	s_waitcnt lgkmcnt(0)
	s_barrier
	s_and_saveexec_b64 s[8:9], s[36:37]
	s_cbranch_execz .LBB97_881
; %bb.880:
	v_mov_b32_e32 v17, 0
	ds_read_b32 v17, v17 offset:3376
	ds_read_b32 v18, v8
	s_waitcnt lgkmcnt(0)
	v_fma_f32 v16, -v17, v18, v16
.LBB97_881:
	s_or_b64 exec, exec, s[8:9]
	s_barrier
	s_and_saveexec_b64 s[8:9], s[36:37]
; %bb.882:
	v_xor_b32_e32 v17, 0x80000000, v16
	ds_write_b32 v8, v17
; %bb.883:
	s_or_b64 exec, exec, s[8:9]
	s_waitcnt lgkmcnt(0)
	s_barrier
	s_barrier
	s_and_saveexec_b64 s[8:9], s[0:1]
; %bb.884:
	v_lshlrev_b32_e32 v17, 2, v2
	v_lshl_or_b32 v17, v3, 8, v17
	ds_write_b32 v17, v16 offset:3632
; %bb.885:
	s_or_b64 exec, exec, s[8:9]
	s_waitcnt lgkmcnt(0)
	s_barrier
	s_barrier
	s_and_saveexec_b64 s[8:9], vcc
; %bb.886:
	s_movk_i32 s10, 0xc00
	v_mov_b32_e32 v16, 1.0
	v_add_u32_e64 v17, s10, 0
	ds_write2_b32 v17, v16, v16 offset0:12 offset1:77
; %bb.887:
	s_or_b64 exec, exec, s[8:9]
	v_mov_b32_e32 v16, 0
	s_waitcnt lgkmcnt(0)
	s_barrier
	buffer_wbinvl1_vol
	s_and_saveexec_b64 s[10:11], s[2:3]
	s_cbranch_execz .LBB97_893
; %bb.888:
	v_lshlrev_b32_e32 v18, 2, v10
	v_lshlrev_b32_e32 v17, 8, v11
	ds_read_b32 v16, v18 offset:3104
	ds_read_b32 v19, v17 offset:3120
	v_cmp_gt_u32_e64 s[8:9], 12, v9
	s_waitcnt lgkmcnt(0)
	v_fma_f32 v16, v16, v19, 0
	s_and_saveexec_b64 s[12:13], s[8:9]
	s_cbranch_execnz .LBB97_1148
; %bb.889:
	s_or_b64 exec, exec, s[12:13]
	v_cmp_gt_u32_e64 s[8:9], 8, v9
	s_and_saveexec_b64 s[12:13], s[8:9]
	s_cbranch_execnz .LBB97_1149
.LBB97_890:
	s_or_b64 exec, exec, s[12:13]
	v_cmp_gt_u32_e64 s[8:9], 4, v9
	s_and_saveexec_b64 s[12:13], s[8:9]
	s_cbranch_execz .LBB97_892
.LBB97_891:
	v_lshlrev_b32_e32 v17, 2, v0
	v_mov_b32_e32 v18, 0
	ds_read_b32 v17, v17 offset:3872
	ds_read_b32 v18, v18 offset:3900
	s_waitcnt lgkmcnt(0)
	v_fmac_f32_e32 v16, v17, v18
.LBB97_892:
	s_or_b64 exec, exec, s[12:13]
.LBB97_893:
	s_or_b64 exec, exec, s[10:11]
	s_and_saveexec_b64 s[8:9], s[42:43]
; %bb.894:
	v_xor_b32_e32 v17, 0x80000000, v16
	ds_write_b32 v12, v17
; %bb.895:
	s_or_b64 exec, exec, s[8:9]
	s_waitcnt lgkmcnt(0)
	s_barrier
	s_and_saveexec_b64 s[8:9], s[44:45]
	s_cbranch_execz .LBB97_897
; %bb.896:
	v_lshlrev_b32_e32 v17, 2, v10
	ds_read_b32 v17, v17 offset:2848
	ds_read_b32 v18, v12
	s_waitcnt lgkmcnt(0)
	v_fma_f32 v16, -v17, v18, v16
.LBB97_897:
	s_or_b64 exec, exec, s[8:9]
	s_barrier
	s_and_saveexec_b64 s[8:9], s[46:47]
; %bb.898:
	v_xor_b32_e32 v17, 0x80000000, v16
	ds_write_b32 v12, v17
; %bb.899:
	s_or_b64 exec, exec, s[8:9]
	s_waitcnt lgkmcnt(0)
	s_barrier
	s_and_saveexec_b64 s[8:9], s[48:49]
	s_cbranch_execz .LBB97_901
; %bb.900:
	v_lshlrev_b32_e32 v17, 2, v10
	ds_read_b32 v17, v17 offset:2592
	ds_read_b32 v18, v12
	s_waitcnt lgkmcnt(0)
	v_fma_f32 v16, -v17, v18, v16
.LBB97_901:
	s_or_b64 exec, exec, s[8:9]
	s_barrier
	s_and_saveexec_b64 s[8:9], s[50:51]
; %bb.902:
	v_xor_b32_e32 v17, 0x80000000, v16
	ds_write_b32 v12, v17
; %bb.903:
	s_or_b64 exec, exec, s[8:9]
	s_waitcnt lgkmcnt(0)
	s_barrier
	s_and_saveexec_b64 s[8:9], s[40:41]
	s_cbranch_execz .LBB97_905
; %bb.904:
	v_mov_b32_e32 v17, 0
	ds_read_b32 v17, v17 offset:2336
	ds_read_b32 v18, v12
	s_waitcnt lgkmcnt(0)
	v_fma_f32 v16, -v17, v18, v16
.LBB97_905:
	s_or_b64 exec, exec, s[8:9]
	s_barrier
	s_and_saveexec_b64 s[8:9], s[40:41]
; %bb.906:
	v_xor_b32_e32 v17, 0x80000000, v16
	ds_write_b32 v12, v17
; %bb.907:
	s_or_b64 exec, exec, s[8:9]
	s_waitcnt lgkmcnt(0)
	s_barrier
	s_barrier
	s_and_saveexec_b64 s[8:9], s[2:3]
; %bb.908:
	v_lshlrev_b32_e32 v17, 2, v10
	v_lshl_or_b32 v17, v11, 8, v17
	ds_write_b32 v17, v16 offset:3104
; %bb.909:
	s_or_b64 exec, exec, s[8:9]
	s_waitcnt lgkmcnt(0)
	s_barrier
	s_barrier
	s_and_saveexec_b64 s[8:9], vcc
; %bb.910:
	s_movk_i32 s10, 0x800
	v_mov_b32_e32 v16, 1.0
	v_add_u32_e64 v17, s10, 0
	ds_write2_b32 v17, v16, v16 offset0:138 offset1:203
; %bb.911:
	s_or_b64 exec, exec, s[8:9]
	v_mov_b32_e32 v16, 0
	s_waitcnt lgkmcnt(0)
	s_barrier
	buffer_wbinvl1_vol
	s_and_saveexec_b64 s[10:11], s[0:1]
	s_cbranch_execz .LBB97_915
; %bb.912:
	v_lshlrev_b32_e32 v16, 8, v3
	v_lshlrev_b32_e32 v17, 2, v2
	ds_read_b32 v18, v17 offset:2592
	ds_read_b32 v16, v16 offset:2600
	v_mov_b32_e32 v17, 0
	v_cmp_gt_u32_e64 s[8:9], 2, v9
	s_waitcnt lgkmcnt(0)
	v_fma_f32 v16, v18, v16, 0
	s_and_saveexec_b64 s[12:13], s[8:9]
	s_cbranch_execz .LBB97_914
; %bb.913:
	v_lshlrev_b32_e32 v18, 2, v0
	ds_read_b32 v18, v18 offset:2848
	ds_read_b32 v17, v17 offset:2860
	s_waitcnt lgkmcnt(0)
	v_fmac_f32_e32 v16, v18, v17
.LBB97_914:
	s_or_b64 exec, exec, s[12:13]
.LBB97_915:
	s_or_b64 exec, exec, s[10:11]
	s_and_saveexec_b64 s[8:9], s[38:39]
; %bb.916:
	v_xor_b32_e32 v17, 0x80000000, v16
	ds_write_b32 v8, v17
; %bb.917:
	s_or_b64 exec, exec, s[8:9]
	s_waitcnt lgkmcnt(0)
	s_barrier
	s_and_saveexec_b64 s[8:9], s[36:37]
	s_cbranch_execz .LBB97_919
; %bb.918:
	v_mov_b32_e32 v17, 0
	ds_read_b32 v17, v17 offset:2336
	ds_read_b32 v18, v8
	s_waitcnt lgkmcnt(0)
	v_fma_f32 v16, -v17, v18, v16
.LBB97_919:
	s_or_b64 exec, exec, s[8:9]
	s_barrier
	s_and_saveexec_b64 s[8:9], s[36:37]
; %bb.920:
	v_xor_b32_e32 v17, 0x80000000, v16
	ds_write_b32 v8, v17
; %bb.921:
	s_or_b64 exec, exec, s[8:9]
	s_waitcnt lgkmcnt(0)
	s_barrier
	s_barrier
	s_and_saveexec_b64 s[8:9], s[0:1]
; %bb.922:
	v_lshlrev_b32_e32 v17, 2, v2
	v_lshl_or_b32 v17, v3, 8, v17
	ds_write_b32 v17, v16 offset:2592
; %bb.923:
	s_or_b64 exec, exec, s[8:9]
	s_waitcnt lgkmcnt(0)
	s_barrier
	s_barrier
	s_and_saveexec_b64 s[8:9], vcc
; %bb.924:
	s_movk_i32 s10, 0x800
	v_mov_b32_e32 v16, 1.0
	v_add_u32_e64 v17, s10, 0
	ds_write2_b32 v17, v16, v16 offset0:8 offset1:73
; %bb.925:
	s_or_b64 exec, exec, s[8:9]
	v_mov_b32_e32 v16, 0
	s_waitcnt lgkmcnt(0)
	s_barrier
	buffer_wbinvl1_vol
	s_and_saveexec_b64 s[10:11], s[14:15]
	s_cbranch_execz .LBB97_935
; %bb.926:
	v_lshlrev_b32_e32 v18, 2, v13
	v_lshlrev_b32_e32 v17, 8, v14
	ds_read_b32 v16, v18 offset:2048
	ds_read_b32 v19, v17 offset:2080
	v_cmp_gt_u32_e64 s[8:9], 56, v9
	s_waitcnt lgkmcnt(0)
	v_fma_f32 v16, v16, v19, 0
	s_and_saveexec_b64 s[12:13], s[8:9]
	s_cbranch_execnz .LBB97_1150
; %bb.927:
	s_or_b64 exec, exec, s[12:13]
	v_cmp_gt_u32_e64 s[8:9], 48, v9
	s_and_saveexec_b64 s[12:13], s[8:9]
	s_cbranch_execnz .LBB97_1151
.LBB97_928:
	s_or_b64 exec, exec, s[12:13]
	v_cmp_gt_u32_e64 s[8:9], 40, v9
	s_and_saveexec_b64 s[12:13], s[8:9]
	s_cbranch_execnz .LBB97_1152
.LBB97_929:
	s_or_b64 exec, exec, s[12:13]
	v_cmp_gt_u32_e64 s[8:9], 32, v9
	s_and_saveexec_b64 s[12:13], s[8:9]
	s_cbranch_execnz .LBB97_1153
.LBB97_930:
	s_or_b64 exec, exec, s[12:13]
	v_cmp_gt_u32_e64 s[8:9], 24, v9
	s_and_saveexec_b64 s[12:13], s[8:9]
	s_cbranch_execnz .LBB97_1154
.LBB97_931:
	s_or_b64 exec, exec, s[12:13]
	s_and_saveexec_b64 s[8:9], s[2:3]
	s_cbranch_execnz .LBB97_1155
.LBB97_932:
	s_or_b64 exec, exec, s[8:9]
	v_cmp_gt_u32_e64 s[8:9], 8, v9
	s_and_saveexec_b64 s[12:13], s[8:9]
	s_cbranch_execz .LBB97_934
.LBB97_933:
	v_lshlrev_b32_e32 v17, 2, v0
	v_mov_b32_e32 v18, 0
	ds_read_b32 v17, v17 offset:3840
	ds_read_b32 v18, v18 offset:3900
	s_waitcnt lgkmcnt(0)
	v_fmac_f32_e32 v16, v17, v18
.LBB97_934:
	s_or_b64 exec, exec, s[12:13]
.LBB97_935:
	s_or_b64 exec, exec, s[10:11]
	s_and_saveexec_b64 s[8:9], s[52:53]
; %bb.936:
	v_xor_b32_e32 v17, 0x80000000, v16
	ds_write_b32 v15, v17
; %bb.937:
	s_or_b64 exec, exec, s[8:9]
	s_waitcnt lgkmcnt(0)
	s_barrier
	s_and_saveexec_b64 s[8:9], s[54:55]
	s_cbranch_execz .LBB97_939
; %bb.938:
	v_lshlrev_b32_e32 v17, 2, v13
	ds_read_b32 v17, v17 offset:1792
	ds_read_b32 v18, v15
	s_waitcnt lgkmcnt(0)
	v_fma_f32 v16, -v17, v18, v16
.LBB97_939:
	s_or_b64 exec, exec, s[8:9]
	s_barrier
	s_and_saveexec_b64 s[8:9], s[56:57]
; %bb.940:
	v_xor_b32_e32 v17, 0x80000000, v16
	ds_write_b32 v15, v17
; %bb.941:
	s_or_b64 exec, exec, s[8:9]
	s_waitcnt lgkmcnt(0)
	s_barrier
	s_and_saveexec_b64 s[8:9], s[58:59]
	s_cbranch_execz .LBB97_943
; %bb.942:
	v_lshlrev_b32_e32 v17, 2, v13
	ds_read_b32 v17, v17 offset:1536
	ds_read_b32 v18, v15
	s_waitcnt lgkmcnt(0)
	v_fma_f32 v16, -v17, v18, v16
.LBB97_943:
	s_or_b64 exec, exec, s[8:9]
	s_barrier
	;; [unrolled: 19-line block ×6, first 2 shown]
	s_and_saveexec_b64 s[8:9], s[78:79]
; %bb.960:
	v_xor_b32_e32 v17, 0x80000000, v16
	ds_write_b32 v15, v17
; %bb.961:
	s_or_b64 exec, exec, s[8:9]
	s_waitcnt lgkmcnt(0)
	s_barrier
	s_and_saveexec_b64 s[8:9], s[62:63]
	s_cbranch_execz .LBB97_963
; %bb.962:
	v_mov_b32_e32 v17, 0
	ds_read_b32 v17, v17 offset:256
	ds_read_b32 v18, v15
	s_waitcnt lgkmcnt(0)
	v_fma_f32 v16, -v17, v18, v16
.LBB97_963:
	s_or_b64 exec, exec, s[8:9]
	s_barrier
	s_and_saveexec_b64 s[8:9], s[62:63]
; %bb.964:
	v_xor_b32_e32 v17, 0x80000000, v16
	ds_write_b32 v15, v17
; %bb.965:
	s_or_b64 exec, exec, s[8:9]
	s_waitcnt lgkmcnt(0)
	s_barrier
	s_barrier
	s_and_saveexec_b64 s[8:9], s[14:15]
; %bb.966:
	v_lshlrev_b32_e32 v13, 2, v13
	v_lshl_or_b32 v13, v14, 8, v13
	ds_write_b32 v13, v16 offset:2048
; %bb.967:
	s_or_b64 exec, exec, s[8:9]
	s_waitcnt lgkmcnt(0)
	s_barrier
	s_barrier
	s_and_saveexec_b64 s[8:9], vcc
; %bb.968:
	s_movk_i32 s10, 0x400
	v_mov_b32_e32 v13, 1.0
	v_add_u32_e64 v14, s10, 0
	ds_write2_b32 v14, v13, v13 offset0:134 offset1:199
; %bb.969:
	s_or_b64 exec, exec, s[8:9]
	v_mov_b32_e32 v13, 0
	s_waitcnt lgkmcnt(0)
	s_barrier
	buffer_wbinvl1_vol
	s_and_saveexec_b64 s[10:11], s[0:1]
	s_cbranch_execz .LBB97_973
; %bb.970:
	v_lshlrev_b32_e32 v13, 8, v3
	v_lshlrev_b32_e32 v14, 2, v2
	ds_read_b32 v15, v14 offset:1552
	ds_read_b32 v13, v13 offset:1560
	v_mov_b32_e32 v14, 0
	v_cmp_gt_u32_e64 s[8:9], 2, v9
	s_waitcnt lgkmcnt(0)
	v_fma_f32 v13, v15, v13, 0
	s_and_saveexec_b64 s[12:13], s[8:9]
	s_cbranch_execz .LBB97_972
; %bb.971:
	v_lshlrev_b32_e32 v15, 2, v0
	ds_read_b32 v15, v15 offset:1808
	ds_read_b32 v14, v14 offset:1820
	s_waitcnt lgkmcnt(0)
	v_fmac_f32_e32 v13, v15, v14
.LBB97_972:
	s_or_b64 exec, exec, s[12:13]
.LBB97_973:
	s_or_b64 exec, exec, s[10:11]
	s_and_saveexec_b64 s[8:9], s[38:39]
; %bb.974:
	v_xor_b32_e32 v14, 0x80000000, v13
	ds_write_b32 v8, v14
; %bb.975:
	s_or_b64 exec, exec, s[8:9]
	s_waitcnt lgkmcnt(0)
	s_barrier
	s_and_saveexec_b64 s[8:9], s[36:37]
	s_cbranch_execz .LBB97_977
; %bb.976:
	v_mov_b32_e32 v14, 0
	ds_read_b32 v14, v14 offset:1296
	ds_read_b32 v15, v8
	s_waitcnt lgkmcnt(0)
	v_fma_f32 v13, -v14, v15, v13
.LBB97_977:
	s_or_b64 exec, exec, s[8:9]
	s_barrier
	s_and_saveexec_b64 s[8:9], s[36:37]
; %bb.978:
	v_xor_b32_e32 v14, 0x80000000, v13
	ds_write_b32 v8, v14
; %bb.979:
	s_or_b64 exec, exec, s[8:9]
	s_waitcnt lgkmcnt(0)
	s_barrier
	s_barrier
	s_and_saveexec_b64 s[8:9], s[0:1]
; %bb.980:
	v_lshlrev_b32_e32 v14, 2, v2
	v_lshl_or_b32 v14, v3, 8, v14
	ds_write_b32 v14, v13 offset:1552
; %bb.981:
	s_or_b64 exec, exec, s[8:9]
	s_waitcnt lgkmcnt(0)
	s_barrier
	s_barrier
	s_and_saveexec_b64 s[8:9], vcc
; %bb.982:
	s_movk_i32 s10, 0x400
	v_mov_b32_e32 v13, 1.0
	v_add_u32_e64 v14, s10, 0
	ds_write2_b32 v14, v13, v13 offset0:4 offset1:69
; %bb.983:
	s_or_b64 exec, exec, s[8:9]
	v_mov_b32_e32 v13, 0
	s_waitcnt lgkmcnt(0)
	s_barrier
	buffer_wbinvl1_vol
	s_and_saveexec_b64 s[10:11], s[2:3]
	s_cbranch_execz .LBB97_989
; %bb.984:
	v_lshlrev_b32_e32 v15, 2, v10
	v_lshlrev_b32_e32 v14, 8, v11
	ds_read_b32 v13, v15 offset:1024
	ds_read_b32 v16, v14 offset:1040
	v_cmp_gt_u32_e64 s[8:9], 12, v9
	s_waitcnt lgkmcnt(0)
	v_fma_f32 v13, v13, v16, 0
	s_and_saveexec_b64 s[12:13], s[8:9]
	s_cbranch_execnz .LBB97_1156
; %bb.985:
	s_or_b64 exec, exec, s[12:13]
	v_cmp_gt_u32_e64 s[8:9], 8, v9
	s_and_saveexec_b64 s[12:13], s[8:9]
	s_cbranch_execnz .LBB97_1157
.LBB97_986:
	s_or_b64 exec, exec, s[12:13]
	v_cmp_gt_u32_e64 s[8:9], 4, v9
	s_and_saveexec_b64 s[12:13], s[8:9]
	s_cbranch_execz .LBB97_988
.LBB97_987:
	v_lshlrev_b32_e32 v14, 2, v0
	v_mov_b32_e32 v15, 0
	ds_read_b32 v14, v14 offset:1792
	ds_read_b32 v15, v15 offset:1820
	s_waitcnt lgkmcnt(0)
	v_fmac_f32_e32 v13, v14, v15
.LBB97_988:
	s_or_b64 exec, exec, s[12:13]
.LBB97_989:
	s_or_b64 exec, exec, s[10:11]
	s_and_saveexec_b64 s[8:9], s[42:43]
; %bb.990:
	v_xor_b32_e32 v14, 0x80000000, v13
	ds_write_b32 v12, v14
; %bb.991:
	s_or_b64 exec, exec, s[8:9]
	s_waitcnt lgkmcnt(0)
	s_barrier
	s_and_saveexec_b64 s[8:9], s[44:45]
	v_readlane_b32 s42, v27, 0
	s_cbranch_execz .LBB97_993
; %bb.992:
	v_lshlrev_b32_e32 v14, 2, v10
	ds_read_b32 v14, v14 offset:768
	ds_read_b32 v15, v12
	s_waitcnt lgkmcnt(0)
	v_fma_f32 v13, -v14, v15, v13
.LBB97_993:
	s_or_b64 exec, exec, s[8:9]
	s_barrier
	s_and_saveexec_b64 s[8:9], s[46:47]
; %bb.994:
	v_xor_b32_e32 v14, 0x80000000, v13
	ds_write_b32 v12, v14
; %bb.995:
	s_or_b64 exec, exec, s[8:9]
	s_waitcnt lgkmcnt(0)
	s_barrier
	s_and_saveexec_b64 s[8:9], s[48:49]
	s_cbranch_execz .LBB97_997
; %bb.996:
	v_lshlrev_b32_e32 v14, 2, v10
	ds_read_b32 v14, v14 offset:512
	ds_read_b32 v15, v12
	s_waitcnt lgkmcnt(0)
	v_fma_f32 v13, -v14, v15, v13
.LBB97_997:
	s_or_b64 exec, exec, s[8:9]
	s_barrier
	s_and_saveexec_b64 s[8:9], s[50:51]
; %bb.998:
	v_xor_b32_e32 v14, 0x80000000, v13
	ds_write_b32 v12, v14
; %bb.999:
	s_or_b64 exec, exec, s[8:9]
	s_waitcnt lgkmcnt(0)
	s_barrier
	s_and_saveexec_b64 s[8:9], s[40:41]
	s_cbranch_execz .LBB97_1001
; %bb.1000:
	v_mov_b32_e32 v14, 0
	ds_read_b32 v14, v14 offset:256
	ds_read_b32 v15, v12
	s_waitcnt lgkmcnt(0)
	v_fma_f32 v13, -v14, v15, v13
.LBB97_1001:
	s_or_b64 exec, exec, s[8:9]
	s_barrier
	s_and_saveexec_b64 s[8:9], s[40:41]
; %bb.1002:
	v_xor_b32_e32 v14, 0x80000000, v13
	ds_write_b32 v12, v14
; %bb.1003:
	s_or_b64 exec, exec, s[8:9]
	s_waitcnt lgkmcnt(0)
	s_barrier
	s_barrier
	s_and_saveexec_b64 s[8:9], s[2:3]
; %bb.1004:
	v_lshlrev_b32_e32 v10, 2, v10
	v_lshl_or_b32 v10, v11, 8, v10
	ds_write_b32 v10, v13 offset:1024
; %bb.1005:
	s_or_b64 exec, exec, s[8:9]
	s_waitcnt lgkmcnt(0)
	s_barrier
	s_barrier
	s_and_saveexec_b64 s[2:3], vcc
; %bb.1006:
	v_mov_b32_e32 v10, 1.0
	v_mov_b32_e32 v11, 0
	ds_write2_b32 v11, v10, v10 offset0:130 offset1:195
; %bb.1007:
	s_or_b64 exec, exec, s[2:3]
	v_mov_b32_e32 v10, 0
	s_waitcnt lgkmcnt(0)
	s_barrier
	buffer_wbinvl1_vol
	s_and_saveexec_b64 s[8:9], s[0:1]
	s_cbranch_execz .LBB97_1011
; %bb.1008:
	v_lshlrev_b32_e32 v10, 8, v3
	v_lshlrev_b32_e32 v11, 2, v2
	ds_read_b32 v12, v11 offset:512
	ds_read_b32 v10, v10 offset:520
	v_mov_b32_e32 v11, 0
	v_cmp_gt_u32_e64 s[2:3], 2, v9
	s_waitcnt lgkmcnt(0)
	v_fma_f32 v10, v12, v10, 0
	s_and_saveexec_b64 s[10:11], s[2:3]
	s_cbranch_execz .LBB97_1010
; %bb.1009:
	v_lshlrev_b32_e32 v9, 2, v0
	ds_read_b32 v9, v9 offset:768
	ds_read_b32 v11, v11 offset:780
	s_waitcnt lgkmcnt(0)
	v_fmac_f32_e32 v10, v9, v11
.LBB97_1010:
	s_or_b64 exec, exec, s[10:11]
.LBB97_1011:
	s_or_b64 exec, exec, s[8:9]
	s_and_saveexec_b64 s[2:3], s[38:39]
; %bb.1012:
	v_xor_b32_e32 v9, 0x80000000, v10
	ds_write_b32 v8, v9
; %bb.1013:
	s_or_b64 exec, exec, s[2:3]
	s_waitcnt lgkmcnt(0)
	s_barrier
	s_and_saveexec_b64 s[2:3], s[36:37]
	s_cbranch_execz .LBB97_1015
; %bb.1014:
	v_mov_b32_e32 v9, 0
	ds_read_b32 v9, v9 offset:256
	ds_read_b32 v11, v8
	s_waitcnt lgkmcnt(0)
	v_fma_f32 v10, -v9, v11, v10
.LBB97_1015:
	s_or_b64 exec, exec, s[2:3]
	s_barrier
	s_and_saveexec_b64 s[2:3], s[36:37]
; %bb.1016:
	v_xor_b32_e32 v9, 0x80000000, v10
	ds_write_b32 v8, v9
; %bb.1017:
	s_or_b64 exec, exec, s[2:3]
	s_waitcnt lgkmcnt(0)
	s_barrier
	s_barrier
	s_and_saveexec_b64 s[2:3], s[0:1]
; %bb.1018:
	v_lshlrev_b32_e32 v2, 2, v2
	v_lshl_or_b32 v2, v3, 8, v2
	ds_write_b32 v2, v10 offset:512
; %bb.1019:
	s_or_b64 exec, exec, s[2:3]
	s_waitcnt lgkmcnt(0)
	s_barrier
	s_barrier
	s_and_saveexec_b64 s[0:1], vcc
; %bb.1020:
	v_mov_b32_e32 v2, 1.0
	v_mov_b32_e32 v3, 0
	ds_write2_b32 v3, v2, v2 offset1:65
; %bb.1021:
	s_or_b64 exec, exec, s[0:1]
.LBB97_1022:
	s_lshl_b64 s[0:1], s[20:21], 2
	s_add_u32 s38, s30, s0
	v_cmp_le_i32_e32 vcc, s82, v0
	s_addc_u32 s39, s31, s1
	s_and_b64 s[14:15], vcc, s[18:19]
	v_cmp_eq_u32_e64 s[0:1], 0, v1
	s_xor_b64 s[2:3], s[14:15], -1
	s_and_b64 s[8:9], s[0:1], s[2:3]
	v_mov_b32_e32 v9, 0
	v_lshl_add_u32 v2, s33, 6, v0
	s_waitcnt lgkmcnt(0)
	s_barrier
	s_and_saveexec_b64 s[2:3], s[8:9]
	s_cbranch_execz .LBB97_1024
; %bb.1023:
	v_ashrrev_i32_e32 v3, 31, v2
	v_mul_lo_u32 v10, s23, v2
	v_mad_u64_u32 v[8:9], s[8:9], s22, v2, 0
	v_mul_lo_u32 v3, s22, v3
	v_add3_u32 v9, v9, v3, v10
	v_lshlrev_b64 v[8:9], 2, v[8:9]
	v_mov_b32_e32 v3, s39
	v_add_co_u32_e32 v8, vcc, s38, v8
	v_addc_co_u32_e32 v9, vcc, v3, v9, vcc
	flat_load_dword v3, v[8:9]
	s_waitcnt vmcnt(0) lgkmcnt(0)
	v_mul_f32_e64 v9, v3, -s42
.LBB97_1024:
	s_or_b64 exec, exec, s[2:3]
	s_load_dwordx2 s[12:13], s[4:5], 0x50
	s_and_b32 s2, 0xffff, s85
	v_mad_u32_u24 v8, v1, s2, v0
	s_cmp_lt_i32 s6, 1
	v_cmp_eq_u32_e64 s[2:3], 0, v8
	s_cbranch_scc1 .LBB97_1050
; %bb.1025:
	v_ashrrev_i32_e32 v3, 31, v2
	v_cmp_gt_i32_e64 s[10:11], s26, v2
	v_lshlrev_b64 v[2:3], 2, v[2:3]
	s_lshl_b64 s[4:5], s[24:25], 2
	s_waitcnt lgkmcnt(0)
	s_add_u32 s16, s12, s4
	v_mov_b32_e32 v11, 0x5000
	v_mov_b32_e32 v13, s84
	v_add_co_u32_e32 v12, vcc, s83, v2
	s_mul_i32 s8, s29, 0xc0
	s_mul_hi_u32 s9, s28, 0xc0
	s_mov_b32 s40, 0
	s_addc_u32 s17, s13, s5
	v_cmp_gt_u32_e64 s[4:5], 64, v8
	v_lshl_add_u32 v10, v8, 2, v11
	v_lshl_or_b32 v11, v1, 2, v11
	s_add_i32 s41, s33, 1
	v_addc_co_u32_e32 v13, vcc, v13, v3, vcc
	s_lshl_b64 s[20:21], s[28:29], 6
	s_lshl_b64 s[30:31], s[28:29], 7
	s_add_i32 s42, s9, s8
	s_mul_i32 s43, s28, 0xc0
	v_mov_b32_e32 v15, -1
	v_mov_b32_e32 v14, 0
	s_branch .LBB97_1028
.LBB97_1026:                            ;   in Loop: Header=BB97_1028 Depth=1
	ds_read_b32 v2, v11 offset:192
	s_waitcnt vmcnt(0) lgkmcnt(0)
	v_fmac_f32_e32 v9, v16, v2
.LBB97_1027:                            ;   in Loop: Header=BB97_1028 Depth=1
	s_or_b64 exec, exec, s[36:37]
	s_add_i32 s40, s40, 1
	s_cmp_eq_u32 s40, s6
	s_cbranch_scc1 .LBB97_1050
.LBB97_1028:                            ; =>This Loop Header: Depth=1
                                        ;     Child Loop BB97_1030 Depth 2
	v_cmp_gt_i32_e32 vcc, s40, v15
	s_and_b64 s[36:37], s[2:3], vcc
	s_and_saveexec_b64 s[8:9], s[36:37]
	s_cbranch_execz .LBB97_1031
; %bb.1029:                             ;   in Loop: Header=BB97_1028 Depth=1
	global_load_dword v15, v14, s[16:17]
	s_waitcnt vmcnt(0)
	v_cmp_le_i32_e32 vcc, s40, v15
	s_cbranch_vccnz .LBB97_1031
.LBB97_1030:                            ;   Parent Loop BB97_1028 Depth=1
                                        ; =>  This Inner Loop Header: Depth=2
	buffer_wbinvl1_vol
	global_load_dword v15, v14, s[16:17]
	s_waitcnt vmcnt(0)
	v_cmp_gt_i32_e32 vcc, s40, v15
	s_cbranch_vccnz .LBB97_1030
.LBB97_1031:                            ;   in Loop: Header=BB97_1028 Depth=1
	s_or_b64 exec, exec, s[8:9]
	s_sub_i32 s44, s7, s40
	s_lshl_b32 s45, s44, 6
	buffer_wbinvl1_vol
	s_barrier
	s_and_saveexec_b64 s[8:9], s[4:5]
	s_cbranch_execz .LBB97_1035
; %bb.1032:                             ;   in Loop: Header=BB97_1028 Depth=1
	s_ashr_i32 s36, s45, 31
	v_mov_b32_e32 v3, s36
	v_or_b32_e32 v2, s45, v8
	v_cmp_gt_i64_e32 vcc, s[26:27], v[2:3]
	v_mov_b32_e32 v16, 0
	s_and_saveexec_b64 s[36:37], vcc
	s_cbranch_execz .LBB97_1034
; %bb.1033:                             ;   in Loop: Header=BB97_1028 Depth=1
	v_mul_lo_u32 v16, v3, s22
	v_mul_lo_u32 v17, v2, s23
	v_mad_u64_u32 v[2:3], s[46:47], v2, s22, 0
	v_add3_u32 v3, v3, v17, v16
	v_lshlrev_b64 v[2:3], 2, v[2:3]
	v_mov_b32_e32 v16, s39
	v_add_co_u32_e32 v2, vcc, s38, v2
	v_addc_co_u32_e32 v3, vcc, v16, v3, vcc
	flat_load_dword v16, v[2:3]
.LBB97_1034:                            ;   in Loop: Header=BB97_1028 Depth=1
	s_or_b64 exec, exec, s[36:37]
	s_waitcnt vmcnt(0) lgkmcnt(0)
	ds_write_b32 v10, v16
.LBB97_1035:                            ;   in Loop: Header=BB97_1028 Depth=1
	s_or_b64 exec, exec, s[8:9]
	v_add_u32_e32 v16, s45, v1
	v_ashrrev_i32_e32 v17, 31, v16
	v_mul_lo_u32 v18, s29, v16
	v_mad_u64_u32 v[2:3], s[8:9], s28, v16, 0
	v_mul_lo_u32 v17, s28, v17
	s_cmp_lg_u32 s44, s41
	s_cselect_b64 s[8:9], -1, 0
	s_waitcnt lgkmcnt(0)
	v_add3_u32 v3, v3, v17, v18
	v_lshlrev_b64 v[2:3], 2, v[2:3]
	v_cndmask_b32_e64 v17, 0, 1, s[8:9]
	v_add_co_u32_e32 v2, vcc, v12, v2
	v_addc_co_u32_e32 v3, vcc, v13, v3, vcc
	v_cmp_gt_i32_e32 vcc, s26, v16
	s_and_b64 s[44:45], s[10:11], vcc
	v_cmp_ne_u32_e64 s[8:9], 1, v17
	s_barrier
	s_and_saveexec_b64 s[36:37], s[44:45]
	s_cbranch_execz .LBB97_1039
; %bb.1036:                             ;   in Loop: Header=BB97_1028 Depth=1
	s_and_b64 vcc, exec, s[8:9]
	v_mov_b32_e32 v17, v4
	s_cbranch_vccnz .LBB97_1038
; %bb.1037:                             ;   in Loop: Header=BB97_1028 Depth=1
	flat_load_dword v17, v[2:3]
.LBB97_1038:                            ;   in Loop: Header=BB97_1028 Depth=1
	ds_read_b32 v18, v11
	s_waitcnt vmcnt(0) lgkmcnt(0)
	v_fmac_f32_e32 v9, v17, v18
.LBB97_1039:                            ;   in Loop: Header=BB97_1028 Depth=1
	s_or_b64 exec, exec, s[36:37]
	v_add_u32_e32 v17, 16, v16
	v_cmp_gt_i32_e32 vcc, s26, v17
	s_and_b64 s[44:45], s[10:11], vcc
	s_and_saveexec_b64 s[36:37], s[44:45]
	s_cbranch_execz .LBB97_1043
; %bb.1040:                             ;   in Loop: Header=BB97_1028 Depth=1
	s_and_b64 vcc, exec, s[8:9]
	v_mov_b32_e32 v17, v5
	s_cbranch_vccnz .LBB97_1042
; %bb.1041:                             ;   in Loop: Header=BB97_1028 Depth=1
	v_mov_b32_e32 v18, s21
	v_add_co_u32_e32 v17, vcc, s20, v2
	v_addc_co_u32_e32 v18, vcc, v3, v18, vcc
	flat_load_dword v17, v[17:18]
.LBB97_1042:                            ;   in Loop: Header=BB97_1028 Depth=1
	ds_read_b32 v18, v11 offset:64
	s_waitcnt vmcnt(0) lgkmcnt(0)
	v_fmac_f32_e32 v9, v17, v18
.LBB97_1043:                            ;   in Loop: Header=BB97_1028 Depth=1
	s_or_b64 exec, exec, s[36:37]
	v_add_u32_e32 v17, 32, v16
	v_cmp_gt_i32_e32 vcc, s26, v17
	s_and_b64 s[44:45], s[10:11], vcc
	s_and_saveexec_b64 s[36:37], s[44:45]
	s_cbranch_execz .LBB97_1047
; %bb.1044:                             ;   in Loop: Header=BB97_1028 Depth=1
	s_and_b64 vcc, exec, s[8:9]
	v_mov_b32_e32 v17, v7
	s_cbranch_vccnz .LBB97_1046
; %bb.1045:                             ;   in Loop: Header=BB97_1028 Depth=1
	v_mov_b32_e32 v18, s31
	v_add_co_u32_e32 v17, vcc, s30, v2
	v_addc_co_u32_e32 v18, vcc, v3, v18, vcc
	flat_load_dword v17, v[17:18]
.LBB97_1046:                            ;   in Loop: Header=BB97_1028 Depth=1
	ds_read_b32 v18, v11 offset:128
	s_waitcnt vmcnt(0) lgkmcnt(0)
	v_fmac_f32_e32 v9, v17, v18
.LBB97_1047:                            ;   in Loop: Header=BB97_1028 Depth=1
	s_or_b64 exec, exec, s[36:37]
	v_add_u32_e32 v16, 48, v16
	v_cmp_gt_i32_e32 vcc, s26, v16
	s_and_b64 s[44:45], s[10:11], vcc
	s_and_saveexec_b64 s[36:37], s[44:45]
	s_cbranch_execz .LBB97_1027
; %bb.1048:                             ;   in Loop: Header=BB97_1028 Depth=1
	s_and_b64 vcc, exec, s[8:9]
	v_mov_b32_e32 v16, v6
	s_cbranch_vccnz .LBB97_1026
; %bb.1049:                             ;   in Loop: Header=BB97_1028 Depth=1
	v_mov_b32_e32 v16, s42
	v_add_co_u32_e32 v2, vcc, s43, v2
	v_addc_co_u32_e32 v3, vcc, v3, v16, vcc
	flat_load_dword v16, v[2:3]
	s_branch .LBB97_1026
.LBB97_1050:
	v_lshl_add_u32 v2, v1, 6, v0
	s_xor_b64 s[2:3], s[18:19], -1
	s_xor_b64 s[4:5], s[34:35], -1
	v_lshlrev_b32_e32 v2, 2, v2
	ds_write_b32 v2, v9 offset:16384
	s_waitcnt lgkmcnt(0)
	s_barrier
	s_and_saveexec_b64 s[6:7], s[0:1]
	s_cbranch_execz .LBB97_1052
; %bb.1051:
	v_lshlrev_b32_e32 v7, 2, v0
	ds_read2st64_b32 v[3:4], v7 offset0:65 offset1:66
	ds_read2st64_b32 v[5:6], v7 offset0:67 offset1:68
	;; [unrolled: 1-line block ×5, first 2 shown]
	s_waitcnt lgkmcnt(4)
	v_add_f32_e32 v3, v9, v3
	v_add_f32_e32 v3, v3, v4
	s_waitcnt lgkmcnt(3)
	v_add_f32_e32 v3, v3, v5
	v_add_f32_e32 v3, v3, v6
	;; [unrolled: 3-line block ×4, first 2 shown]
	ds_read2st64_b32 v[3:4], v7 offset0:75 offset1:76
	ds_read2st64_b32 v[5:6], v7 offset0:77 offset1:78
	ds_read_b32 v7, v7 offset:20224
	s_waitcnt lgkmcnt(3)
	v_add_f32_e32 v9, v9, v14
	v_add_f32_e32 v9, v9, v15
	s_waitcnt lgkmcnt(2)
	v_add_f32_e32 v3, v9, v3
	v_add_f32_e32 v3, v3, v4
	;; [unrolled: 3-line block ×3, first 2 shown]
	s_waitcnt lgkmcnt(0)
	v_add_f32_e32 v3, v3, v7
	v_cndmask_b32_e64 v9, -v3, 0, s[14:15]
.LBB97_1052:
	s_or_b64 exec, exec, s[6:7]
	s_andn2_b64 vcc, exec, s[4:5]
	s_cbranch_vccnz .LBB97_1066
; %bb.1053:
	v_mov_b32_e32 v3, 0x5000
	v_lshl_or_b32 v4, v1, 2, v3
	s_and_saveexec_b64 s[4:5], s[0:1]
; %bb.1054:
	v_lshl_add_u32 v3, v0, 2, v4
	ds_write_b32 v3, v9
; %bb.1055:
	s_or_b64 exec, exec, s[4:5]
	v_cmp_le_u32_e32 vcc, v0, v1
	v_mov_b32_e32 v3, 0
	s_waitcnt lgkmcnt(0)
	s_barrier
	s_and_saveexec_b64 s[4:5], vcc
	s_cbranch_execz .LBB97_1057
; %bb.1056:
	ds_read_b32 v3, v2
	ds_read_b32 v5, v4
	s_waitcnt lgkmcnt(0)
	v_fma_f32 v3, v3, v5, 0
.LBB97_1057:
	s_or_b64 exec, exec, s[4:5]
	v_add_u32_e32 v5, 16, v1
	v_cmp_le_u32_e32 vcc, v0, v5
	s_and_saveexec_b64 s[4:5], vcc
	s_cbranch_execz .LBB97_1059
; %bb.1058:
	ds_read_b32 v5, v2 offset:4096
	ds_read_b32 v6, v4 offset:64
	s_waitcnt lgkmcnt(0)
	v_fmac_f32_e32 v3, v5, v6
.LBB97_1059:
	s_or_b64 exec, exec, s[4:5]
	v_add_u32_e32 v5, 32, v1
	v_cmp_le_u32_e32 vcc, v0, v5
	s_and_saveexec_b64 s[4:5], vcc
	s_cbranch_execz .LBB97_1061
; %bb.1060:
	ds_read_b32 v5, v2 offset:8192
	ds_read_b32 v6, v4 offset:128
	s_waitcnt lgkmcnt(0)
	v_fmac_f32_e32 v3, v5, v6
.LBB97_1061:
	s_or_b64 exec, exec, s[4:5]
	v_add_u32_e32 v1, 48, v1
	v_add_u32_e32 v5, 0x4000, v2
	v_cmp_le_u32_e32 vcc, v0, v1
	s_and_saveexec_b64 s[4:5], vcc
	s_cbranch_execz .LBB97_1063
; %bb.1062:
	ds_read_b32 v1, v2 offset:12288
	ds_read_b32 v2, v4 offset:192
	s_waitcnt lgkmcnt(0)
	v_fmac_f32_e32 v3, v1, v2
.LBB97_1063:
	s_or_b64 exec, exec, s[4:5]
	s_mov_b64 s[6:7], 0
	s_mov_b64 s[4:5], 0
	ds_write_b32 v5, v3
	s_waitcnt lgkmcnt(0)
	s_barrier
                                        ; implicit-def: $vgpr1
	s_and_saveexec_b64 s[8:9], s[0:1]
	s_cbranch_execz .LBB97_1104
; %bb.1064:
	v_lshlrev_b32_e32 v12, 2, v0
	ds_read2st64_b32 v[1:2], v12 offset0:65 offset1:66
	ds_read2st64_b32 v[4:5], v12 offset0:67 offset1:68
	;; [unrolled: 1-line block ×4, first 2 shown]
	s_mov_b64 s[4:5], exec
	s_waitcnt lgkmcnt(3)
	v_add_f32_e32 v1, v3, v1
	v_add_f32_e32 v1, v2, v1
	s_waitcnt lgkmcnt(2)
	v_add_f32_e32 v1, v4, v1
	v_add_f32_e32 v1, v5, v1
	;; [unrolled: 3-line block ×3, first 2 shown]
	s_waitcnt lgkmcnt(0)
	v_add_f32_e32 v3, v10, v1
	ds_read2st64_b32 v[1:2], v12 offset0:73 offset1:74
	v_add_f32_e32 v7, v11, v3
	ds_read2st64_b32 v[3:4], v12 offset0:75 offset1:76
	ds_read2st64_b32 v[5:6], v12 offset0:77 offset1:78
	ds_read_b32 v10, v12 offset:20224
	s_waitcnt lgkmcnt(3)
	v_add_f32_e32 v1, v1, v7
	v_add_f32_e32 v1, v2, v1
	s_waitcnt lgkmcnt(2)
	v_add_f32_e32 v1, v3, v1
	v_add_f32_e32 v1, v4, v1
	;; [unrolled: 3-line block ×3, first 2 shown]
	s_waitcnt lgkmcnt(0)
	v_add_f32_e32 v1, v10, v1
	s_or_b64 exec, exec, s[8:9]
	s_and_b64 vcc, exec, s[6:7]
	s_cbranch_vccnz .LBB97_1067
	s_branch .LBB97_1105
.LBB97_1065:
	v_mad_u64_u32 v[10:11], s[0:1], s28, v8, 0
	s_or_b64 s[8:9], s[8:9], exec
	v_mad_u64_u32 v[11:12], s[0:1], s29, v8, v[11:12]
	v_lshlrev_b64 v[10:11], 2, v[10:11]
	v_add_co_u32_e32 v2, vcc, v2, v10
	v_addc_co_u32_e32 v3, vcc, v3, v11, vcc
	flat_load_dword v2, v[2:3]
	s_waitcnt vmcnt(0) lgkmcnt(0)
	v_xor_b32_e32 v10, 0x80000000, v2
	s_or_b64 exec, exec, s[2:3]
	s_and_saveexec_b64 s[0:1], s[8:9]
	s_cbranch_execnz .LBB97_45
	s_branch .LBB97_46
.LBB97_1066:
	s_mov_b64 s[4:5], 0
                                        ; implicit-def: $vgpr1
	s_cbranch_execz .LBB97_1105
.LBB97_1067:
	v_mov_b32_e32 v1, 0x3c00
	v_lshl_add_u32 v1, v0, 2, v1
	v_mov_b32_e32 v3, 63
	v_mov_b32_e32 v2, 0
	s_branch .LBB97_1069
.LBB97_1068:                            ;   in Loop: Header=BB97_1069 Depth=1
	s_or_b64 exec, exec, s[6:7]
	v_subrev_co_u32_e32 v3, vcc, 1, v3
	s_andn2_b64 vcc, exec, vcc
	v_add_u32_e32 v1, 0xfffffc00, v1
	s_barrier
	s_cbranch_vccz .LBB97_1085
.LBB97_1069:                            ; =>This Inner Loop Header: Depth=1
	v_cmp_eq_u32_e32 vcc, v0, v3
	s_and_b64 s[8:9], s[0:1], vcc
	s_and_saveexec_b64 s[6:7], s[8:9]
; %bb.1070:                             ;   in Loop: Header=BB97_1069 Depth=1
	ds_write_b32 v2, v9 offset:20736
; %bb.1071:                             ;   in Loop: Header=BB97_1069 Depth=1
	s_or_b64 exec, exec, s[6:7]
	v_cmp_lt_u32_e32 vcc, v0, v3
	s_and_b64 s[8:9], s[0:1], vcc
	s_waitcnt lgkmcnt(0)
	s_barrier
	s_and_saveexec_b64 s[6:7], s[8:9]
	s_cbranch_execz .LBB97_1073
; %bb.1072:                             ;   in Loop: Header=BB97_1069 Depth=1
	ds_read_b32 v4, v1 offset:768
	ds_read_b32 v5, v2 offset:20736
	s_waitcnt lgkmcnt(0)
	v_fmac_f32_e32 v9, v4, v5
.LBB97_1073:                            ;   in Loop: Header=BB97_1069 Depth=1
	s_or_b64 exec, exec, s[6:7]
	v_add_u32_e32 v3, -1, v3
	v_cmp_eq_u32_e32 vcc, v0, v3
	s_and_b64 s[8:9], s[0:1], vcc
	s_barrier
	s_and_saveexec_b64 s[6:7], s[8:9]
; %bb.1074:                             ;   in Loop: Header=BB97_1069 Depth=1
	ds_write_b32 v2, v9 offset:20736
; %bb.1075:                             ;   in Loop: Header=BB97_1069 Depth=1
	s_or_b64 exec, exec, s[6:7]
	v_cmp_lt_u32_e32 vcc, v0, v3
	s_and_b64 s[8:9], s[0:1], vcc
	s_waitcnt lgkmcnt(0)
	s_barrier
	s_and_saveexec_b64 s[6:7], s[8:9]
	s_cbranch_execz .LBB97_1077
; %bb.1076:                             ;   in Loop: Header=BB97_1069 Depth=1
	ds_read_b32 v4, v1 offset:512
	ds_read_b32 v5, v2 offset:20736
	s_waitcnt lgkmcnt(0)
	v_fmac_f32_e32 v9, v4, v5
.LBB97_1077:                            ;   in Loop: Header=BB97_1069 Depth=1
	s_or_b64 exec, exec, s[6:7]
	v_add_u32_e32 v3, -1, v3
	v_cmp_eq_u32_e32 vcc, v0, v3
	s_and_b64 s[8:9], s[0:1], vcc
	s_barrier
	;; [unrolled: 22-line block ×3, first 2 shown]
	s_and_saveexec_b64 s[6:7], s[8:9]
; %bb.1082:                             ;   in Loop: Header=BB97_1069 Depth=1
	ds_write_b32 v2, v9 offset:20736
; %bb.1083:                             ;   in Loop: Header=BB97_1069 Depth=1
	s_or_b64 exec, exec, s[6:7]
	v_cmp_lt_u32_e32 vcc, v0, v3
	s_and_b64 s[8:9], s[0:1], vcc
	s_waitcnt lgkmcnt(0)
	s_barrier
	s_and_saveexec_b64 s[6:7], s[8:9]
	s_cbranch_execz .LBB97_1068
; %bb.1084:                             ;   in Loop: Header=BB97_1069 Depth=1
	ds_read_b32 v4, v1
	ds_read_b32 v5, v2 offset:20736
	s_waitcnt lgkmcnt(0)
	v_fmac_f32_e32 v9, v4, v5
	s_branch .LBB97_1068
.LBB97_1085:
	s_mov_b64 s[6:7], -1
	s_and_b64 vcc, exec, s[2:3]
	s_cbranch_vccnz .LBB97_1106
; %bb.1086:
	s_andn2_b64 vcc, exec, s[6:7]
	s_cbranch_vccz .LBB97_1107
.LBB97_1087:
	s_and_saveexec_b64 s[0:1], s[4:5]
	s_cbranch_execz .LBB97_1089
.LBB97_1088:
	s_lshl_b32 s2, s33, 6
	s_ashr_i32 s3, s2, 31
	v_mov_b32_e32 v0, s3
	v_add_co_u32_e32 v1, vcc, s2, v8
	v_addc_co_u32_e32 v0, vcc, 0, v0, vcc
	v_mul_lo_u32 v2, v0, s22
	v_mul_lo_u32 v3, v1, s23
	v_mad_u64_u32 v[0:1], s[2:3], v1, s22, 0
	v_add3_u32 v1, v1, v3, v2
	v_lshlrev_b64 v[0:1], 2, v[0:1]
	v_mov_b32_e32 v2, s39
	v_add_co_u32_e32 v0, vcc, s38, v0
	v_addc_co_u32_e32 v1, vcc, v2, v1, vcc
	flat_store_dword v[0:1], v9
.LBB97_1089:
	s_or_b64 exec, exec, s[0:1]
	v_cmp_eq_u32_e32 vcc, 0, v8
	s_waitcnt vmcnt(0) lgkmcnt(0)
	buffer_wbinvl1_vol
	s_barrier
	s_and_saveexec_b64 s[0:1], vcc
	s_cbranch_execz .LBB97_1091
; %bb.1090:
	s_lshl_b64 s[2:3], s[24:25], 2
	s_add_u32 s2, s12, s2
	s_addc_u32 s3, s13, s3
	v_mov_b32_e32 v0, 0
	global_load_dword v1, v0, s[2:3]
	s_waitcnt vmcnt(0)
	v_add_u32_e32 v1, 1, v1
	global_store_dword v0, v1, s[2:3]
.LBB97_1091:
	s_or_b64 exec, exec, s[0:1]
	s_waitcnt vmcnt(0)
	buffer_wbinvl1_vol
	s_endpgm
.LBB97_1092:
	v_or_b32_e32 v10, v1, v0
	v_cmp_gt_u32_e32 vcc, 64, v10
	s_and_b64 s[2:3], vcc, exec
	s_andn2_saveexec_b64 s[0:1], s[0:1]
	s_cbranch_execz .LBB97_14
.LBB97_1093:
	v_mad_u64_u32 v[9:10], s[8:9], s28, v1, 0
	s_or_b64 s[2:3], s[2:3], exec
	v_mad_u64_u32 v[10:11], s[8:9], s29, v1, v[10:11]
	v_lshlrev_b64 v[9:10], 2, v[9:10]
	v_add_co_u32_e32 v9, vcc, v2, v9
	v_addc_co_u32_e32 v10, vcc, v3, v10, vcc
	flat_load_dword v9, v[9:10]
	s_waitcnt vmcnt(0) lgkmcnt(0)
	v_xor_b32_e32 v9, 0x80000000, v9
	s_or_b64 exec, exec, s[0:1]
	s_and_saveexec_b64 s[0:1], s[2:3]
	s_cbranch_execnz .LBB97_15
	s_branch .LBB97_16
.LBB97_1094:
	v_or_b32_e32 v10, v9, v0
	v_cmp_gt_u32_e32 vcc, 64, v10
	s_and_b64 s[0:1], vcc, exec
	s_or_saveexec_b64 s[2:3], s[2:3]
	v_mov_b32_e32 v10, 0
	s_xor_b64 exec, exec, s[2:3]
	s_cbranch_execz .LBB97_18
.LBB97_1095:
	v_mad_u64_u32 v[10:11], s[8:9], s28, v9, 0
	s_or_b64 s[0:1], s[0:1], exec
	v_mad_u64_u32 v[11:12], s[8:9], s29, v9, v[11:12]
	v_lshlrev_b64 v[10:11], 2, v[10:11]
	v_add_co_u32_e32 v10, vcc, v2, v10
	v_addc_co_u32_e32 v11, vcc, v3, v11, vcc
	flat_load_dword v10, v[10:11]
	s_waitcnt vmcnt(0) lgkmcnt(0)
	v_xor_b32_e32 v10, 0x80000000, v10
	s_or_b64 exec, exec, s[2:3]
	s_and_saveexec_b64 s[2:3], s[0:1]
	s_cbranch_execnz .LBB97_19
	s_branch .LBB97_20
.LBB97_1096:
	v_or_b32_e32 v10, v9, v0
	v_cmp_gt_u32_e32 vcc, 64, v10
	s_and_b64 s[0:1], vcc, exec
	s_or_saveexec_b64 s[2:3], s[2:3]
	v_mov_b32_e32 v10, 0
	s_xor_b64 exec, exec, s[2:3]
	s_cbranch_execz .LBB97_22
.LBB97_1097:
	v_mad_u64_u32 v[10:11], s[8:9], s28, v9, 0
	s_or_b64 s[0:1], s[0:1], exec
	v_mad_u64_u32 v[11:12], s[8:9], s29, v9, v[11:12]
	v_lshlrev_b64 v[10:11], 2, v[10:11]
	v_add_co_u32_e32 v10, vcc, v2, v10
	v_addc_co_u32_e32 v11, vcc, v3, v11, vcc
	flat_load_dword v10, v[10:11]
	s_waitcnt vmcnt(0) lgkmcnt(0)
	v_xor_b32_e32 v10, 0x80000000, v10
	s_or_b64 exec, exec, s[2:3]
	s_and_saveexec_b64 s[2:3], s[0:1]
	s_cbranch_execnz .LBB97_23
	s_branch .LBB97_24
.LBB97_1098:
	v_or_b32_e32 v10, v1, v0
	v_cmp_gt_u32_e64 s[0:1], 64, v10
	s_and_b64 s[2:3], s[0:1], exec
	s_andn2_saveexec_b64 s[10:11], s[10:11]
	s_cbranch_execz .LBB97_30
.LBB97_1099:
	v_mad_u64_u32 v[9:10], s[0:1], s28, v1, 0
	s_or_b64 s[2:3], s[2:3], exec
	v_mad_u64_u32 v[10:11], s[0:1], s29, v1, v[10:11]
	v_lshlrev_b64 v[9:10], 2, v[9:10]
	v_add_co_u32_e64 v9, s[0:1], v2, v9
	v_addc_co_u32_e64 v10, s[0:1], v3, v10, s[0:1]
	flat_load_dword v9, v[9:10]
	s_waitcnt vmcnt(0) lgkmcnt(0)
	v_xor_b32_e32 v9, 0x80000000, v9
	s_or_b64 exec, exec, s[10:11]
	s_and_saveexec_b64 s[0:1], s[2:3]
	s_cbranch_execnz .LBB97_31
	s_branch .LBB97_32
.LBB97_1100:
	v_or_b32_e32 v10, v9, v0
	v_cmp_gt_u32_e64 s[0:1], 64, v10
	s_and_b64 s[2:3], s[0:1], exec
	s_or_saveexec_b64 s[10:11], s[10:11]
	v_mov_b32_e32 v10, 0
	s_xor_b64 exec, exec, s[10:11]
	s_cbranch_execz .LBB97_34
.LBB97_1101:
	v_mad_u64_u32 v[10:11], s[0:1], s28, v9, 0
	s_or_b64 s[2:3], s[2:3], exec
	v_mad_u64_u32 v[11:12], s[0:1], s29, v9, v[11:12]
	v_lshlrev_b64 v[10:11], 2, v[10:11]
	v_add_co_u32_e64 v10, s[0:1], v2, v10
	v_addc_co_u32_e64 v11, s[0:1], v3, v11, s[0:1]
	flat_load_dword v10, v[10:11]
	s_waitcnt vmcnt(0) lgkmcnt(0)
	v_xor_b32_e32 v10, 0x80000000, v10
	s_or_b64 exec, exec, s[10:11]
	s_and_saveexec_b64 s[0:1], s[2:3]
	s_cbranch_execnz .LBB97_35
	s_branch .LBB97_36
.LBB97_1102:
	v_or_b32_e32 v10, v9, v0
	v_cmp_gt_u32_e64 s[0:1], 64, v10
	s_and_b64 s[2:3], s[0:1], exec
	s_or_saveexec_b64 s[10:11], s[10:11]
	v_mov_b32_e32 v10, 0
	s_xor_b64 exec, exec, s[10:11]
	s_cbranch_execz .LBB97_38
.LBB97_1103:
	v_mad_u64_u32 v[10:11], s[0:1], s28, v9, 0
	s_or_b64 s[2:3], s[2:3], exec
	v_mad_u64_u32 v[11:12], s[0:1], s29, v9, v[11:12]
	v_lshlrev_b64 v[10:11], 2, v[10:11]
	v_add_co_u32_e64 v10, s[0:1], v2, v10
	v_addc_co_u32_e64 v11, s[0:1], v3, v11, s[0:1]
	flat_load_dword v10, v[10:11]
	s_waitcnt vmcnt(0) lgkmcnt(0)
	v_xor_b32_e32 v10, 0x80000000, v10
	s_or_b64 exec, exec, s[10:11]
	s_and_saveexec_b64 s[0:1], s[2:3]
	s_cbranch_execnz .LBB97_39
	s_branch .LBB97_40
.LBB97_1104:
	s_or_b64 exec, exec, s[8:9]
	s_and_b64 vcc, exec, s[6:7]
	s_cbranch_vccnz .LBB97_1067
.LBB97_1105:
	v_mov_b32_e32 v9, v1
	s_and_saveexec_b64 s[0:1], s[4:5]
	s_cbranch_execnz .LBB97_1088
	s_branch .LBB97_1089
.LBB97_1106:
	s_andn2_b64 s[2:3], s[4:5], exec
	s_and_b64 s[4:5], s[0:1], exec
	s_or_b64 s[4:5], s[2:3], s[4:5]
	s_cbranch_execnz .LBB97_1087
.LBB97_1107:
	v_cmp_gt_i32_e32 vcc, s82, v0
	s_and_b64 s[0:1], s[0:1], vcc
	s_andn2_b64 s[2:3], s[4:5], exec
	s_and_b64 s[0:1], s[0:1], exec
	s_or_b64 s[4:5], s[2:3], s[0:1]
	s_and_saveexec_b64 s[0:1], s[4:5]
	s_cbranch_execnz .LBB97_1088
	s_branch .LBB97_1089
.LBB97_1108:
	ds_read_b32 v16, v15 offset:15840
	ds_read_b32 v17, v14 offset:15604
	s_waitcnt lgkmcnt(0)
	v_fmac_f32_e32 v13, v16, v17
	s_or_b64 exec, exec, s[14:15]
	v_cmp_gt_u32_e64 s[10:11], 8, v9
	s_and_saveexec_b64 s[14:15], s[10:11]
	s_cbranch_execz .LBB97_66
.LBB97_1109:
	ds_read_b32 v15, v15 offset:16096
	ds_read_b32 v14, v14 offset:15608
	s_waitcnt lgkmcnt(0)
	v_fmac_f32_e32 v13, v15, v14
	s_or_b64 exec, exec, s[14:15]
	v_cmp_gt_u32_e64 s[10:11], 4, v9
	s_and_saveexec_b64 s[14:15], s[10:11]
	s_cbranch_execnz .LBB97_67
	s_branch .LBB97_68
.LBB97_1110:
	ds_read_b32 v19, v18 offset:14784
	ds_read_b32 v20, v17 offset:14564
	s_waitcnt lgkmcnt(0)
	v_fmac_f32_e32 v16, v19, v20
	s_or_b64 exec, exec, s[16:17]
	v_cmp_gt_u32_e64 s[10:11], 48, v9
	s_and_saveexec_b64 s[16:17], s[10:11]
	s_cbranch_execz .LBB97_104
.LBB97_1111:
	ds_read_b32 v19, v18 offset:15040
	ds_read_b32 v20, v17 offset:14568
	s_waitcnt lgkmcnt(0)
	v_fmac_f32_e32 v16, v19, v20
	s_or_b64 exec, exec, s[16:17]
	v_cmp_gt_u32_e64 s[10:11], 40, v9
	s_and_saveexec_b64 s[16:17], s[10:11]
	s_cbranch_execz .LBB97_105
.LBB97_1112:
	ds_read_b32 v19, v18 offset:15296
	ds_read_b32 v20, v17 offset:14572
	s_waitcnt lgkmcnt(0)
	v_fmac_f32_e32 v16, v19, v20
	s_or_b64 exec, exec, s[16:17]
	v_cmp_gt_u32_e64 s[10:11], 32, v9
	s_and_saveexec_b64 s[16:17], s[10:11]
	s_cbranch_execz .LBB97_106
.LBB97_1113:
	ds_read_b32 v19, v18 offset:15552
	ds_read_b32 v20, v17 offset:14576
	s_waitcnt lgkmcnt(0)
	v_fmac_f32_e32 v16, v19, v20
	s_or_b64 exec, exec, s[16:17]
	v_cmp_gt_u32_e64 s[10:11], 24, v9
	s_and_saveexec_b64 s[16:17], s[10:11]
	s_cbranch_execz .LBB97_107
.LBB97_1114:
	ds_read_b32 v19, v18 offset:15808
	ds_read_b32 v20, v17 offset:14580
	s_waitcnt lgkmcnt(0)
	v_fmac_f32_e32 v16, v19, v20
	s_or_b64 exec, exec, s[16:17]
	s_and_saveexec_b64 s[10:11], s[2:3]
	s_cbranch_execz .LBB97_108
.LBB97_1115:
	ds_read_b32 v18, v18 offset:16064
	ds_read_b32 v17, v17 offset:14584
	s_waitcnt lgkmcnt(0)
	v_fmac_f32_e32 v16, v18, v17
	s_or_b64 exec, exec, s[10:11]
	v_cmp_gt_u32_e64 s[10:11], 8, v9
	s_and_saveexec_b64 s[16:17], s[10:11]
	s_cbranch_execnz .LBB97_109
	s_branch .LBB97_110
.LBB97_1116:
	ds_read_b32 v19, v18 offset:13760
	ds_read_b32 v20, v17 offset:13524
	s_waitcnt lgkmcnt(0)
	v_fmac_f32_e32 v16, v19, v20
	s_or_b64 exec, exec, s[12:13]
	v_cmp_gt_u32_e64 s[8:9], 8, v9
	s_and_saveexec_b64 s[12:13], s[8:9]
	s_cbranch_execz .LBB97_162
.LBB97_1117:
	ds_read_b32 v18, v18 offset:14016
	ds_read_b32 v17, v17 offset:13528
	s_waitcnt lgkmcnt(0)
	v_fmac_f32_e32 v16, v18, v17
	s_or_b64 exec, exec, s[12:13]
	v_cmp_gt_u32_e64 s[8:9], 4, v9
	s_and_saveexec_b64 s[12:13], s[8:9]
	s_cbranch_execnz .LBB97_163
	s_branch .LBB97_164
.LBB97_1118:
	ds_read_b32 v22, v21 offset:15232
	ds_read_b32 v23, v20 offset:12524
	s_waitcnt lgkmcnt(0)
	v_fmac_f32_e32 v19, v22, v23
	s_or_b64 exec, exec, s[80:81]
	s_and_saveexec_b64 s[12:13], s[14:15]
	s_cbranch_execz .LBB97_220
.LBB97_1119:
	ds_read_b32 v22, v21 offset:15488
	ds_read_b32 v23, v20 offset:12528
	s_waitcnt lgkmcnt(0)
	v_fmac_f32_e32 v19, v22, v23
	s_or_b64 exec, exec, s[12:13]
	v_cmp_gt_u32_e64 s[12:13], 48, v9
	s_and_saveexec_b64 s[80:81], s[12:13]
	s_cbranch_execz .LBB97_221
.LBB97_1120:
	ds_read_b32 v22, v21 offset:15744
	ds_read_b32 v23, v20 offset:12532
	s_waitcnt lgkmcnt(0)
	v_fmac_f32_e32 v19, v22, v23
	s_or_b64 exec, exec, s[80:81]
	v_cmp_gt_u32_e64 s[12:13], 32, v9
	s_and_saveexec_b64 s[80:81], s[12:13]
	s_cbranch_execz .LBB97_222
.LBB97_1121:
	ds_read_b32 v21, v21 offset:16000
	ds_read_b32 v20, v20 offset:12536
	s_waitcnt lgkmcnt(0)
	v_fmac_f32_e32 v19, v21, v20
	s_or_b64 exec, exec, s[80:81]
	v_cmp_gt_u32_e64 s[12:13], 16, v9
	s_and_saveexec_b64 s[80:81], s[12:13]
	s_cbranch_execnz .LBB97_223
	s_branch .LBB97_224
.LBB97_1122:
	ds_read_b32 v22, v21 offset:11680
	ds_read_b32 v23, v20 offset:11444
	s_waitcnt lgkmcnt(0)
	v_fmac_f32_e32 v19, v22, v23
	s_or_b64 exec, exec, s[16:17]
	v_cmp_gt_u32_e64 s[10:11], 8, v9
	s_and_saveexec_b64 s[16:17], s[10:11]
	s_cbranch_execz .LBB97_308
.LBB97_1123:
	ds_read_b32 v21, v21 offset:11936
	ds_read_b32 v20, v20 offset:11448
	s_waitcnt lgkmcnt(0)
	v_fmac_f32_e32 v19, v21, v20
	s_or_b64 exec, exec, s[16:17]
	v_cmp_gt_u32_e64 s[10:11], 4, v9
	s_and_saveexec_b64 s[16:17], s[10:11]
	s_cbranch_execnz .LBB97_309
	s_branch .LBB97_310
.LBB97_1124:
	ds_read_b32 v22, v21 offset:10624
	ds_read_b32 v23, v20 offset:10404
	s_waitcnt lgkmcnt(0)
	v_fmac_f32_e32 v19, v22, v23
	s_or_b64 exec, exec, s[16:17]
	v_cmp_gt_u32_e64 s[10:11], 48, v9
	s_and_saveexec_b64 s[16:17], s[10:11]
	s_cbranch_execz .LBB97_346
.LBB97_1125:
	ds_read_b32 v22, v21 offset:10880
	ds_read_b32 v23, v20 offset:10408
	s_waitcnt lgkmcnt(0)
	v_fmac_f32_e32 v19, v22, v23
	s_or_b64 exec, exec, s[16:17]
	v_cmp_gt_u32_e64 s[10:11], 40, v9
	s_and_saveexec_b64 s[16:17], s[10:11]
	s_cbranch_execz .LBB97_347
.LBB97_1126:
	ds_read_b32 v22, v21 offset:11136
	ds_read_b32 v23, v20 offset:10412
	s_waitcnt lgkmcnt(0)
	v_fmac_f32_e32 v19, v22, v23
	s_or_b64 exec, exec, s[16:17]
	v_cmp_gt_u32_e64 s[10:11], 32, v9
	s_and_saveexec_b64 s[16:17], s[10:11]
	s_cbranch_execz .LBB97_348
.LBB97_1127:
	ds_read_b32 v22, v21 offset:11392
	ds_read_b32 v23, v20 offset:10416
	s_waitcnt lgkmcnt(0)
	v_fmac_f32_e32 v19, v22, v23
	s_or_b64 exec, exec, s[16:17]
	v_cmp_gt_u32_e64 s[10:11], 24, v9
	s_and_saveexec_b64 s[16:17], s[10:11]
	s_cbranch_execz .LBB97_349
.LBB97_1128:
	ds_read_b32 v22, v21 offset:11648
	ds_read_b32 v23, v20 offset:10420
	s_waitcnt lgkmcnt(0)
	v_fmac_f32_e32 v19, v22, v23
	s_or_b64 exec, exec, s[16:17]
	s_and_saveexec_b64 s[10:11], s[2:3]
	s_cbranch_execz .LBB97_350
.LBB97_1129:
	ds_read_b32 v21, v21 offset:11904
	ds_read_b32 v20, v20 offset:10424
	s_waitcnt lgkmcnt(0)
	v_fmac_f32_e32 v19, v21, v20
	s_or_b64 exec, exec, s[10:11]
	v_cmp_gt_u32_e64 s[10:11], 8, v9
	s_and_saveexec_b64 s[16:17], s[10:11]
	s_cbranch_execnz .LBB97_351
	s_branch .LBB97_352
.LBB97_1130:
	ds_read_b32 v22, v21 offset:9600
	ds_read_b32 v23, v20 offset:9364
	s_waitcnt lgkmcnt(0)
	v_fmac_f32_e32 v19, v22, v23
	s_or_b64 exec, exec, s[16:17]
	v_cmp_gt_u32_e64 s[10:11], 8, v9
	s_and_saveexec_b64 s[16:17], s[10:11]
	s_cbranch_execz .LBB97_404
.LBB97_1131:
	ds_read_b32 v21, v21 offset:9856
	ds_read_b32 v20, v20 offset:9368
	s_waitcnt lgkmcnt(0)
	v_fmac_f32_e32 v19, v21, v20
	s_or_b64 exec, exec, s[16:17]
	v_cmp_gt_u32_e64 s[10:11], 4, v9
	s_and_saveexec_b64 s[16:17], s[10:11]
	s_cbranch_execnz .LBB97_405
	s_branch .LBB97_406
.LBB97_1132:
	ds_read_b32 v25, v24 offset:15616
	ds_read_b32 v26, v23 offset:8436
	s_waitcnt lgkmcnt(0)
	v_fmac_f32_e32 v21, v25, v26
	s_or_b64 exec, exec, s[80:81]
	s_and_saveexec_b64 s[16:17], s[14:15]
	s_cbranch_execz .LBB97_498
.LBB97_1133:
	ds_read_b32 v24, v24 offset:15872
	ds_read_b32 v23, v23 offset:8440
	s_waitcnt lgkmcnt(0)
	v_fmac_f32_e32 v21, v24, v23
	s_or_b64 exec, exec, s[16:17]
	v_cmp_gt_u32_e64 s[16:17], 32, v9
	s_and_saveexec_b64 s[80:81], s[16:17]
	s_cbranch_execnz .LBB97_499
	s_branch .LBB97_500
.LBB97_1134:
	ds_read_b32 v22, v21 offset:7520
	ds_read_b32 v23, v20 offset:7284
	s_waitcnt lgkmcnt(0)
	v_fmac_f32_e32 v19, v22, v23
	s_or_b64 exec, exec, s[16:17]
	v_cmp_gt_u32_e64 s[10:11], 8, v9
	s_and_saveexec_b64 s[16:17], s[10:11]
	s_cbranch_execz .LBB97_648
.LBB97_1135:
	ds_read_b32 v21, v21 offset:7776
	ds_read_b32 v20, v20 offset:7288
	s_waitcnt lgkmcnt(0)
	v_fmac_f32_e32 v19, v21, v20
	s_or_b64 exec, exec, s[16:17]
	v_cmp_gt_u32_e64 s[10:11], 4, v9
	s_and_saveexec_b64 s[16:17], s[10:11]
	s_cbranch_execnz .LBB97_649
	s_branch .LBB97_650
.LBB97_1136:
	ds_read_b32 v22, v21 offset:6464
	ds_read_b32 v23, v20 offset:6244
	s_waitcnt lgkmcnt(0)
	v_fmac_f32_e32 v19, v22, v23
	s_or_b64 exec, exec, s[16:17]
	v_cmp_gt_u32_e64 s[10:11], 48, v9
	s_and_saveexec_b64 s[16:17], s[10:11]
	s_cbranch_execz .LBB97_686
.LBB97_1137:
	ds_read_b32 v22, v21 offset:6720
	ds_read_b32 v23, v20 offset:6248
	s_waitcnt lgkmcnt(0)
	v_fmac_f32_e32 v19, v22, v23
	s_or_b64 exec, exec, s[16:17]
	v_cmp_gt_u32_e64 s[10:11], 40, v9
	s_and_saveexec_b64 s[16:17], s[10:11]
	s_cbranch_execz .LBB97_687
.LBB97_1138:
	ds_read_b32 v22, v21 offset:6976
	ds_read_b32 v23, v20 offset:6252
	s_waitcnt lgkmcnt(0)
	v_fmac_f32_e32 v19, v22, v23
	s_or_b64 exec, exec, s[16:17]
	v_cmp_gt_u32_e64 s[10:11], 32, v9
	s_and_saveexec_b64 s[16:17], s[10:11]
	s_cbranch_execz .LBB97_688
.LBB97_1139:
	ds_read_b32 v22, v21 offset:7232
	ds_read_b32 v23, v20 offset:6256
	s_waitcnt lgkmcnt(0)
	v_fmac_f32_e32 v19, v22, v23
	s_or_b64 exec, exec, s[16:17]
	v_cmp_gt_u32_e64 s[10:11], 24, v9
	s_and_saveexec_b64 s[16:17], s[10:11]
	s_cbranch_execz .LBB97_689
.LBB97_1140:
	ds_read_b32 v22, v21 offset:7488
	ds_read_b32 v23, v20 offset:6260
	s_waitcnt lgkmcnt(0)
	v_fmac_f32_e32 v19, v22, v23
	s_or_b64 exec, exec, s[16:17]
	s_and_saveexec_b64 s[10:11], s[2:3]
	s_cbranch_execz .LBB97_690
.LBB97_1141:
	ds_read_b32 v21, v21 offset:7744
	ds_read_b32 v20, v20 offset:6264
	s_waitcnt lgkmcnt(0)
	v_fmac_f32_e32 v19, v21, v20
	s_or_b64 exec, exec, s[10:11]
	v_cmp_gt_u32_e64 s[10:11], 8, v9
	s_and_saveexec_b64 s[16:17], s[10:11]
	s_cbranch_execnz .LBB97_691
	s_branch .LBB97_692
.LBB97_1142:
	ds_read_b32 v22, v21 offset:5440
	ds_read_b32 v23, v20 offset:5204
	s_waitcnt lgkmcnt(0)
	v_fmac_f32_e32 v19, v22, v23
	s_or_b64 exec, exec, s[16:17]
	v_cmp_gt_u32_e64 s[10:11], 8, v9
	s_and_saveexec_b64 s[16:17], s[10:11]
	s_cbranch_execz .LBB97_744
.LBB97_1143:
	ds_read_b32 v21, v21 offset:5696
	ds_read_b32 v20, v20 offset:5208
	s_waitcnt lgkmcnt(0)
	v_fmac_f32_e32 v19, v21, v20
	s_or_b64 exec, exec, s[16:17]
	v_cmp_gt_u32_e64 s[10:11], 4, v9
	s_and_saveexec_b64 s[16:17], s[10:11]
	s_cbranch_execnz .LBB97_745
	s_branch .LBB97_746
.LBB97_1144:
	ds_read_b32 v22, v21 offset:6912
	ds_read_b32 v23, v20 offset:4204
	s_waitcnt lgkmcnt(0)
	v_fmac_f32_e32 v19, v22, v23
	s_or_b64 exec, exec, s[16:17]
	s_and_saveexec_b64 s[10:11], s[14:15]
	s_cbranch_execz .LBB97_802
.LBB97_1145:
	ds_read_b32 v22, v21 offset:7168
	ds_read_b32 v23, v20 offset:4208
	s_waitcnt lgkmcnt(0)
	v_fmac_f32_e32 v19, v22, v23
	s_or_b64 exec, exec, s[10:11]
	v_cmp_gt_u32_e64 s[10:11], 48, v9
	s_and_saveexec_b64 s[16:17], s[10:11]
	s_cbranch_execz .LBB97_803
.LBB97_1146:
	ds_read_b32 v22, v21 offset:7424
	ds_read_b32 v23, v20 offset:4212
	s_waitcnt lgkmcnt(0)
	v_fmac_f32_e32 v19, v22, v23
	s_or_b64 exec, exec, s[16:17]
	v_cmp_gt_u32_e64 s[10:11], 32, v9
	s_and_saveexec_b64 s[16:17], s[10:11]
	s_cbranch_execz .LBB97_804
.LBB97_1147:
	ds_read_b32 v21, v21 offset:7680
	ds_read_b32 v20, v20 offset:4216
	s_waitcnt lgkmcnt(0)
	v_fmac_f32_e32 v19, v21, v20
	s_or_b64 exec, exec, s[16:17]
	v_cmp_gt_u32_e64 s[10:11], 16, v9
	s_and_saveexec_b64 s[16:17], s[10:11]
	s_cbranch_execnz .LBB97_805
	s_branch .LBB97_806
.LBB97_1148:
	ds_read_b32 v19, v18 offset:3360
	ds_read_b32 v20, v17 offset:3124
	s_waitcnt lgkmcnt(0)
	v_fmac_f32_e32 v16, v19, v20
	s_or_b64 exec, exec, s[12:13]
	v_cmp_gt_u32_e64 s[8:9], 8, v9
	s_and_saveexec_b64 s[12:13], s[8:9]
	s_cbranch_execz .LBB97_890
.LBB97_1149:
	ds_read_b32 v18, v18 offset:3616
	ds_read_b32 v17, v17 offset:3128
	s_waitcnt lgkmcnt(0)
	v_fmac_f32_e32 v16, v18, v17
	s_or_b64 exec, exec, s[12:13]
	v_cmp_gt_u32_e64 s[8:9], 4, v9
	s_and_saveexec_b64 s[12:13], s[8:9]
	s_cbranch_execnz .LBB97_891
	s_branch .LBB97_892
.LBB97_1150:
	ds_read_b32 v19, v18 offset:2304
	ds_read_b32 v20, v17 offset:2084
	s_waitcnt lgkmcnt(0)
	v_fmac_f32_e32 v16, v19, v20
	s_or_b64 exec, exec, s[12:13]
	v_cmp_gt_u32_e64 s[8:9], 48, v9
	s_and_saveexec_b64 s[12:13], s[8:9]
	s_cbranch_execz .LBB97_928
.LBB97_1151:
	ds_read_b32 v19, v18 offset:2560
	ds_read_b32 v20, v17 offset:2088
	s_waitcnt lgkmcnt(0)
	v_fmac_f32_e32 v16, v19, v20
	s_or_b64 exec, exec, s[12:13]
	v_cmp_gt_u32_e64 s[8:9], 40, v9
	s_and_saveexec_b64 s[12:13], s[8:9]
	s_cbranch_execz .LBB97_929
.LBB97_1152:
	ds_read_b32 v19, v18 offset:2816
	ds_read_b32 v20, v17 offset:2092
	s_waitcnt lgkmcnt(0)
	v_fmac_f32_e32 v16, v19, v20
	s_or_b64 exec, exec, s[12:13]
	v_cmp_gt_u32_e64 s[8:9], 32, v9
	s_and_saveexec_b64 s[12:13], s[8:9]
	s_cbranch_execz .LBB97_930
.LBB97_1153:
	ds_read_b32 v19, v18 offset:3072
	ds_read_b32 v20, v17 offset:2096
	s_waitcnt lgkmcnt(0)
	v_fmac_f32_e32 v16, v19, v20
	s_or_b64 exec, exec, s[12:13]
	v_cmp_gt_u32_e64 s[8:9], 24, v9
	s_and_saveexec_b64 s[12:13], s[8:9]
	s_cbranch_execz .LBB97_931
.LBB97_1154:
	ds_read_b32 v19, v18 offset:3328
	ds_read_b32 v20, v17 offset:2100
	s_waitcnt lgkmcnt(0)
	v_fmac_f32_e32 v16, v19, v20
	s_or_b64 exec, exec, s[12:13]
	s_and_saveexec_b64 s[8:9], s[2:3]
	s_cbranch_execz .LBB97_932
.LBB97_1155:
	ds_read_b32 v18, v18 offset:3584
	ds_read_b32 v17, v17 offset:2104
	s_waitcnt lgkmcnt(0)
	v_fmac_f32_e32 v16, v18, v17
	s_or_b64 exec, exec, s[8:9]
	v_cmp_gt_u32_e64 s[8:9], 8, v9
	s_and_saveexec_b64 s[12:13], s[8:9]
	s_cbranch_execnz .LBB97_933
	s_branch .LBB97_934
.LBB97_1156:
	ds_read_b32 v16, v15 offset:1280
	ds_read_b32 v17, v14 offset:1044
	s_waitcnt lgkmcnt(0)
	v_fmac_f32_e32 v13, v16, v17
	s_or_b64 exec, exec, s[12:13]
	v_cmp_gt_u32_e64 s[8:9], 8, v9
	s_and_saveexec_b64 s[12:13], s[8:9]
	s_cbranch_execz .LBB97_986
.LBB97_1157:
	ds_read_b32 v15, v15 offset:1536
	ds_read_b32 v14, v14 offset:1048
	s_waitcnt lgkmcnt(0)
	v_fmac_f32_e32 v13, v15, v14
	s_or_b64 exec, exec, s[12:13]
	v_cmp_gt_u32_e64 s[8:9], 4, v9
	s_and_saveexec_b64 s[12:13], s[8:9]
	s_cbranch_execnz .LBB97_987
	s_branch .LBB97_988
	.section	.rodata,"a",@progbits
	.p2align	6, 0x0
	.amdhsa_kernel _ZL19rocblas_trsv_deviceILi64ELi16ELb0ELb0ELb0ELb1EfPKfPKS1_PKPfEviT7_lllT6_T8_lllPii
		.amdhsa_group_segment_fixed_size 20740
		.amdhsa_private_segment_fixed_size 0
		.amdhsa_kernarg_size 352
		.amdhsa_user_sgpr_count 6
		.amdhsa_user_sgpr_private_segment_buffer 1
		.amdhsa_user_sgpr_dispatch_ptr 0
		.amdhsa_user_sgpr_queue_ptr 0
		.amdhsa_user_sgpr_kernarg_segment_ptr 1
		.amdhsa_user_sgpr_dispatch_id 0
		.amdhsa_user_sgpr_flat_scratch_init 0
		.amdhsa_user_sgpr_private_segment_size 0
		.amdhsa_uses_dynamic_stack 0
		.amdhsa_system_sgpr_private_segment_wavefront_offset 0
		.amdhsa_system_sgpr_workgroup_id_x 1
		.amdhsa_system_sgpr_workgroup_id_y 0
		.amdhsa_system_sgpr_workgroup_id_z 1
		.amdhsa_system_sgpr_workgroup_info 0
		.amdhsa_system_vgpr_workitem_id 1
		.amdhsa_next_free_vgpr 29
		.amdhsa_next_free_sgpr 96
		.amdhsa_reserve_vcc 1
		.amdhsa_reserve_flat_scratch 0
		.amdhsa_float_round_mode_32 0
		.amdhsa_float_round_mode_16_64 0
		.amdhsa_float_denorm_mode_32 3
		.amdhsa_float_denorm_mode_16_64 3
		.amdhsa_dx10_clamp 1
		.amdhsa_ieee_mode 1
		.amdhsa_fp16_overflow 0
		.amdhsa_exception_fp_ieee_invalid_op 0
		.amdhsa_exception_fp_denorm_src 0
		.amdhsa_exception_fp_ieee_div_zero 0
		.amdhsa_exception_fp_ieee_overflow 0
		.amdhsa_exception_fp_ieee_underflow 0
		.amdhsa_exception_fp_ieee_inexact 0
		.amdhsa_exception_int_div_zero 0
	.end_amdhsa_kernel
	.section	.text._ZL19rocblas_trsv_deviceILi64ELi16ELb0ELb0ELb0ELb1EfPKfPKS1_PKPfEviT7_lllT6_T8_lllPii,"axG",@progbits,_ZL19rocblas_trsv_deviceILi64ELi16ELb0ELb0ELb0ELb1EfPKfPKS1_PKPfEviT7_lllT6_T8_lllPii,comdat
.Lfunc_end97:
	.size	_ZL19rocblas_trsv_deviceILi64ELi16ELb0ELb0ELb0ELb1EfPKfPKS1_PKPfEviT7_lllT6_T8_lllPii, .Lfunc_end97-_ZL19rocblas_trsv_deviceILi64ELi16ELb0ELb0ELb0ELb1EfPKfPKS1_PKPfEviT7_lllT6_T8_lllPii
                                        ; -- End function
	.set _ZL19rocblas_trsv_deviceILi64ELi16ELb0ELb0ELb0ELb1EfPKfPKS1_PKPfEviT7_lllT6_T8_lllPii.num_vgpr, 28
	.set _ZL19rocblas_trsv_deviceILi64ELi16ELb0ELb0ELb0ELb1EfPKfPKS1_PKPfEviT7_lllT6_T8_lllPii.num_agpr, 0
	.set _ZL19rocblas_trsv_deviceILi64ELi16ELb0ELb0ELb0ELb1EfPKfPKS1_PKPfEviT7_lllT6_T8_lllPii.numbered_sgpr, 96
	.set _ZL19rocblas_trsv_deviceILi64ELi16ELb0ELb0ELb0ELb1EfPKfPKS1_PKPfEviT7_lllT6_T8_lllPii.num_named_barrier, 0
	.set _ZL19rocblas_trsv_deviceILi64ELi16ELb0ELb0ELb0ELb1EfPKfPKS1_PKPfEviT7_lllT6_T8_lllPii.private_seg_size, 0
	.set _ZL19rocblas_trsv_deviceILi64ELi16ELb0ELb0ELb0ELb1EfPKfPKS1_PKPfEviT7_lllT6_T8_lllPii.uses_vcc, 1
	.set _ZL19rocblas_trsv_deviceILi64ELi16ELb0ELb0ELb0ELb1EfPKfPKS1_PKPfEviT7_lllT6_T8_lllPii.uses_flat_scratch, 0
	.set _ZL19rocblas_trsv_deviceILi64ELi16ELb0ELb0ELb0ELb1EfPKfPKS1_PKPfEviT7_lllT6_T8_lllPii.has_dyn_sized_stack, 0
	.set _ZL19rocblas_trsv_deviceILi64ELi16ELb0ELb0ELb0ELb1EfPKfPKS1_PKPfEviT7_lllT6_T8_lllPii.has_recursion, 0
	.set _ZL19rocblas_trsv_deviceILi64ELi16ELb0ELb0ELb0ELb1EfPKfPKS1_PKPfEviT7_lllT6_T8_lllPii.has_indirect_call, 0
	.section	.AMDGPU.csdata,"",@progbits
; Kernel info:
; codeLenInByte = 30128
; TotalNumSgprs: 100
; NumVgprs: 28
; ScratchSize: 0
; MemoryBound: 0
; FloatMode: 240
; IeeeMode: 1
; LDSByteSize: 20740 bytes/workgroup (compile time only)
; SGPRBlocks: 12
; VGPRBlocks: 7
; NumSGPRsForWavesPerEU: 100
; NumVGPRsForWavesPerEU: 29
; Occupancy: 8
; WaveLimiterHint : 1
; COMPUTE_PGM_RSRC2:SCRATCH_EN: 0
; COMPUTE_PGM_RSRC2:USER_SGPR: 6
; COMPUTE_PGM_RSRC2:TRAP_HANDLER: 0
; COMPUTE_PGM_RSRC2:TGID_X_EN: 1
; COMPUTE_PGM_RSRC2:TGID_Y_EN: 0
; COMPUTE_PGM_RSRC2:TGID_Z_EN: 1
; COMPUTE_PGM_RSRC2:TIDIG_COMP_CNT: 1
	.section	.text._ZL19rocblas_trsv_deviceILi64ELi16ELb0ELb1ELb0ELb1EfPKfPKS1_PKPfEviT7_lllT6_T8_lllPii,"axG",@progbits,_ZL19rocblas_trsv_deviceILi64ELi16ELb0ELb1ELb0ELb1EfPKfPKS1_PKPfEviT7_lllT6_T8_lllPii,comdat
	.globl	_ZL19rocblas_trsv_deviceILi64ELi16ELb0ELb1ELb0ELb1EfPKfPKS1_PKPfEviT7_lllT6_T8_lllPii ; -- Begin function _ZL19rocblas_trsv_deviceILi64ELi16ELb0ELb1ELb0ELb1EfPKfPKS1_PKPfEviT7_lllT6_T8_lllPii
	.p2align	8
	.type	_ZL19rocblas_trsv_deviceILi64ELi16ELb0ELb1ELb0ELb1EfPKfPKS1_PKPfEviT7_lllT6_T8_lllPii,@function
_ZL19rocblas_trsv_deviceILi64ELi16ELb0ELb1ELb0ELb1EfPKfPKS1_PKPfEviT7_lllT6_T8_lllPii: ; @_ZL19rocblas_trsv_deviceILi64ELi16ELb0ELb1ELb0ELb1EfPKfPKS1_PKPfEviT7_lllT6_T8_lllPii
; %bb.0:
	s_load_dwordx4 s[0:3], s[4:5], 0x8
	s_mov_b32 s28, s7
	s_mov_b32 s29, 0
	s_lshl_b64 s[8:9], s[28:29], 3
	s_waitcnt lgkmcnt(0)
	s_add_u32 s0, s0, s8
	s_addc_u32 s1, s1, s9
	s_load_dwordx2 s[10:11], s[0:1], 0x0
	s_load_dword s33, s[4:5], 0x0
	s_load_dwordx8 s[20:27], s[4:5], 0x28
	s_load_dwordx2 s[30:31], s[4:5], 0x18
	s_lshl_b64 s[0:1], s[2:3], 2
	s_waitcnt lgkmcnt(0)
	s_add_u32 s86, s10, s0
	s_addc_u32 s87, s11, s1
	s_add_u32 s0, s22, s8
	s_addc_u32 s1, s23, s9
	s_load_dwordx2 s[34:35], s[0:1], 0x0
	s_load_dword s17, s[20:21], 0x0
	s_load_dword s16, s[4:5], 0x6c
	s_cmp_eq_u32 s6, 0
	s_cbranch_scc1 .LBB98_10
; %bb.1:
	s_lshl_b32 s2, s6, 6
	v_add_u32_e32 v6, s2, v0
	v_ashrrev_i32_e32 v2, 31, v6
	v_mul_lo_u32 v7, s30, v2
	v_mul_lo_u32 v8, s31, v6
	v_mad_u64_u32 v[4:5], s[0:1], s30, v6, 0
	v_add_u32_e32 v2, s2, v1
	v_subrev_u32_e32 v2, 64, v2
	v_add3_u32 v5, v5, v7, v8
	v_lshlrev_b64 v[4:5], 2, v[4:5]
	v_ashrrev_i32_e32 v3, 31, v2
	v_cmp_gt_i32_e32 vcc, s33, v6
	v_mov_b32_e32 v6, s87
	v_add_co_u32_e64 v7, s[0:1], s86, v4
	v_lshlrev_b64 v[3:4], 2, v[2:3]
	v_addc_co_u32_e64 v5, s[0:1], v6, v5, s[0:1]
	v_add_co_u32_e64 v3, s[0:1], v7, v3
	v_addc_co_u32_e64 v4, s[0:1], v5, v4, s[0:1]
	v_cmp_gt_i32_e64 s[0:1], s33, v2
	s_and_b64 s[2:3], s[0:1], vcc
	v_mov_b32_e32 v7, 0
	v_mov_b32_e32 v8, 0
	s_waitcnt lgkmcnt(0)
	s_barrier
	s_and_saveexec_b64 s[0:1], s[2:3]
	s_cbranch_execz .LBB98_3
; %bb.2:
	flat_load_dword v8, v[3:4]
.LBB98_3:
	s_or_b64 exec, exec, s[0:1]
	v_add_u32_e32 v5, 16, v2
	v_cmp_gt_i32_e64 s[0:1], s33, v5
	s_and_b64 s[2:3], s[0:1], vcc
	s_waitcnt vmcnt(0) lgkmcnt(0)
	s_barrier
	s_and_saveexec_b64 s[0:1], s[2:3]
	s_cbranch_execz .LBB98_5
; %bb.4:
	flat_load_dword v7, v[3:4] offset:64
.LBB98_5:
	s_or_b64 exec, exec, s[0:1]
	v_add_u32_e32 v5, 32, v2
	v_cmp_gt_i32_e64 s[0:1], s33, v5
	s_and_b64 s[2:3], s[0:1], vcc
	v_mov_b32_e32 v9, 0
	v_mov_b32_e32 v10, 0
	s_waitcnt vmcnt(0) lgkmcnt(0)
	s_barrier
	s_and_saveexec_b64 s[0:1], s[2:3]
	s_cbranch_execz .LBB98_7
; %bb.6:
	flat_load_dword v10, v[3:4] offset:128
.LBB98_7:
	s_or_b64 exec, exec, s[0:1]
	v_add_u32_e32 v2, 48, v2
	v_cmp_gt_i32_e64 s[0:1], s33, v2
	s_and_b64 s[2:3], s[0:1], vcc
	s_waitcnt vmcnt(0) lgkmcnt(0)
	s_barrier
	s_and_saveexec_b64 s[0:1], s[2:3]
	s_cbranch_execz .LBB98_9
; %bb.8:
	flat_load_dword v9, v[3:4] offset:192
.LBB98_9:
	s_or_b64 exec, exec, s[0:1]
	s_branch .LBB98_11
.LBB98_10:
                                        ; implicit-def: $vgpr9
                                        ; implicit-def: $vgpr10
                                        ; implicit-def: $vgpr7
                                        ; implicit-def: $vgpr8
.LBB98_11:
	s_ashr_i32 s0, s33, 31
	s_lshr_b32 s0, s0, 26
	s_add_i32 s0, s33, s0
	s_andn2_b32 s0, s0, 63
	s_sub_i32 s7, s33, s0
	s_add_i32 s0, s33, -1
	s_ashr_i32 s1, s0, 31
	s_lshr_b32 s1, s1, 26
	s_add_i32 s0, s0, s1
	s_ashr_i32 s0, s0, 6
	s_cmp_eq_u32 s0, s6
	s_cselect_b64 s[0:1], -1, 0
	s_cmp_lg_u32 s7, 0
	s_cselect_b64 s[2:3], -1, 0
	s_and_b64 s[22:23], s[2:3], s[0:1]
	s_cmp_lt_i32 s6, 5
	s_cselect_b64 s[2:3], -1, 0
	s_mov_b64 s[12:13], -1
	s_or_b64 s[0:1], s[2:3], s[22:23]
	v_lshlrev_b32_e32 v4, 6, v0
	s_and_b64 vcc, exec, s[22:23]
	v_cmp_le_u32_e64 s[8:9], v1, v0
	v_lshlrev_b32_e32 v6, 2, v0
	s_cbranch_vccnz .LBB98_27
; %bb.12:
	s_add_u32 s10, s30, 1
	s_addc_u32 s11, s31, 0
	s_lshl_b32 s12, s6, 6
	s_ashr_i32 s13, s12, 31
	s_mul_hi_u32 s14, s10, s12
	s_mul_i32 s13, s10, s13
	s_add_i32 s13, s14, s13
	s_mul_i32 s11, s11, s12
	s_add_i32 s11, s13, s11
	s_mul_i32 s10, s10, s12
	s_lshl_b64 s[10:11], s[10:11], 2
	s_add_u32 s10, s86, s10
	s_addc_u32 s11, s87, s11
	v_lshlrev_b32_e32 v2, 2, v0
	v_mov_b32_e32 v3, s11
	v_add_co_u32_e32 v2, vcc, s10, v2
	v_mov_b32_e32 v5, 0
	v_addc_co_u32_e32 v3, vcc, 0, v3, vcc
	s_mov_b64 s[10:11], 0
	s_and_saveexec_b64 s[12:13], s[8:9]
	s_xor_b64 s[8:9], exec, s[12:13]
	s_cbranch_execnz .LBB98_1149
; %bb.13:
	s_andn2_saveexec_b64 s[8:9], s[8:9]
	s_cbranch_execnz .LBB98_1150
.LBB98_14:
	s_or_b64 exec, exec, s[8:9]
	s_and_saveexec_b64 s[8:9], s[10:11]
.LBB98_15:
	v_add_u32_e32 v11, v1, v4
	v_lshl_add_u32 v12, v1, 6, v0
	v_cndmask_b32_e64 v11, v12, v11, s[2:3]
	v_lshlrev_b32_e32 v11, 2, v11
	ds_write_b32 v11, v5
.LBB98_16:
	s_or_b64 exec, exec, s[8:9]
	v_add_u32_e32 v5, 16, v1
	v_cmp_le_u32_e32 vcc, v5, v0
	s_mov_b64 s[2:3], 0
	s_and_saveexec_b64 s[8:9], vcc
	s_xor_b64 s[8:9], exec, s[8:9]
	s_cbranch_execnz .LBB98_1151
; %bb.17:
	s_or_saveexec_b64 s[8:9], s[8:9]
	v_mov_b32_e32 v11, 0
	s_xor_b64 exec, exec, s[8:9]
	s_cbranch_execnz .LBB98_1152
.LBB98_18:
	s_or_b64 exec, exec, s[8:9]
	s_and_saveexec_b64 s[8:9], s[2:3]
.LBB98_19:
	v_add_u32_e32 v12, v5, v4
	v_lshl_add_u32 v5, v5, 6, v0
	v_cndmask_b32_e64 v5, v5, v12, s[0:1]
	v_lshlrev_b32_e32 v5, 2, v5
	ds_write_b32 v5, v11
.LBB98_20:
	s_or_b64 exec, exec, s[8:9]
	v_add_u32_e32 v5, 32, v1
	v_cmp_le_u32_e32 vcc, v5, v0
	s_mov_b64 s[2:3], 0
	s_and_saveexec_b64 s[8:9], vcc
	s_xor_b64 s[8:9], exec, s[8:9]
	s_cbranch_execnz .LBB98_1153
; %bb.21:
	s_or_saveexec_b64 s[8:9], s[8:9]
	v_mov_b32_e32 v11, 0
	s_xor_b64 exec, exec, s[8:9]
	s_cbranch_execnz .LBB98_1154
.LBB98_22:
	s_or_b64 exec, exec, s[8:9]
	s_and_saveexec_b64 s[8:9], s[2:3]
.LBB98_23:
	v_add_u32_e32 v12, v5, v4
	v_lshl_add_u32 v5, v5, 6, v0
	v_cndmask_b32_e64 v5, v5, v12, s[0:1]
	v_lshlrev_b32_e32 v5, 2, v5
	ds_write_b32 v5, v11
.LBB98_24:
	s_or_b64 exec, exec, s[8:9]
	v_add_u32_e32 v5, 48, v1
	v_add_u32_e32 v11, v5, v4
	v_lshl_add_u32 v12, v5, 6, v0
	v_cmp_le_u32_e32 vcc, v5, v0
	s_mov_b64 s[2:3], -1
	s_mov_b64 s[12:13], 0
	s_mov_b64 s[10:11], 0
	s_and_saveexec_b64 s[8:9], vcc
	s_xor_b64 s[8:9], exec, s[8:9]
; %bb.25:
	v_or_b32_e32 v13, v5, v0
	v_cmp_gt_u32_e32 vcc, 64, v13
	s_and_b64 s[10:11], vcc, exec
	s_xor_b64 s[2:3], exec, -1
; %bb.26:
	s_or_b64 exec, exec, s[8:9]
	v_cndmask_b32_e64 v11, v12, v11, s[0:1]
	s_and_b64 vcc, exec, s[12:13]
	s_cbranch_vccnz .LBB98_28
	s_branch .LBB98_43
.LBB98_27:
	s_mov_b64 s[2:3], 0
	s_mov_b64 s[10:11], 0
                                        ; implicit-def: $vgpr11
                                        ; implicit-def: $vgpr2_vgpr3
                                        ; implicit-def: $vgpr5
	s_and_b64 vcc, exec, s[12:13]
	s_cbranch_vccz .LBB98_43
.LBB98_28:
	s_add_u32 s2, s30, 1
	s_addc_u32 s3, s31, 0
	s_lshl_b32 s8, s6, 6
	s_ashr_i32 s9, s8, 31
	s_mul_hi_u32 s12, s2, s8
	s_mul_i32 s9, s2, s9
	s_add_i32 s9, s12, s9
	s_mul_i32 s3, s3, s8
	s_add_i32 s3, s9, s3
	s_mul_i32 s2, s2, s8
	s_lshl_b64 s[2:3], s[2:3], 2
	s_add_u32 s2, s86, s2
	s_addc_u32 s3, s87, s3
	v_lshlrev_b32_e32 v2, 2, v0
	v_mov_b32_e32 v3, s3
	v_add_co_u32_e64 v2, s[2:3], s2, v2
	v_addc_co_u32_e64 v3, s[2:3], 0, v3, s[2:3]
	v_max_i32_e32 v11, v1, v0
	v_cmp_le_u32_e64 s[2:3], v1, v0
	v_cmp_le_i32_e64 s[8:9], s7, v11
	v_cmp_gt_i32_e32 vcc, s7, v0
	v_mov_b32_e32 v5, 0
	s_or_b64 s[2:3], s[8:9], s[2:3]
	s_mov_b64 s[8:9], 0
	s_and_saveexec_b64 s[12:13], s[2:3]
	s_xor_b64 s[12:13], exec, s[12:13]
	s_cbranch_execnz .LBB98_1155
; %bb.29:
	s_andn2_saveexec_b64 s[12:13], s[12:13]
	s_cbranch_execnz .LBB98_1156
.LBB98_30:
	s_or_b64 exec, exec, s[12:13]
	s_and_saveexec_b64 s[2:3], s[8:9]
.LBB98_31:
	v_lshlrev_b32_e32 v11, 2, v4
	v_lshl_add_u32 v11, v1, 2, v11
	ds_write_b32 v11, v5
.LBB98_32:
	s_or_b64 exec, exec, s[2:3]
	v_add_u32_e32 v5, 16, v1
	v_cmp_gt_u32_e64 s[2:3], v5, v0
	v_cmp_gt_i32_e64 s[8:9], s7, v5
	s_and_b64 s[2:3], s[2:3], s[8:9]
	s_and_b64 s[2:3], s[2:3], vcc
	s_xor_b64 s[2:3], s[2:3], -1
	s_mov_b64 s[8:9], 0
	s_and_saveexec_b64 s[12:13], s[2:3]
	s_xor_b64 s[12:13], exec, s[12:13]
	s_cbranch_execnz .LBB98_1157
; %bb.33:
	s_or_saveexec_b64 s[12:13], s[12:13]
	v_mov_b32_e32 v11, 0
	s_xor_b64 exec, exec, s[12:13]
	s_cbranch_execnz .LBB98_1158
.LBB98_34:
	s_or_b64 exec, exec, s[12:13]
	s_and_saveexec_b64 s[2:3], s[8:9]
.LBB98_35:
	v_add_u32_e32 v12, v5, v4
	v_lshl_add_u32 v5, v5, 6, v0
	v_cndmask_b32_e64 v5, v5, v12, s[0:1]
	v_lshlrev_b32_e32 v5, 2, v5
	ds_write_b32 v5, v11
.LBB98_36:
	s_or_b64 exec, exec, s[2:3]
	v_add_u32_e32 v5, 32, v1
	v_cmp_gt_u32_e64 s[2:3], v5, v0
	v_cmp_gt_i32_e64 s[8:9], s7, v5
	s_and_b64 s[2:3], s[2:3], s[8:9]
	s_and_b64 s[2:3], s[2:3], vcc
	s_xor_b64 s[2:3], s[2:3], -1
	s_mov_b64 s[8:9], 0
	s_and_saveexec_b64 s[12:13], s[2:3]
	s_xor_b64 s[12:13], exec, s[12:13]
	s_cbranch_execnz .LBB98_1159
; %bb.37:
	s_or_saveexec_b64 s[12:13], s[12:13]
	v_mov_b32_e32 v11, 0
	s_xor_b64 exec, exec, s[12:13]
	s_cbranch_execnz .LBB98_1160
.LBB98_38:
	s_or_b64 exec, exec, s[12:13]
	s_and_saveexec_b64 s[2:3], s[8:9]
.LBB98_39:
	v_add_u32_e32 v12, v5, v4
	v_lshl_add_u32 v5, v5, 6, v0
	v_cndmask_b32_e64 v5, v5, v12, s[0:1]
	v_lshlrev_b32_e32 v5, 2, v5
	ds_write_b32 v5, v11
.LBB98_40:
	s_or_b64 exec, exec, s[2:3]
	v_add_u32_e32 v5, 48, v1
	v_cmp_gt_u32_e64 s[2:3], v5, v0
	v_cmp_gt_i32_e64 s[8:9], s7, v5
	s_and_b64 s[2:3], s[2:3], s[8:9]
	s_and_b64 s[8:9], s[2:3], vcc
	v_add_u32_e32 v4, v5, v4
	v_lshl_add_u32 v11, v5, 6, v0
	s_mov_b64 s[2:3], -1
	s_xor_b64 s[12:13], s[8:9], -1
	s_and_saveexec_b64 s[8:9], s[12:13]
; %bb.41:
	v_or_b32_e32 v12, v5, v0
	v_cmp_gt_u32_e32 vcc, 64, v12
	s_andn2_b64 s[2:3], s[10:11], exec
	s_and_b64 s[10:11], vcc, exec
	s_or_b64 s[10:11], s[2:3], s[10:11]
	s_xor_b64 s[2:3], exec, -1
; %bb.42:
	s_or_b64 exec, exec, s[8:9]
	v_cndmask_b32_e64 v11, v11, v4, s[0:1]
.LBB98_43:
	v_mov_b32_e32 v4, 0
	s_and_saveexec_b64 s[8:9], s[2:3]
	s_cbranch_execnz .LBB98_1127
; %bb.44:
	s_or_b64 exec, exec, s[8:9]
	s_xor_b64 s[0:1], s[0:1], -1
	s_and_saveexec_b64 s[2:3], s[10:11]
.LBB98_45:
	v_lshlrev_b32_e32 v2, 2, v11
	ds_write_b32 v2, v4
.LBB98_46:
	s_or_b64 exec, exec, s[2:3]
	v_cndmask_b32_e64 v2, 0, 1, s[0:1]
	v_cmp_ne_u32_e64 s[44:45], 1, v2
	s_andn2_b64 vcc, exec, s[0:1]
	s_waitcnt vmcnt(0) lgkmcnt(0)
	s_barrier
	s_cbranch_vccnz .LBB98_1084
; %bb.47:
	v_or_b32_e32 v2, v0, v1
	v_cmp_eq_u32_e32 vcc, 0, v2
	s_and_saveexec_b64 s[0:1], vcc
	s_cbranch_execz .LBB98_49
; %bb.48:
	v_mov_b32_e32 v4, 0
	ds_read_b32 v3, v4 offset:16376
	v_mov_b32_e32 v2, 1.0
	ds_write_b32 v4, v2 offset:16380
	s_waitcnt lgkmcnt(1)
	ds_write_b64 v4, v[2:3] offset:16120
.LBB98_49:
	s_or_b64 exec, exec, s[0:1]
	v_lshlrev_b32_e32 v3, 6, v1
	v_add_u32_e32 v5, v3, v0
	v_and_b32_e32 v4, v3, v0
	v_xor_b32_e32 v3, v3, v0
	v_lshrrev_b16_e32 v3, 1, v3
	v_add_u16_e32 v4, v4, v3
	v_and_b32_e32 v2, 1, v0
	v_sub_u32_e32 v3, 1, v4
	v_cmp_lt_u32_e64 s[8:9], 3, v5
	v_cmp_gt_u32_e64 s[2:3], 4, v5
	v_mov_b32_e32 v11, 0
	s_waitcnt lgkmcnt(0)
	s_barrier
	buffer_wbinvl1_vol
	s_and_saveexec_b64 s[0:1], s[2:3]
	s_cbranch_execz .LBB98_53
; %bb.50:
	v_lshlrev_b32_e32 v11, 8, v3
	v_lshlrev_b32_e32 v12, 2, v2
	ds_read_b32 v13, v12 offset:16112
	ds_read_b32 v11, v11 offset:16120
	v_mov_b32_e32 v12, 0
	v_cmp_gt_u32_e64 s[10:11], 2, v5
	s_waitcnt lgkmcnt(0)
	v_fma_f32 v11, v13, v11, 0
	s_and_saveexec_b64 s[12:13], s[10:11]
	s_cbranch_execz .LBB98_52
; %bb.51:
	v_lshlrev_b32_e32 v13, 2, v0
	ds_read_b32 v13, v13 offset:16368
	ds_read_b32 v12, v12 offset:16380
	s_waitcnt lgkmcnt(0)
	v_fmac_f32_e32 v11, v13, v12
.LBB98_52:
	s_or_b64 exec, exec, s[12:13]
.LBB98_53:
	s_or_b64 exec, exec, s[0:1]
	v_mov_b32_e32 v12, 0x4000
	v_cmp_ne_u32_e64 s[10:11], 0, v2
	s_xor_b64 s[0:1], s[8:9], -1
	v_lshl_add_u32 v4, v4, 2, v12
	s_and_b64 s[38:39], s[10:11], s[0:1]
	s_and_saveexec_b64 s[8:9], s[38:39]
; %bb.54:
	v_xor_b32_e32 v12, 0x80000000, v11
	ds_write_b32 v4, v12
; %bb.55:
	s_or_b64 exec, exec, s[8:9]
	v_cmp_eq_u32_e64 s[8:9], 0, v2
	s_and_b64 s[36:37], s[8:9], s[0:1]
	s_waitcnt lgkmcnt(0)
	s_barrier
	s_and_saveexec_b64 s[0:1], s[36:37]
	s_cbranch_execz .LBB98_57
; %bb.56:
	v_mov_b32_e32 v12, 0
	ds_read_b32 v12, v12 offset:15856
	ds_read_b32 v13, v4
	s_waitcnt lgkmcnt(0)
	v_fma_f32 v11, -v12, v13, v11
.LBB98_57:
	s_or_b64 exec, exec, s[0:1]
	s_barrier
	s_and_saveexec_b64 s[0:1], s[36:37]
; %bb.58:
	v_xor_b32_e32 v12, 0x80000000, v11
	ds_write_b32 v4, v12
; %bb.59:
	s_or_b64 exec, exec, s[0:1]
	s_waitcnt lgkmcnt(0)
	s_barrier
	s_barrier
	s_and_saveexec_b64 s[0:1], s[2:3]
; %bb.60:
	v_lshlrev_b32_e32 v12, 2, v2
	v_lshl_or_b32 v12, v3, 8, v12
	ds_write_b32 v12, v11 offset:16112
; %bb.61:
	s_or_b64 exec, exec, s[0:1]
	v_cmp_eq_u32_e64 s[12:13], 0, v1
	v_cmp_gt_u32_e64 s[8:9], 2, v0
	s_and_b64 s[40:41], s[12:13], s[8:9]
	s_waitcnt lgkmcnt(0)
	s_barrier
	s_barrier
	s_and_saveexec_b64 s[0:1], s[40:41]
	s_cbranch_execz .LBB98_63
; %bb.62:
	v_lshlrev_b32_e32 v11, 2, v0
	s_movk_i32 s8, 0xfc
	v_mad_u32_u24 v12, v0, s8, v11
	ds_read_b32 v13, v12 offset:16112
	s_waitcnt lgkmcnt(0)
	ds_write_b32 v11, v13 offset:15608
	ds_read_b32 v12, v12 offset:16116
	s_waitcnt lgkmcnt(0)
	ds_write_b32 v11, v12 offset:15864
.LBB98_63:
	s_or_b64 exec, exec, s[0:1]
	s_waitcnt lgkmcnt(0)
	s_barrier
	s_and_saveexec_b64 s[0:1], vcc
	s_cbranch_execz .LBB98_65
; %bb.64:
	v_mov_b32_e32 v13, 0
	ds_read_b32 v12, v13 offset:15856
	v_mov_b32_e32 v11, 1.0
	ds_write_b32 v13, v11 offset:15860
	s_waitcnt lgkmcnt(1)
	ds_write_b64 v13, v[11:12] offset:15600
.LBB98_65:
	s_or_b64 exec, exec, s[0:1]
	v_lshrrev_b32_e32 v13, 2, v5
	v_and_b32_e32 v11, 3, v0
	v_sub_u32_e32 v12, 3, v13
	v_cmp_lt_u32_e64 s[8:9], 15, v5
	v_cmp_gt_u32_e64 s[18:19], 16, v5
	v_mov_b32_e32 v14, 0
	s_waitcnt lgkmcnt(0)
	s_barrier
	buffer_wbinvl1_vol
	s_and_saveexec_b64 s[0:1], s[18:19]
	s_cbranch_execz .LBB98_71
; %bb.66:
	v_lshlrev_b32_e32 v16, 2, v11
	v_lshlrev_b32_e32 v15, 8, v12
	ds_read_b32 v14, v16 offset:15584
	ds_read_b32 v17, v15 offset:15600
	v_cmp_gt_u32_e64 s[10:11], 12, v5
	s_waitcnt lgkmcnt(0)
	v_fma_f32 v14, v14, v17, 0
	s_and_saveexec_b64 s[14:15], s[10:11]
	s_cbranch_execnz .LBB98_1172
; %bb.67:
	s_or_b64 exec, exec, s[14:15]
	v_cmp_gt_u32_e64 s[10:11], 8, v5
	s_and_saveexec_b64 s[14:15], s[10:11]
	s_cbranch_execnz .LBB98_1173
.LBB98_68:
	s_or_b64 exec, exec, s[14:15]
	v_cmp_gt_u32_e64 s[10:11], 4, v5
	s_and_saveexec_b64 s[14:15], s[10:11]
	s_cbranch_execz .LBB98_70
.LBB98_69:
	v_lshlrev_b32_e32 v15, 2, v0
	v_mov_b32_e32 v16, 0
	ds_read_b32 v15, v15 offset:16352
	ds_read_b32 v16, v16 offset:16380
	s_waitcnt lgkmcnt(0)
	v_fmac_f32_e32 v14, v15, v16
.LBB98_70:
	s_or_b64 exec, exec, s[14:15]
.LBB98_71:
                                        ; implicit-def: $vgpr28 : SGPR spill to VGPR lane
	v_writelane_b32 v28, s44, 0
	v_writelane_b32 v28, s45, 1
	;; [unrolled: 1-line block ×3, first 2 shown]
	s_or_b64 exec, exec, s[0:1]
	v_mov_b32_e32 v15, 0x4000
	v_cmp_eq_u32_e64 s[10:11], 3, v11
	s_xor_b64 s[0:1], s[8:9], -1
	v_lshl_add_u32 v13, v13, 2, v15
	s_and_b64 s[44:45], s[10:11], s[0:1]
	s_and_saveexec_b64 s[8:9], s[44:45]
; %bb.72:
	v_xor_b32_e32 v15, 0x80000000, v14
	ds_write_b32 v13, v15
; %bb.73:
	s_or_b64 exec, exec, s[8:9]
	v_cmp_ne_u32_e64 s[8:9], 3, v11
	s_and_b64 s[46:47], s[8:9], s[0:1]
	s_waitcnt lgkmcnt(0)
	s_barrier
	s_and_saveexec_b64 s[8:9], s[46:47]
	s_cbranch_execz .LBB98_75
; %bb.74:
	v_lshlrev_b32_e32 v15, 2, v11
	ds_read_b32 v15, v15 offset:15328
	ds_read_b32 v16, v13
	s_waitcnt lgkmcnt(0)
	v_fma_f32 v14, -v15, v16, v14
.LBB98_75:
	s_or_b64 exec, exec, s[8:9]
	v_cmp_eq_u32_e64 s[8:9], 2, v11
	s_and_b64 s[48:49], s[8:9], s[0:1]
	s_barrier
	s_and_saveexec_b64 s[8:9], s[48:49]
; %bb.76:
	v_xor_b32_e32 v15, 0x80000000, v14
	ds_write_b32 v13, v15
; %bb.77:
	s_or_b64 exec, exec, s[8:9]
	v_cmp_gt_u32_e64 s[8:9], 2, v11
	s_and_b64 s[50:51], s[8:9], s[0:1]
	s_waitcnt lgkmcnt(0)
	s_barrier
	s_and_saveexec_b64 s[8:9], s[50:51]
	s_cbranch_execz .LBB98_79
; %bb.78:
	v_lshlrev_b32_e32 v15, 2, v11
	ds_read_b32 v15, v15 offset:15072
	ds_read_b32 v16, v13
	s_waitcnt lgkmcnt(0)
	v_fma_f32 v14, -v15, v16, v14
.LBB98_79:
	s_or_b64 exec, exec, s[8:9]
	v_cmp_eq_u32_e64 s[8:9], 1, v11
	s_and_b64 s[52:53], s[8:9], s[0:1]
	s_barrier
	s_and_saveexec_b64 s[8:9], s[52:53]
; %bb.80:
	v_xor_b32_e32 v15, 0x80000000, v14
	ds_write_b32 v13, v15
; %bb.81:
	s_or_b64 exec, exec, s[8:9]
	v_cmp_eq_u32_e64 s[8:9], 0, v11
	s_and_b64 s[42:43], s[8:9], s[0:1]
	s_waitcnt lgkmcnt(0)
	s_barrier
	s_and_saveexec_b64 s[0:1], s[42:43]
	s_cbranch_execz .LBB98_83
; %bb.82:
	v_mov_b32_e32 v15, 0
	ds_read_b32 v15, v15 offset:14816
	ds_read_b32 v16, v13
	s_waitcnt lgkmcnt(0)
	v_fma_f32 v14, -v15, v16, v14
.LBB98_83:
	s_or_b64 exec, exec, s[0:1]
	s_barrier
	s_and_saveexec_b64 s[0:1], s[42:43]
; %bb.84:
	v_xor_b32_e32 v15, 0x80000000, v14
	ds_write_b32 v13, v15
; %bb.85:
	s_or_b64 exec, exec, s[0:1]
	s_waitcnt lgkmcnt(0)
	s_barrier
	s_barrier
	s_and_saveexec_b64 s[0:1], s[18:19]
; %bb.86:
	v_lshlrev_b32_e32 v15, 2, v11
	v_lshl_or_b32 v15, v12, 8, v15
	ds_write_b32 v15, v14 offset:15584
; %bb.87:
	s_or_b64 exec, exec, s[0:1]
	v_cmp_gt_u32_e64 s[8:9], 4, v0
	s_and_b64 s[54:55], s[12:13], s[8:9]
	s_waitcnt lgkmcnt(0)
	s_barrier
	s_barrier
	s_and_saveexec_b64 s[0:1], s[54:55]
	s_cbranch_execz .LBB98_89
; %bb.88:
	v_lshlrev_b32_e32 v14, 8, v0
	ds_read_b32 v15, v14 offset:15584
	s_movk_i32 s8, 0xff04
	v_mad_i32_i24 v16, v0, s8, v14
	s_waitcnt lgkmcnt(0)
	ds_write_b32 v16, v15 offset:14576
	ds_read_b32 v15, v14 offset:15588
	s_waitcnt lgkmcnt(0)
	ds_write_b32 v16, v15 offset:14832
	ds_read_b32 v15, v14 offset:15592
	;; [unrolled: 3-line block ×3, first 2 shown]
	s_waitcnt lgkmcnt(0)
	ds_write_b32 v16, v14 offset:15344
.LBB98_89:
	s_or_b64 exec, exec, s[0:1]
	s_waitcnt lgkmcnt(0)
	s_barrier
	s_and_saveexec_b64 s[0:1], vcc
	s_cbranch_execz .LBB98_91
; %bb.90:
	v_mov_b32_e32 v16, 0
	ds_read_b32 v15, v16 offset:15336
	v_mov_b32_e32 v14, 1.0
	ds_write_b32 v16, v14 offset:15340
	s_waitcnt lgkmcnt(1)
	ds_write_b64 v16, v[14:15] offset:15080
.LBB98_91:
	s_or_b64 exec, exec, s[0:1]
	v_mov_b32_e32 v14, 0
	s_waitcnt lgkmcnt(0)
	s_barrier
	buffer_wbinvl1_vol
	s_and_saveexec_b64 s[0:1], s[2:3]
	s_cbranch_execz .LBB98_95
; %bb.92:
	v_lshlrev_b32_e32 v14, 8, v3
	v_lshlrev_b32_e32 v15, 2, v2
	ds_read_b32 v16, v15 offset:15072
	ds_read_b32 v14, v14 offset:15080
	v_mov_b32_e32 v15, 0
	v_cmp_gt_u32_e64 s[8:9], 2, v5
	s_waitcnt lgkmcnt(0)
	v_fma_f32 v14, v16, v14, 0
	s_and_saveexec_b64 s[10:11], s[8:9]
	s_cbranch_execz .LBB98_94
; %bb.93:
	v_lshlrev_b32_e32 v16, 2, v0
	ds_read_b32 v16, v16 offset:15328
	ds_read_b32 v15, v15 offset:15340
	s_waitcnt lgkmcnt(0)
	v_fmac_f32_e32 v14, v16, v15
.LBB98_94:
	s_or_b64 exec, exec, s[10:11]
.LBB98_95:
	s_or_b64 exec, exec, s[0:1]
	s_and_saveexec_b64 s[0:1], s[38:39]
; %bb.96:
	v_xor_b32_e32 v15, 0x80000000, v14
	ds_write_b32 v4, v15
; %bb.97:
	s_or_b64 exec, exec, s[0:1]
	s_waitcnt lgkmcnt(0)
	s_barrier
	s_and_saveexec_b64 s[0:1], s[36:37]
	s_cbranch_execz .LBB98_99
; %bb.98:
	v_mov_b32_e32 v15, 0
	ds_read_b32 v15, v15 offset:14816
	ds_read_b32 v16, v4
	s_waitcnt lgkmcnt(0)
	v_fma_f32 v14, -v15, v16, v14
.LBB98_99:
	s_or_b64 exec, exec, s[0:1]
	s_barrier
	s_and_saveexec_b64 s[0:1], s[36:37]
; %bb.100:
	v_xor_b32_e32 v15, 0x80000000, v14
	ds_write_b32 v4, v15
; %bb.101:
	s_or_b64 exec, exec, s[0:1]
	s_waitcnt lgkmcnt(0)
	s_barrier
	s_barrier
	s_and_saveexec_b64 s[0:1], s[2:3]
; %bb.102:
	v_lshlrev_b32_e32 v15, 2, v2
	v_lshl_or_b32 v15, v3, 8, v15
	ds_write_b32 v15, v14 offset:15072
; %bb.103:
	s_or_b64 exec, exec, s[0:1]
	s_waitcnt lgkmcnt(0)
	s_barrier
	s_barrier
	s_and_saveexec_b64 s[0:1], s[40:41]
	s_cbranch_execz .LBB98_105
; %bb.104:
	v_lshlrev_b32_e32 v14, 2, v0
	s_movk_i32 s8, 0xfc
	v_mad_u32_u24 v15, v0, s8, v14
	ds_read_b32 v16, v15 offset:15072
	s_waitcnt lgkmcnt(0)
	ds_write_b32 v14, v16 offset:14568
	ds_read_b32 v15, v15 offset:15076
	s_waitcnt lgkmcnt(0)
	ds_write_b32 v14, v15 offset:14824
.LBB98_105:
	s_or_b64 exec, exec, s[0:1]
	s_waitcnt lgkmcnt(0)
	s_barrier
	s_and_saveexec_b64 s[0:1], vcc
	s_cbranch_execz .LBB98_107
; %bb.106:
	v_mov_b32_e32 v16, 0
	ds_read_b32 v15, v16 offset:14816
	v_mov_b32_e32 v14, 1.0
	ds_write_b32 v16, v14 offset:14820
	s_waitcnt lgkmcnt(1)
	ds_write_b64 v16, v[14:15] offset:14560
.LBB98_107:
	s_or_b64 exec, exec, s[0:1]
	v_lshrrev_b32_e32 v16, 3, v5
	v_and_b32_e32 v14, 7, v0
	v_sub_u32_e32 v15, 7, v16
	v_cmp_lt_u32_e64 s[10:11], 63, v5
	v_cmp_gt_u32_e64 s[8:9], 64, v5
	v_mov_b32_e32 v17, 0
	s_waitcnt lgkmcnt(0)
	s_barrier
	buffer_wbinvl1_vol
	s_and_saveexec_b64 s[0:1], s[8:9]
	s_cbranch_execz .LBB98_117
; %bb.108:
	v_lshlrev_b32_e32 v19, 2, v14
	v_lshlrev_b32_e32 v18, 8, v15
	ds_read_b32 v17, v19 offset:14528
	ds_read_b32 v20, v18 offset:14560
	v_cmp_gt_u32_e64 s[14:15], 56, v5
	s_waitcnt lgkmcnt(0)
	v_fma_f32 v17, v17, v20, 0
	s_and_saveexec_b64 s[16:17], s[14:15]
	s_cbranch_execnz .LBB98_1174
; %bb.109:
	s_or_b64 exec, exec, s[16:17]
	v_cmp_gt_u32_e64 s[14:15], 48, v5
	s_and_saveexec_b64 s[16:17], s[14:15]
	s_cbranch_execnz .LBB98_1175
.LBB98_110:
	s_or_b64 exec, exec, s[16:17]
	v_cmp_gt_u32_e64 s[14:15], 40, v5
	s_and_saveexec_b64 s[16:17], s[14:15]
	s_cbranch_execnz .LBB98_1176
.LBB98_111:
	s_or_b64 exec, exec, s[16:17]
	v_cmp_gt_u32_e64 s[14:15], 32, v5
	s_and_saveexec_b64 s[16:17], s[14:15]
	s_cbranch_execnz .LBB98_1177
.LBB98_112:
	s_or_b64 exec, exec, s[16:17]
	v_cmp_gt_u32_e64 s[14:15], 24, v5
	s_and_saveexec_b64 s[16:17], s[14:15]
	s_cbranch_execnz .LBB98_1178
.LBB98_113:
	s_or_b64 exec, exec, s[16:17]
	s_and_saveexec_b64 s[14:15], s[18:19]
	s_cbranch_execnz .LBB98_1179
.LBB98_114:
	s_or_b64 exec, exec, s[14:15]
	v_cmp_gt_u32_e64 s[14:15], 8, v5
	s_and_saveexec_b64 s[16:17], s[14:15]
	s_cbranch_execz .LBB98_116
.LBB98_115:
	v_lshlrev_b32_e32 v18, 2, v0
	v_mov_b32_e32 v19, 0
	ds_read_b32 v18, v18 offset:16320
	ds_read_b32 v19, v19 offset:16380
	s_waitcnt lgkmcnt(0)
	v_fmac_f32_e32 v17, v18, v19
.LBB98_116:
	s_or_b64 exec, exec, s[16:17]
.LBB98_117:
	s_or_b64 exec, exec, s[0:1]
	v_mov_b32_e32 v18, 0x4000
	v_cmp_eq_u32_e64 s[14:15], 7, v14
	s_xor_b64 s[0:1], s[10:11], -1
	v_lshl_add_u32 v16, v16, 2, v18
	s_and_b64 s[56:57], s[14:15], s[0:1]
	s_and_saveexec_b64 s[10:11], s[56:57]
; %bb.118:
	v_xor_b32_e32 v18, 0x80000000, v17
	ds_write_b32 v16, v18
; %bb.119:
	s_or_b64 exec, exec, s[10:11]
	v_cmp_ne_u32_e64 s[10:11], 7, v14
	s_and_b64 s[58:59], s[10:11], s[0:1]
	s_waitcnt lgkmcnt(0)
	s_barrier
	s_and_saveexec_b64 s[10:11], s[58:59]
	s_cbranch_execz .LBB98_121
; %bb.120:
	v_lshlrev_b32_e32 v18, 2, v14
	ds_read_b32 v18, v18 offset:14272
	ds_read_b32 v19, v16
	s_waitcnt lgkmcnt(0)
	v_fma_f32 v17, -v18, v19, v17
.LBB98_121:
	s_or_b64 exec, exec, s[10:11]
	v_cmp_eq_u32_e64 s[10:11], 6, v14
	s_and_b64 s[60:61], s[10:11], s[0:1]
	s_barrier
	s_and_saveexec_b64 s[10:11], s[60:61]
; %bb.122:
	v_xor_b32_e32 v18, 0x80000000, v17
	ds_write_b32 v16, v18
; %bb.123:
	s_or_b64 exec, exec, s[10:11]
	v_cmp_gt_u32_e64 s[10:11], 6, v14
	s_and_b64 s[62:63], s[10:11], s[0:1]
	s_waitcnt lgkmcnt(0)
	s_barrier
	s_and_saveexec_b64 s[10:11], s[62:63]
	s_cbranch_execz .LBB98_125
; %bb.124:
	v_lshlrev_b32_e32 v18, 2, v14
	ds_read_b32 v18, v18 offset:14016
	ds_read_b32 v19, v16
	s_waitcnt lgkmcnt(0)
	v_fma_f32 v17, -v18, v19, v17
.LBB98_125:
	s_or_b64 exec, exec, s[10:11]
	v_cmp_eq_u32_e64 s[10:11], 5, v14
	s_and_b64 s[64:65], s[10:11], s[0:1]
	s_barrier
	s_and_saveexec_b64 s[10:11], s[64:65]
; %bb.126:
	v_xor_b32_e32 v18, 0x80000000, v17
	ds_write_b32 v16, v18
; %bb.127:
	s_or_b64 exec, exec, s[10:11]
	v_cmp_gt_u32_e64 s[10:11], 5, v14
	;; [unrolled: 23-line block ×5, first 2 shown]
	s_and_b64 s[80:81], s[10:11], s[0:1]
	s_waitcnt lgkmcnt(0)
	s_barrier
	s_and_saveexec_b64 s[10:11], s[80:81]
	s_cbranch_execz .LBB98_141
; %bb.140:
	v_lshlrev_b32_e32 v18, 2, v14
	ds_read_b32 v18, v18 offset:12992
	ds_read_b32 v19, v16
	s_waitcnt lgkmcnt(0)
	v_fma_f32 v17, -v18, v19, v17
.LBB98_141:
	s_or_b64 exec, exec, s[10:11]
	v_cmp_eq_u32_e64 s[10:11], 1, v14
	s_and_b64 s[82:83], s[10:11], s[0:1]
	s_barrier
	s_and_saveexec_b64 s[10:11], s[82:83]
; %bb.142:
	v_xor_b32_e32 v18, 0x80000000, v17
	ds_write_b32 v16, v18
; %bb.143:
	s_or_b64 exec, exec, s[10:11]
	v_cmp_eq_u32_e64 s[10:11], 0, v14
	s_and_b64 s[66:67], s[10:11], s[0:1]
	s_waitcnt lgkmcnt(0)
	s_barrier
	s_and_saveexec_b64 s[0:1], s[66:67]
	s_cbranch_execz .LBB98_145
; %bb.144:
	v_mov_b32_e32 v18, 0
	ds_read_b32 v18, v18 offset:12736
	ds_read_b32 v19, v16
	s_waitcnt lgkmcnt(0)
	v_fma_f32 v17, -v18, v19, v17
.LBB98_145:
	s_or_b64 exec, exec, s[0:1]
	s_barrier
	s_and_saveexec_b64 s[0:1], s[66:67]
; %bb.146:
	v_xor_b32_e32 v18, 0x80000000, v17
	ds_write_b32 v16, v18
; %bb.147:
	s_or_b64 exec, exec, s[0:1]
	s_waitcnt lgkmcnt(0)
	s_barrier
	s_barrier
	s_and_saveexec_b64 s[0:1], s[8:9]
; %bb.148:
	v_lshlrev_b32_e32 v18, 2, v14
	v_lshl_or_b32 v18, v15, 8, v18
	ds_write_b32 v18, v17 offset:14528
; %bb.149:
	s_or_b64 exec, exec, s[0:1]
	v_cmp_gt_u32_e64 s[10:11], 8, v0
	s_and_b64 s[84:85], s[12:13], s[10:11]
	s_waitcnt lgkmcnt(0)
	s_barrier
	s_barrier
	s_and_saveexec_b64 s[0:1], s[84:85]
	s_cbranch_execz .LBB98_151
; %bb.150:
	v_lshlrev_b32_e32 v17, 8, v0
	ds_read_b32 v18, v17 offset:14528
	s_movk_i32 s10, 0xff04
	v_mad_i32_i24 v19, v0, s10, v17
	s_waitcnt lgkmcnt(0)
	ds_write_b32 v19, v18 offset:12512
	ds_read_b32 v18, v17 offset:14532
	s_waitcnt lgkmcnt(0)
	ds_write_b32 v19, v18 offset:12768
	ds_read_b32 v18, v17 offset:14536
	;; [unrolled: 3-line block ×7, first 2 shown]
	s_waitcnt lgkmcnt(0)
	ds_write_b32 v19, v17 offset:14304
.LBB98_151:
	s_or_b64 exec, exec, s[0:1]
	s_waitcnt lgkmcnt(0)
	s_barrier
	s_and_saveexec_b64 s[0:1], vcc
	s_cbranch_execz .LBB98_153
; %bb.152:
	v_mov_b32_e32 v19, 0
	ds_read_b32 v18, v19 offset:14296
	v_mov_b32_e32 v17, 1.0
	ds_write_b32 v19, v17 offset:14300
	s_waitcnt lgkmcnt(1)
	ds_write_b64 v19, v[17:18] offset:14040
.LBB98_153:
	s_or_b64 exec, exec, s[0:1]
	v_mov_b32_e32 v17, 0
	s_waitcnt lgkmcnt(0)
	s_barrier
	buffer_wbinvl1_vol
	s_and_saveexec_b64 s[0:1], s[2:3]
	s_cbranch_execz .LBB98_157
; %bb.154:
	v_lshlrev_b32_e32 v17, 8, v3
	v_lshlrev_b32_e32 v18, 2, v2
	ds_read_b32 v19, v18 offset:14032
	ds_read_b32 v17, v17 offset:14040
	v_mov_b32_e32 v18, 0
	v_cmp_gt_u32_e64 s[10:11], 2, v5
	s_waitcnt lgkmcnt(0)
	v_fma_f32 v17, v19, v17, 0
	s_and_saveexec_b64 s[14:15], s[10:11]
	s_cbranch_execz .LBB98_156
; %bb.155:
	v_lshlrev_b32_e32 v19, 2, v0
	ds_read_b32 v19, v19 offset:14288
	ds_read_b32 v18, v18 offset:14300
	s_waitcnt lgkmcnt(0)
	v_fmac_f32_e32 v17, v19, v18
.LBB98_156:
	s_or_b64 exec, exec, s[14:15]
.LBB98_157:
	s_or_b64 exec, exec, s[0:1]
	s_and_saveexec_b64 s[0:1], s[38:39]
; %bb.158:
	v_xor_b32_e32 v18, 0x80000000, v17
	ds_write_b32 v4, v18
; %bb.159:
	s_or_b64 exec, exec, s[0:1]
	s_waitcnt lgkmcnt(0)
	s_barrier
	s_and_saveexec_b64 s[0:1], s[36:37]
	s_cbranch_execz .LBB98_161
; %bb.160:
	v_mov_b32_e32 v18, 0
	ds_read_b32 v18, v18 offset:13776
	ds_read_b32 v19, v4
	s_waitcnt lgkmcnt(0)
	v_fma_f32 v17, -v18, v19, v17
.LBB98_161:
	s_or_b64 exec, exec, s[0:1]
	s_barrier
	s_and_saveexec_b64 s[0:1], s[36:37]
; %bb.162:
	v_xor_b32_e32 v18, 0x80000000, v17
	ds_write_b32 v4, v18
; %bb.163:
	s_or_b64 exec, exec, s[0:1]
	s_waitcnt lgkmcnt(0)
	s_barrier
	s_barrier
	s_and_saveexec_b64 s[0:1], s[2:3]
; %bb.164:
	v_lshlrev_b32_e32 v18, 2, v2
	v_lshl_or_b32 v18, v3, 8, v18
	ds_write_b32 v18, v17 offset:14032
; %bb.165:
	s_or_b64 exec, exec, s[0:1]
	s_waitcnt lgkmcnt(0)
	s_barrier
	s_barrier
	s_and_saveexec_b64 s[0:1], s[40:41]
	s_cbranch_execz .LBB98_167
; %bb.166:
	v_lshlrev_b32_e32 v17, 2, v0
	s_movk_i32 s10, 0xfc
	v_mad_u32_u24 v18, v0, s10, v17
	ds_read_b32 v19, v18 offset:14032
	s_waitcnt lgkmcnt(0)
	ds_write_b32 v17, v19 offset:13528
	ds_read_b32 v18, v18 offset:14036
	s_waitcnt lgkmcnt(0)
	ds_write_b32 v17, v18 offset:13784
.LBB98_167:
	s_or_b64 exec, exec, s[0:1]
	s_waitcnt lgkmcnt(0)
	s_barrier
	s_and_saveexec_b64 s[0:1], vcc
	s_cbranch_execz .LBB98_169
; %bb.168:
	v_mov_b32_e32 v19, 0
	ds_read_b32 v18, v19 offset:13776
	v_mov_b32_e32 v17, 1.0
	ds_write_b32 v19, v17 offset:13780
	s_waitcnt lgkmcnt(1)
	ds_write_b64 v19, v[17:18] offset:13520
.LBB98_169:
	s_or_b64 exec, exec, s[0:1]
	v_mov_b32_e32 v17, 0
	s_waitcnt lgkmcnt(0)
	s_barrier
	buffer_wbinvl1_vol
	s_and_saveexec_b64 s[0:1], s[18:19]
	s_cbranch_execz .LBB98_175
; %bb.170:
	v_lshlrev_b32_e32 v19, 2, v11
	v_lshlrev_b32_e32 v18, 8, v12
	ds_read_b32 v17, v19 offset:13504
	ds_read_b32 v20, v18 offset:13520
	v_cmp_gt_u32_e64 s[10:11], 12, v5
	s_waitcnt lgkmcnt(0)
	v_fma_f32 v17, v17, v20, 0
	s_and_saveexec_b64 s[14:15], s[10:11]
	s_cbranch_execnz .LBB98_1180
; %bb.171:
	s_or_b64 exec, exec, s[14:15]
	v_cmp_gt_u32_e64 s[10:11], 8, v5
	s_and_saveexec_b64 s[14:15], s[10:11]
	s_cbranch_execnz .LBB98_1181
.LBB98_172:
	s_or_b64 exec, exec, s[14:15]
	v_cmp_gt_u32_e64 s[10:11], 4, v5
	s_and_saveexec_b64 s[14:15], s[10:11]
	s_cbranch_execz .LBB98_174
.LBB98_173:
	v_lshlrev_b32_e32 v18, 2, v0
	v_mov_b32_e32 v19, 0
	ds_read_b32 v18, v18 offset:14272
	ds_read_b32 v19, v19 offset:14300
	s_waitcnt lgkmcnt(0)
	v_fmac_f32_e32 v17, v18, v19
.LBB98_174:
	s_or_b64 exec, exec, s[14:15]
.LBB98_175:
	s_or_b64 exec, exec, s[0:1]
	s_and_saveexec_b64 s[0:1], s[44:45]
; %bb.176:
	v_xor_b32_e32 v18, 0x80000000, v17
	ds_write_b32 v13, v18
; %bb.177:
	s_or_b64 exec, exec, s[0:1]
	s_waitcnt lgkmcnt(0)
	s_barrier
	s_and_saveexec_b64 s[0:1], s[46:47]
	s_cbranch_execz .LBB98_179
; %bb.178:
	v_lshlrev_b32_e32 v18, 2, v11
	ds_read_b32 v18, v18 offset:13248
	ds_read_b32 v19, v13
	s_waitcnt lgkmcnt(0)
	v_fma_f32 v17, -v18, v19, v17
.LBB98_179:
	s_or_b64 exec, exec, s[0:1]
	s_barrier
	s_and_saveexec_b64 s[0:1], s[48:49]
; %bb.180:
	v_xor_b32_e32 v18, 0x80000000, v17
	ds_write_b32 v13, v18
; %bb.181:
	s_or_b64 exec, exec, s[0:1]
	s_waitcnt lgkmcnt(0)
	s_barrier
	s_and_saveexec_b64 s[0:1], s[50:51]
	s_cbranch_execz .LBB98_183
; %bb.182:
	v_lshlrev_b32_e32 v18, 2, v11
	ds_read_b32 v18, v18 offset:12992
	ds_read_b32 v19, v13
	s_waitcnt lgkmcnt(0)
	v_fma_f32 v17, -v18, v19, v17
.LBB98_183:
	s_or_b64 exec, exec, s[0:1]
	s_barrier
	s_and_saveexec_b64 s[0:1], s[52:53]
; %bb.184:
	v_xor_b32_e32 v18, 0x80000000, v17
	ds_write_b32 v13, v18
; %bb.185:
	s_or_b64 exec, exec, s[0:1]
	s_waitcnt lgkmcnt(0)
	s_barrier
	s_and_saveexec_b64 s[0:1], s[42:43]
	s_cbranch_execz .LBB98_187
; %bb.186:
	v_mov_b32_e32 v18, 0
	ds_read_b32 v18, v18 offset:12736
	ds_read_b32 v19, v13
	s_waitcnt lgkmcnt(0)
	v_fma_f32 v17, -v18, v19, v17
.LBB98_187:
	s_or_b64 exec, exec, s[0:1]
	s_barrier
	s_and_saveexec_b64 s[0:1], s[42:43]
; %bb.188:
	v_xor_b32_e32 v18, 0x80000000, v17
	ds_write_b32 v13, v18
; %bb.189:
	s_or_b64 exec, exec, s[0:1]
	s_waitcnt lgkmcnt(0)
	s_barrier
	s_barrier
	s_and_saveexec_b64 s[0:1], s[18:19]
; %bb.190:
	v_lshlrev_b32_e32 v18, 2, v11
	v_lshl_or_b32 v18, v12, 8, v18
	ds_write_b32 v18, v17 offset:13504
; %bb.191:
	s_or_b64 exec, exec, s[0:1]
	s_waitcnt lgkmcnt(0)
	s_barrier
	s_barrier
	s_and_saveexec_b64 s[0:1], s[54:55]
	s_cbranch_execz .LBB98_193
; %bb.192:
	v_lshlrev_b32_e32 v17, 8, v0
	ds_read_b32 v18, v17 offset:13504
	s_movk_i32 s10, 0xff04
	v_mad_i32_i24 v19, v0, s10, v17
	s_waitcnt lgkmcnt(0)
	ds_write_b32 v19, v18 offset:12496
	ds_read_b32 v18, v17 offset:13508
	s_waitcnt lgkmcnt(0)
	ds_write_b32 v19, v18 offset:12752
	ds_read_b32 v18, v17 offset:13512
	;; [unrolled: 3-line block ×3, first 2 shown]
	s_waitcnt lgkmcnt(0)
	ds_write_b32 v19, v17 offset:13264
.LBB98_193:
	s_or_b64 exec, exec, s[0:1]
	s_waitcnt lgkmcnt(0)
	s_barrier
	s_and_saveexec_b64 s[0:1], vcc
	s_cbranch_execz .LBB98_195
; %bb.194:
	v_mov_b32_e32 v19, 0
	ds_read_b32 v18, v19 offset:13256
	v_mov_b32_e32 v17, 1.0
	ds_write_b32 v19, v17 offset:13260
	s_waitcnt lgkmcnt(1)
	ds_write_b64 v19, v[17:18] offset:13000
.LBB98_195:
	s_or_b64 exec, exec, s[0:1]
	v_mov_b32_e32 v17, 0
	s_waitcnt lgkmcnt(0)
	s_barrier
	buffer_wbinvl1_vol
	s_and_saveexec_b64 s[0:1], s[2:3]
	s_cbranch_execz .LBB98_199
; %bb.196:
	v_lshlrev_b32_e32 v17, 8, v3
	v_lshlrev_b32_e32 v18, 2, v2
	ds_read_b32 v19, v18 offset:12992
	ds_read_b32 v17, v17 offset:13000
	v_mov_b32_e32 v18, 0
	v_cmp_gt_u32_e64 s[10:11], 2, v5
	s_waitcnt lgkmcnt(0)
	v_fma_f32 v17, v19, v17, 0
	s_and_saveexec_b64 s[14:15], s[10:11]
	s_cbranch_execz .LBB98_198
; %bb.197:
	v_lshlrev_b32_e32 v19, 2, v0
	ds_read_b32 v19, v19 offset:13248
	ds_read_b32 v18, v18 offset:13260
	s_waitcnt lgkmcnt(0)
	v_fmac_f32_e32 v17, v19, v18
.LBB98_198:
	s_or_b64 exec, exec, s[14:15]
.LBB98_199:
	s_or_b64 exec, exec, s[0:1]
	s_and_saveexec_b64 s[0:1], s[38:39]
; %bb.200:
	v_xor_b32_e32 v18, 0x80000000, v17
	ds_write_b32 v4, v18
; %bb.201:
	s_or_b64 exec, exec, s[0:1]
	s_waitcnt lgkmcnt(0)
	s_barrier
	s_and_saveexec_b64 s[0:1], s[36:37]
	s_cbranch_execz .LBB98_203
; %bb.202:
	v_mov_b32_e32 v18, 0
	ds_read_b32 v18, v18 offset:12736
	ds_read_b32 v19, v4
	s_waitcnt lgkmcnt(0)
	v_fma_f32 v17, -v18, v19, v17
.LBB98_203:
	s_or_b64 exec, exec, s[0:1]
	s_barrier
	s_and_saveexec_b64 s[0:1], s[36:37]
; %bb.204:
	v_xor_b32_e32 v18, 0x80000000, v17
	ds_write_b32 v4, v18
; %bb.205:
	s_or_b64 exec, exec, s[0:1]
	s_waitcnt lgkmcnt(0)
	s_barrier
	s_barrier
	s_and_saveexec_b64 s[0:1], s[2:3]
; %bb.206:
	v_lshlrev_b32_e32 v18, 2, v2
	v_lshl_or_b32 v18, v3, 8, v18
	ds_write_b32 v18, v17 offset:12992
; %bb.207:
	s_or_b64 exec, exec, s[0:1]
	s_waitcnt lgkmcnt(0)
	s_barrier
	s_barrier
	s_and_saveexec_b64 s[0:1], s[40:41]
	s_cbranch_execz .LBB98_209
; %bb.208:
	v_lshlrev_b32_e32 v17, 2, v0
	s_movk_i32 s10, 0xfc
	v_mad_u32_u24 v18, v0, s10, v17
	ds_read_b32 v19, v18 offset:12992
	s_waitcnt lgkmcnt(0)
	ds_write_b32 v17, v19 offset:12488
	ds_read_b32 v18, v18 offset:12996
	s_waitcnt lgkmcnt(0)
	ds_write_b32 v17, v18 offset:12744
.LBB98_209:
	s_or_b64 exec, exec, s[0:1]
	s_waitcnt lgkmcnt(0)
	s_barrier
	s_and_saveexec_b64 s[0:1], vcc
	s_cbranch_execz .LBB98_211
; %bb.210:
	v_mov_b32_e32 v19, 0
	ds_read_b32 v18, v19 offset:12736
	v_mov_b32_e32 v17, 1.0
	ds_write_b32 v19, v17 offset:12740
	s_waitcnt lgkmcnt(1)
	ds_write_b64 v19, v[17:18] offset:12480
.LBB98_211:
	s_or_b64 exec, exec, s[0:1]
	s_movk_i32 s0, 0xff
	v_lshrrev_b32_e32 v19, 4, v5
	v_cmp_lt_u32_e64 s[14:15], s0, v5
	s_movk_i32 s0, 0x100
	v_and_b32_e32 v17, 15, v0
	v_sub_u32_e32 v18, 15, v19
	v_cmp_gt_u32_e64 s[10:11], s0, v5
	v_mov_b32_e32 v20, 0
	s_waitcnt lgkmcnt(0)
	s_barrier
	buffer_wbinvl1_vol
	s_and_saveexec_b64 s[0:1], s[10:11]
	s_cbranch_execz .LBB98_239
; %bb.212:
	v_lshlrev_b32_e32 v22, 2, v17
	v_lshlrev_b32_e32 v21, 8, v18
	ds_read_b32 v20, v22 offset:12416
	ds_read_b32 v23, v21 offset:12480
	s_movk_i32 s16, 0xf0
	v_cmp_gt_u32_e64 s[16:17], s16, v5
	s_waitcnt lgkmcnt(0)
	v_fma_f32 v20, v20, v23, 0
	s_and_saveexec_b64 s[20:21], s[16:17]
	s_cbranch_execz .LBB98_214
; %bb.213:
	ds_read_b32 v23, v22 offset:12672
	ds_read_b32 v24, v21 offset:12484
	s_waitcnt lgkmcnt(0)
	v_fmac_f32_e32 v20, v23, v24
.LBB98_214:
	s_or_b64 exec, exec, s[20:21]
	s_movk_i32 s16, 0xe0
	v_cmp_gt_u32_e64 s[16:17], s16, v5
	s_and_saveexec_b64 s[20:21], s[16:17]
	s_cbranch_execz .LBB98_216
; %bb.215:
	ds_read_b32 v23, v22 offset:12928
	ds_read_b32 v24, v21 offset:12488
	s_waitcnt lgkmcnt(0)
	v_fmac_f32_e32 v20, v23, v24
.LBB98_216:
	s_or_b64 exec, exec, s[20:21]
	s_movk_i32 s16, 0xd0
	v_cmp_gt_u32_e64 s[16:17], s16, v5
	;; [unrolled: 11-line block ×10, first 2 shown]
	s_and_saveexec_b64 s[20:21], s[16:17]
	s_cbranch_execnz .LBB98_1182
; %bb.233:
	s_or_b64 exec, exec, s[20:21]
	s_and_saveexec_b64 s[16:17], s[8:9]
	s_cbranch_execnz .LBB98_1183
.LBB98_234:
	s_or_b64 exec, exec, s[16:17]
	v_cmp_gt_u32_e64 s[16:17], 48, v5
	s_and_saveexec_b64 s[20:21], s[16:17]
	s_cbranch_execnz .LBB98_1184
.LBB98_235:
	s_or_b64 exec, exec, s[20:21]
	v_cmp_gt_u32_e64 s[16:17], 32, v5
	s_and_saveexec_b64 s[20:21], s[16:17]
	s_cbranch_execnz .LBB98_1185
.LBB98_236:
	s_or_b64 exec, exec, s[20:21]
	v_cmp_gt_u32_e64 s[16:17], 16, v5
	s_and_saveexec_b64 s[20:21], s[16:17]
	s_cbranch_execz .LBB98_238
.LBB98_237:
	v_lshlrev_b32_e32 v21, 2, v0
	v_mov_b32_e32 v22, 0
	ds_read_b32 v21, v21 offset:16256
	ds_read_b32 v22, v22 offset:16380
	s_waitcnt lgkmcnt(0)
	v_fmac_f32_e32 v20, v21, v22
.LBB98_238:
	s_or_b64 exec, exec, s[20:21]
.LBB98_239:
	s_or_b64 exec, exec, s[0:1]
	v_mov_b32_e32 v21, 0x4000
	v_lshl_add_u32 v19, v19, 2, v21
	v_cmp_eq_u32_e64 s[16:17], 15, v17
	s_xor_b64 s[20:21], s[14:15], -1
	s_and_b64 s[14:15], s[16:17], s[20:21]
	s_mov_b64 s[0:1], exec
	v_writelane_b32 v28, s14, 3
	v_writelane_b32 v28, s15, 4
	s_and_b64 s[14:15], s[0:1], s[14:15]
	s_mov_b64 exec, s[14:15]
; %bb.240:
	v_xor_b32_e32 v21, 0x80000000, v20
	ds_write_b32 v19, v21
; %bb.241:
	s_or_b64 exec, exec, s[0:1]
	v_cmp_ne_u32_e64 s[14:15], 15, v17
	s_waitcnt lgkmcnt(0)
	s_barrier
	s_and_b64 s[14:15], s[14:15], s[20:21]
	s_mov_b64 s[0:1], exec
	v_writelane_b32 v28, s14, 5
	v_writelane_b32 v28, s15, 6
	s_and_b64 s[14:15], s[0:1], s[14:15]
	s_mov_b64 exec, s[14:15]
	s_cbranch_execz .LBB98_243
; %bb.242:
	v_lshlrev_b32_e32 v21, 2, v17
	ds_read_b32 v21, v21 offset:12160
	ds_read_b32 v22, v19
	s_waitcnt lgkmcnt(0)
	v_fma_f32 v20, -v21, v22, v20
.LBB98_243:
	s_or_b64 exec, exec, s[0:1]
	v_cmp_eq_u32_e64 s[14:15], 14, v17
	s_barrier
	s_and_b64 s[14:15], s[14:15], s[20:21]
	s_mov_b64 s[0:1], exec
	v_writelane_b32 v28, s14, 7
	v_writelane_b32 v28, s15, 8
	s_and_b64 s[14:15], s[0:1], s[14:15]
	s_mov_b64 exec, s[14:15]
; %bb.244:
	v_xor_b32_e32 v21, 0x80000000, v20
	ds_write_b32 v19, v21
; %bb.245:
	s_or_b64 exec, exec, s[0:1]
	v_cmp_gt_u32_e64 s[14:15], 14, v17
	s_waitcnt lgkmcnt(0)
	s_barrier
	s_and_b64 s[14:15], s[14:15], s[20:21]
	s_mov_b64 s[0:1], exec
	v_writelane_b32 v28, s14, 9
	v_writelane_b32 v28, s15, 10
	s_and_b64 s[14:15], s[0:1], s[14:15]
	s_mov_b64 exec, s[14:15]
	s_cbranch_execz .LBB98_247
; %bb.246:
	v_lshlrev_b32_e32 v21, 2, v17
	ds_read_b32 v21, v21 offset:11904
	ds_read_b32 v22, v19
	s_waitcnt lgkmcnt(0)
	v_fma_f32 v20, -v21, v22, v20
.LBB98_247:
	s_or_b64 exec, exec, s[0:1]
	v_cmp_eq_u32_e64 s[14:15], 13, v17
	s_barrier
	s_and_b64 s[14:15], s[14:15], s[20:21]
	s_mov_b64 s[0:1], exec
	v_writelane_b32 v28, s14, 11
	v_writelane_b32 v28, s15, 12
	s_and_b64 s[14:15], s[0:1], s[14:15]
	s_mov_b64 exec, s[14:15]
; %bb.248:
	v_xor_b32_e32 v21, 0x80000000, v20
	ds_write_b32 v19, v21
; %bb.249:
	s_or_b64 exec, exec, s[0:1]
	v_cmp_gt_u32_e64 s[14:15], 13, v17
	s_waitcnt lgkmcnt(0)
	s_barrier
	s_and_b64 s[14:15], s[14:15], s[20:21]
	s_mov_b64 s[0:1], exec
	v_writelane_b32 v28, s14, 13
	v_writelane_b32 v28, s15, 14
	s_and_b64 s[14:15], s[0:1], s[14:15]
	s_mov_b64 exec, s[14:15]
	s_cbranch_execz .LBB98_251
; %bb.250:
	v_lshlrev_b32_e32 v21, 2, v17
	ds_read_b32 v21, v21 offset:11648
	ds_read_b32 v22, v19
	s_waitcnt lgkmcnt(0)
	v_fma_f32 v20, -v21, v22, v20
.LBB98_251:
	s_or_b64 exec, exec, s[0:1]
	v_cmp_eq_u32_e64 s[14:15], 12, v17
	s_barrier
	s_and_b64 s[14:15], s[14:15], s[20:21]
	s_mov_b64 s[0:1], exec
	v_writelane_b32 v28, s14, 15
	v_writelane_b32 v28, s15, 16
	s_and_b64 s[14:15], s[0:1], s[14:15]
	s_mov_b64 exec, s[14:15]
; %bb.252:
	v_xor_b32_e32 v21, 0x80000000, v20
	ds_write_b32 v19, v21
; %bb.253:
	s_or_b64 exec, exec, s[0:1]
	v_cmp_gt_u32_e64 s[14:15], 12, v17
	s_waitcnt lgkmcnt(0)
	s_barrier
	s_and_b64 s[14:15], s[14:15], s[20:21]
	s_mov_b64 s[0:1], exec
	v_writelane_b32 v28, s14, 17
	v_writelane_b32 v28, s15, 18
	s_and_b64 s[14:15], s[0:1], s[14:15]
	s_mov_b64 exec, s[14:15]
	s_cbranch_execz .LBB98_255
; %bb.254:
	v_lshlrev_b32_e32 v21, 2, v17
	ds_read_b32 v21, v21 offset:11392
	ds_read_b32 v22, v19
	s_waitcnt lgkmcnt(0)
	v_fma_f32 v20, -v21, v22, v20
.LBB98_255:
	s_or_b64 exec, exec, s[0:1]
	v_cmp_eq_u32_e64 s[14:15], 11, v17
	s_barrier
	s_and_b64 s[14:15], s[14:15], s[20:21]
	s_mov_b64 s[0:1], exec
	v_writelane_b32 v28, s14, 19
	v_writelane_b32 v28, s15, 20
	s_and_b64 s[14:15], s[0:1], s[14:15]
	s_mov_b64 exec, s[14:15]
; %bb.256:
	v_xor_b32_e32 v21, 0x80000000, v20
	ds_write_b32 v19, v21
; %bb.257:
	s_or_b64 exec, exec, s[0:1]
	v_cmp_gt_u32_e64 s[14:15], 11, v17
	s_waitcnt lgkmcnt(0)
	s_barrier
	s_and_b64 s[14:15], s[14:15], s[20:21]
	s_mov_b64 s[0:1], exec
	v_writelane_b32 v28, s14, 21
	v_writelane_b32 v28, s15, 22
	s_and_b64 s[14:15], s[0:1], s[14:15]
	s_mov_b64 exec, s[14:15]
	s_cbranch_execz .LBB98_259
; %bb.258:
	v_lshlrev_b32_e32 v21, 2, v17
	ds_read_b32 v21, v21 offset:11136
	ds_read_b32 v22, v19
	s_waitcnt lgkmcnt(0)
	v_fma_f32 v20, -v21, v22, v20
.LBB98_259:
	s_or_b64 exec, exec, s[0:1]
	v_cmp_eq_u32_e64 s[14:15], 10, v17
	s_barrier
	s_and_b64 s[14:15], s[14:15], s[20:21]
	s_mov_b64 s[0:1], exec
	v_writelane_b32 v28, s14, 23
	v_writelane_b32 v28, s15, 24
	s_and_b64 s[14:15], s[0:1], s[14:15]
	s_mov_b64 exec, s[14:15]
; %bb.260:
	v_xor_b32_e32 v21, 0x80000000, v20
	ds_write_b32 v19, v21
; %bb.261:
	s_or_b64 exec, exec, s[0:1]
	v_cmp_gt_u32_e64 s[14:15], 10, v17
	s_waitcnt lgkmcnt(0)
	s_barrier
	s_and_b64 s[14:15], s[14:15], s[20:21]
	s_mov_b64 s[0:1], exec
	v_writelane_b32 v28, s14, 25
	v_writelane_b32 v28, s15, 26
	s_and_b64 s[14:15], s[0:1], s[14:15]
	s_mov_b64 exec, s[14:15]
	s_cbranch_execz .LBB98_263
; %bb.262:
	v_lshlrev_b32_e32 v21, 2, v17
	ds_read_b32 v21, v21 offset:10880
	ds_read_b32 v22, v19
	s_waitcnt lgkmcnt(0)
	v_fma_f32 v20, -v21, v22, v20
.LBB98_263:
	s_or_b64 exec, exec, s[0:1]
	v_cmp_eq_u32_e64 s[14:15], 9, v17
	s_barrier
	s_and_b64 s[14:15], s[14:15], s[20:21]
	s_mov_b64 s[0:1], exec
	v_writelane_b32 v28, s14, 27
	v_writelane_b32 v28, s15, 28
	s_and_b64 s[14:15], s[0:1], s[14:15]
	s_mov_b64 exec, s[14:15]
; %bb.264:
	v_xor_b32_e32 v21, 0x80000000, v20
	ds_write_b32 v19, v21
; %bb.265:
	s_or_b64 exec, exec, s[0:1]
	v_cmp_gt_u32_e64 s[14:15], 9, v17
	s_waitcnt lgkmcnt(0)
	s_barrier
	s_and_b64 s[14:15], s[14:15], s[20:21]
	s_mov_b64 s[0:1], exec
	v_writelane_b32 v28, s14, 29
	v_writelane_b32 v28, s15, 30
	s_and_b64 s[14:15], s[0:1], s[14:15]
	s_mov_b64 exec, s[14:15]
	s_cbranch_execz .LBB98_267
; %bb.266:
	v_lshlrev_b32_e32 v21, 2, v17
	ds_read_b32 v21, v21 offset:10624
	ds_read_b32 v22, v19
	s_waitcnt lgkmcnt(0)
	v_fma_f32 v20, -v21, v22, v20
.LBB98_267:
	s_or_b64 exec, exec, s[0:1]
	v_cmp_eq_u32_e64 s[14:15], 8, v17
	s_barrier
	s_and_b64 s[14:15], s[14:15], s[20:21]
	s_mov_b64 s[0:1], exec
	v_writelane_b32 v28, s14, 31
	v_writelane_b32 v28, s15, 32
	s_and_b64 s[14:15], s[0:1], s[14:15]
	s_mov_b64 exec, s[14:15]
; %bb.268:
	v_xor_b32_e32 v21, 0x80000000, v20
	ds_write_b32 v19, v21
; %bb.269:
	s_or_b64 exec, exec, s[0:1]
	v_cmp_gt_u32_e64 s[14:15], 8, v17
	s_waitcnt lgkmcnt(0)
	s_barrier
	s_and_b64 s[14:15], s[14:15], s[20:21]
	s_mov_b64 s[0:1], exec
	v_writelane_b32 v28, s14, 33
	v_writelane_b32 v28, s15, 34
	s_and_b64 s[14:15], s[0:1], s[14:15]
	s_mov_b64 exec, s[14:15]
	s_cbranch_execz .LBB98_271
; %bb.270:
	v_lshlrev_b32_e32 v21, 2, v17
	ds_read_b32 v21, v21 offset:10368
	ds_read_b32 v22, v19
	s_waitcnt lgkmcnt(0)
	v_fma_f32 v20, -v21, v22, v20
.LBB98_271:
	s_or_b64 exec, exec, s[0:1]
	v_cmp_eq_u32_e64 s[14:15], 7, v17
	s_barrier
	s_and_b64 s[14:15], s[14:15], s[20:21]
	s_mov_b64 s[0:1], exec
	v_writelane_b32 v28, s14, 35
	v_writelane_b32 v28, s15, 36
	s_and_b64 s[14:15], s[0:1], s[14:15]
	s_mov_b64 exec, s[14:15]
; %bb.272:
	v_xor_b32_e32 v21, 0x80000000, v20
	ds_write_b32 v19, v21
; %bb.273:
	s_or_b64 exec, exec, s[0:1]
	v_cmp_gt_u32_e64 s[14:15], 7, v17
	s_waitcnt lgkmcnt(0)
	s_barrier
	s_and_b64 s[14:15], s[14:15], s[20:21]
	s_mov_b64 s[0:1], exec
	v_writelane_b32 v28, s14, 37
	v_writelane_b32 v28, s15, 38
	s_and_b64 s[14:15], s[0:1], s[14:15]
	s_mov_b64 exec, s[14:15]
	s_cbranch_execz .LBB98_275
; %bb.274:
	v_lshlrev_b32_e32 v21, 2, v17
	ds_read_b32 v21, v21 offset:10112
	ds_read_b32 v22, v19
	s_waitcnt lgkmcnt(0)
	v_fma_f32 v20, -v21, v22, v20
.LBB98_275:
	s_or_b64 exec, exec, s[0:1]
	v_cmp_eq_u32_e64 s[14:15], 6, v17
	s_barrier
	s_and_b64 s[14:15], s[14:15], s[20:21]
	s_mov_b64 s[0:1], exec
	v_writelane_b32 v28, s14, 39
	v_writelane_b32 v28, s15, 40
	s_and_b64 s[14:15], s[0:1], s[14:15]
	s_mov_b64 exec, s[14:15]
; %bb.276:
	v_xor_b32_e32 v21, 0x80000000, v20
	ds_write_b32 v19, v21
; %bb.277:
	s_or_b64 exec, exec, s[0:1]
	v_cmp_gt_u32_e64 s[14:15], 6, v17
	s_waitcnt lgkmcnt(0)
	s_barrier
	s_and_b64 s[14:15], s[14:15], s[20:21]
	s_mov_b64 s[0:1], exec
	v_writelane_b32 v28, s14, 41
	v_writelane_b32 v28, s15, 42
	s_and_b64 s[14:15], s[0:1], s[14:15]
	s_mov_b64 exec, s[14:15]
	s_cbranch_execz .LBB98_279
; %bb.278:
	v_lshlrev_b32_e32 v21, 2, v17
	ds_read_b32 v21, v21 offset:9856
	ds_read_b32 v22, v19
	s_waitcnt lgkmcnt(0)
	v_fma_f32 v20, -v21, v22, v20
.LBB98_279:
	s_or_b64 exec, exec, s[0:1]
	v_cmp_eq_u32_e64 s[14:15], 5, v17
	s_barrier
	s_and_b64 s[14:15], s[14:15], s[20:21]
	s_mov_b64 s[0:1], exec
	v_writelane_b32 v28, s14, 43
	v_writelane_b32 v28, s15, 44
	s_and_b64 s[14:15], s[0:1], s[14:15]
	s_mov_b64 exec, s[14:15]
; %bb.280:
	v_xor_b32_e32 v21, 0x80000000, v20
	ds_write_b32 v19, v21
; %bb.281:
	s_or_b64 exec, exec, s[0:1]
	v_cmp_gt_u32_e64 s[14:15], 5, v17
	s_waitcnt lgkmcnt(0)
	s_barrier
	s_and_b64 s[14:15], s[14:15], s[20:21]
	s_mov_b64 s[0:1], exec
	v_writelane_b32 v28, s14, 45
	v_writelane_b32 v28, s15, 46
	s_and_b64 s[14:15], s[0:1], s[14:15]
	s_mov_b64 exec, s[14:15]
	s_cbranch_execz .LBB98_283
; %bb.282:
	v_lshlrev_b32_e32 v21, 2, v17
	ds_read_b32 v21, v21 offset:9600
	ds_read_b32 v22, v19
	s_waitcnt lgkmcnt(0)
	v_fma_f32 v20, -v21, v22, v20
.LBB98_283:
	s_or_b64 exec, exec, s[0:1]
	v_cmp_eq_u32_e64 s[14:15], 4, v17
	s_barrier
	s_and_b64 s[14:15], s[14:15], s[20:21]
	s_mov_b64 s[0:1], exec
	v_writelane_b32 v28, s14, 47
	v_writelane_b32 v28, s15, 48
	s_and_b64 s[14:15], s[0:1], s[14:15]
	s_mov_b64 exec, s[14:15]
; %bb.284:
	v_xor_b32_e32 v21, 0x80000000, v20
	ds_write_b32 v19, v21
; %bb.285:
	s_or_b64 exec, exec, s[0:1]
	v_cmp_gt_u32_e64 s[14:15], 4, v17
	s_waitcnt lgkmcnt(0)
	s_barrier
	s_and_b64 s[14:15], s[14:15], s[20:21]
	s_mov_b64 s[0:1], exec
	v_writelane_b32 v28, s14, 49
	v_writelane_b32 v28, s15, 50
	s_and_b64 s[14:15], s[0:1], s[14:15]
	s_mov_b64 exec, s[14:15]
	s_cbranch_execz .LBB98_287
; %bb.286:
	v_lshlrev_b32_e32 v21, 2, v17
	ds_read_b32 v21, v21 offset:9344
	ds_read_b32 v22, v19
	s_waitcnt lgkmcnt(0)
	v_fma_f32 v20, -v21, v22, v20
.LBB98_287:
	s_or_b64 exec, exec, s[0:1]
	v_cmp_eq_u32_e64 s[14:15], 3, v17
	s_barrier
	s_and_b64 s[14:15], s[14:15], s[20:21]
	s_mov_b64 s[0:1], exec
	v_writelane_b32 v28, s14, 51
	v_writelane_b32 v28, s15, 52
	s_and_b64 s[14:15], s[0:1], s[14:15]
	s_mov_b64 exec, s[14:15]
; %bb.288:
	v_xor_b32_e32 v21, 0x80000000, v20
	ds_write_b32 v19, v21
; %bb.289:
	s_or_b64 exec, exec, s[0:1]
	v_cmp_gt_u32_e64 s[14:15], 3, v17
	s_waitcnt lgkmcnt(0)
	s_barrier
	s_and_b64 s[14:15], s[14:15], s[20:21]
	s_mov_b64 s[0:1], exec
	v_writelane_b32 v28, s14, 53
	v_writelane_b32 v28, s15, 54
	s_and_b64 s[14:15], s[0:1], s[14:15]
	s_mov_b64 exec, s[14:15]
	s_cbranch_execz .LBB98_291
; %bb.290:
	v_lshlrev_b32_e32 v21, 2, v17
	ds_read_b32 v21, v21 offset:9088
	ds_read_b32 v22, v19
	s_waitcnt lgkmcnt(0)
	v_fma_f32 v20, -v21, v22, v20
.LBB98_291:
	s_or_b64 exec, exec, s[0:1]
	v_cmp_eq_u32_e64 s[14:15], 2, v17
	s_barrier
	s_and_b64 s[14:15], s[14:15], s[20:21]
	s_mov_b64 s[0:1], exec
	v_writelane_b32 v28, s14, 55
	v_writelane_b32 v28, s15, 56
	s_and_b64 s[14:15], s[0:1], s[14:15]
	s_mov_b64 exec, s[14:15]
; %bb.292:
	v_xor_b32_e32 v21, 0x80000000, v20
	ds_write_b32 v19, v21
; %bb.293:
	s_or_b64 exec, exec, s[0:1]
	v_cmp_gt_u32_e64 s[14:15], 2, v17
	s_and_b64 s[0:1], s[14:15], s[20:21]
	s_waitcnt lgkmcnt(0)
	s_barrier
	s_and_saveexec_b64 s[14:15], s[0:1]
	s_cbranch_execz .LBB98_295
; %bb.294:
	v_lshlrev_b32_e32 v21, 2, v17
	ds_read_b32 v21, v21 offset:8832
	ds_read_b32 v22, v19
	s_waitcnt lgkmcnt(0)
	v_fma_f32 v20, -v21, v22, v20
.LBB98_295:
	s_or_b64 exec, exec, s[14:15]
	v_cmp_eq_u32_e64 s[14:15], 1, v17
	s_barrier
	s_and_b64 s[16:17], s[14:15], s[20:21]
	s_mov_b64 s[14:15], exec
	v_writelane_b32 v28, s16, 57
	v_writelane_b32 v28, s17, 58
	s_and_b64 s[16:17], s[14:15], s[16:17]
	s_mov_b64 exec, s[16:17]
; %bb.296:
	v_xor_b32_e32 v21, 0x80000000, v20
	ds_write_b32 v19, v21
; %bb.297:
	s_or_b64 exec, exec, s[14:15]
	v_cmp_eq_u32_e64 s[14:15], 0, v17
	s_and_b64 s[92:93], s[14:15], s[20:21]
	s_waitcnt lgkmcnt(0)
	s_barrier
	s_and_saveexec_b64 s[14:15], s[92:93]
	s_cbranch_execz .LBB98_299
; %bb.298:
	v_mov_b32_e32 v21, 0
	ds_read_b32 v21, v21 offset:8576
	ds_read_b32 v22, v19
	s_waitcnt lgkmcnt(0)
	v_fma_f32 v20, -v21, v22, v20
.LBB98_299:
	s_or_b64 exec, exec, s[14:15]
	s_barrier
	s_and_saveexec_b64 s[14:15], s[92:93]
; %bb.300:
	v_xor_b32_e32 v21, 0x80000000, v20
	ds_write_b32 v19, v21
; %bb.301:
	s_or_b64 exec, exec, s[14:15]
	s_waitcnt lgkmcnt(0)
	s_barrier
	s_barrier
	s_and_saveexec_b64 s[14:15], s[10:11]
; %bb.302:
	v_lshlrev_b32_e32 v21, 2, v17
	v_lshl_or_b32 v21, v18, 8, v21
	ds_write_b32 v21, v20 offset:12416
; %bb.303:
	s_or_b64 exec, exec, s[14:15]
	v_cmp_gt_u32_e64 s[14:15], 16, v0
	s_and_b64 s[88:89], s[12:13], s[14:15]
	s_waitcnt lgkmcnt(0)
	s_barrier
	s_barrier
	s_and_saveexec_b64 s[14:15], s[88:89]
	s_cbranch_execz .LBB98_305
; %bb.304:
	v_lshlrev_b32_e32 v20, 8, v0
	ds_read_b32 v21, v20 offset:12416
	s_movk_i32 s16, 0xff04
	v_mad_i32_i24 v22, v0, s16, v20
	s_waitcnt lgkmcnt(0)
	ds_write_b32 v22, v21 offset:8384
	ds_read_b32 v21, v20 offset:12420
	s_waitcnt lgkmcnt(0)
	ds_write_b32 v22, v21 offset:8640
	ds_read_b32 v21, v20 offset:12424
	;; [unrolled: 3-line block ×15, first 2 shown]
	s_waitcnt lgkmcnt(0)
	ds_write_b32 v22, v20 offset:12224
.LBB98_305:
	s_or_b64 exec, exec, s[14:15]
	s_waitcnt lgkmcnt(0)
	s_barrier
	s_and_saveexec_b64 s[14:15], vcc
	s_cbranch_execz .LBB98_307
; %bb.306:
	v_mov_b32_e32 v22, 0
	ds_read_b32 v21, v22 offset:12216
	v_mov_b32_e32 v20, 1.0
	ds_write_b32 v22, v20 offset:12220
	s_waitcnt lgkmcnt(1)
	ds_write_b64 v22, v[20:21] offset:11960
.LBB98_307:
	s_or_b64 exec, exec, s[14:15]
	v_mov_b32_e32 v20, 0
	s_waitcnt lgkmcnt(0)
	s_barrier
	buffer_wbinvl1_vol
	s_and_saveexec_b64 s[16:17], s[2:3]
	s_cbranch_execz .LBB98_311
; %bb.308:
	v_lshlrev_b32_e32 v20, 8, v3
	v_lshlrev_b32_e32 v21, 2, v2
	ds_read_b32 v22, v21 offset:11952
	ds_read_b32 v20, v20 offset:11960
	v_mov_b32_e32 v21, 0
	v_cmp_gt_u32_e64 s[14:15], 2, v5
	s_waitcnt lgkmcnt(0)
	v_fma_f32 v20, v22, v20, 0
	s_and_saveexec_b64 s[20:21], s[14:15]
	s_cbranch_execz .LBB98_310
; %bb.309:
	v_lshlrev_b32_e32 v22, 2, v0
	ds_read_b32 v22, v22 offset:12208
	ds_read_b32 v21, v21 offset:12220
	s_waitcnt lgkmcnt(0)
	v_fmac_f32_e32 v20, v22, v21
.LBB98_310:
	s_or_b64 exec, exec, s[20:21]
.LBB98_311:
	s_or_b64 exec, exec, s[16:17]
	s_and_saveexec_b64 s[14:15], s[38:39]
; %bb.312:
	v_xor_b32_e32 v21, 0x80000000, v20
	ds_write_b32 v4, v21
; %bb.313:
	s_or_b64 exec, exec, s[14:15]
	s_waitcnt lgkmcnt(0)
	s_barrier
	s_and_saveexec_b64 s[14:15], s[36:37]
	s_cbranch_execz .LBB98_315
; %bb.314:
	v_mov_b32_e32 v21, 0
	ds_read_b32 v21, v21 offset:11696
	ds_read_b32 v22, v4
	s_waitcnt lgkmcnt(0)
	v_fma_f32 v20, -v21, v22, v20
.LBB98_315:
	s_or_b64 exec, exec, s[14:15]
	s_barrier
	s_and_saveexec_b64 s[14:15], s[36:37]
; %bb.316:
	v_xor_b32_e32 v21, 0x80000000, v20
	ds_write_b32 v4, v21
; %bb.317:
	s_or_b64 exec, exec, s[14:15]
	s_waitcnt lgkmcnt(0)
	s_barrier
	s_barrier
	s_and_saveexec_b64 s[14:15], s[2:3]
; %bb.318:
	v_lshlrev_b32_e32 v21, 2, v2
	v_lshl_or_b32 v21, v3, 8, v21
	ds_write_b32 v21, v20 offset:11952
; %bb.319:
	s_or_b64 exec, exec, s[14:15]
	s_waitcnt lgkmcnt(0)
	s_barrier
	s_barrier
	s_and_saveexec_b64 s[14:15], s[40:41]
	s_cbranch_execz .LBB98_321
; %bb.320:
	v_lshlrev_b32_e32 v20, 2, v0
	s_movk_i32 s16, 0xfc
	v_mad_u32_u24 v21, v0, s16, v20
	ds_read_b32 v22, v21 offset:11952
	s_waitcnt lgkmcnt(0)
	ds_write_b32 v20, v22 offset:11448
	ds_read_b32 v21, v21 offset:11956
	s_waitcnt lgkmcnt(0)
	ds_write_b32 v20, v21 offset:11704
.LBB98_321:
	s_or_b64 exec, exec, s[14:15]
	s_waitcnt lgkmcnt(0)
	s_barrier
	s_and_saveexec_b64 s[14:15], vcc
	s_cbranch_execz .LBB98_323
; %bb.322:
	v_mov_b32_e32 v22, 0
	ds_read_b32 v21, v22 offset:11696
	v_mov_b32_e32 v20, 1.0
	ds_write_b32 v22, v20 offset:11700
	s_waitcnt lgkmcnt(1)
	ds_write_b64 v22, v[20:21] offset:11440
.LBB98_323:
	s_or_b64 exec, exec, s[14:15]
	v_mov_b32_e32 v20, 0
	s_waitcnt lgkmcnt(0)
	s_barrier
	buffer_wbinvl1_vol
	s_and_saveexec_b64 s[16:17], s[18:19]
	s_cbranch_execz .LBB98_329
; %bb.324:
	v_lshlrev_b32_e32 v22, 2, v11
	v_lshlrev_b32_e32 v21, 8, v12
	ds_read_b32 v20, v22 offset:11424
	ds_read_b32 v23, v21 offset:11440
	v_cmp_gt_u32_e64 s[14:15], 12, v5
	s_waitcnt lgkmcnt(0)
	v_fma_f32 v20, v20, v23, 0
	s_and_saveexec_b64 s[20:21], s[14:15]
	s_cbranch_execnz .LBB98_1186
; %bb.325:
	s_or_b64 exec, exec, s[20:21]
	v_cmp_gt_u32_e64 s[14:15], 8, v5
	s_and_saveexec_b64 s[20:21], s[14:15]
	s_cbranch_execnz .LBB98_1187
.LBB98_326:
	s_or_b64 exec, exec, s[20:21]
	v_cmp_gt_u32_e64 s[14:15], 4, v5
	s_and_saveexec_b64 s[20:21], s[14:15]
	s_cbranch_execz .LBB98_328
.LBB98_327:
	v_lshlrev_b32_e32 v21, 2, v0
	v_mov_b32_e32 v22, 0
	ds_read_b32 v21, v21 offset:12192
	ds_read_b32 v22, v22 offset:12220
	s_waitcnt lgkmcnt(0)
	v_fmac_f32_e32 v20, v21, v22
.LBB98_328:
	s_or_b64 exec, exec, s[20:21]
.LBB98_329:
	s_or_b64 exec, exec, s[16:17]
	s_and_saveexec_b64 s[14:15], s[44:45]
; %bb.330:
	v_xor_b32_e32 v21, 0x80000000, v20
	ds_write_b32 v13, v21
; %bb.331:
	s_or_b64 exec, exec, s[14:15]
	s_waitcnt lgkmcnt(0)
	s_barrier
	s_and_saveexec_b64 s[14:15], s[46:47]
	s_cbranch_execz .LBB98_333
; %bb.332:
	v_lshlrev_b32_e32 v21, 2, v11
	ds_read_b32 v21, v21 offset:11168
	ds_read_b32 v22, v13
	s_waitcnt lgkmcnt(0)
	v_fma_f32 v20, -v21, v22, v20
.LBB98_333:
	s_or_b64 exec, exec, s[14:15]
	s_barrier
	s_and_saveexec_b64 s[14:15], s[48:49]
; %bb.334:
	v_xor_b32_e32 v21, 0x80000000, v20
	ds_write_b32 v13, v21
; %bb.335:
	s_or_b64 exec, exec, s[14:15]
	s_waitcnt lgkmcnt(0)
	s_barrier
	s_and_saveexec_b64 s[14:15], s[50:51]
	s_cbranch_execz .LBB98_337
; %bb.336:
	v_lshlrev_b32_e32 v21, 2, v11
	ds_read_b32 v21, v21 offset:10912
	ds_read_b32 v22, v13
	s_waitcnt lgkmcnt(0)
	v_fma_f32 v20, -v21, v22, v20
.LBB98_337:
	s_or_b64 exec, exec, s[14:15]
	s_barrier
	s_and_saveexec_b64 s[14:15], s[52:53]
; %bb.338:
	v_xor_b32_e32 v21, 0x80000000, v20
	ds_write_b32 v13, v21
; %bb.339:
	s_or_b64 exec, exec, s[14:15]
	s_waitcnt lgkmcnt(0)
	s_barrier
	s_and_saveexec_b64 s[14:15], s[42:43]
	s_cbranch_execz .LBB98_341
; %bb.340:
	v_mov_b32_e32 v21, 0
	ds_read_b32 v21, v21 offset:10656
	ds_read_b32 v22, v13
	s_waitcnt lgkmcnt(0)
	v_fma_f32 v20, -v21, v22, v20
.LBB98_341:
	s_or_b64 exec, exec, s[14:15]
	s_barrier
	s_and_saveexec_b64 s[14:15], s[42:43]
; %bb.342:
	v_xor_b32_e32 v21, 0x80000000, v20
	ds_write_b32 v13, v21
; %bb.343:
	s_or_b64 exec, exec, s[14:15]
	s_waitcnt lgkmcnt(0)
	s_barrier
	s_barrier
	s_and_saveexec_b64 s[14:15], s[18:19]
; %bb.344:
	v_lshlrev_b32_e32 v21, 2, v11
	v_lshl_or_b32 v21, v12, 8, v21
	ds_write_b32 v21, v20 offset:11424
; %bb.345:
	s_or_b64 exec, exec, s[14:15]
	s_waitcnt lgkmcnt(0)
	s_barrier
	s_barrier
	s_and_saveexec_b64 s[14:15], s[54:55]
	s_cbranch_execz .LBB98_347
; %bb.346:
	v_lshlrev_b32_e32 v20, 8, v0
	ds_read_b32 v21, v20 offset:11424
	s_movk_i32 s16, 0xff04
	v_mad_i32_i24 v22, v0, s16, v20
	s_waitcnt lgkmcnt(0)
	ds_write_b32 v22, v21 offset:10416
	ds_read_b32 v21, v20 offset:11428
	s_waitcnt lgkmcnt(0)
	ds_write_b32 v22, v21 offset:10672
	ds_read_b32 v21, v20 offset:11432
	;; [unrolled: 3-line block ×3, first 2 shown]
	s_waitcnt lgkmcnt(0)
	ds_write_b32 v22, v20 offset:11184
.LBB98_347:
	s_or_b64 exec, exec, s[14:15]
	s_waitcnt lgkmcnt(0)
	s_barrier
	s_and_saveexec_b64 s[14:15], vcc
	s_cbranch_execz .LBB98_349
; %bb.348:
	v_mov_b32_e32 v22, 0
	ds_read_b32 v21, v22 offset:11176
	v_mov_b32_e32 v20, 1.0
	ds_write_b32 v22, v20 offset:11180
	s_waitcnt lgkmcnt(1)
	ds_write_b64 v22, v[20:21] offset:10920
.LBB98_349:
	s_or_b64 exec, exec, s[14:15]
	v_mov_b32_e32 v20, 0
	s_waitcnt lgkmcnt(0)
	s_barrier
	buffer_wbinvl1_vol
	s_and_saveexec_b64 s[16:17], s[2:3]
	s_cbranch_execz .LBB98_353
; %bb.350:
	v_lshlrev_b32_e32 v20, 8, v3
	v_lshlrev_b32_e32 v21, 2, v2
	ds_read_b32 v22, v21 offset:10912
	ds_read_b32 v20, v20 offset:10920
	v_mov_b32_e32 v21, 0
	v_cmp_gt_u32_e64 s[14:15], 2, v5
	s_waitcnt lgkmcnt(0)
	v_fma_f32 v20, v22, v20, 0
	s_and_saveexec_b64 s[20:21], s[14:15]
	s_cbranch_execz .LBB98_352
; %bb.351:
	v_lshlrev_b32_e32 v22, 2, v0
	ds_read_b32 v22, v22 offset:11168
	ds_read_b32 v21, v21 offset:11180
	s_waitcnt lgkmcnt(0)
	v_fmac_f32_e32 v20, v22, v21
.LBB98_352:
	s_or_b64 exec, exec, s[20:21]
.LBB98_353:
	s_or_b64 exec, exec, s[16:17]
	s_and_saveexec_b64 s[14:15], s[38:39]
; %bb.354:
	v_xor_b32_e32 v21, 0x80000000, v20
	ds_write_b32 v4, v21
; %bb.355:
	s_or_b64 exec, exec, s[14:15]
	s_waitcnt lgkmcnt(0)
	s_barrier
	s_and_saveexec_b64 s[14:15], s[36:37]
	s_cbranch_execz .LBB98_357
; %bb.356:
	v_mov_b32_e32 v21, 0
	ds_read_b32 v21, v21 offset:10656
	ds_read_b32 v22, v4
	s_waitcnt lgkmcnt(0)
	v_fma_f32 v20, -v21, v22, v20
.LBB98_357:
	s_or_b64 exec, exec, s[14:15]
	s_barrier
	s_and_saveexec_b64 s[14:15], s[36:37]
; %bb.358:
	v_xor_b32_e32 v21, 0x80000000, v20
	ds_write_b32 v4, v21
; %bb.359:
	s_or_b64 exec, exec, s[14:15]
	s_waitcnt lgkmcnt(0)
	s_barrier
	s_barrier
	s_and_saveexec_b64 s[14:15], s[2:3]
; %bb.360:
	v_lshlrev_b32_e32 v21, 2, v2
	v_lshl_or_b32 v21, v3, 8, v21
	ds_write_b32 v21, v20 offset:10912
; %bb.361:
	s_or_b64 exec, exec, s[14:15]
	s_waitcnt lgkmcnt(0)
	s_barrier
	s_barrier
	s_and_saveexec_b64 s[14:15], s[40:41]
	s_cbranch_execz .LBB98_363
; %bb.362:
	v_lshlrev_b32_e32 v20, 2, v0
	s_movk_i32 s16, 0xfc
	v_mad_u32_u24 v21, v0, s16, v20
	ds_read_b32 v22, v21 offset:10912
	s_waitcnt lgkmcnt(0)
	ds_write_b32 v20, v22 offset:10408
	ds_read_b32 v21, v21 offset:10916
	s_waitcnt lgkmcnt(0)
	ds_write_b32 v20, v21 offset:10664
.LBB98_363:
	s_or_b64 exec, exec, s[14:15]
	s_waitcnt lgkmcnt(0)
	s_barrier
	s_and_saveexec_b64 s[14:15], vcc
	s_cbranch_execz .LBB98_365
; %bb.364:
	v_mov_b32_e32 v22, 0
	ds_read_b32 v21, v22 offset:10656
	v_mov_b32_e32 v20, 1.0
	ds_write_b32 v22, v20 offset:10660
	s_waitcnt lgkmcnt(1)
	ds_write_b64 v22, v[20:21] offset:10400
.LBB98_365:
	s_or_b64 exec, exec, s[14:15]
	v_mov_b32_e32 v20, 0
	s_waitcnt lgkmcnt(0)
	s_barrier
	buffer_wbinvl1_vol
	s_and_saveexec_b64 s[16:17], s[8:9]
	s_cbranch_execz .LBB98_375
; %bb.366:
	v_lshlrev_b32_e32 v22, 2, v14
	v_lshlrev_b32_e32 v21, 8, v15
	ds_read_b32 v20, v22 offset:10368
	ds_read_b32 v23, v21 offset:10400
	v_cmp_gt_u32_e64 s[14:15], 56, v5
	s_waitcnt lgkmcnt(0)
	v_fma_f32 v20, v20, v23, 0
	s_and_saveexec_b64 s[20:21], s[14:15]
	s_cbranch_execnz .LBB98_1188
; %bb.367:
	s_or_b64 exec, exec, s[20:21]
	v_cmp_gt_u32_e64 s[14:15], 48, v5
	s_and_saveexec_b64 s[20:21], s[14:15]
	s_cbranch_execnz .LBB98_1189
.LBB98_368:
	s_or_b64 exec, exec, s[20:21]
	v_cmp_gt_u32_e64 s[14:15], 40, v5
	s_and_saveexec_b64 s[20:21], s[14:15]
	s_cbranch_execnz .LBB98_1190
.LBB98_369:
	s_or_b64 exec, exec, s[20:21]
	v_cmp_gt_u32_e64 s[14:15], 32, v5
	s_and_saveexec_b64 s[20:21], s[14:15]
	s_cbranch_execnz .LBB98_1191
.LBB98_370:
	s_or_b64 exec, exec, s[20:21]
	v_cmp_gt_u32_e64 s[14:15], 24, v5
	s_and_saveexec_b64 s[20:21], s[14:15]
	s_cbranch_execnz .LBB98_1192
.LBB98_371:
	s_or_b64 exec, exec, s[20:21]
	s_and_saveexec_b64 s[14:15], s[18:19]
	s_cbranch_execnz .LBB98_1193
.LBB98_372:
	s_or_b64 exec, exec, s[14:15]
	v_cmp_gt_u32_e64 s[14:15], 8, v5
	s_and_saveexec_b64 s[20:21], s[14:15]
	s_cbranch_execz .LBB98_374
.LBB98_373:
	v_lshlrev_b32_e32 v21, 2, v0
	v_mov_b32_e32 v22, 0
	ds_read_b32 v21, v21 offset:12160
	ds_read_b32 v22, v22 offset:12220
	s_waitcnt lgkmcnt(0)
	v_fmac_f32_e32 v20, v21, v22
.LBB98_374:
	s_or_b64 exec, exec, s[20:21]
.LBB98_375:
	s_or_b64 exec, exec, s[16:17]
	s_and_saveexec_b64 s[14:15], s[56:57]
; %bb.376:
	v_xor_b32_e32 v21, 0x80000000, v20
	ds_write_b32 v16, v21
; %bb.377:
	s_or_b64 exec, exec, s[14:15]
	s_waitcnt lgkmcnt(0)
	s_barrier
	s_and_saveexec_b64 s[14:15], s[58:59]
	s_cbranch_execz .LBB98_379
; %bb.378:
	v_lshlrev_b32_e32 v21, 2, v14
	ds_read_b32 v21, v21 offset:10112
	ds_read_b32 v22, v16
	s_waitcnt lgkmcnt(0)
	v_fma_f32 v20, -v21, v22, v20
.LBB98_379:
	s_or_b64 exec, exec, s[14:15]
	s_barrier
	s_and_saveexec_b64 s[14:15], s[60:61]
; %bb.380:
	v_xor_b32_e32 v21, 0x80000000, v20
	ds_write_b32 v16, v21
; %bb.381:
	s_or_b64 exec, exec, s[14:15]
	s_waitcnt lgkmcnt(0)
	s_barrier
	s_and_saveexec_b64 s[14:15], s[62:63]
	s_cbranch_execz .LBB98_383
; %bb.382:
	v_lshlrev_b32_e32 v21, 2, v14
	ds_read_b32 v21, v21 offset:9856
	ds_read_b32 v22, v16
	s_waitcnt lgkmcnt(0)
	v_fma_f32 v20, -v21, v22, v20
.LBB98_383:
	s_or_b64 exec, exec, s[14:15]
	s_barrier
	s_and_saveexec_b64 s[14:15], s[64:65]
; %bb.384:
	v_xor_b32_e32 v21, 0x80000000, v20
	ds_write_b32 v16, v21
; %bb.385:
	s_or_b64 exec, exec, s[14:15]
	s_waitcnt lgkmcnt(0)
	s_barrier
	s_and_saveexec_b64 s[14:15], s[68:69]
	s_cbranch_execz .LBB98_387
; %bb.386:
	v_lshlrev_b32_e32 v21, 2, v14
	ds_read_b32 v21, v21 offset:9600
	ds_read_b32 v22, v16
	s_waitcnt lgkmcnt(0)
	v_fma_f32 v20, -v21, v22, v20
.LBB98_387:
	s_or_b64 exec, exec, s[14:15]
	s_barrier
	s_and_saveexec_b64 s[14:15], s[70:71]
; %bb.388:
	v_xor_b32_e32 v21, 0x80000000, v20
	ds_write_b32 v16, v21
; %bb.389:
	s_or_b64 exec, exec, s[14:15]
	s_waitcnt lgkmcnt(0)
	s_barrier
	s_and_saveexec_b64 s[14:15], s[72:73]
	s_cbranch_execz .LBB98_391
; %bb.390:
	v_lshlrev_b32_e32 v21, 2, v14
	ds_read_b32 v21, v21 offset:9344
	ds_read_b32 v22, v16
	s_waitcnt lgkmcnt(0)
	v_fma_f32 v20, -v21, v22, v20
.LBB98_391:
	s_or_b64 exec, exec, s[14:15]
	s_barrier
	s_and_saveexec_b64 s[14:15], s[74:75]
; %bb.392:
	v_xor_b32_e32 v21, 0x80000000, v20
	ds_write_b32 v16, v21
; %bb.393:
	s_or_b64 exec, exec, s[14:15]
	s_waitcnt lgkmcnt(0)
	s_barrier
	s_and_saveexec_b64 s[14:15], s[76:77]
	s_cbranch_execz .LBB98_395
; %bb.394:
	v_lshlrev_b32_e32 v21, 2, v14
	ds_read_b32 v21, v21 offset:9088
	ds_read_b32 v22, v16
	s_waitcnt lgkmcnt(0)
	v_fma_f32 v20, -v21, v22, v20
.LBB98_395:
	s_or_b64 exec, exec, s[14:15]
	s_barrier
	s_and_saveexec_b64 s[14:15], s[78:79]
; %bb.396:
	v_xor_b32_e32 v21, 0x80000000, v20
	ds_write_b32 v16, v21
; %bb.397:
	s_or_b64 exec, exec, s[14:15]
	s_waitcnt lgkmcnt(0)
	s_barrier
	s_and_saveexec_b64 s[14:15], s[80:81]
	s_cbranch_execz .LBB98_399
; %bb.398:
	v_lshlrev_b32_e32 v21, 2, v14
	ds_read_b32 v21, v21 offset:8832
	ds_read_b32 v22, v16
	s_waitcnt lgkmcnt(0)
	v_fma_f32 v20, -v21, v22, v20
.LBB98_399:
	s_or_b64 exec, exec, s[14:15]
	s_barrier
	s_and_saveexec_b64 s[14:15], s[82:83]
; %bb.400:
	v_xor_b32_e32 v21, 0x80000000, v20
	ds_write_b32 v16, v21
; %bb.401:
	s_or_b64 exec, exec, s[14:15]
	s_waitcnt lgkmcnt(0)
	s_barrier
	s_and_saveexec_b64 s[14:15], s[66:67]
	s_cbranch_execz .LBB98_403
; %bb.402:
	v_mov_b32_e32 v21, 0
	ds_read_b32 v21, v21 offset:8576
	ds_read_b32 v22, v16
	s_waitcnt lgkmcnt(0)
	v_fma_f32 v20, -v21, v22, v20
.LBB98_403:
	s_or_b64 exec, exec, s[14:15]
	s_barrier
	s_and_saveexec_b64 s[14:15], s[66:67]
; %bb.404:
	v_xor_b32_e32 v21, 0x80000000, v20
	ds_write_b32 v16, v21
; %bb.405:
	s_or_b64 exec, exec, s[14:15]
	s_waitcnt lgkmcnt(0)
	s_barrier
	s_barrier
	s_and_saveexec_b64 s[14:15], s[8:9]
; %bb.406:
	v_lshlrev_b32_e32 v21, 2, v14
	v_lshl_or_b32 v21, v15, 8, v21
	ds_write_b32 v21, v20 offset:10368
; %bb.407:
	s_or_b64 exec, exec, s[14:15]
	s_waitcnt lgkmcnt(0)
	s_barrier
	s_barrier
	s_and_saveexec_b64 s[14:15], s[84:85]
	s_cbranch_execz .LBB98_409
; %bb.408:
	v_lshlrev_b32_e32 v20, 8, v0
	ds_read_b32 v21, v20 offset:10368
	s_movk_i32 s16, 0xff04
	v_mad_i32_i24 v22, v0, s16, v20
	s_waitcnt lgkmcnt(0)
	ds_write_b32 v22, v21 offset:8352
	ds_read_b32 v21, v20 offset:10372
	s_waitcnt lgkmcnt(0)
	ds_write_b32 v22, v21 offset:8608
	ds_read_b32 v21, v20 offset:10376
	;; [unrolled: 3-line block ×7, first 2 shown]
	s_waitcnt lgkmcnt(0)
	ds_write_b32 v22, v20 offset:10144
.LBB98_409:
	s_or_b64 exec, exec, s[14:15]
	s_waitcnt lgkmcnt(0)
	s_barrier
	s_and_saveexec_b64 s[14:15], vcc
	s_cbranch_execz .LBB98_411
; %bb.410:
	v_mov_b32_e32 v22, 0
	ds_read_b32 v21, v22 offset:10136
	v_mov_b32_e32 v20, 1.0
	ds_write_b32 v22, v20 offset:10140
	s_waitcnt lgkmcnt(1)
	ds_write_b64 v22, v[20:21] offset:9880
.LBB98_411:
	s_or_b64 exec, exec, s[14:15]
	v_mov_b32_e32 v20, 0
	s_waitcnt lgkmcnt(0)
	s_barrier
	buffer_wbinvl1_vol
	s_and_saveexec_b64 s[16:17], s[2:3]
	s_cbranch_execz .LBB98_415
; %bb.412:
	v_lshlrev_b32_e32 v20, 8, v3
	v_lshlrev_b32_e32 v21, 2, v2
	ds_read_b32 v22, v21 offset:9872
	ds_read_b32 v20, v20 offset:9880
	v_mov_b32_e32 v21, 0
	v_cmp_gt_u32_e64 s[14:15], 2, v5
	s_waitcnt lgkmcnt(0)
	v_fma_f32 v20, v22, v20, 0
	s_and_saveexec_b64 s[20:21], s[14:15]
	s_cbranch_execz .LBB98_414
; %bb.413:
	v_lshlrev_b32_e32 v22, 2, v0
	ds_read_b32 v22, v22 offset:10128
	ds_read_b32 v21, v21 offset:10140
	s_waitcnt lgkmcnt(0)
	v_fmac_f32_e32 v20, v22, v21
.LBB98_414:
	s_or_b64 exec, exec, s[20:21]
.LBB98_415:
	s_or_b64 exec, exec, s[16:17]
	s_and_saveexec_b64 s[14:15], s[38:39]
; %bb.416:
	v_xor_b32_e32 v21, 0x80000000, v20
	ds_write_b32 v4, v21
; %bb.417:
	s_or_b64 exec, exec, s[14:15]
	s_waitcnt lgkmcnt(0)
	s_barrier
	s_and_saveexec_b64 s[14:15], s[36:37]
	s_cbranch_execz .LBB98_419
; %bb.418:
	v_mov_b32_e32 v21, 0
	ds_read_b32 v21, v21 offset:9616
	ds_read_b32 v22, v4
	s_waitcnt lgkmcnt(0)
	v_fma_f32 v20, -v21, v22, v20
.LBB98_419:
	s_or_b64 exec, exec, s[14:15]
	s_barrier
	s_and_saveexec_b64 s[14:15], s[36:37]
; %bb.420:
	v_xor_b32_e32 v21, 0x80000000, v20
	ds_write_b32 v4, v21
; %bb.421:
	s_or_b64 exec, exec, s[14:15]
	s_waitcnt lgkmcnt(0)
	s_barrier
	s_barrier
	s_and_saveexec_b64 s[14:15], s[2:3]
; %bb.422:
	v_lshlrev_b32_e32 v21, 2, v2
	v_lshl_or_b32 v21, v3, 8, v21
	ds_write_b32 v21, v20 offset:9872
; %bb.423:
	s_or_b64 exec, exec, s[14:15]
	s_waitcnt lgkmcnt(0)
	s_barrier
	s_barrier
	s_and_saveexec_b64 s[14:15], s[40:41]
	s_cbranch_execz .LBB98_425
; %bb.424:
	v_lshlrev_b32_e32 v20, 2, v0
	s_movk_i32 s16, 0xfc
	v_mad_u32_u24 v21, v0, s16, v20
	ds_read_b32 v22, v21 offset:9872
	s_waitcnt lgkmcnt(0)
	ds_write_b32 v20, v22 offset:9368
	ds_read_b32 v21, v21 offset:9876
	s_waitcnt lgkmcnt(0)
	ds_write_b32 v20, v21 offset:9624
.LBB98_425:
	s_or_b64 exec, exec, s[14:15]
	s_waitcnt lgkmcnt(0)
	s_barrier
	s_and_saveexec_b64 s[14:15], vcc
	s_cbranch_execz .LBB98_427
; %bb.426:
	v_mov_b32_e32 v22, 0
	ds_read_b32 v21, v22 offset:9616
	v_mov_b32_e32 v20, 1.0
	ds_write_b32 v22, v20 offset:9620
	s_waitcnt lgkmcnt(1)
	ds_write_b64 v22, v[20:21] offset:9360
.LBB98_427:
	s_or_b64 exec, exec, s[14:15]
	v_mov_b32_e32 v20, 0
	s_waitcnt lgkmcnt(0)
	s_barrier
	buffer_wbinvl1_vol
	s_and_saveexec_b64 s[16:17], s[18:19]
	s_cbranch_execz .LBB98_433
; %bb.428:
	v_lshlrev_b32_e32 v22, 2, v11
	v_lshlrev_b32_e32 v21, 8, v12
	ds_read_b32 v20, v22 offset:9344
	ds_read_b32 v23, v21 offset:9360
	v_cmp_gt_u32_e64 s[14:15], 12, v5
	s_waitcnt lgkmcnt(0)
	v_fma_f32 v20, v20, v23, 0
	s_and_saveexec_b64 s[20:21], s[14:15]
	s_cbranch_execnz .LBB98_1194
; %bb.429:
	s_or_b64 exec, exec, s[20:21]
	v_cmp_gt_u32_e64 s[14:15], 8, v5
	s_and_saveexec_b64 s[20:21], s[14:15]
	s_cbranch_execnz .LBB98_1195
.LBB98_430:
	s_or_b64 exec, exec, s[20:21]
	v_cmp_gt_u32_e64 s[14:15], 4, v5
	s_and_saveexec_b64 s[20:21], s[14:15]
	s_cbranch_execz .LBB98_432
.LBB98_431:
	v_lshlrev_b32_e32 v21, 2, v0
	v_mov_b32_e32 v22, 0
	ds_read_b32 v21, v21 offset:10112
	ds_read_b32 v22, v22 offset:10140
	s_waitcnt lgkmcnt(0)
	v_fmac_f32_e32 v20, v21, v22
.LBB98_432:
	s_or_b64 exec, exec, s[20:21]
.LBB98_433:
	s_or_b64 exec, exec, s[16:17]
	s_and_saveexec_b64 s[14:15], s[44:45]
; %bb.434:
	v_xor_b32_e32 v21, 0x80000000, v20
	ds_write_b32 v13, v21
; %bb.435:
	s_or_b64 exec, exec, s[14:15]
	s_waitcnt lgkmcnt(0)
	s_barrier
	s_and_saveexec_b64 s[14:15], s[46:47]
	s_cbranch_execz .LBB98_437
; %bb.436:
	v_lshlrev_b32_e32 v21, 2, v11
	ds_read_b32 v21, v21 offset:9088
	ds_read_b32 v22, v13
	s_waitcnt lgkmcnt(0)
	v_fma_f32 v20, -v21, v22, v20
.LBB98_437:
	s_or_b64 exec, exec, s[14:15]
	s_barrier
	s_and_saveexec_b64 s[14:15], s[48:49]
; %bb.438:
	v_xor_b32_e32 v21, 0x80000000, v20
	ds_write_b32 v13, v21
; %bb.439:
	s_or_b64 exec, exec, s[14:15]
	s_waitcnt lgkmcnt(0)
	s_barrier
	s_and_saveexec_b64 s[14:15], s[50:51]
	s_cbranch_execz .LBB98_441
; %bb.440:
	v_lshlrev_b32_e32 v21, 2, v11
	ds_read_b32 v21, v21 offset:8832
	ds_read_b32 v22, v13
	s_waitcnt lgkmcnt(0)
	v_fma_f32 v20, -v21, v22, v20
.LBB98_441:
	s_or_b64 exec, exec, s[14:15]
	s_barrier
	s_and_saveexec_b64 s[14:15], s[52:53]
; %bb.442:
	v_xor_b32_e32 v21, 0x80000000, v20
	ds_write_b32 v13, v21
; %bb.443:
	s_or_b64 exec, exec, s[14:15]
	s_waitcnt lgkmcnt(0)
	s_barrier
	s_and_saveexec_b64 s[14:15], s[42:43]
	s_cbranch_execz .LBB98_445
; %bb.444:
	v_mov_b32_e32 v21, 0
	ds_read_b32 v21, v21 offset:8576
	ds_read_b32 v22, v13
	s_waitcnt lgkmcnt(0)
	v_fma_f32 v20, -v21, v22, v20
.LBB98_445:
	s_or_b64 exec, exec, s[14:15]
	s_barrier
	s_and_saveexec_b64 s[14:15], s[42:43]
; %bb.446:
	v_xor_b32_e32 v21, 0x80000000, v20
	ds_write_b32 v13, v21
; %bb.447:
	s_or_b64 exec, exec, s[14:15]
	s_waitcnt lgkmcnt(0)
	s_barrier
	s_barrier
	s_and_saveexec_b64 s[14:15], s[18:19]
; %bb.448:
	v_lshlrev_b32_e32 v21, 2, v11
	v_lshl_or_b32 v21, v12, 8, v21
	ds_write_b32 v21, v20 offset:9344
; %bb.449:
	s_or_b64 exec, exec, s[14:15]
	s_waitcnt lgkmcnt(0)
	s_barrier
	s_barrier
	s_and_saveexec_b64 s[14:15], s[54:55]
	s_cbranch_execz .LBB98_451
; %bb.450:
	v_lshlrev_b32_e32 v20, 8, v0
	ds_read_b32 v21, v20 offset:9344
	s_movk_i32 s16, 0xff04
	v_mad_i32_i24 v22, v0, s16, v20
	s_waitcnt lgkmcnt(0)
	ds_write_b32 v22, v21 offset:8336
	ds_read_b32 v21, v20 offset:9348
	s_waitcnt lgkmcnt(0)
	ds_write_b32 v22, v21 offset:8592
	ds_read_b32 v21, v20 offset:9352
	;; [unrolled: 3-line block ×3, first 2 shown]
	s_waitcnt lgkmcnt(0)
	ds_write_b32 v22, v20 offset:9104
.LBB98_451:
	s_or_b64 exec, exec, s[14:15]
	s_waitcnt lgkmcnt(0)
	s_barrier
	s_and_saveexec_b64 s[14:15], vcc
	s_cbranch_execz .LBB98_453
; %bb.452:
	v_mov_b32_e32 v22, 0
	ds_read_b32 v21, v22 offset:9096
	v_mov_b32_e32 v20, 1.0
	ds_write_b32 v22, v20 offset:9100
	s_waitcnt lgkmcnt(1)
	ds_write_b64 v22, v[20:21] offset:8840
.LBB98_453:
	s_or_b64 exec, exec, s[14:15]
	v_mov_b32_e32 v20, 0
	s_waitcnt lgkmcnt(0)
	s_barrier
	buffer_wbinvl1_vol
	s_and_saveexec_b64 s[16:17], s[2:3]
	s_cbranch_execz .LBB98_457
; %bb.454:
	v_lshlrev_b32_e32 v20, 8, v3
	v_lshlrev_b32_e32 v21, 2, v2
	ds_read_b32 v22, v21 offset:8832
	ds_read_b32 v20, v20 offset:8840
	v_mov_b32_e32 v21, 0
	v_cmp_gt_u32_e64 s[14:15], 2, v5
	s_waitcnt lgkmcnt(0)
	v_fma_f32 v20, v22, v20, 0
	s_and_saveexec_b64 s[20:21], s[14:15]
	s_cbranch_execz .LBB98_456
; %bb.455:
	v_lshlrev_b32_e32 v22, 2, v0
	ds_read_b32 v22, v22 offset:9088
	ds_read_b32 v21, v21 offset:9100
	s_waitcnt lgkmcnt(0)
	v_fmac_f32_e32 v20, v22, v21
.LBB98_456:
	s_or_b64 exec, exec, s[20:21]
.LBB98_457:
	s_or_b64 exec, exec, s[16:17]
	s_and_saveexec_b64 s[14:15], s[38:39]
; %bb.458:
	v_xor_b32_e32 v21, 0x80000000, v20
	ds_write_b32 v4, v21
; %bb.459:
	s_or_b64 exec, exec, s[14:15]
	s_waitcnt lgkmcnt(0)
	s_barrier
	s_and_saveexec_b64 s[14:15], s[36:37]
	s_cbranch_execz .LBB98_461
; %bb.460:
	v_mov_b32_e32 v21, 0
	ds_read_b32 v21, v21 offset:8576
	ds_read_b32 v22, v4
	s_waitcnt lgkmcnt(0)
	v_fma_f32 v20, -v21, v22, v20
.LBB98_461:
	s_or_b64 exec, exec, s[14:15]
	s_barrier
	s_and_saveexec_b64 s[14:15], s[36:37]
; %bb.462:
	v_xor_b32_e32 v21, 0x80000000, v20
	ds_write_b32 v4, v21
; %bb.463:
	s_or_b64 exec, exec, s[14:15]
	s_waitcnt lgkmcnt(0)
	s_barrier
	s_barrier
	s_and_saveexec_b64 s[14:15], s[2:3]
; %bb.464:
	v_lshlrev_b32_e32 v21, 2, v2
	v_lshl_or_b32 v21, v3, 8, v21
	ds_write_b32 v21, v20 offset:8832
; %bb.465:
	s_or_b64 exec, exec, s[14:15]
	s_waitcnt lgkmcnt(0)
	s_barrier
	s_barrier
	s_and_saveexec_b64 s[14:15], s[40:41]
	s_cbranch_execz .LBB98_467
; %bb.466:
	v_lshlrev_b32_e32 v20, 2, v0
	s_movk_i32 s16, 0xfc
	v_mad_u32_u24 v21, v0, s16, v20
	ds_read_b32 v22, v21 offset:8832
	s_waitcnt lgkmcnt(0)
	ds_write_b32 v20, v22 offset:8328
	ds_read_b32 v21, v21 offset:8836
	s_waitcnt lgkmcnt(0)
	ds_write_b32 v20, v21 offset:8584
.LBB98_467:
	s_or_b64 exec, exec, s[14:15]
	s_waitcnt lgkmcnt(0)
	s_barrier
	s_and_saveexec_b64 s[14:15], vcc
	s_cbranch_execz .LBB98_469
; %bb.468:
	v_mov_b32_e32 v22, 0
	ds_read_b32 v21, v22 offset:8576
	v_mov_b32_e32 v20, 1.0
	ds_write_b32 v22, v20 offset:8580
	s_waitcnt lgkmcnt(1)
	ds_write_b64 v22, v[20:21] offset:8320
.LBB98_469:
	s_or_b64 exec, exec, s[14:15]
	s_movk_i32 s14, 0x3ff
	v_lshrrev_b32_e32 v23, 5, v5
	v_cmp_lt_u32_e64 s[16:17], s14, v5
	s_movk_i32 s14, 0x400
	v_and_b32_e32 v20, 31, v0
	v_sub_u32_e32 v21, 31, v23
	v_cmp_gt_u32_e64 s[14:15], s14, v5
	v_mov_b32_e32 v22, 0
	s_waitcnt lgkmcnt(0)
	s_barrier
	buffer_wbinvl1_vol
	s_and_saveexec_b64 s[90:91], s[14:15]
	s_cbranch_execz .LBB98_531
; %bb.470:
	v_lshlrev_b32_e32 v25, 2, v20
	v_lshlrev_b32_e32 v24, 8, v21
	ds_read_b32 v22, v25 offset:8192
	ds_read_b32 v26, v24 offset:8320
	s_movk_i32 s20, 0x3e0
	v_cmp_gt_u32_e64 s[20:21], s20, v5
	s_waitcnt lgkmcnt(0)
	v_fma_f32 v22, v22, v26, 0
	s_and_saveexec_b64 s[94:95], s[20:21]
	s_cbranch_execz .LBB98_472
; %bb.471:
	ds_read_b32 v26, v25 offset:8448
	ds_read_b32 v27, v24 offset:8324
	s_waitcnt lgkmcnt(0)
	v_fmac_f32_e32 v22, v26, v27
.LBB98_472:
	s_or_b64 exec, exec, s[94:95]
	s_movk_i32 s20, 0x3c0
	v_cmp_gt_u32_e64 s[20:21], s20, v5
	s_and_saveexec_b64 s[94:95], s[20:21]
	s_cbranch_execz .LBB98_474
; %bb.473:
	ds_read_b32 v26, v25 offset:8704
	ds_read_b32 v27, v24 offset:8328
	s_waitcnt lgkmcnt(0)
	v_fmac_f32_e32 v22, v26, v27
.LBB98_474:
	s_or_b64 exec, exec, s[94:95]
	s_movk_i32 s20, 0x3a0
	v_cmp_gt_u32_e64 s[20:21], s20, v5
	;; [unrolled: 11-line block ×22, first 2 shown]
	s_and_saveexec_b64 s[94:95], s[20:21]
	s_cbranch_execz .LBB98_516
; %bb.515:
	ds_read_b32 v26, v25 offset:14080
	ds_read_b32 v27, v24 offset:8412
	s_waitcnt lgkmcnt(0)
	v_fmac_f32_e32 v22, v26, v27
.LBB98_516:
	s_or_b64 exec, exec, s[94:95]
	s_and_saveexec_b64 s[20:21], s[10:11]
	s_cbranch_execz .LBB98_518
; %bb.517:
	ds_read_b32 v26, v25 offset:14336
	ds_read_b32 v27, v24 offset:8416
	s_waitcnt lgkmcnt(0)
	v_fmac_f32_e32 v22, v26, v27
.LBB98_518:
	s_or_b64 exec, exec, s[20:21]
	s_movk_i32 s20, 0xe0
	v_cmp_gt_u32_e64 s[20:21], s20, v5
	s_and_saveexec_b64 s[94:95], s[20:21]
	s_cbranch_execz .LBB98_520
; %bb.519:
	ds_read_b32 v26, v25 offset:14592
	ds_read_b32 v27, v24 offset:8420
	s_waitcnt lgkmcnt(0)
	v_fmac_f32_e32 v22, v26, v27
.LBB98_520:
	s_or_b64 exec, exec, s[94:95]
	s_movk_i32 s20, 0xc0
	v_cmp_gt_u32_e64 s[20:21], s20, v5
	;; [unrolled: 11-line block ×5, first 2 shown]
	s_and_saveexec_b64 s[94:95], s[20:21]
	s_cbranch_execnz .LBB98_1196
; %bb.527:
	s_or_b64 exec, exec, s[94:95]
	s_and_saveexec_b64 s[20:21], s[8:9]
	s_cbranch_execnz .LBB98_1197
.LBB98_528:
	s_or_b64 exec, exec, s[20:21]
	v_cmp_gt_u32_e64 s[20:21], 32, v5
	s_and_saveexec_b64 s[94:95], s[20:21]
	s_cbranch_execz .LBB98_530
.LBB98_529:
	v_lshlrev_b32_e32 v24, 2, v0
	v_mov_b32_e32 v25, 0
	ds_read_b32 v24, v24 offset:16128
	ds_read_b32 v25, v25 offset:16380
	s_waitcnt lgkmcnt(0)
	v_fmac_f32_e32 v22, v24, v25
.LBB98_530:
	s_or_b64 exec, exec, s[94:95]
.LBB98_531:
	s_or_b64 exec, exec, s[90:91]
	v_mov_b32_e32 v24, 0x4000
	v_cmp_eq_u32_e64 s[20:21], 31, v20
	s_xor_b64 s[90:91], s[16:17], -1
	v_lshl_add_u32 v23, v23, 2, v24
	s_and_b64 s[20:21], s[20:21], s[90:91]
	s_and_saveexec_b64 s[16:17], s[20:21]
; %bb.532:
	v_xor_b32_e32 v24, 0x80000000, v22
	ds_write_b32 v23, v24
; %bb.533:
	s_or_b64 exec, exec, s[16:17]
	v_cmp_ne_u32_e64 s[16:17], 31, v20
	s_and_b64 s[20:21], s[16:17], s[90:91]
	s_waitcnt lgkmcnt(0)
	s_barrier
	s_and_saveexec_b64 s[16:17], s[20:21]
	s_cbranch_execz .LBB98_535
; %bb.534:
	v_lshlrev_b32_e32 v24, 2, v20
	ds_read_b32 v24, v24 offset:7936
	ds_read_b32 v25, v23
	s_waitcnt lgkmcnt(0)
	v_fma_f32 v22, -v24, v25, v22
.LBB98_535:
	s_or_b64 exec, exec, s[16:17]
	v_cmp_eq_u32_e64 s[16:17], 30, v20
	s_and_b64 s[20:21], s[16:17], s[90:91]
	s_barrier
	s_and_saveexec_b64 s[16:17], s[20:21]
; %bb.536:
	v_xor_b32_e32 v24, 0x80000000, v22
	ds_write_b32 v23, v24
; %bb.537:
	s_or_b64 exec, exec, s[16:17]
	v_cmp_gt_u32_e64 s[16:17], 30, v20
	s_and_b64 s[20:21], s[16:17], s[90:91]
	s_waitcnt lgkmcnt(0)
	s_barrier
	s_and_saveexec_b64 s[16:17], s[20:21]
	s_cbranch_execz .LBB98_539
; %bb.538:
	v_lshlrev_b32_e32 v24, 2, v20
	ds_read_b32 v24, v24 offset:7680
	ds_read_b32 v25, v23
	s_waitcnt lgkmcnt(0)
	v_fma_f32 v22, -v24, v25, v22
.LBB98_539:
	s_or_b64 exec, exec, s[16:17]
	v_cmp_eq_u32_e64 s[16:17], 29, v20
	s_and_b64 s[20:21], s[16:17], s[90:91]
	s_barrier
	s_and_saveexec_b64 s[16:17], s[20:21]
; %bb.540:
	v_xor_b32_e32 v24, 0x80000000, v22
	ds_write_b32 v23, v24
; %bb.541:
	s_or_b64 exec, exec, s[16:17]
	v_cmp_gt_u32_e64 s[16:17], 29, v20
	;; [unrolled: 23-line block ×29, first 2 shown]
	s_and_b64 s[20:21], s[16:17], s[90:91]
	s_waitcnt lgkmcnt(0)
	s_barrier
	s_and_saveexec_b64 s[16:17], s[20:21]
	s_cbranch_execz .LBB98_651
; %bb.650:
	v_lshlrev_b32_e32 v24, 2, v20
	ds_read_b32 v24, v24 offset:512
	ds_read_b32 v25, v23
	s_waitcnt lgkmcnt(0)
	v_fma_f32 v22, -v24, v25, v22
.LBB98_651:
	s_or_b64 exec, exec, s[16:17]
	v_cmp_eq_u32_e64 s[16:17], 1, v20
	s_and_b64 s[20:21], s[16:17], s[90:91]
	s_barrier
	s_and_saveexec_b64 s[16:17], s[20:21]
; %bb.652:
	v_xor_b32_e32 v24, 0x80000000, v22
	ds_write_b32 v23, v24
; %bb.653:
	s_or_b64 exec, exec, s[16:17]
	v_cmp_eq_u32_e64 s[16:17], 0, v20
	s_and_b64 s[16:17], s[16:17], s[90:91]
	s_waitcnt lgkmcnt(0)
	s_barrier
	s_and_saveexec_b64 s[20:21], s[16:17]
	s_cbranch_execz .LBB98_655
; %bb.654:
	v_mov_b32_e32 v24, 0
	ds_read_b32 v24, v24 offset:256
	ds_read_b32 v25, v23
	s_waitcnt lgkmcnt(0)
	v_fma_f32 v22, -v24, v25, v22
.LBB98_655:
	s_or_b64 exec, exec, s[20:21]
	s_barrier
	s_and_saveexec_b64 s[20:21], s[16:17]
; %bb.656:
	v_xor_b32_e32 v24, 0x80000000, v22
	ds_write_b32 v23, v24
; %bb.657:
	s_or_b64 exec, exec, s[20:21]
	s_waitcnt lgkmcnt(0)
	s_barrier
	s_barrier
	s_and_saveexec_b64 s[16:17], s[14:15]
; %bb.658:
	v_lshlrev_b32_e32 v20, 2, v20
	v_lshl_or_b32 v20, v21, 8, v20
	ds_write_b32 v20, v22 offset:8192
; %bb.659:
	s_or_b64 exec, exec, s[16:17]
	v_cmp_gt_u32_e64 s[14:15], 32, v0
	s_and_b64 s[14:15], s[12:13], s[14:15]
	s_waitcnt lgkmcnt(0)
	s_barrier
	s_barrier
	s_and_saveexec_b64 s[12:13], s[14:15]
	s_cbranch_execz .LBB98_661
; %bb.660:
	v_lshlrev_b32_e32 v20, 8, v0
	ds_read_b32 v21, v20 offset:8192
	s_movk_i32 s14, 0xff04
	v_mad_i32_i24 v22, v0, s14, v20
	s_waitcnt lgkmcnt(0)
	ds_write_b32 v22, v21 offset:128
	ds_read_b32 v21, v20 offset:8196
	s_waitcnt lgkmcnt(0)
	ds_write_b32 v22, v21 offset:384
	ds_read_b32 v21, v20 offset:8200
	;; [unrolled: 3-line block ×31, first 2 shown]
	s_waitcnt lgkmcnt(0)
	ds_write_b32 v22, v20 offset:8064
.LBB98_661:
	s_or_b64 exec, exec, s[12:13]
	s_waitcnt lgkmcnt(0)
	s_barrier
	s_and_saveexec_b64 s[12:13], vcc
	s_cbranch_execz .LBB98_663
; %bb.662:
	v_mov_b32_e32 v22, 0
	ds_read_b32 v21, v22 offset:8056
	v_mov_b32_e32 v20, 1.0
	ds_write_b32 v22, v20 offset:8060
	s_waitcnt lgkmcnt(1)
	ds_write_b64 v22, v[20:21] offset:7800
.LBB98_663:
	s_or_b64 exec, exec, s[12:13]
	v_mov_b32_e32 v20, 0
	s_waitcnt lgkmcnt(0)
	s_barrier
	buffer_wbinvl1_vol
	s_and_saveexec_b64 s[14:15], s[2:3]
	s_cbranch_execz .LBB98_667
; %bb.664:
	v_lshlrev_b32_e32 v20, 8, v3
	v_lshlrev_b32_e32 v21, 2, v2
	ds_read_b32 v22, v21 offset:7792
	ds_read_b32 v20, v20 offset:7800
	v_mov_b32_e32 v21, 0
	v_cmp_gt_u32_e64 s[12:13], 2, v5
	s_waitcnt lgkmcnt(0)
	v_fma_f32 v20, v22, v20, 0
	s_and_saveexec_b64 s[16:17], s[12:13]
	s_cbranch_execz .LBB98_666
; %bb.665:
	v_lshlrev_b32_e32 v22, 2, v0
	ds_read_b32 v22, v22 offset:8048
	ds_read_b32 v21, v21 offset:8060
	s_waitcnt lgkmcnt(0)
	v_fmac_f32_e32 v20, v22, v21
.LBB98_666:
	s_or_b64 exec, exec, s[16:17]
.LBB98_667:
	s_or_b64 exec, exec, s[14:15]
	s_and_saveexec_b64 s[12:13], s[38:39]
; %bb.668:
	v_xor_b32_e32 v21, 0x80000000, v20
	ds_write_b32 v4, v21
; %bb.669:
	s_or_b64 exec, exec, s[12:13]
	s_waitcnt lgkmcnt(0)
	s_barrier
	s_and_saveexec_b64 s[12:13], s[36:37]
	s_cbranch_execz .LBB98_671
; %bb.670:
	v_mov_b32_e32 v21, 0
	ds_read_b32 v21, v21 offset:7536
	ds_read_b32 v22, v4
	s_waitcnt lgkmcnt(0)
	v_fma_f32 v20, -v21, v22, v20
.LBB98_671:
	s_or_b64 exec, exec, s[12:13]
	s_barrier
	s_and_saveexec_b64 s[12:13], s[36:37]
; %bb.672:
	v_xor_b32_e32 v21, 0x80000000, v20
	ds_write_b32 v4, v21
; %bb.673:
	s_or_b64 exec, exec, s[12:13]
	s_waitcnt lgkmcnt(0)
	s_barrier
	s_barrier
	s_and_saveexec_b64 s[12:13], s[2:3]
; %bb.674:
	v_lshlrev_b32_e32 v21, 2, v2
	v_lshl_or_b32 v21, v3, 8, v21
	ds_write_b32 v21, v20 offset:7792
; %bb.675:
	s_or_b64 exec, exec, s[12:13]
	s_waitcnt lgkmcnt(0)
	s_barrier
	s_barrier
	s_and_saveexec_b64 s[12:13], s[40:41]
	s_cbranch_execz .LBB98_677
; %bb.676:
	v_lshlrev_b32_e32 v20, 2, v0
	s_movk_i32 s14, 0xfc
	v_mad_u32_u24 v21, v0, s14, v20
	ds_read_b32 v22, v21 offset:7792
	s_waitcnt lgkmcnt(0)
	ds_write_b32 v20, v22 offset:7288
	ds_read_b32 v21, v21 offset:7796
	s_waitcnt lgkmcnt(0)
	ds_write_b32 v20, v21 offset:7544
.LBB98_677:
	s_or_b64 exec, exec, s[12:13]
	s_waitcnt lgkmcnt(0)
	s_barrier
	s_and_saveexec_b64 s[12:13], vcc
	s_cbranch_execz .LBB98_679
; %bb.678:
	v_mov_b32_e32 v22, 0
	ds_read_b32 v21, v22 offset:7536
	v_mov_b32_e32 v20, 1.0
	ds_write_b32 v22, v20 offset:7540
	s_waitcnt lgkmcnt(1)
	ds_write_b64 v22, v[20:21] offset:7280
.LBB98_679:
	s_or_b64 exec, exec, s[12:13]
	v_mov_b32_e32 v20, 0
	s_waitcnt lgkmcnt(0)
	s_barrier
	buffer_wbinvl1_vol
	s_and_saveexec_b64 s[14:15], s[18:19]
	s_cbranch_execz .LBB98_685
; %bb.680:
	v_lshlrev_b32_e32 v22, 2, v11
	v_lshlrev_b32_e32 v21, 8, v12
	ds_read_b32 v20, v22 offset:7264
	ds_read_b32 v23, v21 offset:7280
	v_cmp_gt_u32_e64 s[12:13], 12, v5
	s_waitcnt lgkmcnt(0)
	v_fma_f32 v20, v20, v23, 0
	s_and_saveexec_b64 s[16:17], s[12:13]
	s_cbranch_execnz .LBB98_1198
; %bb.681:
	s_or_b64 exec, exec, s[16:17]
	v_cmp_gt_u32_e64 s[12:13], 8, v5
	s_and_saveexec_b64 s[16:17], s[12:13]
	s_cbranch_execnz .LBB98_1199
.LBB98_682:
	s_or_b64 exec, exec, s[16:17]
	v_cmp_gt_u32_e64 s[12:13], 4, v5
	s_and_saveexec_b64 s[16:17], s[12:13]
	s_cbranch_execz .LBB98_684
.LBB98_683:
	v_lshlrev_b32_e32 v21, 2, v0
	v_mov_b32_e32 v22, 0
	ds_read_b32 v21, v21 offset:8032
	ds_read_b32 v22, v22 offset:8060
	s_waitcnt lgkmcnt(0)
	v_fmac_f32_e32 v20, v21, v22
.LBB98_684:
	s_or_b64 exec, exec, s[16:17]
.LBB98_685:
	s_or_b64 exec, exec, s[14:15]
	s_and_saveexec_b64 s[12:13], s[44:45]
; %bb.686:
	v_xor_b32_e32 v21, 0x80000000, v20
	ds_write_b32 v13, v21
; %bb.687:
	s_or_b64 exec, exec, s[12:13]
	s_waitcnt lgkmcnt(0)
	s_barrier
	s_and_saveexec_b64 s[12:13], s[46:47]
	s_cbranch_execz .LBB98_689
; %bb.688:
	v_lshlrev_b32_e32 v21, 2, v11
	ds_read_b32 v21, v21 offset:7008
	ds_read_b32 v22, v13
	s_waitcnt lgkmcnt(0)
	v_fma_f32 v20, -v21, v22, v20
.LBB98_689:
	s_or_b64 exec, exec, s[12:13]
	s_barrier
	s_and_saveexec_b64 s[12:13], s[48:49]
; %bb.690:
	v_xor_b32_e32 v21, 0x80000000, v20
	ds_write_b32 v13, v21
; %bb.691:
	s_or_b64 exec, exec, s[12:13]
	s_waitcnt lgkmcnt(0)
	s_barrier
	s_and_saveexec_b64 s[12:13], s[50:51]
	s_cbranch_execz .LBB98_693
; %bb.692:
	v_lshlrev_b32_e32 v21, 2, v11
	ds_read_b32 v21, v21 offset:6752
	ds_read_b32 v22, v13
	s_waitcnt lgkmcnt(0)
	v_fma_f32 v20, -v21, v22, v20
.LBB98_693:
	s_or_b64 exec, exec, s[12:13]
	s_barrier
	s_and_saveexec_b64 s[12:13], s[52:53]
; %bb.694:
	v_xor_b32_e32 v21, 0x80000000, v20
	ds_write_b32 v13, v21
; %bb.695:
	s_or_b64 exec, exec, s[12:13]
	s_waitcnt lgkmcnt(0)
	s_barrier
	s_and_saveexec_b64 s[12:13], s[42:43]
	s_cbranch_execz .LBB98_697
; %bb.696:
	v_mov_b32_e32 v21, 0
	ds_read_b32 v21, v21 offset:6496
	ds_read_b32 v22, v13
	s_waitcnt lgkmcnt(0)
	v_fma_f32 v20, -v21, v22, v20
.LBB98_697:
	s_or_b64 exec, exec, s[12:13]
	s_barrier
	s_and_saveexec_b64 s[12:13], s[42:43]
; %bb.698:
	v_xor_b32_e32 v21, 0x80000000, v20
	ds_write_b32 v13, v21
; %bb.699:
	s_or_b64 exec, exec, s[12:13]
	s_waitcnt lgkmcnt(0)
	s_barrier
	s_barrier
	s_and_saveexec_b64 s[12:13], s[18:19]
; %bb.700:
	v_lshlrev_b32_e32 v21, 2, v11
	v_lshl_or_b32 v21, v12, 8, v21
	ds_write_b32 v21, v20 offset:7264
; %bb.701:
	s_or_b64 exec, exec, s[12:13]
	s_waitcnt lgkmcnt(0)
	s_barrier
	s_barrier
	s_and_saveexec_b64 s[12:13], s[54:55]
	s_cbranch_execz .LBB98_703
; %bb.702:
	v_lshlrev_b32_e32 v20, 8, v0
	ds_read_b32 v21, v20 offset:7264
	s_movk_i32 s14, 0xff04
	v_mad_i32_i24 v22, v0, s14, v20
	s_waitcnt lgkmcnt(0)
	ds_write_b32 v22, v21 offset:6256
	ds_read_b32 v21, v20 offset:7268
	s_waitcnt lgkmcnt(0)
	ds_write_b32 v22, v21 offset:6512
	ds_read_b32 v21, v20 offset:7272
	;; [unrolled: 3-line block ×3, first 2 shown]
	s_waitcnt lgkmcnt(0)
	ds_write_b32 v22, v20 offset:7024
.LBB98_703:
	s_or_b64 exec, exec, s[12:13]
	s_waitcnt lgkmcnt(0)
	s_barrier
	s_and_saveexec_b64 s[12:13], vcc
	s_cbranch_execz .LBB98_705
; %bb.704:
	v_mov_b32_e32 v22, 0
	ds_read_b32 v21, v22 offset:7016
	v_mov_b32_e32 v20, 1.0
	ds_write_b32 v22, v20 offset:7020
	s_waitcnt lgkmcnt(1)
	ds_write_b64 v22, v[20:21] offset:6760
.LBB98_705:
	s_or_b64 exec, exec, s[12:13]
	v_mov_b32_e32 v20, 0
	s_waitcnt lgkmcnt(0)
	s_barrier
	buffer_wbinvl1_vol
	s_and_saveexec_b64 s[14:15], s[2:3]
	s_cbranch_execz .LBB98_709
; %bb.706:
	v_lshlrev_b32_e32 v20, 8, v3
	v_lshlrev_b32_e32 v21, 2, v2
	ds_read_b32 v22, v21 offset:6752
	ds_read_b32 v20, v20 offset:6760
	v_mov_b32_e32 v21, 0
	v_cmp_gt_u32_e64 s[12:13], 2, v5
	s_waitcnt lgkmcnt(0)
	v_fma_f32 v20, v22, v20, 0
	s_and_saveexec_b64 s[16:17], s[12:13]
	s_cbranch_execz .LBB98_708
; %bb.707:
	v_lshlrev_b32_e32 v22, 2, v0
	ds_read_b32 v22, v22 offset:7008
	ds_read_b32 v21, v21 offset:7020
	s_waitcnt lgkmcnt(0)
	v_fmac_f32_e32 v20, v22, v21
.LBB98_708:
	s_or_b64 exec, exec, s[16:17]
.LBB98_709:
	s_or_b64 exec, exec, s[14:15]
	s_and_saveexec_b64 s[12:13], s[38:39]
; %bb.710:
	v_xor_b32_e32 v21, 0x80000000, v20
	ds_write_b32 v4, v21
; %bb.711:
	s_or_b64 exec, exec, s[12:13]
	s_waitcnt lgkmcnt(0)
	s_barrier
	s_and_saveexec_b64 s[12:13], s[36:37]
	s_cbranch_execz .LBB98_713
; %bb.712:
	v_mov_b32_e32 v21, 0
	ds_read_b32 v21, v21 offset:6496
	ds_read_b32 v22, v4
	s_waitcnt lgkmcnt(0)
	v_fma_f32 v20, -v21, v22, v20
.LBB98_713:
	s_or_b64 exec, exec, s[12:13]
	s_barrier
	s_and_saveexec_b64 s[12:13], s[36:37]
; %bb.714:
	v_xor_b32_e32 v21, 0x80000000, v20
	ds_write_b32 v4, v21
; %bb.715:
	s_or_b64 exec, exec, s[12:13]
	s_waitcnt lgkmcnt(0)
	s_barrier
	s_barrier
	s_and_saveexec_b64 s[12:13], s[2:3]
; %bb.716:
	v_lshlrev_b32_e32 v21, 2, v2
	v_lshl_or_b32 v21, v3, 8, v21
	ds_write_b32 v21, v20 offset:6752
; %bb.717:
	s_or_b64 exec, exec, s[12:13]
	s_waitcnt lgkmcnt(0)
	s_barrier
	s_barrier
	s_and_saveexec_b64 s[12:13], s[40:41]
	s_cbranch_execz .LBB98_719
; %bb.718:
	v_lshlrev_b32_e32 v20, 2, v0
	s_movk_i32 s14, 0xfc
	v_mad_u32_u24 v21, v0, s14, v20
	ds_read_b32 v22, v21 offset:6752
	s_waitcnt lgkmcnt(0)
	ds_write_b32 v20, v22 offset:6248
	ds_read_b32 v21, v21 offset:6756
	s_waitcnt lgkmcnt(0)
	ds_write_b32 v20, v21 offset:6504
.LBB98_719:
	s_or_b64 exec, exec, s[12:13]
	s_waitcnt lgkmcnt(0)
	s_barrier
	s_and_saveexec_b64 s[12:13], vcc
	s_cbranch_execz .LBB98_721
; %bb.720:
	v_mov_b32_e32 v22, 0
	ds_read_b32 v21, v22 offset:6496
	v_mov_b32_e32 v20, 1.0
	ds_write_b32 v22, v20 offset:6500
	s_waitcnt lgkmcnt(1)
	ds_write_b64 v22, v[20:21] offset:6240
.LBB98_721:
	s_or_b64 exec, exec, s[12:13]
	v_mov_b32_e32 v20, 0
	s_waitcnt lgkmcnt(0)
	s_barrier
	buffer_wbinvl1_vol
	s_and_saveexec_b64 s[14:15], s[8:9]
	s_cbranch_execz .LBB98_731
; %bb.722:
	v_lshlrev_b32_e32 v22, 2, v14
	v_lshlrev_b32_e32 v21, 8, v15
	ds_read_b32 v20, v22 offset:6208
	ds_read_b32 v23, v21 offset:6240
	v_cmp_gt_u32_e64 s[12:13], 56, v5
	s_waitcnt lgkmcnt(0)
	v_fma_f32 v20, v20, v23, 0
	s_and_saveexec_b64 s[16:17], s[12:13]
	s_cbranch_execnz .LBB98_1200
; %bb.723:
	s_or_b64 exec, exec, s[16:17]
	v_cmp_gt_u32_e64 s[12:13], 48, v5
	s_and_saveexec_b64 s[16:17], s[12:13]
	s_cbranch_execnz .LBB98_1201
.LBB98_724:
	s_or_b64 exec, exec, s[16:17]
	v_cmp_gt_u32_e64 s[12:13], 40, v5
	s_and_saveexec_b64 s[16:17], s[12:13]
	s_cbranch_execnz .LBB98_1202
.LBB98_725:
	s_or_b64 exec, exec, s[16:17]
	v_cmp_gt_u32_e64 s[12:13], 32, v5
	s_and_saveexec_b64 s[16:17], s[12:13]
	s_cbranch_execnz .LBB98_1203
.LBB98_726:
	s_or_b64 exec, exec, s[16:17]
	v_cmp_gt_u32_e64 s[12:13], 24, v5
	s_and_saveexec_b64 s[16:17], s[12:13]
	s_cbranch_execnz .LBB98_1204
.LBB98_727:
	s_or_b64 exec, exec, s[16:17]
	s_and_saveexec_b64 s[12:13], s[18:19]
	s_cbranch_execnz .LBB98_1205
.LBB98_728:
	s_or_b64 exec, exec, s[12:13]
	v_cmp_gt_u32_e64 s[12:13], 8, v5
	s_and_saveexec_b64 s[16:17], s[12:13]
	s_cbranch_execz .LBB98_730
.LBB98_729:
	v_lshlrev_b32_e32 v21, 2, v0
	v_mov_b32_e32 v22, 0
	ds_read_b32 v21, v21 offset:8000
	ds_read_b32 v22, v22 offset:8060
	s_waitcnt lgkmcnt(0)
	v_fmac_f32_e32 v20, v21, v22
.LBB98_730:
	s_or_b64 exec, exec, s[16:17]
.LBB98_731:
	s_or_b64 exec, exec, s[14:15]
	s_and_saveexec_b64 s[12:13], s[56:57]
; %bb.732:
	v_xor_b32_e32 v21, 0x80000000, v20
	ds_write_b32 v16, v21
; %bb.733:
	s_or_b64 exec, exec, s[12:13]
	s_waitcnt lgkmcnt(0)
	s_barrier
	s_and_saveexec_b64 s[12:13], s[58:59]
	s_cbranch_execz .LBB98_735
; %bb.734:
	v_lshlrev_b32_e32 v21, 2, v14
	ds_read_b32 v21, v21 offset:5952
	ds_read_b32 v22, v16
	s_waitcnt lgkmcnt(0)
	v_fma_f32 v20, -v21, v22, v20
.LBB98_735:
	s_or_b64 exec, exec, s[12:13]
	s_barrier
	s_and_saveexec_b64 s[12:13], s[60:61]
; %bb.736:
	v_xor_b32_e32 v21, 0x80000000, v20
	ds_write_b32 v16, v21
; %bb.737:
	s_or_b64 exec, exec, s[12:13]
	s_waitcnt lgkmcnt(0)
	s_barrier
	s_and_saveexec_b64 s[12:13], s[62:63]
	s_cbranch_execz .LBB98_739
; %bb.738:
	v_lshlrev_b32_e32 v21, 2, v14
	ds_read_b32 v21, v21 offset:5696
	ds_read_b32 v22, v16
	s_waitcnt lgkmcnt(0)
	v_fma_f32 v20, -v21, v22, v20
.LBB98_739:
	s_or_b64 exec, exec, s[12:13]
	s_barrier
	s_and_saveexec_b64 s[12:13], s[64:65]
; %bb.740:
	v_xor_b32_e32 v21, 0x80000000, v20
	ds_write_b32 v16, v21
; %bb.741:
	s_or_b64 exec, exec, s[12:13]
	s_waitcnt lgkmcnt(0)
	s_barrier
	s_and_saveexec_b64 s[12:13], s[68:69]
	s_cbranch_execz .LBB98_743
; %bb.742:
	v_lshlrev_b32_e32 v21, 2, v14
	ds_read_b32 v21, v21 offset:5440
	ds_read_b32 v22, v16
	s_waitcnt lgkmcnt(0)
	v_fma_f32 v20, -v21, v22, v20
.LBB98_743:
	s_or_b64 exec, exec, s[12:13]
	s_barrier
	s_and_saveexec_b64 s[12:13], s[70:71]
; %bb.744:
	v_xor_b32_e32 v21, 0x80000000, v20
	ds_write_b32 v16, v21
; %bb.745:
	s_or_b64 exec, exec, s[12:13]
	s_waitcnt lgkmcnt(0)
	s_barrier
	s_and_saveexec_b64 s[12:13], s[72:73]
	s_cbranch_execz .LBB98_747
; %bb.746:
	v_lshlrev_b32_e32 v21, 2, v14
	ds_read_b32 v21, v21 offset:5184
	ds_read_b32 v22, v16
	s_waitcnt lgkmcnt(0)
	v_fma_f32 v20, -v21, v22, v20
.LBB98_747:
	s_or_b64 exec, exec, s[12:13]
	s_barrier
	s_and_saveexec_b64 s[12:13], s[74:75]
; %bb.748:
	v_xor_b32_e32 v21, 0x80000000, v20
	ds_write_b32 v16, v21
; %bb.749:
	s_or_b64 exec, exec, s[12:13]
	s_waitcnt lgkmcnt(0)
	s_barrier
	s_and_saveexec_b64 s[12:13], s[76:77]
	s_cbranch_execz .LBB98_751
; %bb.750:
	v_lshlrev_b32_e32 v21, 2, v14
	ds_read_b32 v21, v21 offset:4928
	ds_read_b32 v22, v16
	s_waitcnt lgkmcnt(0)
	v_fma_f32 v20, -v21, v22, v20
.LBB98_751:
	s_or_b64 exec, exec, s[12:13]
	s_barrier
	s_and_saveexec_b64 s[12:13], s[78:79]
; %bb.752:
	v_xor_b32_e32 v21, 0x80000000, v20
	ds_write_b32 v16, v21
; %bb.753:
	s_or_b64 exec, exec, s[12:13]
	s_waitcnt lgkmcnt(0)
	s_barrier
	s_and_saveexec_b64 s[12:13], s[80:81]
	s_cbranch_execz .LBB98_755
; %bb.754:
	v_lshlrev_b32_e32 v21, 2, v14
	ds_read_b32 v21, v21 offset:4672
	ds_read_b32 v22, v16
	s_waitcnt lgkmcnt(0)
	v_fma_f32 v20, -v21, v22, v20
.LBB98_755:
	s_or_b64 exec, exec, s[12:13]
	s_barrier
	s_and_saveexec_b64 s[12:13], s[82:83]
; %bb.756:
	v_xor_b32_e32 v21, 0x80000000, v20
	ds_write_b32 v16, v21
; %bb.757:
	s_or_b64 exec, exec, s[12:13]
	s_waitcnt lgkmcnt(0)
	s_barrier
	s_and_saveexec_b64 s[12:13], s[66:67]
	s_cbranch_execz .LBB98_759
; %bb.758:
	v_mov_b32_e32 v21, 0
	ds_read_b32 v21, v21 offset:4416
	ds_read_b32 v22, v16
	s_waitcnt lgkmcnt(0)
	v_fma_f32 v20, -v21, v22, v20
.LBB98_759:
	s_or_b64 exec, exec, s[12:13]
	s_barrier
	s_and_saveexec_b64 s[12:13], s[66:67]
; %bb.760:
	v_xor_b32_e32 v21, 0x80000000, v20
	ds_write_b32 v16, v21
; %bb.761:
	s_or_b64 exec, exec, s[12:13]
	s_waitcnt lgkmcnt(0)
	s_barrier
	s_barrier
	s_and_saveexec_b64 s[12:13], s[8:9]
; %bb.762:
	v_lshlrev_b32_e32 v21, 2, v14
	v_lshl_or_b32 v21, v15, 8, v21
	ds_write_b32 v21, v20 offset:6208
; %bb.763:
	s_or_b64 exec, exec, s[12:13]
	s_waitcnt lgkmcnt(0)
	s_barrier
	s_barrier
	s_and_saveexec_b64 s[12:13], s[84:85]
	s_cbranch_execz .LBB98_765
; %bb.764:
	v_lshlrev_b32_e32 v20, 8, v0
	ds_read_b32 v21, v20 offset:6208
	s_movk_i32 s14, 0xff04
	v_mad_i32_i24 v22, v0, s14, v20
	s_waitcnt lgkmcnt(0)
	ds_write_b32 v22, v21 offset:4192
	ds_read_b32 v21, v20 offset:6212
	s_waitcnt lgkmcnt(0)
	ds_write_b32 v22, v21 offset:4448
	ds_read_b32 v21, v20 offset:6216
	;; [unrolled: 3-line block ×7, first 2 shown]
	s_waitcnt lgkmcnt(0)
	ds_write_b32 v22, v20 offset:5984
.LBB98_765:
	s_or_b64 exec, exec, s[12:13]
	s_waitcnt lgkmcnt(0)
	s_barrier
	s_and_saveexec_b64 s[12:13], vcc
	s_cbranch_execz .LBB98_767
; %bb.766:
	v_mov_b32_e32 v22, 0
	ds_read_b32 v21, v22 offset:5976
	v_mov_b32_e32 v20, 1.0
	ds_write_b32 v22, v20 offset:5980
	s_waitcnt lgkmcnt(1)
	ds_write_b64 v22, v[20:21] offset:5720
.LBB98_767:
	s_or_b64 exec, exec, s[12:13]
	v_mov_b32_e32 v20, 0
	s_waitcnt lgkmcnt(0)
	s_barrier
	buffer_wbinvl1_vol
	s_and_saveexec_b64 s[14:15], s[2:3]
	s_cbranch_execz .LBB98_771
; %bb.768:
	v_lshlrev_b32_e32 v20, 8, v3
	v_lshlrev_b32_e32 v21, 2, v2
	ds_read_b32 v22, v21 offset:5712
	ds_read_b32 v20, v20 offset:5720
	v_mov_b32_e32 v21, 0
	v_cmp_gt_u32_e64 s[12:13], 2, v5
	s_waitcnt lgkmcnt(0)
	v_fma_f32 v20, v22, v20, 0
	s_and_saveexec_b64 s[16:17], s[12:13]
	s_cbranch_execz .LBB98_770
; %bb.769:
	v_lshlrev_b32_e32 v22, 2, v0
	ds_read_b32 v22, v22 offset:5968
	ds_read_b32 v21, v21 offset:5980
	s_waitcnt lgkmcnt(0)
	v_fmac_f32_e32 v20, v22, v21
.LBB98_770:
	s_or_b64 exec, exec, s[16:17]
.LBB98_771:
	s_or_b64 exec, exec, s[14:15]
	s_and_saveexec_b64 s[12:13], s[38:39]
; %bb.772:
	v_xor_b32_e32 v21, 0x80000000, v20
	ds_write_b32 v4, v21
; %bb.773:
	s_or_b64 exec, exec, s[12:13]
	s_waitcnt lgkmcnt(0)
	s_barrier
	s_and_saveexec_b64 s[12:13], s[36:37]
	s_cbranch_execz .LBB98_775
; %bb.774:
	v_mov_b32_e32 v21, 0
	ds_read_b32 v21, v21 offset:5456
	ds_read_b32 v22, v4
	s_waitcnt lgkmcnt(0)
	v_fma_f32 v20, -v21, v22, v20
.LBB98_775:
	s_or_b64 exec, exec, s[12:13]
	s_barrier
	s_and_saveexec_b64 s[12:13], s[36:37]
; %bb.776:
	v_xor_b32_e32 v21, 0x80000000, v20
	ds_write_b32 v4, v21
; %bb.777:
	s_or_b64 exec, exec, s[12:13]
	s_waitcnt lgkmcnt(0)
	s_barrier
	s_barrier
	s_and_saveexec_b64 s[12:13], s[2:3]
; %bb.778:
	v_lshlrev_b32_e32 v21, 2, v2
	v_lshl_or_b32 v21, v3, 8, v21
	ds_write_b32 v21, v20 offset:5712
; %bb.779:
	s_or_b64 exec, exec, s[12:13]
	s_waitcnt lgkmcnt(0)
	s_barrier
	s_barrier
	s_and_saveexec_b64 s[12:13], s[40:41]
	s_cbranch_execz .LBB98_781
; %bb.780:
	v_lshlrev_b32_e32 v20, 2, v0
	s_movk_i32 s14, 0xfc
	v_mad_u32_u24 v21, v0, s14, v20
	ds_read_b32 v22, v21 offset:5712
	s_waitcnt lgkmcnt(0)
	ds_write_b32 v20, v22 offset:5208
	ds_read_b32 v21, v21 offset:5716
	s_waitcnt lgkmcnt(0)
	ds_write_b32 v20, v21 offset:5464
.LBB98_781:
	s_or_b64 exec, exec, s[12:13]
	s_waitcnt lgkmcnt(0)
	s_barrier
	s_and_saveexec_b64 s[12:13], vcc
	s_cbranch_execz .LBB98_783
; %bb.782:
	v_mov_b32_e32 v22, 0
	ds_read_b32 v21, v22 offset:5456
	v_mov_b32_e32 v20, 1.0
	ds_write_b32 v22, v20 offset:5460
	s_waitcnt lgkmcnt(1)
	ds_write_b64 v22, v[20:21] offset:5200
.LBB98_783:
	s_or_b64 exec, exec, s[12:13]
	v_mov_b32_e32 v20, 0
	s_waitcnt lgkmcnt(0)
	s_barrier
	buffer_wbinvl1_vol
	s_and_saveexec_b64 s[14:15], s[18:19]
	s_cbranch_execz .LBB98_789
; %bb.784:
	v_lshlrev_b32_e32 v22, 2, v11
	v_lshlrev_b32_e32 v21, 8, v12
	ds_read_b32 v20, v22 offset:5184
	ds_read_b32 v23, v21 offset:5200
	v_cmp_gt_u32_e64 s[12:13], 12, v5
	s_waitcnt lgkmcnt(0)
	v_fma_f32 v20, v20, v23, 0
	s_and_saveexec_b64 s[16:17], s[12:13]
	s_cbranch_execnz .LBB98_1206
; %bb.785:
	s_or_b64 exec, exec, s[16:17]
	v_cmp_gt_u32_e64 s[12:13], 8, v5
	s_and_saveexec_b64 s[16:17], s[12:13]
	s_cbranch_execnz .LBB98_1207
.LBB98_786:
	s_or_b64 exec, exec, s[16:17]
	v_cmp_gt_u32_e64 s[12:13], 4, v5
	s_and_saveexec_b64 s[16:17], s[12:13]
	s_cbranch_execz .LBB98_788
.LBB98_787:
	v_lshlrev_b32_e32 v21, 2, v0
	v_mov_b32_e32 v22, 0
	ds_read_b32 v21, v21 offset:5952
	ds_read_b32 v22, v22 offset:5980
	s_waitcnt lgkmcnt(0)
	v_fmac_f32_e32 v20, v21, v22
.LBB98_788:
	s_or_b64 exec, exec, s[16:17]
.LBB98_789:
	s_or_b64 exec, exec, s[14:15]
	s_and_saveexec_b64 s[12:13], s[44:45]
; %bb.790:
	v_xor_b32_e32 v21, 0x80000000, v20
	ds_write_b32 v13, v21
; %bb.791:
	s_or_b64 exec, exec, s[12:13]
	s_waitcnt lgkmcnt(0)
	s_barrier
	s_and_saveexec_b64 s[12:13], s[46:47]
	s_cbranch_execz .LBB98_793
; %bb.792:
	v_lshlrev_b32_e32 v21, 2, v11
	ds_read_b32 v21, v21 offset:4928
	ds_read_b32 v22, v13
	s_waitcnt lgkmcnt(0)
	v_fma_f32 v20, -v21, v22, v20
.LBB98_793:
	s_or_b64 exec, exec, s[12:13]
	s_barrier
	s_and_saveexec_b64 s[12:13], s[48:49]
; %bb.794:
	v_xor_b32_e32 v21, 0x80000000, v20
	ds_write_b32 v13, v21
; %bb.795:
	s_or_b64 exec, exec, s[12:13]
	s_waitcnt lgkmcnt(0)
	s_barrier
	s_and_saveexec_b64 s[12:13], s[50:51]
	s_cbranch_execz .LBB98_797
; %bb.796:
	v_lshlrev_b32_e32 v21, 2, v11
	ds_read_b32 v21, v21 offset:4672
	ds_read_b32 v22, v13
	s_waitcnt lgkmcnt(0)
	v_fma_f32 v20, -v21, v22, v20
.LBB98_797:
	s_or_b64 exec, exec, s[12:13]
	s_barrier
	s_and_saveexec_b64 s[12:13], s[52:53]
; %bb.798:
	v_xor_b32_e32 v21, 0x80000000, v20
	ds_write_b32 v13, v21
; %bb.799:
	s_or_b64 exec, exec, s[12:13]
	s_waitcnt lgkmcnt(0)
	s_barrier
	s_and_saveexec_b64 s[12:13], s[42:43]
	s_cbranch_execz .LBB98_801
; %bb.800:
	v_mov_b32_e32 v21, 0
	ds_read_b32 v21, v21 offset:4416
	ds_read_b32 v22, v13
	s_waitcnt lgkmcnt(0)
	v_fma_f32 v20, -v21, v22, v20
.LBB98_801:
	s_or_b64 exec, exec, s[12:13]
	s_barrier
	s_and_saveexec_b64 s[12:13], s[42:43]
; %bb.802:
	v_xor_b32_e32 v21, 0x80000000, v20
	ds_write_b32 v13, v21
; %bb.803:
	s_or_b64 exec, exec, s[12:13]
	s_waitcnt lgkmcnt(0)
	s_barrier
	s_barrier
	s_and_saveexec_b64 s[12:13], s[18:19]
; %bb.804:
	v_lshlrev_b32_e32 v21, 2, v11
	v_lshl_or_b32 v21, v12, 8, v21
	ds_write_b32 v21, v20 offset:5184
; %bb.805:
	s_or_b64 exec, exec, s[12:13]
	s_waitcnt lgkmcnt(0)
	s_barrier
	s_barrier
	s_and_saveexec_b64 s[12:13], s[54:55]
	s_cbranch_execz .LBB98_807
; %bb.806:
	v_lshlrev_b32_e32 v20, 8, v0
	ds_read_b32 v21, v20 offset:5184
	s_movk_i32 s14, 0xff04
	v_mad_i32_i24 v22, v0, s14, v20
	s_waitcnt lgkmcnt(0)
	ds_write_b32 v22, v21 offset:4176
	ds_read_b32 v21, v20 offset:5188
	s_waitcnt lgkmcnt(0)
	ds_write_b32 v22, v21 offset:4432
	ds_read_b32 v21, v20 offset:5192
	;; [unrolled: 3-line block ×3, first 2 shown]
	s_waitcnt lgkmcnt(0)
	ds_write_b32 v22, v20 offset:4944
.LBB98_807:
	s_or_b64 exec, exec, s[12:13]
	s_waitcnt lgkmcnt(0)
	s_barrier
	s_and_saveexec_b64 s[12:13], vcc
	s_cbranch_execz .LBB98_809
; %bb.808:
	v_mov_b32_e32 v22, 0
	ds_read_b32 v21, v22 offset:4936
	v_mov_b32_e32 v20, 1.0
	ds_write_b32 v22, v20 offset:4940
	s_waitcnt lgkmcnt(1)
	ds_write_b64 v22, v[20:21] offset:4680
.LBB98_809:
	s_or_b64 exec, exec, s[12:13]
	v_mov_b32_e32 v20, 0
	s_waitcnt lgkmcnt(0)
	s_barrier
	buffer_wbinvl1_vol
	s_and_saveexec_b64 s[14:15], s[2:3]
	s_cbranch_execz .LBB98_813
; %bb.810:
	v_lshlrev_b32_e32 v20, 8, v3
	v_lshlrev_b32_e32 v21, 2, v2
	ds_read_b32 v22, v21 offset:4672
	ds_read_b32 v20, v20 offset:4680
	v_mov_b32_e32 v21, 0
	v_cmp_gt_u32_e64 s[12:13], 2, v5
	s_waitcnt lgkmcnt(0)
	v_fma_f32 v20, v22, v20, 0
	s_and_saveexec_b64 s[16:17], s[12:13]
	s_cbranch_execz .LBB98_812
; %bb.811:
	v_lshlrev_b32_e32 v22, 2, v0
	ds_read_b32 v22, v22 offset:4928
	ds_read_b32 v21, v21 offset:4940
	s_waitcnt lgkmcnt(0)
	v_fmac_f32_e32 v20, v22, v21
.LBB98_812:
	s_or_b64 exec, exec, s[16:17]
.LBB98_813:
	s_or_b64 exec, exec, s[14:15]
	s_and_saveexec_b64 s[12:13], s[38:39]
; %bb.814:
	v_xor_b32_e32 v21, 0x80000000, v20
	ds_write_b32 v4, v21
; %bb.815:
	s_or_b64 exec, exec, s[12:13]
	s_waitcnt lgkmcnt(0)
	s_barrier
	s_and_saveexec_b64 s[12:13], s[36:37]
	s_cbranch_execz .LBB98_817
; %bb.816:
	v_mov_b32_e32 v21, 0
	ds_read_b32 v21, v21 offset:4416
	ds_read_b32 v22, v4
	s_waitcnt lgkmcnt(0)
	v_fma_f32 v20, -v21, v22, v20
.LBB98_817:
	s_or_b64 exec, exec, s[12:13]
	s_barrier
	s_and_saveexec_b64 s[12:13], s[36:37]
; %bb.818:
	v_xor_b32_e32 v21, 0x80000000, v20
	ds_write_b32 v4, v21
; %bb.819:
	s_or_b64 exec, exec, s[12:13]
	s_waitcnt lgkmcnt(0)
	s_barrier
	s_barrier
	s_and_saveexec_b64 s[12:13], s[2:3]
; %bb.820:
	v_lshlrev_b32_e32 v21, 2, v2
	v_lshl_or_b32 v21, v3, 8, v21
	ds_write_b32 v21, v20 offset:4672
; %bb.821:
	s_or_b64 exec, exec, s[12:13]
	s_waitcnt lgkmcnt(0)
	s_barrier
	s_barrier
	s_and_saveexec_b64 s[12:13], s[40:41]
	s_cbranch_execz .LBB98_823
; %bb.822:
	v_lshlrev_b32_e32 v20, 2, v0
	s_movk_i32 s14, 0xfc
	v_mad_u32_u24 v21, v0, s14, v20
	ds_read_b32 v22, v21 offset:4672
	s_waitcnt lgkmcnt(0)
	ds_write_b32 v20, v22 offset:4168
	ds_read_b32 v21, v21 offset:4676
	s_waitcnt lgkmcnt(0)
	ds_write_b32 v20, v21 offset:4424
.LBB98_823:
	s_or_b64 exec, exec, s[12:13]
	s_waitcnt lgkmcnt(0)
	s_barrier
	s_and_saveexec_b64 s[12:13], vcc
	s_cbranch_execz .LBB98_825
; %bb.824:
	v_mov_b32_e32 v22, 0
	ds_read_b32 v21, v22 offset:4416
	v_mov_b32_e32 v20, 1.0
	ds_write_b32 v22, v20 offset:4420
	s_waitcnt lgkmcnt(1)
	ds_write_b64 v22, v[20:21] offset:4160
.LBB98_825:
	s_or_b64 exec, exec, s[12:13]
	v_mov_b32_e32 v20, 0
	s_waitcnt lgkmcnt(0)
	s_barrier
	buffer_wbinvl1_vol
	s_and_saveexec_b64 s[14:15], s[10:11]
	s_cbranch_execz .LBB98_853
; %bb.826:
	v_lshlrev_b32_e32 v22, 2, v17
	v_lshlrev_b32_e32 v21, 8, v18
	ds_read_b32 v20, v22 offset:4096
	ds_read_b32 v23, v21 offset:4160
	s_movk_i32 s12, 0xf0
	v_cmp_gt_u32_e64 s[12:13], s12, v5
	s_waitcnt lgkmcnt(0)
	v_fma_f32 v20, v20, v23, 0
	s_and_saveexec_b64 s[16:17], s[12:13]
	s_cbranch_execz .LBB98_828
; %bb.827:
	ds_read_b32 v23, v22 offset:4352
	ds_read_b32 v24, v21 offset:4164
	s_waitcnt lgkmcnt(0)
	v_fmac_f32_e32 v20, v23, v24
.LBB98_828:
	s_or_b64 exec, exec, s[16:17]
	s_movk_i32 s12, 0xe0
	v_cmp_gt_u32_e64 s[12:13], s12, v5
	s_and_saveexec_b64 s[16:17], s[12:13]
	s_cbranch_execz .LBB98_830
; %bb.829:
	ds_read_b32 v23, v22 offset:4608
	ds_read_b32 v24, v21 offset:4168
	s_waitcnt lgkmcnt(0)
	v_fmac_f32_e32 v20, v23, v24
.LBB98_830:
	s_or_b64 exec, exec, s[16:17]
	s_movk_i32 s12, 0xd0
	v_cmp_gt_u32_e64 s[12:13], s12, v5
	;; [unrolled: 11-line block ×10, first 2 shown]
	s_and_saveexec_b64 s[16:17], s[12:13]
	s_cbranch_execnz .LBB98_1208
; %bb.847:
	s_or_b64 exec, exec, s[16:17]
	s_and_saveexec_b64 s[12:13], s[8:9]
	s_cbranch_execnz .LBB98_1209
.LBB98_848:
	s_or_b64 exec, exec, s[12:13]
	v_cmp_gt_u32_e64 s[12:13], 48, v5
	s_and_saveexec_b64 s[16:17], s[12:13]
	s_cbranch_execnz .LBB98_1210
.LBB98_849:
	s_or_b64 exec, exec, s[16:17]
	v_cmp_gt_u32_e64 s[12:13], 32, v5
	s_and_saveexec_b64 s[16:17], s[12:13]
	s_cbranch_execnz .LBB98_1211
.LBB98_850:
	s_or_b64 exec, exec, s[16:17]
	v_cmp_gt_u32_e64 s[12:13], 16, v5
	s_and_saveexec_b64 s[16:17], s[12:13]
	s_cbranch_execz .LBB98_852
.LBB98_851:
	v_lshlrev_b32_e32 v21, 2, v0
	v_mov_b32_e32 v22, 0
	ds_read_b32 v21, v21 offset:7936
	ds_read_b32 v22, v22 offset:8060
	s_waitcnt lgkmcnt(0)
	v_fmac_f32_e32 v20, v21, v22
.LBB98_852:
	s_or_b64 exec, exec, s[16:17]
.LBB98_853:
	s_or_b64 exec, exec, s[14:15]
	s_mov_b64 s[12:13], exec
	v_readlane_b32 s14, v28, 3
	v_readlane_b32 s15, v28, 4
	s_and_b64 s[14:15], s[12:13], s[14:15]
	s_mov_b64 exec, s[14:15]
; %bb.854:
	v_xor_b32_e32 v21, 0x80000000, v20
	ds_write_b32 v19, v21
; %bb.855:
	s_or_b64 exec, exec, s[12:13]
	s_waitcnt lgkmcnt(0)
	s_barrier
	s_mov_b64 s[12:13], exec
	v_readlane_b32 s14, v28, 5
	v_readlane_b32 s15, v28, 6
	s_and_b64 s[14:15], s[12:13], s[14:15]
	s_mov_b64 exec, s[14:15]
	s_cbranch_execz .LBB98_857
; %bb.856:
	v_lshlrev_b32_e32 v21, 2, v17
	ds_read_b32 v21, v21 offset:3840
	ds_read_b32 v22, v19
	s_waitcnt lgkmcnt(0)
	v_fma_f32 v20, -v21, v22, v20
.LBB98_857:
	s_or_b64 exec, exec, s[12:13]
	s_barrier
	s_mov_b64 s[12:13], exec
	v_readlane_b32 s14, v28, 7
	v_readlane_b32 s15, v28, 8
	s_and_b64 s[14:15], s[12:13], s[14:15]
	s_mov_b64 exec, s[14:15]
; %bb.858:
	v_xor_b32_e32 v21, 0x80000000, v20
	ds_write_b32 v19, v21
; %bb.859:
	s_or_b64 exec, exec, s[12:13]
	s_waitcnt lgkmcnt(0)
	s_barrier
	s_mov_b64 s[12:13], exec
	v_readlane_b32 s14, v28, 9
	v_readlane_b32 s15, v28, 10
	s_and_b64 s[14:15], s[12:13], s[14:15]
	s_mov_b64 exec, s[14:15]
	s_cbranch_execz .LBB98_861
; %bb.860:
	v_lshlrev_b32_e32 v21, 2, v17
	ds_read_b32 v21, v21 offset:3584
	ds_read_b32 v22, v19
	s_waitcnt lgkmcnt(0)
	v_fma_f32 v20, -v21, v22, v20
.LBB98_861:
	s_or_b64 exec, exec, s[12:13]
	s_barrier
	;; [unrolled: 27-line block ×13, first 2 shown]
	s_mov_b64 s[12:13], exec
	v_readlane_b32 s14, v28, 55
	v_readlane_b32 s15, v28, 56
	s_and_b64 s[14:15], s[12:13], s[14:15]
	s_mov_b64 exec, s[14:15]
; %bb.906:
	v_xor_b32_e32 v21, 0x80000000, v20
	ds_write_b32 v19, v21
; %bb.907:
	s_or_b64 exec, exec, s[12:13]
	s_waitcnt lgkmcnt(0)
	s_barrier
	s_and_saveexec_b64 s[12:13], s[0:1]
	s_cbranch_execz .LBB98_909
; %bb.908:
	v_lshlrev_b32_e32 v21, 2, v17
	ds_read_b32 v21, v21 offset:512
	ds_read_b32 v22, v19
	s_waitcnt lgkmcnt(0)
	v_fma_f32 v20, -v21, v22, v20
.LBB98_909:
	s_or_b64 exec, exec, s[12:13]
	s_barrier
	s_mov_b64 s[0:1], exec
	v_readlane_b32 s12, v28, 57
	v_readlane_b32 s13, v28, 58
	s_and_b64 s[12:13], s[0:1], s[12:13]
	s_mov_b64 exec, s[12:13]
; %bb.910:
	v_xor_b32_e32 v21, 0x80000000, v20
	ds_write_b32 v19, v21
; %bb.911:
	s_or_b64 exec, exec, s[0:1]
	s_waitcnt lgkmcnt(0)
	s_barrier
	s_and_saveexec_b64 s[0:1], s[92:93]
	s_cbranch_execz .LBB98_913
; %bb.912:
	v_mov_b32_e32 v21, 0
	ds_read_b32 v21, v21 offset:256
	ds_read_b32 v22, v19
	s_waitcnt lgkmcnt(0)
	v_fma_f32 v20, -v21, v22, v20
.LBB98_913:
	s_or_b64 exec, exec, s[0:1]
	s_barrier
	s_and_saveexec_b64 s[0:1], s[92:93]
; %bb.914:
	v_xor_b32_e32 v21, 0x80000000, v20
	ds_write_b32 v19, v21
; %bb.915:
	s_or_b64 exec, exec, s[0:1]
	s_waitcnt lgkmcnt(0)
	s_barrier
	s_barrier
	s_and_saveexec_b64 s[0:1], s[10:11]
; %bb.916:
	v_lshlrev_b32_e32 v17, 2, v17
	v_lshl_or_b32 v17, v18, 8, v17
	ds_write_b32 v17, v20 offset:4096
; %bb.917:
	s_or_b64 exec, exec, s[0:1]
	s_waitcnt lgkmcnt(0)
	s_barrier
	s_barrier
	s_and_saveexec_b64 s[0:1], s[88:89]
	s_cbranch_execz .LBB98_919
; %bb.918:
	v_lshlrev_b32_e32 v17, 8, v0
	ds_read_b32 v18, v17 offset:4096
	s_movk_i32 s10, 0xff04
	v_mad_i32_i24 v19, v0, s10, v17
	s_waitcnt lgkmcnt(0)
	ds_write_b32 v19, v18 offset:64
	ds_read_b32 v18, v17 offset:4100
	s_waitcnt lgkmcnt(0)
	ds_write_b32 v19, v18 offset:320
	ds_read_b32 v18, v17 offset:4104
	;; [unrolled: 3-line block ×15, first 2 shown]
	s_waitcnt lgkmcnt(0)
	ds_write_b32 v19, v17 offset:3904
.LBB98_919:
	s_or_b64 exec, exec, s[0:1]
	s_waitcnt lgkmcnt(0)
	s_barrier
	s_and_saveexec_b64 s[0:1], vcc
	s_cbranch_execz .LBB98_921
; %bb.920:
	v_mov_b32_e32 v19, 0
	ds_read_b32 v18, v19 offset:3896
	v_mov_b32_e32 v17, 1.0
	ds_write_b32 v19, v17 offset:3900
	s_waitcnt lgkmcnt(1)
	ds_write_b64 v19, v[17:18] offset:3640
.LBB98_921:
	s_or_b64 exec, exec, s[0:1]
	v_mov_b32_e32 v17, 0
	s_waitcnt lgkmcnt(0)
	s_barrier
	buffer_wbinvl1_vol
	s_and_saveexec_b64 s[0:1], s[2:3]
	s_cbranch_execz .LBB98_925
; %bb.922:
	v_lshlrev_b32_e32 v17, 8, v3
	v_lshlrev_b32_e32 v18, 2, v2
	ds_read_b32 v19, v18 offset:3632
	ds_read_b32 v17, v17 offset:3640
	v_mov_b32_e32 v18, 0
	v_cmp_gt_u32_e64 s[10:11], 2, v5
	s_waitcnt lgkmcnt(0)
	v_fma_f32 v17, v19, v17, 0
	s_and_saveexec_b64 s[12:13], s[10:11]
	s_cbranch_execz .LBB98_924
; %bb.923:
	v_lshlrev_b32_e32 v19, 2, v0
	ds_read_b32 v19, v19 offset:3888
	ds_read_b32 v18, v18 offset:3900
	s_waitcnt lgkmcnt(0)
	v_fmac_f32_e32 v17, v19, v18
.LBB98_924:
	s_or_b64 exec, exec, s[12:13]
.LBB98_925:
	s_or_b64 exec, exec, s[0:1]
	s_and_saveexec_b64 s[0:1], s[38:39]
; %bb.926:
	v_xor_b32_e32 v18, 0x80000000, v17
	ds_write_b32 v4, v18
; %bb.927:
	s_or_b64 exec, exec, s[0:1]
	s_waitcnt lgkmcnt(0)
	s_barrier
	s_and_saveexec_b64 s[0:1], s[36:37]
	s_cbranch_execz .LBB98_929
; %bb.928:
	v_mov_b32_e32 v18, 0
	ds_read_b32 v18, v18 offset:3376
	ds_read_b32 v19, v4
	s_waitcnt lgkmcnt(0)
	v_fma_f32 v17, -v18, v19, v17
.LBB98_929:
	s_or_b64 exec, exec, s[0:1]
	s_barrier
	s_and_saveexec_b64 s[0:1], s[36:37]
; %bb.930:
	v_xor_b32_e32 v18, 0x80000000, v17
	ds_write_b32 v4, v18
; %bb.931:
	s_or_b64 exec, exec, s[0:1]
	s_waitcnt lgkmcnt(0)
	s_barrier
	s_barrier
	s_and_saveexec_b64 s[0:1], s[2:3]
; %bb.932:
	v_lshlrev_b32_e32 v18, 2, v2
	v_lshl_or_b32 v18, v3, 8, v18
	ds_write_b32 v18, v17 offset:3632
; %bb.933:
	s_or_b64 exec, exec, s[0:1]
	s_waitcnt lgkmcnt(0)
	s_barrier
	s_barrier
	s_and_saveexec_b64 s[0:1], s[40:41]
	s_cbranch_execz .LBB98_935
; %bb.934:
	v_lshlrev_b32_e32 v17, 2, v0
	s_movk_i32 s10, 0xfc
	v_mad_u32_u24 v18, v0, s10, v17
	ds_read_b32 v19, v18 offset:3632
	s_waitcnt lgkmcnt(0)
	ds_write_b32 v17, v19 offset:3128
	ds_read_b32 v18, v18 offset:3636
	s_waitcnt lgkmcnt(0)
	ds_write_b32 v17, v18 offset:3384
.LBB98_935:
	s_or_b64 exec, exec, s[0:1]
	s_waitcnt lgkmcnt(0)
	s_barrier
	s_and_saveexec_b64 s[0:1], vcc
	s_cbranch_execz .LBB98_937
; %bb.936:
	v_mov_b32_e32 v19, 0
	ds_read_b32 v18, v19 offset:3376
	v_mov_b32_e32 v17, 1.0
	ds_write_b32 v19, v17 offset:3380
	s_waitcnt lgkmcnt(1)
	ds_write_b64 v19, v[17:18] offset:3120
.LBB98_937:
	s_or_b64 exec, exec, s[0:1]
	v_mov_b32_e32 v17, 0
	s_waitcnt lgkmcnt(0)
	s_barrier
	buffer_wbinvl1_vol
	s_and_saveexec_b64 s[0:1], s[18:19]
	s_cbranch_execz .LBB98_943
; %bb.938:
	v_lshlrev_b32_e32 v19, 2, v11
	v_lshlrev_b32_e32 v18, 8, v12
	ds_read_b32 v17, v19 offset:3104
	ds_read_b32 v20, v18 offset:3120
	v_cmp_gt_u32_e64 s[10:11], 12, v5
	s_waitcnt lgkmcnt(0)
	v_fma_f32 v17, v17, v20, 0
	s_and_saveexec_b64 s[12:13], s[10:11]
	s_cbranch_execnz .LBB98_1212
; %bb.939:
	s_or_b64 exec, exec, s[12:13]
	v_cmp_gt_u32_e64 s[10:11], 8, v5
	s_and_saveexec_b64 s[12:13], s[10:11]
	s_cbranch_execnz .LBB98_1213
.LBB98_940:
	s_or_b64 exec, exec, s[12:13]
	v_cmp_gt_u32_e64 s[10:11], 4, v5
	s_and_saveexec_b64 s[12:13], s[10:11]
	s_cbranch_execz .LBB98_942
.LBB98_941:
	v_lshlrev_b32_e32 v18, 2, v0
	v_mov_b32_e32 v19, 0
	ds_read_b32 v18, v18 offset:3872
	ds_read_b32 v19, v19 offset:3900
	s_waitcnt lgkmcnt(0)
	v_fmac_f32_e32 v17, v18, v19
.LBB98_942:
	s_or_b64 exec, exec, s[12:13]
.LBB98_943:
	s_or_b64 exec, exec, s[0:1]
	s_and_saveexec_b64 s[0:1], s[44:45]
; %bb.944:
	v_xor_b32_e32 v18, 0x80000000, v17
	ds_write_b32 v13, v18
; %bb.945:
	s_or_b64 exec, exec, s[0:1]
	s_waitcnt lgkmcnt(0)
	s_barrier
	s_and_saveexec_b64 s[0:1], s[46:47]
	s_cbranch_execz .LBB98_947
; %bb.946:
	v_lshlrev_b32_e32 v18, 2, v11
	ds_read_b32 v18, v18 offset:2848
	ds_read_b32 v19, v13
	s_waitcnt lgkmcnt(0)
	v_fma_f32 v17, -v18, v19, v17
.LBB98_947:
	s_or_b64 exec, exec, s[0:1]
	s_barrier
	s_and_saveexec_b64 s[0:1], s[48:49]
; %bb.948:
	v_xor_b32_e32 v18, 0x80000000, v17
	ds_write_b32 v13, v18
; %bb.949:
	s_or_b64 exec, exec, s[0:1]
	s_waitcnt lgkmcnt(0)
	s_barrier
	s_and_saveexec_b64 s[0:1], s[50:51]
	s_cbranch_execz .LBB98_951
; %bb.950:
	v_lshlrev_b32_e32 v18, 2, v11
	ds_read_b32 v18, v18 offset:2592
	ds_read_b32 v19, v13
	s_waitcnt lgkmcnt(0)
	v_fma_f32 v17, -v18, v19, v17
.LBB98_951:
	s_or_b64 exec, exec, s[0:1]
	s_barrier
	s_and_saveexec_b64 s[0:1], s[52:53]
; %bb.952:
	v_xor_b32_e32 v18, 0x80000000, v17
	ds_write_b32 v13, v18
; %bb.953:
	s_or_b64 exec, exec, s[0:1]
	s_waitcnt lgkmcnt(0)
	s_barrier
	s_and_saveexec_b64 s[0:1], s[42:43]
	s_cbranch_execz .LBB98_955
; %bb.954:
	v_mov_b32_e32 v18, 0
	ds_read_b32 v18, v18 offset:2336
	ds_read_b32 v19, v13
	s_waitcnt lgkmcnt(0)
	v_fma_f32 v17, -v18, v19, v17
.LBB98_955:
	s_or_b64 exec, exec, s[0:1]
	s_barrier
	s_and_saveexec_b64 s[0:1], s[42:43]
; %bb.956:
	v_xor_b32_e32 v18, 0x80000000, v17
	ds_write_b32 v13, v18
; %bb.957:
	s_or_b64 exec, exec, s[0:1]
	s_waitcnt lgkmcnt(0)
	s_barrier
	s_barrier
	s_and_saveexec_b64 s[0:1], s[18:19]
; %bb.958:
	v_lshlrev_b32_e32 v18, 2, v11
	v_lshl_or_b32 v18, v12, 8, v18
	ds_write_b32 v18, v17 offset:3104
; %bb.959:
	s_or_b64 exec, exec, s[0:1]
	s_waitcnt lgkmcnt(0)
	s_barrier
	s_barrier
	s_and_saveexec_b64 s[0:1], s[54:55]
	s_cbranch_execz .LBB98_961
; %bb.960:
	v_lshlrev_b32_e32 v17, 8, v0
	ds_read_b32 v18, v17 offset:3104
	s_movk_i32 s10, 0xff04
	v_mad_i32_i24 v19, v0, s10, v17
	s_waitcnt lgkmcnt(0)
	ds_write_b32 v19, v18 offset:2096
	ds_read_b32 v18, v17 offset:3108
	s_waitcnt lgkmcnt(0)
	ds_write_b32 v19, v18 offset:2352
	ds_read_b32 v18, v17 offset:3112
	;; [unrolled: 3-line block ×3, first 2 shown]
	s_waitcnt lgkmcnt(0)
	ds_write_b32 v19, v17 offset:2864
.LBB98_961:
	s_or_b64 exec, exec, s[0:1]
	s_waitcnt lgkmcnt(0)
	s_barrier
	s_and_saveexec_b64 s[0:1], vcc
	s_cbranch_execz .LBB98_963
; %bb.962:
	v_mov_b32_e32 v19, 0
	ds_read_b32 v18, v19 offset:2856
	v_mov_b32_e32 v17, 1.0
	ds_write_b32 v19, v17 offset:2860
	s_waitcnt lgkmcnt(1)
	ds_write_b64 v19, v[17:18] offset:2600
.LBB98_963:
	s_or_b64 exec, exec, s[0:1]
	v_mov_b32_e32 v17, 0
	s_waitcnt lgkmcnt(0)
	s_barrier
	buffer_wbinvl1_vol
	s_and_saveexec_b64 s[0:1], s[2:3]
	s_cbranch_execz .LBB98_967
; %bb.964:
	v_lshlrev_b32_e32 v17, 8, v3
	v_lshlrev_b32_e32 v18, 2, v2
	ds_read_b32 v19, v18 offset:2592
	ds_read_b32 v17, v17 offset:2600
	v_mov_b32_e32 v18, 0
	v_cmp_gt_u32_e64 s[10:11], 2, v5
	s_waitcnt lgkmcnt(0)
	v_fma_f32 v17, v19, v17, 0
	s_and_saveexec_b64 s[12:13], s[10:11]
	s_cbranch_execz .LBB98_966
; %bb.965:
	v_lshlrev_b32_e32 v19, 2, v0
	ds_read_b32 v19, v19 offset:2848
	ds_read_b32 v18, v18 offset:2860
	s_waitcnt lgkmcnt(0)
	v_fmac_f32_e32 v17, v19, v18
.LBB98_966:
	s_or_b64 exec, exec, s[12:13]
.LBB98_967:
	s_or_b64 exec, exec, s[0:1]
	s_and_saveexec_b64 s[0:1], s[38:39]
; %bb.968:
	v_xor_b32_e32 v18, 0x80000000, v17
	ds_write_b32 v4, v18
; %bb.969:
	s_or_b64 exec, exec, s[0:1]
	s_waitcnt lgkmcnt(0)
	s_barrier
	s_and_saveexec_b64 s[0:1], s[36:37]
	s_cbranch_execz .LBB98_971
; %bb.970:
	v_mov_b32_e32 v18, 0
	ds_read_b32 v18, v18 offset:2336
	ds_read_b32 v19, v4
	s_waitcnt lgkmcnt(0)
	v_fma_f32 v17, -v18, v19, v17
.LBB98_971:
	s_or_b64 exec, exec, s[0:1]
	s_barrier
	s_and_saveexec_b64 s[0:1], s[36:37]
; %bb.972:
	v_xor_b32_e32 v18, 0x80000000, v17
	ds_write_b32 v4, v18
; %bb.973:
	s_or_b64 exec, exec, s[0:1]
	s_waitcnt lgkmcnt(0)
	s_barrier
	s_barrier
	s_and_saveexec_b64 s[0:1], s[2:3]
; %bb.974:
	v_lshlrev_b32_e32 v18, 2, v2
	v_lshl_or_b32 v18, v3, 8, v18
	ds_write_b32 v18, v17 offset:2592
; %bb.975:
	s_or_b64 exec, exec, s[0:1]
	s_waitcnt lgkmcnt(0)
	s_barrier
	s_barrier
	s_and_saveexec_b64 s[0:1], s[40:41]
	s_cbranch_execz .LBB98_977
; %bb.976:
	v_lshlrev_b32_e32 v17, 2, v0
	s_movk_i32 s10, 0xfc
	v_mad_u32_u24 v18, v0, s10, v17
	ds_read_b32 v19, v18 offset:2592
	s_waitcnt lgkmcnt(0)
	ds_write_b32 v17, v19 offset:2088
	ds_read_b32 v18, v18 offset:2596
	s_waitcnt lgkmcnt(0)
	ds_write_b32 v17, v18 offset:2344
.LBB98_977:
	s_or_b64 exec, exec, s[0:1]
	s_waitcnt lgkmcnt(0)
	s_barrier
	s_and_saveexec_b64 s[0:1], vcc
	s_cbranch_execz .LBB98_979
; %bb.978:
	v_mov_b32_e32 v19, 0
	ds_read_b32 v18, v19 offset:2336
	v_mov_b32_e32 v17, 1.0
	ds_write_b32 v19, v17 offset:2340
	s_waitcnt lgkmcnt(1)
	ds_write_b64 v19, v[17:18] offset:2080
.LBB98_979:
	s_or_b64 exec, exec, s[0:1]
	v_mov_b32_e32 v17, 0
	s_waitcnt lgkmcnt(0)
	s_barrier
	buffer_wbinvl1_vol
	s_and_saveexec_b64 s[0:1], s[8:9]
	s_cbranch_execz .LBB98_989
; %bb.980:
	v_lshlrev_b32_e32 v19, 2, v14
	v_lshlrev_b32_e32 v18, 8, v15
	ds_read_b32 v17, v19 offset:2048
	ds_read_b32 v20, v18 offset:2080
	v_cmp_gt_u32_e64 s[10:11], 56, v5
	s_waitcnt lgkmcnt(0)
	v_fma_f32 v17, v17, v20, 0
	s_and_saveexec_b64 s[12:13], s[10:11]
	s_cbranch_execnz .LBB98_1214
; %bb.981:
	s_or_b64 exec, exec, s[12:13]
	v_cmp_gt_u32_e64 s[10:11], 48, v5
	s_and_saveexec_b64 s[12:13], s[10:11]
	s_cbranch_execnz .LBB98_1215
.LBB98_982:
	s_or_b64 exec, exec, s[12:13]
	v_cmp_gt_u32_e64 s[10:11], 40, v5
	s_and_saveexec_b64 s[12:13], s[10:11]
	s_cbranch_execnz .LBB98_1216
.LBB98_983:
	s_or_b64 exec, exec, s[12:13]
	v_cmp_gt_u32_e64 s[10:11], 32, v5
	s_and_saveexec_b64 s[12:13], s[10:11]
	s_cbranch_execnz .LBB98_1217
.LBB98_984:
	s_or_b64 exec, exec, s[12:13]
	v_cmp_gt_u32_e64 s[10:11], 24, v5
	s_and_saveexec_b64 s[12:13], s[10:11]
	s_cbranch_execnz .LBB98_1218
.LBB98_985:
	s_or_b64 exec, exec, s[12:13]
	s_and_saveexec_b64 s[10:11], s[18:19]
	s_cbranch_execnz .LBB98_1219
.LBB98_986:
	s_or_b64 exec, exec, s[10:11]
	v_cmp_gt_u32_e64 s[10:11], 8, v5
	s_and_saveexec_b64 s[12:13], s[10:11]
	s_cbranch_execz .LBB98_988
.LBB98_987:
	v_lshlrev_b32_e32 v18, 2, v0
	v_mov_b32_e32 v19, 0
	ds_read_b32 v18, v18 offset:3840
	ds_read_b32 v19, v19 offset:3900
	s_waitcnt lgkmcnt(0)
	v_fmac_f32_e32 v17, v18, v19
.LBB98_988:
	s_or_b64 exec, exec, s[12:13]
.LBB98_989:
	s_or_b64 exec, exec, s[0:1]
	s_and_saveexec_b64 s[0:1], s[56:57]
; %bb.990:
	v_xor_b32_e32 v18, 0x80000000, v17
	ds_write_b32 v16, v18
; %bb.991:
	s_or_b64 exec, exec, s[0:1]
	s_waitcnt lgkmcnt(0)
	s_barrier
	s_and_saveexec_b64 s[0:1], s[58:59]
	s_cbranch_execz .LBB98_993
; %bb.992:
	v_lshlrev_b32_e32 v18, 2, v14
	ds_read_b32 v18, v18 offset:1792
	ds_read_b32 v19, v16
	s_waitcnt lgkmcnt(0)
	v_fma_f32 v17, -v18, v19, v17
.LBB98_993:
	s_or_b64 exec, exec, s[0:1]
	s_barrier
	s_and_saveexec_b64 s[0:1], s[60:61]
; %bb.994:
	v_xor_b32_e32 v18, 0x80000000, v17
	ds_write_b32 v16, v18
; %bb.995:
	s_or_b64 exec, exec, s[0:1]
	s_waitcnt lgkmcnt(0)
	s_barrier
	s_and_saveexec_b64 s[0:1], s[62:63]
	s_cbranch_execz .LBB98_997
; %bb.996:
	v_lshlrev_b32_e32 v18, 2, v14
	ds_read_b32 v18, v18 offset:1536
	ds_read_b32 v19, v16
	s_waitcnt lgkmcnt(0)
	v_fma_f32 v17, -v18, v19, v17
.LBB98_997:
	s_or_b64 exec, exec, s[0:1]
	s_barrier
	;; [unrolled: 19-line block ×6, first 2 shown]
	s_and_saveexec_b64 s[0:1], s[82:83]
; %bb.1014:
	v_xor_b32_e32 v18, 0x80000000, v17
	ds_write_b32 v16, v18
; %bb.1015:
	s_or_b64 exec, exec, s[0:1]
	s_waitcnt lgkmcnt(0)
	s_barrier
	s_and_saveexec_b64 s[0:1], s[66:67]
	s_cbranch_execz .LBB98_1017
; %bb.1016:
	v_mov_b32_e32 v18, 0
	ds_read_b32 v18, v18 offset:256
	ds_read_b32 v19, v16
	s_waitcnt lgkmcnt(0)
	v_fma_f32 v17, -v18, v19, v17
.LBB98_1017:
	s_or_b64 exec, exec, s[0:1]
	s_barrier
	s_and_saveexec_b64 s[0:1], s[66:67]
; %bb.1018:
	v_xor_b32_e32 v18, 0x80000000, v17
	ds_write_b32 v16, v18
; %bb.1019:
	s_or_b64 exec, exec, s[0:1]
	s_waitcnt lgkmcnt(0)
	s_barrier
	s_barrier
	s_and_saveexec_b64 s[0:1], s[8:9]
; %bb.1020:
	v_lshlrev_b32_e32 v14, 2, v14
	v_lshl_or_b32 v14, v15, 8, v14
	ds_write_b32 v14, v17 offset:2048
; %bb.1021:
	s_or_b64 exec, exec, s[0:1]
	s_waitcnt lgkmcnt(0)
	s_barrier
	s_barrier
	s_and_saveexec_b64 s[0:1], s[84:85]
	s_cbranch_execz .LBB98_1023
; %bb.1022:
	v_lshlrev_b32_e32 v14, 8, v0
	ds_read_b32 v15, v14 offset:2048
	s_movk_i32 s8, 0xff04
	v_mad_i32_i24 v16, v0, s8, v14
	s_waitcnt lgkmcnt(0)
	ds_write_b32 v16, v15 offset:32
	ds_read_b32 v15, v14 offset:2052
	s_waitcnt lgkmcnt(0)
	ds_write_b32 v16, v15 offset:288
	ds_read_b32 v15, v14 offset:2056
	;; [unrolled: 3-line block ×7, first 2 shown]
	s_waitcnt lgkmcnt(0)
	ds_write_b32 v16, v14 offset:1824
.LBB98_1023:
	s_or_b64 exec, exec, s[0:1]
	s_waitcnt lgkmcnt(0)
	s_barrier
	s_and_saveexec_b64 s[0:1], vcc
	s_cbranch_execz .LBB98_1025
; %bb.1024:
	v_mov_b32_e32 v16, 0
	ds_read_b32 v15, v16 offset:1816
	v_mov_b32_e32 v14, 1.0
	ds_write_b32 v16, v14 offset:1820
	s_waitcnt lgkmcnt(1)
	ds_write_b64 v16, v[14:15] offset:1560
.LBB98_1025:
	s_or_b64 exec, exec, s[0:1]
	v_mov_b32_e32 v14, 0
	s_waitcnt lgkmcnt(0)
	s_barrier
	buffer_wbinvl1_vol
	s_and_saveexec_b64 s[0:1], s[2:3]
	s_cbranch_execz .LBB98_1029
; %bb.1026:
	v_lshlrev_b32_e32 v14, 8, v3
	v_lshlrev_b32_e32 v15, 2, v2
	ds_read_b32 v16, v15 offset:1552
	ds_read_b32 v14, v14 offset:1560
	v_mov_b32_e32 v15, 0
	v_cmp_gt_u32_e64 s[8:9], 2, v5
	s_waitcnt lgkmcnt(0)
	v_fma_f32 v14, v16, v14, 0
	s_and_saveexec_b64 s[10:11], s[8:9]
	s_cbranch_execz .LBB98_1028
; %bb.1027:
	v_lshlrev_b32_e32 v16, 2, v0
	ds_read_b32 v16, v16 offset:1808
	ds_read_b32 v15, v15 offset:1820
	s_waitcnt lgkmcnt(0)
	v_fmac_f32_e32 v14, v16, v15
.LBB98_1028:
	s_or_b64 exec, exec, s[10:11]
.LBB98_1029:
	s_or_b64 exec, exec, s[0:1]
	s_and_saveexec_b64 s[0:1], s[38:39]
; %bb.1030:
	v_xor_b32_e32 v15, 0x80000000, v14
	ds_write_b32 v4, v15
; %bb.1031:
	s_or_b64 exec, exec, s[0:1]
	s_waitcnt lgkmcnt(0)
	s_barrier
	s_and_saveexec_b64 s[0:1], s[36:37]
	s_cbranch_execz .LBB98_1033
; %bb.1032:
	v_mov_b32_e32 v15, 0
	ds_read_b32 v15, v15 offset:1296
	ds_read_b32 v16, v4
	s_waitcnt lgkmcnt(0)
	v_fma_f32 v14, -v15, v16, v14
.LBB98_1033:
	s_or_b64 exec, exec, s[0:1]
	s_barrier
	s_and_saveexec_b64 s[0:1], s[36:37]
; %bb.1034:
	v_xor_b32_e32 v15, 0x80000000, v14
	ds_write_b32 v4, v15
; %bb.1035:
	s_or_b64 exec, exec, s[0:1]
	s_waitcnt lgkmcnt(0)
	s_barrier
	s_barrier
	s_and_saveexec_b64 s[0:1], s[2:3]
; %bb.1036:
	v_lshlrev_b32_e32 v15, 2, v2
	v_lshl_or_b32 v15, v3, 8, v15
	ds_write_b32 v15, v14 offset:1552
; %bb.1037:
	s_or_b64 exec, exec, s[0:1]
	s_waitcnt lgkmcnt(0)
	s_barrier
	s_barrier
	s_and_saveexec_b64 s[0:1], s[40:41]
	s_cbranch_execz .LBB98_1039
; %bb.1038:
	v_lshlrev_b32_e32 v14, 2, v0
	s_movk_i32 s8, 0xfc
	v_mad_u32_u24 v15, v0, s8, v14
	ds_read_b32 v16, v15 offset:1552
	s_waitcnt lgkmcnt(0)
	ds_write_b32 v14, v16 offset:1048
	ds_read_b32 v15, v15 offset:1556
	s_waitcnt lgkmcnt(0)
	ds_write_b32 v14, v15 offset:1304
.LBB98_1039:
	s_or_b64 exec, exec, s[0:1]
	s_waitcnt lgkmcnt(0)
	s_barrier
	s_and_saveexec_b64 s[0:1], vcc
	s_cbranch_execz .LBB98_1041
; %bb.1040:
	v_mov_b32_e32 v16, 0
	ds_read_b32 v15, v16 offset:1296
	v_mov_b32_e32 v14, 1.0
	ds_write_b32 v16, v14 offset:1300
	s_waitcnt lgkmcnt(1)
	ds_write_b64 v16, v[14:15] offset:1040
.LBB98_1041:
	s_or_b64 exec, exec, s[0:1]
	v_mov_b32_e32 v14, 0
	s_waitcnt lgkmcnt(0)
	s_barrier
	buffer_wbinvl1_vol
	s_and_saveexec_b64 s[0:1], s[18:19]
	s_cbranch_execz .LBB98_1047
; %bb.1042:
	v_lshlrev_b32_e32 v16, 2, v11
	v_lshlrev_b32_e32 v15, 8, v12
	ds_read_b32 v14, v16 offset:1024
	ds_read_b32 v17, v15 offset:1040
	v_cmp_gt_u32_e64 s[8:9], 12, v5
	s_waitcnt lgkmcnt(0)
	v_fma_f32 v14, v14, v17, 0
	s_and_saveexec_b64 s[10:11], s[8:9]
	s_cbranch_execnz .LBB98_1220
; %bb.1043:
	s_or_b64 exec, exec, s[10:11]
	v_cmp_gt_u32_e64 s[8:9], 8, v5
	s_and_saveexec_b64 s[10:11], s[8:9]
	s_cbranch_execnz .LBB98_1221
.LBB98_1044:
	s_or_b64 exec, exec, s[10:11]
	v_cmp_gt_u32_e64 s[8:9], 4, v5
	s_and_saveexec_b64 s[10:11], s[8:9]
	s_cbranch_execz .LBB98_1046
.LBB98_1045:
	v_lshlrev_b32_e32 v15, 2, v0
	v_mov_b32_e32 v16, 0
	ds_read_b32 v15, v15 offset:1792
	ds_read_b32 v16, v16 offset:1820
	s_waitcnt lgkmcnt(0)
	v_fmac_f32_e32 v14, v15, v16
.LBB98_1046:
	s_or_b64 exec, exec, s[10:11]
.LBB98_1047:
	s_or_b64 exec, exec, s[0:1]
	s_and_saveexec_b64 s[0:1], s[44:45]
; %bb.1048:
	v_xor_b32_e32 v15, 0x80000000, v14
	ds_write_b32 v13, v15
; %bb.1049:
	s_or_b64 exec, exec, s[0:1]
	s_waitcnt lgkmcnt(0)
	s_barrier
	s_and_saveexec_b64 s[0:1], s[46:47]
	s_load_dword s16, s[4:5], 0x6c
	v_readlane_b32 s44, v28, 0
	v_readlane_b32 s17, v28, 2
	;; [unrolled: 1-line block ×3, first 2 shown]
	s_cbranch_execz .LBB98_1051
; %bb.1050:
	v_lshlrev_b32_e32 v15, 2, v11
	ds_read_b32 v15, v15 offset:768
	ds_read_b32 v16, v13
	s_waitcnt lgkmcnt(0)
	v_fma_f32 v14, -v15, v16, v14
.LBB98_1051:
	s_or_b64 exec, exec, s[0:1]
	s_waitcnt lgkmcnt(0)
	s_barrier
	s_and_saveexec_b64 s[0:1], s[48:49]
; %bb.1052:
	v_xor_b32_e32 v15, 0x80000000, v14
	ds_write_b32 v13, v15
; %bb.1053:
	s_or_b64 exec, exec, s[0:1]
	s_waitcnt lgkmcnt(0)
	s_barrier
	s_and_saveexec_b64 s[0:1], s[50:51]
	s_cbranch_execz .LBB98_1055
; %bb.1054:
	v_lshlrev_b32_e32 v15, 2, v11
	ds_read_b32 v15, v15 offset:512
	ds_read_b32 v16, v13
	s_waitcnt lgkmcnt(0)
	v_fma_f32 v14, -v15, v16, v14
.LBB98_1055:
	s_or_b64 exec, exec, s[0:1]
	s_barrier
	s_and_saveexec_b64 s[0:1], s[52:53]
; %bb.1056:
	v_xor_b32_e32 v15, 0x80000000, v14
	ds_write_b32 v13, v15
; %bb.1057:
	s_or_b64 exec, exec, s[0:1]
	s_waitcnt lgkmcnt(0)
	s_barrier
	s_and_saveexec_b64 s[0:1], s[42:43]
	s_cbranch_execz .LBB98_1059
; %bb.1058:
	v_mov_b32_e32 v15, 0
	ds_read_b32 v15, v15 offset:256
	ds_read_b32 v16, v13
	s_waitcnt lgkmcnt(0)
	v_fma_f32 v14, -v15, v16, v14
.LBB98_1059:
	s_or_b64 exec, exec, s[0:1]
	s_barrier
	s_and_saveexec_b64 s[0:1], s[42:43]
; %bb.1060:
	v_xor_b32_e32 v15, 0x80000000, v14
	ds_write_b32 v13, v15
; %bb.1061:
	s_or_b64 exec, exec, s[0:1]
	s_waitcnt lgkmcnt(0)
	s_barrier
	s_barrier
	s_and_saveexec_b64 s[0:1], s[18:19]
; %bb.1062:
	v_lshlrev_b32_e32 v11, 2, v11
	v_lshl_or_b32 v11, v12, 8, v11
	ds_write_b32 v11, v14 offset:1024
; %bb.1063:
	s_or_b64 exec, exec, s[0:1]
	s_waitcnt lgkmcnt(0)
	s_barrier
	s_barrier
	s_and_saveexec_b64 s[0:1], s[54:55]
	s_cbranch_execz .LBB98_1065
; %bb.1064:
	v_lshlrev_b32_e32 v11, 8, v0
	ds_read_b32 v12, v11 offset:1024
	s_movk_i32 s8, 0xff04
	v_mad_i32_i24 v13, v0, s8, v11
	s_waitcnt lgkmcnt(0)
	ds_write_b32 v13, v12 offset:16
	ds_read_b32 v12, v11 offset:1028
	s_waitcnt lgkmcnt(0)
	ds_write_b32 v13, v12 offset:272
	ds_read_b32 v12, v11 offset:1032
	;; [unrolled: 3-line block ×3, first 2 shown]
	s_waitcnt lgkmcnt(0)
	ds_write_b32 v13, v11 offset:784
.LBB98_1065:
	s_or_b64 exec, exec, s[0:1]
	s_waitcnt lgkmcnt(0)
	s_barrier
	s_and_saveexec_b64 s[0:1], vcc
	s_cbranch_execz .LBB98_1067
; %bb.1066:
	v_mov_b32_e32 v13, 0
	ds_read_b32 v12, v13 offset:776
	v_mov_b32_e32 v11, 1.0
	ds_write_b32 v13, v11 offset:780
	s_waitcnt lgkmcnt(1)
	ds_write_b64 v13, v[11:12] offset:520
.LBB98_1067:
	s_or_b64 exec, exec, s[0:1]
	v_mov_b32_e32 v11, 0
	s_waitcnt lgkmcnt(0)
	s_barrier
	buffer_wbinvl1_vol
	s_and_saveexec_b64 s[0:1], s[2:3]
	s_cbranch_execz .LBB98_1071
; %bb.1068:
	v_lshlrev_b32_e32 v11, 8, v3
	v_lshlrev_b32_e32 v12, 2, v2
	ds_read_b32 v13, v12 offset:512
	ds_read_b32 v11, v11 offset:520
	v_mov_b32_e32 v12, 0
	v_cmp_gt_u32_e64 s[8:9], 2, v5
	s_waitcnt lgkmcnt(0)
	v_fma_f32 v11, v13, v11, 0
	s_and_saveexec_b64 s[10:11], s[8:9]
	s_cbranch_execz .LBB98_1070
; %bb.1069:
	v_lshlrev_b32_e32 v5, 2, v0
	ds_read_b32 v5, v5 offset:768
	ds_read_b32 v12, v12 offset:780
	s_waitcnt lgkmcnt(0)
	v_fmac_f32_e32 v11, v5, v12
.LBB98_1070:
	s_or_b64 exec, exec, s[10:11]
.LBB98_1071:
	s_or_b64 exec, exec, s[0:1]
	s_and_saveexec_b64 s[0:1], s[38:39]
; %bb.1072:
	v_xor_b32_e32 v5, 0x80000000, v11
	ds_write_b32 v4, v5
; %bb.1073:
	s_or_b64 exec, exec, s[0:1]
	s_waitcnt lgkmcnt(0)
	s_barrier
	s_and_saveexec_b64 s[0:1], s[36:37]
	s_cbranch_execz .LBB98_1075
; %bb.1074:
	v_mov_b32_e32 v5, 0
	ds_read_b32 v5, v5 offset:256
	ds_read_b32 v12, v4
	s_waitcnt lgkmcnt(0)
	v_fma_f32 v11, -v5, v12, v11
.LBB98_1075:
	s_or_b64 exec, exec, s[0:1]
	s_barrier
	s_and_saveexec_b64 s[0:1], s[36:37]
; %bb.1076:
	v_xor_b32_e32 v5, 0x80000000, v11
	ds_write_b32 v4, v5
; %bb.1077:
	s_or_b64 exec, exec, s[0:1]
	s_waitcnt lgkmcnt(0)
	s_barrier
	s_barrier
	s_and_saveexec_b64 s[0:1], s[2:3]
; %bb.1078:
	v_lshlrev_b32_e32 v2, 2, v2
	v_lshl_or_b32 v2, v3, 8, v2
	ds_write_b32 v2, v11 offset:512
; %bb.1079:
	s_or_b64 exec, exec, s[0:1]
	s_waitcnt lgkmcnt(0)
	s_barrier
	s_barrier
	s_and_saveexec_b64 s[0:1], s[40:41]
	s_cbranch_execz .LBB98_1081
; %bb.1080:
	v_lshlrev_b32_e32 v2, 2, v0
	s_movk_i32 s2, 0xfc
	v_mad_u32_u24 v3, v0, s2, v2
	ds_read_b32 v4, v3 offset:512
	s_waitcnt lgkmcnt(0)
	ds_write_b32 v2, v4 offset:8
	ds_read_b32 v3, v3 offset:516
	s_waitcnt lgkmcnt(0)
	ds_write_b32 v2, v3 offset:264
.LBB98_1081:
	s_or_b64 exec, exec, s[0:1]
	s_waitcnt lgkmcnt(0)
	s_barrier
	s_and_saveexec_b64 s[0:1], vcc
	s_cbranch_execz .LBB98_1083
; %bb.1082:
	v_mov_b32_e32 v4, 0
	ds_read_b32 v3, v4 offset:256
	v_mov_b32_e32 v2, 1.0
	ds_write_b32 v4, v2 offset:260
	s_waitcnt lgkmcnt(1)
	ds_write_b64 v4, v[2:3]
.LBB98_1083:
	s_or_b64 exec, exec, s[0:1]
.LBB98_1084:
	s_lshl_b64 s[0:1], s[24:25], 2
	s_add_u32 s20, s34, s0
	v_cmp_le_i32_e32 vcc, s7, v0
	s_addc_u32 s21, s35, s1
	s_and_b64 s[14:15], vcc, s[22:23]
	v_cmp_eq_u32_e64 s[2:3], 0, v1
	s_xor_b64 s[0:1], s[14:15], -1
	s_and_b64 s[8:9], s[2:3], s[0:1]
	v_mov_b32_e32 v12, 0
	v_lshl_add_u32 v2, s6, 6, v0
	s_waitcnt lgkmcnt(0)
	s_barrier
	s_and_saveexec_b64 s[0:1], s[8:9]
	s_cbranch_execz .LBB98_1086
; %bb.1085:
	v_ashrrev_i32_e32 v5, 31, v2
	v_mul_lo_u32 v11, s27, v2
	v_mad_u64_u32 v[3:4], s[8:9], s26, v2, 0
	v_mul_lo_u32 v5, s26, v5
	v_add3_u32 v4, v4, v5, v11
	v_lshlrev_b64 v[3:4], 2, v[3:4]
	v_mov_b32_e32 v5, s21
	v_add_co_u32_e32 v3, vcc, s20, v3
	v_addc_co_u32_e32 v4, vcc, v5, v4, vcc
	flat_load_dword v3, v[3:4]
	s_waitcnt vmcnt(0) lgkmcnt(0)
	v_mul_f32_e64 v12, v3, -s17
.LBB98_1086:
	s_or_b64 exec, exec, s[0:1]
	s_load_dwordx2 s[0:1], s[4:5], 0x50
	s_and_b32 s4, 0xffff, s16
	v_mad_u32_u24 v11, v1, s4, v0
	s_cmp_lt_i32 s6, 1
	v_cmp_eq_u32_e64 s[4:5], 0, v11
	s_cbranch_scc1 .LBB98_1112
; %bb.1087:
	v_mad_u64_u32 v[3:4], s[8:9], s30, v2, 0
	s_mov_b32 s24, 0
	v_cmp_gt_u32_e64 s[12:13], 64, v11
	v_mad_u64_u32 v[4:5], s[8:9], s31, v2, v[4:5]
	s_lshl_b64 s[8:9], s[28:29], 2
	s_waitcnt lgkmcnt(0)
	s_add_u32 s16, s0, s8
	s_addc_u32 s17, s1, s9
	v_cmp_gt_i32_e64 s[8:9], s33, v2
	v_lshlrev_b64 v[2:3], 2, v[3:4]
	v_mov_b32_e32 v5, 0x5000
	v_mov_b32_e32 v4, s87
	v_add_co_u32_e32 v15, vcc, s86, v2
	v_lshl_add_u32 v13, v11, 2, v5
	v_lshl_or_b32 v14, v1, 2, v5
	s_add_i32 s25, s6, -1
	v_addc_co_u32_e32 v16, vcc, v4, v3, vcc
	v_mov_b32_e32 v17, -1
	v_mov_b32_e32 v3, 0
	s_branch .LBB98_1090
.LBB98_1088:                            ;   in Loop: Header=BB98_1090 Depth=1
	ds_read_b32 v4, v14 offset:192
	s_waitcnt vmcnt(0) lgkmcnt(0)
	v_fmac_f32_e32 v12, v2, v4
.LBB98_1089:                            ;   in Loop: Header=BB98_1090 Depth=1
	s_or_b64 exec, exec, s[18:19]
	s_add_i32 s24, s24, 1
	s_cmp_eq_u32 s24, s6
	s_cbranch_scc1 .LBB98_1112
.LBB98_1090:                            ; =>This Loop Header: Depth=1
                                        ;     Child Loop BB98_1092 Depth 2
	v_cmp_gt_i32_e32 vcc, s24, v17
	s_and_b64 s[18:19], s[4:5], vcc
	s_and_saveexec_b64 s[10:11], s[18:19]
	s_cbranch_execz .LBB98_1093
; %bb.1091:                             ;   in Loop: Header=BB98_1090 Depth=1
	global_load_dword v17, v3, s[16:17]
	s_waitcnt vmcnt(0)
	v_cmp_le_i32_e32 vcc, s24, v17
	s_cbranch_vccnz .LBB98_1093
.LBB98_1092:                            ;   Parent Loop BB98_1090 Depth=1
                                        ; =>  This Inner Loop Header: Depth=2
	buffer_wbinvl1_vol
	global_load_dword v17, v3, s[16:17]
	s_waitcnt vmcnt(0)
	v_cmp_gt_i32_e32 vcc, s24, v17
	s_cbranch_vccnz .LBB98_1092
.LBB98_1093:                            ;   in Loop: Header=BB98_1090 Depth=1
	s_or_b64 exec, exec, s[10:11]
	s_lshl_b32 s30, s24, 6
	buffer_wbinvl1_vol
	s_barrier
	s_and_saveexec_b64 s[10:11], s[12:13]
	s_cbranch_execz .LBB98_1097
; %bb.1094:                             ;   in Loop: Header=BB98_1090 Depth=1
	v_or_b32_e32 v4, s30, v11
	v_cmp_gt_i32_e32 vcc, s33, v4
	v_mov_b32_e32 v2, 0
	s_and_saveexec_b64 s[18:19], vcc
	s_cbranch_execz .LBB98_1096
; %bb.1095:                             ;   in Loop: Header=BB98_1090 Depth=1
	v_mad_u64_u32 v[18:19], s[34:35], s26, v4, 0
	v_mov_b32_e32 v2, v19
	v_mad_u64_u32 v[4:5], s[34:35], s27, v4, v[2:3]
	v_mov_b32_e32 v2, s21
	v_mov_b32_e32 v19, v4
	v_lshlrev_b64 v[4:5], 2, v[18:19]
	v_add_co_u32_e32 v4, vcc, s20, v4
	v_addc_co_u32_e32 v5, vcc, v2, v5, vcc
	flat_load_dword v2, v[4:5]
.LBB98_1096:                            ;   in Loop: Header=BB98_1090 Depth=1
	s_or_b64 exec, exec, s[18:19]
	s_waitcnt vmcnt(0) lgkmcnt(0)
	ds_write_b32 v13, v2
.LBB98_1097:                            ;   in Loop: Header=BB98_1090 Depth=1
	s_or_b64 exec, exec, s[10:11]
	v_add_u32_e32 v2, s30, v1
	v_lshlrev_b64 v[4:5], 2, v[2:3]
	s_cmp_lg_u32 s24, s25
	v_add_co_u32_e32 v4, vcc, v15, v4
	s_cselect_b64 s[10:11], -1, 0
	v_addc_co_u32_e32 v5, vcc, v16, v5, vcc
	v_cmp_gt_i32_e32 vcc, s33, v2
	v_cndmask_b32_e64 v18, 0, 1, s[10:11]
	s_and_b64 s[30:31], vcc, s[8:9]
	v_cmp_ne_u32_e64 s[10:11], 1, v18
	s_waitcnt lgkmcnt(0)
	s_barrier
	s_and_saveexec_b64 s[18:19], s[30:31]
	s_cbranch_execz .LBB98_1101
; %bb.1098:                             ;   in Loop: Header=BB98_1090 Depth=1
	s_and_b64 vcc, exec, s[10:11]
	v_mov_b32_e32 v18, v8
	s_cbranch_vccnz .LBB98_1100
; %bb.1099:                             ;   in Loop: Header=BB98_1090 Depth=1
	flat_load_dword v18, v[4:5]
.LBB98_1100:                            ;   in Loop: Header=BB98_1090 Depth=1
	ds_read_b32 v19, v14
	s_waitcnt vmcnt(0) lgkmcnt(0)
	v_fmac_f32_e32 v12, v18, v19
.LBB98_1101:                            ;   in Loop: Header=BB98_1090 Depth=1
	s_or_b64 exec, exec, s[18:19]
	v_add_u32_e32 v18, 16, v2
	v_cmp_gt_i32_e32 vcc, s33, v18
	s_and_b64 s[30:31], vcc, s[8:9]
	s_and_saveexec_b64 s[18:19], s[30:31]
	s_cbranch_execz .LBB98_1105
; %bb.1102:                             ;   in Loop: Header=BB98_1090 Depth=1
	s_and_b64 vcc, exec, s[10:11]
	v_mov_b32_e32 v18, v7
	s_cbranch_vccnz .LBB98_1104
; %bb.1103:                             ;   in Loop: Header=BB98_1090 Depth=1
	flat_load_dword v18, v[4:5] offset:64
.LBB98_1104:                            ;   in Loop: Header=BB98_1090 Depth=1
	ds_read_b32 v19, v14 offset:64
	s_waitcnt vmcnt(0) lgkmcnt(0)
	v_fmac_f32_e32 v12, v18, v19
.LBB98_1105:                            ;   in Loop: Header=BB98_1090 Depth=1
	s_or_b64 exec, exec, s[18:19]
	v_add_u32_e32 v18, 32, v2
	v_cmp_gt_i32_e32 vcc, s33, v18
	s_and_b64 s[30:31], vcc, s[8:9]
	s_and_saveexec_b64 s[18:19], s[30:31]
	s_cbranch_execz .LBB98_1109
; %bb.1106:                             ;   in Loop: Header=BB98_1090 Depth=1
	s_and_b64 vcc, exec, s[10:11]
	v_mov_b32_e32 v18, v10
	s_cbranch_vccnz .LBB98_1108
; %bb.1107:                             ;   in Loop: Header=BB98_1090 Depth=1
	flat_load_dword v18, v[4:5] offset:128
.LBB98_1108:                            ;   in Loop: Header=BB98_1090 Depth=1
	ds_read_b32 v19, v14 offset:128
	s_waitcnt vmcnt(0) lgkmcnt(0)
	v_fmac_f32_e32 v12, v18, v19
.LBB98_1109:                            ;   in Loop: Header=BB98_1090 Depth=1
	s_or_b64 exec, exec, s[18:19]
	v_add_u32_e32 v2, 48, v2
	v_cmp_gt_i32_e32 vcc, s33, v2
	s_and_b64 s[30:31], vcc, s[8:9]
	s_and_saveexec_b64 s[18:19], s[30:31]
	s_cbranch_execz .LBB98_1089
; %bb.1110:                             ;   in Loop: Header=BB98_1090 Depth=1
	s_and_b64 vcc, exec, s[10:11]
	v_mov_b32_e32 v2, v9
	s_cbranch_vccnz .LBB98_1088
; %bb.1111:                             ;   in Loop: Header=BB98_1090 Depth=1
	flat_load_dword v2, v[4:5] offset:192
	s_branch .LBB98_1088
.LBB98_1112:
	v_lshl_add_u32 v2, v1, 6, v0
	s_xor_b64 s[4:5], s[22:23], -1
	v_lshlrev_b32_e32 v2, 2, v2
	ds_write_b32 v2, v12 offset:16384
	s_waitcnt lgkmcnt(0)
	s_barrier
	s_and_saveexec_b64 s[8:9], s[2:3]
	s_cbranch_execz .LBB98_1114
; %bb.1113:
	v_lshlrev_b32_e32 v5, 2, v0
	ds_read2st64_b32 v[3:4], v5 offset0:65 offset1:66
	ds_read2st64_b32 v[7:8], v5 offset0:67 offset1:68
	;; [unrolled: 1-line block ×5, first 2 shown]
	s_waitcnt lgkmcnt(4)
	v_add_f32_e32 v3, v12, v3
	v_add_f32_e32 v3, v3, v4
	s_waitcnt lgkmcnt(3)
	v_add_f32_e32 v3, v3, v7
	v_add_f32_e32 v3, v3, v8
	;; [unrolled: 3-line block ×4, first 2 shown]
	ds_read2st64_b32 v[3:4], v5 offset0:75 offset1:76
	ds_read2st64_b32 v[7:8], v5 offset0:77 offset1:78
	ds_read_b32 v5, v5 offset:20224
	s_waitcnt lgkmcnt(3)
	v_add_f32_e32 v9, v9, v15
	v_add_f32_e32 v9, v9, v16
	s_waitcnt lgkmcnt(2)
	v_add_f32_e32 v3, v9, v3
	v_add_f32_e32 v3, v3, v4
	;; [unrolled: 3-line block ×3, first 2 shown]
	s_waitcnt lgkmcnt(0)
	v_add_f32_e32 v3, v3, v5
	v_cndmask_b32_e64 v12, -v3, 0, s[14:15]
.LBB98_1114:
	s_or_b64 exec, exec, s[8:9]
	s_and_b64 vcc, exec, s[44:45]
	s_cbranch_vccnz .LBB98_1128
; %bb.1115:
	v_mov_b32_e32 v3, 0x5000
	v_lshl_or_b32 v4, v1, 2, v3
	s_and_saveexec_b64 s[8:9], s[2:3]
; %bb.1116:
	v_lshl_add_u32 v3, v0, 2, v4
	ds_write_b32 v3, v12
; %bb.1117:
	s_or_b64 exec, exec, s[8:9]
	v_cmp_le_u32_e32 vcc, v1, v0
	v_mov_b32_e32 v3, 0
	s_waitcnt lgkmcnt(0)
	s_barrier
	s_and_saveexec_b64 s[8:9], vcc
	s_cbranch_execz .LBB98_1119
; %bb.1118:
	ds_read_b32 v3, v2
	ds_read_b32 v5, v4
	s_waitcnt lgkmcnt(0)
	v_fma_f32 v3, v3, v5, 0
.LBB98_1119:
	s_or_b64 exec, exec, s[8:9]
	v_add_u32_e32 v5, 16, v1
	v_cmp_ge_u32_e32 vcc, v0, v5
	s_and_saveexec_b64 s[8:9], vcc
	s_cbranch_execz .LBB98_1121
; %bb.1120:
	ds_read_b32 v5, v2 offset:4096
	ds_read_b32 v7, v4 offset:64
	s_waitcnt lgkmcnt(0)
	v_fmac_f32_e32 v3, v5, v7
.LBB98_1121:
	s_or_b64 exec, exec, s[8:9]
	v_add_u32_e32 v5, 32, v1
	v_cmp_ge_u32_e32 vcc, v0, v5
	s_and_saveexec_b64 s[8:9], vcc
	s_cbranch_execz .LBB98_1123
; %bb.1122:
	ds_read_b32 v5, v2 offset:8192
	ds_read_b32 v7, v4 offset:128
	s_waitcnt lgkmcnt(0)
	v_fmac_f32_e32 v3, v5, v7
.LBB98_1123:
	s_or_b64 exec, exec, s[8:9]
	v_add_u32_e32 v1, 48, v1
	v_add_u32_e32 v5, 0x4000, v2
	v_cmp_ge_u32_e32 vcc, v0, v1
	s_and_saveexec_b64 s[8:9], vcc
	s_cbranch_execz .LBB98_1125
; %bb.1124:
	ds_read_b32 v1, v2 offset:12288
	ds_read_b32 v2, v4 offset:192
	s_waitcnt lgkmcnt(0)
	v_fmac_f32_e32 v3, v1, v2
.LBB98_1125:
	s_or_b64 exec, exec, s[8:9]
	s_mov_b64 s[10:11], 0
	s_mov_b64 s[8:9], 0
	ds_write_b32 v5, v3
	s_waitcnt lgkmcnt(0)
	s_barrier
                                        ; implicit-def: $vgpr4
                                        ; implicit-def: $vgpr1_vgpr2
	s_and_saveexec_b64 s[12:13], s[2:3]
	s_cbranch_execz .LBB98_1161
; %bb.1126:
	v_lshlrev_b32_e32 v13, 2, v0
	ds_read2st64_b32 v[1:2], v13 offset0:65 offset1:66
	ds_read2st64_b32 v[4:5], v13 offset0:67 offset1:68
	;; [unrolled: 1-line block ×4, first 2 shown]
	s_mov_b64 s[8:9], exec
	s_waitcnt lgkmcnt(3)
	v_add_f32_e32 v1, v3, v1
	v_add_f32_e32 v1, v2, v1
	s_waitcnt lgkmcnt(2)
	v_add_f32_e32 v1, v4, v1
	v_add_f32_e32 v1, v5, v1
	ds_read2st64_b32 v[2:3], v13 offset0:73 offset1:74
	s_waitcnt lgkmcnt(2)
	v_add_f32_e32 v1, v7, v1
	v_add_f32_e32 v1, v8, v1
	s_waitcnt lgkmcnt(1)
	v_add_f32_e32 v1, v9, v1
	v_add_f32_e32 v1, v10, v1
	ds_read2st64_b32 v[4:5], v13 offset0:75 offset1:76
	ds_read2st64_b32 v[7:8], v13 offset0:77 offset1:78
	ds_read_b32 v9, v13 offset:20224
	v_lshl_add_u32 v13, s6, 6, v11
	s_waitcnt lgkmcnt(3)
	v_add_f32_e32 v10, v2, v1
	v_mad_u64_u32 v[1:2], s[14:15], s26, v13, 0
	v_add_f32_e32 v3, v3, v10
	s_waitcnt lgkmcnt(2)
	v_add_f32_e32 v3, v4, v3
	v_add_f32_e32 v4, v5, v3
	v_mad_u64_u32 v[2:3], s[14:15], s27, v13, v[2:3]
	s_waitcnt lgkmcnt(1)
	v_add_f32_e32 v3, v7, v4
	v_add_f32_e32 v3, v8, v3
	s_waitcnt lgkmcnt(0)
	v_add_f32_e32 v4, v9, v3
	s_or_b64 exec, exec, s[12:13]
	s_and_b64 vcc, exec, s[10:11]
	s_cbranch_vccnz .LBB98_1129
	s_branch .LBB98_1162
.LBB98_1127:
	v_mad_u64_u32 v[12:13], s[2:3], s30, v5, 0
	s_or_b64 s[10:11], s[10:11], exec
	v_mov_b32_e32 v4, v13
	v_mad_u64_u32 v[4:5], s[2:3], s31, v5, v[4:5]
	v_mov_b32_e32 v13, v4
	v_lshlrev_b64 v[4:5], 2, v[12:13]
	v_add_co_u32_e32 v2, vcc, v2, v4
	v_addc_co_u32_e32 v3, vcc, v3, v5, vcc
	flat_load_dword v2, v[2:3]
	s_waitcnt vmcnt(0) lgkmcnt(0)
	v_xor_b32_e32 v4, 0x80000000, v2
	s_or_b64 exec, exec, s[8:9]
	s_xor_b64 s[0:1], s[0:1], -1
	s_and_saveexec_b64 s[2:3], s[10:11]
	s_cbranch_execnz .LBB98_45
	s_branch .LBB98_46
.LBB98_1128:
	s_mov_b64 s[8:9], 0
                                        ; implicit-def: $vgpr4
                                        ; implicit-def: $vgpr1_vgpr2
	s_cbranch_execz .LBB98_1162
.LBB98_1129:
	s_mov_b32 s12, 0
	v_mov_b32_e32 v1, 0
	v_mov_b32_e32 v2, v0
	s_branch .LBB98_1131
.LBB98_1130:                            ;   in Loop: Header=BB98_1131 Depth=1
	s_or_b64 exec, exec, s[10:11]
	s_add_i32 s12, s12, 4
	v_add_u32_e32 v6, 0x400, v6
	s_cmp_lg_u32 s12, 64
	v_add_u32_e32 v2, -4, v2
	s_barrier
	s_cbranch_scc0 .LBB98_1147
.LBB98_1131:                            ; =>This Inner Loop Header: Depth=1
	v_cmp_eq_u32_e32 vcc, 0, v2
	s_and_b64 s[14:15], s[2:3], vcc
	s_and_saveexec_b64 s[10:11], s[14:15]
; %bb.1132:                             ;   in Loop: Header=BB98_1131 Depth=1
	ds_write_b32 v1, v12 offset:20736
; %bb.1133:                             ;   in Loop: Header=BB98_1131 Depth=1
	s_or_b64 exec, exec, s[10:11]
	v_cmp_lt_u32_e32 vcc, s12, v0
	s_and_b64 s[14:15], s[2:3], vcc
	s_waitcnt lgkmcnt(0)
	s_barrier
	s_and_saveexec_b64 s[10:11], s[14:15]
	s_cbranch_execz .LBB98_1135
; %bb.1134:                             ;   in Loop: Header=BB98_1131 Depth=1
	ds_read_b32 v3, v6
	ds_read_b32 v4, v1 offset:20736
	s_waitcnt lgkmcnt(0)
	v_fmac_f32_e32 v12, v3, v4
.LBB98_1135:                            ;   in Loop: Header=BB98_1131 Depth=1
	s_or_b64 exec, exec, s[10:11]
	s_or_b32 s13, s12, 1
	v_cmp_eq_u32_e32 vcc, s13, v0
	s_and_b64 s[14:15], s[2:3], vcc
	s_barrier
	s_and_saveexec_b64 s[10:11], s[14:15]
; %bb.1136:                             ;   in Loop: Header=BB98_1131 Depth=1
	ds_write_b32 v1, v12 offset:20736
; %bb.1137:                             ;   in Loop: Header=BB98_1131 Depth=1
	s_or_b64 exec, exec, s[10:11]
	v_cmp_lt_u32_e32 vcc, s13, v0
	s_and_b64 s[14:15], s[2:3], vcc
	s_waitcnt lgkmcnt(0)
	s_barrier
	s_and_saveexec_b64 s[10:11], s[14:15]
	s_cbranch_execz .LBB98_1139
; %bb.1138:                             ;   in Loop: Header=BB98_1131 Depth=1
	ds_read_b32 v3, v6 offset:256
	ds_read_b32 v4, v1 offset:20736
	s_waitcnt lgkmcnt(0)
	v_fmac_f32_e32 v12, v3, v4
.LBB98_1139:                            ;   in Loop: Header=BB98_1131 Depth=1
	s_or_b64 exec, exec, s[10:11]
	s_or_b32 s13, s12, 2
	v_cmp_eq_u32_e32 vcc, s13, v0
	s_and_b64 s[14:15], s[2:3], vcc
	s_barrier
	s_and_saveexec_b64 s[10:11], s[14:15]
; %bb.1140:                             ;   in Loop: Header=BB98_1131 Depth=1
	ds_write_b32 v1, v12 offset:20736
; %bb.1141:                             ;   in Loop: Header=BB98_1131 Depth=1
	s_or_b64 exec, exec, s[10:11]
	v_cmp_lt_u32_e32 vcc, s13, v0
	s_and_b64 s[14:15], s[2:3], vcc
	s_waitcnt lgkmcnt(0)
	s_barrier
	s_and_saveexec_b64 s[10:11], s[14:15]
	s_cbranch_execz .LBB98_1143
; %bb.1142:                             ;   in Loop: Header=BB98_1131 Depth=1
	ds_read_b32 v3, v6 offset:512
	ds_read_b32 v4, v1 offset:20736
	s_waitcnt lgkmcnt(0)
	v_fmac_f32_e32 v12, v3, v4
.LBB98_1143:                            ;   in Loop: Header=BB98_1131 Depth=1
	s_or_b64 exec, exec, s[10:11]
	s_or_b32 s13, s12, 3
	v_cmp_eq_u32_e32 vcc, s13, v0
	s_and_b64 s[14:15], s[2:3], vcc
	s_barrier
	s_and_saveexec_b64 s[10:11], s[14:15]
; %bb.1144:                             ;   in Loop: Header=BB98_1131 Depth=1
	ds_write_b32 v1, v12 offset:20736
; %bb.1145:                             ;   in Loop: Header=BB98_1131 Depth=1
	s_or_b64 exec, exec, s[10:11]
	v_cmp_lt_u32_e32 vcc, s13, v0
	s_and_b64 s[14:15], s[2:3], vcc
	s_waitcnt lgkmcnt(0)
	s_barrier
	s_and_saveexec_b64 s[10:11], s[14:15]
	s_cbranch_execz .LBB98_1130
; %bb.1146:                             ;   in Loop: Header=BB98_1131 Depth=1
	ds_read_b32 v3, v6 offset:768
	ds_read_b32 v4, v1 offset:20736
	s_waitcnt lgkmcnt(0)
	v_fmac_f32_e32 v12, v3, v4
	s_branch .LBB98_1130
.LBB98_1147:
	s_and_b64 vcc, exec, s[4:5]
	s_cbranch_vccz .LBB98_1163
; %bb.1148:
	s_and_b64 s[4:5], s[2:3], exec
	s_cbranch_execz .LBB98_1164
	s_branch .LBB98_1165
.LBB98_1149:
	v_or_b32_e32 v11, v1, v0
	v_cmp_gt_u32_e32 vcc, 64, v11
	s_and_b64 s[10:11], vcc, exec
	s_andn2_saveexec_b64 s[8:9], s[8:9]
	s_cbranch_execz .LBB98_14
.LBB98_1150:
	v_mad_u64_u32 v[11:12], s[12:13], s30, v1, 0
	s_or_b64 s[10:11], s[10:11], exec
	v_mov_b32_e32 v5, v12
	v_mad_u64_u32 v[12:13], s[12:13], s31, v1, v[5:6]
	v_lshlrev_b64 v[11:12], 2, v[11:12]
	v_add_co_u32_e32 v11, vcc, v2, v11
	v_addc_co_u32_e32 v12, vcc, v3, v12, vcc
	flat_load_dword v5, v[11:12]
	s_waitcnt vmcnt(0) lgkmcnt(0)
	v_xor_b32_e32 v5, 0x80000000, v5
	s_or_b64 exec, exec, s[8:9]
	s_and_saveexec_b64 s[8:9], s[10:11]
	s_cbranch_execnz .LBB98_15
	s_branch .LBB98_16
.LBB98_1151:
	v_or_b32_e32 v11, v5, v0
	v_cmp_gt_u32_e32 vcc, 64, v11
	s_and_b64 s[2:3], vcc, exec
	s_or_saveexec_b64 s[8:9], s[8:9]
	v_mov_b32_e32 v11, 0
	s_xor_b64 exec, exec, s[8:9]
	s_cbranch_execz .LBB98_18
.LBB98_1152:
	v_mad_u64_u32 v[11:12], s[10:11], s30, v5, 0
	s_or_b64 s[2:3], s[2:3], exec
	v_mad_u64_u32 v[12:13], s[10:11], s31, v5, v[12:13]
	v_lshlrev_b64 v[11:12], 2, v[11:12]
	v_add_co_u32_e32 v11, vcc, v2, v11
	v_addc_co_u32_e32 v12, vcc, v3, v12, vcc
	flat_load_dword v11, v[11:12]
	s_waitcnt vmcnt(0) lgkmcnt(0)
	v_xor_b32_e32 v11, 0x80000000, v11
	s_or_b64 exec, exec, s[8:9]
	s_and_saveexec_b64 s[8:9], s[2:3]
	s_cbranch_execnz .LBB98_19
	s_branch .LBB98_20
.LBB98_1153:
	v_or_b32_e32 v11, v5, v0
	v_cmp_gt_u32_e32 vcc, 64, v11
	s_and_b64 s[2:3], vcc, exec
	s_or_saveexec_b64 s[8:9], s[8:9]
	v_mov_b32_e32 v11, 0
	s_xor_b64 exec, exec, s[8:9]
	s_cbranch_execz .LBB98_22
.LBB98_1154:
	v_mad_u64_u32 v[11:12], s[10:11], s30, v5, 0
	s_or_b64 s[2:3], s[2:3], exec
	v_mad_u64_u32 v[12:13], s[10:11], s31, v5, v[12:13]
	v_lshlrev_b64 v[11:12], 2, v[11:12]
	v_add_co_u32_e32 v11, vcc, v2, v11
	v_addc_co_u32_e32 v12, vcc, v3, v12, vcc
	flat_load_dword v11, v[11:12]
	s_waitcnt vmcnt(0) lgkmcnt(0)
	v_xor_b32_e32 v11, 0x80000000, v11
	s_or_b64 exec, exec, s[8:9]
	s_and_saveexec_b64 s[8:9], s[2:3]
	s_cbranch_execnz .LBB98_23
	s_branch .LBB98_24
.LBB98_1155:
	v_or_b32_e32 v11, v1, v0
	v_cmp_gt_u32_e64 s[2:3], 64, v11
	s_and_b64 s[8:9], s[2:3], exec
	s_andn2_saveexec_b64 s[12:13], s[12:13]
	s_cbranch_execz .LBB98_30
.LBB98_1156:
	v_mad_u64_u32 v[11:12], s[2:3], s30, v1, 0
	s_or_b64 s[8:9], s[8:9], exec
	v_mov_b32_e32 v5, v12
	v_mad_u64_u32 v[12:13], s[2:3], s31, v1, v[5:6]
	v_lshlrev_b64 v[11:12], 2, v[11:12]
	v_add_co_u32_e64 v11, s[2:3], v2, v11
	v_addc_co_u32_e64 v12, s[2:3], v3, v12, s[2:3]
	flat_load_dword v5, v[11:12]
	s_waitcnt vmcnt(0) lgkmcnt(0)
	v_xor_b32_e32 v5, 0x80000000, v5
	s_or_b64 exec, exec, s[12:13]
	s_and_saveexec_b64 s[2:3], s[8:9]
	s_cbranch_execnz .LBB98_31
	s_branch .LBB98_32
.LBB98_1157:
	v_or_b32_e32 v11, v5, v0
	v_cmp_gt_u32_e64 s[2:3], 64, v11
	s_and_b64 s[8:9], s[2:3], exec
	s_or_saveexec_b64 s[12:13], s[12:13]
	v_mov_b32_e32 v11, 0
	s_xor_b64 exec, exec, s[12:13]
	s_cbranch_execz .LBB98_34
.LBB98_1158:
	v_mad_u64_u32 v[11:12], s[2:3], s30, v5, 0
	s_or_b64 s[8:9], s[8:9], exec
	v_mad_u64_u32 v[12:13], s[2:3], s31, v5, v[12:13]
	v_lshlrev_b64 v[11:12], 2, v[11:12]
	v_add_co_u32_e64 v11, s[2:3], v2, v11
	v_addc_co_u32_e64 v12, s[2:3], v3, v12, s[2:3]
	flat_load_dword v11, v[11:12]
	s_waitcnt vmcnt(0) lgkmcnt(0)
	v_xor_b32_e32 v11, 0x80000000, v11
	s_or_b64 exec, exec, s[12:13]
	s_and_saveexec_b64 s[2:3], s[8:9]
	s_cbranch_execnz .LBB98_35
	s_branch .LBB98_36
.LBB98_1159:
	v_or_b32_e32 v11, v5, v0
	v_cmp_gt_u32_e64 s[2:3], 64, v11
	s_and_b64 s[8:9], s[2:3], exec
	s_or_saveexec_b64 s[12:13], s[12:13]
	v_mov_b32_e32 v11, 0
	s_xor_b64 exec, exec, s[12:13]
	s_cbranch_execz .LBB98_38
.LBB98_1160:
	v_mad_u64_u32 v[11:12], s[2:3], s30, v5, 0
	s_or_b64 s[8:9], s[8:9], exec
	v_mad_u64_u32 v[12:13], s[2:3], s31, v5, v[12:13]
	v_lshlrev_b64 v[11:12], 2, v[11:12]
	v_add_co_u32_e64 v11, s[2:3], v2, v11
	v_addc_co_u32_e64 v12, s[2:3], v3, v12, s[2:3]
	flat_load_dword v11, v[11:12]
	s_waitcnt vmcnt(0) lgkmcnt(0)
	v_xor_b32_e32 v11, 0x80000000, v11
	s_or_b64 exec, exec, s[12:13]
	s_and_saveexec_b64 s[2:3], s[8:9]
	s_cbranch_execnz .LBB98_39
	s_branch .LBB98_40
.LBB98_1161:
	s_or_b64 exec, exec, s[12:13]
	s_and_b64 vcc, exec, s[10:11]
	s_cbranch_vccnz .LBB98_1129
.LBB98_1162:
	v_mov_b32_e32 v12, v4
	s_and_saveexec_b64 s[2:3], s[8:9]
	s_cbranch_execnz .LBB98_1168
	s_branch .LBB98_1169
.LBB98_1163:
	s_mov_b64 s[4:5], 0
.LBB98_1164:
	v_cmp_gt_i32_e32 vcc, s7, v0
	s_and_b64 s[2:3], s[2:3], vcc
	s_andn2_b64 s[4:5], s[4:5], exec
	s_and_b64 s[2:3], s[2:3], exec
	s_or_b64 s[4:5], s[4:5], s[2:3]
.LBB98_1165:
                                        ; implicit-def: $vgpr1_vgpr2
	s_and_saveexec_b64 s[2:3], s[4:5]
	s_cbranch_execz .LBB98_1167
; %bb.1166:
	s_lshl_b32 s4, s6, 6
	s_ashr_i32 s5, s4, 31
	v_mov_b32_e32 v0, s5
	v_add_co_u32_e32 v1, vcc, s4, v11
	v_addc_co_u32_e32 v0, vcc, 0, v0, vcc
	v_mul_lo_u32 v0, v0, s26
	v_mul_lo_u32 v3, v1, s27
	v_mad_u64_u32 v[1:2], s[4:5], v1, s26, 0
	s_or_b64 s[8:9], s[8:9], exec
	v_add3_u32 v2, v2, v3, v0
.LBB98_1167:
	s_or_b64 exec, exec, s[2:3]
	s_and_saveexec_b64 s[2:3], s[8:9]
	s_cbranch_execz .LBB98_1169
.LBB98_1168:
	v_lshlrev_b64 v[0:1], 2, v[1:2]
	v_mov_b32_e32 v2, s21
	v_add_co_u32_e32 v0, vcc, s20, v0
	v_addc_co_u32_e32 v1, vcc, v2, v1, vcc
	flat_store_dword v[0:1], v12
.LBB98_1169:
	s_or_b64 exec, exec, s[2:3]
	v_cmp_eq_u32_e32 vcc, 0, v11
	s_waitcnt vmcnt(0) lgkmcnt(0)
	buffer_wbinvl1_vol
	s_barrier
	s_and_saveexec_b64 s[2:3], vcc
	s_cbranch_execz .LBB98_1171
; %bb.1170:
	s_lshl_b64 s[4:5], s[28:29], 2
	s_add_u32 s0, s0, s4
	s_addc_u32 s1, s1, s5
	v_mov_b32_e32 v0, 0
	global_load_dword v1, v0, s[0:1]
	s_waitcnt vmcnt(0)
	v_add_u32_e32 v1, 1, v1
	global_store_dword v0, v1, s[0:1]
.LBB98_1171:
	s_or_b64 exec, exec, s[2:3]
	s_waitcnt vmcnt(0)
	buffer_wbinvl1_vol
	s_endpgm
.LBB98_1172:
	ds_read_b32 v17, v16 offset:15840
	ds_read_b32 v18, v15 offset:15604
	s_waitcnt lgkmcnt(0)
	v_fmac_f32_e32 v14, v17, v18
	s_or_b64 exec, exec, s[14:15]
	v_cmp_gt_u32_e64 s[10:11], 8, v5
	s_and_saveexec_b64 s[14:15], s[10:11]
	s_cbranch_execz .LBB98_68
.LBB98_1173:
	ds_read_b32 v16, v16 offset:16096
	ds_read_b32 v15, v15 offset:15608
	s_waitcnt lgkmcnt(0)
	v_fmac_f32_e32 v14, v16, v15
	s_or_b64 exec, exec, s[14:15]
	v_cmp_gt_u32_e64 s[10:11], 4, v5
	s_and_saveexec_b64 s[14:15], s[10:11]
	s_cbranch_execnz .LBB98_69
	s_branch .LBB98_70
.LBB98_1174:
	ds_read_b32 v20, v19 offset:14784
	ds_read_b32 v21, v18 offset:14564
	s_waitcnt lgkmcnt(0)
	v_fmac_f32_e32 v17, v20, v21
	s_or_b64 exec, exec, s[16:17]
	v_cmp_gt_u32_e64 s[14:15], 48, v5
	s_and_saveexec_b64 s[16:17], s[14:15]
	s_cbranch_execz .LBB98_110
.LBB98_1175:
	ds_read_b32 v20, v19 offset:15040
	ds_read_b32 v21, v18 offset:14568
	s_waitcnt lgkmcnt(0)
	v_fmac_f32_e32 v17, v20, v21
	s_or_b64 exec, exec, s[16:17]
	v_cmp_gt_u32_e64 s[14:15], 40, v5
	s_and_saveexec_b64 s[16:17], s[14:15]
	s_cbranch_execz .LBB98_111
.LBB98_1176:
	ds_read_b32 v20, v19 offset:15296
	ds_read_b32 v21, v18 offset:14572
	s_waitcnt lgkmcnt(0)
	v_fmac_f32_e32 v17, v20, v21
	s_or_b64 exec, exec, s[16:17]
	v_cmp_gt_u32_e64 s[14:15], 32, v5
	s_and_saveexec_b64 s[16:17], s[14:15]
	s_cbranch_execz .LBB98_112
.LBB98_1177:
	ds_read_b32 v20, v19 offset:15552
	ds_read_b32 v21, v18 offset:14576
	s_waitcnt lgkmcnt(0)
	v_fmac_f32_e32 v17, v20, v21
	s_or_b64 exec, exec, s[16:17]
	v_cmp_gt_u32_e64 s[14:15], 24, v5
	s_and_saveexec_b64 s[16:17], s[14:15]
	s_cbranch_execz .LBB98_113
.LBB98_1178:
	ds_read_b32 v20, v19 offset:15808
	ds_read_b32 v21, v18 offset:14580
	s_waitcnt lgkmcnt(0)
	v_fmac_f32_e32 v17, v20, v21
	s_or_b64 exec, exec, s[16:17]
	s_and_saveexec_b64 s[14:15], s[18:19]
	s_cbranch_execz .LBB98_114
.LBB98_1179:
	ds_read_b32 v19, v19 offset:16064
	ds_read_b32 v18, v18 offset:14584
	s_waitcnt lgkmcnt(0)
	v_fmac_f32_e32 v17, v19, v18
	s_or_b64 exec, exec, s[14:15]
	v_cmp_gt_u32_e64 s[14:15], 8, v5
	s_and_saveexec_b64 s[16:17], s[14:15]
	s_cbranch_execnz .LBB98_115
	s_branch .LBB98_116
.LBB98_1180:
	ds_read_b32 v20, v19 offset:13760
	ds_read_b32 v21, v18 offset:13524
	s_waitcnt lgkmcnt(0)
	v_fmac_f32_e32 v17, v20, v21
	s_or_b64 exec, exec, s[14:15]
	v_cmp_gt_u32_e64 s[10:11], 8, v5
	s_and_saveexec_b64 s[14:15], s[10:11]
	s_cbranch_execz .LBB98_172
.LBB98_1181:
	ds_read_b32 v19, v19 offset:14016
	ds_read_b32 v18, v18 offset:13528
	s_waitcnt lgkmcnt(0)
	v_fmac_f32_e32 v17, v19, v18
	s_or_b64 exec, exec, s[14:15]
	v_cmp_gt_u32_e64 s[10:11], 4, v5
	s_and_saveexec_b64 s[14:15], s[10:11]
	s_cbranch_execnz .LBB98_173
	s_branch .LBB98_174
.LBB98_1182:
	ds_read_b32 v23, v22 offset:15232
	ds_read_b32 v24, v21 offset:12524
	s_waitcnt lgkmcnt(0)
	v_fmac_f32_e32 v20, v23, v24
	s_or_b64 exec, exec, s[20:21]
	s_and_saveexec_b64 s[16:17], s[8:9]
	s_cbranch_execz .LBB98_234
.LBB98_1183:
	ds_read_b32 v23, v22 offset:15488
	ds_read_b32 v24, v21 offset:12528
	s_waitcnt lgkmcnt(0)
	v_fmac_f32_e32 v20, v23, v24
	s_or_b64 exec, exec, s[16:17]
	v_cmp_gt_u32_e64 s[16:17], 48, v5
	s_and_saveexec_b64 s[20:21], s[16:17]
	s_cbranch_execz .LBB98_235
.LBB98_1184:
	ds_read_b32 v23, v22 offset:15744
	ds_read_b32 v24, v21 offset:12532
	s_waitcnt lgkmcnt(0)
	v_fmac_f32_e32 v20, v23, v24
	s_or_b64 exec, exec, s[20:21]
	v_cmp_gt_u32_e64 s[16:17], 32, v5
	s_and_saveexec_b64 s[20:21], s[16:17]
	s_cbranch_execz .LBB98_236
.LBB98_1185:
	ds_read_b32 v22, v22 offset:16000
	ds_read_b32 v21, v21 offset:12536
	s_waitcnt lgkmcnt(0)
	v_fmac_f32_e32 v20, v22, v21
	s_or_b64 exec, exec, s[20:21]
	v_cmp_gt_u32_e64 s[16:17], 16, v5
	s_and_saveexec_b64 s[20:21], s[16:17]
	s_cbranch_execnz .LBB98_237
	s_branch .LBB98_238
.LBB98_1186:
	ds_read_b32 v23, v22 offset:11680
	ds_read_b32 v24, v21 offset:11444
	s_waitcnt lgkmcnt(0)
	v_fmac_f32_e32 v20, v23, v24
	s_or_b64 exec, exec, s[20:21]
	v_cmp_gt_u32_e64 s[14:15], 8, v5
	s_and_saveexec_b64 s[20:21], s[14:15]
	s_cbranch_execz .LBB98_326
.LBB98_1187:
	ds_read_b32 v22, v22 offset:11936
	ds_read_b32 v21, v21 offset:11448
	s_waitcnt lgkmcnt(0)
	v_fmac_f32_e32 v20, v22, v21
	s_or_b64 exec, exec, s[20:21]
	v_cmp_gt_u32_e64 s[14:15], 4, v5
	s_and_saveexec_b64 s[20:21], s[14:15]
	s_cbranch_execnz .LBB98_327
	s_branch .LBB98_328
.LBB98_1188:
	ds_read_b32 v23, v22 offset:10624
	ds_read_b32 v24, v21 offset:10404
	s_waitcnt lgkmcnt(0)
	v_fmac_f32_e32 v20, v23, v24
	s_or_b64 exec, exec, s[20:21]
	v_cmp_gt_u32_e64 s[14:15], 48, v5
	s_and_saveexec_b64 s[20:21], s[14:15]
	s_cbranch_execz .LBB98_368
.LBB98_1189:
	ds_read_b32 v23, v22 offset:10880
	ds_read_b32 v24, v21 offset:10408
	s_waitcnt lgkmcnt(0)
	v_fmac_f32_e32 v20, v23, v24
	s_or_b64 exec, exec, s[20:21]
	v_cmp_gt_u32_e64 s[14:15], 40, v5
	s_and_saveexec_b64 s[20:21], s[14:15]
	s_cbranch_execz .LBB98_369
.LBB98_1190:
	ds_read_b32 v23, v22 offset:11136
	ds_read_b32 v24, v21 offset:10412
	s_waitcnt lgkmcnt(0)
	v_fmac_f32_e32 v20, v23, v24
	s_or_b64 exec, exec, s[20:21]
	v_cmp_gt_u32_e64 s[14:15], 32, v5
	s_and_saveexec_b64 s[20:21], s[14:15]
	s_cbranch_execz .LBB98_370
.LBB98_1191:
	ds_read_b32 v23, v22 offset:11392
	ds_read_b32 v24, v21 offset:10416
	s_waitcnt lgkmcnt(0)
	v_fmac_f32_e32 v20, v23, v24
	s_or_b64 exec, exec, s[20:21]
	v_cmp_gt_u32_e64 s[14:15], 24, v5
	s_and_saveexec_b64 s[20:21], s[14:15]
	s_cbranch_execz .LBB98_371
.LBB98_1192:
	ds_read_b32 v23, v22 offset:11648
	ds_read_b32 v24, v21 offset:10420
	s_waitcnt lgkmcnt(0)
	v_fmac_f32_e32 v20, v23, v24
	s_or_b64 exec, exec, s[20:21]
	s_and_saveexec_b64 s[14:15], s[18:19]
	s_cbranch_execz .LBB98_372
.LBB98_1193:
	ds_read_b32 v22, v22 offset:11904
	ds_read_b32 v21, v21 offset:10424
	s_waitcnt lgkmcnt(0)
	v_fmac_f32_e32 v20, v22, v21
	s_or_b64 exec, exec, s[14:15]
	v_cmp_gt_u32_e64 s[14:15], 8, v5
	s_and_saveexec_b64 s[20:21], s[14:15]
	s_cbranch_execnz .LBB98_373
	s_branch .LBB98_374
.LBB98_1194:
	ds_read_b32 v23, v22 offset:9600
	ds_read_b32 v24, v21 offset:9364
	s_waitcnt lgkmcnt(0)
	v_fmac_f32_e32 v20, v23, v24
	s_or_b64 exec, exec, s[20:21]
	v_cmp_gt_u32_e64 s[14:15], 8, v5
	s_and_saveexec_b64 s[20:21], s[14:15]
	s_cbranch_execz .LBB98_430
.LBB98_1195:
	ds_read_b32 v22, v22 offset:9856
	ds_read_b32 v21, v21 offset:9368
	s_waitcnt lgkmcnt(0)
	v_fmac_f32_e32 v20, v22, v21
	s_or_b64 exec, exec, s[20:21]
	v_cmp_gt_u32_e64 s[14:15], 4, v5
	s_and_saveexec_b64 s[20:21], s[14:15]
	s_cbranch_execnz .LBB98_431
	s_branch .LBB98_432
.LBB98_1196:
	ds_read_b32 v26, v25 offset:15616
	ds_read_b32 v27, v24 offset:8436
	s_waitcnt lgkmcnt(0)
	v_fmac_f32_e32 v22, v26, v27
	s_or_b64 exec, exec, s[94:95]
	s_and_saveexec_b64 s[20:21], s[8:9]
	s_cbranch_execz .LBB98_528
.LBB98_1197:
	ds_read_b32 v25, v25 offset:15872
	ds_read_b32 v24, v24 offset:8440
	s_waitcnt lgkmcnt(0)
	v_fmac_f32_e32 v22, v25, v24
	s_or_b64 exec, exec, s[20:21]
	v_cmp_gt_u32_e64 s[20:21], 32, v5
	s_and_saveexec_b64 s[94:95], s[20:21]
	s_cbranch_execnz .LBB98_529
	s_branch .LBB98_530
.LBB98_1198:
	ds_read_b32 v23, v22 offset:7520
	ds_read_b32 v24, v21 offset:7284
	s_waitcnt lgkmcnt(0)
	v_fmac_f32_e32 v20, v23, v24
	s_or_b64 exec, exec, s[16:17]
	v_cmp_gt_u32_e64 s[12:13], 8, v5
	s_and_saveexec_b64 s[16:17], s[12:13]
	s_cbranch_execz .LBB98_682
.LBB98_1199:
	ds_read_b32 v22, v22 offset:7776
	ds_read_b32 v21, v21 offset:7288
	s_waitcnt lgkmcnt(0)
	v_fmac_f32_e32 v20, v22, v21
	s_or_b64 exec, exec, s[16:17]
	v_cmp_gt_u32_e64 s[12:13], 4, v5
	s_and_saveexec_b64 s[16:17], s[12:13]
	s_cbranch_execnz .LBB98_683
	s_branch .LBB98_684
.LBB98_1200:
	ds_read_b32 v23, v22 offset:6464
	ds_read_b32 v24, v21 offset:6244
	s_waitcnt lgkmcnt(0)
	v_fmac_f32_e32 v20, v23, v24
	s_or_b64 exec, exec, s[16:17]
	v_cmp_gt_u32_e64 s[12:13], 48, v5
	s_and_saveexec_b64 s[16:17], s[12:13]
	s_cbranch_execz .LBB98_724
.LBB98_1201:
	ds_read_b32 v23, v22 offset:6720
	ds_read_b32 v24, v21 offset:6248
	s_waitcnt lgkmcnt(0)
	v_fmac_f32_e32 v20, v23, v24
	s_or_b64 exec, exec, s[16:17]
	v_cmp_gt_u32_e64 s[12:13], 40, v5
	s_and_saveexec_b64 s[16:17], s[12:13]
	s_cbranch_execz .LBB98_725
.LBB98_1202:
	ds_read_b32 v23, v22 offset:6976
	ds_read_b32 v24, v21 offset:6252
	s_waitcnt lgkmcnt(0)
	v_fmac_f32_e32 v20, v23, v24
	s_or_b64 exec, exec, s[16:17]
	v_cmp_gt_u32_e64 s[12:13], 32, v5
	s_and_saveexec_b64 s[16:17], s[12:13]
	s_cbranch_execz .LBB98_726
.LBB98_1203:
	ds_read_b32 v23, v22 offset:7232
	ds_read_b32 v24, v21 offset:6256
	s_waitcnt lgkmcnt(0)
	v_fmac_f32_e32 v20, v23, v24
	s_or_b64 exec, exec, s[16:17]
	v_cmp_gt_u32_e64 s[12:13], 24, v5
	s_and_saveexec_b64 s[16:17], s[12:13]
	s_cbranch_execz .LBB98_727
.LBB98_1204:
	ds_read_b32 v23, v22 offset:7488
	ds_read_b32 v24, v21 offset:6260
	s_waitcnt lgkmcnt(0)
	v_fmac_f32_e32 v20, v23, v24
	s_or_b64 exec, exec, s[16:17]
	s_and_saveexec_b64 s[12:13], s[18:19]
	s_cbranch_execz .LBB98_728
.LBB98_1205:
	ds_read_b32 v22, v22 offset:7744
	ds_read_b32 v21, v21 offset:6264
	s_waitcnt lgkmcnt(0)
	v_fmac_f32_e32 v20, v22, v21
	s_or_b64 exec, exec, s[12:13]
	v_cmp_gt_u32_e64 s[12:13], 8, v5
	s_and_saveexec_b64 s[16:17], s[12:13]
	s_cbranch_execnz .LBB98_729
	s_branch .LBB98_730
.LBB98_1206:
	ds_read_b32 v23, v22 offset:5440
	ds_read_b32 v24, v21 offset:5204
	s_waitcnt lgkmcnt(0)
	v_fmac_f32_e32 v20, v23, v24
	s_or_b64 exec, exec, s[16:17]
	v_cmp_gt_u32_e64 s[12:13], 8, v5
	s_and_saveexec_b64 s[16:17], s[12:13]
	s_cbranch_execz .LBB98_786
.LBB98_1207:
	ds_read_b32 v22, v22 offset:5696
	ds_read_b32 v21, v21 offset:5208
	s_waitcnt lgkmcnt(0)
	v_fmac_f32_e32 v20, v22, v21
	s_or_b64 exec, exec, s[16:17]
	v_cmp_gt_u32_e64 s[12:13], 4, v5
	s_and_saveexec_b64 s[16:17], s[12:13]
	s_cbranch_execnz .LBB98_787
	s_branch .LBB98_788
.LBB98_1208:
	ds_read_b32 v23, v22 offset:6912
	ds_read_b32 v24, v21 offset:4204
	s_waitcnt lgkmcnt(0)
	v_fmac_f32_e32 v20, v23, v24
	s_or_b64 exec, exec, s[16:17]
	s_and_saveexec_b64 s[12:13], s[8:9]
	s_cbranch_execz .LBB98_848
.LBB98_1209:
	ds_read_b32 v23, v22 offset:7168
	ds_read_b32 v24, v21 offset:4208
	s_waitcnt lgkmcnt(0)
	v_fmac_f32_e32 v20, v23, v24
	s_or_b64 exec, exec, s[12:13]
	v_cmp_gt_u32_e64 s[12:13], 48, v5
	s_and_saveexec_b64 s[16:17], s[12:13]
	s_cbranch_execz .LBB98_849
.LBB98_1210:
	ds_read_b32 v23, v22 offset:7424
	ds_read_b32 v24, v21 offset:4212
	s_waitcnt lgkmcnt(0)
	v_fmac_f32_e32 v20, v23, v24
	s_or_b64 exec, exec, s[16:17]
	v_cmp_gt_u32_e64 s[12:13], 32, v5
	s_and_saveexec_b64 s[16:17], s[12:13]
	s_cbranch_execz .LBB98_850
.LBB98_1211:
	ds_read_b32 v22, v22 offset:7680
	ds_read_b32 v21, v21 offset:4216
	s_waitcnt lgkmcnt(0)
	v_fmac_f32_e32 v20, v22, v21
	s_or_b64 exec, exec, s[16:17]
	v_cmp_gt_u32_e64 s[12:13], 16, v5
	s_and_saveexec_b64 s[16:17], s[12:13]
	s_cbranch_execnz .LBB98_851
	s_branch .LBB98_852
.LBB98_1212:
	ds_read_b32 v20, v19 offset:3360
	ds_read_b32 v21, v18 offset:3124
	s_waitcnt lgkmcnt(0)
	v_fmac_f32_e32 v17, v20, v21
	s_or_b64 exec, exec, s[12:13]
	v_cmp_gt_u32_e64 s[10:11], 8, v5
	s_and_saveexec_b64 s[12:13], s[10:11]
	s_cbranch_execz .LBB98_940
.LBB98_1213:
	ds_read_b32 v19, v19 offset:3616
	ds_read_b32 v18, v18 offset:3128
	s_waitcnt lgkmcnt(0)
	v_fmac_f32_e32 v17, v19, v18
	s_or_b64 exec, exec, s[12:13]
	v_cmp_gt_u32_e64 s[10:11], 4, v5
	s_and_saveexec_b64 s[12:13], s[10:11]
	s_cbranch_execnz .LBB98_941
	s_branch .LBB98_942
.LBB98_1214:
	ds_read_b32 v20, v19 offset:2304
	ds_read_b32 v21, v18 offset:2084
	s_waitcnt lgkmcnt(0)
	v_fmac_f32_e32 v17, v20, v21
	s_or_b64 exec, exec, s[12:13]
	v_cmp_gt_u32_e64 s[10:11], 48, v5
	s_and_saveexec_b64 s[12:13], s[10:11]
	s_cbranch_execz .LBB98_982
.LBB98_1215:
	ds_read_b32 v20, v19 offset:2560
	ds_read_b32 v21, v18 offset:2088
	s_waitcnt lgkmcnt(0)
	v_fmac_f32_e32 v17, v20, v21
	s_or_b64 exec, exec, s[12:13]
	v_cmp_gt_u32_e64 s[10:11], 40, v5
	s_and_saveexec_b64 s[12:13], s[10:11]
	s_cbranch_execz .LBB98_983
.LBB98_1216:
	ds_read_b32 v20, v19 offset:2816
	ds_read_b32 v21, v18 offset:2092
	s_waitcnt lgkmcnt(0)
	v_fmac_f32_e32 v17, v20, v21
	s_or_b64 exec, exec, s[12:13]
	v_cmp_gt_u32_e64 s[10:11], 32, v5
	s_and_saveexec_b64 s[12:13], s[10:11]
	s_cbranch_execz .LBB98_984
.LBB98_1217:
	ds_read_b32 v20, v19 offset:3072
	ds_read_b32 v21, v18 offset:2096
	s_waitcnt lgkmcnt(0)
	v_fmac_f32_e32 v17, v20, v21
	s_or_b64 exec, exec, s[12:13]
	v_cmp_gt_u32_e64 s[10:11], 24, v5
	s_and_saveexec_b64 s[12:13], s[10:11]
	s_cbranch_execz .LBB98_985
.LBB98_1218:
	ds_read_b32 v20, v19 offset:3328
	ds_read_b32 v21, v18 offset:2100
	s_waitcnt lgkmcnt(0)
	v_fmac_f32_e32 v17, v20, v21
	s_or_b64 exec, exec, s[12:13]
	s_and_saveexec_b64 s[10:11], s[18:19]
	s_cbranch_execz .LBB98_986
.LBB98_1219:
	ds_read_b32 v19, v19 offset:3584
	ds_read_b32 v18, v18 offset:2104
	s_waitcnt lgkmcnt(0)
	v_fmac_f32_e32 v17, v19, v18
	s_or_b64 exec, exec, s[10:11]
	v_cmp_gt_u32_e64 s[10:11], 8, v5
	s_and_saveexec_b64 s[12:13], s[10:11]
	s_cbranch_execnz .LBB98_987
	s_branch .LBB98_988
.LBB98_1220:
	ds_read_b32 v17, v16 offset:1280
	ds_read_b32 v18, v15 offset:1044
	s_waitcnt lgkmcnt(0)
	v_fmac_f32_e32 v14, v17, v18
	s_or_b64 exec, exec, s[10:11]
	v_cmp_gt_u32_e64 s[8:9], 8, v5
	s_and_saveexec_b64 s[10:11], s[8:9]
	s_cbranch_execz .LBB98_1044
.LBB98_1221:
	ds_read_b32 v16, v16 offset:1536
	ds_read_b32 v15, v15 offset:1048
	s_waitcnt lgkmcnt(0)
	v_fmac_f32_e32 v14, v16, v15
	s_or_b64 exec, exec, s[10:11]
	v_cmp_gt_u32_e64 s[8:9], 4, v5
	s_and_saveexec_b64 s[10:11], s[8:9]
	s_cbranch_execnz .LBB98_1045
	s_branch .LBB98_1046
	.section	.rodata,"a",@progbits
	.p2align	6, 0x0
	.amdhsa_kernel _ZL19rocblas_trsv_deviceILi64ELi16ELb0ELb1ELb0ELb1EfPKfPKS1_PKPfEviT7_lllT6_T8_lllPii
		.amdhsa_group_segment_fixed_size 20740
		.amdhsa_private_segment_fixed_size 0
		.amdhsa_kernarg_size 352
		.amdhsa_user_sgpr_count 6
		.amdhsa_user_sgpr_private_segment_buffer 1
		.amdhsa_user_sgpr_dispatch_ptr 0
		.amdhsa_user_sgpr_queue_ptr 0
		.amdhsa_user_sgpr_kernarg_segment_ptr 1
		.amdhsa_user_sgpr_dispatch_id 0
		.amdhsa_user_sgpr_flat_scratch_init 0
		.amdhsa_user_sgpr_private_segment_size 0
		.amdhsa_uses_dynamic_stack 0
		.amdhsa_system_sgpr_private_segment_wavefront_offset 0
		.amdhsa_system_sgpr_workgroup_id_x 1
		.amdhsa_system_sgpr_workgroup_id_y 0
		.amdhsa_system_sgpr_workgroup_id_z 1
		.amdhsa_system_sgpr_workgroup_info 0
		.amdhsa_system_vgpr_workitem_id 1
		.amdhsa_next_free_vgpr 29
		.amdhsa_next_free_sgpr 96
		.amdhsa_reserve_vcc 1
		.amdhsa_reserve_flat_scratch 0
		.amdhsa_float_round_mode_32 0
		.amdhsa_float_round_mode_16_64 0
		.amdhsa_float_denorm_mode_32 3
		.amdhsa_float_denorm_mode_16_64 3
		.amdhsa_dx10_clamp 1
		.amdhsa_ieee_mode 1
		.amdhsa_fp16_overflow 0
		.amdhsa_exception_fp_ieee_invalid_op 0
		.amdhsa_exception_fp_denorm_src 0
		.amdhsa_exception_fp_ieee_div_zero 0
		.amdhsa_exception_fp_ieee_overflow 0
		.amdhsa_exception_fp_ieee_underflow 0
		.amdhsa_exception_fp_ieee_inexact 0
		.amdhsa_exception_int_div_zero 0
	.end_amdhsa_kernel
	.section	.text._ZL19rocblas_trsv_deviceILi64ELi16ELb0ELb1ELb0ELb1EfPKfPKS1_PKPfEviT7_lllT6_T8_lllPii,"axG",@progbits,_ZL19rocblas_trsv_deviceILi64ELi16ELb0ELb1ELb0ELb1EfPKfPKS1_PKPfEviT7_lllT6_T8_lllPii,comdat
.Lfunc_end98:
	.size	_ZL19rocblas_trsv_deviceILi64ELi16ELb0ELb1ELb0ELb1EfPKfPKS1_PKPfEviT7_lllT6_T8_lllPii, .Lfunc_end98-_ZL19rocblas_trsv_deviceILi64ELi16ELb0ELb1ELb0ELb1EfPKfPKS1_PKPfEviT7_lllT6_T8_lllPii
                                        ; -- End function
	.set _ZL19rocblas_trsv_deviceILi64ELi16ELb0ELb1ELb0ELb1EfPKfPKS1_PKPfEviT7_lllT6_T8_lllPii.num_vgpr, 29
	.set _ZL19rocblas_trsv_deviceILi64ELi16ELb0ELb1ELb0ELb1EfPKfPKS1_PKPfEviT7_lllT6_T8_lllPii.num_agpr, 0
	.set _ZL19rocblas_trsv_deviceILi64ELi16ELb0ELb1ELb0ELb1EfPKfPKS1_PKPfEviT7_lllT6_T8_lllPii.numbered_sgpr, 96
	.set _ZL19rocblas_trsv_deviceILi64ELi16ELb0ELb1ELb0ELb1EfPKfPKS1_PKPfEviT7_lllT6_T8_lllPii.num_named_barrier, 0
	.set _ZL19rocblas_trsv_deviceILi64ELi16ELb0ELb1ELb0ELb1EfPKfPKS1_PKPfEviT7_lllT6_T8_lllPii.private_seg_size, 0
	.set _ZL19rocblas_trsv_deviceILi64ELi16ELb0ELb1ELb0ELb1EfPKfPKS1_PKPfEviT7_lllT6_T8_lllPii.uses_vcc, 1
	.set _ZL19rocblas_trsv_deviceILi64ELi16ELb0ELb1ELb0ELb1EfPKfPKS1_PKPfEviT7_lllT6_T8_lllPii.uses_flat_scratch, 0
	.set _ZL19rocblas_trsv_deviceILi64ELi16ELb0ELb1ELb0ELb1EfPKfPKS1_PKPfEviT7_lllT6_T8_lllPii.has_dyn_sized_stack, 0
	.set _ZL19rocblas_trsv_deviceILi64ELi16ELb0ELb1ELb0ELb1EfPKfPKS1_PKPfEviT7_lllT6_T8_lllPii.has_recursion, 0
	.set _ZL19rocblas_trsv_deviceILi64ELi16ELb0ELb1ELb0ELb1EfPKfPKS1_PKPfEviT7_lllT6_T8_lllPii.has_indirect_call, 0
	.section	.AMDGPU.csdata,"",@progbits
; Kernel info:
; codeLenInByte = 35132
; TotalNumSgprs: 100
; NumVgprs: 29
; ScratchSize: 0
; MemoryBound: 0
; FloatMode: 240
; IeeeMode: 1
; LDSByteSize: 20740 bytes/workgroup (compile time only)
; SGPRBlocks: 12
; VGPRBlocks: 7
; NumSGPRsForWavesPerEU: 100
; NumVGPRsForWavesPerEU: 29
; Occupancy: 8
; WaveLimiterHint : 1
; COMPUTE_PGM_RSRC2:SCRATCH_EN: 0
; COMPUTE_PGM_RSRC2:USER_SGPR: 6
; COMPUTE_PGM_RSRC2:TRAP_HANDLER: 0
; COMPUTE_PGM_RSRC2:TGID_X_EN: 1
; COMPUTE_PGM_RSRC2:TGID_Y_EN: 0
; COMPUTE_PGM_RSRC2:TGID_Z_EN: 1
; COMPUTE_PGM_RSRC2:TIDIG_COMP_CNT: 1
	.section	.text._ZL19rocblas_trsv_deviceILi64ELi16ELb0ELb1ELb1ELb1EfPKfPKS1_PKPfEviT7_lllT6_T8_lllPii,"axG",@progbits,_ZL19rocblas_trsv_deviceILi64ELi16ELb0ELb1ELb1ELb1EfPKfPKS1_PKPfEviT7_lllT6_T8_lllPii,comdat
	.globl	_ZL19rocblas_trsv_deviceILi64ELi16ELb0ELb1ELb1ELb1EfPKfPKS1_PKPfEviT7_lllT6_T8_lllPii ; -- Begin function _ZL19rocblas_trsv_deviceILi64ELi16ELb0ELb1ELb1ELb1EfPKfPKS1_PKPfEviT7_lllT6_T8_lllPii
	.p2align	8
	.type	_ZL19rocblas_trsv_deviceILi64ELi16ELb0ELb1ELb1ELb1EfPKfPKS1_PKPfEviT7_lllT6_T8_lllPii,@function
_ZL19rocblas_trsv_deviceILi64ELi16ELb0ELb1ELb1ELb1EfPKfPKS1_PKPfEviT7_lllT6_T8_lllPii: ; @_ZL19rocblas_trsv_deviceILi64ELi16ELb0ELb1ELb1ELb1EfPKfPKS1_PKPfEviT7_lllT6_T8_lllPii
; %bb.0:
	s_load_dwordx4 s[0:3], s[4:5], 0x8
	s_mov_b32 s28, s7
	s_mov_b32 s29, 0
	s_lshl_b64 s[8:9], s[28:29], 3
	s_waitcnt lgkmcnt(0)
	s_add_u32 s0, s0, s8
	s_addc_u32 s1, s1, s9
	s_load_dwordx2 s[10:11], s[0:1], 0x0
	s_load_dword s33, s[4:5], 0x0
	s_load_dwordx8 s[20:27], s[4:5], 0x28
	s_load_dwordx2 s[30:31], s[4:5], 0x18
	s_lshl_b64 s[0:1], s[2:3], 2
	s_waitcnt lgkmcnt(0)
	s_add_u32 s86, s10, s0
	s_addc_u32 s87, s11, s1
	s_add_u32 s0, s22, s8
	s_addc_u32 s1, s23, s9
	s_load_dwordx2 s[34:35], s[0:1], 0x0
	s_load_dword s17, s[20:21], 0x0
	s_load_dword s16, s[4:5], 0x6c
	s_cmp_eq_u32 s6, 0
	s_cbranch_scc1 .LBB99_10
; %bb.1:
	s_lshl_b32 s2, s6, 6
	v_add_u32_e32 v6, s2, v0
	v_ashrrev_i32_e32 v2, 31, v6
	v_mul_lo_u32 v7, s30, v2
	v_mul_lo_u32 v8, s31, v6
	v_mad_u64_u32 v[4:5], s[0:1], s30, v6, 0
	v_add_u32_e32 v2, s2, v1
	v_subrev_u32_e32 v2, 64, v2
	v_add3_u32 v5, v5, v7, v8
	v_lshlrev_b64 v[4:5], 2, v[4:5]
	v_ashrrev_i32_e32 v3, 31, v2
	v_cmp_gt_i32_e32 vcc, s33, v6
	v_mov_b32_e32 v6, s87
	v_add_co_u32_e64 v7, s[0:1], s86, v4
	v_lshlrev_b64 v[3:4], 2, v[2:3]
	v_addc_co_u32_e64 v5, s[0:1], v6, v5, s[0:1]
	v_add_co_u32_e64 v3, s[0:1], v7, v3
	v_addc_co_u32_e64 v4, s[0:1], v5, v4, s[0:1]
	v_cmp_gt_i32_e64 s[0:1], s33, v2
	s_and_b64 s[2:3], s[0:1], vcc
	v_mov_b32_e32 v7, 0
	v_mov_b32_e32 v8, 0
	s_waitcnt lgkmcnt(0)
	s_barrier
	s_and_saveexec_b64 s[0:1], s[2:3]
	s_cbranch_execz .LBB99_3
; %bb.2:
	flat_load_dword v8, v[3:4]
.LBB99_3:
	s_or_b64 exec, exec, s[0:1]
	v_add_u32_e32 v5, 16, v2
	v_cmp_gt_i32_e64 s[0:1], s33, v5
	s_and_b64 s[2:3], s[0:1], vcc
	s_waitcnt vmcnt(0) lgkmcnt(0)
	s_barrier
	s_and_saveexec_b64 s[0:1], s[2:3]
	s_cbranch_execz .LBB99_5
; %bb.4:
	flat_load_dword v7, v[3:4] offset:64
.LBB99_5:
	s_or_b64 exec, exec, s[0:1]
	v_add_u32_e32 v5, 32, v2
	v_cmp_gt_i32_e64 s[0:1], s33, v5
	s_and_b64 s[2:3], s[0:1], vcc
	v_mov_b32_e32 v9, 0
	v_mov_b32_e32 v10, 0
	s_waitcnt vmcnt(0) lgkmcnt(0)
	s_barrier
	s_and_saveexec_b64 s[0:1], s[2:3]
	s_cbranch_execz .LBB99_7
; %bb.6:
	flat_load_dword v10, v[3:4] offset:128
.LBB99_7:
	s_or_b64 exec, exec, s[0:1]
	v_add_u32_e32 v2, 48, v2
	v_cmp_gt_i32_e64 s[0:1], s33, v2
	s_and_b64 s[2:3], s[0:1], vcc
	s_waitcnt vmcnt(0) lgkmcnt(0)
	s_barrier
	s_and_saveexec_b64 s[0:1], s[2:3]
	s_cbranch_execz .LBB99_9
; %bb.8:
	flat_load_dword v9, v[3:4] offset:192
.LBB99_9:
	s_or_b64 exec, exec, s[0:1]
	s_branch .LBB99_11
.LBB99_10:
                                        ; implicit-def: $vgpr9
                                        ; implicit-def: $vgpr10
                                        ; implicit-def: $vgpr7
                                        ; implicit-def: $vgpr8
.LBB99_11:
	s_ashr_i32 s0, s33, 31
	s_lshr_b32 s0, s0, 26
	s_add_i32 s0, s33, s0
	s_andn2_b32 s0, s0, 63
	s_sub_i32 s7, s33, s0
	s_add_i32 s0, s33, -1
	s_ashr_i32 s1, s0, 31
	s_lshr_b32 s1, s1, 26
	s_add_i32 s0, s0, s1
	s_ashr_i32 s0, s0, 6
	s_cmp_eq_u32 s0, s6
	s_cselect_b64 s[0:1], -1, 0
	s_cmp_lg_u32 s7, 0
	s_cselect_b64 s[2:3], -1, 0
	s_and_b64 s[22:23], s[2:3], s[0:1]
	s_cmp_lt_i32 s6, 5
	s_cselect_b64 s[2:3], -1, 0
	s_mov_b64 s[12:13], -1
	s_or_b64 s[0:1], s[2:3], s[22:23]
	v_lshlrev_b32_e32 v4, 6, v0
	s_and_b64 vcc, exec, s[22:23]
	v_cmp_le_u32_e64 s[8:9], v1, v0
	v_lshlrev_b32_e32 v6, 2, v0
	s_cbranch_vccnz .LBB99_27
; %bb.12:
	s_add_u32 s10, s30, 1
	s_addc_u32 s11, s31, 0
	s_lshl_b32 s12, s6, 6
	s_ashr_i32 s13, s12, 31
	s_mul_hi_u32 s14, s10, s12
	s_mul_i32 s13, s10, s13
	s_add_i32 s13, s14, s13
	s_mul_i32 s11, s11, s12
	s_add_i32 s11, s13, s11
	s_mul_i32 s10, s10, s12
	s_lshl_b64 s[10:11], s[10:11], 2
	s_add_u32 s10, s86, s10
	s_addc_u32 s11, s87, s11
	v_lshlrev_b32_e32 v2, 2, v0
	v_mov_b32_e32 v3, s11
	v_add_co_u32_e32 v2, vcc, s10, v2
	v_mov_b32_e32 v5, 0
	v_addc_co_u32_e32 v3, vcc, 0, v3, vcc
	s_mov_b64 s[10:11], 0
	s_and_saveexec_b64 s[12:13], s[8:9]
	s_xor_b64 s[8:9], exec, s[12:13]
	s_cbranch_execnz .LBB99_1149
; %bb.13:
	s_andn2_saveexec_b64 s[8:9], s[8:9]
	s_cbranch_execnz .LBB99_1150
.LBB99_14:
	s_or_b64 exec, exec, s[8:9]
	s_and_saveexec_b64 s[8:9], s[10:11]
.LBB99_15:
	v_add_u32_e32 v11, v1, v4
	v_lshl_add_u32 v12, v1, 6, v0
	v_cndmask_b32_e64 v11, v12, v11, s[2:3]
	v_lshlrev_b32_e32 v11, 2, v11
	ds_write_b32 v11, v5
.LBB99_16:
	s_or_b64 exec, exec, s[8:9]
	v_add_u32_e32 v5, 16, v1
	v_cmp_le_u32_e32 vcc, v5, v0
	s_mov_b64 s[2:3], 0
	s_and_saveexec_b64 s[8:9], vcc
	s_xor_b64 s[8:9], exec, s[8:9]
	s_cbranch_execnz .LBB99_1151
; %bb.17:
	s_or_saveexec_b64 s[8:9], s[8:9]
	v_mov_b32_e32 v11, 0
	s_xor_b64 exec, exec, s[8:9]
	s_cbranch_execnz .LBB99_1152
.LBB99_18:
	s_or_b64 exec, exec, s[8:9]
	s_and_saveexec_b64 s[8:9], s[2:3]
.LBB99_19:
	v_add_u32_e32 v12, v5, v4
	v_lshl_add_u32 v5, v5, 6, v0
	v_cndmask_b32_e64 v5, v5, v12, s[0:1]
	v_lshlrev_b32_e32 v5, 2, v5
	ds_write_b32 v5, v11
.LBB99_20:
	s_or_b64 exec, exec, s[8:9]
	v_add_u32_e32 v5, 32, v1
	v_cmp_le_u32_e32 vcc, v5, v0
	s_mov_b64 s[2:3], 0
	s_and_saveexec_b64 s[8:9], vcc
	s_xor_b64 s[8:9], exec, s[8:9]
	s_cbranch_execnz .LBB99_1153
; %bb.21:
	s_or_saveexec_b64 s[8:9], s[8:9]
	v_mov_b32_e32 v11, 0
	s_xor_b64 exec, exec, s[8:9]
	s_cbranch_execnz .LBB99_1154
.LBB99_22:
	s_or_b64 exec, exec, s[8:9]
	s_and_saveexec_b64 s[8:9], s[2:3]
.LBB99_23:
	v_add_u32_e32 v12, v5, v4
	v_lshl_add_u32 v5, v5, 6, v0
	v_cndmask_b32_e64 v5, v5, v12, s[0:1]
	v_lshlrev_b32_e32 v5, 2, v5
	ds_write_b32 v5, v11
.LBB99_24:
	s_or_b64 exec, exec, s[8:9]
	v_add_u32_e32 v5, 48, v1
	v_add_u32_e32 v11, v5, v4
	v_lshl_add_u32 v12, v5, 6, v0
	v_cmp_le_u32_e32 vcc, v5, v0
	s_mov_b64 s[2:3], -1
	s_mov_b64 s[12:13], 0
	s_mov_b64 s[10:11], 0
	s_and_saveexec_b64 s[8:9], vcc
	s_xor_b64 s[8:9], exec, s[8:9]
; %bb.25:
	v_or_b32_e32 v13, v5, v0
	v_cmp_gt_u32_e32 vcc, 64, v13
	s_and_b64 s[10:11], vcc, exec
	s_xor_b64 s[2:3], exec, -1
; %bb.26:
	s_or_b64 exec, exec, s[8:9]
	v_cndmask_b32_e64 v11, v12, v11, s[0:1]
	s_and_b64 vcc, exec, s[12:13]
	s_cbranch_vccnz .LBB99_28
	s_branch .LBB99_43
.LBB99_27:
	s_mov_b64 s[2:3], 0
	s_mov_b64 s[10:11], 0
                                        ; implicit-def: $vgpr11
                                        ; implicit-def: $vgpr2_vgpr3
                                        ; implicit-def: $vgpr5
	s_and_b64 vcc, exec, s[12:13]
	s_cbranch_vccz .LBB99_43
.LBB99_28:
	s_add_u32 s2, s30, 1
	s_addc_u32 s3, s31, 0
	s_lshl_b32 s8, s6, 6
	s_ashr_i32 s9, s8, 31
	s_mul_hi_u32 s12, s2, s8
	s_mul_i32 s9, s2, s9
	s_add_i32 s9, s12, s9
	s_mul_i32 s3, s3, s8
	s_add_i32 s3, s9, s3
	s_mul_i32 s2, s2, s8
	s_lshl_b64 s[2:3], s[2:3], 2
	s_add_u32 s2, s86, s2
	s_addc_u32 s3, s87, s3
	v_lshlrev_b32_e32 v2, 2, v0
	v_mov_b32_e32 v3, s3
	v_add_co_u32_e64 v2, s[2:3], s2, v2
	v_addc_co_u32_e64 v3, s[2:3], 0, v3, s[2:3]
	v_max_i32_e32 v11, v1, v0
	v_cmp_le_u32_e64 s[2:3], v1, v0
	v_cmp_le_i32_e64 s[8:9], s7, v11
	v_cmp_gt_i32_e32 vcc, s7, v0
	v_mov_b32_e32 v5, 0
	s_or_b64 s[2:3], s[8:9], s[2:3]
	s_mov_b64 s[8:9], 0
	s_and_saveexec_b64 s[12:13], s[2:3]
	s_xor_b64 s[12:13], exec, s[12:13]
	s_cbranch_execnz .LBB99_1155
; %bb.29:
	s_andn2_saveexec_b64 s[12:13], s[12:13]
	s_cbranch_execnz .LBB99_1156
.LBB99_30:
	s_or_b64 exec, exec, s[12:13]
	s_and_saveexec_b64 s[2:3], s[8:9]
.LBB99_31:
	v_lshlrev_b32_e32 v11, 2, v4
	v_lshl_add_u32 v11, v1, 2, v11
	ds_write_b32 v11, v5
.LBB99_32:
	s_or_b64 exec, exec, s[2:3]
	v_add_u32_e32 v5, 16, v1
	v_cmp_gt_u32_e64 s[2:3], v5, v0
	v_cmp_gt_i32_e64 s[8:9], s7, v5
	s_and_b64 s[2:3], s[2:3], s[8:9]
	s_and_b64 s[2:3], s[2:3], vcc
	s_xor_b64 s[2:3], s[2:3], -1
	s_mov_b64 s[8:9], 0
	s_and_saveexec_b64 s[12:13], s[2:3]
	s_xor_b64 s[12:13], exec, s[12:13]
	s_cbranch_execnz .LBB99_1157
; %bb.33:
	s_or_saveexec_b64 s[12:13], s[12:13]
	v_mov_b32_e32 v11, 0
	s_xor_b64 exec, exec, s[12:13]
	s_cbranch_execnz .LBB99_1158
.LBB99_34:
	s_or_b64 exec, exec, s[12:13]
	s_and_saveexec_b64 s[2:3], s[8:9]
.LBB99_35:
	v_add_u32_e32 v12, v5, v4
	v_lshl_add_u32 v5, v5, 6, v0
	v_cndmask_b32_e64 v5, v5, v12, s[0:1]
	v_lshlrev_b32_e32 v5, 2, v5
	ds_write_b32 v5, v11
.LBB99_36:
	s_or_b64 exec, exec, s[2:3]
	v_add_u32_e32 v5, 32, v1
	v_cmp_gt_u32_e64 s[2:3], v5, v0
	v_cmp_gt_i32_e64 s[8:9], s7, v5
	s_and_b64 s[2:3], s[2:3], s[8:9]
	s_and_b64 s[2:3], s[2:3], vcc
	s_xor_b64 s[2:3], s[2:3], -1
	s_mov_b64 s[8:9], 0
	s_and_saveexec_b64 s[12:13], s[2:3]
	s_xor_b64 s[12:13], exec, s[12:13]
	s_cbranch_execnz .LBB99_1159
; %bb.37:
	s_or_saveexec_b64 s[12:13], s[12:13]
	v_mov_b32_e32 v11, 0
	s_xor_b64 exec, exec, s[12:13]
	s_cbranch_execnz .LBB99_1160
.LBB99_38:
	s_or_b64 exec, exec, s[12:13]
	s_and_saveexec_b64 s[2:3], s[8:9]
.LBB99_39:
	v_add_u32_e32 v12, v5, v4
	v_lshl_add_u32 v5, v5, 6, v0
	v_cndmask_b32_e64 v5, v5, v12, s[0:1]
	v_lshlrev_b32_e32 v5, 2, v5
	ds_write_b32 v5, v11
.LBB99_40:
	s_or_b64 exec, exec, s[2:3]
	v_add_u32_e32 v5, 48, v1
	v_cmp_gt_u32_e64 s[2:3], v5, v0
	v_cmp_gt_i32_e64 s[8:9], s7, v5
	s_and_b64 s[2:3], s[2:3], s[8:9]
	s_and_b64 s[8:9], s[2:3], vcc
	v_add_u32_e32 v4, v5, v4
	v_lshl_add_u32 v11, v5, 6, v0
	s_mov_b64 s[2:3], -1
	s_xor_b64 s[12:13], s[8:9], -1
	s_and_saveexec_b64 s[8:9], s[12:13]
; %bb.41:
	v_or_b32_e32 v12, v5, v0
	v_cmp_gt_u32_e32 vcc, 64, v12
	s_andn2_b64 s[2:3], s[10:11], exec
	s_and_b64 s[10:11], vcc, exec
	s_or_b64 s[10:11], s[2:3], s[10:11]
	s_xor_b64 s[2:3], exec, -1
; %bb.42:
	s_or_b64 exec, exec, s[8:9]
	v_cndmask_b32_e64 v11, v11, v4, s[0:1]
.LBB99_43:
	v_mov_b32_e32 v4, 0
	s_and_saveexec_b64 s[8:9], s[2:3]
	s_cbranch_execnz .LBB99_1127
; %bb.44:
	s_or_b64 exec, exec, s[8:9]
	s_xor_b64 s[0:1], s[0:1], -1
	s_and_saveexec_b64 s[2:3], s[10:11]
.LBB99_45:
	v_lshlrev_b32_e32 v2, 2, v11
	ds_write_b32 v2, v4
.LBB99_46:
	s_or_b64 exec, exec, s[2:3]
	v_cndmask_b32_e64 v2, 0, 1, s[0:1]
	v_cmp_ne_u32_e64 s[44:45], 1, v2
	s_andn2_b64 vcc, exec, s[0:1]
	s_waitcnt vmcnt(0) lgkmcnt(0)
	s_barrier
	s_cbranch_vccnz .LBB99_1084
; %bb.47:
	v_or_b32_e32 v2, v0, v1
	v_cmp_eq_u32_e32 vcc, 0, v2
	s_and_saveexec_b64 s[0:1], vcc
	s_cbranch_execz .LBB99_49
; %bb.48:
	v_mov_b32_e32 v4, 0
	ds_read_b32 v3, v4 offset:16376
	v_mov_b32_e32 v2, 1.0
	ds_write_b32 v4, v2 offset:16380
	s_waitcnt lgkmcnt(1)
	ds_write_b64 v4, v[2:3] offset:16120
.LBB99_49:
	s_or_b64 exec, exec, s[0:1]
	v_lshlrev_b32_e32 v3, 6, v1
	v_add_u32_e32 v5, v3, v0
	v_and_b32_e32 v4, v3, v0
	v_xor_b32_e32 v3, v3, v0
	v_lshrrev_b16_e32 v3, 1, v3
	v_add_u16_e32 v4, v4, v3
	v_and_b32_e32 v2, 1, v0
	v_sub_u32_e32 v3, 1, v4
	v_cmp_lt_u32_e64 s[8:9], 3, v5
	v_cmp_gt_u32_e64 s[2:3], 4, v5
	v_mov_b32_e32 v11, 0
	s_waitcnt lgkmcnt(0)
	s_barrier
	buffer_wbinvl1_vol
	s_and_saveexec_b64 s[0:1], s[2:3]
	s_cbranch_execz .LBB99_53
; %bb.50:
	v_lshlrev_b32_e32 v11, 8, v3
	v_lshlrev_b32_e32 v12, 2, v2
	ds_read_b32 v13, v12 offset:16112
	ds_read_b32 v11, v11 offset:16120
	v_mov_b32_e32 v12, 0
	v_cmp_gt_u32_e64 s[10:11], 2, v5
	s_waitcnt lgkmcnt(0)
	v_fma_f32 v11, v13, v11, 0
	s_and_saveexec_b64 s[12:13], s[10:11]
	s_cbranch_execz .LBB99_52
; %bb.51:
	v_lshlrev_b32_e32 v13, 2, v0
	ds_read_b32 v13, v13 offset:16368
	ds_read_b32 v12, v12 offset:16380
	s_waitcnt lgkmcnt(0)
	v_fmac_f32_e32 v11, v13, v12
.LBB99_52:
	s_or_b64 exec, exec, s[12:13]
.LBB99_53:
	s_or_b64 exec, exec, s[0:1]
	v_mov_b32_e32 v12, 0x4000
	v_cmp_ne_u32_e64 s[10:11], 0, v2
	s_xor_b64 s[0:1], s[8:9], -1
	v_lshl_add_u32 v4, v4, 2, v12
	s_and_b64 s[38:39], s[10:11], s[0:1]
	s_and_saveexec_b64 s[8:9], s[38:39]
; %bb.54:
	v_xor_b32_e32 v12, 0x80000000, v11
	ds_write_b32 v4, v12
; %bb.55:
	s_or_b64 exec, exec, s[8:9]
	v_cmp_eq_u32_e64 s[8:9], 0, v2
	s_and_b64 s[36:37], s[8:9], s[0:1]
	s_waitcnt lgkmcnt(0)
	s_barrier
	s_and_saveexec_b64 s[0:1], s[36:37]
	s_cbranch_execz .LBB99_57
; %bb.56:
	v_mov_b32_e32 v12, 0
	ds_read_b32 v12, v12 offset:15856
	ds_read_b32 v13, v4
	s_waitcnt lgkmcnt(0)
	v_fma_f32 v11, -v12, v13, v11
.LBB99_57:
	s_or_b64 exec, exec, s[0:1]
	s_barrier
	s_and_saveexec_b64 s[0:1], s[36:37]
; %bb.58:
	v_xor_b32_e32 v12, 0x80000000, v11
	ds_write_b32 v4, v12
; %bb.59:
	s_or_b64 exec, exec, s[0:1]
	s_waitcnt lgkmcnt(0)
	s_barrier
	s_barrier
	s_and_saveexec_b64 s[0:1], s[2:3]
; %bb.60:
	v_lshlrev_b32_e32 v12, 2, v2
	v_lshl_or_b32 v12, v3, 8, v12
	ds_write_b32 v12, v11 offset:16112
; %bb.61:
	s_or_b64 exec, exec, s[0:1]
	v_cmp_eq_u32_e64 s[12:13], 0, v1
	v_cmp_gt_u32_e64 s[8:9], 2, v0
	s_and_b64 s[40:41], s[12:13], s[8:9]
	s_waitcnt lgkmcnt(0)
	s_barrier
	s_barrier
	s_and_saveexec_b64 s[0:1], s[40:41]
	s_cbranch_execz .LBB99_63
; %bb.62:
	v_lshlrev_b32_e32 v11, 2, v0
	s_movk_i32 s8, 0xfc
	v_mad_u32_u24 v12, v0, s8, v11
	ds_read_b32 v13, v12 offset:16112
	s_waitcnt lgkmcnt(0)
	ds_write_b32 v11, v13 offset:15608
	ds_read_b32 v12, v12 offset:16116
	s_waitcnt lgkmcnt(0)
	ds_write_b32 v11, v12 offset:15864
.LBB99_63:
	s_or_b64 exec, exec, s[0:1]
	s_waitcnt lgkmcnt(0)
	s_barrier
	s_and_saveexec_b64 s[0:1], vcc
	s_cbranch_execz .LBB99_65
; %bb.64:
	v_mov_b32_e32 v13, 0
	ds_read_b32 v12, v13 offset:15856
	v_mov_b32_e32 v11, 1.0
	ds_write_b32 v13, v11 offset:15860
	s_waitcnt lgkmcnt(1)
	ds_write_b64 v13, v[11:12] offset:15600
.LBB99_65:
	s_or_b64 exec, exec, s[0:1]
	v_lshrrev_b32_e32 v13, 2, v5
	v_and_b32_e32 v11, 3, v0
	v_sub_u32_e32 v12, 3, v13
	v_cmp_lt_u32_e64 s[8:9], 15, v5
	v_cmp_gt_u32_e64 s[18:19], 16, v5
	v_mov_b32_e32 v14, 0
	s_waitcnt lgkmcnt(0)
	s_barrier
	buffer_wbinvl1_vol
	s_and_saveexec_b64 s[0:1], s[18:19]
	s_cbranch_execz .LBB99_71
; %bb.66:
	v_lshlrev_b32_e32 v16, 2, v11
	v_lshlrev_b32_e32 v15, 8, v12
	ds_read_b32 v14, v16 offset:15584
	ds_read_b32 v17, v15 offset:15600
	v_cmp_gt_u32_e64 s[10:11], 12, v5
	s_waitcnt lgkmcnt(0)
	v_fma_f32 v14, v14, v17, 0
	s_and_saveexec_b64 s[14:15], s[10:11]
	s_cbranch_execnz .LBB99_1172
; %bb.67:
	s_or_b64 exec, exec, s[14:15]
	v_cmp_gt_u32_e64 s[10:11], 8, v5
	s_and_saveexec_b64 s[14:15], s[10:11]
	s_cbranch_execnz .LBB99_1173
.LBB99_68:
	s_or_b64 exec, exec, s[14:15]
	v_cmp_gt_u32_e64 s[10:11], 4, v5
	s_and_saveexec_b64 s[14:15], s[10:11]
	s_cbranch_execz .LBB99_70
.LBB99_69:
	v_lshlrev_b32_e32 v15, 2, v0
	v_mov_b32_e32 v16, 0
	ds_read_b32 v15, v15 offset:16352
	ds_read_b32 v16, v16 offset:16380
	s_waitcnt lgkmcnt(0)
	v_fmac_f32_e32 v14, v15, v16
.LBB99_70:
	s_or_b64 exec, exec, s[14:15]
.LBB99_71:
                                        ; implicit-def: $vgpr28 : SGPR spill to VGPR lane
	v_writelane_b32 v28, s44, 0
	v_writelane_b32 v28, s45, 1
	;; [unrolled: 1-line block ×3, first 2 shown]
	s_or_b64 exec, exec, s[0:1]
	v_mov_b32_e32 v15, 0x4000
	v_cmp_eq_u32_e64 s[10:11], 3, v11
	s_xor_b64 s[0:1], s[8:9], -1
	v_lshl_add_u32 v13, v13, 2, v15
	s_and_b64 s[44:45], s[10:11], s[0:1]
	s_and_saveexec_b64 s[8:9], s[44:45]
; %bb.72:
	v_xor_b32_e32 v15, 0x80000000, v14
	ds_write_b32 v13, v15
; %bb.73:
	s_or_b64 exec, exec, s[8:9]
	v_cmp_ne_u32_e64 s[8:9], 3, v11
	s_and_b64 s[46:47], s[8:9], s[0:1]
	s_waitcnt lgkmcnt(0)
	s_barrier
	s_and_saveexec_b64 s[8:9], s[46:47]
	s_cbranch_execz .LBB99_75
; %bb.74:
	v_lshlrev_b32_e32 v15, 2, v11
	ds_read_b32 v15, v15 offset:15328
	ds_read_b32 v16, v13
	s_waitcnt lgkmcnt(0)
	v_fma_f32 v14, -v15, v16, v14
.LBB99_75:
	s_or_b64 exec, exec, s[8:9]
	v_cmp_eq_u32_e64 s[8:9], 2, v11
	s_and_b64 s[48:49], s[8:9], s[0:1]
	s_barrier
	s_and_saveexec_b64 s[8:9], s[48:49]
; %bb.76:
	v_xor_b32_e32 v15, 0x80000000, v14
	ds_write_b32 v13, v15
; %bb.77:
	s_or_b64 exec, exec, s[8:9]
	v_cmp_gt_u32_e64 s[8:9], 2, v11
	s_and_b64 s[50:51], s[8:9], s[0:1]
	s_waitcnt lgkmcnt(0)
	s_barrier
	s_and_saveexec_b64 s[8:9], s[50:51]
	s_cbranch_execz .LBB99_79
; %bb.78:
	v_lshlrev_b32_e32 v15, 2, v11
	ds_read_b32 v15, v15 offset:15072
	ds_read_b32 v16, v13
	s_waitcnt lgkmcnt(0)
	v_fma_f32 v14, -v15, v16, v14
.LBB99_79:
	s_or_b64 exec, exec, s[8:9]
	v_cmp_eq_u32_e64 s[8:9], 1, v11
	s_and_b64 s[52:53], s[8:9], s[0:1]
	s_barrier
	s_and_saveexec_b64 s[8:9], s[52:53]
; %bb.80:
	v_xor_b32_e32 v15, 0x80000000, v14
	ds_write_b32 v13, v15
; %bb.81:
	s_or_b64 exec, exec, s[8:9]
	v_cmp_eq_u32_e64 s[8:9], 0, v11
	s_and_b64 s[42:43], s[8:9], s[0:1]
	s_waitcnt lgkmcnt(0)
	s_barrier
	s_and_saveexec_b64 s[0:1], s[42:43]
	s_cbranch_execz .LBB99_83
; %bb.82:
	v_mov_b32_e32 v15, 0
	ds_read_b32 v15, v15 offset:14816
	ds_read_b32 v16, v13
	s_waitcnt lgkmcnt(0)
	v_fma_f32 v14, -v15, v16, v14
.LBB99_83:
	s_or_b64 exec, exec, s[0:1]
	s_barrier
	s_and_saveexec_b64 s[0:1], s[42:43]
; %bb.84:
	v_xor_b32_e32 v15, 0x80000000, v14
	ds_write_b32 v13, v15
; %bb.85:
	s_or_b64 exec, exec, s[0:1]
	s_waitcnt lgkmcnt(0)
	s_barrier
	s_barrier
	s_and_saveexec_b64 s[0:1], s[18:19]
; %bb.86:
	v_lshlrev_b32_e32 v15, 2, v11
	v_lshl_or_b32 v15, v12, 8, v15
	ds_write_b32 v15, v14 offset:15584
; %bb.87:
	s_or_b64 exec, exec, s[0:1]
	v_cmp_gt_u32_e64 s[8:9], 4, v0
	s_and_b64 s[54:55], s[12:13], s[8:9]
	s_waitcnt lgkmcnt(0)
	s_barrier
	s_barrier
	s_and_saveexec_b64 s[0:1], s[54:55]
	s_cbranch_execz .LBB99_89
; %bb.88:
	v_lshlrev_b32_e32 v14, 8, v0
	ds_read_b32 v15, v14 offset:15584
	s_movk_i32 s8, 0xff04
	v_mad_i32_i24 v16, v0, s8, v14
	s_waitcnt lgkmcnt(0)
	ds_write_b32 v16, v15 offset:14576
	ds_read_b32 v15, v14 offset:15588
	s_waitcnt lgkmcnt(0)
	ds_write_b32 v16, v15 offset:14832
	ds_read_b32 v15, v14 offset:15592
	;; [unrolled: 3-line block ×3, first 2 shown]
	s_waitcnt lgkmcnt(0)
	ds_write_b32 v16, v14 offset:15344
.LBB99_89:
	s_or_b64 exec, exec, s[0:1]
	s_waitcnt lgkmcnt(0)
	s_barrier
	s_and_saveexec_b64 s[0:1], vcc
	s_cbranch_execz .LBB99_91
; %bb.90:
	v_mov_b32_e32 v16, 0
	ds_read_b32 v15, v16 offset:15336
	v_mov_b32_e32 v14, 1.0
	ds_write_b32 v16, v14 offset:15340
	s_waitcnt lgkmcnt(1)
	ds_write_b64 v16, v[14:15] offset:15080
.LBB99_91:
	s_or_b64 exec, exec, s[0:1]
	v_mov_b32_e32 v14, 0
	s_waitcnt lgkmcnt(0)
	s_barrier
	buffer_wbinvl1_vol
	s_and_saveexec_b64 s[0:1], s[2:3]
	s_cbranch_execz .LBB99_95
; %bb.92:
	v_lshlrev_b32_e32 v14, 8, v3
	v_lshlrev_b32_e32 v15, 2, v2
	ds_read_b32 v16, v15 offset:15072
	ds_read_b32 v14, v14 offset:15080
	v_mov_b32_e32 v15, 0
	v_cmp_gt_u32_e64 s[8:9], 2, v5
	s_waitcnt lgkmcnt(0)
	v_fma_f32 v14, v16, v14, 0
	s_and_saveexec_b64 s[10:11], s[8:9]
	s_cbranch_execz .LBB99_94
; %bb.93:
	v_lshlrev_b32_e32 v16, 2, v0
	ds_read_b32 v16, v16 offset:15328
	ds_read_b32 v15, v15 offset:15340
	s_waitcnt lgkmcnt(0)
	v_fmac_f32_e32 v14, v16, v15
.LBB99_94:
	s_or_b64 exec, exec, s[10:11]
.LBB99_95:
	s_or_b64 exec, exec, s[0:1]
	s_and_saveexec_b64 s[0:1], s[38:39]
; %bb.96:
	v_xor_b32_e32 v15, 0x80000000, v14
	ds_write_b32 v4, v15
; %bb.97:
	s_or_b64 exec, exec, s[0:1]
	s_waitcnt lgkmcnt(0)
	s_barrier
	s_and_saveexec_b64 s[0:1], s[36:37]
	s_cbranch_execz .LBB99_99
; %bb.98:
	v_mov_b32_e32 v15, 0
	ds_read_b32 v15, v15 offset:14816
	ds_read_b32 v16, v4
	s_waitcnt lgkmcnt(0)
	v_fma_f32 v14, -v15, v16, v14
.LBB99_99:
	s_or_b64 exec, exec, s[0:1]
	s_barrier
	s_and_saveexec_b64 s[0:1], s[36:37]
; %bb.100:
	v_xor_b32_e32 v15, 0x80000000, v14
	ds_write_b32 v4, v15
; %bb.101:
	s_or_b64 exec, exec, s[0:1]
	s_waitcnt lgkmcnt(0)
	s_barrier
	s_barrier
	s_and_saveexec_b64 s[0:1], s[2:3]
; %bb.102:
	v_lshlrev_b32_e32 v15, 2, v2
	v_lshl_or_b32 v15, v3, 8, v15
	ds_write_b32 v15, v14 offset:15072
; %bb.103:
	s_or_b64 exec, exec, s[0:1]
	s_waitcnt lgkmcnt(0)
	s_barrier
	s_barrier
	s_and_saveexec_b64 s[0:1], s[40:41]
	s_cbranch_execz .LBB99_105
; %bb.104:
	v_lshlrev_b32_e32 v14, 2, v0
	s_movk_i32 s8, 0xfc
	v_mad_u32_u24 v15, v0, s8, v14
	ds_read_b32 v16, v15 offset:15072
	s_waitcnt lgkmcnt(0)
	ds_write_b32 v14, v16 offset:14568
	ds_read_b32 v15, v15 offset:15076
	s_waitcnt lgkmcnt(0)
	ds_write_b32 v14, v15 offset:14824
.LBB99_105:
	s_or_b64 exec, exec, s[0:1]
	s_waitcnt lgkmcnt(0)
	s_barrier
	s_and_saveexec_b64 s[0:1], vcc
	s_cbranch_execz .LBB99_107
; %bb.106:
	v_mov_b32_e32 v16, 0
	ds_read_b32 v15, v16 offset:14816
	v_mov_b32_e32 v14, 1.0
	ds_write_b32 v16, v14 offset:14820
	s_waitcnt lgkmcnt(1)
	ds_write_b64 v16, v[14:15] offset:14560
.LBB99_107:
	s_or_b64 exec, exec, s[0:1]
	v_lshrrev_b32_e32 v16, 3, v5
	v_and_b32_e32 v14, 7, v0
	v_sub_u32_e32 v15, 7, v16
	v_cmp_lt_u32_e64 s[10:11], 63, v5
	v_cmp_gt_u32_e64 s[8:9], 64, v5
	v_mov_b32_e32 v17, 0
	s_waitcnt lgkmcnt(0)
	s_barrier
	buffer_wbinvl1_vol
	s_and_saveexec_b64 s[0:1], s[8:9]
	s_cbranch_execz .LBB99_117
; %bb.108:
	v_lshlrev_b32_e32 v19, 2, v14
	v_lshlrev_b32_e32 v18, 8, v15
	ds_read_b32 v17, v19 offset:14528
	ds_read_b32 v20, v18 offset:14560
	v_cmp_gt_u32_e64 s[14:15], 56, v5
	s_waitcnt lgkmcnt(0)
	v_fma_f32 v17, v17, v20, 0
	s_and_saveexec_b64 s[16:17], s[14:15]
	s_cbranch_execnz .LBB99_1174
; %bb.109:
	s_or_b64 exec, exec, s[16:17]
	v_cmp_gt_u32_e64 s[14:15], 48, v5
	s_and_saveexec_b64 s[16:17], s[14:15]
	s_cbranch_execnz .LBB99_1175
.LBB99_110:
	s_or_b64 exec, exec, s[16:17]
	v_cmp_gt_u32_e64 s[14:15], 40, v5
	s_and_saveexec_b64 s[16:17], s[14:15]
	s_cbranch_execnz .LBB99_1176
.LBB99_111:
	s_or_b64 exec, exec, s[16:17]
	v_cmp_gt_u32_e64 s[14:15], 32, v5
	s_and_saveexec_b64 s[16:17], s[14:15]
	s_cbranch_execnz .LBB99_1177
.LBB99_112:
	s_or_b64 exec, exec, s[16:17]
	v_cmp_gt_u32_e64 s[14:15], 24, v5
	s_and_saveexec_b64 s[16:17], s[14:15]
	s_cbranch_execnz .LBB99_1178
.LBB99_113:
	s_or_b64 exec, exec, s[16:17]
	s_and_saveexec_b64 s[14:15], s[18:19]
	s_cbranch_execnz .LBB99_1179
.LBB99_114:
	s_or_b64 exec, exec, s[14:15]
	v_cmp_gt_u32_e64 s[14:15], 8, v5
	s_and_saveexec_b64 s[16:17], s[14:15]
	s_cbranch_execz .LBB99_116
.LBB99_115:
	v_lshlrev_b32_e32 v18, 2, v0
	v_mov_b32_e32 v19, 0
	ds_read_b32 v18, v18 offset:16320
	ds_read_b32 v19, v19 offset:16380
	s_waitcnt lgkmcnt(0)
	v_fmac_f32_e32 v17, v18, v19
.LBB99_116:
	s_or_b64 exec, exec, s[16:17]
.LBB99_117:
	s_or_b64 exec, exec, s[0:1]
	v_mov_b32_e32 v18, 0x4000
	v_cmp_eq_u32_e64 s[14:15], 7, v14
	s_xor_b64 s[0:1], s[10:11], -1
	v_lshl_add_u32 v16, v16, 2, v18
	s_and_b64 s[56:57], s[14:15], s[0:1]
	s_and_saveexec_b64 s[10:11], s[56:57]
; %bb.118:
	v_xor_b32_e32 v18, 0x80000000, v17
	ds_write_b32 v16, v18
; %bb.119:
	s_or_b64 exec, exec, s[10:11]
	v_cmp_ne_u32_e64 s[10:11], 7, v14
	s_and_b64 s[58:59], s[10:11], s[0:1]
	s_waitcnt lgkmcnt(0)
	s_barrier
	s_and_saveexec_b64 s[10:11], s[58:59]
	s_cbranch_execz .LBB99_121
; %bb.120:
	v_lshlrev_b32_e32 v18, 2, v14
	ds_read_b32 v18, v18 offset:14272
	ds_read_b32 v19, v16
	s_waitcnt lgkmcnt(0)
	v_fma_f32 v17, -v18, v19, v17
.LBB99_121:
	s_or_b64 exec, exec, s[10:11]
	v_cmp_eq_u32_e64 s[10:11], 6, v14
	s_and_b64 s[60:61], s[10:11], s[0:1]
	s_barrier
	s_and_saveexec_b64 s[10:11], s[60:61]
; %bb.122:
	v_xor_b32_e32 v18, 0x80000000, v17
	ds_write_b32 v16, v18
; %bb.123:
	s_or_b64 exec, exec, s[10:11]
	v_cmp_gt_u32_e64 s[10:11], 6, v14
	s_and_b64 s[62:63], s[10:11], s[0:1]
	s_waitcnt lgkmcnt(0)
	s_barrier
	s_and_saveexec_b64 s[10:11], s[62:63]
	s_cbranch_execz .LBB99_125
; %bb.124:
	v_lshlrev_b32_e32 v18, 2, v14
	ds_read_b32 v18, v18 offset:14016
	ds_read_b32 v19, v16
	s_waitcnt lgkmcnt(0)
	v_fma_f32 v17, -v18, v19, v17
.LBB99_125:
	s_or_b64 exec, exec, s[10:11]
	v_cmp_eq_u32_e64 s[10:11], 5, v14
	s_and_b64 s[64:65], s[10:11], s[0:1]
	s_barrier
	s_and_saveexec_b64 s[10:11], s[64:65]
; %bb.126:
	v_xor_b32_e32 v18, 0x80000000, v17
	ds_write_b32 v16, v18
; %bb.127:
	s_or_b64 exec, exec, s[10:11]
	v_cmp_gt_u32_e64 s[10:11], 5, v14
	;; [unrolled: 23-line block ×5, first 2 shown]
	s_and_b64 s[80:81], s[10:11], s[0:1]
	s_waitcnt lgkmcnt(0)
	s_barrier
	s_and_saveexec_b64 s[10:11], s[80:81]
	s_cbranch_execz .LBB99_141
; %bb.140:
	v_lshlrev_b32_e32 v18, 2, v14
	ds_read_b32 v18, v18 offset:12992
	ds_read_b32 v19, v16
	s_waitcnt lgkmcnt(0)
	v_fma_f32 v17, -v18, v19, v17
.LBB99_141:
	s_or_b64 exec, exec, s[10:11]
	v_cmp_eq_u32_e64 s[10:11], 1, v14
	s_and_b64 s[82:83], s[10:11], s[0:1]
	s_barrier
	s_and_saveexec_b64 s[10:11], s[82:83]
; %bb.142:
	v_xor_b32_e32 v18, 0x80000000, v17
	ds_write_b32 v16, v18
; %bb.143:
	s_or_b64 exec, exec, s[10:11]
	v_cmp_eq_u32_e64 s[10:11], 0, v14
	s_and_b64 s[66:67], s[10:11], s[0:1]
	s_waitcnt lgkmcnt(0)
	s_barrier
	s_and_saveexec_b64 s[0:1], s[66:67]
	s_cbranch_execz .LBB99_145
; %bb.144:
	v_mov_b32_e32 v18, 0
	ds_read_b32 v18, v18 offset:12736
	ds_read_b32 v19, v16
	s_waitcnt lgkmcnt(0)
	v_fma_f32 v17, -v18, v19, v17
.LBB99_145:
	s_or_b64 exec, exec, s[0:1]
	s_barrier
	s_and_saveexec_b64 s[0:1], s[66:67]
; %bb.146:
	v_xor_b32_e32 v18, 0x80000000, v17
	ds_write_b32 v16, v18
; %bb.147:
	s_or_b64 exec, exec, s[0:1]
	s_waitcnt lgkmcnt(0)
	s_barrier
	s_barrier
	s_and_saveexec_b64 s[0:1], s[8:9]
; %bb.148:
	v_lshlrev_b32_e32 v18, 2, v14
	v_lshl_or_b32 v18, v15, 8, v18
	ds_write_b32 v18, v17 offset:14528
; %bb.149:
	s_or_b64 exec, exec, s[0:1]
	v_cmp_gt_u32_e64 s[10:11], 8, v0
	s_and_b64 s[84:85], s[12:13], s[10:11]
	s_waitcnt lgkmcnt(0)
	s_barrier
	s_barrier
	s_and_saveexec_b64 s[0:1], s[84:85]
	s_cbranch_execz .LBB99_151
; %bb.150:
	v_lshlrev_b32_e32 v17, 8, v0
	ds_read_b32 v18, v17 offset:14528
	s_movk_i32 s10, 0xff04
	v_mad_i32_i24 v19, v0, s10, v17
	s_waitcnt lgkmcnt(0)
	ds_write_b32 v19, v18 offset:12512
	ds_read_b32 v18, v17 offset:14532
	s_waitcnt lgkmcnt(0)
	ds_write_b32 v19, v18 offset:12768
	ds_read_b32 v18, v17 offset:14536
	;; [unrolled: 3-line block ×7, first 2 shown]
	s_waitcnt lgkmcnt(0)
	ds_write_b32 v19, v17 offset:14304
.LBB99_151:
	s_or_b64 exec, exec, s[0:1]
	s_waitcnt lgkmcnt(0)
	s_barrier
	s_and_saveexec_b64 s[0:1], vcc
	s_cbranch_execz .LBB99_153
; %bb.152:
	v_mov_b32_e32 v19, 0
	ds_read_b32 v18, v19 offset:14296
	v_mov_b32_e32 v17, 1.0
	ds_write_b32 v19, v17 offset:14300
	s_waitcnt lgkmcnt(1)
	ds_write_b64 v19, v[17:18] offset:14040
.LBB99_153:
	s_or_b64 exec, exec, s[0:1]
	v_mov_b32_e32 v17, 0
	s_waitcnt lgkmcnt(0)
	s_barrier
	buffer_wbinvl1_vol
	s_and_saveexec_b64 s[0:1], s[2:3]
	s_cbranch_execz .LBB99_157
; %bb.154:
	v_lshlrev_b32_e32 v17, 8, v3
	v_lshlrev_b32_e32 v18, 2, v2
	ds_read_b32 v19, v18 offset:14032
	ds_read_b32 v17, v17 offset:14040
	v_mov_b32_e32 v18, 0
	v_cmp_gt_u32_e64 s[10:11], 2, v5
	s_waitcnt lgkmcnt(0)
	v_fma_f32 v17, v19, v17, 0
	s_and_saveexec_b64 s[14:15], s[10:11]
	s_cbranch_execz .LBB99_156
; %bb.155:
	v_lshlrev_b32_e32 v19, 2, v0
	ds_read_b32 v19, v19 offset:14288
	ds_read_b32 v18, v18 offset:14300
	s_waitcnt lgkmcnt(0)
	v_fmac_f32_e32 v17, v19, v18
.LBB99_156:
	s_or_b64 exec, exec, s[14:15]
.LBB99_157:
	s_or_b64 exec, exec, s[0:1]
	s_and_saveexec_b64 s[0:1], s[38:39]
; %bb.158:
	v_xor_b32_e32 v18, 0x80000000, v17
	ds_write_b32 v4, v18
; %bb.159:
	s_or_b64 exec, exec, s[0:1]
	s_waitcnt lgkmcnt(0)
	s_barrier
	s_and_saveexec_b64 s[0:1], s[36:37]
	s_cbranch_execz .LBB99_161
; %bb.160:
	v_mov_b32_e32 v18, 0
	ds_read_b32 v18, v18 offset:13776
	ds_read_b32 v19, v4
	s_waitcnt lgkmcnt(0)
	v_fma_f32 v17, -v18, v19, v17
.LBB99_161:
	s_or_b64 exec, exec, s[0:1]
	s_barrier
	s_and_saveexec_b64 s[0:1], s[36:37]
; %bb.162:
	v_xor_b32_e32 v18, 0x80000000, v17
	ds_write_b32 v4, v18
; %bb.163:
	s_or_b64 exec, exec, s[0:1]
	s_waitcnt lgkmcnt(0)
	s_barrier
	s_barrier
	s_and_saveexec_b64 s[0:1], s[2:3]
; %bb.164:
	v_lshlrev_b32_e32 v18, 2, v2
	v_lshl_or_b32 v18, v3, 8, v18
	ds_write_b32 v18, v17 offset:14032
; %bb.165:
	s_or_b64 exec, exec, s[0:1]
	s_waitcnt lgkmcnt(0)
	s_barrier
	s_barrier
	s_and_saveexec_b64 s[0:1], s[40:41]
	s_cbranch_execz .LBB99_167
; %bb.166:
	v_lshlrev_b32_e32 v17, 2, v0
	s_movk_i32 s10, 0xfc
	v_mad_u32_u24 v18, v0, s10, v17
	ds_read_b32 v19, v18 offset:14032
	s_waitcnt lgkmcnt(0)
	ds_write_b32 v17, v19 offset:13528
	ds_read_b32 v18, v18 offset:14036
	s_waitcnt lgkmcnt(0)
	ds_write_b32 v17, v18 offset:13784
.LBB99_167:
	s_or_b64 exec, exec, s[0:1]
	s_waitcnt lgkmcnt(0)
	s_barrier
	s_and_saveexec_b64 s[0:1], vcc
	s_cbranch_execz .LBB99_169
; %bb.168:
	v_mov_b32_e32 v19, 0
	ds_read_b32 v18, v19 offset:13776
	v_mov_b32_e32 v17, 1.0
	ds_write_b32 v19, v17 offset:13780
	s_waitcnt lgkmcnt(1)
	ds_write_b64 v19, v[17:18] offset:13520
.LBB99_169:
	s_or_b64 exec, exec, s[0:1]
	v_mov_b32_e32 v17, 0
	s_waitcnt lgkmcnt(0)
	s_barrier
	buffer_wbinvl1_vol
	s_and_saveexec_b64 s[0:1], s[18:19]
	s_cbranch_execz .LBB99_175
; %bb.170:
	v_lshlrev_b32_e32 v19, 2, v11
	v_lshlrev_b32_e32 v18, 8, v12
	ds_read_b32 v17, v19 offset:13504
	ds_read_b32 v20, v18 offset:13520
	v_cmp_gt_u32_e64 s[10:11], 12, v5
	s_waitcnt lgkmcnt(0)
	v_fma_f32 v17, v17, v20, 0
	s_and_saveexec_b64 s[14:15], s[10:11]
	s_cbranch_execnz .LBB99_1180
; %bb.171:
	s_or_b64 exec, exec, s[14:15]
	v_cmp_gt_u32_e64 s[10:11], 8, v5
	s_and_saveexec_b64 s[14:15], s[10:11]
	s_cbranch_execnz .LBB99_1181
.LBB99_172:
	s_or_b64 exec, exec, s[14:15]
	v_cmp_gt_u32_e64 s[10:11], 4, v5
	s_and_saveexec_b64 s[14:15], s[10:11]
	s_cbranch_execz .LBB99_174
.LBB99_173:
	v_lshlrev_b32_e32 v18, 2, v0
	v_mov_b32_e32 v19, 0
	ds_read_b32 v18, v18 offset:14272
	ds_read_b32 v19, v19 offset:14300
	s_waitcnt lgkmcnt(0)
	v_fmac_f32_e32 v17, v18, v19
.LBB99_174:
	s_or_b64 exec, exec, s[14:15]
.LBB99_175:
	s_or_b64 exec, exec, s[0:1]
	s_and_saveexec_b64 s[0:1], s[44:45]
; %bb.176:
	v_xor_b32_e32 v18, 0x80000000, v17
	ds_write_b32 v13, v18
; %bb.177:
	s_or_b64 exec, exec, s[0:1]
	s_waitcnt lgkmcnt(0)
	s_barrier
	s_and_saveexec_b64 s[0:1], s[46:47]
	s_cbranch_execz .LBB99_179
; %bb.178:
	v_lshlrev_b32_e32 v18, 2, v11
	ds_read_b32 v18, v18 offset:13248
	ds_read_b32 v19, v13
	s_waitcnt lgkmcnt(0)
	v_fma_f32 v17, -v18, v19, v17
.LBB99_179:
	s_or_b64 exec, exec, s[0:1]
	s_barrier
	s_and_saveexec_b64 s[0:1], s[48:49]
; %bb.180:
	v_xor_b32_e32 v18, 0x80000000, v17
	ds_write_b32 v13, v18
; %bb.181:
	s_or_b64 exec, exec, s[0:1]
	s_waitcnt lgkmcnt(0)
	s_barrier
	s_and_saveexec_b64 s[0:1], s[50:51]
	s_cbranch_execz .LBB99_183
; %bb.182:
	v_lshlrev_b32_e32 v18, 2, v11
	ds_read_b32 v18, v18 offset:12992
	ds_read_b32 v19, v13
	s_waitcnt lgkmcnt(0)
	v_fma_f32 v17, -v18, v19, v17
.LBB99_183:
	s_or_b64 exec, exec, s[0:1]
	s_barrier
	s_and_saveexec_b64 s[0:1], s[52:53]
; %bb.184:
	v_xor_b32_e32 v18, 0x80000000, v17
	ds_write_b32 v13, v18
; %bb.185:
	s_or_b64 exec, exec, s[0:1]
	s_waitcnt lgkmcnt(0)
	s_barrier
	s_and_saveexec_b64 s[0:1], s[42:43]
	s_cbranch_execz .LBB99_187
; %bb.186:
	v_mov_b32_e32 v18, 0
	ds_read_b32 v18, v18 offset:12736
	ds_read_b32 v19, v13
	s_waitcnt lgkmcnt(0)
	v_fma_f32 v17, -v18, v19, v17
.LBB99_187:
	s_or_b64 exec, exec, s[0:1]
	s_barrier
	s_and_saveexec_b64 s[0:1], s[42:43]
; %bb.188:
	v_xor_b32_e32 v18, 0x80000000, v17
	ds_write_b32 v13, v18
; %bb.189:
	s_or_b64 exec, exec, s[0:1]
	s_waitcnt lgkmcnt(0)
	s_barrier
	s_barrier
	s_and_saveexec_b64 s[0:1], s[18:19]
; %bb.190:
	v_lshlrev_b32_e32 v18, 2, v11
	v_lshl_or_b32 v18, v12, 8, v18
	ds_write_b32 v18, v17 offset:13504
; %bb.191:
	s_or_b64 exec, exec, s[0:1]
	s_waitcnt lgkmcnt(0)
	s_barrier
	s_barrier
	s_and_saveexec_b64 s[0:1], s[54:55]
	s_cbranch_execz .LBB99_193
; %bb.192:
	v_lshlrev_b32_e32 v17, 8, v0
	ds_read_b32 v18, v17 offset:13504
	s_movk_i32 s10, 0xff04
	v_mad_i32_i24 v19, v0, s10, v17
	s_waitcnt lgkmcnt(0)
	ds_write_b32 v19, v18 offset:12496
	ds_read_b32 v18, v17 offset:13508
	s_waitcnt lgkmcnt(0)
	ds_write_b32 v19, v18 offset:12752
	ds_read_b32 v18, v17 offset:13512
	;; [unrolled: 3-line block ×3, first 2 shown]
	s_waitcnt lgkmcnt(0)
	ds_write_b32 v19, v17 offset:13264
.LBB99_193:
	s_or_b64 exec, exec, s[0:1]
	s_waitcnt lgkmcnt(0)
	s_barrier
	s_and_saveexec_b64 s[0:1], vcc
	s_cbranch_execz .LBB99_195
; %bb.194:
	v_mov_b32_e32 v19, 0
	ds_read_b32 v18, v19 offset:13256
	v_mov_b32_e32 v17, 1.0
	ds_write_b32 v19, v17 offset:13260
	s_waitcnt lgkmcnt(1)
	ds_write_b64 v19, v[17:18] offset:13000
.LBB99_195:
	s_or_b64 exec, exec, s[0:1]
	v_mov_b32_e32 v17, 0
	s_waitcnt lgkmcnt(0)
	s_barrier
	buffer_wbinvl1_vol
	s_and_saveexec_b64 s[0:1], s[2:3]
	s_cbranch_execz .LBB99_199
; %bb.196:
	v_lshlrev_b32_e32 v17, 8, v3
	v_lshlrev_b32_e32 v18, 2, v2
	ds_read_b32 v19, v18 offset:12992
	ds_read_b32 v17, v17 offset:13000
	v_mov_b32_e32 v18, 0
	v_cmp_gt_u32_e64 s[10:11], 2, v5
	s_waitcnt lgkmcnt(0)
	v_fma_f32 v17, v19, v17, 0
	s_and_saveexec_b64 s[14:15], s[10:11]
	s_cbranch_execz .LBB99_198
; %bb.197:
	v_lshlrev_b32_e32 v19, 2, v0
	ds_read_b32 v19, v19 offset:13248
	ds_read_b32 v18, v18 offset:13260
	s_waitcnt lgkmcnt(0)
	v_fmac_f32_e32 v17, v19, v18
.LBB99_198:
	s_or_b64 exec, exec, s[14:15]
.LBB99_199:
	s_or_b64 exec, exec, s[0:1]
	s_and_saveexec_b64 s[0:1], s[38:39]
; %bb.200:
	v_xor_b32_e32 v18, 0x80000000, v17
	ds_write_b32 v4, v18
; %bb.201:
	s_or_b64 exec, exec, s[0:1]
	s_waitcnt lgkmcnt(0)
	s_barrier
	s_and_saveexec_b64 s[0:1], s[36:37]
	s_cbranch_execz .LBB99_203
; %bb.202:
	v_mov_b32_e32 v18, 0
	ds_read_b32 v18, v18 offset:12736
	ds_read_b32 v19, v4
	s_waitcnt lgkmcnt(0)
	v_fma_f32 v17, -v18, v19, v17
.LBB99_203:
	s_or_b64 exec, exec, s[0:1]
	s_barrier
	s_and_saveexec_b64 s[0:1], s[36:37]
; %bb.204:
	v_xor_b32_e32 v18, 0x80000000, v17
	ds_write_b32 v4, v18
; %bb.205:
	s_or_b64 exec, exec, s[0:1]
	s_waitcnt lgkmcnt(0)
	s_barrier
	s_barrier
	s_and_saveexec_b64 s[0:1], s[2:3]
; %bb.206:
	v_lshlrev_b32_e32 v18, 2, v2
	v_lshl_or_b32 v18, v3, 8, v18
	ds_write_b32 v18, v17 offset:12992
; %bb.207:
	s_or_b64 exec, exec, s[0:1]
	s_waitcnt lgkmcnt(0)
	s_barrier
	s_barrier
	s_and_saveexec_b64 s[0:1], s[40:41]
	s_cbranch_execz .LBB99_209
; %bb.208:
	v_lshlrev_b32_e32 v17, 2, v0
	s_movk_i32 s10, 0xfc
	v_mad_u32_u24 v18, v0, s10, v17
	ds_read_b32 v19, v18 offset:12992
	s_waitcnt lgkmcnt(0)
	ds_write_b32 v17, v19 offset:12488
	ds_read_b32 v18, v18 offset:12996
	s_waitcnt lgkmcnt(0)
	ds_write_b32 v17, v18 offset:12744
.LBB99_209:
	s_or_b64 exec, exec, s[0:1]
	s_waitcnt lgkmcnt(0)
	s_barrier
	s_and_saveexec_b64 s[0:1], vcc
	s_cbranch_execz .LBB99_211
; %bb.210:
	v_mov_b32_e32 v19, 0
	ds_read_b32 v18, v19 offset:12736
	v_mov_b32_e32 v17, 1.0
	ds_write_b32 v19, v17 offset:12740
	s_waitcnt lgkmcnt(1)
	ds_write_b64 v19, v[17:18] offset:12480
.LBB99_211:
	s_or_b64 exec, exec, s[0:1]
	s_movk_i32 s0, 0xff
	v_lshrrev_b32_e32 v19, 4, v5
	v_cmp_lt_u32_e64 s[14:15], s0, v5
	s_movk_i32 s0, 0x100
	v_and_b32_e32 v17, 15, v0
	v_sub_u32_e32 v18, 15, v19
	v_cmp_gt_u32_e64 s[10:11], s0, v5
	v_mov_b32_e32 v20, 0
	s_waitcnt lgkmcnt(0)
	s_barrier
	buffer_wbinvl1_vol
	s_and_saveexec_b64 s[0:1], s[10:11]
	s_cbranch_execz .LBB99_239
; %bb.212:
	v_lshlrev_b32_e32 v22, 2, v17
	v_lshlrev_b32_e32 v21, 8, v18
	ds_read_b32 v20, v22 offset:12416
	ds_read_b32 v23, v21 offset:12480
	s_movk_i32 s16, 0xf0
	v_cmp_gt_u32_e64 s[16:17], s16, v5
	s_waitcnt lgkmcnt(0)
	v_fma_f32 v20, v20, v23, 0
	s_and_saveexec_b64 s[20:21], s[16:17]
	s_cbranch_execz .LBB99_214
; %bb.213:
	ds_read_b32 v23, v22 offset:12672
	ds_read_b32 v24, v21 offset:12484
	s_waitcnt lgkmcnt(0)
	v_fmac_f32_e32 v20, v23, v24
.LBB99_214:
	s_or_b64 exec, exec, s[20:21]
	s_movk_i32 s16, 0xe0
	v_cmp_gt_u32_e64 s[16:17], s16, v5
	s_and_saveexec_b64 s[20:21], s[16:17]
	s_cbranch_execz .LBB99_216
; %bb.215:
	ds_read_b32 v23, v22 offset:12928
	ds_read_b32 v24, v21 offset:12488
	s_waitcnt lgkmcnt(0)
	v_fmac_f32_e32 v20, v23, v24
.LBB99_216:
	s_or_b64 exec, exec, s[20:21]
	s_movk_i32 s16, 0xd0
	v_cmp_gt_u32_e64 s[16:17], s16, v5
	;; [unrolled: 11-line block ×10, first 2 shown]
	s_and_saveexec_b64 s[20:21], s[16:17]
	s_cbranch_execnz .LBB99_1182
; %bb.233:
	s_or_b64 exec, exec, s[20:21]
	s_and_saveexec_b64 s[16:17], s[8:9]
	s_cbranch_execnz .LBB99_1183
.LBB99_234:
	s_or_b64 exec, exec, s[16:17]
	v_cmp_gt_u32_e64 s[16:17], 48, v5
	s_and_saveexec_b64 s[20:21], s[16:17]
	s_cbranch_execnz .LBB99_1184
.LBB99_235:
	s_or_b64 exec, exec, s[20:21]
	v_cmp_gt_u32_e64 s[16:17], 32, v5
	s_and_saveexec_b64 s[20:21], s[16:17]
	s_cbranch_execnz .LBB99_1185
.LBB99_236:
	s_or_b64 exec, exec, s[20:21]
	v_cmp_gt_u32_e64 s[16:17], 16, v5
	s_and_saveexec_b64 s[20:21], s[16:17]
	s_cbranch_execz .LBB99_238
.LBB99_237:
	v_lshlrev_b32_e32 v21, 2, v0
	v_mov_b32_e32 v22, 0
	ds_read_b32 v21, v21 offset:16256
	ds_read_b32 v22, v22 offset:16380
	s_waitcnt lgkmcnt(0)
	v_fmac_f32_e32 v20, v21, v22
.LBB99_238:
	s_or_b64 exec, exec, s[20:21]
.LBB99_239:
	s_or_b64 exec, exec, s[0:1]
	v_mov_b32_e32 v21, 0x4000
	v_lshl_add_u32 v19, v19, 2, v21
	v_cmp_eq_u32_e64 s[16:17], 15, v17
	s_xor_b64 s[20:21], s[14:15], -1
	s_and_b64 s[14:15], s[16:17], s[20:21]
	s_mov_b64 s[0:1], exec
	v_writelane_b32 v28, s14, 3
	v_writelane_b32 v28, s15, 4
	s_and_b64 s[14:15], s[0:1], s[14:15]
	s_mov_b64 exec, s[14:15]
; %bb.240:
	v_xor_b32_e32 v21, 0x80000000, v20
	ds_write_b32 v19, v21
; %bb.241:
	s_or_b64 exec, exec, s[0:1]
	v_cmp_ne_u32_e64 s[14:15], 15, v17
	s_waitcnt lgkmcnt(0)
	s_barrier
	s_and_b64 s[14:15], s[14:15], s[20:21]
	s_mov_b64 s[0:1], exec
	v_writelane_b32 v28, s14, 5
	v_writelane_b32 v28, s15, 6
	s_and_b64 s[14:15], s[0:1], s[14:15]
	s_mov_b64 exec, s[14:15]
	s_cbranch_execz .LBB99_243
; %bb.242:
	v_lshlrev_b32_e32 v21, 2, v17
	ds_read_b32 v21, v21 offset:12160
	ds_read_b32 v22, v19
	s_waitcnt lgkmcnt(0)
	v_fma_f32 v20, -v21, v22, v20
.LBB99_243:
	s_or_b64 exec, exec, s[0:1]
	v_cmp_eq_u32_e64 s[14:15], 14, v17
	s_barrier
	s_and_b64 s[14:15], s[14:15], s[20:21]
	s_mov_b64 s[0:1], exec
	v_writelane_b32 v28, s14, 7
	v_writelane_b32 v28, s15, 8
	s_and_b64 s[14:15], s[0:1], s[14:15]
	s_mov_b64 exec, s[14:15]
; %bb.244:
	v_xor_b32_e32 v21, 0x80000000, v20
	ds_write_b32 v19, v21
; %bb.245:
	s_or_b64 exec, exec, s[0:1]
	v_cmp_gt_u32_e64 s[14:15], 14, v17
	s_waitcnt lgkmcnt(0)
	s_barrier
	s_and_b64 s[14:15], s[14:15], s[20:21]
	s_mov_b64 s[0:1], exec
	v_writelane_b32 v28, s14, 9
	v_writelane_b32 v28, s15, 10
	s_and_b64 s[14:15], s[0:1], s[14:15]
	s_mov_b64 exec, s[14:15]
	s_cbranch_execz .LBB99_247
; %bb.246:
	v_lshlrev_b32_e32 v21, 2, v17
	ds_read_b32 v21, v21 offset:11904
	ds_read_b32 v22, v19
	s_waitcnt lgkmcnt(0)
	v_fma_f32 v20, -v21, v22, v20
.LBB99_247:
	s_or_b64 exec, exec, s[0:1]
	v_cmp_eq_u32_e64 s[14:15], 13, v17
	s_barrier
	s_and_b64 s[14:15], s[14:15], s[20:21]
	s_mov_b64 s[0:1], exec
	v_writelane_b32 v28, s14, 11
	v_writelane_b32 v28, s15, 12
	s_and_b64 s[14:15], s[0:1], s[14:15]
	s_mov_b64 exec, s[14:15]
; %bb.248:
	v_xor_b32_e32 v21, 0x80000000, v20
	ds_write_b32 v19, v21
; %bb.249:
	s_or_b64 exec, exec, s[0:1]
	v_cmp_gt_u32_e64 s[14:15], 13, v17
	;; [unrolled: 31-line block ×13, first 2 shown]
	s_and_b64 s[0:1], s[14:15], s[20:21]
	s_waitcnt lgkmcnt(0)
	s_barrier
	s_and_saveexec_b64 s[14:15], s[0:1]
	s_cbranch_execz .LBB99_295
; %bb.294:
	v_lshlrev_b32_e32 v21, 2, v17
	ds_read_b32 v21, v21 offset:8832
	ds_read_b32 v22, v19
	s_waitcnt lgkmcnt(0)
	v_fma_f32 v20, -v21, v22, v20
.LBB99_295:
	s_or_b64 exec, exec, s[14:15]
	v_cmp_eq_u32_e64 s[14:15], 1, v17
	s_barrier
	s_and_b64 s[16:17], s[14:15], s[20:21]
	s_mov_b64 s[14:15], exec
	v_writelane_b32 v28, s16, 57
	v_writelane_b32 v28, s17, 58
	s_and_b64 s[16:17], s[14:15], s[16:17]
	s_mov_b64 exec, s[16:17]
; %bb.296:
	v_xor_b32_e32 v21, 0x80000000, v20
	ds_write_b32 v19, v21
; %bb.297:
	s_or_b64 exec, exec, s[14:15]
	v_cmp_eq_u32_e64 s[14:15], 0, v17
	s_and_b64 s[92:93], s[14:15], s[20:21]
	s_waitcnt lgkmcnt(0)
	s_barrier
	s_and_saveexec_b64 s[14:15], s[92:93]
	s_cbranch_execz .LBB99_299
; %bb.298:
	v_mov_b32_e32 v21, 0
	ds_read_b32 v21, v21 offset:8576
	ds_read_b32 v22, v19
	s_waitcnt lgkmcnt(0)
	v_fma_f32 v20, -v21, v22, v20
.LBB99_299:
	s_or_b64 exec, exec, s[14:15]
	s_barrier
	s_and_saveexec_b64 s[14:15], s[92:93]
; %bb.300:
	v_xor_b32_e32 v21, 0x80000000, v20
	ds_write_b32 v19, v21
; %bb.301:
	s_or_b64 exec, exec, s[14:15]
	s_waitcnt lgkmcnt(0)
	s_barrier
	s_barrier
	s_and_saveexec_b64 s[14:15], s[10:11]
; %bb.302:
	v_lshlrev_b32_e32 v21, 2, v17
	v_lshl_or_b32 v21, v18, 8, v21
	ds_write_b32 v21, v20 offset:12416
; %bb.303:
	s_or_b64 exec, exec, s[14:15]
	v_cmp_gt_u32_e64 s[14:15], 16, v0
	s_and_b64 s[88:89], s[12:13], s[14:15]
	s_waitcnt lgkmcnt(0)
	s_barrier
	s_barrier
	s_and_saveexec_b64 s[14:15], s[88:89]
	s_cbranch_execz .LBB99_305
; %bb.304:
	v_lshlrev_b32_e32 v20, 8, v0
	ds_read_b32 v21, v20 offset:12416
	s_movk_i32 s16, 0xff04
	v_mad_i32_i24 v22, v0, s16, v20
	s_waitcnt lgkmcnt(0)
	ds_write_b32 v22, v21 offset:8384
	ds_read_b32 v21, v20 offset:12420
	s_waitcnt lgkmcnt(0)
	ds_write_b32 v22, v21 offset:8640
	ds_read_b32 v21, v20 offset:12424
	;; [unrolled: 3-line block ×15, first 2 shown]
	s_waitcnt lgkmcnt(0)
	ds_write_b32 v22, v20 offset:12224
.LBB99_305:
	s_or_b64 exec, exec, s[14:15]
	s_waitcnt lgkmcnt(0)
	s_barrier
	s_and_saveexec_b64 s[14:15], vcc
	s_cbranch_execz .LBB99_307
; %bb.306:
	v_mov_b32_e32 v22, 0
	ds_read_b32 v21, v22 offset:12216
	v_mov_b32_e32 v20, 1.0
	ds_write_b32 v22, v20 offset:12220
	s_waitcnt lgkmcnt(1)
	ds_write_b64 v22, v[20:21] offset:11960
.LBB99_307:
	s_or_b64 exec, exec, s[14:15]
	v_mov_b32_e32 v20, 0
	s_waitcnt lgkmcnt(0)
	s_barrier
	buffer_wbinvl1_vol
	s_and_saveexec_b64 s[16:17], s[2:3]
	s_cbranch_execz .LBB99_311
; %bb.308:
	v_lshlrev_b32_e32 v20, 8, v3
	v_lshlrev_b32_e32 v21, 2, v2
	ds_read_b32 v22, v21 offset:11952
	ds_read_b32 v20, v20 offset:11960
	v_mov_b32_e32 v21, 0
	v_cmp_gt_u32_e64 s[14:15], 2, v5
	s_waitcnt lgkmcnt(0)
	v_fma_f32 v20, v22, v20, 0
	s_and_saveexec_b64 s[20:21], s[14:15]
	s_cbranch_execz .LBB99_310
; %bb.309:
	v_lshlrev_b32_e32 v22, 2, v0
	ds_read_b32 v22, v22 offset:12208
	ds_read_b32 v21, v21 offset:12220
	s_waitcnt lgkmcnt(0)
	v_fmac_f32_e32 v20, v22, v21
.LBB99_310:
	s_or_b64 exec, exec, s[20:21]
.LBB99_311:
	s_or_b64 exec, exec, s[16:17]
	s_and_saveexec_b64 s[14:15], s[38:39]
; %bb.312:
	v_xor_b32_e32 v21, 0x80000000, v20
	ds_write_b32 v4, v21
; %bb.313:
	s_or_b64 exec, exec, s[14:15]
	s_waitcnt lgkmcnt(0)
	s_barrier
	s_and_saveexec_b64 s[14:15], s[36:37]
	s_cbranch_execz .LBB99_315
; %bb.314:
	v_mov_b32_e32 v21, 0
	ds_read_b32 v21, v21 offset:11696
	ds_read_b32 v22, v4
	s_waitcnt lgkmcnt(0)
	v_fma_f32 v20, -v21, v22, v20
.LBB99_315:
	s_or_b64 exec, exec, s[14:15]
	s_barrier
	s_and_saveexec_b64 s[14:15], s[36:37]
; %bb.316:
	v_xor_b32_e32 v21, 0x80000000, v20
	ds_write_b32 v4, v21
; %bb.317:
	s_or_b64 exec, exec, s[14:15]
	s_waitcnt lgkmcnt(0)
	s_barrier
	s_barrier
	s_and_saveexec_b64 s[14:15], s[2:3]
; %bb.318:
	v_lshlrev_b32_e32 v21, 2, v2
	v_lshl_or_b32 v21, v3, 8, v21
	ds_write_b32 v21, v20 offset:11952
; %bb.319:
	s_or_b64 exec, exec, s[14:15]
	s_waitcnt lgkmcnt(0)
	s_barrier
	s_barrier
	s_and_saveexec_b64 s[14:15], s[40:41]
	s_cbranch_execz .LBB99_321
; %bb.320:
	v_lshlrev_b32_e32 v20, 2, v0
	s_movk_i32 s16, 0xfc
	v_mad_u32_u24 v21, v0, s16, v20
	ds_read_b32 v22, v21 offset:11952
	s_waitcnt lgkmcnt(0)
	ds_write_b32 v20, v22 offset:11448
	ds_read_b32 v21, v21 offset:11956
	s_waitcnt lgkmcnt(0)
	ds_write_b32 v20, v21 offset:11704
.LBB99_321:
	s_or_b64 exec, exec, s[14:15]
	s_waitcnt lgkmcnt(0)
	s_barrier
	s_and_saveexec_b64 s[14:15], vcc
	s_cbranch_execz .LBB99_323
; %bb.322:
	v_mov_b32_e32 v22, 0
	ds_read_b32 v21, v22 offset:11696
	v_mov_b32_e32 v20, 1.0
	ds_write_b32 v22, v20 offset:11700
	s_waitcnt lgkmcnt(1)
	ds_write_b64 v22, v[20:21] offset:11440
.LBB99_323:
	s_or_b64 exec, exec, s[14:15]
	v_mov_b32_e32 v20, 0
	s_waitcnt lgkmcnt(0)
	s_barrier
	buffer_wbinvl1_vol
	s_and_saveexec_b64 s[16:17], s[18:19]
	s_cbranch_execz .LBB99_329
; %bb.324:
	v_lshlrev_b32_e32 v22, 2, v11
	v_lshlrev_b32_e32 v21, 8, v12
	ds_read_b32 v20, v22 offset:11424
	ds_read_b32 v23, v21 offset:11440
	v_cmp_gt_u32_e64 s[14:15], 12, v5
	s_waitcnt lgkmcnt(0)
	v_fma_f32 v20, v20, v23, 0
	s_and_saveexec_b64 s[20:21], s[14:15]
	s_cbranch_execnz .LBB99_1186
; %bb.325:
	s_or_b64 exec, exec, s[20:21]
	v_cmp_gt_u32_e64 s[14:15], 8, v5
	s_and_saveexec_b64 s[20:21], s[14:15]
	s_cbranch_execnz .LBB99_1187
.LBB99_326:
	s_or_b64 exec, exec, s[20:21]
	v_cmp_gt_u32_e64 s[14:15], 4, v5
	s_and_saveexec_b64 s[20:21], s[14:15]
	s_cbranch_execz .LBB99_328
.LBB99_327:
	v_lshlrev_b32_e32 v21, 2, v0
	v_mov_b32_e32 v22, 0
	ds_read_b32 v21, v21 offset:12192
	ds_read_b32 v22, v22 offset:12220
	s_waitcnt lgkmcnt(0)
	v_fmac_f32_e32 v20, v21, v22
.LBB99_328:
	s_or_b64 exec, exec, s[20:21]
.LBB99_329:
	s_or_b64 exec, exec, s[16:17]
	s_and_saveexec_b64 s[14:15], s[44:45]
; %bb.330:
	v_xor_b32_e32 v21, 0x80000000, v20
	ds_write_b32 v13, v21
; %bb.331:
	s_or_b64 exec, exec, s[14:15]
	s_waitcnt lgkmcnt(0)
	s_barrier
	s_and_saveexec_b64 s[14:15], s[46:47]
	s_cbranch_execz .LBB99_333
; %bb.332:
	v_lshlrev_b32_e32 v21, 2, v11
	ds_read_b32 v21, v21 offset:11168
	ds_read_b32 v22, v13
	s_waitcnt lgkmcnt(0)
	v_fma_f32 v20, -v21, v22, v20
.LBB99_333:
	s_or_b64 exec, exec, s[14:15]
	s_barrier
	s_and_saveexec_b64 s[14:15], s[48:49]
; %bb.334:
	v_xor_b32_e32 v21, 0x80000000, v20
	ds_write_b32 v13, v21
; %bb.335:
	s_or_b64 exec, exec, s[14:15]
	s_waitcnt lgkmcnt(0)
	s_barrier
	s_and_saveexec_b64 s[14:15], s[50:51]
	s_cbranch_execz .LBB99_337
; %bb.336:
	v_lshlrev_b32_e32 v21, 2, v11
	ds_read_b32 v21, v21 offset:10912
	ds_read_b32 v22, v13
	s_waitcnt lgkmcnt(0)
	v_fma_f32 v20, -v21, v22, v20
.LBB99_337:
	s_or_b64 exec, exec, s[14:15]
	s_barrier
	s_and_saveexec_b64 s[14:15], s[52:53]
; %bb.338:
	v_xor_b32_e32 v21, 0x80000000, v20
	ds_write_b32 v13, v21
; %bb.339:
	s_or_b64 exec, exec, s[14:15]
	s_waitcnt lgkmcnt(0)
	s_barrier
	s_and_saveexec_b64 s[14:15], s[42:43]
	s_cbranch_execz .LBB99_341
; %bb.340:
	v_mov_b32_e32 v21, 0
	ds_read_b32 v21, v21 offset:10656
	ds_read_b32 v22, v13
	s_waitcnt lgkmcnt(0)
	v_fma_f32 v20, -v21, v22, v20
.LBB99_341:
	s_or_b64 exec, exec, s[14:15]
	s_barrier
	s_and_saveexec_b64 s[14:15], s[42:43]
; %bb.342:
	v_xor_b32_e32 v21, 0x80000000, v20
	ds_write_b32 v13, v21
; %bb.343:
	s_or_b64 exec, exec, s[14:15]
	s_waitcnt lgkmcnt(0)
	s_barrier
	s_barrier
	s_and_saveexec_b64 s[14:15], s[18:19]
; %bb.344:
	v_lshlrev_b32_e32 v21, 2, v11
	v_lshl_or_b32 v21, v12, 8, v21
	ds_write_b32 v21, v20 offset:11424
; %bb.345:
	s_or_b64 exec, exec, s[14:15]
	s_waitcnt lgkmcnt(0)
	s_barrier
	s_barrier
	s_and_saveexec_b64 s[14:15], s[54:55]
	s_cbranch_execz .LBB99_347
; %bb.346:
	v_lshlrev_b32_e32 v20, 8, v0
	ds_read_b32 v21, v20 offset:11424
	s_movk_i32 s16, 0xff04
	v_mad_i32_i24 v22, v0, s16, v20
	s_waitcnt lgkmcnt(0)
	ds_write_b32 v22, v21 offset:10416
	ds_read_b32 v21, v20 offset:11428
	s_waitcnt lgkmcnt(0)
	ds_write_b32 v22, v21 offset:10672
	ds_read_b32 v21, v20 offset:11432
	;; [unrolled: 3-line block ×3, first 2 shown]
	s_waitcnt lgkmcnt(0)
	ds_write_b32 v22, v20 offset:11184
.LBB99_347:
	s_or_b64 exec, exec, s[14:15]
	s_waitcnt lgkmcnt(0)
	s_barrier
	s_and_saveexec_b64 s[14:15], vcc
	s_cbranch_execz .LBB99_349
; %bb.348:
	v_mov_b32_e32 v22, 0
	ds_read_b32 v21, v22 offset:11176
	v_mov_b32_e32 v20, 1.0
	ds_write_b32 v22, v20 offset:11180
	s_waitcnt lgkmcnt(1)
	ds_write_b64 v22, v[20:21] offset:10920
.LBB99_349:
	s_or_b64 exec, exec, s[14:15]
	v_mov_b32_e32 v20, 0
	s_waitcnt lgkmcnt(0)
	s_barrier
	buffer_wbinvl1_vol
	s_and_saveexec_b64 s[16:17], s[2:3]
	s_cbranch_execz .LBB99_353
; %bb.350:
	v_lshlrev_b32_e32 v20, 8, v3
	v_lshlrev_b32_e32 v21, 2, v2
	ds_read_b32 v22, v21 offset:10912
	ds_read_b32 v20, v20 offset:10920
	v_mov_b32_e32 v21, 0
	v_cmp_gt_u32_e64 s[14:15], 2, v5
	s_waitcnt lgkmcnt(0)
	v_fma_f32 v20, v22, v20, 0
	s_and_saveexec_b64 s[20:21], s[14:15]
	s_cbranch_execz .LBB99_352
; %bb.351:
	v_lshlrev_b32_e32 v22, 2, v0
	ds_read_b32 v22, v22 offset:11168
	ds_read_b32 v21, v21 offset:11180
	s_waitcnt lgkmcnt(0)
	v_fmac_f32_e32 v20, v22, v21
.LBB99_352:
	s_or_b64 exec, exec, s[20:21]
.LBB99_353:
	s_or_b64 exec, exec, s[16:17]
	s_and_saveexec_b64 s[14:15], s[38:39]
; %bb.354:
	v_xor_b32_e32 v21, 0x80000000, v20
	ds_write_b32 v4, v21
; %bb.355:
	s_or_b64 exec, exec, s[14:15]
	s_waitcnt lgkmcnt(0)
	s_barrier
	s_and_saveexec_b64 s[14:15], s[36:37]
	s_cbranch_execz .LBB99_357
; %bb.356:
	v_mov_b32_e32 v21, 0
	ds_read_b32 v21, v21 offset:10656
	ds_read_b32 v22, v4
	s_waitcnt lgkmcnt(0)
	v_fma_f32 v20, -v21, v22, v20
.LBB99_357:
	s_or_b64 exec, exec, s[14:15]
	s_barrier
	s_and_saveexec_b64 s[14:15], s[36:37]
; %bb.358:
	v_xor_b32_e32 v21, 0x80000000, v20
	ds_write_b32 v4, v21
; %bb.359:
	s_or_b64 exec, exec, s[14:15]
	s_waitcnt lgkmcnt(0)
	s_barrier
	s_barrier
	s_and_saveexec_b64 s[14:15], s[2:3]
; %bb.360:
	v_lshlrev_b32_e32 v21, 2, v2
	v_lshl_or_b32 v21, v3, 8, v21
	ds_write_b32 v21, v20 offset:10912
; %bb.361:
	s_or_b64 exec, exec, s[14:15]
	s_waitcnt lgkmcnt(0)
	s_barrier
	s_barrier
	s_and_saveexec_b64 s[14:15], s[40:41]
	s_cbranch_execz .LBB99_363
; %bb.362:
	v_lshlrev_b32_e32 v20, 2, v0
	s_movk_i32 s16, 0xfc
	v_mad_u32_u24 v21, v0, s16, v20
	ds_read_b32 v22, v21 offset:10912
	s_waitcnt lgkmcnt(0)
	ds_write_b32 v20, v22 offset:10408
	ds_read_b32 v21, v21 offset:10916
	s_waitcnt lgkmcnt(0)
	ds_write_b32 v20, v21 offset:10664
.LBB99_363:
	s_or_b64 exec, exec, s[14:15]
	s_waitcnt lgkmcnt(0)
	s_barrier
	s_and_saveexec_b64 s[14:15], vcc
	s_cbranch_execz .LBB99_365
; %bb.364:
	v_mov_b32_e32 v22, 0
	ds_read_b32 v21, v22 offset:10656
	v_mov_b32_e32 v20, 1.0
	ds_write_b32 v22, v20 offset:10660
	s_waitcnt lgkmcnt(1)
	ds_write_b64 v22, v[20:21] offset:10400
.LBB99_365:
	s_or_b64 exec, exec, s[14:15]
	v_mov_b32_e32 v20, 0
	s_waitcnt lgkmcnt(0)
	s_barrier
	buffer_wbinvl1_vol
	s_and_saveexec_b64 s[16:17], s[8:9]
	s_cbranch_execz .LBB99_375
; %bb.366:
	v_lshlrev_b32_e32 v22, 2, v14
	v_lshlrev_b32_e32 v21, 8, v15
	ds_read_b32 v20, v22 offset:10368
	ds_read_b32 v23, v21 offset:10400
	v_cmp_gt_u32_e64 s[14:15], 56, v5
	s_waitcnt lgkmcnt(0)
	v_fma_f32 v20, v20, v23, 0
	s_and_saveexec_b64 s[20:21], s[14:15]
	s_cbranch_execnz .LBB99_1188
; %bb.367:
	s_or_b64 exec, exec, s[20:21]
	v_cmp_gt_u32_e64 s[14:15], 48, v5
	s_and_saveexec_b64 s[20:21], s[14:15]
	s_cbranch_execnz .LBB99_1189
.LBB99_368:
	s_or_b64 exec, exec, s[20:21]
	v_cmp_gt_u32_e64 s[14:15], 40, v5
	s_and_saveexec_b64 s[20:21], s[14:15]
	s_cbranch_execnz .LBB99_1190
.LBB99_369:
	s_or_b64 exec, exec, s[20:21]
	v_cmp_gt_u32_e64 s[14:15], 32, v5
	s_and_saveexec_b64 s[20:21], s[14:15]
	s_cbranch_execnz .LBB99_1191
.LBB99_370:
	s_or_b64 exec, exec, s[20:21]
	v_cmp_gt_u32_e64 s[14:15], 24, v5
	s_and_saveexec_b64 s[20:21], s[14:15]
	s_cbranch_execnz .LBB99_1192
.LBB99_371:
	s_or_b64 exec, exec, s[20:21]
	s_and_saveexec_b64 s[14:15], s[18:19]
	s_cbranch_execnz .LBB99_1193
.LBB99_372:
	s_or_b64 exec, exec, s[14:15]
	v_cmp_gt_u32_e64 s[14:15], 8, v5
	s_and_saveexec_b64 s[20:21], s[14:15]
	s_cbranch_execz .LBB99_374
.LBB99_373:
	v_lshlrev_b32_e32 v21, 2, v0
	v_mov_b32_e32 v22, 0
	ds_read_b32 v21, v21 offset:12160
	ds_read_b32 v22, v22 offset:12220
	s_waitcnt lgkmcnt(0)
	v_fmac_f32_e32 v20, v21, v22
.LBB99_374:
	s_or_b64 exec, exec, s[20:21]
.LBB99_375:
	s_or_b64 exec, exec, s[16:17]
	s_and_saveexec_b64 s[14:15], s[56:57]
; %bb.376:
	v_xor_b32_e32 v21, 0x80000000, v20
	ds_write_b32 v16, v21
; %bb.377:
	s_or_b64 exec, exec, s[14:15]
	s_waitcnt lgkmcnt(0)
	s_barrier
	s_and_saveexec_b64 s[14:15], s[58:59]
	s_cbranch_execz .LBB99_379
; %bb.378:
	v_lshlrev_b32_e32 v21, 2, v14
	ds_read_b32 v21, v21 offset:10112
	ds_read_b32 v22, v16
	s_waitcnt lgkmcnt(0)
	v_fma_f32 v20, -v21, v22, v20
.LBB99_379:
	s_or_b64 exec, exec, s[14:15]
	s_barrier
	s_and_saveexec_b64 s[14:15], s[60:61]
; %bb.380:
	v_xor_b32_e32 v21, 0x80000000, v20
	ds_write_b32 v16, v21
; %bb.381:
	s_or_b64 exec, exec, s[14:15]
	s_waitcnt lgkmcnt(0)
	s_barrier
	s_and_saveexec_b64 s[14:15], s[62:63]
	s_cbranch_execz .LBB99_383
; %bb.382:
	v_lshlrev_b32_e32 v21, 2, v14
	ds_read_b32 v21, v21 offset:9856
	ds_read_b32 v22, v16
	s_waitcnt lgkmcnt(0)
	v_fma_f32 v20, -v21, v22, v20
.LBB99_383:
	s_or_b64 exec, exec, s[14:15]
	s_barrier
	s_and_saveexec_b64 s[14:15], s[64:65]
; %bb.384:
	v_xor_b32_e32 v21, 0x80000000, v20
	ds_write_b32 v16, v21
; %bb.385:
	s_or_b64 exec, exec, s[14:15]
	s_waitcnt lgkmcnt(0)
	s_barrier
	s_and_saveexec_b64 s[14:15], s[68:69]
	s_cbranch_execz .LBB99_387
; %bb.386:
	v_lshlrev_b32_e32 v21, 2, v14
	ds_read_b32 v21, v21 offset:9600
	ds_read_b32 v22, v16
	s_waitcnt lgkmcnt(0)
	v_fma_f32 v20, -v21, v22, v20
.LBB99_387:
	s_or_b64 exec, exec, s[14:15]
	s_barrier
	s_and_saveexec_b64 s[14:15], s[70:71]
; %bb.388:
	v_xor_b32_e32 v21, 0x80000000, v20
	ds_write_b32 v16, v21
; %bb.389:
	s_or_b64 exec, exec, s[14:15]
	s_waitcnt lgkmcnt(0)
	s_barrier
	s_and_saveexec_b64 s[14:15], s[72:73]
	s_cbranch_execz .LBB99_391
; %bb.390:
	v_lshlrev_b32_e32 v21, 2, v14
	ds_read_b32 v21, v21 offset:9344
	ds_read_b32 v22, v16
	s_waitcnt lgkmcnt(0)
	v_fma_f32 v20, -v21, v22, v20
.LBB99_391:
	s_or_b64 exec, exec, s[14:15]
	s_barrier
	s_and_saveexec_b64 s[14:15], s[74:75]
; %bb.392:
	v_xor_b32_e32 v21, 0x80000000, v20
	ds_write_b32 v16, v21
; %bb.393:
	s_or_b64 exec, exec, s[14:15]
	s_waitcnt lgkmcnt(0)
	s_barrier
	s_and_saveexec_b64 s[14:15], s[76:77]
	s_cbranch_execz .LBB99_395
; %bb.394:
	v_lshlrev_b32_e32 v21, 2, v14
	ds_read_b32 v21, v21 offset:9088
	ds_read_b32 v22, v16
	s_waitcnt lgkmcnt(0)
	v_fma_f32 v20, -v21, v22, v20
.LBB99_395:
	s_or_b64 exec, exec, s[14:15]
	s_barrier
	s_and_saveexec_b64 s[14:15], s[78:79]
; %bb.396:
	v_xor_b32_e32 v21, 0x80000000, v20
	ds_write_b32 v16, v21
; %bb.397:
	s_or_b64 exec, exec, s[14:15]
	s_waitcnt lgkmcnt(0)
	s_barrier
	s_and_saveexec_b64 s[14:15], s[80:81]
	s_cbranch_execz .LBB99_399
; %bb.398:
	v_lshlrev_b32_e32 v21, 2, v14
	ds_read_b32 v21, v21 offset:8832
	ds_read_b32 v22, v16
	s_waitcnt lgkmcnt(0)
	v_fma_f32 v20, -v21, v22, v20
.LBB99_399:
	s_or_b64 exec, exec, s[14:15]
	s_barrier
	s_and_saveexec_b64 s[14:15], s[82:83]
; %bb.400:
	v_xor_b32_e32 v21, 0x80000000, v20
	ds_write_b32 v16, v21
; %bb.401:
	s_or_b64 exec, exec, s[14:15]
	s_waitcnt lgkmcnt(0)
	s_barrier
	s_and_saveexec_b64 s[14:15], s[66:67]
	s_cbranch_execz .LBB99_403
; %bb.402:
	v_mov_b32_e32 v21, 0
	ds_read_b32 v21, v21 offset:8576
	ds_read_b32 v22, v16
	s_waitcnt lgkmcnt(0)
	v_fma_f32 v20, -v21, v22, v20
.LBB99_403:
	s_or_b64 exec, exec, s[14:15]
	s_barrier
	s_and_saveexec_b64 s[14:15], s[66:67]
; %bb.404:
	v_xor_b32_e32 v21, 0x80000000, v20
	ds_write_b32 v16, v21
; %bb.405:
	s_or_b64 exec, exec, s[14:15]
	s_waitcnt lgkmcnt(0)
	s_barrier
	s_barrier
	s_and_saveexec_b64 s[14:15], s[8:9]
; %bb.406:
	v_lshlrev_b32_e32 v21, 2, v14
	v_lshl_or_b32 v21, v15, 8, v21
	ds_write_b32 v21, v20 offset:10368
; %bb.407:
	s_or_b64 exec, exec, s[14:15]
	s_waitcnt lgkmcnt(0)
	s_barrier
	s_barrier
	s_and_saveexec_b64 s[14:15], s[84:85]
	s_cbranch_execz .LBB99_409
; %bb.408:
	v_lshlrev_b32_e32 v20, 8, v0
	ds_read_b32 v21, v20 offset:10368
	s_movk_i32 s16, 0xff04
	v_mad_i32_i24 v22, v0, s16, v20
	s_waitcnt lgkmcnt(0)
	ds_write_b32 v22, v21 offset:8352
	ds_read_b32 v21, v20 offset:10372
	s_waitcnt lgkmcnt(0)
	ds_write_b32 v22, v21 offset:8608
	ds_read_b32 v21, v20 offset:10376
	;; [unrolled: 3-line block ×7, first 2 shown]
	s_waitcnt lgkmcnt(0)
	ds_write_b32 v22, v20 offset:10144
.LBB99_409:
	s_or_b64 exec, exec, s[14:15]
	s_waitcnt lgkmcnt(0)
	s_barrier
	s_and_saveexec_b64 s[14:15], vcc
	s_cbranch_execz .LBB99_411
; %bb.410:
	v_mov_b32_e32 v22, 0
	ds_read_b32 v21, v22 offset:10136
	v_mov_b32_e32 v20, 1.0
	ds_write_b32 v22, v20 offset:10140
	s_waitcnt lgkmcnt(1)
	ds_write_b64 v22, v[20:21] offset:9880
.LBB99_411:
	s_or_b64 exec, exec, s[14:15]
	v_mov_b32_e32 v20, 0
	s_waitcnt lgkmcnt(0)
	s_barrier
	buffer_wbinvl1_vol
	s_and_saveexec_b64 s[16:17], s[2:3]
	s_cbranch_execz .LBB99_415
; %bb.412:
	v_lshlrev_b32_e32 v20, 8, v3
	v_lshlrev_b32_e32 v21, 2, v2
	ds_read_b32 v22, v21 offset:9872
	ds_read_b32 v20, v20 offset:9880
	v_mov_b32_e32 v21, 0
	v_cmp_gt_u32_e64 s[14:15], 2, v5
	s_waitcnt lgkmcnt(0)
	v_fma_f32 v20, v22, v20, 0
	s_and_saveexec_b64 s[20:21], s[14:15]
	s_cbranch_execz .LBB99_414
; %bb.413:
	v_lshlrev_b32_e32 v22, 2, v0
	ds_read_b32 v22, v22 offset:10128
	ds_read_b32 v21, v21 offset:10140
	s_waitcnt lgkmcnt(0)
	v_fmac_f32_e32 v20, v22, v21
.LBB99_414:
	s_or_b64 exec, exec, s[20:21]
.LBB99_415:
	s_or_b64 exec, exec, s[16:17]
	s_and_saveexec_b64 s[14:15], s[38:39]
; %bb.416:
	v_xor_b32_e32 v21, 0x80000000, v20
	ds_write_b32 v4, v21
; %bb.417:
	s_or_b64 exec, exec, s[14:15]
	s_waitcnt lgkmcnt(0)
	s_barrier
	s_and_saveexec_b64 s[14:15], s[36:37]
	s_cbranch_execz .LBB99_419
; %bb.418:
	v_mov_b32_e32 v21, 0
	ds_read_b32 v21, v21 offset:9616
	ds_read_b32 v22, v4
	s_waitcnt lgkmcnt(0)
	v_fma_f32 v20, -v21, v22, v20
.LBB99_419:
	s_or_b64 exec, exec, s[14:15]
	s_barrier
	s_and_saveexec_b64 s[14:15], s[36:37]
; %bb.420:
	v_xor_b32_e32 v21, 0x80000000, v20
	ds_write_b32 v4, v21
; %bb.421:
	s_or_b64 exec, exec, s[14:15]
	s_waitcnt lgkmcnt(0)
	s_barrier
	s_barrier
	s_and_saveexec_b64 s[14:15], s[2:3]
; %bb.422:
	v_lshlrev_b32_e32 v21, 2, v2
	v_lshl_or_b32 v21, v3, 8, v21
	ds_write_b32 v21, v20 offset:9872
; %bb.423:
	s_or_b64 exec, exec, s[14:15]
	s_waitcnt lgkmcnt(0)
	s_barrier
	s_barrier
	s_and_saveexec_b64 s[14:15], s[40:41]
	s_cbranch_execz .LBB99_425
; %bb.424:
	v_lshlrev_b32_e32 v20, 2, v0
	s_movk_i32 s16, 0xfc
	v_mad_u32_u24 v21, v0, s16, v20
	ds_read_b32 v22, v21 offset:9872
	s_waitcnt lgkmcnt(0)
	ds_write_b32 v20, v22 offset:9368
	ds_read_b32 v21, v21 offset:9876
	s_waitcnt lgkmcnt(0)
	ds_write_b32 v20, v21 offset:9624
.LBB99_425:
	s_or_b64 exec, exec, s[14:15]
	s_waitcnt lgkmcnt(0)
	s_barrier
	s_and_saveexec_b64 s[14:15], vcc
	s_cbranch_execz .LBB99_427
; %bb.426:
	v_mov_b32_e32 v22, 0
	ds_read_b32 v21, v22 offset:9616
	v_mov_b32_e32 v20, 1.0
	ds_write_b32 v22, v20 offset:9620
	s_waitcnt lgkmcnt(1)
	ds_write_b64 v22, v[20:21] offset:9360
.LBB99_427:
	s_or_b64 exec, exec, s[14:15]
	v_mov_b32_e32 v20, 0
	s_waitcnt lgkmcnt(0)
	s_barrier
	buffer_wbinvl1_vol
	s_and_saveexec_b64 s[16:17], s[18:19]
	s_cbranch_execz .LBB99_433
; %bb.428:
	v_lshlrev_b32_e32 v22, 2, v11
	v_lshlrev_b32_e32 v21, 8, v12
	ds_read_b32 v20, v22 offset:9344
	ds_read_b32 v23, v21 offset:9360
	v_cmp_gt_u32_e64 s[14:15], 12, v5
	s_waitcnt lgkmcnt(0)
	v_fma_f32 v20, v20, v23, 0
	s_and_saveexec_b64 s[20:21], s[14:15]
	s_cbranch_execnz .LBB99_1194
; %bb.429:
	s_or_b64 exec, exec, s[20:21]
	v_cmp_gt_u32_e64 s[14:15], 8, v5
	s_and_saveexec_b64 s[20:21], s[14:15]
	s_cbranch_execnz .LBB99_1195
.LBB99_430:
	s_or_b64 exec, exec, s[20:21]
	v_cmp_gt_u32_e64 s[14:15], 4, v5
	s_and_saveexec_b64 s[20:21], s[14:15]
	s_cbranch_execz .LBB99_432
.LBB99_431:
	v_lshlrev_b32_e32 v21, 2, v0
	v_mov_b32_e32 v22, 0
	ds_read_b32 v21, v21 offset:10112
	ds_read_b32 v22, v22 offset:10140
	s_waitcnt lgkmcnt(0)
	v_fmac_f32_e32 v20, v21, v22
.LBB99_432:
	s_or_b64 exec, exec, s[20:21]
.LBB99_433:
	s_or_b64 exec, exec, s[16:17]
	s_and_saveexec_b64 s[14:15], s[44:45]
; %bb.434:
	v_xor_b32_e32 v21, 0x80000000, v20
	ds_write_b32 v13, v21
; %bb.435:
	s_or_b64 exec, exec, s[14:15]
	s_waitcnt lgkmcnt(0)
	s_barrier
	s_and_saveexec_b64 s[14:15], s[46:47]
	s_cbranch_execz .LBB99_437
; %bb.436:
	v_lshlrev_b32_e32 v21, 2, v11
	ds_read_b32 v21, v21 offset:9088
	ds_read_b32 v22, v13
	s_waitcnt lgkmcnt(0)
	v_fma_f32 v20, -v21, v22, v20
.LBB99_437:
	s_or_b64 exec, exec, s[14:15]
	s_barrier
	s_and_saveexec_b64 s[14:15], s[48:49]
; %bb.438:
	v_xor_b32_e32 v21, 0x80000000, v20
	ds_write_b32 v13, v21
; %bb.439:
	s_or_b64 exec, exec, s[14:15]
	s_waitcnt lgkmcnt(0)
	s_barrier
	s_and_saveexec_b64 s[14:15], s[50:51]
	s_cbranch_execz .LBB99_441
; %bb.440:
	v_lshlrev_b32_e32 v21, 2, v11
	ds_read_b32 v21, v21 offset:8832
	ds_read_b32 v22, v13
	s_waitcnt lgkmcnt(0)
	v_fma_f32 v20, -v21, v22, v20
.LBB99_441:
	s_or_b64 exec, exec, s[14:15]
	s_barrier
	s_and_saveexec_b64 s[14:15], s[52:53]
; %bb.442:
	v_xor_b32_e32 v21, 0x80000000, v20
	ds_write_b32 v13, v21
; %bb.443:
	s_or_b64 exec, exec, s[14:15]
	s_waitcnt lgkmcnt(0)
	s_barrier
	s_and_saveexec_b64 s[14:15], s[42:43]
	s_cbranch_execz .LBB99_445
; %bb.444:
	v_mov_b32_e32 v21, 0
	ds_read_b32 v21, v21 offset:8576
	ds_read_b32 v22, v13
	s_waitcnt lgkmcnt(0)
	v_fma_f32 v20, -v21, v22, v20
.LBB99_445:
	s_or_b64 exec, exec, s[14:15]
	s_barrier
	s_and_saveexec_b64 s[14:15], s[42:43]
; %bb.446:
	v_xor_b32_e32 v21, 0x80000000, v20
	ds_write_b32 v13, v21
; %bb.447:
	s_or_b64 exec, exec, s[14:15]
	s_waitcnt lgkmcnt(0)
	s_barrier
	s_barrier
	s_and_saveexec_b64 s[14:15], s[18:19]
; %bb.448:
	v_lshlrev_b32_e32 v21, 2, v11
	v_lshl_or_b32 v21, v12, 8, v21
	ds_write_b32 v21, v20 offset:9344
; %bb.449:
	s_or_b64 exec, exec, s[14:15]
	s_waitcnt lgkmcnt(0)
	s_barrier
	s_barrier
	s_and_saveexec_b64 s[14:15], s[54:55]
	s_cbranch_execz .LBB99_451
; %bb.450:
	v_lshlrev_b32_e32 v20, 8, v0
	ds_read_b32 v21, v20 offset:9344
	s_movk_i32 s16, 0xff04
	v_mad_i32_i24 v22, v0, s16, v20
	s_waitcnt lgkmcnt(0)
	ds_write_b32 v22, v21 offset:8336
	ds_read_b32 v21, v20 offset:9348
	s_waitcnt lgkmcnt(0)
	ds_write_b32 v22, v21 offset:8592
	ds_read_b32 v21, v20 offset:9352
	;; [unrolled: 3-line block ×3, first 2 shown]
	s_waitcnt lgkmcnt(0)
	ds_write_b32 v22, v20 offset:9104
.LBB99_451:
	s_or_b64 exec, exec, s[14:15]
	s_waitcnt lgkmcnt(0)
	s_barrier
	s_and_saveexec_b64 s[14:15], vcc
	s_cbranch_execz .LBB99_453
; %bb.452:
	v_mov_b32_e32 v22, 0
	ds_read_b32 v21, v22 offset:9096
	v_mov_b32_e32 v20, 1.0
	ds_write_b32 v22, v20 offset:9100
	s_waitcnt lgkmcnt(1)
	ds_write_b64 v22, v[20:21] offset:8840
.LBB99_453:
	s_or_b64 exec, exec, s[14:15]
	v_mov_b32_e32 v20, 0
	s_waitcnt lgkmcnt(0)
	s_barrier
	buffer_wbinvl1_vol
	s_and_saveexec_b64 s[16:17], s[2:3]
	s_cbranch_execz .LBB99_457
; %bb.454:
	v_lshlrev_b32_e32 v20, 8, v3
	v_lshlrev_b32_e32 v21, 2, v2
	ds_read_b32 v22, v21 offset:8832
	ds_read_b32 v20, v20 offset:8840
	v_mov_b32_e32 v21, 0
	v_cmp_gt_u32_e64 s[14:15], 2, v5
	s_waitcnt lgkmcnt(0)
	v_fma_f32 v20, v22, v20, 0
	s_and_saveexec_b64 s[20:21], s[14:15]
	s_cbranch_execz .LBB99_456
; %bb.455:
	v_lshlrev_b32_e32 v22, 2, v0
	ds_read_b32 v22, v22 offset:9088
	ds_read_b32 v21, v21 offset:9100
	s_waitcnt lgkmcnt(0)
	v_fmac_f32_e32 v20, v22, v21
.LBB99_456:
	s_or_b64 exec, exec, s[20:21]
.LBB99_457:
	s_or_b64 exec, exec, s[16:17]
	s_and_saveexec_b64 s[14:15], s[38:39]
; %bb.458:
	v_xor_b32_e32 v21, 0x80000000, v20
	ds_write_b32 v4, v21
; %bb.459:
	s_or_b64 exec, exec, s[14:15]
	s_waitcnt lgkmcnt(0)
	s_barrier
	s_and_saveexec_b64 s[14:15], s[36:37]
	s_cbranch_execz .LBB99_461
; %bb.460:
	v_mov_b32_e32 v21, 0
	ds_read_b32 v21, v21 offset:8576
	ds_read_b32 v22, v4
	s_waitcnt lgkmcnt(0)
	v_fma_f32 v20, -v21, v22, v20
.LBB99_461:
	s_or_b64 exec, exec, s[14:15]
	s_barrier
	s_and_saveexec_b64 s[14:15], s[36:37]
; %bb.462:
	v_xor_b32_e32 v21, 0x80000000, v20
	ds_write_b32 v4, v21
; %bb.463:
	s_or_b64 exec, exec, s[14:15]
	s_waitcnt lgkmcnt(0)
	s_barrier
	s_barrier
	s_and_saveexec_b64 s[14:15], s[2:3]
; %bb.464:
	v_lshlrev_b32_e32 v21, 2, v2
	v_lshl_or_b32 v21, v3, 8, v21
	ds_write_b32 v21, v20 offset:8832
; %bb.465:
	s_or_b64 exec, exec, s[14:15]
	s_waitcnt lgkmcnt(0)
	s_barrier
	s_barrier
	s_and_saveexec_b64 s[14:15], s[40:41]
	s_cbranch_execz .LBB99_467
; %bb.466:
	v_lshlrev_b32_e32 v20, 2, v0
	s_movk_i32 s16, 0xfc
	v_mad_u32_u24 v21, v0, s16, v20
	ds_read_b32 v22, v21 offset:8832
	s_waitcnt lgkmcnt(0)
	ds_write_b32 v20, v22 offset:8328
	ds_read_b32 v21, v21 offset:8836
	s_waitcnt lgkmcnt(0)
	ds_write_b32 v20, v21 offset:8584
.LBB99_467:
	s_or_b64 exec, exec, s[14:15]
	s_waitcnt lgkmcnt(0)
	s_barrier
	s_and_saveexec_b64 s[14:15], vcc
	s_cbranch_execz .LBB99_469
; %bb.468:
	v_mov_b32_e32 v22, 0
	ds_read_b32 v21, v22 offset:8576
	v_mov_b32_e32 v20, 1.0
	ds_write_b32 v22, v20 offset:8580
	s_waitcnt lgkmcnt(1)
	ds_write_b64 v22, v[20:21] offset:8320
.LBB99_469:
	s_or_b64 exec, exec, s[14:15]
	s_movk_i32 s14, 0x3ff
	v_lshrrev_b32_e32 v23, 5, v5
	v_cmp_lt_u32_e64 s[16:17], s14, v5
	s_movk_i32 s14, 0x400
	v_and_b32_e32 v20, 31, v0
	v_sub_u32_e32 v21, 31, v23
	v_cmp_gt_u32_e64 s[14:15], s14, v5
	v_mov_b32_e32 v22, 0
	s_waitcnt lgkmcnt(0)
	s_barrier
	buffer_wbinvl1_vol
	s_and_saveexec_b64 s[90:91], s[14:15]
	s_cbranch_execz .LBB99_531
; %bb.470:
	v_lshlrev_b32_e32 v25, 2, v20
	v_lshlrev_b32_e32 v24, 8, v21
	ds_read_b32 v22, v25 offset:8192
	ds_read_b32 v26, v24 offset:8320
	s_movk_i32 s20, 0x3e0
	v_cmp_gt_u32_e64 s[20:21], s20, v5
	s_waitcnt lgkmcnt(0)
	v_fma_f32 v22, v22, v26, 0
	s_and_saveexec_b64 s[94:95], s[20:21]
	s_cbranch_execz .LBB99_472
; %bb.471:
	ds_read_b32 v26, v25 offset:8448
	ds_read_b32 v27, v24 offset:8324
	s_waitcnt lgkmcnt(0)
	v_fmac_f32_e32 v22, v26, v27
.LBB99_472:
	s_or_b64 exec, exec, s[94:95]
	s_movk_i32 s20, 0x3c0
	v_cmp_gt_u32_e64 s[20:21], s20, v5
	s_and_saveexec_b64 s[94:95], s[20:21]
	s_cbranch_execz .LBB99_474
; %bb.473:
	ds_read_b32 v26, v25 offset:8704
	ds_read_b32 v27, v24 offset:8328
	s_waitcnt lgkmcnt(0)
	v_fmac_f32_e32 v22, v26, v27
.LBB99_474:
	s_or_b64 exec, exec, s[94:95]
	s_movk_i32 s20, 0x3a0
	v_cmp_gt_u32_e64 s[20:21], s20, v5
	;; [unrolled: 11-line block ×22, first 2 shown]
	s_and_saveexec_b64 s[94:95], s[20:21]
	s_cbranch_execz .LBB99_516
; %bb.515:
	ds_read_b32 v26, v25 offset:14080
	ds_read_b32 v27, v24 offset:8412
	s_waitcnt lgkmcnt(0)
	v_fmac_f32_e32 v22, v26, v27
.LBB99_516:
	s_or_b64 exec, exec, s[94:95]
	s_and_saveexec_b64 s[20:21], s[10:11]
	s_cbranch_execz .LBB99_518
; %bb.517:
	ds_read_b32 v26, v25 offset:14336
	ds_read_b32 v27, v24 offset:8416
	s_waitcnt lgkmcnt(0)
	v_fmac_f32_e32 v22, v26, v27
.LBB99_518:
	s_or_b64 exec, exec, s[20:21]
	s_movk_i32 s20, 0xe0
	v_cmp_gt_u32_e64 s[20:21], s20, v5
	s_and_saveexec_b64 s[94:95], s[20:21]
	s_cbranch_execz .LBB99_520
; %bb.519:
	ds_read_b32 v26, v25 offset:14592
	ds_read_b32 v27, v24 offset:8420
	s_waitcnt lgkmcnt(0)
	v_fmac_f32_e32 v22, v26, v27
.LBB99_520:
	s_or_b64 exec, exec, s[94:95]
	s_movk_i32 s20, 0xc0
	v_cmp_gt_u32_e64 s[20:21], s20, v5
	;; [unrolled: 11-line block ×5, first 2 shown]
	s_and_saveexec_b64 s[94:95], s[20:21]
	s_cbranch_execnz .LBB99_1196
; %bb.527:
	s_or_b64 exec, exec, s[94:95]
	s_and_saveexec_b64 s[20:21], s[8:9]
	s_cbranch_execnz .LBB99_1197
.LBB99_528:
	s_or_b64 exec, exec, s[20:21]
	v_cmp_gt_u32_e64 s[20:21], 32, v5
	s_and_saveexec_b64 s[94:95], s[20:21]
	s_cbranch_execz .LBB99_530
.LBB99_529:
	v_lshlrev_b32_e32 v24, 2, v0
	v_mov_b32_e32 v25, 0
	ds_read_b32 v24, v24 offset:16128
	ds_read_b32 v25, v25 offset:16380
	s_waitcnt lgkmcnt(0)
	v_fmac_f32_e32 v22, v24, v25
.LBB99_530:
	s_or_b64 exec, exec, s[94:95]
.LBB99_531:
	s_or_b64 exec, exec, s[90:91]
	v_mov_b32_e32 v24, 0x4000
	v_cmp_eq_u32_e64 s[20:21], 31, v20
	s_xor_b64 s[90:91], s[16:17], -1
	v_lshl_add_u32 v23, v23, 2, v24
	s_and_b64 s[20:21], s[20:21], s[90:91]
	s_and_saveexec_b64 s[16:17], s[20:21]
; %bb.532:
	v_xor_b32_e32 v24, 0x80000000, v22
	ds_write_b32 v23, v24
; %bb.533:
	s_or_b64 exec, exec, s[16:17]
	v_cmp_ne_u32_e64 s[16:17], 31, v20
	s_and_b64 s[20:21], s[16:17], s[90:91]
	s_waitcnt lgkmcnt(0)
	s_barrier
	s_and_saveexec_b64 s[16:17], s[20:21]
	s_cbranch_execz .LBB99_535
; %bb.534:
	v_lshlrev_b32_e32 v24, 2, v20
	ds_read_b32 v24, v24 offset:7936
	ds_read_b32 v25, v23
	s_waitcnt lgkmcnt(0)
	v_fma_f32 v22, -v24, v25, v22
.LBB99_535:
	s_or_b64 exec, exec, s[16:17]
	v_cmp_eq_u32_e64 s[16:17], 30, v20
	s_and_b64 s[20:21], s[16:17], s[90:91]
	s_barrier
	s_and_saveexec_b64 s[16:17], s[20:21]
; %bb.536:
	v_xor_b32_e32 v24, 0x80000000, v22
	ds_write_b32 v23, v24
; %bb.537:
	s_or_b64 exec, exec, s[16:17]
	v_cmp_gt_u32_e64 s[16:17], 30, v20
	s_and_b64 s[20:21], s[16:17], s[90:91]
	s_waitcnt lgkmcnt(0)
	s_barrier
	s_and_saveexec_b64 s[16:17], s[20:21]
	s_cbranch_execz .LBB99_539
; %bb.538:
	v_lshlrev_b32_e32 v24, 2, v20
	ds_read_b32 v24, v24 offset:7680
	ds_read_b32 v25, v23
	s_waitcnt lgkmcnt(0)
	v_fma_f32 v22, -v24, v25, v22
.LBB99_539:
	s_or_b64 exec, exec, s[16:17]
	v_cmp_eq_u32_e64 s[16:17], 29, v20
	s_and_b64 s[20:21], s[16:17], s[90:91]
	s_barrier
	s_and_saveexec_b64 s[16:17], s[20:21]
; %bb.540:
	v_xor_b32_e32 v24, 0x80000000, v22
	ds_write_b32 v23, v24
; %bb.541:
	s_or_b64 exec, exec, s[16:17]
	v_cmp_gt_u32_e64 s[16:17], 29, v20
	;; [unrolled: 23-line block ×29, first 2 shown]
	s_and_b64 s[20:21], s[16:17], s[90:91]
	s_waitcnt lgkmcnt(0)
	s_barrier
	s_and_saveexec_b64 s[16:17], s[20:21]
	s_cbranch_execz .LBB99_651
; %bb.650:
	v_lshlrev_b32_e32 v24, 2, v20
	ds_read_b32 v24, v24 offset:512
	ds_read_b32 v25, v23
	s_waitcnt lgkmcnt(0)
	v_fma_f32 v22, -v24, v25, v22
.LBB99_651:
	s_or_b64 exec, exec, s[16:17]
	v_cmp_eq_u32_e64 s[16:17], 1, v20
	s_and_b64 s[20:21], s[16:17], s[90:91]
	s_barrier
	s_and_saveexec_b64 s[16:17], s[20:21]
; %bb.652:
	v_xor_b32_e32 v24, 0x80000000, v22
	ds_write_b32 v23, v24
; %bb.653:
	s_or_b64 exec, exec, s[16:17]
	v_cmp_eq_u32_e64 s[16:17], 0, v20
	s_and_b64 s[16:17], s[16:17], s[90:91]
	s_waitcnt lgkmcnt(0)
	s_barrier
	s_and_saveexec_b64 s[20:21], s[16:17]
	s_cbranch_execz .LBB99_655
; %bb.654:
	v_mov_b32_e32 v24, 0
	ds_read_b32 v24, v24 offset:256
	ds_read_b32 v25, v23
	s_waitcnt lgkmcnt(0)
	v_fma_f32 v22, -v24, v25, v22
.LBB99_655:
	s_or_b64 exec, exec, s[20:21]
	s_barrier
	s_and_saveexec_b64 s[20:21], s[16:17]
; %bb.656:
	v_xor_b32_e32 v24, 0x80000000, v22
	ds_write_b32 v23, v24
; %bb.657:
	s_or_b64 exec, exec, s[20:21]
	s_waitcnt lgkmcnt(0)
	s_barrier
	s_barrier
	s_and_saveexec_b64 s[16:17], s[14:15]
; %bb.658:
	v_lshlrev_b32_e32 v20, 2, v20
	v_lshl_or_b32 v20, v21, 8, v20
	ds_write_b32 v20, v22 offset:8192
; %bb.659:
	s_or_b64 exec, exec, s[16:17]
	v_cmp_gt_u32_e64 s[14:15], 32, v0
	s_and_b64 s[14:15], s[12:13], s[14:15]
	s_waitcnt lgkmcnt(0)
	s_barrier
	s_barrier
	s_and_saveexec_b64 s[12:13], s[14:15]
	s_cbranch_execz .LBB99_661
; %bb.660:
	v_lshlrev_b32_e32 v20, 8, v0
	ds_read_b32 v21, v20 offset:8192
	s_movk_i32 s14, 0xff04
	v_mad_i32_i24 v22, v0, s14, v20
	s_waitcnt lgkmcnt(0)
	ds_write_b32 v22, v21 offset:128
	ds_read_b32 v21, v20 offset:8196
	s_waitcnt lgkmcnt(0)
	ds_write_b32 v22, v21 offset:384
	ds_read_b32 v21, v20 offset:8200
	;; [unrolled: 3-line block ×31, first 2 shown]
	s_waitcnt lgkmcnt(0)
	ds_write_b32 v22, v20 offset:8064
.LBB99_661:
	s_or_b64 exec, exec, s[12:13]
	s_waitcnt lgkmcnt(0)
	s_barrier
	s_and_saveexec_b64 s[12:13], vcc
	s_cbranch_execz .LBB99_663
; %bb.662:
	v_mov_b32_e32 v22, 0
	ds_read_b32 v21, v22 offset:8056
	v_mov_b32_e32 v20, 1.0
	ds_write_b32 v22, v20 offset:8060
	s_waitcnt lgkmcnt(1)
	ds_write_b64 v22, v[20:21] offset:7800
.LBB99_663:
	s_or_b64 exec, exec, s[12:13]
	v_mov_b32_e32 v20, 0
	s_waitcnt lgkmcnt(0)
	s_barrier
	buffer_wbinvl1_vol
	s_and_saveexec_b64 s[14:15], s[2:3]
	s_cbranch_execz .LBB99_667
; %bb.664:
	v_lshlrev_b32_e32 v20, 8, v3
	v_lshlrev_b32_e32 v21, 2, v2
	ds_read_b32 v22, v21 offset:7792
	ds_read_b32 v20, v20 offset:7800
	v_mov_b32_e32 v21, 0
	v_cmp_gt_u32_e64 s[12:13], 2, v5
	s_waitcnt lgkmcnt(0)
	v_fma_f32 v20, v22, v20, 0
	s_and_saveexec_b64 s[16:17], s[12:13]
	s_cbranch_execz .LBB99_666
; %bb.665:
	v_lshlrev_b32_e32 v22, 2, v0
	ds_read_b32 v22, v22 offset:8048
	ds_read_b32 v21, v21 offset:8060
	s_waitcnt lgkmcnt(0)
	v_fmac_f32_e32 v20, v22, v21
.LBB99_666:
	s_or_b64 exec, exec, s[16:17]
.LBB99_667:
	s_or_b64 exec, exec, s[14:15]
	s_and_saveexec_b64 s[12:13], s[38:39]
; %bb.668:
	v_xor_b32_e32 v21, 0x80000000, v20
	ds_write_b32 v4, v21
; %bb.669:
	s_or_b64 exec, exec, s[12:13]
	s_waitcnt lgkmcnt(0)
	s_barrier
	s_and_saveexec_b64 s[12:13], s[36:37]
	s_cbranch_execz .LBB99_671
; %bb.670:
	v_mov_b32_e32 v21, 0
	ds_read_b32 v21, v21 offset:7536
	ds_read_b32 v22, v4
	s_waitcnt lgkmcnt(0)
	v_fma_f32 v20, -v21, v22, v20
.LBB99_671:
	s_or_b64 exec, exec, s[12:13]
	s_barrier
	s_and_saveexec_b64 s[12:13], s[36:37]
; %bb.672:
	v_xor_b32_e32 v21, 0x80000000, v20
	ds_write_b32 v4, v21
; %bb.673:
	s_or_b64 exec, exec, s[12:13]
	s_waitcnt lgkmcnt(0)
	s_barrier
	s_barrier
	s_and_saveexec_b64 s[12:13], s[2:3]
; %bb.674:
	v_lshlrev_b32_e32 v21, 2, v2
	v_lshl_or_b32 v21, v3, 8, v21
	ds_write_b32 v21, v20 offset:7792
; %bb.675:
	s_or_b64 exec, exec, s[12:13]
	s_waitcnt lgkmcnt(0)
	s_barrier
	s_barrier
	s_and_saveexec_b64 s[12:13], s[40:41]
	s_cbranch_execz .LBB99_677
; %bb.676:
	v_lshlrev_b32_e32 v20, 2, v0
	s_movk_i32 s14, 0xfc
	v_mad_u32_u24 v21, v0, s14, v20
	ds_read_b32 v22, v21 offset:7792
	s_waitcnt lgkmcnt(0)
	ds_write_b32 v20, v22 offset:7288
	ds_read_b32 v21, v21 offset:7796
	s_waitcnt lgkmcnt(0)
	ds_write_b32 v20, v21 offset:7544
.LBB99_677:
	s_or_b64 exec, exec, s[12:13]
	s_waitcnt lgkmcnt(0)
	s_barrier
	s_and_saveexec_b64 s[12:13], vcc
	s_cbranch_execz .LBB99_679
; %bb.678:
	v_mov_b32_e32 v22, 0
	ds_read_b32 v21, v22 offset:7536
	v_mov_b32_e32 v20, 1.0
	ds_write_b32 v22, v20 offset:7540
	s_waitcnt lgkmcnt(1)
	ds_write_b64 v22, v[20:21] offset:7280
.LBB99_679:
	s_or_b64 exec, exec, s[12:13]
	v_mov_b32_e32 v20, 0
	s_waitcnt lgkmcnt(0)
	s_barrier
	buffer_wbinvl1_vol
	s_and_saveexec_b64 s[14:15], s[18:19]
	s_cbranch_execz .LBB99_685
; %bb.680:
	v_lshlrev_b32_e32 v22, 2, v11
	v_lshlrev_b32_e32 v21, 8, v12
	ds_read_b32 v20, v22 offset:7264
	ds_read_b32 v23, v21 offset:7280
	v_cmp_gt_u32_e64 s[12:13], 12, v5
	s_waitcnt lgkmcnt(0)
	v_fma_f32 v20, v20, v23, 0
	s_and_saveexec_b64 s[16:17], s[12:13]
	s_cbranch_execnz .LBB99_1198
; %bb.681:
	s_or_b64 exec, exec, s[16:17]
	v_cmp_gt_u32_e64 s[12:13], 8, v5
	s_and_saveexec_b64 s[16:17], s[12:13]
	s_cbranch_execnz .LBB99_1199
.LBB99_682:
	s_or_b64 exec, exec, s[16:17]
	v_cmp_gt_u32_e64 s[12:13], 4, v5
	s_and_saveexec_b64 s[16:17], s[12:13]
	s_cbranch_execz .LBB99_684
.LBB99_683:
	v_lshlrev_b32_e32 v21, 2, v0
	v_mov_b32_e32 v22, 0
	ds_read_b32 v21, v21 offset:8032
	ds_read_b32 v22, v22 offset:8060
	s_waitcnt lgkmcnt(0)
	v_fmac_f32_e32 v20, v21, v22
.LBB99_684:
	s_or_b64 exec, exec, s[16:17]
.LBB99_685:
	s_or_b64 exec, exec, s[14:15]
	s_and_saveexec_b64 s[12:13], s[44:45]
; %bb.686:
	v_xor_b32_e32 v21, 0x80000000, v20
	ds_write_b32 v13, v21
; %bb.687:
	s_or_b64 exec, exec, s[12:13]
	s_waitcnt lgkmcnt(0)
	s_barrier
	s_and_saveexec_b64 s[12:13], s[46:47]
	s_cbranch_execz .LBB99_689
; %bb.688:
	v_lshlrev_b32_e32 v21, 2, v11
	ds_read_b32 v21, v21 offset:7008
	ds_read_b32 v22, v13
	s_waitcnt lgkmcnt(0)
	v_fma_f32 v20, -v21, v22, v20
.LBB99_689:
	s_or_b64 exec, exec, s[12:13]
	s_barrier
	s_and_saveexec_b64 s[12:13], s[48:49]
; %bb.690:
	v_xor_b32_e32 v21, 0x80000000, v20
	ds_write_b32 v13, v21
; %bb.691:
	s_or_b64 exec, exec, s[12:13]
	s_waitcnt lgkmcnt(0)
	s_barrier
	s_and_saveexec_b64 s[12:13], s[50:51]
	s_cbranch_execz .LBB99_693
; %bb.692:
	v_lshlrev_b32_e32 v21, 2, v11
	ds_read_b32 v21, v21 offset:6752
	ds_read_b32 v22, v13
	s_waitcnt lgkmcnt(0)
	v_fma_f32 v20, -v21, v22, v20
.LBB99_693:
	s_or_b64 exec, exec, s[12:13]
	s_barrier
	s_and_saveexec_b64 s[12:13], s[52:53]
; %bb.694:
	v_xor_b32_e32 v21, 0x80000000, v20
	ds_write_b32 v13, v21
; %bb.695:
	s_or_b64 exec, exec, s[12:13]
	s_waitcnt lgkmcnt(0)
	s_barrier
	s_and_saveexec_b64 s[12:13], s[42:43]
	s_cbranch_execz .LBB99_697
; %bb.696:
	v_mov_b32_e32 v21, 0
	ds_read_b32 v21, v21 offset:6496
	ds_read_b32 v22, v13
	s_waitcnt lgkmcnt(0)
	v_fma_f32 v20, -v21, v22, v20
.LBB99_697:
	s_or_b64 exec, exec, s[12:13]
	s_barrier
	s_and_saveexec_b64 s[12:13], s[42:43]
; %bb.698:
	v_xor_b32_e32 v21, 0x80000000, v20
	ds_write_b32 v13, v21
; %bb.699:
	s_or_b64 exec, exec, s[12:13]
	s_waitcnt lgkmcnt(0)
	s_barrier
	s_barrier
	s_and_saveexec_b64 s[12:13], s[18:19]
; %bb.700:
	v_lshlrev_b32_e32 v21, 2, v11
	v_lshl_or_b32 v21, v12, 8, v21
	ds_write_b32 v21, v20 offset:7264
; %bb.701:
	s_or_b64 exec, exec, s[12:13]
	s_waitcnt lgkmcnt(0)
	s_barrier
	s_barrier
	s_and_saveexec_b64 s[12:13], s[54:55]
	s_cbranch_execz .LBB99_703
; %bb.702:
	v_lshlrev_b32_e32 v20, 8, v0
	ds_read_b32 v21, v20 offset:7264
	s_movk_i32 s14, 0xff04
	v_mad_i32_i24 v22, v0, s14, v20
	s_waitcnt lgkmcnt(0)
	ds_write_b32 v22, v21 offset:6256
	ds_read_b32 v21, v20 offset:7268
	s_waitcnt lgkmcnt(0)
	ds_write_b32 v22, v21 offset:6512
	ds_read_b32 v21, v20 offset:7272
	;; [unrolled: 3-line block ×3, first 2 shown]
	s_waitcnt lgkmcnt(0)
	ds_write_b32 v22, v20 offset:7024
.LBB99_703:
	s_or_b64 exec, exec, s[12:13]
	s_waitcnt lgkmcnt(0)
	s_barrier
	s_and_saveexec_b64 s[12:13], vcc
	s_cbranch_execz .LBB99_705
; %bb.704:
	v_mov_b32_e32 v22, 0
	ds_read_b32 v21, v22 offset:7016
	v_mov_b32_e32 v20, 1.0
	ds_write_b32 v22, v20 offset:7020
	s_waitcnt lgkmcnt(1)
	ds_write_b64 v22, v[20:21] offset:6760
.LBB99_705:
	s_or_b64 exec, exec, s[12:13]
	v_mov_b32_e32 v20, 0
	s_waitcnt lgkmcnt(0)
	s_barrier
	buffer_wbinvl1_vol
	s_and_saveexec_b64 s[14:15], s[2:3]
	s_cbranch_execz .LBB99_709
; %bb.706:
	v_lshlrev_b32_e32 v20, 8, v3
	v_lshlrev_b32_e32 v21, 2, v2
	ds_read_b32 v22, v21 offset:6752
	ds_read_b32 v20, v20 offset:6760
	v_mov_b32_e32 v21, 0
	v_cmp_gt_u32_e64 s[12:13], 2, v5
	s_waitcnt lgkmcnt(0)
	v_fma_f32 v20, v22, v20, 0
	s_and_saveexec_b64 s[16:17], s[12:13]
	s_cbranch_execz .LBB99_708
; %bb.707:
	v_lshlrev_b32_e32 v22, 2, v0
	ds_read_b32 v22, v22 offset:7008
	ds_read_b32 v21, v21 offset:7020
	s_waitcnt lgkmcnt(0)
	v_fmac_f32_e32 v20, v22, v21
.LBB99_708:
	s_or_b64 exec, exec, s[16:17]
.LBB99_709:
	s_or_b64 exec, exec, s[14:15]
	s_and_saveexec_b64 s[12:13], s[38:39]
; %bb.710:
	v_xor_b32_e32 v21, 0x80000000, v20
	ds_write_b32 v4, v21
; %bb.711:
	s_or_b64 exec, exec, s[12:13]
	s_waitcnt lgkmcnt(0)
	s_barrier
	s_and_saveexec_b64 s[12:13], s[36:37]
	s_cbranch_execz .LBB99_713
; %bb.712:
	v_mov_b32_e32 v21, 0
	ds_read_b32 v21, v21 offset:6496
	ds_read_b32 v22, v4
	s_waitcnt lgkmcnt(0)
	v_fma_f32 v20, -v21, v22, v20
.LBB99_713:
	s_or_b64 exec, exec, s[12:13]
	s_barrier
	s_and_saveexec_b64 s[12:13], s[36:37]
; %bb.714:
	v_xor_b32_e32 v21, 0x80000000, v20
	ds_write_b32 v4, v21
; %bb.715:
	s_or_b64 exec, exec, s[12:13]
	s_waitcnt lgkmcnt(0)
	s_barrier
	s_barrier
	s_and_saveexec_b64 s[12:13], s[2:3]
; %bb.716:
	v_lshlrev_b32_e32 v21, 2, v2
	v_lshl_or_b32 v21, v3, 8, v21
	ds_write_b32 v21, v20 offset:6752
; %bb.717:
	s_or_b64 exec, exec, s[12:13]
	s_waitcnt lgkmcnt(0)
	s_barrier
	s_barrier
	s_and_saveexec_b64 s[12:13], s[40:41]
	s_cbranch_execz .LBB99_719
; %bb.718:
	v_lshlrev_b32_e32 v20, 2, v0
	s_movk_i32 s14, 0xfc
	v_mad_u32_u24 v21, v0, s14, v20
	ds_read_b32 v22, v21 offset:6752
	s_waitcnt lgkmcnt(0)
	ds_write_b32 v20, v22 offset:6248
	ds_read_b32 v21, v21 offset:6756
	s_waitcnt lgkmcnt(0)
	ds_write_b32 v20, v21 offset:6504
.LBB99_719:
	s_or_b64 exec, exec, s[12:13]
	s_waitcnt lgkmcnt(0)
	s_barrier
	s_and_saveexec_b64 s[12:13], vcc
	s_cbranch_execz .LBB99_721
; %bb.720:
	v_mov_b32_e32 v22, 0
	ds_read_b32 v21, v22 offset:6496
	v_mov_b32_e32 v20, 1.0
	ds_write_b32 v22, v20 offset:6500
	s_waitcnt lgkmcnt(1)
	ds_write_b64 v22, v[20:21] offset:6240
.LBB99_721:
	s_or_b64 exec, exec, s[12:13]
	v_mov_b32_e32 v20, 0
	s_waitcnt lgkmcnt(0)
	s_barrier
	buffer_wbinvl1_vol
	s_and_saveexec_b64 s[14:15], s[8:9]
	s_cbranch_execz .LBB99_731
; %bb.722:
	v_lshlrev_b32_e32 v22, 2, v14
	v_lshlrev_b32_e32 v21, 8, v15
	ds_read_b32 v20, v22 offset:6208
	ds_read_b32 v23, v21 offset:6240
	v_cmp_gt_u32_e64 s[12:13], 56, v5
	s_waitcnt lgkmcnt(0)
	v_fma_f32 v20, v20, v23, 0
	s_and_saveexec_b64 s[16:17], s[12:13]
	s_cbranch_execnz .LBB99_1200
; %bb.723:
	s_or_b64 exec, exec, s[16:17]
	v_cmp_gt_u32_e64 s[12:13], 48, v5
	s_and_saveexec_b64 s[16:17], s[12:13]
	s_cbranch_execnz .LBB99_1201
.LBB99_724:
	s_or_b64 exec, exec, s[16:17]
	v_cmp_gt_u32_e64 s[12:13], 40, v5
	s_and_saveexec_b64 s[16:17], s[12:13]
	s_cbranch_execnz .LBB99_1202
.LBB99_725:
	s_or_b64 exec, exec, s[16:17]
	v_cmp_gt_u32_e64 s[12:13], 32, v5
	s_and_saveexec_b64 s[16:17], s[12:13]
	s_cbranch_execnz .LBB99_1203
.LBB99_726:
	s_or_b64 exec, exec, s[16:17]
	v_cmp_gt_u32_e64 s[12:13], 24, v5
	s_and_saveexec_b64 s[16:17], s[12:13]
	s_cbranch_execnz .LBB99_1204
.LBB99_727:
	s_or_b64 exec, exec, s[16:17]
	s_and_saveexec_b64 s[12:13], s[18:19]
	s_cbranch_execnz .LBB99_1205
.LBB99_728:
	s_or_b64 exec, exec, s[12:13]
	v_cmp_gt_u32_e64 s[12:13], 8, v5
	s_and_saveexec_b64 s[16:17], s[12:13]
	s_cbranch_execz .LBB99_730
.LBB99_729:
	v_lshlrev_b32_e32 v21, 2, v0
	v_mov_b32_e32 v22, 0
	ds_read_b32 v21, v21 offset:8000
	ds_read_b32 v22, v22 offset:8060
	s_waitcnt lgkmcnt(0)
	v_fmac_f32_e32 v20, v21, v22
.LBB99_730:
	s_or_b64 exec, exec, s[16:17]
.LBB99_731:
	s_or_b64 exec, exec, s[14:15]
	s_and_saveexec_b64 s[12:13], s[56:57]
; %bb.732:
	v_xor_b32_e32 v21, 0x80000000, v20
	ds_write_b32 v16, v21
; %bb.733:
	s_or_b64 exec, exec, s[12:13]
	s_waitcnt lgkmcnt(0)
	s_barrier
	s_and_saveexec_b64 s[12:13], s[58:59]
	s_cbranch_execz .LBB99_735
; %bb.734:
	v_lshlrev_b32_e32 v21, 2, v14
	ds_read_b32 v21, v21 offset:5952
	ds_read_b32 v22, v16
	s_waitcnt lgkmcnt(0)
	v_fma_f32 v20, -v21, v22, v20
.LBB99_735:
	s_or_b64 exec, exec, s[12:13]
	s_barrier
	s_and_saveexec_b64 s[12:13], s[60:61]
; %bb.736:
	v_xor_b32_e32 v21, 0x80000000, v20
	ds_write_b32 v16, v21
; %bb.737:
	s_or_b64 exec, exec, s[12:13]
	s_waitcnt lgkmcnt(0)
	s_barrier
	s_and_saveexec_b64 s[12:13], s[62:63]
	s_cbranch_execz .LBB99_739
; %bb.738:
	v_lshlrev_b32_e32 v21, 2, v14
	ds_read_b32 v21, v21 offset:5696
	ds_read_b32 v22, v16
	s_waitcnt lgkmcnt(0)
	v_fma_f32 v20, -v21, v22, v20
.LBB99_739:
	s_or_b64 exec, exec, s[12:13]
	s_barrier
	;; [unrolled: 19-line block ×6, first 2 shown]
	s_and_saveexec_b64 s[12:13], s[82:83]
; %bb.756:
	v_xor_b32_e32 v21, 0x80000000, v20
	ds_write_b32 v16, v21
; %bb.757:
	s_or_b64 exec, exec, s[12:13]
	s_waitcnt lgkmcnt(0)
	s_barrier
	s_and_saveexec_b64 s[12:13], s[66:67]
	s_cbranch_execz .LBB99_759
; %bb.758:
	v_mov_b32_e32 v21, 0
	ds_read_b32 v21, v21 offset:4416
	ds_read_b32 v22, v16
	s_waitcnt lgkmcnt(0)
	v_fma_f32 v20, -v21, v22, v20
.LBB99_759:
	s_or_b64 exec, exec, s[12:13]
	s_barrier
	s_and_saveexec_b64 s[12:13], s[66:67]
; %bb.760:
	v_xor_b32_e32 v21, 0x80000000, v20
	ds_write_b32 v16, v21
; %bb.761:
	s_or_b64 exec, exec, s[12:13]
	s_waitcnt lgkmcnt(0)
	s_barrier
	s_barrier
	s_and_saveexec_b64 s[12:13], s[8:9]
; %bb.762:
	v_lshlrev_b32_e32 v21, 2, v14
	v_lshl_or_b32 v21, v15, 8, v21
	ds_write_b32 v21, v20 offset:6208
; %bb.763:
	s_or_b64 exec, exec, s[12:13]
	s_waitcnt lgkmcnt(0)
	s_barrier
	s_barrier
	s_and_saveexec_b64 s[12:13], s[84:85]
	s_cbranch_execz .LBB99_765
; %bb.764:
	v_lshlrev_b32_e32 v20, 8, v0
	ds_read_b32 v21, v20 offset:6208
	s_movk_i32 s14, 0xff04
	v_mad_i32_i24 v22, v0, s14, v20
	s_waitcnt lgkmcnt(0)
	ds_write_b32 v22, v21 offset:4192
	ds_read_b32 v21, v20 offset:6212
	s_waitcnt lgkmcnt(0)
	ds_write_b32 v22, v21 offset:4448
	ds_read_b32 v21, v20 offset:6216
	;; [unrolled: 3-line block ×7, first 2 shown]
	s_waitcnt lgkmcnt(0)
	ds_write_b32 v22, v20 offset:5984
.LBB99_765:
	s_or_b64 exec, exec, s[12:13]
	s_waitcnt lgkmcnt(0)
	s_barrier
	s_and_saveexec_b64 s[12:13], vcc
	s_cbranch_execz .LBB99_767
; %bb.766:
	v_mov_b32_e32 v22, 0
	ds_read_b32 v21, v22 offset:5976
	v_mov_b32_e32 v20, 1.0
	ds_write_b32 v22, v20 offset:5980
	s_waitcnt lgkmcnt(1)
	ds_write_b64 v22, v[20:21] offset:5720
.LBB99_767:
	s_or_b64 exec, exec, s[12:13]
	v_mov_b32_e32 v20, 0
	s_waitcnt lgkmcnt(0)
	s_barrier
	buffer_wbinvl1_vol
	s_and_saveexec_b64 s[14:15], s[2:3]
	s_cbranch_execz .LBB99_771
; %bb.768:
	v_lshlrev_b32_e32 v20, 8, v3
	v_lshlrev_b32_e32 v21, 2, v2
	ds_read_b32 v22, v21 offset:5712
	ds_read_b32 v20, v20 offset:5720
	v_mov_b32_e32 v21, 0
	v_cmp_gt_u32_e64 s[12:13], 2, v5
	s_waitcnt lgkmcnt(0)
	v_fma_f32 v20, v22, v20, 0
	s_and_saveexec_b64 s[16:17], s[12:13]
	s_cbranch_execz .LBB99_770
; %bb.769:
	v_lshlrev_b32_e32 v22, 2, v0
	ds_read_b32 v22, v22 offset:5968
	ds_read_b32 v21, v21 offset:5980
	s_waitcnt lgkmcnt(0)
	v_fmac_f32_e32 v20, v22, v21
.LBB99_770:
	s_or_b64 exec, exec, s[16:17]
.LBB99_771:
	s_or_b64 exec, exec, s[14:15]
	s_and_saveexec_b64 s[12:13], s[38:39]
; %bb.772:
	v_xor_b32_e32 v21, 0x80000000, v20
	ds_write_b32 v4, v21
; %bb.773:
	s_or_b64 exec, exec, s[12:13]
	s_waitcnt lgkmcnt(0)
	s_barrier
	s_and_saveexec_b64 s[12:13], s[36:37]
	s_cbranch_execz .LBB99_775
; %bb.774:
	v_mov_b32_e32 v21, 0
	ds_read_b32 v21, v21 offset:5456
	ds_read_b32 v22, v4
	s_waitcnt lgkmcnt(0)
	v_fma_f32 v20, -v21, v22, v20
.LBB99_775:
	s_or_b64 exec, exec, s[12:13]
	s_barrier
	s_and_saveexec_b64 s[12:13], s[36:37]
; %bb.776:
	v_xor_b32_e32 v21, 0x80000000, v20
	ds_write_b32 v4, v21
; %bb.777:
	s_or_b64 exec, exec, s[12:13]
	s_waitcnt lgkmcnt(0)
	s_barrier
	s_barrier
	s_and_saveexec_b64 s[12:13], s[2:3]
; %bb.778:
	v_lshlrev_b32_e32 v21, 2, v2
	v_lshl_or_b32 v21, v3, 8, v21
	ds_write_b32 v21, v20 offset:5712
; %bb.779:
	s_or_b64 exec, exec, s[12:13]
	s_waitcnt lgkmcnt(0)
	s_barrier
	s_barrier
	s_and_saveexec_b64 s[12:13], s[40:41]
	s_cbranch_execz .LBB99_781
; %bb.780:
	v_lshlrev_b32_e32 v20, 2, v0
	s_movk_i32 s14, 0xfc
	v_mad_u32_u24 v21, v0, s14, v20
	ds_read_b32 v22, v21 offset:5712
	s_waitcnt lgkmcnt(0)
	ds_write_b32 v20, v22 offset:5208
	ds_read_b32 v21, v21 offset:5716
	s_waitcnt lgkmcnt(0)
	ds_write_b32 v20, v21 offset:5464
.LBB99_781:
	s_or_b64 exec, exec, s[12:13]
	s_waitcnt lgkmcnt(0)
	s_barrier
	s_and_saveexec_b64 s[12:13], vcc
	s_cbranch_execz .LBB99_783
; %bb.782:
	v_mov_b32_e32 v22, 0
	ds_read_b32 v21, v22 offset:5456
	v_mov_b32_e32 v20, 1.0
	ds_write_b32 v22, v20 offset:5460
	s_waitcnt lgkmcnt(1)
	ds_write_b64 v22, v[20:21] offset:5200
.LBB99_783:
	s_or_b64 exec, exec, s[12:13]
	v_mov_b32_e32 v20, 0
	s_waitcnt lgkmcnt(0)
	s_barrier
	buffer_wbinvl1_vol
	s_and_saveexec_b64 s[14:15], s[18:19]
	s_cbranch_execz .LBB99_789
; %bb.784:
	v_lshlrev_b32_e32 v22, 2, v11
	v_lshlrev_b32_e32 v21, 8, v12
	ds_read_b32 v20, v22 offset:5184
	ds_read_b32 v23, v21 offset:5200
	v_cmp_gt_u32_e64 s[12:13], 12, v5
	s_waitcnt lgkmcnt(0)
	v_fma_f32 v20, v20, v23, 0
	s_and_saveexec_b64 s[16:17], s[12:13]
	s_cbranch_execnz .LBB99_1206
; %bb.785:
	s_or_b64 exec, exec, s[16:17]
	v_cmp_gt_u32_e64 s[12:13], 8, v5
	s_and_saveexec_b64 s[16:17], s[12:13]
	s_cbranch_execnz .LBB99_1207
.LBB99_786:
	s_or_b64 exec, exec, s[16:17]
	v_cmp_gt_u32_e64 s[12:13], 4, v5
	s_and_saveexec_b64 s[16:17], s[12:13]
	s_cbranch_execz .LBB99_788
.LBB99_787:
	v_lshlrev_b32_e32 v21, 2, v0
	v_mov_b32_e32 v22, 0
	ds_read_b32 v21, v21 offset:5952
	ds_read_b32 v22, v22 offset:5980
	s_waitcnt lgkmcnt(0)
	v_fmac_f32_e32 v20, v21, v22
.LBB99_788:
	s_or_b64 exec, exec, s[16:17]
.LBB99_789:
	s_or_b64 exec, exec, s[14:15]
	s_and_saveexec_b64 s[12:13], s[44:45]
; %bb.790:
	v_xor_b32_e32 v21, 0x80000000, v20
	ds_write_b32 v13, v21
; %bb.791:
	s_or_b64 exec, exec, s[12:13]
	s_waitcnt lgkmcnt(0)
	s_barrier
	s_and_saveexec_b64 s[12:13], s[46:47]
	s_cbranch_execz .LBB99_793
; %bb.792:
	v_lshlrev_b32_e32 v21, 2, v11
	ds_read_b32 v21, v21 offset:4928
	ds_read_b32 v22, v13
	s_waitcnt lgkmcnt(0)
	v_fma_f32 v20, -v21, v22, v20
.LBB99_793:
	s_or_b64 exec, exec, s[12:13]
	s_barrier
	s_and_saveexec_b64 s[12:13], s[48:49]
; %bb.794:
	v_xor_b32_e32 v21, 0x80000000, v20
	ds_write_b32 v13, v21
; %bb.795:
	s_or_b64 exec, exec, s[12:13]
	s_waitcnt lgkmcnt(0)
	s_barrier
	s_and_saveexec_b64 s[12:13], s[50:51]
	s_cbranch_execz .LBB99_797
; %bb.796:
	v_lshlrev_b32_e32 v21, 2, v11
	ds_read_b32 v21, v21 offset:4672
	ds_read_b32 v22, v13
	s_waitcnt lgkmcnt(0)
	v_fma_f32 v20, -v21, v22, v20
.LBB99_797:
	s_or_b64 exec, exec, s[12:13]
	s_barrier
	s_and_saveexec_b64 s[12:13], s[52:53]
; %bb.798:
	v_xor_b32_e32 v21, 0x80000000, v20
	ds_write_b32 v13, v21
; %bb.799:
	s_or_b64 exec, exec, s[12:13]
	s_waitcnt lgkmcnt(0)
	s_barrier
	s_and_saveexec_b64 s[12:13], s[42:43]
	s_cbranch_execz .LBB99_801
; %bb.800:
	v_mov_b32_e32 v21, 0
	ds_read_b32 v21, v21 offset:4416
	ds_read_b32 v22, v13
	s_waitcnt lgkmcnt(0)
	v_fma_f32 v20, -v21, v22, v20
.LBB99_801:
	s_or_b64 exec, exec, s[12:13]
	s_barrier
	s_and_saveexec_b64 s[12:13], s[42:43]
; %bb.802:
	v_xor_b32_e32 v21, 0x80000000, v20
	ds_write_b32 v13, v21
; %bb.803:
	s_or_b64 exec, exec, s[12:13]
	s_waitcnt lgkmcnt(0)
	s_barrier
	s_barrier
	s_and_saveexec_b64 s[12:13], s[18:19]
; %bb.804:
	v_lshlrev_b32_e32 v21, 2, v11
	v_lshl_or_b32 v21, v12, 8, v21
	ds_write_b32 v21, v20 offset:5184
; %bb.805:
	s_or_b64 exec, exec, s[12:13]
	s_waitcnt lgkmcnt(0)
	s_barrier
	s_barrier
	s_and_saveexec_b64 s[12:13], s[54:55]
	s_cbranch_execz .LBB99_807
; %bb.806:
	v_lshlrev_b32_e32 v20, 8, v0
	ds_read_b32 v21, v20 offset:5184
	s_movk_i32 s14, 0xff04
	v_mad_i32_i24 v22, v0, s14, v20
	s_waitcnt lgkmcnt(0)
	ds_write_b32 v22, v21 offset:4176
	ds_read_b32 v21, v20 offset:5188
	s_waitcnt lgkmcnt(0)
	ds_write_b32 v22, v21 offset:4432
	ds_read_b32 v21, v20 offset:5192
	;; [unrolled: 3-line block ×3, first 2 shown]
	s_waitcnt lgkmcnt(0)
	ds_write_b32 v22, v20 offset:4944
.LBB99_807:
	s_or_b64 exec, exec, s[12:13]
	s_waitcnt lgkmcnt(0)
	s_barrier
	s_and_saveexec_b64 s[12:13], vcc
	s_cbranch_execz .LBB99_809
; %bb.808:
	v_mov_b32_e32 v22, 0
	ds_read_b32 v21, v22 offset:4936
	v_mov_b32_e32 v20, 1.0
	ds_write_b32 v22, v20 offset:4940
	s_waitcnt lgkmcnt(1)
	ds_write_b64 v22, v[20:21] offset:4680
.LBB99_809:
	s_or_b64 exec, exec, s[12:13]
	v_mov_b32_e32 v20, 0
	s_waitcnt lgkmcnt(0)
	s_barrier
	buffer_wbinvl1_vol
	s_and_saveexec_b64 s[14:15], s[2:3]
	s_cbranch_execz .LBB99_813
; %bb.810:
	v_lshlrev_b32_e32 v20, 8, v3
	v_lshlrev_b32_e32 v21, 2, v2
	ds_read_b32 v22, v21 offset:4672
	ds_read_b32 v20, v20 offset:4680
	v_mov_b32_e32 v21, 0
	v_cmp_gt_u32_e64 s[12:13], 2, v5
	s_waitcnt lgkmcnt(0)
	v_fma_f32 v20, v22, v20, 0
	s_and_saveexec_b64 s[16:17], s[12:13]
	s_cbranch_execz .LBB99_812
; %bb.811:
	v_lshlrev_b32_e32 v22, 2, v0
	ds_read_b32 v22, v22 offset:4928
	ds_read_b32 v21, v21 offset:4940
	s_waitcnt lgkmcnt(0)
	v_fmac_f32_e32 v20, v22, v21
.LBB99_812:
	s_or_b64 exec, exec, s[16:17]
.LBB99_813:
	s_or_b64 exec, exec, s[14:15]
	s_and_saveexec_b64 s[12:13], s[38:39]
; %bb.814:
	v_xor_b32_e32 v21, 0x80000000, v20
	ds_write_b32 v4, v21
; %bb.815:
	s_or_b64 exec, exec, s[12:13]
	s_waitcnt lgkmcnt(0)
	s_barrier
	s_and_saveexec_b64 s[12:13], s[36:37]
	s_cbranch_execz .LBB99_817
; %bb.816:
	v_mov_b32_e32 v21, 0
	ds_read_b32 v21, v21 offset:4416
	ds_read_b32 v22, v4
	s_waitcnt lgkmcnt(0)
	v_fma_f32 v20, -v21, v22, v20
.LBB99_817:
	s_or_b64 exec, exec, s[12:13]
	s_barrier
	s_and_saveexec_b64 s[12:13], s[36:37]
; %bb.818:
	v_xor_b32_e32 v21, 0x80000000, v20
	ds_write_b32 v4, v21
; %bb.819:
	s_or_b64 exec, exec, s[12:13]
	s_waitcnt lgkmcnt(0)
	s_barrier
	s_barrier
	s_and_saveexec_b64 s[12:13], s[2:3]
; %bb.820:
	v_lshlrev_b32_e32 v21, 2, v2
	v_lshl_or_b32 v21, v3, 8, v21
	ds_write_b32 v21, v20 offset:4672
; %bb.821:
	s_or_b64 exec, exec, s[12:13]
	s_waitcnt lgkmcnt(0)
	s_barrier
	s_barrier
	s_and_saveexec_b64 s[12:13], s[40:41]
	s_cbranch_execz .LBB99_823
; %bb.822:
	v_lshlrev_b32_e32 v20, 2, v0
	s_movk_i32 s14, 0xfc
	v_mad_u32_u24 v21, v0, s14, v20
	ds_read_b32 v22, v21 offset:4672
	s_waitcnt lgkmcnt(0)
	ds_write_b32 v20, v22 offset:4168
	ds_read_b32 v21, v21 offset:4676
	s_waitcnt lgkmcnt(0)
	ds_write_b32 v20, v21 offset:4424
.LBB99_823:
	s_or_b64 exec, exec, s[12:13]
	s_waitcnt lgkmcnt(0)
	s_barrier
	s_and_saveexec_b64 s[12:13], vcc
	s_cbranch_execz .LBB99_825
; %bb.824:
	v_mov_b32_e32 v22, 0
	ds_read_b32 v21, v22 offset:4416
	v_mov_b32_e32 v20, 1.0
	ds_write_b32 v22, v20 offset:4420
	s_waitcnt lgkmcnt(1)
	ds_write_b64 v22, v[20:21] offset:4160
.LBB99_825:
	s_or_b64 exec, exec, s[12:13]
	v_mov_b32_e32 v20, 0
	s_waitcnt lgkmcnt(0)
	s_barrier
	buffer_wbinvl1_vol
	s_and_saveexec_b64 s[14:15], s[10:11]
	s_cbranch_execz .LBB99_853
; %bb.826:
	v_lshlrev_b32_e32 v22, 2, v17
	v_lshlrev_b32_e32 v21, 8, v18
	ds_read_b32 v20, v22 offset:4096
	ds_read_b32 v23, v21 offset:4160
	s_movk_i32 s12, 0xf0
	v_cmp_gt_u32_e64 s[12:13], s12, v5
	s_waitcnt lgkmcnt(0)
	v_fma_f32 v20, v20, v23, 0
	s_and_saveexec_b64 s[16:17], s[12:13]
	s_cbranch_execz .LBB99_828
; %bb.827:
	ds_read_b32 v23, v22 offset:4352
	ds_read_b32 v24, v21 offset:4164
	s_waitcnt lgkmcnt(0)
	v_fmac_f32_e32 v20, v23, v24
.LBB99_828:
	s_or_b64 exec, exec, s[16:17]
	s_movk_i32 s12, 0xe0
	v_cmp_gt_u32_e64 s[12:13], s12, v5
	s_and_saveexec_b64 s[16:17], s[12:13]
	s_cbranch_execz .LBB99_830
; %bb.829:
	ds_read_b32 v23, v22 offset:4608
	ds_read_b32 v24, v21 offset:4168
	s_waitcnt lgkmcnt(0)
	v_fmac_f32_e32 v20, v23, v24
.LBB99_830:
	s_or_b64 exec, exec, s[16:17]
	s_movk_i32 s12, 0xd0
	v_cmp_gt_u32_e64 s[12:13], s12, v5
	;; [unrolled: 11-line block ×10, first 2 shown]
	s_and_saveexec_b64 s[16:17], s[12:13]
	s_cbranch_execnz .LBB99_1208
; %bb.847:
	s_or_b64 exec, exec, s[16:17]
	s_and_saveexec_b64 s[12:13], s[8:9]
	s_cbranch_execnz .LBB99_1209
.LBB99_848:
	s_or_b64 exec, exec, s[12:13]
	v_cmp_gt_u32_e64 s[12:13], 48, v5
	s_and_saveexec_b64 s[16:17], s[12:13]
	s_cbranch_execnz .LBB99_1210
.LBB99_849:
	s_or_b64 exec, exec, s[16:17]
	v_cmp_gt_u32_e64 s[12:13], 32, v5
	s_and_saveexec_b64 s[16:17], s[12:13]
	s_cbranch_execnz .LBB99_1211
.LBB99_850:
	s_or_b64 exec, exec, s[16:17]
	v_cmp_gt_u32_e64 s[12:13], 16, v5
	s_and_saveexec_b64 s[16:17], s[12:13]
	s_cbranch_execz .LBB99_852
.LBB99_851:
	v_lshlrev_b32_e32 v21, 2, v0
	v_mov_b32_e32 v22, 0
	ds_read_b32 v21, v21 offset:7936
	ds_read_b32 v22, v22 offset:8060
	s_waitcnt lgkmcnt(0)
	v_fmac_f32_e32 v20, v21, v22
.LBB99_852:
	s_or_b64 exec, exec, s[16:17]
.LBB99_853:
	s_or_b64 exec, exec, s[14:15]
	s_mov_b64 s[12:13], exec
	v_readlane_b32 s14, v28, 3
	v_readlane_b32 s15, v28, 4
	s_and_b64 s[14:15], s[12:13], s[14:15]
	s_mov_b64 exec, s[14:15]
; %bb.854:
	v_xor_b32_e32 v21, 0x80000000, v20
	ds_write_b32 v19, v21
; %bb.855:
	s_or_b64 exec, exec, s[12:13]
	s_waitcnt lgkmcnt(0)
	s_barrier
	s_mov_b64 s[12:13], exec
	v_readlane_b32 s14, v28, 5
	v_readlane_b32 s15, v28, 6
	s_and_b64 s[14:15], s[12:13], s[14:15]
	s_mov_b64 exec, s[14:15]
	s_cbranch_execz .LBB99_857
; %bb.856:
	v_lshlrev_b32_e32 v21, 2, v17
	ds_read_b32 v21, v21 offset:3840
	ds_read_b32 v22, v19
	s_waitcnt lgkmcnt(0)
	v_fma_f32 v20, -v21, v22, v20
.LBB99_857:
	s_or_b64 exec, exec, s[12:13]
	s_barrier
	s_mov_b64 s[12:13], exec
	v_readlane_b32 s14, v28, 7
	v_readlane_b32 s15, v28, 8
	s_and_b64 s[14:15], s[12:13], s[14:15]
	s_mov_b64 exec, s[14:15]
; %bb.858:
	v_xor_b32_e32 v21, 0x80000000, v20
	ds_write_b32 v19, v21
; %bb.859:
	s_or_b64 exec, exec, s[12:13]
	s_waitcnt lgkmcnt(0)
	s_barrier
	s_mov_b64 s[12:13], exec
	v_readlane_b32 s14, v28, 9
	v_readlane_b32 s15, v28, 10
	s_and_b64 s[14:15], s[12:13], s[14:15]
	s_mov_b64 exec, s[14:15]
	s_cbranch_execz .LBB99_861
; %bb.860:
	v_lshlrev_b32_e32 v21, 2, v17
	ds_read_b32 v21, v21 offset:3584
	ds_read_b32 v22, v19
	s_waitcnt lgkmcnt(0)
	v_fma_f32 v20, -v21, v22, v20
.LBB99_861:
	s_or_b64 exec, exec, s[12:13]
	s_barrier
	;; [unrolled: 27-line block ×13, first 2 shown]
	s_mov_b64 s[12:13], exec
	v_readlane_b32 s14, v28, 55
	v_readlane_b32 s15, v28, 56
	s_and_b64 s[14:15], s[12:13], s[14:15]
	s_mov_b64 exec, s[14:15]
; %bb.906:
	v_xor_b32_e32 v21, 0x80000000, v20
	ds_write_b32 v19, v21
; %bb.907:
	s_or_b64 exec, exec, s[12:13]
	s_waitcnt lgkmcnt(0)
	s_barrier
	s_and_saveexec_b64 s[12:13], s[0:1]
	s_cbranch_execz .LBB99_909
; %bb.908:
	v_lshlrev_b32_e32 v21, 2, v17
	ds_read_b32 v21, v21 offset:512
	ds_read_b32 v22, v19
	s_waitcnt lgkmcnt(0)
	v_fma_f32 v20, -v21, v22, v20
.LBB99_909:
	s_or_b64 exec, exec, s[12:13]
	s_barrier
	s_mov_b64 s[0:1], exec
	v_readlane_b32 s12, v28, 57
	v_readlane_b32 s13, v28, 58
	s_and_b64 s[12:13], s[0:1], s[12:13]
	s_mov_b64 exec, s[12:13]
; %bb.910:
	v_xor_b32_e32 v21, 0x80000000, v20
	ds_write_b32 v19, v21
; %bb.911:
	s_or_b64 exec, exec, s[0:1]
	s_waitcnt lgkmcnt(0)
	s_barrier
	s_and_saveexec_b64 s[0:1], s[92:93]
	s_cbranch_execz .LBB99_913
; %bb.912:
	v_mov_b32_e32 v21, 0
	ds_read_b32 v21, v21 offset:256
	ds_read_b32 v22, v19
	s_waitcnt lgkmcnt(0)
	v_fma_f32 v20, -v21, v22, v20
.LBB99_913:
	s_or_b64 exec, exec, s[0:1]
	s_barrier
	s_and_saveexec_b64 s[0:1], s[92:93]
; %bb.914:
	v_xor_b32_e32 v21, 0x80000000, v20
	ds_write_b32 v19, v21
; %bb.915:
	s_or_b64 exec, exec, s[0:1]
	s_waitcnt lgkmcnt(0)
	s_barrier
	s_barrier
	s_and_saveexec_b64 s[0:1], s[10:11]
; %bb.916:
	v_lshlrev_b32_e32 v17, 2, v17
	v_lshl_or_b32 v17, v18, 8, v17
	ds_write_b32 v17, v20 offset:4096
; %bb.917:
	s_or_b64 exec, exec, s[0:1]
	s_waitcnt lgkmcnt(0)
	s_barrier
	s_barrier
	s_and_saveexec_b64 s[0:1], s[88:89]
	s_cbranch_execz .LBB99_919
; %bb.918:
	v_lshlrev_b32_e32 v17, 8, v0
	ds_read_b32 v18, v17 offset:4096
	s_movk_i32 s10, 0xff04
	v_mad_i32_i24 v19, v0, s10, v17
	s_waitcnt lgkmcnt(0)
	ds_write_b32 v19, v18 offset:64
	ds_read_b32 v18, v17 offset:4100
	s_waitcnt lgkmcnt(0)
	ds_write_b32 v19, v18 offset:320
	ds_read_b32 v18, v17 offset:4104
	;; [unrolled: 3-line block ×15, first 2 shown]
	s_waitcnt lgkmcnt(0)
	ds_write_b32 v19, v17 offset:3904
.LBB99_919:
	s_or_b64 exec, exec, s[0:1]
	s_waitcnt lgkmcnt(0)
	s_barrier
	s_and_saveexec_b64 s[0:1], vcc
	s_cbranch_execz .LBB99_921
; %bb.920:
	v_mov_b32_e32 v19, 0
	ds_read_b32 v18, v19 offset:3896
	v_mov_b32_e32 v17, 1.0
	ds_write_b32 v19, v17 offset:3900
	s_waitcnt lgkmcnt(1)
	ds_write_b64 v19, v[17:18] offset:3640
.LBB99_921:
	s_or_b64 exec, exec, s[0:1]
	v_mov_b32_e32 v17, 0
	s_waitcnt lgkmcnt(0)
	s_barrier
	buffer_wbinvl1_vol
	s_and_saveexec_b64 s[0:1], s[2:3]
	s_cbranch_execz .LBB99_925
; %bb.922:
	v_lshlrev_b32_e32 v17, 8, v3
	v_lshlrev_b32_e32 v18, 2, v2
	ds_read_b32 v19, v18 offset:3632
	ds_read_b32 v17, v17 offset:3640
	v_mov_b32_e32 v18, 0
	v_cmp_gt_u32_e64 s[10:11], 2, v5
	s_waitcnt lgkmcnt(0)
	v_fma_f32 v17, v19, v17, 0
	s_and_saveexec_b64 s[12:13], s[10:11]
	s_cbranch_execz .LBB99_924
; %bb.923:
	v_lshlrev_b32_e32 v19, 2, v0
	ds_read_b32 v19, v19 offset:3888
	ds_read_b32 v18, v18 offset:3900
	s_waitcnt lgkmcnt(0)
	v_fmac_f32_e32 v17, v19, v18
.LBB99_924:
	s_or_b64 exec, exec, s[12:13]
.LBB99_925:
	s_or_b64 exec, exec, s[0:1]
	s_and_saveexec_b64 s[0:1], s[38:39]
; %bb.926:
	v_xor_b32_e32 v18, 0x80000000, v17
	ds_write_b32 v4, v18
; %bb.927:
	s_or_b64 exec, exec, s[0:1]
	s_waitcnt lgkmcnt(0)
	s_barrier
	s_and_saveexec_b64 s[0:1], s[36:37]
	s_cbranch_execz .LBB99_929
; %bb.928:
	v_mov_b32_e32 v18, 0
	ds_read_b32 v18, v18 offset:3376
	ds_read_b32 v19, v4
	s_waitcnt lgkmcnt(0)
	v_fma_f32 v17, -v18, v19, v17
.LBB99_929:
	s_or_b64 exec, exec, s[0:1]
	s_barrier
	s_and_saveexec_b64 s[0:1], s[36:37]
; %bb.930:
	v_xor_b32_e32 v18, 0x80000000, v17
	ds_write_b32 v4, v18
; %bb.931:
	s_or_b64 exec, exec, s[0:1]
	s_waitcnt lgkmcnt(0)
	s_barrier
	s_barrier
	s_and_saveexec_b64 s[0:1], s[2:3]
; %bb.932:
	v_lshlrev_b32_e32 v18, 2, v2
	v_lshl_or_b32 v18, v3, 8, v18
	ds_write_b32 v18, v17 offset:3632
; %bb.933:
	s_or_b64 exec, exec, s[0:1]
	s_waitcnt lgkmcnt(0)
	s_barrier
	s_barrier
	s_and_saveexec_b64 s[0:1], s[40:41]
	s_cbranch_execz .LBB99_935
; %bb.934:
	v_lshlrev_b32_e32 v17, 2, v0
	s_movk_i32 s10, 0xfc
	v_mad_u32_u24 v18, v0, s10, v17
	ds_read_b32 v19, v18 offset:3632
	s_waitcnt lgkmcnt(0)
	ds_write_b32 v17, v19 offset:3128
	ds_read_b32 v18, v18 offset:3636
	s_waitcnt lgkmcnt(0)
	ds_write_b32 v17, v18 offset:3384
.LBB99_935:
	s_or_b64 exec, exec, s[0:1]
	s_waitcnt lgkmcnt(0)
	s_barrier
	s_and_saveexec_b64 s[0:1], vcc
	s_cbranch_execz .LBB99_937
; %bb.936:
	v_mov_b32_e32 v19, 0
	ds_read_b32 v18, v19 offset:3376
	v_mov_b32_e32 v17, 1.0
	ds_write_b32 v19, v17 offset:3380
	s_waitcnt lgkmcnt(1)
	ds_write_b64 v19, v[17:18] offset:3120
.LBB99_937:
	s_or_b64 exec, exec, s[0:1]
	v_mov_b32_e32 v17, 0
	s_waitcnt lgkmcnt(0)
	s_barrier
	buffer_wbinvl1_vol
	s_and_saveexec_b64 s[0:1], s[18:19]
	s_cbranch_execz .LBB99_943
; %bb.938:
	v_lshlrev_b32_e32 v19, 2, v11
	v_lshlrev_b32_e32 v18, 8, v12
	ds_read_b32 v17, v19 offset:3104
	ds_read_b32 v20, v18 offset:3120
	v_cmp_gt_u32_e64 s[10:11], 12, v5
	s_waitcnt lgkmcnt(0)
	v_fma_f32 v17, v17, v20, 0
	s_and_saveexec_b64 s[12:13], s[10:11]
	s_cbranch_execnz .LBB99_1212
; %bb.939:
	s_or_b64 exec, exec, s[12:13]
	v_cmp_gt_u32_e64 s[10:11], 8, v5
	s_and_saveexec_b64 s[12:13], s[10:11]
	s_cbranch_execnz .LBB99_1213
.LBB99_940:
	s_or_b64 exec, exec, s[12:13]
	v_cmp_gt_u32_e64 s[10:11], 4, v5
	s_and_saveexec_b64 s[12:13], s[10:11]
	s_cbranch_execz .LBB99_942
.LBB99_941:
	v_lshlrev_b32_e32 v18, 2, v0
	v_mov_b32_e32 v19, 0
	ds_read_b32 v18, v18 offset:3872
	ds_read_b32 v19, v19 offset:3900
	s_waitcnt lgkmcnt(0)
	v_fmac_f32_e32 v17, v18, v19
.LBB99_942:
	s_or_b64 exec, exec, s[12:13]
.LBB99_943:
	s_or_b64 exec, exec, s[0:1]
	s_and_saveexec_b64 s[0:1], s[44:45]
; %bb.944:
	v_xor_b32_e32 v18, 0x80000000, v17
	ds_write_b32 v13, v18
; %bb.945:
	s_or_b64 exec, exec, s[0:1]
	s_waitcnt lgkmcnt(0)
	s_barrier
	s_and_saveexec_b64 s[0:1], s[46:47]
	s_cbranch_execz .LBB99_947
; %bb.946:
	v_lshlrev_b32_e32 v18, 2, v11
	ds_read_b32 v18, v18 offset:2848
	ds_read_b32 v19, v13
	s_waitcnt lgkmcnt(0)
	v_fma_f32 v17, -v18, v19, v17
.LBB99_947:
	s_or_b64 exec, exec, s[0:1]
	s_barrier
	s_and_saveexec_b64 s[0:1], s[48:49]
; %bb.948:
	v_xor_b32_e32 v18, 0x80000000, v17
	ds_write_b32 v13, v18
; %bb.949:
	s_or_b64 exec, exec, s[0:1]
	s_waitcnt lgkmcnt(0)
	s_barrier
	s_and_saveexec_b64 s[0:1], s[50:51]
	s_cbranch_execz .LBB99_951
; %bb.950:
	v_lshlrev_b32_e32 v18, 2, v11
	ds_read_b32 v18, v18 offset:2592
	ds_read_b32 v19, v13
	s_waitcnt lgkmcnt(0)
	v_fma_f32 v17, -v18, v19, v17
.LBB99_951:
	s_or_b64 exec, exec, s[0:1]
	s_barrier
	s_and_saveexec_b64 s[0:1], s[52:53]
; %bb.952:
	v_xor_b32_e32 v18, 0x80000000, v17
	ds_write_b32 v13, v18
; %bb.953:
	s_or_b64 exec, exec, s[0:1]
	s_waitcnt lgkmcnt(0)
	s_barrier
	s_and_saveexec_b64 s[0:1], s[42:43]
	s_cbranch_execz .LBB99_955
; %bb.954:
	v_mov_b32_e32 v18, 0
	ds_read_b32 v18, v18 offset:2336
	ds_read_b32 v19, v13
	s_waitcnt lgkmcnt(0)
	v_fma_f32 v17, -v18, v19, v17
.LBB99_955:
	s_or_b64 exec, exec, s[0:1]
	s_barrier
	s_and_saveexec_b64 s[0:1], s[42:43]
; %bb.956:
	v_xor_b32_e32 v18, 0x80000000, v17
	ds_write_b32 v13, v18
; %bb.957:
	s_or_b64 exec, exec, s[0:1]
	s_waitcnt lgkmcnt(0)
	s_barrier
	s_barrier
	s_and_saveexec_b64 s[0:1], s[18:19]
; %bb.958:
	v_lshlrev_b32_e32 v18, 2, v11
	v_lshl_or_b32 v18, v12, 8, v18
	ds_write_b32 v18, v17 offset:3104
; %bb.959:
	s_or_b64 exec, exec, s[0:1]
	s_waitcnt lgkmcnt(0)
	s_barrier
	s_barrier
	s_and_saveexec_b64 s[0:1], s[54:55]
	s_cbranch_execz .LBB99_961
; %bb.960:
	v_lshlrev_b32_e32 v17, 8, v0
	ds_read_b32 v18, v17 offset:3104
	s_movk_i32 s10, 0xff04
	v_mad_i32_i24 v19, v0, s10, v17
	s_waitcnt lgkmcnt(0)
	ds_write_b32 v19, v18 offset:2096
	ds_read_b32 v18, v17 offset:3108
	s_waitcnt lgkmcnt(0)
	ds_write_b32 v19, v18 offset:2352
	ds_read_b32 v18, v17 offset:3112
	;; [unrolled: 3-line block ×3, first 2 shown]
	s_waitcnt lgkmcnt(0)
	ds_write_b32 v19, v17 offset:2864
.LBB99_961:
	s_or_b64 exec, exec, s[0:1]
	s_waitcnt lgkmcnt(0)
	s_barrier
	s_and_saveexec_b64 s[0:1], vcc
	s_cbranch_execz .LBB99_963
; %bb.962:
	v_mov_b32_e32 v19, 0
	ds_read_b32 v18, v19 offset:2856
	v_mov_b32_e32 v17, 1.0
	ds_write_b32 v19, v17 offset:2860
	s_waitcnt lgkmcnt(1)
	ds_write_b64 v19, v[17:18] offset:2600
.LBB99_963:
	s_or_b64 exec, exec, s[0:1]
	v_mov_b32_e32 v17, 0
	s_waitcnt lgkmcnt(0)
	s_barrier
	buffer_wbinvl1_vol
	s_and_saveexec_b64 s[0:1], s[2:3]
	s_cbranch_execz .LBB99_967
; %bb.964:
	v_lshlrev_b32_e32 v17, 8, v3
	v_lshlrev_b32_e32 v18, 2, v2
	ds_read_b32 v19, v18 offset:2592
	ds_read_b32 v17, v17 offset:2600
	v_mov_b32_e32 v18, 0
	v_cmp_gt_u32_e64 s[10:11], 2, v5
	s_waitcnt lgkmcnt(0)
	v_fma_f32 v17, v19, v17, 0
	s_and_saveexec_b64 s[12:13], s[10:11]
	s_cbranch_execz .LBB99_966
; %bb.965:
	v_lshlrev_b32_e32 v19, 2, v0
	ds_read_b32 v19, v19 offset:2848
	ds_read_b32 v18, v18 offset:2860
	s_waitcnt lgkmcnt(0)
	v_fmac_f32_e32 v17, v19, v18
.LBB99_966:
	s_or_b64 exec, exec, s[12:13]
.LBB99_967:
	s_or_b64 exec, exec, s[0:1]
	s_and_saveexec_b64 s[0:1], s[38:39]
; %bb.968:
	v_xor_b32_e32 v18, 0x80000000, v17
	ds_write_b32 v4, v18
; %bb.969:
	s_or_b64 exec, exec, s[0:1]
	s_waitcnt lgkmcnt(0)
	s_barrier
	s_and_saveexec_b64 s[0:1], s[36:37]
	s_cbranch_execz .LBB99_971
; %bb.970:
	v_mov_b32_e32 v18, 0
	ds_read_b32 v18, v18 offset:2336
	ds_read_b32 v19, v4
	s_waitcnt lgkmcnt(0)
	v_fma_f32 v17, -v18, v19, v17
.LBB99_971:
	s_or_b64 exec, exec, s[0:1]
	s_barrier
	s_and_saveexec_b64 s[0:1], s[36:37]
; %bb.972:
	v_xor_b32_e32 v18, 0x80000000, v17
	ds_write_b32 v4, v18
; %bb.973:
	s_or_b64 exec, exec, s[0:1]
	s_waitcnt lgkmcnt(0)
	s_barrier
	s_barrier
	s_and_saveexec_b64 s[0:1], s[2:3]
; %bb.974:
	v_lshlrev_b32_e32 v18, 2, v2
	v_lshl_or_b32 v18, v3, 8, v18
	ds_write_b32 v18, v17 offset:2592
; %bb.975:
	s_or_b64 exec, exec, s[0:1]
	s_waitcnt lgkmcnt(0)
	s_barrier
	s_barrier
	s_and_saveexec_b64 s[0:1], s[40:41]
	s_cbranch_execz .LBB99_977
; %bb.976:
	v_lshlrev_b32_e32 v17, 2, v0
	s_movk_i32 s10, 0xfc
	v_mad_u32_u24 v18, v0, s10, v17
	ds_read_b32 v19, v18 offset:2592
	s_waitcnt lgkmcnt(0)
	ds_write_b32 v17, v19 offset:2088
	ds_read_b32 v18, v18 offset:2596
	s_waitcnt lgkmcnt(0)
	ds_write_b32 v17, v18 offset:2344
.LBB99_977:
	s_or_b64 exec, exec, s[0:1]
	s_waitcnt lgkmcnt(0)
	s_barrier
	s_and_saveexec_b64 s[0:1], vcc
	s_cbranch_execz .LBB99_979
; %bb.978:
	v_mov_b32_e32 v19, 0
	ds_read_b32 v18, v19 offset:2336
	v_mov_b32_e32 v17, 1.0
	ds_write_b32 v19, v17 offset:2340
	s_waitcnt lgkmcnt(1)
	ds_write_b64 v19, v[17:18] offset:2080
.LBB99_979:
	s_or_b64 exec, exec, s[0:1]
	v_mov_b32_e32 v17, 0
	s_waitcnt lgkmcnt(0)
	s_barrier
	buffer_wbinvl1_vol
	s_and_saveexec_b64 s[0:1], s[8:9]
	s_cbranch_execz .LBB99_989
; %bb.980:
	v_lshlrev_b32_e32 v19, 2, v14
	v_lshlrev_b32_e32 v18, 8, v15
	ds_read_b32 v17, v19 offset:2048
	ds_read_b32 v20, v18 offset:2080
	v_cmp_gt_u32_e64 s[10:11], 56, v5
	s_waitcnt lgkmcnt(0)
	v_fma_f32 v17, v17, v20, 0
	s_and_saveexec_b64 s[12:13], s[10:11]
	s_cbranch_execnz .LBB99_1214
; %bb.981:
	s_or_b64 exec, exec, s[12:13]
	v_cmp_gt_u32_e64 s[10:11], 48, v5
	s_and_saveexec_b64 s[12:13], s[10:11]
	s_cbranch_execnz .LBB99_1215
.LBB99_982:
	s_or_b64 exec, exec, s[12:13]
	v_cmp_gt_u32_e64 s[10:11], 40, v5
	s_and_saveexec_b64 s[12:13], s[10:11]
	s_cbranch_execnz .LBB99_1216
.LBB99_983:
	s_or_b64 exec, exec, s[12:13]
	v_cmp_gt_u32_e64 s[10:11], 32, v5
	s_and_saveexec_b64 s[12:13], s[10:11]
	s_cbranch_execnz .LBB99_1217
.LBB99_984:
	s_or_b64 exec, exec, s[12:13]
	v_cmp_gt_u32_e64 s[10:11], 24, v5
	s_and_saveexec_b64 s[12:13], s[10:11]
	s_cbranch_execnz .LBB99_1218
.LBB99_985:
	s_or_b64 exec, exec, s[12:13]
	s_and_saveexec_b64 s[10:11], s[18:19]
	s_cbranch_execnz .LBB99_1219
.LBB99_986:
	s_or_b64 exec, exec, s[10:11]
	v_cmp_gt_u32_e64 s[10:11], 8, v5
	s_and_saveexec_b64 s[12:13], s[10:11]
	s_cbranch_execz .LBB99_988
.LBB99_987:
	v_lshlrev_b32_e32 v18, 2, v0
	v_mov_b32_e32 v19, 0
	ds_read_b32 v18, v18 offset:3840
	ds_read_b32 v19, v19 offset:3900
	s_waitcnt lgkmcnt(0)
	v_fmac_f32_e32 v17, v18, v19
.LBB99_988:
	s_or_b64 exec, exec, s[12:13]
.LBB99_989:
	s_or_b64 exec, exec, s[0:1]
	s_and_saveexec_b64 s[0:1], s[56:57]
; %bb.990:
	v_xor_b32_e32 v18, 0x80000000, v17
	ds_write_b32 v16, v18
; %bb.991:
	s_or_b64 exec, exec, s[0:1]
	s_waitcnt lgkmcnt(0)
	s_barrier
	s_and_saveexec_b64 s[0:1], s[58:59]
	s_cbranch_execz .LBB99_993
; %bb.992:
	v_lshlrev_b32_e32 v18, 2, v14
	ds_read_b32 v18, v18 offset:1792
	ds_read_b32 v19, v16
	s_waitcnt lgkmcnt(0)
	v_fma_f32 v17, -v18, v19, v17
.LBB99_993:
	s_or_b64 exec, exec, s[0:1]
	s_barrier
	s_and_saveexec_b64 s[0:1], s[60:61]
; %bb.994:
	v_xor_b32_e32 v18, 0x80000000, v17
	ds_write_b32 v16, v18
; %bb.995:
	s_or_b64 exec, exec, s[0:1]
	s_waitcnt lgkmcnt(0)
	s_barrier
	s_and_saveexec_b64 s[0:1], s[62:63]
	s_cbranch_execz .LBB99_997
; %bb.996:
	v_lshlrev_b32_e32 v18, 2, v14
	ds_read_b32 v18, v18 offset:1536
	ds_read_b32 v19, v16
	s_waitcnt lgkmcnt(0)
	v_fma_f32 v17, -v18, v19, v17
.LBB99_997:
	s_or_b64 exec, exec, s[0:1]
	s_barrier
	;; [unrolled: 19-line block ×6, first 2 shown]
	s_and_saveexec_b64 s[0:1], s[82:83]
; %bb.1014:
	v_xor_b32_e32 v18, 0x80000000, v17
	ds_write_b32 v16, v18
; %bb.1015:
	s_or_b64 exec, exec, s[0:1]
	s_waitcnt lgkmcnt(0)
	s_barrier
	s_and_saveexec_b64 s[0:1], s[66:67]
	s_cbranch_execz .LBB99_1017
; %bb.1016:
	v_mov_b32_e32 v18, 0
	ds_read_b32 v18, v18 offset:256
	ds_read_b32 v19, v16
	s_waitcnt lgkmcnt(0)
	v_fma_f32 v17, -v18, v19, v17
.LBB99_1017:
	s_or_b64 exec, exec, s[0:1]
	s_barrier
	s_and_saveexec_b64 s[0:1], s[66:67]
; %bb.1018:
	v_xor_b32_e32 v18, 0x80000000, v17
	ds_write_b32 v16, v18
; %bb.1019:
	s_or_b64 exec, exec, s[0:1]
	s_waitcnt lgkmcnt(0)
	s_barrier
	s_barrier
	s_and_saveexec_b64 s[0:1], s[8:9]
; %bb.1020:
	v_lshlrev_b32_e32 v14, 2, v14
	v_lshl_or_b32 v14, v15, 8, v14
	ds_write_b32 v14, v17 offset:2048
; %bb.1021:
	s_or_b64 exec, exec, s[0:1]
	s_waitcnt lgkmcnt(0)
	s_barrier
	s_barrier
	s_and_saveexec_b64 s[0:1], s[84:85]
	s_cbranch_execz .LBB99_1023
; %bb.1022:
	v_lshlrev_b32_e32 v14, 8, v0
	ds_read_b32 v15, v14 offset:2048
	s_movk_i32 s8, 0xff04
	v_mad_i32_i24 v16, v0, s8, v14
	s_waitcnt lgkmcnt(0)
	ds_write_b32 v16, v15 offset:32
	ds_read_b32 v15, v14 offset:2052
	s_waitcnt lgkmcnt(0)
	ds_write_b32 v16, v15 offset:288
	ds_read_b32 v15, v14 offset:2056
	;; [unrolled: 3-line block ×7, first 2 shown]
	s_waitcnt lgkmcnt(0)
	ds_write_b32 v16, v14 offset:1824
.LBB99_1023:
	s_or_b64 exec, exec, s[0:1]
	s_waitcnt lgkmcnt(0)
	s_barrier
	s_and_saveexec_b64 s[0:1], vcc
	s_cbranch_execz .LBB99_1025
; %bb.1024:
	v_mov_b32_e32 v16, 0
	ds_read_b32 v15, v16 offset:1816
	v_mov_b32_e32 v14, 1.0
	ds_write_b32 v16, v14 offset:1820
	s_waitcnt lgkmcnt(1)
	ds_write_b64 v16, v[14:15] offset:1560
.LBB99_1025:
	s_or_b64 exec, exec, s[0:1]
	v_mov_b32_e32 v14, 0
	s_waitcnt lgkmcnt(0)
	s_barrier
	buffer_wbinvl1_vol
	s_and_saveexec_b64 s[0:1], s[2:3]
	s_cbranch_execz .LBB99_1029
; %bb.1026:
	v_lshlrev_b32_e32 v14, 8, v3
	v_lshlrev_b32_e32 v15, 2, v2
	ds_read_b32 v16, v15 offset:1552
	ds_read_b32 v14, v14 offset:1560
	v_mov_b32_e32 v15, 0
	v_cmp_gt_u32_e64 s[8:9], 2, v5
	s_waitcnt lgkmcnt(0)
	v_fma_f32 v14, v16, v14, 0
	s_and_saveexec_b64 s[10:11], s[8:9]
	s_cbranch_execz .LBB99_1028
; %bb.1027:
	v_lshlrev_b32_e32 v16, 2, v0
	ds_read_b32 v16, v16 offset:1808
	ds_read_b32 v15, v15 offset:1820
	s_waitcnt lgkmcnt(0)
	v_fmac_f32_e32 v14, v16, v15
.LBB99_1028:
	s_or_b64 exec, exec, s[10:11]
.LBB99_1029:
	s_or_b64 exec, exec, s[0:1]
	s_and_saveexec_b64 s[0:1], s[38:39]
; %bb.1030:
	v_xor_b32_e32 v15, 0x80000000, v14
	ds_write_b32 v4, v15
; %bb.1031:
	s_or_b64 exec, exec, s[0:1]
	s_waitcnt lgkmcnt(0)
	s_barrier
	s_and_saveexec_b64 s[0:1], s[36:37]
	s_cbranch_execz .LBB99_1033
; %bb.1032:
	v_mov_b32_e32 v15, 0
	ds_read_b32 v15, v15 offset:1296
	ds_read_b32 v16, v4
	s_waitcnt lgkmcnt(0)
	v_fma_f32 v14, -v15, v16, v14
.LBB99_1033:
	s_or_b64 exec, exec, s[0:1]
	s_barrier
	s_and_saveexec_b64 s[0:1], s[36:37]
; %bb.1034:
	v_xor_b32_e32 v15, 0x80000000, v14
	ds_write_b32 v4, v15
; %bb.1035:
	s_or_b64 exec, exec, s[0:1]
	s_waitcnt lgkmcnt(0)
	s_barrier
	s_barrier
	s_and_saveexec_b64 s[0:1], s[2:3]
; %bb.1036:
	v_lshlrev_b32_e32 v15, 2, v2
	v_lshl_or_b32 v15, v3, 8, v15
	ds_write_b32 v15, v14 offset:1552
; %bb.1037:
	s_or_b64 exec, exec, s[0:1]
	s_waitcnt lgkmcnt(0)
	s_barrier
	s_barrier
	s_and_saveexec_b64 s[0:1], s[40:41]
	s_cbranch_execz .LBB99_1039
; %bb.1038:
	v_lshlrev_b32_e32 v14, 2, v0
	s_movk_i32 s8, 0xfc
	v_mad_u32_u24 v15, v0, s8, v14
	ds_read_b32 v16, v15 offset:1552
	s_waitcnt lgkmcnt(0)
	ds_write_b32 v14, v16 offset:1048
	ds_read_b32 v15, v15 offset:1556
	s_waitcnt lgkmcnt(0)
	ds_write_b32 v14, v15 offset:1304
.LBB99_1039:
	s_or_b64 exec, exec, s[0:1]
	s_waitcnt lgkmcnt(0)
	s_barrier
	s_and_saveexec_b64 s[0:1], vcc
	s_cbranch_execz .LBB99_1041
; %bb.1040:
	v_mov_b32_e32 v16, 0
	ds_read_b32 v15, v16 offset:1296
	v_mov_b32_e32 v14, 1.0
	ds_write_b32 v16, v14 offset:1300
	s_waitcnt lgkmcnt(1)
	ds_write_b64 v16, v[14:15] offset:1040
.LBB99_1041:
	s_or_b64 exec, exec, s[0:1]
	v_mov_b32_e32 v14, 0
	s_waitcnt lgkmcnt(0)
	s_barrier
	buffer_wbinvl1_vol
	s_and_saveexec_b64 s[0:1], s[18:19]
	s_cbranch_execz .LBB99_1047
; %bb.1042:
	v_lshlrev_b32_e32 v16, 2, v11
	v_lshlrev_b32_e32 v15, 8, v12
	ds_read_b32 v14, v16 offset:1024
	ds_read_b32 v17, v15 offset:1040
	v_cmp_gt_u32_e64 s[8:9], 12, v5
	s_waitcnt lgkmcnt(0)
	v_fma_f32 v14, v14, v17, 0
	s_and_saveexec_b64 s[10:11], s[8:9]
	s_cbranch_execnz .LBB99_1220
; %bb.1043:
	s_or_b64 exec, exec, s[10:11]
	v_cmp_gt_u32_e64 s[8:9], 8, v5
	s_and_saveexec_b64 s[10:11], s[8:9]
	s_cbranch_execnz .LBB99_1221
.LBB99_1044:
	s_or_b64 exec, exec, s[10:11]
	v_cmp_gt_u32_e64 s[8:9], 4, v5
	s_and_saveexec_b64 s[10:11], s[8:9]
	s_cbranch_execz .LBB99_1046
.LBB99_1045:
	v_lshlrev_b32_e32 v15, 2, v0
	v_mov_b32_e32 v16, 0
	ds_read_b32 v15, v15 offset:1792
	ds_read_b32 v16, v16 offset:1820
	s_waitcnt lgkmcnt(0)
	v_fmac_f32_e32 v14, v15, v16
.LBB99_1046:
	s_or_b64 exec, exec, s[10:11]
.LBB99_1047:
	s_or_b64 exec, exec, s[0:1]
	s_and_saveexec_b64 s[0:1], s[44:45]
; %bb.1048:
	v_xor_b32_e32 v15, 0x80000000, v14
	ds_write_b32 v13, v15
; %bb.1049:
	s_or_b64 exec, exec, s[0:1]
	s_waitcnt lgkmcnt(0)
	s_barrier
	s_and_saveexec_b64 s[0:1], s[46:47]
	s_load_dword s16, s[4:5], 0x6c
	v_readlane_b32 s44, v28, 0
	v_readlane_b32 s17, v28, 2
	;; [unrolled: 1-line block ×3, first 2 shown]
	s_cbranch_execz .LBB99_1051
; %bb.1050:
	v_lshlrev_b32_e32 v15, 2, v11
	ds_read_b32 v15, v15 offset:768
	ds_read_b32 v16, v13
	s_waitcnt lgkmcnt(0)
	v_fma_f32 v14, -v15, v16, v14
.LBB99_1051:
	s_or_b64 exec, exec, s[0:1]
	s_waitcnt lgkmcnt(0)
	s_barrier
	s_and_saveexec_b64 s[0:1], s[48:49]
; %bb.1052:
	v_xor_b32_e32 v15, 0x80000000, v14
	ds_write_b32 v13, v15
; %bb.1053:
	s_or_b64 exec, exec, s[0:1]
	s_waitcnt lgkmcnt(0)
	s_barrier
	s_and_saveexec_b64 s[0:1], s[50:51]
	s_cbranch_execz .LBB99_1055
; %bb.1054:
	v_lshlrev_b32_e32 v15, 2, v11
	ds_read_b32 v15, v15 offset:512
	ds_read_b32 v16, v13
	s_waitcnt lgkmcnt(0)
	v_fma_f32 v14, -v15, v16, v14
.LBB99_1055:
	s_or_b64 exec, exec, s[0:1]
	s_barrier
	s_and_saveexec_b64 s[0:1], s[52:53]
; %bb.1056:
	v_xor_b32_e32 v15, 0x80000000, v14
	ds_write_b32 v13, v15
; %bb.1057:
	s_or_b64 exec, exec, s[0:1]
	s_waitcnt lgkmcnt(0)
	s_barrier
	s_and_saveexec_b64 s[0:1], s[42:43]
	s_cbranch_execz .LBB99_1059
; %bb.1058:
	v_mov_b32_e32 v15, 0
	ds_read_b32 v15, v15 offset:256
	ds_read_b32 v16, v13
	s_waitcnt lgkmcnt(0)
	v_fma_f32 v14, -v15, v16, v14
.LBB99_1059:
	s_or_b64 exec, exec, s[0:1]
	s_barrier
	s_and_saveexec_b64 s[0:1], s[42:43]
; %bb.1060:
	v_xor_b32_e32 v15, 0x80000000, v14
	ds_write_b32 v13, v15
; %bb.1061:
	s_or_b64 exec, exec, s[0:1]
	s_waitcnt lgkmcnt(0)
	s_barrier
	s_barrier
	s_and_saveexec_b64 s[0:1], s[18:19]
; %bb.1062:
	v_lshlrev_b32_e32 v11, 2, v11
	v_lshl_or_b32 v11, v12, 8, v11
	ds_write_b32 v11, v14 offset:1024
; %bb.1063:
	s_or_b64 exec, exec, s[0:1]
	s_waitcnt lgkmcnt(0)
	s_barrier
	s_barrier
	s_and_saveexec_b64 s[0:1], s[54:55]
	s_cbranch_execz .LBB99_1065
; %bb.1064:
	v_lshlrev_b32_e32 v11, 8, v0
	ds_read_b32 v12, v11 offset:1024
	s_movk_i32 s8, 0xff04
	v_mad_i32_i24 v13, v0, s8, v11
	s_waitcnt lgkmcnt(0)
	ds_write_b32 v13, v12 offset:16
	ds_read_b32 v12, v11 offset:1028
	s_waitcnt lgkmcnt(0)
	ds_write_b32 v13, v12 offset:272
	ds_read_b32 v12, v11 offset:1032
	;; [unrolled: 3-line block ×3, first 2 shown]
	s_waitcnt lgkmcnt(0)
	ds_write_b32 v13, v11 offset:784
.LBB99_1065:
	s_or_b64 exec, exec, s[0:1]
	s_waitcnt lgkmcnt(0)
	s_barrier
	s_and_saveexec_b64 s[0:1], vcc
	s_cbranch_execz .LBB99_1067
; %bb.1066:
	v_mov_b32_e32 v13, 0
	ds_read_b32 v12, v13 offset:776
	v_mov_b32_e32 v11, 1.0
	ds_write_b32 v13, v11 offset:780
	s_waitcnt lgkmcnt(1)
	ds_write_b64 v13, v[11:12] offset:520
.LBB99_1067:
	s_or_b64 exec, exec, s[0:1]
	v_mov_b32_e32 v11, 0
	s_waitcnt lgkmcnt(0)
	s_barrier
	buffer_wbinvl1_vol
	s_and_saveexec_b64 s[0:1], s[2:3]
	s_cbranch_execz .LBB99_1071
; %bb.1068:
	v_lshlrev_b32_e32 v11, 8, v3
	v_lshlrev_b32_e32 v12, 2, v2
	ds_read_b32 v13, v12 offset:512
	ds_read_b32 v11, v11 offset:520
	v_mov_b32_e32 v12, 0
	v_cmp_gt_u32_e64 s[8:9], 2, v5
	s_waitcnt lgkmcnt(0)
	v_fma_f32 v11, v13, v11, 0
	s_and_saveexec_b64 s[10:11], s[8:9]
	s_cbranch_execz .LBB99_1070
; %bb.1069:
	v_lshlrev_b32_e32 v5, 2, v0
	ds_read_b32 v5, v5 offset:768
	ds_read_b32 v12, v12 offset:780
	s_waitcnt lgkmcnt(0)
	v_fmac_f32_e32 v11, v5, v12
.LBB99_1070:
	s_or_b64 exec, exec, s[10:11]
.LBB99_1071:
	s_or_b64 exec, exec, s[0:1]
	s_and_saveexec_b64 s[0:1], s[38:39]
; %bb.1072:
	v_xor_b32_e32 v5, 0x80000000, v11
	ds_write_b32 v4, v5
; %bb.1073:
	s_or_b64 exec, exec, s[0:1]
	s_waitcnt lgkmcnt(0)
	s_barrier
	s_and_saveexec_b64 s[0:1], s[36:37]
	s_cbranch_execz .LBB99_1075
; %bb.1074:
	v_mov_b32_e32 v5, 0
	ds_read_b32 v5, v5 offset:256
	ds_read_b32 v12, v4
	s_waitcnt lgkmcnt(0)
	v_fma_f32 v11, -v5, v12, v11
.LBB99_1075:
	s_or_b64 exec, exec, s[0:1]
	s_barrier
	s_and_saveexec_b64 s[0:1], s[36:37]
; %bb.1076:
	v_xor_b32_e32 v5, 0x80000000, v11
	ds_write_b32 v4, v5
; %bb.1077:
	s_or_b64 exec, exec, s[0:1]
	s_waitcnt lgkmcnt(0)
	s_barrier
	s_barrier
	s_and_saveexec_b64 s[0:1], s[2:3]
; %bb.1078:
	v_lshlrev_b32_e32 v2, 2, v2
	v_lshl_or_b32 v2, v3, 8, v2
	ds_write_b32 v2, v11 offset:512
; %bb.1079:
	s_or_b64 exec, exec, s[0:1]
	s_waitcnt lgkmcnt(0)
	s_barrier
	s_barrier
	s_and_saveexec_b64 s[0:1], s[40:41]
	s_cbranch_execz .LBB99_1081
; %bb.1080:
	v_lshlrev_b32_e32 v2, 2, v0
	s_movk_i32 s2, 0xfc
	v_mad_u32_u24 v3, v0, s2, v2
	ds_read_b32 v4, v3 offset:512
	s_waitcnt lgkmcnt(0)
	ds_write_b32 v2, v4 offset:8
	ds_read_b32 v3, v3 offset:516
	s_waitcnt lgkmcnt(0)
	ds_write_b32 v2, v3 offset:264
.LBB99_1081:
	s_or_b64 exec, exec, s[0:1]
	s_waitcnt lgkmcnt(0)
	s_barrier
	s_and_saveexec_b64 s[0:1], vcc
	s_cbranch_execz .LBB99_1083
; %bb.1082:
	v_mov_b32_e32 v4, 0
	ds_read_b32 v3, v4 offset:256
	v_mov_b32_e32 v2, 1.0
	ds_write_b32 v4, v2 offset:260
	s_waitcnt lgkmcnt(1)
	ds_write_b64 v4, v[2:3]
.LBB99_1083:
	s_or_b64 exec, exec, s[0:1]
.LBB99_1084:
	s_lshl_b64 s[0:1], s[24:25], 2
	s_add_u32 s20, s34, s0
	v_cmp_le_i32_e32 vcc, s7, v0
	s_addc_u32 s21, s35, s1
	s_and_b64 s[14:15], vcc, s[22:23]
	v_cmp_eq_u32_e64 s[2:3], 0, v1
	s_xor_b64 s[0:1], s[14:15], -1
	s_and_b64 s[8:9], s[2:3], s[0:1]
	v_mov_b32_e32 v12, 0
	v_lshl_add_u32 v2, s6, 6, v0
	s_waitcnt lgkmcnt(0)
	s_barrier
	s_and_saveexec_b64 s[0:1], s[8:9]
	s_cbranch_execz .LBB99_1086
; %bb.1085:
	v_ashrrev_i32_e32 v5, 31, v2
	v_mul_lo_u32 v11, s27, v2
	v_mad_u64_u32 v[3:4], s[8:9], s26, v2, 0
	v_mul_lo_u32 v5, s26, v5
	v_add3_u32 v4, v4, v5, v11
	v_lshlrev_b64 v[3:4], 2, v[3:4]
	v_mov_b32_e32 v5, s21
	v_add_co_u32_e32 v3, vcc, s20, v3
	v_addc_co_u32_e32 v4, vcc, v5, v4, vcc
	flat_load_dword v3, v[3:4]
	s_waitcnt vmcnt(0) lgkmcnt(0)
	v_mul_f32_e64 v12, v3, -s17
.LBB99_1086:
	s_or_b64 exec, exec, s[0:1]
	s_load_dwordx2 s[0:1], s[4:5], 0x50
	s_and_b32 s4, 0xffff, s16
	v_mad_u32_u24 v11, v1, s4, v0
	s_cmp_lt_i32 s6, 1
	v_cmp_eq_u32_e64 s[4:5], 0, v11
	s_cbranch_scc1 .LBB99_1112
; %bb.1087:
	v_mad_u64_u32 v[3:4], s[8:9], s30, v2, 0
	s_mov_b32 s24, 0
	v_cmp_gt_u32_e64 s[12:13], 64, v11
	v_mad_u64_u32 v[4:5], s[8:9], s31, v2, v[4:5]
	s_lshl_b64 s[8:9], s[28:29], 2
	s_waitcnt lgkmcnt(0)
	s_add_u32 s16, s0, s8
	s_addc_u32 s17, s1, s9
	v_cmp_gt_i32_e64 s[8:9], s33, v2
	v_lshlrev_b64 v[2:3], 2, v[3:4]
	v_mov_b32_e32 v5, 0x5000
	v_mov_b32_e32 v4, s87
	v_add_co_u32_e32 v15, vcc, s86, v2
	v_lshl_add_u32 v13, v11, 2, v5
	v_lshl_or_b32 v14, v1, 2, v5
	s_add_i32 s25, s6, -1
	v_addc_co_u32_e32 v16, vcc, v4, v3, vcc
	v_mov_b32_e32 v17, -1
	v_mov_b32_e32 v3, 0
	s_branch .LBB99_1090
.LBB99_1088:                            ;   in Loop: Header=BB99_1090 Depth=1
	ds_read_b32 v4, v14 offset:192
	s_waitcnt vmcnt(0) lgkmcnt(0)
	v_fmac_f32_e32 v12, v2, v4
.LBB99_1089:                            ;   in Loop: Header=BB99_1090 Depth=1
	s_or_b64 exec, exec, s[18:19]
	s_add_i32 s24, s24, 1
	s_cmp_eq_u32 s24, s6
	s_cbranch_scc1 .LBB99_1112
.LBB99_1090:                            ; =>This Loop Header: Depth=1
                                        ;     Child Loop BB99_1092 Depth 2
	v_cmp_gt_i32_e32 vcc, s24, v17
	s_and_b64 s[18:19], s[4:5], vcc
	s_and_saveexec_b64 s[10:11], s[18:19]
	s_cbranch_execz .LBB99_1093
; %bb.1091:                             ;   in Loop: Header=BB99_1090 Depth=1
	global_load_dword v17, v3, s[16:17]
	s_waitcnt vmcnt(0)
	v_cmp_le_i32_e32 vcc, s24, v17
	s_cbranch_vccnz .LBB99_1093
.LBB99_1092:                            ;   Parent Loop BB99_1090 Depth=1
                                        ; =>  This Inner Loop Header: Depth=2
	buffer_wbinvl1_vol
	global_load_dword v17, v3, s[16:17]
	s_waitcnt vmcnt(0)
	v_cmp_gt_i32_e32 vcc, s24, v17
	s_cbranch_vccnz .LBB99_1092
.LBB99_1093:                            ;   in Loop: Header=BB99_1090 Depth=1
	s_or_b64 exec, exec, s[10:11]
	s_lshl_b32 s30, s24, 6
	buffer_wbinvl1_vol
	s_barrier
	s_and_saveexec_b64 s[10:11], s[12:13]
	s_cbranch_execz .LBB99_1097
; %bb.1094:                             ;   in Loop: Header=BB99_1090 Depth=1
	v_or_b32_e32 v4, s30, v11
	v_cmp_gt_i32_e32 vcc, s33, v4
	v_mov_b32_e32 v2, 0
	s_and_saveexec_b64 s[18:19], vcc
	s_cbranch_execz .LBB99_1096
; %bb.1095:                             ;   in Loop: Header=BB99_1090 Depth=1
	v_mad_u64_u32 v[18:19], s[34:35], s26, v4, 0
	v_mov_b32_e32 v2, v19
	v_mad_u64_u32 v[4:5], s[34:35], s27, v4, v[2:3]
	v_mov_b32_e32 v2, s21
	v_mov_b32_e32 v19, v4
	v_lshlrev_b64 v[4:5], 2, v[18:19]
	v_add_co_u32_e32 v4, vcc, s20, v4
	v_addc_co_u32_e32 v5, vcc, v2, v5, vcc
	flat_load_dword v2, v[4:5]
.LBB99_1096:                            ;   in Loop: Header=BB99_1090 Depth=1
	s_or_b64 exec, exec, s[18:19]
	s_waitcnt vmcnt(0) lgkmcnt(0)
	ds_write_b32 v13, v2
.LBB99_1097:                            ;   in Loop: Header=BB99_1090 Depth=1
	s_or_b64 exec, exec, s[10:11]
	v_add_u32_e32 v2, s30, v1
	v_lshlrev_b64 v[4:5], 2, v[2:3]
	s_cmp_lg_u32 s24, s25
	v_add_co_u32_e32 v4, vcc, v15, v4
	s_cselect_b64 s[10:11], -1, 0
	v_addc_co_u32_e32 v5, vcc, v16, v5, vcc
	v_cmp_gt_i32_e32 vcc, s33, v2
	v_cndmask_b32_e64 v18, 0, 1, s[10:11]
	s_and_b64 s[30:31], vcc, s[8:9]
	v_cmp_ne_u32_e64 s[10:11], 1, v18
	s_waitcnt lgkmcnt(0)
	s_barrier
	s_and_saveexec_b64 s[18:19], s[30:31]
	s_cbranch_execz .LBB99_1101
; %bb.1098:                             ;   in Loop: Header=BB99_1090 Depth=1
	s_and_b64 vcc, exec, s[10:11]
	v_mov_b32_e32 v18, v8
	s_cbranch_vccnz .LBB99_1100
; %bb.1099:                             ;   in Loop: Header=BB99_1090 Depth=1
	flat_load_dword v18, v[4:5]
.LBB99_1100:                            ;   in Loop: Header=BB99_1090 Depth=1
	ds_read_b32 v19, v14
	s_waitcnt vmcnt(0) lgkmcnt(0)
	v_fmac_f32_e32 v12, v18, v19
.LBB99_1101:                            ;   in Loop: Header=BB99_1090 Depth=1
	s_or_b64 exec, exec, s[18:19]
	v_add_u32_e32 v18, 16, v2
	v_cmp_gt_i32_e32 vcc, s33, v18
	s_and_b64 s[30:31], vcc, s[8:9]
	s_and_saveexec_b64 s[18:19], s[30:31]
	s_cbranch_execz .LBB99_1105
; %bb.1102:                             ;   in Loop: Header=BB99_1090 Depth=1
	s_and_b64 vcc, exec, s[10:11]
	v_mov_b32_e32 v18, v7
	s_cbranch_vccnz .LBB99_1104
; %bb.1103:                             ;   in Loop: Header=BB99_1090 Depth=1
	flat_load_dword v18, v[4:5] offset:64
.LBB99_1104:                            ;   in Loop: Header=BB99_1090 Depth=1
	ds_read_b32 v19, v14 offset:64
	s_waitcnt vmcnt(0) lgkmcnt(0)
	v_fmac_f32_e32 v12, v18, v19
.LBB99_1105:                            ;   in Loop: Header=BB99_1090 Depth=1
	s_or_b64 exec, exec, s[18:19]
	v_add_u32_e32 v18, 32, v2
	v_cmp_gt_i32_e32 vcc, s33, v18
	s_and_b64 s[30:31], vcc, s[8:9]
	s_and_saveexec_b64 s[18:19], s[30:31]
	s_cbranch_execz .LBB99_1109
; %bb.1106:                             ;   in Loop: Header=BB99_1090 Depth=1
	s_and_b64 vcc, exec, s[10:11]
	v_mov_b32_e32 v18, v10
	s_cbranch_vccnz .LBB99_1108
; %bb.1107:                             ;   in Loop: Header=BB99_1090 Depth=1
	flat_load_dword v18, v[4:5] offset:128
.LBB99_1108:                            ;   in Loop: Header=BB99_1090 Depth=1
	ds_read_b32 v19, v14 offset:128
	s_waitcnt vmcnt(0) lgkmcnt(0)
	v_fmac_f32_e32 v12, v18, v19
.LBB99_1109:                            ;   in Loop: Header=BB99_1090 Depth=1
	s_or_b64 exec, exec, s[18:19]
	v_add_u32_e32 v2, 48, v2
	v_cmp_gt_i32_e32 vcc, s33, v2
	s_and_b64 s[30:31], vcc, s[8:9]
	s_and_saveexec_b64 s[18:19], s[30:31]
	s_cbranch_execz .LBB99_1089
; %bb.1110:                             ;   in Loop: Header=BB99_1090 Depth=1
	s_and_b64 vcc, exec, s[10:11]
	v_mov_b32_e32 v2, v9
	s_cbranch_vccnz .LBB99_1088
; %bb.1111:                             ;   in Loop: Header=BB99_1090 Depth=1
	flat_load_dword v2, v[4:5] offset:192
	s_branch .LBB99_1088
.LBB99_1112:
	v_lshl_add_u32 v2, v1, 6, v0
	s_xor_b64 s[4:5], s[22:23], -1
	v_lshlrev_b32_e32 v2, 2, v2
	ds_write_b32 v2, v12 offset:16384
	s_waitcnt lgkmcnt(0)
	s_barrier
	s_and_saveexec_b64 s[8:9], s[2:3]
	s_cbranch_execz .LBB99_1114
; %bb.1113:
	v_lshlrev_b32_e32 v5, 2, v0
	ds_read2st64_b32 v[3:4], v5 offset0:65 offset1:66
	ds_read2st64_b32 v[7:8], v5 offset0:67 offset1:68
	;; [unrolled: 1-line block ×5, first 2 shown]
	s_waitcnt lgkmcnt(4)
	v_add_f32_e32 v3, v12, v3
	v_add_f32_e32 v3, v3, v4
	s_waitcnt lgkmcnt(3)
	v_add_f32_e32 v3, v3, v7
	v_add_f32_e32 v3, v3, v8
	;; [unrolled: 3-line block ×4, first 2 shown]
	ds_read2st64_b32 v[3:4], v5 offset0:75 offset1:76
	ds_read2st64_b32 v[7:8], v5 offset0:77 offset1:78
	ds_read_b32 v5, v5 offset:20224
	s_waitcnt lgkmcnt(3)
	v_add_f32_e32 v9, v9, v15
	v_add_f32_e32 v9, v9, v16
	s_waitcnt lgkmcnt(2)
	v_add_f32_e32 v3, v9, v3
	v_add_f32_e32 v3, v3, v4
	s_waitcnt lgkmcnt(1)
	v_add_f32_e32 v3, v3, v7
	v_add_f32_e32 v3, v3, v8
	s_waitcnt lgkmcnt(0)
	v_add_f32_e32 v3, v3, v5
	v_cndmask_b32_e64 v12, -v3, 0, s[14:15]
.LBB99_1114:
	s_or_b64 exec, exec, s[8:9]
	s_and_b64 vcc, exec, s[44:45]
	s_cbranch_vccnz .LBB99_1128
; %bb.1115:
	v_mov_b32_e32 v3, 0x5000
	v_lshl_or_b32 v4, v1, 2, v3
	s_and_saveexec_b64 s[8:9], s[2:3]
; %bb.1116:
	v_lshl_add_u32 v3, v0, 2, v4
	ds_write_b32 v3, v12
; %bb.1117:
	s_or_b64 exec, exec, s[8:9]
	v_cmp_le_u32_e32 vcc, v1, v0
	v_mov_b32_e32 v3, 0
	s_waitcnt lgkmcnt(0)
	s_barrier
	s_and_saveexec_b64 s[8:9], vcc
	s_cbranch_execz .LBB99_1119
; %bb.1118:
	ds_read_b32 v3, v2
	ds_read_b32 v5, v4
	s_waitcnt lgkmcnt(0)
	v_fma_f32 v3, v3, v5, 0
.LBB99_1119:
	s_or_b64 exec, exec, s[8:9]
	v_add_u32_e32 v5, 16, v1
	v_cmp_ge_u32_e32 vcc, v0, v5
	s_and_saveexec_b64 s[8:9], vcc
	s_cbranch_execz .LBB99_1121
; %bb.1120:
	ds_read_b32 v5, v2 offset:4096
	ds_read_b32 v7, v4 offset:64
	s_waitcnt lgkmcnt(0)
	v_fmac_f32_e32 v3, v5, v7
.LBB99_1121:
	s_or_b64 exec, exec, s[8:9]
	v_add_u32_e32 v5, 32, v1
	v_cmp_ge_u32_e32 vcc, v0, v5
	s_and_saveexec_b64 s[8:9], vcc
	s_cbranch_execz .LBB99_1123
; %bb.1122:
	ds_read_b32 v5, v2 offset:8192
	ds_read_b32 v7, v4 offset:128
	s_waitcnt lgkmcnt(0)
	v_fmac_f32_e32 v3, v5, v7
.LBB99_1123:
	s_or_b64 exec, exec, s[8:9]
	v_add_u32_e32 v1, 48, v1
	v_add_u32_e32 v5, 0x4000, v2
	v_cmp_ge_u32_e32 vcc, v0, v1
	s_and_saveexec_b64 s[8:9], vcc
	s_cbranch_execz .LBB99_1125
; %bb.1124:
	ds_read_b32 v1, v2 offset:12288
	ds_read_b32 v2, v4 offset:192
	s_waitcnt lgkmcnt(0)
	v_fmac_f32_e32 v3, v1, v2
.LBB99_1125:
	s_or_b64 exec, exec, s[8:9]
	s_mov_b64 s[10:11], 0
	s_mov_b64 s[8:9], 0
	ds_write_b32 v5, v3
	s_waitcnt lgkmcnt(0)
	s_barrier
                                        ; implicit-def: $vgpr4
                                        ; implicit-def: $vgpr1_vgpr2
	s_and_saveexec_b64 s[12:13], s[2:3]
	s_cbranch_execz .LBB99_1161
; %bb.1126:
	v_lshlrev_b32_e32 v13, 2, v0
	ds_read2st64_b32 v[1:2], v13 offset0:65 offset1:66
	ds_read2st64_b32 v[4:5], v13 offset0:67 offset1:68
	;; [unrolled: 1-line block ×4, first 2 shown]
	s_mov_b64 s[8:9], exec
	s_waitcnt lgkmcnt(3)
	v_add_f32_e32 v1, v3, v1
	v_add_f32_e32 v1, v2, v1
	s_waitcnt lgkmcnt(2)
	v_add_f32_e32 v1, v4, v1
	v_add_f32_e32 v1, v5, v1
	ds_read2st64_b32 v[2:3], v13 offset0:73 offset1:74
	s_waitcnt lgkmcnt(2)
	v_add_f32_e32 v1, v7, v1
	v_add_f32_e32 v1, v8, v1
	s_waitcnt lgkmcnt(1)
	v_add_f32_e32 v1, v9, v1
	v_add_f32_e32 v1, v10, v1
	ds_read2st64_b32 v[4:5], v13 offset0:75 offset1:76
	ds_read2st64_b32 v[7:8], v13 offset0:77 offset1:78
	ds_read_b32 v9, v13 offset:20224
	v_lshl_add_u32 v13, s6, 6, v11
	s_waitcnt lgkmcnt(3)
	v_add_f32_e32 v10, v2, v1
	v_mad_u64_u32 v[1:2], s[14:15], s26, v13, 0
	v_add_f32_e32 v3, v3, v10
	s_waitcnt lgkmcnt(2)
	v_add_f32_e32 v3, v4, v3
	v_add_f32_e32 v4, v5, v3
	v_mad_u64_u32 v[2:3], s[14:15], s27, v13, v[2:3]
	s_waitcnt lgkmcnt(1)
	v_add_f32_e32 v3, v7, v4
	v_add_f32_e32 v3, v8, v3
	s_waitcnt lgkmcnt(0)
	v_add_f32_e32 v4, v9, v3
	s_or_b64 exec, exec, s[12:13]
	s_and_b64 vcc, exec, s[10:11]
	s_cbranch_vccnz .LBB99_1129
	s_branch .LBB99_1162
.LBB99_1127:
	v_mad_u64_u32 v[12:13], s[2:3], s30, v5, 0
	s_or_b64 s[10:11], s[10:11], exec
	v_mov_b32_e32 v4, v13
	v_mad_u64_u32 v[4:5], s[2:3], s31, v5, v[4:5]
	v_mov_b32_e32 v13, v4
	v_lshlrev_b64 v[4:5], 2, v[12:13]
	v_add_co_u32_e32 v2, vcc, v2, v4
	v_addc_co_u32_e32 v3, vcc, v3, v5, vcc
	flat_load_dword v2, v[2:3]
	s_waitcnt vmcnt(0) lgkmcnt(0)
	v_xor_b32_e32 v4, 0x80000000, v2
	s_or_b64 exec, exec, s[8:9]
	s_xor_b64 s[0:1], s[0:1], -1
	s_and_saveexec_b64 s[2:3], s[10:11]
	s_cbranch_execnz .LBB99_45
	s_branch .LBB99_46
.LBB99_1128:
	s_mov_b64 s[8:9], 0
                                        ; implicit-def: $vgpr4
                                        ; implicit-def: $vgpr1_vgpr2
	s_cbranch_execz .LBB99_1162
.LBB99_1129:
	s_mov_b32 s12, 0
	v_mov_b32_e32 v1, 0
	v_mov_b32_e32 v2, v0
	s_branch .LBB99_1131
.LBB99_1130:                            ;   in Loop: Header=BB99_1131 Depth=1
	s_or_b64 exec, exec, s[10:11]
	s_add_i32 s12, s12, 4
	v_add_u32_e32 v6, 0x400, v6
	s_cmp_lg_u32 s12, 64
	v_add_u32_e32 v2, -4, v2
	s_barrier
	s_cbranch_scc0 .LBB99_1147
.LBB99_1131:                            ; =>This Inner Loop Header: Depth=1
	v_cmp_eq_u32_e32 vcc, 0, v2
	s_and_b64 s[14:15], s[2:3], vcc
	s_and_saveexec_b64 s[10:11], s[14:15]
; %bb.1132:                             ;   in Loop: Header=BB99_1131 Depth=1
	ds_write_b32 v1, v12 offset:20736
; %bb.1133:                             ;   in Loop: Header=BB99_1131 Depth=1
	s_or_b64 exec, exec, s[10:11]
	v_cmp_lt_u32_e32 vcc, s12, v0
	s_and_b64 s[14:15], s[2:3], vcc
	s_waitcnt lgkmcnt(0)
	s_barrier
	s_and_saveexec_b64 s[10:11], s[14:15]
	s_cbranch_execz .LBB99_1135
; %bb.1134:                             ;   in Loop: Header=BB99_1131 Depth=1
	ds_read_b32 v3, v6
	ds_read_b32 v4, v1 offset:20736
	s_waitcnt lgkmcnt(0)
	v_fmac_f32_e32 v12, v3, v4
.LBB99_1135:                            ;   in Loop: Header=BB99_1131 Depth=1
	s_or_b64 exec, exec, s[10:11]
	s_or_b32 s13, s12, 1
	v_cmp_eq_u32_e32 vcc, s13, v0
	s_and_b64 s[14:15], s[2:3], vcc
	s_barrier
	s_and_saveexec_b64 s[10:11], s[14:15]
; %bb.1136:                             ;   in Loop: Header=BB99_1131 Depth=1
	ds_write_b32 v1, v12 offset:20736
; %bb.1137:                             ;   in Loop: Header=BB99_1131 Depth=1
	s_or_b64 exec, exec, s[10:11]
	v_cmp_lt_u32_e32 vcc, s13, v0
	s_and_b64 s[14:15], s[2:3], vcc
	s_waitcnt lgkmcnt(0)
	s_barrier
	s_and_saveexec_b64 s[10:11], s[14:15]
	s_cbranch_execz .LBB99_1139
; %bb.1138:                             ;   in Loop: Header=BB99_1131 Depth=1
	ds_read_b32 v3, v6 offset:256
	ds_read_b32 v4, v1 offset:20736
	s_waitcnt lgkmcnt(0)
	v_fmac_f32_e32 v12, v3, v4
.LBB99_1139:                            ;   in Loop: Header=BB99_1131 Depth=1
	s_or_b64 exec, exec, s[10:11]
	s_or_b32 s13, s12, 2
	v_cmp_eq_u32_e32 vcc, s13, v0
	s_and_b64 s[14:15], s[2:3], vcc
	s_barrier
	s_and_saveexec_b64 s[10:11], s[14:15]
; %bb.1140:                             ;   in Loop: Header=BB99_1131 Depth=1
	ds_write_b32 v1, v12 offset:20736
; %bb.1141:                             ;   in Loop: Header=BB99_1131 Depth=1
	s_or_b64 exec, exec, s[10:11]
	v_cmp_lt_u32_e32 vcc, s13, v0
	s_and_b64 s[14:15], s[2:3], vcc
	s_waitcnt lgkmcnt(0)
	s_barrier
	s_and_saveexec_b64 s[10:11], s[14:15]
	s_cbranch_execz .LBB99_1143
; %bb.1142:                             ;   in Loop: Header=BB99_1131 Depth=1
	ds_read_b32 v3, v6 offset:512
	ds_read_b32 v4, v1 offset:20736
	s_waitcnt lgkmcnt(0)
	v_fmac_f32_e32 v12, v3, v4
.LBB99_1143:                            ;   in Loop: Header=BB99_1131 Depth=1
	s_or_b64 exec, exec, s[10:11]
	s_or_b32 s13, s12, 3
	v_cmp_eq_u32_e32 vcc, s13, v0
	s_and_b64 s[14:15], s[2:3], vcc
	s_barrier
	s_and_saveexec_b64 s[10:11], s[14:15]
; %bb.1144:                             ;   in Loop: Header=BB99_1131 Depth=1
	ds_write_b32 v1, v12 offset:20736
; %bb.1145:                             ;   in Loop: Header=BB99_1131 Depth=1
	s_or_b64 exec, exec, s[10:11]
	v_cmp_lt_u32_e32 vcc, s13, v0
	s_and_b64 s[14:15], s[2:3], vcc
	s_waitcnt lgkmcnt(0)
	s_barrier
	s_and_saveexec_b64 s[10:11], s[14:15]
	s_cbranch_execz .LBB99_1130
; %bb.1146:                             ;   in Loop: Header=BB99_1131 Depth=1
	ds_read_b32 v3, v6 offset:768
	ds_read_b32 v4, v1 offset:20736
	s_waitcnt lgkmcnt(0)
	v_fmac_f32_e32 v12, v3, v4
	s_branch .LBB99_1130
.LBB99_1147:
	s_and_b64 vcc, exec, s[4:5]
	s_cbranch_vccz .LBB99_1163
; %bb.1148:
	s_and_b64 s[4:5], s[2:3], exec
	s_cbranch_execz .LBB99_1164
	s_branch .LBB99_1165
.LBB99_1149:
	v_or_b32_e32 v11, v1, v0
	v_cmp_gt_u32_e32 vcc, 64, v11
	s_and_b64 s[10:11], vcc, exec
	s_andn2_saveexec_b64 s[8:9], s[8:9]
	s_cbranch_execz .LBB99_14
.LBB99_1150:
	v_mad_u64_u32 v[11:12], s[12:13], s30, v1, 0
	s_or_b64 s[10:11], s[10:11], exec
	v_mov_b32_e32 v5, v12
	v_mad_u64_u32 v[12:13], s[12:13], s31, v1, v[5:6]
	v_lshlrev_b64 v[11:12], 2, v[11:12]
	v_add_co_u32_e32 v11, vcc, v2, v11
	v_addc_co_u32_e32 v12, vcc, v3, v12, vcc
	flat_load_dword v5, v[11:12]
	s_waitcnt vmcnt(0) lgkmcnt(0)
	v_xor_b32_e32 v5, 0x80000000, v5
	s_or_b64 exec, exec, s[8:9]
	s_and_saveexec_b64 s[8:9], s[10:11]
	s_cbranch_execnz .LBB99_15
	s_branch .LBB99_16
.LBB99_1151:
	v_or_b32_e32 v11, v5, v0
	v_cmp_gt_u32_e32 vcc, 64, v11
	s_and_b64 s[2:3], vcc, exec
	s_or_saveexec_b64 s[8:9], s[8:9]
	v_mov_b32_e32 v11, 0
	s_xor_b64 exec, exec, s[8:9]
	s_cbranch_execz .LBB99_18
.LBB99_1152:
	v_mad_u64_u32 v[11:12], s[10:11], s30, v5, 0
	s_or_b64 s[2:3], s[2:3], exec
	v_mad_u64_u32 v[12:13], s[10:11], s31, v5, v[12:13]
	v_lshlrev_b64 v[11:12], 2, v[11:12]
	v_add_co_u32_e32 v11, vcc, v2, v11
	v_addc_co_u32_e32 v12, vcc, v3, v12, vcc
	flat_load_dword v11, v[11:12]
	s_waitcnt vmcnt(0) lgkmcnt(0)
	v_xor_b32_e32 v11, 0x80000000, v11
	s_or_b64 exec, exec, s[8:9]
	s_and_saveexec_b64 s[8:9], s[2:3]
	s_cbranch_execnz .LBB99_19
	s_branch .LBB99_20
.LBB99_1153:
	v_or_b32_e32 v11, v5, v0
	v_cmp_gt_u32_e32 vcc, 64, v11
	s_and_b64 s[2:3], vcc, exec
	s_or_saveexec_b64 s[8:9], s[8:9]
	v_mov_b32_e32 v11, 0
	s_xor_b64 exec, exec, s[8:9]
	s_cbranch_execz .LBB99_22
.LBB99_1154:
	v_mad_u64_u32 v[11:12], s[10:11], s30, v5, 0
	s_or_b64 s[2:3], s[2:3], exec
	v_mad_u64_u32 v[12:13], s[10:11], s31, v5, v[12:13]
	v_lshlrev_b64 v[11:12], 2, v[11:12]
	v_add_co_u32_e32 v11, vcc, v2, v11
	v_addc_co_u32_e32 v12, vcc, v3, v12, vcc
	flat_load_dword v11, v[11:12]
	s_waitcnt vmcnt(0) lgkmcnt(0)
	v_xor_b32_e32 v11, 0x80000000, v11
	s_or_b64 exec, exec, s[8:9]
	s_and_saveexec_b64 s[8:9], s[2:3]
	s_cbranch_execnz .LBB99_23
	s_branch .LBB99_24
.LBB99_1155:
	v_or_b32_e32 v11, v1, v0
	v_cmp_gt_u32_e64 s[2:3], 64, v11
	s_and_b64 s[8:9], s[2:3], exec
	s_andn2_saveexec_b64 s[12:13], s[12:13]
	s_cbranch_execz .LBB99_30
.LBB99_1156:
	v_mad_u64_u32 v[11:12], s[2:3], s30, v1, 0
	s_or_b64 s[8:9], s[8:9], exec
	v_mov_b32_e32 v5, v12
	v_mad_u64_u32 v[12:13], s[2:3], s31, v1, v[5:6]
	v_lshlrev_b64 v[11:12], 2, v[11:12]
	v_add_co_u32_e64 v11, s[2:3], v2, v11
	v_addc_co_u32_e64 v12, s[2:3], v3, v12, s[2:3]
	flat_load_dword v5, v[11:12]
	s_waitcnt vmcnt(0) lgkmcnt(0)
	v_xor_b32_e32 v5, 0x80000000, v5
	s_or_b64 exec, exec, s[12:13]
	s_and_saveexec_b64 s[2:3], s[8:9]
	s_cbranch_execnz .LBB99_31
	s_branch .LBB99_32
.LBB99_1157:
	v_or_b32_e32 v11, v5, v0
	v_cmp_gt_u32_e64 s[2:3], 64, v11
	s_and_b64 s[8:9], s[2:3], exec
	s_or_saveexec_b64 s[12:13], s[12:13]
	v_mov_b32_e32 v11, 0
	s_xor_b64 exec, exec, s[12:13]
	s_cbranch_execz .LBB99_34
.LBB99_1158:
	v_mad_u64_u32 v[11:12], s[2:3], s30, v5, 0
	s_or_b64 s[8:9], s[8:9], exec
	v_mad_u64_u32 v[12:13], s[2:3], s31, v5, v[12:13]
	v_lshlrev_b64 v[11:12], 2, v[11:12]
	v_add_co_u32_e64 v11, s[2:3], v2, v11
	v_addc_co_u32_e64 v12, s[2:3], v3, v12, s[2:3]
	flat_load_dword v11, v[11:12]
	s_waitcnt vmcnt(0) lgkmcnt(0)
	v_xor_b32_e32 v11, 0x80000000, v11
	s_or_b64 exec, exec, s[12:13]
	s_and_saveexec_b64 s[2:3], s[8:9]
	s_cbranch_execnz .LBB99_35
	s_branch .LBB99_36
.LBB99_1159:
	v_or_b32_e32 v11, v5, v0
	v_cmp_gt_u32_e64 s[2:3], 64, v11
	s_and_b64 s[8:9], s[2:3], exec
	s_or_saveexec_b64 s[12:13], s[12:13]
	v_mov_b32_e32 v11, 0
	s_xor_b64 exec, exec, s[12:13]
	s_cbranch_execz .LBB99_38
.LBB99_1160:
	v_mad_u64_u32 v[11:12], s[2:3], s30, v5, 0
	s_or_b64 s[8:9], s[8:9], exec
	v_mad_u64_u32 v[12:13], s[2:3], s31, v5, v[12:13]
	v_lshlrev_b64 v[11:12], 2, v[11:12]
	v_add_co_u32_e64 v11, s[2:3], v2, v11
	v_addc_co_u32_e64 v12, s[2:3], v3, v12, s[2:3]
	flat_load_dword v11, v[11:12]
	s_waitcnt vmcnt(0) lgkmcnt(0)
	v_xor_b32_e32 v11, 0x80000000, v11
	s_or_b64 exec, exec, s[12:13]
	s_and_saveexec_b64 s[2:3], s[8:9]
	s_cbranch_execnz .LBB99_39
	s_branch .LBB99_40
.LBB99_1161:
	s_or_b64 exec, exec, s[12:13]
	s_and_b64 vcc, exec, s[10:11]
	s_cbranch_vccnz .LBB99_1129
.LBB99_1162:
	v_mov_b32_e32 v12, v4
	s_and_saveexec_b64 s[2:3], s[8:9]
	s_cbranch_execnz .LBB99_1168
	s_branch .LBB99_1169
.LBB99_1163:
	s_mov_b64 s[4:5], 0
.LBB99_1164:
	v_cmp_gt_i32_e32 vcc, s7, v0
	s_and_b64 s[2:3], s[2:3], vcc
	s_andn2_b64 s[4:5], s[4:5], exec
	s_and_b64 s[2:3], s[2:3], exec
	s_or_b64 s[4:5], s[4:5], s[2:3]
.LBB99_1165:
                                        ; implicit-def: $vgpr1_vgpr2
	s_and_saveexec_b64 s[2:3], s[4:5]
	s_cbranch_execz .LBB99_1167
; %bb.1166:
	s_lshl_b32 s4, s6, 6
	s_ashr_i32 s5, s4, 31
	v_mov_b32_e32 v0, s5
	v_add_co_u32_e32 v1, vcc, s4, v11
	v_addc_co_u32_e32 v0, vcc, 0, v0, vcc
	v_mul_lo_u32 v0, v0, s26
	v_mul_lo_u32 v3, v1, s27
	v_mad_u64_u32 v[1:2], s[4:5], v1, s26, 0
	s_or_b64 s[8:9], s[8:9], exec
	v_add3_u32 v2, v2, v3, v0
.LBB99_1167:
	s_or_b64 exec, exec, s[2:3]
	s_and_saveexec_b64 s[2:3], s[8:9]
	s_cbranch_execz .LBB99_1169
.LBB99_1168:
	v_lshlrev_b64 v[0:1], 2, v[1:2]
	v_mov_b32_e32 v2, s21
	v_add_co_u32_e32 v0, vcc, s20, v0
	v_addc_co_u32_e32 v1, vcc, v2, v1, vcc
	flat_store_dword v[0:1], v12
.LBB99_1169:
	s_or_b64 exec, exec, s[2:3]
	v_cmp_eq_u32_e32 vcc, 0, v11
	s_waitcnt vmcnt(0) lgkmcnt(0)
	buffer_wbinvl1_vol
	s_barrier
	s_and_saveexec_b64 s[2:3], vcc
	s_cbranch_execz .LBB99_1171
; %bb.1170:
	s_lshl_b64 s[4:5], s[28:29], 2
	s_add_u32 s0, s0, s4
	s_addc_u32 s1, s1, s5
	v_mov_b32_e32 v0, 0
	global_load_dword v1, v0, s[0:1]
	s_waitcnt vmcnt(0)
	v_add_u32_e32 v1, 1, v1
	global_store_dword v0, v1, s[0:1]
.LBB99_1171:
	s_or_b64 exec, exec, s[2:3]
	s_waitcnt vmcnt(0)
	buffer_wbinvl1_vol
	s_endpgm
.LBB99_1172:
	ds_read_b32 v17, v16 offset:15840
	ds_read_b32 v18, v15 offset:15604
	s_waitcnt lgkmcnt(0)
	v_fmac_f32_e32 v14, v17, v18
	s_or_b64 exec, exec, s[14:15]
	v_cmp_gt_u32_e64 s[10:11], 8, v5
	s_and_saveexec_b64 s[14:15], s[10:11]
	s_cbranch_execz .LBB99_68
.LBB99_1173:
	ds_read_b32 v16, v16 offset:16096
	ds_read_b32 v15, v15 offset:15608
	s_waitcnt lgkmcnt(0)
	v_fmac_f32_e32 v14, v16, v15
	s_or_b64 exec, exec, s[14:15]
	v_cmp_gt_u32_e64 s[10:11], 4, v5
	s_and_saveexec_b64 s[14:15], s[10:11]
	s_cbranch_execnz .LBB99_69
	s_branch .LBB99_70
.LBB99_1174:
	ds_read_b32 v20, v19 offset:14784
	ds_read_b32 v21, v18 offset:14564
	s_waitcnt lgkmcnt(0)
	v_fmac_f32_e32 v17, v20, v21
	s_or_b64 exec, exec, s[16:17]
	v_cmp_gt_u32_e64 s[14:15], 48, v5
	s_and_saveexec_b64 s[16:17], s[14:15]
	s_cbranch_execz .LBB99_110
.LBB99_1175:
	ds_read_b32 v20, v19 offset:15040
	ds_read_b32 v21, v18 offset:14568
	s_waitcnt lgkmcnt(0)
	v_fmac_f32_e32 v17, v20, v21
	s_or_b64 exec, exec, s[16:17]
	v_cmp_gt_u32_e64 s[14:15], 40, v5
	s_and_saveexec_b64 s[16:17], s[14:15]
	s_cbranch_execz .LBB99_111
.LBB99_1176:
	ds_read_b32 v20, v19 offset:15296
	ds_read_b32 v21, v18 offset:14572
	s_waitcnt lgkmcnt(0)
	v_fmac_f32_e32 v17, v20, v21
	s_or_b64 exec, exec, s[16:17]
	v_cmp_gt_u32_e64 s[14:15], 32, v5
	s_and_saveexec_b64 s[16:17], s[14:15]
	s_cbranch_execz .LBB99_112
.LBB99_1177:
	ds_read_b32 v20, v19 offset:15552
	ds_read_b32 v21, v18 offset:14576
	s_waitcnt lgkmcnt(0)
	v_fmac_f32_e32 v17, v20, v21
	s_or_b64 exec, exec, s[16:17]
	v_cmp_gt_u32_e64 s[14:15], 24, v5
	s_and_saveexec_b64 s[16:17], s[14:15]
	s_cbranch_execz .LBB99_113
.LBB99_1178:
	ds_read_b32 v20, v19 offset:15808
	ds_read_b32 v21, v18 offset:14580
	s_waitcnt lgkmcnt(0)
	v_fmac_f32_e32 v17, v20, v21
	s_or_b64 exec, exec, s[16:17]
	s_and_saveexec_b64 s[14:15], s[18:19]
	s_cbranch_execz .LBB99_114
.LBB99_1179:
	ds_read_b32 v19, v19 offset:16064
	ds_read_b32 v18, v18 offset:14584
	s_waitcnt lgkmcnt(0)
	v_fmac_f32_e32 v17, v19, v18
	s_or_b64 exec, exec, s[14:15]
	v_cmp_gt_u32_e64 s[14:15], 8, v5
	s_and_saveexec_b64 s[16:17], s[14:15]
	s_cbranch_execnz .LBB99_115
	s_branch .LBB99_116
.LBB99_1180:
	ds_read_b32 v20, v19 offset:13760
	ds_read_b32 v21, v18 offset:13524
	s_waitcnt lgkmcnt(0)
	v_fmac_f32_e32 v17, v20, v21
	s_or_b64 exec, exec, s[14:15]
	v_cmp_gt_u32_e64 s[10:11], 8, v5
	s_and_saveexec_b64 s[14:15], s[10:11]
	s_cbranch_execz .LBB99_172
.LBB99_1181:
	ds_read_b32 v19, v19 offset:14016
	ds_read_b32 v18, v18 offset:13528
	s_waitcnt lgkmcnt(0)
	v_fmac_f32_e32 v17, v19, v18
	s_or_b64 exec, exec, s[14:15]
	v_cmp_gt_u32_e64 s[10:11], 4, v5
	s_and_saveexec_b64 s[14:15], s[10:11]
	s_cbranch_execnz .LBB99_173
	s_branch .LBB99_174
.LBB99_1182:
	ds_read_b32 v23, v22 offset:15232
	ds_read_b32 v24, v21 offset:12524
	s_waitcnt lgkmcnt(0)
	v_fmac_f32_e32 v20, v23, v24
	s_or_b64 exec, exec, s[20:21]
	s_and_saveexec_b64 s[16:17], s[8:9]
	s_cbranch_execz .LBB99_234
.LBB99_1183:
	ds_read_b32 v23, v22 offset:15488
	ds_read_b32 v24, v21 offset:12528
	s_waitcnt lgkmcnt(0)
	v_fmac_f32_e32 v20, v23, v24
	s_or_b64 exec, exec, s[16:17]
	v_cmp_gt_u32_e64 s[16:17], 48, v5
	s_and_saveexec_b64 s[20:21], s[16:17]
	s_cbranch_execz .LBB99_235
.LBB99_1184:
	ds_read_b32 v23, v22 offset:15744
	ds_read_b32 v24, v21 offset:12532
	s_waitcnt lgkmcnt(0)
	v_fmac_f32_e32 v20, v23, v24
	s_or_b64 exec, exec, s[20:21]
	v_cmp_gt_u32_e64 s[16:17], 32, v5
	s_and_saveexec_b64 s[20:21], s[16:17]
	s_cbranch_execz .LBB99_236
.LBB99_1185:
	ds_read_b32 v22, v22 offset:16000
	ds_read_b32 v21, v21 offset:12536
	s_waitcnt lgkmcnt(0)
	v_fmac_f32_e32 v20, v22, v21
	s_or_b64 exec, exec, s[20:21]
	v_cmp_gt_u32_e64 s[16:17], 16, v5
	s_and_saveexec_b64 s[20:21], s[16:17]
	s_cbranch_execnz .LBB99_237
	s_branch .LBB99_238
.LBB99_1186:
	ds_read_b32 v23, v22 offset:11680
	ds_read_b32 v24, v21 offset:11444
	s_waitcnt lgkmcnt(0)
	v_fmac_f32_e32 v20, v23, v24
	s_or_b64 exec, exec, s[20:21]
	v_cmp_gt_u32_e64 s[14:15], 8, v5
	s_and_saveexec_b64 s[20:21], s[14:15]
	s_cbranch_execz .LBB99_326
.LBB99_1187:
	ds_read_b32 v22, v22 offset:11936
	ds_read_b32 v21, v21 offset:11448
	s_waitcnt lgkmcnt(0)
	v_fmac_f32_e32 v20, v22, v21
	s_or_b64 exec, exec, s[20:21]
	v_cmp_gt_u32_e64 s[14:15], 4, v5
	s_and_saveexec_b64 s[20:21], s[14:15]
	s_cbranch_execnz .LBB99_327
	s_branch .LBB99_328
.LBB99_1188:
	ds_read_b32 v23, v22 offset:10624
	ds_read_b32 v24, v21 offset:10404
	s_waitcnt lgkmcnt(0)
	v_fmac_f32_e32 v20, v23, v24
	s_or_b64 exec, exec, s[20:21]
	v_cmp_gt_u32_e64 s[14:15], 48, v5
	s_and_saveexec_b64 s[20:21], s[14:15]
	s_cbranch_execz .LBB99_368
.LBB99_1189:
	ds_read_b32 v23, v22 offset:10880
	ds_read_b32 v24, v21 offset:10408
	s_waitcnt lgkmcnt(0)
	v_fmac_f32_e32 v20, v23, v24
	s_or_b64 exec, exec, s[20:21]
	v_cmp_gt_u32_e64 s[14:15], 40, v5
	s_and_saveexec_b64 s[20:21], s[14:15]
	s_cbranch_execz .LBB99_369
.LBB99_1190:
	ds_read_b32 v23, v22 offset:11136
	ds_read_b32 v24, v21 offset:10412
	s_waitcnt lgkmcnt(0)
	v_fmac_f32_e32 v20, v23, v24
	s_or_b64 exec, exec, s[20:21]
	v_cmp_gt_u32_e64 s[14:15], 32, v5
	s_and_saveexec_b64 s[20:21], s[14:15]
	s_cbranch_execz .LBB99_370
.LBB99_1191:
	ds_read_b32 v23, v22 offset:11392
	ds_read_b32 v24, v21 offset:10416
	s_waitcnt lgkmcnt(0)
	v_fmac_f32_e32 v20, v23, v24
	s_or_b64 exec, exec, s[20:21]
	v_cmp_gt_u32_e64 s[14:15], 24, v5
	s_and_saveexec_b64 s[20:21], s[14:15]
	s_cbranch_execz .LBB99_371
.LBB99_1192:
	ds_read_b32 v23, v22 offset:11648
	ds_read_b32 v24, v21 offset:10420
	s_waitcnt lgkmcnt(0)
	v_fmac_f32_e32 v20, v23, v24
	s_or_b64 exec, exec, s[20:21]
	s_and_saveexec_b64 s[14:15], s[18:19]
	s_cbranch_execz .LBB99_372
.LBB99_1193:
	ds_read_b32 v22, v22 offset:11904
	ds_read_b32 v21, v21 offset:10424
	s_waitcnt lgkmcnt(0)
	v_fmac_f32_e32 v20, v22, v21
	s_or_b64 exec, exec, s[14:15]
	v_cmp_gt_u32_e64 s[14:15], 8, v5
	s_and_saveexec_b64 s[20:21], s[14:15]
	s_cbranch_execnz .LBB99_373
	s_branch .LBB99_374
.LBB99_1194:
	ds_read_b32 v23, v22 offset:9600
	ds_read_b32 v24, v21 offset:9364
	s_waitcnt lgkmcnt(0)
	v_fmac_f32_e32 v20, v23, v24
	s_or_b64 exec, exec, s[20:21]
	v_cmp_gt_u32_e64 s[14:15], 8, v5
	s_and_saveexec_b64 s[20:21], s[14:15]
	s_cbranch_execz .LBB99_430
.LBB99_1195:
	ds_read_b32 v22, v22 offset:9856
	ds_read_b32 v21, v21 offset:9368
	s_waitcnt lgkmcnt(0)
	v_fmac_f32_e32 v20, v22, v21
	s_or_b64 exec, exec, s[20:21]
	v_cmp_gt_u32_e64 s[14:15], 4, v5
	s_and_saveexec_b64 s[20:21], s[14:15]
	s_cbranch_execnz .LBB99_431
	s_branch .LBB99_432
.LBB99_1196:
	ds_read_b32 v26, v25 offset:15616
	ds_read_b32 v27, v24 offset:8436
	s_waitcnt lgkmcnt(0)
	v_fmac_f32_e32 v22, v26, v27
	s_or_b64 exec, exec, s[94:95]
	s_and_saveexec_b64 s[20:21], s[8:9]
	s_cbranch_execz .LBB99_528
.LBB99_1197:
	ds_read_b32 v25, v25 offset:15872
	ds_read_b32 v24, v24 offset:8440
	s_waitcnt lgkmcnt(0)
	v_fmac_f32_e32 v22, v25, v24
	s_or_b64 exec, exec, s[20:21]
	v_cmp_gt_u32_e64 s[20:21], 32, v5
	s_and_saveexec_b64 s[94:95], s[20:21]
	s_cbranch_execnz .LBB99_529
	s_branch .LBB99_530
.LBB99_1198:
	ds_read_b32 v23, v22 offset:7520
	ds_read_b32 v24, v21 offset:7284
	s_waitcnt lgkmcnt(0)
	v_fmac_f32_e32 v20, v23, v24
	s_or_b64 exec, exec, s[16:17]
	v_cmp_gt_u32_e64 s[12:13], 8, v5
	s_and_saveexec_b64 s[16:17], s[12:13]
	s_cbranch_execz .LBB99_682
.LBB99_1199:
	ds_read_b32 v22, v22 offset:7776
	ds_read_b32 v21, v21 offset:7288
	s_waitcnt lgkmcnt(0)
	v_fmac_f32_e32 v20, v22, v21
	s_or_b64 exec, exec, s[16:17]
	v_cmp_gt_u32_e64 s[12:13], 4, v5
	s_and_saveexec_b64 s[16:17], s[12:13]
	s_cbranch_execnz .LBB99_683
	s_branch .LBB99_684
.LBB99_1200:
	ds_read_b32 v23, v22 offset:6464
	ds_read_b32 v24, v21 offset:6244
	s_waitcnt lgkmcnt(0)
	v_fmac_f32_e32 v20, v23, v24
	s_or_b64 exec, exec, s[16:17]
	v_cmp_gt_u32_e64 s[12:13], 48, v5
	s_and_saveexec_b64 s[16:17], s[12:13]
	s_cbranch_execz .LBB99_724
.LBB99_1201:
	ds_read_b32 v23, v22 offset:6720
	ds_read_b32 v24, v21 offset:6248
	s_waitcnt lgkmcnt(0)
	v_fmac_f32_e32 v20, v23, v24
	s_or_b64 exec, exec, s[16:17]
	v_cmp_gt_u32_e64 s[12:13], 40, v5
	s_and_saveexec_b64 s[16:17], s[12:13]
	s_cbranch_execz .LBB99_725
.LBB99_1202:
	ds_read_b32 v23, v22 offset:6976
	ds_read_b32 v24, v21 offset:6252
	s_waitcnt lgkmcnt(0)
	v_fmac_f32_e32 v20, v23, v24
	s_or_b64 exec, exec, s[16:17]
	v_cmp_gt_u32_e64 s[12:13], 32, v5
	s_and_saveexec_b64 s[16:17], s[12:13]
	s_cbranch_execz .LBB99_726
.LBB99_1203:
	ds_read_b32 v23, v22 offset:7232
	ds_read_b32 v24, v21 offset:6256
	s_waitcnt lgkmcnt(0)
	v_fmac_f32_e32 v20, v23, v24
	s_or_b64 exec, exec, s[16:17]
	v_cmp_gt_u32_e64 s[12:13], 24, v5
	s_and_saveexec_b64 s[16:17], s[12:13]
	s_cbranch_execz .LBB99_727
.LBB99_1204:
	ds_read_b32 v23, v22 offset:7488
	ds_read_b32 v24, v21 offset:6260
	s_waitcnt lgkmcnt(0)
	v_fmac_f32_e32 v20, v23, v24
	s_or_b64 exec, exec, s[16:17]
	s_and_saveexec_b64 s[12:13], s[18:19]
	s_cbranch_execz .LBB99_728
.LBB99_1205:
	ds_read_b32 v22, v22 offset:7744
	ds_read_b32 v21, v21 offset:6264
	s_waitcnt lgkmcnt(0)
	v_fmac_f32_e32 v20, v22, v21
	s_or_b64 exec, exec, s[12:13]
	v_cmp_gt_u32_e64 s[12:13], 8, v5
	s_and_saveexec_b64 s[16:17], s[12:13]
	s_cbranch_execnz .LBB99_729
	s_branch .LBB99_730
.LBB99_1206:
	ds_read_b32 v23, v22 offset:5440
	ds_read_b32 v24, v21 offset:5204
	s_waitcnt lgkmcnt(0)
	v_fmac_f32_e32 v20, v23, v24
	s_or_b64 exec, exec, s[16:17]
	v_cmp_gt_u32_e64 s[12:13], 8, v5
	s_and_saveexec_b64 s[16:17], s[12:13]
	s_cbranch_execz .LBB99_786
.LBB99_1207:
	ds_read_b32 v22, v22 offset:5696
	ds_read_b32 v21, v21 offset:5208
	s_waitcnt lgkmcnt(0)
	v_fmac_f32_e32 v20, v22, v21
	s_or_b64 exec, exec, s[16:17]
	v_cmp_gt_u32_e64 s[12:13], 4, v5
	s_and_saveexec_b64 s[16:17], s[12:13]
	s_cbranch_execnz .LBB99_787
	s_branch .LBB99_788
.LBB99_1208:
	ds_read_b32 v23, v22 offset:6912
	ds_read_b32 v24, v21 offset:4204
	s_waitcnt lgkmcnt(0)
	v_fmac_f32_e32 v20, v23, v24
	s_or_b64 exec, exec, s[16:17]
	s_and_saveexec_b64 s[12:13], s[8:9]
	s_cbranch_execz .LBB99_848
.LBB99_1209:
	ds_read_b32 v23, v22 offset:7168
	ds_read_b32 v24, v21 offset:4208
	s_waitcnt lgkmcnt(0)
	v_fmac_f32_e32 v20, v23, v24
	s_or_b64 exec, exec, s[12:13]
	v_cmp_gt_u32_e64 s[12:13], 48, v5
	s_and_saveexec_b64 s[16:17], s[12:13]
	s_cbranch_execz .LBB99_849
.LBB99_1210:
	ds_read_b32 v23, v22 offset:7424
	ds_read_b32 v24, v21 offset:4212
	s_waitcnt lgkmcnt(0)
	v_fmac_f32_e32 v20, v23, v24
	s_or_b64 exec, exec, s[16:17]
	v_cmp_gt_u32_e64 s[12:13], 32, v5
	s_and_saveexec_b64 s[16:17], s[12:13]
	s_cbranch_execz .LBB99_850
.LBB99_1211:
	ds_read_b32 v22, v22 offset:7680
	ds_read_b32 v21, v21 offset:4216
	s_waitcnt lgkmcnt(0)
	v_fmac_f32_e32 v20, v22, v21
	s_or_b64 exec, exec, s[16:17]
	v_cmp_gt_u32_e64 s[12:13], 16, v5
	s_and_saveexec_b64 s[16:17], s[12:13]
	s_cbranch_execnz .LBB99_851
	s_branch .LBB99_852
.LBB99_1212:
	ds_read_b32 v20, v19 offset:3360
	ds_read_b32 v21, v18 offset:3124
	s_waitcnt lgkmcnt(0)
	v_fmac_f32_e32 v17, v20, v21
	s_or_b64 exec, exec, s[12:13]
	v_cmp_gt_u32_e64 s[10:11], 8, v5
	s_and_saveexec_b64 s[12:13], s[10:11]
	s_cbranch_execz .LBB99_940
.LBB99_1213:
	ds_read_b32 v19, v19 offset:3616
	ds_read_b32 v18, v18 offset:3128
	s_waitcnt lgkmcnt(0)
	v_fmac_f32_e32 v17, v19, v18
	s_or_b64 exec, exec, s[12:13]
	v_cmp_gt_u32_e64 s[10:11], 4, v5
	s_and_saveexec_b64 s[12:13], s[10:11]
	s_cbranch_execnz .LBB99_941
	s_branch .LBB99_942
.LBB99_1214:
	ds_read_b32 v20, v19 offset:2304
	ds_read_b32 v21, v18 offset:2084
	s_waitcnt lgkmcnt(0)
	v_fmac_f32_e32 v17, v20, v21
	s_or_b64 exec, exec, s[12:13]
	v_cmp_gt_u32_e64 s[10:11], 48, v5
	s_and_saveexec_b64 s[12:13], s[10:11]
	s_cbranch_execz .LBB99_982
.LBB99_1215:
	ds_read_b32 v20, v19 offset:2560
	ds_read_b32 v21, v18 offset:2088
	s_waitcnt lgkmcnt(0)
	v_fmac_f32_e32 v17, v20, v21
	s_or_b64 exec, exec, s[12:13]
	v_cmp_gt_u32_e64 s[10:11], 40, v5
	s_and_saveexec_b64 s[12:13], s[10:11]
	s_cbranch_execz .LBB99_983
.LBB99_1216:
	ds_read_b32 v20, v19 offset:2816
	ds_read_b32 v21, v18 offset:2092
	s_waitcnt lgkmcnt(0)
	v_fmac_f32_e32 v17, v20, v21
	s_or_b64 exec, exec, s[12:13]
	v_cmp_gt_u32_e64 s[10:11], 32, v5
	s_and_saveexec_b64 s[12:13], s[10:11]
	s_cbranch_execz .LBB99_984
.LBB99_1217:
	ds_read_b32 v20, v19 offset:3072
	ds_read_b32 v21, v18 offset:2096
	s_waitcnt lgkmcnt(0)
	v_fmac_f32_e32 v17, v20, v21
	s_or_b64 exec, exec, s[12:13]
	v_cmp_gt_u32_e64 s[10:11], 24, v5
	s_and_saveexec_b64 s[12:13], s[10:11]
	s_cbranch_execz .LBB99_985
.LBB99_1218:
	ds_read_b32 v20, v19 offset:3328
	ds_read_b32 v21, v18 offset:2100
	s_waitcnt lgkmcnt(0)
	v_fmac_f32_e32 v17, v20, v21
	s_or_b64 exec, exec, s[12:13]
	s_and_saveexec_b64 s[10:11], s[18:19]
	s_cbranch_execz .LBB99_986
.LBB99_1219:
	ds_read_b32 v19, v19 offset:3584
	ds_read_b32 v18, v18 offset:2104
	s_waitcnt lgkmcnt(0)
	v_fmac_f32_e32 v17, v19, v18
	s_or_b64 exec, exec, s[10:11]
	v_cmp_gt_u32_e64 s[10:11], 8, v5
	s_and_saveexec_b64 s[12:13], s[10:11]
	s_cbranch_execnz .LBB99_987
	s_branch .LBB99_988
.LBB99_1220:
	ds_read_b32 v17, v16 offset:1280
	ds_read_b32 v18, v15 offset:1044
	s_waitcnt lgkmcnt(0)
	v_fmac_f32_e32 v14, v17, v18
	s_or_b64 exec, exec, s[10:11]
	v_cmp_gt_u32_e64 s[8:9], 8, v5
	s_and_saveexec_b64 s[10:11], s[8:9]
	s_cbranch_execz .LBB99_1044
.LBB99_1221:
	ds_read_b32 v16, v16 offset:1536
	ds_read_b32 v15, v15 offset:1048
	s_waitcnt lgkmcnt(0)
	v_fmac_f32_e32 v14, v16, v15
	s_or_b64 exec, exec, s[10:11]
	v_cmp_gt_u32_e64 s[8:9], 4, v5
	s_and_saveexec_b64 s[10:11], s[8:9]
	s_cbranch_execnz .LBB99_1045
	s_branch .LBB99_1046
	.section	.rodata,"a",@progbits
	.p2align	6, 0x0
	.amdhsa_kernel _ZL19rocblas_trsv_deviceILi64ELi16ELb0ELb1ELb1ELb1EfPKfPKS1_PKPfEviT7_lllT6_T8_lllPii
		.amdhsa_group_segment_fixed_size 20740
		.amdhsa_private_segment_fixed_size 0
		.amdhsa_kernarg_size 352
		.amdhsa_user_sgpr_count 6
		.amdhsa_user_sgpr_private_segment_buffer 1
		.amdhsa_user_sgpr_dispatch_ptr 0
		.amdhsa_user_sgpr_queue_ptr 0
		.amdhsa_user_sgpr_kernarg_segment_ptr 1
		.amdhsa_user_sgpr_dispatch_id 0
		.amdhsa_user_sgpr_flat_scratch_init 0
		.amdhsa_user_sgpr_private_segment_size 0
		.amdhsa_uses_dynamic_stack 0
		.amdhsa_system_sgpr_private_segment_wavefront_offset 0
		.amdhsa_system_sgpr_workgroup_id_x 1
		.amdhsa_system_sgpr_workgroup_id_y 0
		.amdhsa_system_sgpr_workgroup_id_z 1
		.amdhsa_system_sgpr_workgroup_info 0
		.amdhsa_system_vgpr_workitem_id 1
		.amdhsa_next_free_vgpr 29
		.amdhsa_next_free_sgpr 96
		.amdhsa_reserve_vcc 1
		.amdhsa_reserve_flat_scratch 0
		.amdhsa_float_round_mode_32 0
		.amdhsa_float_round_mode_16_64 0
		.amdhsa_float_denorm_mode_32 3
		.amdhsa_float_denorm_mode_16_64 3
		.amdhsa_dx10_clamp 1
		.amdhsa_ieee_mode 1
		.amdhsa_fp16_overflow 0
		.amdhsa_exception_fp_ieee_invalid_op 0
		.amdhsa_exception_fp_denorm_src 0
		.amdhsa_exception_fp_ieee_div_zero 0
		.amdhsa_exception_fp_ieee_overflow 0
		.amdhsa_exception_fp_ieee_underflow 0
		.amdhsa_exception_fp_ieee_inexact 0
		.amdhsa_exception_int_div_zero 0
	.end_amdhsa_kernel
	.section	.text._ZL19rocblas_trsv_deviceILi64ELi16ELb0ELb1ELb1ELb1EfPKfPKS1_PKPfEviT7_lllT6_T8_lllPii,"axG",@progbits,_ZL19rocblas_trsv_deviceILi64ELi16ELb0ELb1ELb1ELb1EfPKfPKS1_PKPfEviT7_lllT6_T8_lllPii,comdat
.Lfunc_end99:
	.size	_ZL19rocblas_trsv_deviceILi64ELi16ELb0ELb1ELb1ELb1EfPKfPKS1_PKPfEviT7_lllT6_T8_lllPii, .Lfunc_end99-_ZL19rocblas_trsv_deviceILi64ELi16ELb0ELb1ELb1ELb1EfPKfPKS1_PKPfEviT7_lllT6_T8_lllPii
                                        ; -- End function
	.set _ZL19rocblas_trsv_deviceILi64ELi16ELb0ELb1ELb1ELb1EfPKfPKS1_PKPfEviT7_lllT6_T8_lllPii.num_vgpr, 29
	.set _ZL19rocblas_trsv_deviceILi64ELi16ELb0ELb1ELb1ELb1EfPKfPKS1_PKPfEviT7_lllT6_T8_lllPii.num_agpr, 0
	.set _ZL19rocblas_trsv_deviceILi64ELi16ELb0ELb1ELb1ELb1EfPKfPKS1_PKPfEviT7_lllT6_T8_lllPii.numbered_sgpr, 96
	.set _ZL19rocblas_trsv_deviceILi64ELi16ELb0ELb1ELb1ELb1EfPKfPKS1_PKPfEviT7_lllT6_T8_lllPii.num_named_barrier, 0
	.set _ZL19rocblas_trsv_deviceILi64ELi16ELb0ELb1ELb1ELb1EfPKfPKS1_PKPfEviT7_lllT6_T8_lllPii.private_seg_size, 0
	.set _ZL19rocblas_trsv_deviceILi64ELi16ELb0ELb1ELb1ELb1EfPKfPKS1_PKPfEviT7_lllT6_T8_lllPii.uses_vcc, 1
	.set _ZL19rocblas_trsv_deviceILi64ELi16ELb0ELb1ELb1ELb1EfPKfPKS1_PKPfEviT7_lllT6_T8_lllPii.uses_flat_scratch, 0
	.set _ZL19rocblas_trsv_deviceILi64ELi16ELb0ELb1ELb1ELb1EfPKfPKS1_PKPfEviT7_lllT6_T8_lllPii.has_dyn_sized_stack, 0
	.set _ZL19rocblas_trsv_deviceILi64ELi16ELb0ELb1ELb1ELb1EfPKfPKS1_PKPfEviT7_lllT6_T8_lllPii.has_recursion, 0
	.set _ZL19rocblas_trsv_deviceILi64ELi16ELb0ELb1ELb1ELb1EfPKfPKS1_PKPfEviT7_lllT6_T8_lllPii.has_indirect_call, 0
	.section	.AMDGPU.csdata,"",@progbits
; Kernel info:
; codeLenInByte = 35132
; TotalNumSgprs: 100
; NumVgprs: 29
; ScratchSize: 0
; MemoryBound: 0
; FloatMode: 240
; IeeeMode: 1
; LDSByteSize: 20740 bytes/workgroup (compile time only)
; SGPRBlocks: 12
; VGPRBlocks: 7
; NumSGPRsForWavesPerEU: 100
; NumVGPRsForWavesPerEU: 29
; Occupancy: 8
; WaveLimiterHint : 1
; COMPUTE_PGM_RSRC2:SCRATCH_EN: 0
; COMPUTE_PGM_RSRC2:USER_SGPR: 6
; COMPUTE_PGM_RSRC2:TRAP_HANDLER: 0
; COMPUTE_PGM_RSRC2:TGID_X_EN: 1
; COMPUTE_PGM_RSRC2:TGID_Y_EN: 0
; COMPUTE_PGM_RSRC2:TGID_Z_EN: 1
; COMPUTE_PGM_RSRC2:TIDIG_COMP_CNT: 1
	.section	.text._ZL19rocblas_trsv_deviceILi64ELi16ELb0ELb0ELb0ELb0EfPKfPKS1_PKPfEviT7_lllT6_T8_lllPii,"axG",@progbits,_ZL19rocblas_trsv_deviceILi64ELi16ELb0ELb0ELb0ELb0EfPKfPKS1_PKPfEviT7_lllT6_T8_lllPii,comdat
	.globl	_ZL19rocblas_trsv_deviceILi64ELi16ELb0ELb0ELb0ELb0EfPKfPKS1_PKPfEviT7_lllT6_T8_lllPii ; -- Begin function _ZL19rocblas_trsv_deviceILi64ELi16ELb0ELb0ELb0ELb0EfPKfPKS1_PKPfEviT7_lllT6_T8_lllPii
	.p2align	8
	.type	_ZL19rocblas_trsv_deviceILi64ELi16ELb0ELb0ELb0ELb0EfPKfPKS1_PKPfEviT7_lllT6_T8_lllPii,@function
_ZL19rocblas_trsv_deviceILi64ELi16ELb0ELb0ELb0ELb0EfPKfPKS1_PKPfEviT7_lllT6_T8_lllPii: ; @_ZL19rocblas_trsv_deviceILi64ELi16ELb0ELb0ELb0ELb0EfPKfPKS1_PKPfEviT7_lllT6_T8_lllPii
; %bb.0:
	s_load_dwordx4 s[0:3], s[4:5], 0x8
	s_mov_b32 s24, s7
	s_mov_b32 s25, 0
	s_lshl_b64 s[8:9], s[24:25], 3
	v_mov_b32_e32 v2, v1
	s_waitcnt lgkmcnt(0)
	s_add_u32 s0, s0, s8
	s_addc_u32 s1, s1, s9
	s_load_dwordx2 s[10:11], s[0:1], 0x0
	s_load_dword s26, s[4:5], 0x0
	s_load_dwordx8 s[16:23], s[4:5], 0x28
	s_load_dwordx2 s[28:29], s[4:5], 0x18
	s_lshl_b64 s[0:1], s[2:3], 2
	s_waitcnt lgkmcnt(0)
	s_add_u32 s83, s10, s0
	s_addc_u32 s84, s11, s1
	s_add_u32 s0, s18, s8
	s_load_dword s7, s[4:5], 0x60
	s_addc_u32 s1, s19, s9
	s_load_dwordx2 s[30:31], s[0:1], 0x0
	s_load_dword s43, s[16:17], 0x0
	s_load_dword s42, s[4:5], 0x6c
	s_waitcnt lgkmcnt(0)
	s_add_i32 s7, s7, -1
	s_sub_i32 s85, s7, s6
	s_cmp_lg_u32 s6, 0
	s_cbranch_scc0 .LBB100_1102
; %bb.1:
	s_lshl_b32 s33, s85, 6
	v_add3_u32 v1, v2, s33, 64
	v_ashrrev_i32_e32 v3, 31, v1
	v_mul_lo_u32 v7, s28, v3
	v_mul_lo_u32 v8, s29, v1
	v_mad_u64_u32 v[3:4], s[0:1], s28, v1, 0
	v_add_u32_e32 v5, s33, v0
	v_ashrrev_i32_e32 v6, 31, v5
	v_add3_u32 v4, v4, v7, v8
	v_lshlrev_b64 v[3:4], 2, v[3:4]
	v_mov_b32_e32 v7, s84
	v_add_co_u32_e64 v8, s[0:1], s83, v3
	v_addc_co_u32_e64 v7, s[0:1], v7, v4, s[0:1]
	v_lshlrev_b64 v[3:4], 2, v[5:6]
	v_cmp_gt_i32_e32 vcc, s26, v5
	v_add_co_u32_e64 v3, s[0:1], v8, v3
	v_addc_co_u32_e64 v4, s[0:1], v7, v4, s[0:1]
	v_cmp_gt_i32_e64 s[0:1], s26, v1
	s_and_b64 s[2:3], vcc, s[0:1]
	v_mov_b32_e32 v8, 0
	v_mov_b32_e32 v7, 0
	s_barrier
	s_and_saveexec_b64 s[0:1], s[2:3]
	s_cbranch_execz .LBB100_3
; %bb.2:
	flat_load_dword v7, v[3:4]
.LBB100_3:
	s_or_b64 exec, exec, s[0:1]
	v_add_u32_e32 v5, 16, v1
	v_cmp_gt_i32_e64 s[0:1], s26, v5
	s_and_b64 s[0:1], vcc, s[0:1]
	s_waitcnt vmcnt(0) lgkmcnt(0)
	s_barrier
	s_and_saveexec_b64 s[2:3], s[0:1]
	s_cbranch_execz .LBB100_5
; %bb.4:
	s_lshl_b64 s[0:1], s[28:29], 6
	v_mov_b32_e32 v6, s1
	v_add_co_u32_e64 v5, s[0:1], s0, v3
	v_addc_co_u32_e64 v6, s[0:1], v4, v6, s[0:1]
	flat_load_dword v8, v[5:6]
.LBB100_5:
	s_or_b64 exec, exec, s[2:3]
	v_add_u32_e32 v5, 32, v1
	v_cmp_gt_i32_e64 s[0:1], s26, v5
	s_and_b64 s[0:1], vcc, s[0:1]
	v_mov_b32_e32 v9, 0
	v_mov_b32_e32 v10, 0
	s_waitcnt vmcnt(0) lgkmcnt(0)
	s_barrier
	s_and_saveexec_b64 s[2:3], s[0:1]
	s_cbranch_execz .LBB100_7
; %bb.6:
	s_lshl_b64 s[0:1], s[28:29], 7
	v_mov_b32_e32 v6, s1
	v_add_co_u32_e64 v5, s[0:1], s0, v3
	v_addc_co_u32_e64 v6, s[0:1], v4, v6, s[0:1]
	flat_load_dword v10, v[5:6]
.LBB100_7:
	s_or_b64 exec, exec, s[2:3]
	v_add_u32_e32 v1, 48, v1
	v_cmp_gt_i32_e64 s[0:1], s26, v1
	s_and_b64 s[2:3], vcc, s[0:1]
	s_waitcnt vmcnt(0) lgkmcnt(0)
	s_barrier
	s_and_saveexec_b64 s[0:1], s[2:3]
	s_cbranch_execz .LBB100_9
; %bb.8:
	v_mov_b32_e32 v1, 0xc0
	v_mad_u64_u32 v[3:4], s[2:3], s28, v1, v[3:4]
	s_mul_i32 s2, s29, 0xc0
	v_add_u32_e32 v4, s2, v4
	flat_load_dword v9, v[3:4]
.LBB100_9:
	s_or_b64 exec, exec, s[0:1]
	s_branch .LBB100_11
.LBB100_10:
	s_lshl_b32 s33, s85, 6
                                        ; implicit-def: $vgpr7
                                        ; implicit-def: $vgpr8
                                        ; implicit-def: $vgpr10
                                        ; implicit-def: $vgpr9
.LBB100_11:
	s_ashr_i32 s27, s26, 31
	s_lshr_b32 s0, s27, 26
	s_add_i32 s0, s26, s0
	s_andn2_b32 s0, s0, 63
	s_sub_i32 s82, s26, s0
	s_add_i32 s0, s26, -1
	s_ashr_i32 s1, s0, 31
	s_lshr_b32 s1, s1, 26
	s_add_i32 s0, s0, s1
	s_ashr_i32 s0, s0, 6
	s_cmp_eq_u32 s0, s85
	s_cselect_b64 s[0:1], -1, 0
	s_cmp_lg_u32 s82, 0
	s_cselect_b64 s[2:3], -1, 0
	s_and_b64 s[18:19], s[2:3], s[0:1]
	s_ashr_i32 s52, s33, 31
	s_add_u32 s8, s28, 1
	v_mov_b32_e32 v1, 0
	v_mov_b32_e32 v3, s33
	v_mad_u64_u32 v[3:4], s[0:1], s8, v3, v[0:1]
	s_addc_u32 s9, s29, 0
	s_mul_i32 s0, s8, s52
	s_mul_i32 s9, s9, s33
	s_add_i32 s0, s0, s9
	s_mov_b64 s[2:3], -1
	v_add_u32_e32 v4, s0, v4
	s_and_b64 vcc, exec, s[18:19]
	v_cmp_le_u32_e64 s[0:1], v2, v0
	s_cbranch_vccnz .LBB100_33
; %bb.12:
	v_mad_u64_u32 v[5:6], s[2:3], s28, v2, v[3:4]
	v_mov_b32_e32 v1, v6
	v_mad_u64_u32 v[11:12], s[2:3], s29, v2, v[1:2]
	s_mov_b64 s[2:3], 0
                                        ; implicit-def: $vgpr1
	v_mov_b32_e32 v6, v11
	s_and_saveexec_b64 s[8:9], s[0:1]
	s_xor_b64 s[0:1], exec, s[8:9]
	s_cbranch_execnz .LBB100_1103
; %bb.13:
	s_andn2_saveexec_b64 s[0:1], s[0:1]
	s_cbranch_execnz .LBB100_1108
.LBB100_14:
	s_or_b64 exec, exec, s[0:1]
	s_and_saveexec_b64 s[0:1], s[2:3]
.LBB100_15:
	v_lshlrev_b32_e32 v5, 2, v0
	v_lshl_add_u32 v5, v2, 8, v5
	ds_write_b32 v5, v1
.LBB100_16:
	s_or_b64 exec, exec, s[0:1]
	v_add_u32_e32 v1, 16, v2
	v_mad_u64_u32 v[5:6], s[0:1], s28, v1, v[3:4]
	v_cmp_le_u32_e32 vcc, v1, v0
	s_mov_b64 s[2:3], 0
	v_mad_u64_u32 v[11:12], s[0:1], s29, v1, v[6:7]
	v_mov_b32_e32 v6, v11
                                        ; implicit-def: $vgpr11
	s_and_saveexec_b64 s[0:1], vcc
	s_xor_b64 s[0:1], exec, s[0:1]
	s_cbranch_execnz .LBB100_1109
; %bb.17:
	s_andn2_saveexec_b64 s[0:1], s[0:1]
	s_cbranch_execnz .LBB100_1114
.LBB100_18:
	s_or_b64 exec, exec, s[0:1]
	s_and_saveexec_b64 s[0:1], s[2:3]
.LBB100_19:
	v_lshlrev_b32_e32 v5, 2, v0
	v_lshl_add_u32 v1, v1, 8, v5
	ds_write_b32 v1, v11
.LBB100_20:
	s_or_b64 exec, exec, s[0:1]
	v_add_u32_e32 v1, 32, v2
	v_mad_u64_u32 v[5:6], s[0:1], s28, v1, v[3:4]
	v_cmp_le_u32_e32 vcc, v1, v0
	s_mov_b64 s[2:3], 0
	v_mad_u64_u32 v[11:12], s[0:1], s29, v1, v[6:7]
	v_mov_b32_e32 v6, v11
                                        ; implicit-def: $vgpr11
	s_and_saveexec_b64 s[0:1], vcc
	s_xor_b64 s[0:1], exec, s[0:1]
	s_cbranch_execnz .LBB100_1115
; %bb.21:
	s_andn2_saveexec_b64 s[0:1], s[0:1]
	s_cbranch_execnz .LBB100_1120
.LBB100_22:
	s_or_b64 exec, exec, s[0:1]
	s_and_saveexec_b64 s[0:1], s[2:3]
.LBB100_23:
	v_lshlrev_b32_e32 v5, 2, v0
	v_lshl_add_u32 v1, v1, 8, v5
	ds_write_b32 v1, v11
.LBB100_24:
	s_or_b64 exec, exec, s[0:1]
	v_add_u32_e32 v1, 48, v2
	v_mad_u64_u32 v[5:6], s[0:1], s28, v1, v[3:4]
	v_cmp_le_u32_e32 vcc, v1, v0
	s_mov_b64 s[8:9], 0
	v_mad_u64_u32 v[11:12], s[0:1], s29, v1, v[6:7]
	v_mov_b32_e32 v6, v11
                                        ; implicit-def: $vgpr11
	s_and_saveexec_b64 s[0:1], vcc
	s_xor_b64 s[0:1], exec, s[0:1]
	s_cbranch_execz .LBB100_30
; %bb.25:
	v_cmp_ne_u32_e32 vcc, v0, v1
	s_mov_b64 s[2:3], 0
	s_and_saveexec_b64 s[8:9], vcc
	s_xor_b64 s[8:9], exec, s[8:9]
; %bb.26:
	v_or_b32_e32 v5, v1, v0
	v_cmp_gt_u32_e32 vcc, 64, v5
	s_and_b64 s[2:3], vcc, exec
                                        ; implicit-def: $vgpr5_vgpr6
; %bb.27:
	s_or_saveexec_b64 s[8:9], s[8:9]
	v_mov_b32_e32 v11, 0
	s_xor_b64 exec, exec, s[8:9]
	s_cbranch_execz .LBB100_29
; %bb.28:
	v_lshlrev_b64 v[5:6], 2, v[5:6]
	v_mov_b32_e32 v1, s84
	v_add_co_u32_e32 v5, vcc, s83, v5
	v_addc_co_u32_e32 v6, vcc, v1, v6, vcc
	flat_load_dword v1, v[5:6]
	s_or_b64 s[2:3], s[2:3], exec
	s_waitcnt vmcnt(0) lgkmcnt(0)
	v_div_scale_f32 v5, s[10:11], v1, v1, 1.0
	v_div_scale_f32 v6, vcc, 1.0, v1, 1.0
	v_rcp_f32_e32 v11, v5
	v_fma_f32 v12, -v5, v11, 1.0
	v_fmac_f32_e32 v11, v12, v11
	v_mul_f32_e32 v12, v6, v11
	v_fma_f32 v13, -v5, v12, v6
	v_fmac_f32_e32 v12, v13, v11
	v_fma_f32 v5, -v5, v12, v6
	v_div_fmas_f32 v5, v5, v11, v12
	v_div_fixup_f32 v11, v5, v1, 1.0
	v_mov_b32_e32 v1, v0
.LBB100_29:
	s_or_b64 exec, exec, s[8:9]
	s_and_b64 s[8:9], s[2:3], exec
                                        ; implicit-def: $vgpr5_vgpr6
.LBB100_30:
	s_andn2_saveexec_b64 s[0:1], s[0:1]
	s_cbranch_execz .LBB100_32
; %bb.31:
	v_lshlrev_b64 v[5:6], 2, v[5:6]
	v_mov_b32_e32 v11, s84
	v_add_co_u32_e32 v5, vcc, s83, v5
	v_addc_co_u32_e32 v6, vcc, v11, v6, vcc
	flat_load_dword v5, v[5:6]
	s_or_b64 s[8:9], s[8:9], exec
	s_waitcnt vmcnt(0) lgkmcnt(0)
	v_xor_b32_e32 v11, 0x80000000, v5
.LBB100_32:
	s_or_b64 exec, exec, s[0:1]
	s_branch .LBB100_55
.LBB100_33:
	s_mov_b64 s[8:9], 0
                                        ; implicit-def: $vgpr11
                                        ; implicit-def: $vgpr1
	s_and_b64 vcc, exec, s[2:3]
	s_cbranch_vccz .LBB100_55
; %bb.34:
	v_mad_u64_u32 v[5:6], s[0:1], s28, v2, v[3:4]
	v_cmp_le_u32_e32 vcc, v2, v0
	v_cmp_gt_i32_e64 s[0:1], s82, v0
	v_mov_b32_e32 v1, v6
	v_mad_u64_u32 v[11:12], s[2:3], s29, v2, v[1:2]
	v_max_i32_e32 v1, v2, v0
	v_cmp_le_i32_e64 s[2:3], s82, v1
	v_mov_b32_e32 v6, v11
	s_or_b64 s[2:3], s[2:3], vcc
	s_mov_b64 s[10:11], 0
                                        ; implicit-def: $vgpr1
	s_and_saveexec_b64 s[12:13], s[2:3]
	s_xor_b64 s[2:3], exec, s[12:13]
	s_cbranch_execnz .LBB100_1121
; %bb.35:
	s_andn2_saveexec_b64 s[2:3], s[2:3]
	s_cbranch_execnz .LBB100_1126
.LBB100_36:
	s_or_b64 exec, exec, s[2:3]
	s_and_saveexec_b64 s[2:3], s[10:11]
.LBB100_37:
	v_lshlrev_b32_e32 v5, 2, v0
	v_lshl_add_u32 v5, v2, 8, v5
	ds_write_b32 v5, v1
.LBB100_38:
	s_or_b64 exec, exec, s[2:3]
	v_add_u32_e32 v1, 16, v2
	v_mad_u64_u32 v[5:6], s[2:3], s28, v1, v[3:4]
	v_cmp_gt_u32_e32 vcc, v1, v0
	s_mov_b64 s[10:11], 0
	v_mad_u64_u32 v[11:12], s[2:3], s29, v1, v[6:7]
	v_cmp_gt_i32_e64 s[2:3], s82, v1
	s_and_b64 s[2:3], vcc, s[2:3]
	s_and_b64 s[2:3], s[0:1], s[2:3]
	v_mov_b32_e32 v6, v11
	s_xor_b64 s[2:3], s[2:3], -1
                                        ; implicit-def: $vgpr11
	s_and_saveexec_b64 s[12:13], s[2:3]
	s_xor_b64 s[2:3], exec, s[12:13]
	s_cbranch_execnz .LBB100_1127
; %bb.39:
	s_andn2_saveexec_b64 s[2:3], s[2:3]
	s_cbranch_execnz .LBB100_1132
.LBB100_40:
	s_or_b64 exec, exec, s[2:3]
	s_and_saveexec_b64 s[2:3], s[10:11]
.LBB100_41:
	v_lshlrev_b32_e32 v5, 2, v0
	v_lshl_add_u32 v1, v1, 8, v5
	ds_write_b32 v1, v11
.LBB100_42:
	s_or_b64 exec, exec, s[2:3]
	v_add_u32_e32 v1, 32, v2
	v_mad_u64_u32 v[5:6], s[2:3], s28, v1, v[3:4]
	v_cmp_gt_u32_e32 vcc, v1, v0
	s_mov_b64 s[10:11], 0
	v_mad_u64_u32 v[11:12], s[2:3], s29, v1, v[6:7]
	v_cmp_gt_i32_e64 s[2:3], s82, v1
	s_and_b64 s[2:3], vcc, s[2:3]
	s_and_b64 s[2:3], s[0:1], s[2:3]
	v_mov_b32_e32 v6, v11
	s_xor_b64 s[2:3], s[2:3], -1
                                        ; implicit-def: $vgpr11
	s_and_saveexec_b64 s[12:13], s[2:3]
	s_xor_b64 s[2:3], exec, s[12:13]
	s_cbranch_execnz .LBB100_1133
; %bb.43:
	s_andn2_saveexec_b64 s[2:3], s[2:3]
	s_cbranch_execnz .LBB100_1138
.LBB100_44:
	s_or_b64 exec, exec, s[2:3]
	s_and_saveexec_b64 s[2:3], s[10:11]
.LBB100_45:
	v_lshlrev_b32_e32 v5, 2, v0
	v_lshl_add_u32 v1, v1, 8, v5
	ds_write_b32 v1, v11
.LBB100_46:
	s_or_b64 exec, exec, s[2:3]
	v_add_u32_e32 v1, 48, v2
	v_mad_u64_u32 v[3:4], s[2:3], s28, v1, v[3:4]
	v_cmp_gt_u32_e32 vcc, v1, v0
                                        ; implicit-def: $vgpr11
	v_mad_u64_u32 v[4:5], s[2:3], s29, v1, v[4:5]
	v_cmp_gt_i32_e64 s[2:3], s82, v1
	s_and_b64 s[2:3], vcc, s[2:3]
	s_and_b64 s[2:3], s[0:1], s[2:3]
	s_xor_b64 s[2:3], s[2:3], -1
	s_and_saveexec_b64 s[10:11], s[2:3]
	s_xor_b64 s[2:3], exec, s[10:11]
	s_cbranch_execz .LBB100_52
; %bb.47:
	v_cmp_ne_u32_e32 vcc, v0, v1
	s_xor_b64 s[0:1], s[0:1], -1
	s_or_b64 s[10:11], s[0:1], vcc
	s_mov_b64 s[0:1], s[8:9]
	s_and_saveexec_b64 s[12:13], s[10:11]
	s_xor_b64 s[10:11], exec, s[12:13]
; %bb.48:
	v_or_b32_e32 v3, v1, v0
	v_cmp_gt_u32_e32 vcc, 64, v3
	s_andn2_b64 s[0:1], s[8:9], exec
	s_and_b64 s[12:13], vcc, exec
	s_or_b64 s[0:1], s[0:1], s[12:13]
                                        ; implicit-def: $vgpr3_vgpr4
; %bb.49:
	s_or_saveexec_b64 s[10:11], s[10:11]
	v_mov_b32_e32 v11, 0
	s_xor_b64 exec, exec, s[10:11]
	s_cbranch_execz .LBB100_51
; %bb.50:
	v_lshlrev_b64 v[3:4], 2, v[3:4]
	v_mov_b32_e32 v1, s84
	v_add_co_u32_e32 v3, vcc, s83, v3
	v_addc_co_u32_e32 v4, vcc, v1, v4, vcc
	flat_load_dword v1, v[3:4]
	s_or_b64 s[0:1], s[0:1], exec
	s_waitcnt vmcnt(0) lgkmcnt(0)
	v_div_scale_f32 v3, s[12:13], v1, v1, 1.0
	v_div_scale_f32 v4, vcc, 1.0, v1, 1.0
	v_rcp_f32_e32 v5, v3
	v_fma_f32 v6, -v3, v5, 1.0
	v_fmac_f32_e32 v5, v6, v5
	v_mul_f32_e32 v6, v4, v5
	v_fma_f32 v11, -v3, v6, v4
	v_fmac_f32_e32 v6, v11, v5
	v_fma_f32 v3, -v3, v6, v4
	v_div_fmas_f32 v3, v3, v5, v6
	v_div_fixup_f32 v11, v3, v1, 1.0
	v_mov_b32_e32 v1, v0
.LBB100_51:
	s_or_b64 exec, exec, s[10:11]
	s_andn2_b64 s[8:9], s[8:9], exec
	s_and_b64 s[0:1], s[0:1], exec
	s_or_b64 s[8:9], s[8:9], s[0:1]
                                        ; implicit-def: $vgpr3_vgpr4
.LBB100_52:
	s_andn2_saveexec_b64 s[0:1], s[2:3]
	s_cbranch_execz .LBB100_54
; %bb.53:
	v_lshlrev_b64 v[3:4], 2, v[3:4]
	v_mov_b32_e32 v5, s84
	v_add_co_u32_e32 v3, vcc, s83, v3
	v_addc_co_u32_e32 v4, vcc, v5, v4, vcc
	flat_load_dword v3, v[3:4]
	s_or_b64 s[8:9], s[8:9], exec
	s_waitcnt vmcnt(0) lgkmcnt(0)
	v_xor_b32_e32 v11, 0x80000000, v3
.LBB100_54:
	s_or_b64 exec, exec, s[0:1]
.LBB100_55:
	s_and_saveexec_b64 s[0:1], s[8:9]
; %bb.56:
	v_lshlrev_b32_e32 v3, 2, v0
	v_lshl_add_u32 v1, v1, 8, v3
	ds_write_b32 v1, v11
; %bb.57:
	s_or_b64 exec, exec, s[0:1]
	s_cmp_lt_i32 s6, 5
	s_cselect_b64 s[0:1], -1, 0
	s_or_b64 s[34:35], s[0:1], s[18:19]
	s_and_b64 vcc, exec, s[34:35]
	s_waitcnt vmcnt(0) lgkmcnt(0)
	s_barrier
	s_cbranch_vccnz .LBB100_1033
; %bb.58:
	v_or_b32_e32 v1, v0, v2
	v_cmp_eq_u32_e32 vcc, 0, v1
	s_and_saveexec_b64 s[0:1], vcc
	s_cbranch_execz .LBB100_60
; %bb.59:
	v_mov_b32_e32 v1, 0
	ds_read_b64 v[3:4], v1 offset:16376
	ds_read_b32 v5, v1 offset:16120
	s_waitcnt lgkmcnt(0)
	v_mul_f32_e32 v4, v5, v4
	v_mul_f32_e32 v3, v3, v4
	ds_write_b32 v1, v3 offset:16376
.LBB100_60:
	s_or_b64 exec, exec, s[0:1]
	v_lshlrev_b32_e32 v3, 6, v2
	v_add_u32_e32 v5, v3, v0
	v_and_b32_e32 v4, v3, v0
	v_xor_b32_e32 v3, v3, v0
	v_lshrrev_b16_e32 v3, 1, v3
	v_add_u16_e32 v4, v4, v3
	v_and_b32_e32 v1, 1, v0
	v_sub_u32_e32 v3, 1, v4
	v_cmp_lt_u32_e64 s[2:3], 3, v5
	v_cmp_gt_u32_e64 s[0:1], 4, v5
	v_mov_b32_e32 v6, 0
	s_waitcnt lgkmcnt(0)
	s_barrier
	buffer_wbinvl1_vol
	s_and_saveexec_b64 s[10:11], s[0:1]
	s_cbranch_execz .LBB100_64
; %bb.61:
	v_lshlrev_b32_e32 v6, 8, v3
	v_lshlrev_b32_e32 v11, 2, v1
	ds_read_b32 v12, v11 offset:16112
	ds_read_b32 v6, v6 offset:16120
	v_mov_b32_e32 v11, 0
	v_cmp_gt_u32_e64 s[8:9], 2, v5
	s_waitcnt lgkmcnt(0)
	v_fma_f32 v6, v12, v6, 0
	s_and_saveexec_b64 s[12:13], s[8:9]
	s_cbranch_execz .LBB100_63
; %bb.62:
	v_lshlrev_b32_e32 v12, 2, v0
	ds_read_b32 v12, v12 offset:16368
	ds_read_b32 v11, v11 offset:16380
	s_waitcnt lgkmcnt(0)
	v_fmac_f32_e32 v6, v12, v11
.LBB100_63:
	s_or_b64 exec, exec, s[12:13]
.LBB100_64:
	s_or_b64 exec, exec, s[10:11]
	v_mov_b32_e32 v11, 0x4000
	v_cmp_ne_u32_e64 s[8:9], 0, v1
	s_xor_b64 s[10:11], s[2:3], -1
	v_lshl_add_u32 v4, v4, 2, v11
	s_and_b64 s[38:39], s[8:9], s[10:11]
	s_and_saveexec_b64 s[2:3], s[38:39]
	s_cbranch_execz .LBB100_66
; %bb.65:
	v_mov_b32_e32 v11, 0
	ds_read_b32 v11, v11 offset:15860
	s_waitcnt lgkmcnt(0)
	v_mul_f32_e32 v6, v6, v11
	v_xor_b32_e32 v11, 0x80000000, v6
	ds_write_b32 v4, v11
.LBB100_66:
	s_or_b64 exec, exec, s[2:3]
	v_cmp_eq_u32_e64 s[2:3], 0, v1
	s_and_b64 s[36:37], s[2:3], s[10:11]
	s_waitcnt lgkmcnt(0)
	s_barrier
	s_and_saveexec_b64 s[2:3], s[36:37]
	s_cbranch_execz .LBB100_68
; %bb.67:
	v_mov_b32_e32 v11, 0
	ds_read_b32 v11, v11 offset:15856
	ds_read_b32 v12, v4
	s_waitcnt lgkmcnt(0)
	v_fma_f32 v6, -v11, v12, v6
.LBB100_68:
	s_or_b64 exec, exec, s[2:3]
	s_barrier
	s_and_saveexec_b64 s[2:3], s[36:37]
	s_cbranch_execz .LBB100_70
; %bb.69:
	v_mov_b32_e32 v11, 0
	ds_read_b32 v11, v11 offset:15600
	s_waitcnt lgkmcnt(0)
	v_mul_f32_e32 v6, v6, v11
	v_xor_b32_e32 v11, 0x80000000, v6
	ds_write_b32 v4, v11
.LBB100_70:
	s_or_b64 exec, exec, s[2:3]
	s_waitcnt lgkmcnt(0)
	s_barrier
	s_barrier
	s_and_saveexec_b64 s[2:3], s[0:1]
; %bb.71:
	v_lshlrev_b32_e32 v11, 2, v1
	v_lshl_or_b32 v11, v3, 8, v11
	ds_write_b32 v11, v6 offset:16112
; %bb.72:
	s_or_b64 exec, exec, s[2:3]
	s_waitcnt lgkmcnt(0)
	s_barrier
	s_barrier
	s_and_saveexec_b64 s[2:3], vcc
	s_cbranch_execz .LBB100_74
; %bb.73:
	v_mov_b32_e32 v6, 0
	ds_read_b64 v[11:12], v6 offset:15856
	ds_read_b32 v13, v6 offset:15600
	s_waitcnt lgkmcnt(0)
	v_mul_f32_e32 v12, v13, v12
	v_mul_f32_e32 v11, v11, v12
	ds_write_b32 v6, v11 offset:15856
.LBB100_74:
	s_or_b64 exec, exec, s[2:3]
	v_lshrrev_b32_e32 v12, 2, v5
	v_and_b32_e32 v6, 3, v0
	v_sub_u32_e32 v11, 3, v12
	v_cmp_lt_u32_e64 s[8:9], 15, v5
	v_cmp_gt_u32_e64 s[2:3], 16, v5
	v_mov_b32_e32 v13, 0
	s_waitcnt lgkmcnt(0)
	s_barrier
	buffer_wbinvl1_vol
	s_and_saveexec_b64 s[12:13], s[2:3]
	s_cbranch_execz .LBB100_80
; %bb.75:
	v_lshlrev_b32_e32 v15, 2, v6
	v_lshlrev_b32_e32 v14, 8, v11
	ds_read_b32 v13, v15 offset:15584
	ds_read_b32 v16, v14 offset:15600
	v_cmp_gt_u32_e64 s[10:11], 12, v5
	s_waitcnt lgkmcnt(0)
	v_fma_f32 v13, v13, v16, 0
	s_and_saveexec_b64 s[14:15], s[10:11]
	s_cbranch_execnz .LBB100_1143
; %bb.76:
	s_or_b64 exec, exec, s[14:15]
	v_cmp_gt_u32_e64 s[10:11], 8, v5
	s_and_saveexec_b64 s[14:15], s[10:11]
	s_cbranch_execnz .LBB100_1144
.LBB100_77:
	s_or_b64 exec, exec, s[14:15]
	v_cmp_gt_u32_e64 s[10:11], 4, v5
	s_and_saveexec_b64 s[14:15], s[10:11]
	s_cbranch_execz .LBB100_79
.LBB100_78:
	v_lshlrev_b32_e32 v14, 2, v0
	v_mov_b32_e32 v15, 0
	ds_read_b32 v14, v14 offset:16352
	ds_read_b32 v15, v15 offset:16380
	s_waitcnt lgkmcnt(0)
	v_fmac_f32_e32 v13, v14, v15
.LBB100_79:
	s_or_b64 exec, exec, s[14:15]
.LBB100_80:
                                        ; implicit-def: $vgpr27 : SGPR spill to VGPR lane
	v_writelane_b32 v27, s43, 0
	s_or_b64 exec, exec, s[12:13]
	v_mov_b32_e32 v14, 0x4000
	v_cmp_eq_u32_e64 s[10:11], 3, v6
	s_xor_b64 s[12:13], s[8:9], -1
	v_lshl_add_u32 v12, v12, 2, v14
	s_and_b64 s[42:43], s[10:11], s[12:13]
	s_and_saveexec_b64 s[8:9], s[42:43]
	s_cbranch_execz .LBB100_82
; %bb.81:
	v_mov_b32_e32 v14, 0
	ds_read_b32 v14, v14 offset:15340
	s_waitcnt lgkmcnt(0)
	v_mul_f32_e32 v13, v13, v14
	v_xor_b32_e32 v14, 0x80000000, v13
	ds_write_b32 v12, v14
.LBB100_82:
	s_or_b64 exec, exec, s[8:9]
	v_cmp_ne_u32_e64 s[8:9], 3, v6
	s_and_b64 s[44:45], s[8:9], s[12:13]
	s_waitcnt lgkmcnt(0)
	s_barrier
	s_and_saveexec_b64 s[8:9], s[44:45]
	s_cbranch_execz .LBB100_84
; %bb.83:
	v_lshlrev_b32_e32 v14, 2, v6
	ds_read_b32 v14, v14 offset:15328
	ds_read_b32 v15, v12
	s_waitcnt lgkmcnt(0)
	v_fma_f32 v13, -v14, v15, v13
.LBB100_84:
	s_or_b64 exec, exec, s[8:9]
	v_cmp_eq_u32_e64 s[8:9], 2, v6
	s_and_b64 s[46:47], s[8:9], s[12:13]
	s_barrier
	s_and_saveexec_b64 s[8:9], s[46:47]
	s_cbranch_execz .LBB100_86
; %bb.85:
	v_mov_b32_e32 v14, 0
	ds_read_b32 v14, v14 offset:15080
	s_waitcnt lgkmcnt(0)
	v_mul_f32_e32 v13, v13, v14
	v_xor_b32_e32 v14, 0x80000000, v13
	ds_write_b32 v12, v14
.LBB100_86:
	s_or_b64 exec, exec, s[8:9]
	v_cmp_gt_u32_e64 s[8:9], 2, v6
	s_and_b64 s[48:49], s[8:9], s[12:13]
	s_waitcnt lgkmcnt(0)
	s_barrier
	s_and_saveexec_b64 s[8:9], s[48:49]
	s_cbranch_execz .LBB100_88
; %bb.87:
	v_lshlrev_b32_e32 v14, 2, v6
	ds_read_b32 v14, v14 offset:15072
	ds_read_b32 v15, v12
	s_waitcnt lgkmcnt(0)
	v_fma_f32 v13, -v14, v15, v13
.LBB100_88:
	s_or_b64 exec, exec, s[8:9]
	v_cmp_eq_u32_e64 s[8:9], 1, v6
	s_and_b64 s[50:51], s[8:9], s[12:13]
	s_barrier
	s_and_saveexec_b64 s[8:9], s[50:51]
	s_cbranch_execz .LBB100_90
; %bb.89:
	v_mov_b32_e32 v14, 0
	ds_read_b32 v14, v14 offset:14820
	s_waitcnt lgkmcnt(0)
	v_mul_f32_e32 v13, v13, v14
	v_xor_b32_e32 v14, 0x80000000, v13
	ds_write_b32 v12, v14
.LBB100_90:
	s_or_b64 exec, exec, s[8:9]
	v_cmp_eq_u32_e64 s[8:9], 0, v6
	s_and_b64 s[40:41], s[8:9], s[12:13]
	s_waitcnt lgkmcnt(0)
	s_barrier
	s_and_saveexec_b64 s[8:9], s[40:41]
	s_cbranch_execz .LBB100_92
; %bb.91:
	v_mov_b32_e32 v14, 0
	ds_read_b32 v14, v14 offset:14816
	ds_read_b32 v15, v12
	s_waitcnt lgkmcnt(0)
	v_fma_f32 v13, -v14, v15, v13
.LBB100_92:
	s_or_b64 exec, exec, s[8:9]
	s_barrier
	s_and_saveexec_b64 s[8:9], s[40:41]
	s_cbranch_execz .LBB100_94
; %bb.93:
	v_mov_b32_e32 v14, 0
	ds_read_b32 v14, v14 offset:14560
	s_waitcnt lgkmcnt(0)
	v_mul_f32_e32 v13, v13, v14
	v_xor_b32_e32 v14, 0x80000000, v13
	ds_write_b32 v12, v14
.LBB100_94:
	s_or_b64 exec, exec, s[8:9]
	s_waitcnt lgkmcnt(0)
	s_barrier
	s_barrier
	s_and_saveexec_b64 s[8:9], s[2:3]
; %bb.95:
	v_lshlrev_b32_e32 v14, 2, v6
	v_lshl_or_b32 v14, v11, 8, v14
	ds_write_b32 v14, v13 offset:15584
; %bb.96:
	s_or_b64 exec, exec, s[8:9]
	s_waitcnt lgkmcnt(0)
	s_barrier
	s_barrier
	s_and_saveexec_b64 s[8:9], vcc
	s_cbranch_execz .LBB100_98
; %bb.97:
	v_mov_b32_e32 v15, 0
	ds_read_b64 v[13:14], v15 offset:15336
	ds_read_b32 v16, v15 offset:15080
	s_waitcnt lgkmcnt(0)
	v_mul_f32_e32 v14, v16, v14
	v_mul_f32_e32 v13, v13, v14
	ds_write_b32 v15, v13 offset:15336
.LBB100_98:
	s_or_b64 exec, exec, s[8:9]
	v_mov_b32_e32 v13, 0
	s_waitcnt lgkmcnt(0)
	s_barrier
	buffer_wbinvl1_vol
	s_and_saveexec_b64 s[10:11], s[0:1]
	s_cbranch_execz .LBB100_102
; %bb.99:
	v_lshlrev_b32_e32 v13, 8, v3
	v_lshlrev_b32_e32 v14, 2, v1
	ds_read_b32 v15, v14 offset:15072
	ds_read_b32 v13, v13 offset:15080
	v_mov_b32_e32 v14, 0
	v_cmp_gt_u32_e64 s[8:9], 2, v5
	s_waitcnt lgkmcnt(0)
	v_fma_f32 v13, v15, v13, 0
	s_and_saveexec_b64 s[12:13], s[8:9]
	s_cbranch_execz .LBB100_101
; %bb.100:
	v_lshlrev_b32_e32 v15, 2, v0
	ds_read_b32 v15, v15 offset:15328
	ds_read_b32 v14, v14 offset:15340
	s_waitcnt lgkmcnt(0)
	v_fmac_f32_e32 v13, v15, v14
.LBB100_101:
	s_or_b64 exec, exec, s[12:13]
.LBB100_102:
	s_or_b64 exec, exec, s[10:11]
	s_and_saveexec_b64 s[8:9], s[38:39]
	s_cbranch_execz .LBB100_104
; %bb.103:
	v_mov_b32_e32 v14, 0
	ds_read_b32 v14, v14 offset:14820
	s_waitcnt lgkmcnt(0)
	v_mul_f32_e32 v13, v13, v14
	v_xor_b32_e32 v14, 0x80000000, v13
	ds_write_b32 v4, v14
.LBB100_104:
	s_or_b64 exec, exec, s[8:9]
	s_waitcnt lgkmcnt(0)
	s_barrier
	s_and_saveexec_b64 s[8:9], s[36:37]
	s_cbranch_execz .LBB100_106
; %bb.105:
	v_mov_b32_e32 v14, 0
	ds_read_b32 v14, v14 offset:14816
	ds_read_b32 v15, v4
	s_waitcnt lgkmcnt(0)
	v_fma_f32 v13, -v14, v15, v13
.LBB100_106:
	s_or_b64 exec, exec, s[8:9]
	s_barrier
	s_and_saveexec_b64 s[8:9], s[36:37]
	s_cbranch_execz .LBB100_108
; %bb.107:
	v_mov_b32_e32 v14, 0
	ds_read_b32 v14, v14 offset:14560
	s_waitcnt lgkmcnt(0)
	v_mul_f32_e32 v13, v13, v14
	v_xor_b32_e32 v14, 0x80000000, v13
	ds_write_b32 v4, v14
.LBB100_108:
	s_or_b64 exec, exec, s[8:9]
	s_waitcnt lgkmcnt(0)
	s_barrier
	s_barrier
	s_and_saveexec_b64 s[8:9], s[0:1]
; %bb.109:
	v_lshlrev_b32_e32 v14, 2, v1
	v_lshl_or_b32 v14, v3, 8, v14
	ds_write_b32 v14, v13 offset:15072
; %bb.110:
	s_or_b64 exec, exec, s[8:9]
	s_waitcnt lgkmcnt(0)
	s_barrier
	s_barrier
	s_and_saveexec_b64 s[8:9], vcc
	s_cbranch_execz .LBB100_112
; %bb.111:
	v_mov_b32_e32 v15, 0
	ds_read_b64 v[13:14], v15 offset:14816
	ds_read_b32 v16, v15 offset:14560
	s_waitcnt lgkmcnt(0)
	v_mul_f32_e32 v14, v16, v14
	v_mul_f32_e32 v13, v13, v14
	ds_write_b32 v15, v13 offset:14816
.LBB100_112:
	s_or_b64 exec, exec, s[8:9]
	v_lshrrev_b32_e32 v15, 3, v5
	v_and_b32_e32 v13, 7, v0
	v_sub_u32_e32 v14, 7, v15
	v_cmp_lt_u32_e64 s[8:9], 63, v5
	v_cmp_gt_u32_e64 s[14:15], 64, v5
	v_mov_b32_e32 v16, 0
	s_waitcnt lgkmcnt(0)
	s_barrier
	buffer_wbinvl1_vol
	s_and_saveexec_b64 s[12:13], s[14:15]
	s_cbranch_execz .LBB100_122
; %bb.113:
	v_lshlrev_b32_e32 v18, 2, v13
	v_lshlrev_b32_e32 v17, 8, v14
	ds_read_b32 v16, v18 offset:14528
	ds_read_b32 v19, v17 offset:14560
	v_cmp_gt_u32_e64 s[10:11], 56, v5
	s_waitcnt lgkmcnt(0)
	v_fma_f32 v16, v16, v19, 0
	s_and_saveexec_b64 s[16:17], s[10:11]
	s_cbranch_execnz .LBB100_1145
; %bb.114:
	s_or_b64 exec, exec, s[16:17]
	v_cmp_gt_u32_e64 s[10:11], 48, v5
	s_and_saveexec_b64 s[16:17], s[10:11]
	s_cbranch_execnz .LBB100_1146
.LBB100_115:
	s_or_b64 exec, exec, s[16:17]
	v_cmp_gt_u32_e64 s[10:11], 40, v5
	s_and_saveexec_b64 s[16:17], s[10:11]
	s_cbranch_execnz .LBB100_1147
.LBB100_116:
	s_or_b64 exec, exec, s[16:17]
	v_cmp_gt_u32_e64 s[10:11], 32, v5
	s_and_saveexec_b64 s[16:17], s[10:11]
	s_cbranch_execnz .LBB100_1148
.LBB100_117:
	s_or_b64 exec, exec, s[16:17]
	v_cmp_gt_u32_e64 s[10:11], 24, v5
	s_and_saveexec_b64 s[16:17], s[10:11]
	s_cbranch_execnz .LBB100_1149
.LBB100_118:
	s_or_b64 exec, exec, s[16:17]
	s_and_saveexec_b64 s[10:11], s[2:3]
	s_cbranch_execnz .LBB100_1150
.LBB100_119:
	s_or_b64 exec, exec, s[10:11]
	v_cmp_gt_u32_e64 s[10:11], 8, v5
	s_and_saveexec_b64 s[16:17], s[10:11]
	s_cbranch_execz .LBB100_121
.LBB100_120:
	v_lshlrev_b32_e32 v17, 2, v0
	v_mov_b32_e32 v18, 0
	ds_read_b32 v17, v17 offset:16320
	ds_read_b32 v18, v18 offset:16380
	s_waitcnt lgkmcnt(0)
	v_fmac_f32_e32 v16, v17, v18
.LBB100_121:
	s_or_b64 exec, exec, s[16:17]
.LBB100_122:
	v_writelane_b32 v27, s52, 1
	s_or_b64 exec, exec, s[12:13]
	v_mov_b32_e32 v17, 0x4000
	v_cmp_eq_u32_e64 s[10:11], 7, v13
	s_xor_b64 s[12:13], s[8:9], -1
	v_lshl_add_u32 v15, v15, 2, v17
	s_and_b64 s[52:53], s[10:11], s[12:13]
	s_and_saveexec_b64 s[8:9], s[52:53]
	s_cbranch_execz .LBB100_124
; %bb.123:
	v_mov_b32_e32 v17, 0
	ds_read_b32 v17, v17 offset:14300
	s_waitcnt lgkmcnt(0)
	v_mul_f32_e32 v16, v16, v17
	v_xor_b32_e32 v17, 0x80000000, v16
	ds_write_b32 v15, v17
.LBB100_124:
	s_or_b64 exec, exec, s[8:9]
	v_cmp_ne_u32_e64 s[8:9], 7, v13
	s_and_b64 s[54:55], s[8:9], s[12:13]
	s_waitcnt lgkmcnt(0)
	s_barrier
	s_and_saveexec_b64 s[8:9], s[54:55]
	s_cbranch_execz .LBB100_126
; %bb.125:
	v_lshlrev_b32_e32 v17, 2, v13
	ds_read_b32 v17, v17 offset:14272
	ds_read_b32 v18, v15
	s_waitcnt lgkmcnt(0)
	v_fma_f32 v16, -v17, v18, v16
.LBB100_126:
	s_or_b64 exec, exec, s[8:9]
	v_cmp_eq_u32_e64 s[8:9], 6, v13
	s_and_b64 s[56:57], s[8:9], s[12:13]
	s_barrier
	s_and_saveexec_b64 s[8:9], s[56:57]
	s_cbranch_execz .LBB100_128
; %bb.127:
	v_mov_b32_e32 v17, 0
	ds_read_b32 v17, v17 offset:14040
	s_waitcnt lgkmcnt(0)
	v_mul_f32_e32 v16, v16, v17
	v_xor_b32_e32 v17, 0x80000000, v16
	ds_write_b32 v15, v17
.LBB100_128:
	s_or_b64 exec, exec, s[8:9]
	v_cmp_gt_u32_e64 s[8:9], 6, v13
	s_and_b64 s[58:59], s[8:9], s[12:13]
	s_waitcnt lgkmcnt(0)
	s_barrier
	s_and_saveexec_b64 s[8:9], s[58:59]
	s_cbranch_execz .LBB100_130
; %bb.129:
	v_lshlrev_b32_e32 v17, 2, v13
	ds_read_b32 v17, v17 offset:14016
	ds_read_b32 v18, v15
	s_waitcnt lgkmcnt(0)
	v_fma_f32 v16, -v17, v18, v16
.LBB100_130:
	s_or_b64 exec, exec, s[8:9]
	v_cmp_eq_u32_e64 s[8:9], 5, v13
	s_and_b64 s[60:61], s[8:9], s[12:13]
	s_barrier
	s_and_saveexec_b64 s[8:9], s[60:61]
	s_cbranch_execz .LBB100_132
; %bb.131:
	v_mov_b32_e32 v17, 0
	ds_read_b32 v17, v17 offset:13780
	s_waitcnt lgkmcnt(0)
	v_mul_f32_e32 v16, v16, v17
	v_xor_b32_e32 v17, 0x80000000, v16
	ds_write_b32 v15, v17
.LBB100_132:
	s_or_b64 exec, exec, s[8:9]
	v_cmp_gt_u32_e64 s[8:9], 5, v13
	;; [unrolled: 28-line block ×5, first 2 shown]
	s_and_b64 s[76:77], s[8:9], s[12:13]
	s_waitcnt lgkmcnt(0)
	s_barrier
	s_and_saveexec_b64 s[8:9], s[76:77]
	s_cbranch_execz .LBB100_146
; %bb.145:
	v_lshlrev_b32_e32 v17, 2, v13
	ds_read_b32 v17, v17 offset:12992
	ds_read_b32 v18, v15
	s_waitcnt lgkmcnt(0)
	v_fma_f32 v16, -v17, v18, v16
.LBB100_146:
	s_or_b64 exec, exec, s[8:9]
	v_cmp_eq_u32_e64 s[8:9], 1, v13
	s_and_b64 s[78:79], s[8:9], s[12:13]
	s_barrier
	s_and_saveexec_b64 s[8:9], s[78:79]
	s_cbranch_execz .LBB100_148
; %bb.147:
	v_mov_b32_e32 v17, 0
	ds_read_b32 v17, v17 offset:12740
	s_waitcnt lgkmcnt(0)
	v_mul_f32_e32 v16, v16, v17
	v_xor_b32_e32 v17, 0x80000000, v16
	ds_write_b32 v15, v17
.LBB100_148:
	s_or_b64 exec, exec, s[8:9]
	v_cmp_eq_u32_e64 s[8:9], 0, v13
	s_and_b64 s[62:63], s[8:9], s[12:13]
	s_waitcnt lgkmcnt(0)
	s_barrier
	s_and_saveexec_b64 s[8:9], s[62:63]
	s_cbranch_execz .LBB100_150
; %bb.149:
	v_mov_b32_e32 v17, 0
	ds_read_b32 v17, v17 offset:12736
	ds_read_b32 v18, v15
	s_waitcnt lgkmcnt(0)
	v_fma_f32 v16, -v17, v18, v16
.LBB100_150:
	s_or_b64 exec, exec, s[8:9]
	s_barrier
	s_and_saveexec_b64 s[8:9], s[62:63]
	s_cbranch_execz .LBB100_152
; %bb.151:
	v_mov_b32_e32 v17, 0
	ds_read_b32 v17, v17 offset:12480
	s_waitcnt lgkmcnt(0)
	v_mul_f32_e32 v16, v16, v17
	v_xor_b32_e32 v17, 0x80000000, v16
	ds_write_b32 v15, v17
.LBB100_152:
	s_or_b64 exec, exec, s[8:9]
	s_waitcnt lgkmcnt(0)
	s_barrier
	s_barrier
	s_and_saveexec_b64 s[8:9], s[14:15]
; %bb.153:
	v_lshlrev_b32_e32 v17, 2, v13
	v_lshl_or_b32 v17, v14, 8, v17
	ds_write_b32 v17, v16 offset:14528
; %bb.154:
	s_or_b64 exec, exec, s[8:9]
	s_waitcnt lgkmcnt(0)
	s_barrier
	s_barrier
	s_and_saveexec_b64 s[8:9], vcc
	s_cbranch_execz .LBB100_156
; %bb.155:
	v_mov_b32_e32 v18, 0
	ds_read_b64 v[16:17], v18 offset:14296
	ds_read_b32 v19, v18 offset:14040
	s_waitcnt lgkmcnt(0)
	v_mul_f32_e32 v17, v19, v17
	v_mul_f32_e32 v16, v16, v17
	ds_write_b32 v18, v16 offset:14296
.LBB100_156:
	s_or_b64 exec, exec, s[8:9]
	v_mov_b32_e32 v16, 0
	s_waitcnt lgkmcnt(0)
	s_barrier
	buffer_wbinvl1_vol
	s_and_saveexec_b64 s[10:11], s[0:1]
	s_cbranch_execz .LBB100_160
; %bb.157:
	v_lshlrev_b32_e32 v16, 8, v3
	v_lshlrev_b32_e32 v17, 2, v1
	ds_read_b32 v18, v17 offset:14032
	ds_read_b32 v16, v16 offset:14040
	v_mov_b32_e32 v17, 0
	v_cmp_gt_u32_e64 s[8:9], 2, v5
	s_waitcnt lgkmcnt(0)
	v_fma_f32 v16, v18, v16, 0
	s_and_saveexec_b64 s[12:13], s[8:9]
	s_cbranch_execz .LBB100_159
; %bb.158:
	v_lshlrev_b32_e32 v18, 2, v0
	ds_read_b32 v18, v18 offset:14288
	ds_read_b32 v17, v17 offset:14300
	s_waitcnt lgkmcnt(0)
	v_fmac_f32_e32 v16, v18, v17
.LBB100_159:
	s_or_b64 exec, exec, s[12:13]
.LBB100_160:
	s_or_b64 exec, exec, s[10:11]
	s_and_saveexec_b64 s[8:9], s[38:39]
	s_cbranch_execz .LBB100_162
; %bb.161:
	v_mov_b32_e32 v17, 0
	ds_read_b32 v17, v17 offset:13780
	s_waitcnt lgkmcnt(0)
	v_mul_f32_e32 v16, v16, v17
	v_xor_b32_e32 v17, 0x80000000, v16
	ds_write_b32 v4, v17
.LBB100_162:
	s_or_b64 exec, exec, s[8:9]
	s_waitcnt lgkmcnt(0)
	s_barrier
	s_and_saveexec_b64 s[8:9], s[36:37]
	s_cbranch_execz .LBB100_164
; %bb.163:
	v_mov_b32_e32 v17, 0
	ds_read_b32 v17, v17 offset:13776
	ds_read_b32 v18, v4
	s_waitcnt lgkmcnt(0)
	v_fma_f32 v16, -v17, v18, v16
.LBB100_164:
	s_or_b64 exec, exec, s[8:9]
	s_barrier
	s_and_saveexec_b64 s[8:9], s[36:37]
	s_cbranch_execz .LBB100_166
; %bb.165:
	v_mov_b32_e32 v17, 0
	ds_read_b32 v17, v17 offset:13520
	s_waitcnt lgkmcnt(0)
	v_mul_f32_e32 v16, v16, v17
	v_xor_b32_e32 v17, 0x80000000, v16
	ds_write_b32 v4, v17
.LBB100_166:
	s_or_b64 exec, exec, s[8:9]
	s_waitcnt lgkmcnt(0)
	s_barrier
	s_barrier
	s_and_saveexec_b64 s[8:9], s[0:1]
; %bb.167:
	v_lshlrev_b32_e32 v17, 2, v1
	v_lshl_or_b32 v17, v3, 8, v17
	ds_write_b32 v17, v16 offset:14032
; %bb.168:
	s_or_b64 exec, exec, s[8:9]
	s_waitcnt lgkmcnt(0)
	s_barrier
	s_barrier
	s_and_saveexec_b64 s[8:9], vcc
	s_cbranch_execz .LBB100_170
; %bb.169:
	v_mov_b32_e32 v18, 0
	ds_read_b64 v[16:17], v18 offset:13776
	ds_read_b32 v19, v18 offset:13520
	s_waitcnt lgkmcnt(0)
	v_mul_f32_e32 v17, v19, v17
	v_mul_f32_e32 v16, v16, v17
	ds_write_b32 v18, v16 offset:13776
.LBB100_170:
	s_or_b64 exec, exec, s[8:9]
	v_mov_b32_e32 v16, 0
	s_waitcnt lgkmcnt(0)
	s_barrier
	buffer_wbinvl1_vol
	s_and_saveexec_b64 s[10:11], s[2:3]
	s_cbranch_execz .LBB100_176
; %bb.171:
	v_lshlrev_b32_e32 v18, 2, v6
	v_lshlrev_b32_e32 v17, 8, v11
	ds_read_b32 v16, v18 offset:13504
	ds_read_b32 v19, v17 offset:13520
	v_cmp_gt_u32_e64 s[8:9], 12, v5
	s_waitcnt lgkmcnt(0)
	v_fma_f32 v16, v16, v19, 0
	s_and_saveexec_b64 s[12:13], s[8:9]
	s_cbranch_execnz .LBB100_1151
; %bb.172:
	s_or_b64 exec, exec, s[12:13]
	v_cmp_gt_u32_e64 s[8:9], 8, v5
	s_and_saveexec_b64 s[12:13], s[8:9]
	s_cbranch_execnz .LBB100_1152
.LBB100_173:
	s_or_b64 exec, exec, s[12:13]
	v_cmp_gt_u32_e64 s[8:9], 4, v5
	s_and_saveexec_b64 s[12:13], s[8:9]
	s_cbranch_execz .LBB100_175
.LBB100_174:
	v_lshlrev_b32_e32 v17, 2, v0
	v_mov_b32_e32 v18, 0
	ds_read_b32 v17, v17 offset:14272
	ds_read_b32 v18, v18 offset:14300
	s_waitcnt lgkmcnt(0)
	v_fmac_f32_e32 v16, v17, v18
.LBB100_175:
	s_or_b64 exec, exec, s[12:13]
.LBB100_176:
	s_or_b64 exec, exec, s[10:11]
	s_and_saveexec_b64 s[8:9], s[42:43]
	s_cbranch_execz .LBB100_178
; %bb.177:
	v_mov_b32_e32 v17, 0
	ds_read_b32 v17, v17 offset:13260
	s_waitcnt lgkmcnt(0)
	v_mul_f32_e32 v16, v16, v17
	v_xor_b32_e32 v17, 0x80000000, v16
	ds_write_b32 v12, v17
.LBB100_178:
	s_or_b64 exec, exec, s[8:9]
	s_waitcnt lgkmcnt(0)
	s_barrier
	s_and_saveexec_b64 s[8:9], s[44:45]
	s_cbranch_execz .LBB100_180
; %bb.179:
	v_lshlrev_b32_e32 v17, 2, v6
	ds_read_b32 v17, v17 offset:13248
	ds_read_b32 v18, v12
	s_waitcnt lgkmcnt(0)
	v_fma_f32 v16, -v17, v18, v16
.LBB100_180:
	s_or_b64 exec, exec, s[8:9]
	s_barrier
	s_and_saveexec_b64 s[8:9], s[46:47]
	s_cbranch_execz .LBB100_182
; %bb.181:
	v_mov_b32_e32 v17, 0
	ds_read_b32 v17, v17 offset:13000
	s_waitcnt lgkmcnt(0)
	v_mul_f32_e32 v16, v16, v17
	v_xor_b32_e32 v17, 0x80000000, v16
	ds_write_b32 v12, v17
.LBB100_182:
	s_or_b64 exec, exec, s[8:9]
	s_waitcnt lgkmcnt(0)
	s_barrier
	s_and_saveexec_b64 s[8:9], s[48:49]
	s_cbranch_execz .LBB100_184
; %bb.183:
	v_lshlrev_b32_e32 v17, 2, v6
	ds_read_b32 v17, v17 offset:12992
	ds_read_b32 v18, v12
	s_waitcnt lgkmcnt(0)
	v_fma_f32 v16, -v17, v18, v16
.LBB100_184:
	s_or_b64 exec, exec, s[8:9]
	s_barrier
	s_and_saveexec_b64 s[8:9], s[50:51]
	s_cbranch_execz .LBB100_186
; %bb.185:
	v_mov_b32_e32 v17, 0
	ds_read_b32 v17, v17 offset:12740
	s_waitcnt lgkmcnt(0)
	v_mul_f32_e32 v16, v16, v17
	v_xor_b32_e32 v17, 0x80000000, v16
	ds_write_b32 v12, v17
.LBB100_186:
	s_or_b64 exec, exec, s[8:9]
	s_waitcnt lgkmcnt(0)
	s_barrier
	s_and_saveexec_b64 s[8:9], s[40:41]
	s_cbranch_execz .LBB100_188
; %bb.187:
	v_mov_b32_e32 v17, 0
	ds_read_b32 v17, v17 offset:12736
	ds_read_b32 v18, v12
	s_waitcnt lgkmcnt(0)
	v_fma_f32 v16, -v17, v18, v16
.LBB100_188:
	s_or_b64 exec, exec, s[8:9]
	s_barrier
	s_and_saveexec_b64 s[8:9], s[40:41]
	s_cbranch_execz .LBB100_190
; %bb.189:
	v_mov_b32_e32 v17, 0
	ds_read_b32 v17, v17 offset:12480
	s_waitcnt lgkmcnt(0)
	v_mul_f32_e32 v16, v16, v17
	v_xor_b32_e32 v17, 0x80000000, v16
	ds_write_b32 v12, v17
.LBB100_190:
	s_or_b64 exec, exec, s[8:9]
	s_waitcnt lgkmcnt(0)
	s_barrier
	s_barrier
	s_and_saveexec_b64 s[8:9], s[2:3]
; %bb.191:
	v_lshlrev_b32_e32 v17, 2, v6
	v_lshl_or_b32 v17, v11, 8, v17
	ds_write_b32 v17, v16 offset:13504
; %bb.192:
	s_or_b64 exec, exec, s[8:9]
	s_waitcnt lgkmcnt(0)
	s_barrier
	s_barrier
	s_and_saveexec_b64 s[8:9], vcc
	s_cbranch_execz .LBB100_194
; %bb.193:
	v_mov_b32_e32 v18, 0
	ds_read_b64 v[16:17], v18 offset:13256
	ds_read_b32 v19, v18 offset:13000
	s_waitcnt lgkmcnt(0)
	v_mul_f32_e32 v17, v19, v17
	v_mul_f32_e32 v16, v16, v17
	ds_write_b32 v18, v16 offset:13256
.LBB100_194:
	s_or_b64 exec, exec, s[8:9]
	v_mov_b32_e32 v16, 0
	s_waitcnt lgkmcnt(0)
	s_barrier
	buffer_wbinvl1_vol
	s_and_saveexec_b64 s[10:11], s[0:1]
	s_cbranch_execz .LBB100_198
; %bb.195:
	v_lshlrev_b32_e32 v16, 8, v3
	v_lshlrev_b32_e32 v17, 2, v1
	ds_read_b32 v18, v17 offset:12992
	ds_read_b32 v16, v16 offset:13000
	v_mov_b32_e32 v17, 0
	v_cmp_gt_u32_e64 s[8:9], 2, v5
	s_waitcnt lgkmcnt(0)
	v_fma_f32 v16, v18, v16, 0
	s_and_saveexec_b64 s[12:13], s[8:9]
	s_cbranch_execz .LBB100_197
; %bb.196:
	v_lshlrev_b32_e32 v18, 2, v0
	ds_read_b32 v18, v18 offset:13248
	ds_read_b32 v17, v17 offset:13260
	s_waitcnt lgkmcnt(0)
	v_fmac_f32_e32 v16, v18, v17
.LBB100_197:
	s_or_b64 exec, exec, s[12:13]
.LBB100_198:
	s_or_b64 exec, exec, s[10:11]
	s_and_saveexec_b64 s[8:9], s[38:39]
	s_cbranch_execz .LBB100_200
; %bb.199:
	v_mov_b32_e32 v17, 0
	ds_read_b32 v17, v17 offset:12740
	s_waitcnt lgkmcnt(0)
	v_mul_f32_e32 v16, v16, v17
	v_xor_b32_e32 v17, 0x80000000, v16
	ds_write_b32 v4, v17
.LBB100_200:
	s_or_b64 exec, exec, s[8:9]
	s_waitcnt lgkmcnt(0)
	s_barrier
	s_and_saveexec_b64 s[8:9], s[36:37]
	s_cbranch_execz .LBB100_202
; %bb.201:
	v_mov_b32_e32 v17, 0
	ds_read_b32 v17, v17 offset:12736
	ds_read_b32 v18, v4
	s_waitcnt lgkmcnt(0)
	v_fma_f32 v16, -v17, v18, v16
.LBB100_202:
	s_or_b64 exec, exec, s[8:9]
	s_barrier
	s_and_saveexec_b64 s[8:9], s[36:37]
	s_cbranch_execz .LBB100_204
; %bb.203:
	v_mov_b32_e32 v17, 0
	ds_read_b32 v17, v17 offset:12480
	s_waitcnt lgkmcnt(0)
	v_mul_f32_e32 v16, v16, v17
	v_xor_b32_e32 v17, 0x80000000, v16
	ds_write_b32 v4, v17
.LBB100_204:
	s_or_b64 exec, exec, s[8:9]
	s_waitcnt lgkmcnt(0)
	s_barrier
	s_barrier
	s_and_saveexec_b64 s[8:9], s[0:1]
; %bb.205:
	v_lshlrev_b32_e32 v17, 2, v1
	v_lshl_or_b32 v17, v3, 8, v17
	ds_write_b32 v17, v16 offset:12992
; %bb.206:
	s_or_b64 exec, exec, s[8:9]
	s_waitcnt lgkmcnt(0)
	s_barrier
	s_barrier
	s_and_saveexec_b64 s[8:9], vcc
	s_cbranch_execz .LBB100_208
; %bb.207:
	v_mov_b32_e32 v18, 0
	ds_read_b64 v[16:17], v18 offset:12736
	ds_read_b32 v19, v18 offset:12480
	s_waitcnt lgkmcnt(0)
	v_mul_f32_e32 v17, v19, v17
	v_mul_f32_e32 v16, v16, v17
	ds_write_b32 v18, v16 offset:12736
.LBB100_208:
	s_or_b64 exec, exec, s[8:9]
	s_movk_i32 s8, 0xff
	v_lshrrev_b32_e32 v18, 4, v5
	v_cmp_lt_u32_e64 s[10:11], s8, v5
	s_movk_i32 s8, 0x100
	v_and_b32_e32 v16, 15, v0
	v_sub_u32_e32 v17, 15, v18
	v_cmp_gt_u32_e64 s[8:9], s8, v5
	v_mov_b32_e32 v19, 0
	s_waitcnt lgkmcnt(0)
	s_barrier
	buffer_wbinvl1_vol
	s_and_saveexec_b64 s[16:17], s[8:9]
	s_cbranch_execz .LBB100_236
; %bb.209:
	v_lshlrev_b32_e32 v21, 2, v16
	v_lshlrev_b32_e32 v20, 8, v17
	ds_read_b32 v19, v21 offset:12416
	ds_read_b32 v22, v20 offset:12480
	s_movk_i32 s12, 0xf0
	v_cmp_gt_u32_e64 s[12:13], s12, v5
	s_waitcnt lgkmcnt(0)
	v_fma_f32 v19, v19, v22, 0
	s_and_saveexec_b64 s[80:81], s[12:13]
	s_cbranch_execz .LBB100_211
; %bb.210:
	ds_read_b32 v22, v21 offset:12672
	ds_read_b32 v23, v20 offset:12484
	s_waitcnt lgkmcnt(0)
	v_fmac_f32_e32 v19, v22, v23
.LBB100_211:
	s_or_b64 exec, exec, s[80:81]
	s_movk_i32 s12, 0xe0
	v_cmp_gt_u32_e64 s[12:13], s12, v5
	s_and_saveexec_b64 s[80:81], s[12:13]
	s_cbranch_execz .LBB100_213
; %bb.212:
	ds_read_b32 v22, v21 offset:12928
	ds_read_b32 v23, v20 offset:12488
	s_waitcnt lgkmcnt(0)
	v_fmac_f32_e32 v19, v22, v23
.LBB100_213:
	s_or_b64 exec, exec, s[80:81]
	s_movk_i32 s12, 0xd0
	v_cmp_gt_u32_e64 s[12:13], s12, v5
	;; [unrolled: 11-line block ×10, first 2 shown]
	s_and_saveexec_b64 s[80:81], s[12:13]
	s_cbranch_execnz .LBB100_1153
; %bb.230:
	s_or_b64 exec, exec, s[80:81]
	s_and_saveexec_b64 s[12:13], s[14:15]
	s_cbranch_execnz .LBB100_1154
.LBB100_231:
	s_or_b64 exec, exec, s[12:13]
	v_cmp_gt_u32_e64 s[12:13], 48, v5
	s_and_saveexec_b64 s[80:81], s[12:13]
	s_cbranch_execnz .LBB100_1155
.LBB100_232:
	s_or_b64 exec, exec, s[80:81]
	v_cmp_gt_u32_e64 s[12:13], 32, v5
	s_and_saveexec_b64 s[80:81], s[12:13]
	s_cbranch_execnz .LBB100_1156
.LBB100_233:
	s_or_b64 exec, exec, s[80:81]
	v_cmp_gt_u32_e64 s[12:13], 16, v5
	s_and_saveexec_b64 s[80:81], s[12:13]
	s_cbranch_execz .LBB100_235
.LBB100_234:
	v_lshlrev_b32_e32 v20, 2, v0
	v_mov_b32_e32 v21, 0
	ds_read_b32 v20, v20 offset:16256
	ds_read_b32 v21, v21 offset:16380
	s_waitcnt lgkmcnt(0)
	v_fmac_f32_e32 v19, v20, v21
.LBB100_235:
	s_or_b64 exec, exec, s[80:81]
.LBB100_236:
	s_or_b64 exec, exec, s[16:17]
	v_mov_b32_e32 v20, 0x4000
	v_lshl_add_u32 v18, v18, 2, v20
	v_cmp_eq_u32_e64 s[12:13], 15, v16
	s_xor_b64 s[16:17], s[10:11], -1
	s_and_b64 s[12:13], s[12:13], s[16:17]
	s_mov_b64 s[10:11], exec
	v_writelane_b32 v27, s12, 2
	v_writelane_b32 v27, s13, 3
	s_and_b64 s[12:13], s[10:11], s[12:13]
	s_mov_b64 exec, s[12:13]
	s_cbranch_execz .LBB100_238
; %bb.237:
	v_mov_b32_e32 v20, 0
	ds_read_b32 v20, v20 offset:12220
	s_waitcnt lgkmcnt(0)
	v_mul_f32_e32 v19, v19, v20
	v_xor_b32_e32 v20, 0x80000000, v19
	ds_write_b32 v18, v20
.LBB100_238:
	s_or_b64 exec, exec, s[10:11]
	v_cmp_ne_u32_e64 s[10:11], 15, v16
	s_waitcnt lgkmcnt(0)
	s_barrier
	s_and_b64 s[12:13], s[10:11], s[16:17]
	s_mov_b64 s[10:11], exec
	v_writelane_b32 v27, s12, 4
	v_writelane_b32 v27, s13, 5
	s_and_b64 s[12:13], s[10:11], s[12:13]
	s_mov_b64 exec, s[12:13]
	s_cbranch_execz .LBB100_240
; %bb.239:
	v_lshlrev_b32_e32 v20, 2, v16
	ds_read_b32 v20, v20 offset:12160
	ds_read_b32 v21, v18
	s_waitcnt lgkmcnt(0)
	v_fma_f32 v19, -v20, v21, v19
.LBB100_240:
	s_or_b64 exec, exec, s[10:11]
	v_cmp_eq_u32_e64 s[10:11], 14, v16
	s_barrier
	s_and_b64 s[12:13], s[10:11], s[16:17]
	s_mov_b64 s[10:11], exec
	v_writelane_b32 v27, s12, 6
	v_writelane_b32 v27, s13, 7
	s_and_b64 s[12:13], s[10:11], s[12:13]
	s_mov_b64 exec, s[12:13]
	s_cbranch_execz .LBB100_242
; %bb.241:
	v_mov_b32_e32 v20, 0
	ds_read_b32 v20, v20 offset:11960
	s_waitcnt lgkmcnt(0)
	v_mul_f32_e32 v19, v19, v20
	v_xor_b32_e32 v20, 0x80000000, v19
	ds_write_b32 v18, v20
.LBB100_242:
	s_or_b64 exec, exec, s[10:11]
	v_cmp_gt_u32_e64 s[10:11], 14, v16
	s_waitcnt lgkmcnt(0)
	s_barrier
	s_and_b64 s[12:13], s[10:11], s[16:17]
	s_mov_b64 s[10:11], exec
	v_writelane_b32 v27, s12, 8
	v_writelane_b32 v27, s13, 9
	s_and_b64 s[12:13], s[10:11], s[12:13]
	s_mov_b64 exec, s[12:13]
	s_cbranch_execz .LBB100_244
; %bb.243:
	v_lshlrev_b32_e32 v20, 2, v16
	ds_read_b32 v20, v20 offset:11904
	ds_read_b32 v21, v18
	s_waitcnt lgkmcnt(0)
	v_fma_f32 v19, -v20, v21, v19
.LBB100_244:
	s_or_b64 exec, exec, s[10:11]
	v_cmp_eq_u32_e64 s[10:11], 13, v16
	s_barrier
	s_and_b64 s[12:13], s[10:11], s[16:17]
	s_mov_b64 s[10:11], exec
	v_writelane_b32 v27, s12, 10
	v_writelane_b32 v27, s13, 11
	s_and_b64 s[12:13], s[10:11], s[12:13]
	s_mov_b64 exec, s[12:13]
	s_cbranch_execz .LBB100_246
; %bb.245:
	v_mov_b32_e32 v20, 0
	ds_read_b32 v20, v20 offset:11700
	s_waitcnt lgkmcnt(0)
	v_mul_f32_e32 v19, v19, v20
	v_xor_b32_e32 v20, 0x80000000, v19
	ds_write_b32 v18, v20
.LBB100_246:
	s_or_b64 exec, exec, s[10:11]
	v_cmp_gt_u32_e64 s[10:11], 13, v16
	;; [unrolled: 36-line block ×12, first 2 shown]
	s_waitcnt lgkmcnt(0)
	s_barrier
	s_and_b64 s[12:13], s[10:11], s[16:17]
	s_mov_b64 s[10:11], exec
	v_writelane_b32 v27, s12, 52
	v_writelane_b32 v27, s13, 53
	s_and_b64 s[12:13], s[10:11], s[12:13]
	s_mov_b64 exec, s[12:13]
	s_cbranch_execz .LBB100_288
; %bb.287:
	v_lshlrev_b32_e32 v20, 2, v16
	ds_read_b32 v20, v20 offset:9088
	ds_read_b32 v21, v18
	s_waitcnt lgkmcnt(0)
	v_fma_f32 v19, -v20, v21, v19
.LBB100_288:
	s_or_b64 exec, exec, s[10:11]
	v_cmp_eq_u32_e64 s[10:11], 2, v16
	s_and_b64 s[86:87], s[10:11], s[16:17]
	s_barrier
	s_and_saveexec_b64 s[10:11], s[86:87]
	s_cbranch_execz .LBB100_290
; %bb.289:
	v_mov_b32_e32 v20, 0
	ds_read_b32 v20, v20 offset:8840
	s_waitcnt lgkmcnt(0)
	v_mul_f32_e32 v19, v19, v20
	v_xor_b32_e32 v20, 0x80000000, v19
	ds_write_b32 v18, v20
.LBB100_290:
	s_or_b64 exec, exec, s[10:11]
	v_cmp_gt_u32_e64 s[10:11], 2, v16
	s_and_b64 s[88:89], s[10:11], s[16:17]
	s_waitcnt lgkmcnt(0)
	s_barrier
	s_and_saveexec_b64 s[10:11], s[88:89]
	s_cbranch_execz .LBB100_292
; %bb.291:
	v_lshlrev_b32_e32 v20, 2, v16
	ds_read_b32 v20, v20 offset:8832
	ds_read_b32 v21, v18
	s_waitcnt lgkmcnt(0)
	v_fma_f32 v19, -v20, v21, v19
.LBB100_292:
	s_or_b64 exec, exec, s[10:11]
	v_cmp_eq_u32_e64 s[10:11], 1, v16
	s_and_b64 s[92:93], s[10:11], s[16:17]
	s_barrier
	s_and_saveexec_b64 s[10:11], s[92:93]
	s_cbranch_execz .LBB100_294
; %bb.293:
	v_mov_b32_e32 v20, 0
	ds_read_b32 v20, v20 offset:8580
	s_waitcnt lgkmcnt(0)
	v_mul_f32_e32 v19, v19, v20
	v_xor_b32_e32 v20, 0x80000000, v19
	ds_write_b32 v18, v20
.LBB100_294:
	s_or_b64 exec, exec, s[10:11]
	v_cmp_eq_u32_e64 s[10:11], 0, v16
	s_and_b64 s[90:91], s[10:11], s[16:17]
	s_waitcnt lgkmcnt(0)
	s_barrier
	s_and_saveexec_b64 s[10:11], s[90:91]
	s_cbranch_execz .LBB100_296
; %bb.295:
	v_mov_b32_e32 v20, 0
	ds_read_b32 v20, v20 offset:8576
	ds_read_b32 v21, v18
	s_waitcnt lgkmcnt(0)
	v_fma_f32 v19, -v20, v21, v19
.LBB100_296:
	s_or_b64 exec, exec, s[10:11]
	s_barrier
	s_and_saveexec_b64 s[10:11], s[90:91]
	s_cbranch_execz .LBB100_298
; %bb.297:
	v_mov_b32_e32 v20, 0
	ds_read_b32 v20, v20 offset:8320
	s_waitcnt lgkmcnt(0)
	v_mul_f32_e32 v19, v19, v20
	v_xor_b32_e32 v20, 0x80000000, v19
	ds_write_b32 v18, v20
.LBB100_298:
	s_or_b64 exec, exec, s[10:11]
	s_waitcnt lgkmcnt(0)
	s_barrier
	s_barrier
	s_and_saveexec_b64 s[10:11], s[8:9]
; %bb.299:
	v_lshlrev_b32_e32 v20, 2, v16
	v_lshl_or_b32 v20, v17, 8, v20
	ds_write_b32 v20, v19 offset:12416
; %bb.300:
	s_or_b64 exec, exec, s[10:11]
	s_waitcnt lgkmcnt(0)
	s_barrier
	s_barrier
	s_and_saveexec_b64 s[10:11], vcc
	s_cbranch_execz .LBB100_302
; %bb.301:
	v_mov_b32_e32 v21, 0
	ds_read_b64 v[19:20], v21 offset:12216
	ds_read_b32 v22, v21 offset:11960
	s_waitcnt lgkmcnt(0)
	v_mul_f32_e32 v20, v22, v20
	v_mul_f32_e32 v19, v19, v20
	ds_write_b32 v21, v19 offset:12216
.LBB100_302:
	s_or_b64 exec, exec, s[10:11]
	v_mov_b32_e32 v19, 0
	s_waitcnt lgkmcnt(0)
	s_barrier
	buffer_wbinvl1_vol
	s_and_saveexec_b64 s[12:13], s[0:1]
	s_cbranch_execz .LBB100_306
; %bb.303:
	v_lshlrev_b32_e32 v19, 8, v3
	v_lshlrev_b32_e32 v20, 2, v1
	ds_read_b32 v21, v20 offset:11952
	ds_read_b32 v19, v19 offset:11960
	v_mov_b32_e32 v20, 0
	v_cmp_gt_u32_e64 s[10:11], 2, v5
	s_waitcnt lgkmcnt(0)
	v_fma_f32 v19, v21, v19, 0
	s_and_saveexec_b64 s[16:17], s[10:11]
	s_cbranch_execz .LBB100_305
; %bb.304:
	v_lshlrev_b32_e32 v21, 2, v0
	ds_read_b32 v21, v21 offset:12208
	ds_read_b32 v20, v20 offset:12220
	s_waitcnt lgkmcnt(0)
	v_fmac_f32_e32 v19, v21, v20
.LBB100_305:
	s_or_b64 exec, exec, s[16:17]
.LBB100_306:
	s_or_b64 exec, exec, s[12:13]
	s_and_saveexec_b64 s[10:11], s[38:39]
	s_cbranch_execz .LBB100_308
; %bb.307:
	v_mov_b32_e32 v20, 0
	ds_read_b32 v20, v20 offset:11700
	s_waitcnt lgkmcnt(0)
	v_mul_f32_e32 v19, v19, v20
	v_xor_b32_e32 v20, 0x80000000, v19
	ds_write_b32 v4, v20
.LBB100_308:
	s_or_b64 exec, exec, s[10:11]
	s_waitcnt lgkmcnt(0)
	s_barrier
	s_and_saveexec_b64 s[10:11], s[36:37]
	s_cbranch_execz .LBB100_310
; %bb.309:
	v_mov_b32_e32 v20, 0
	ds_read_b32 v20, v20 offset:11696
	ds_read_b32 v21, v4
	s_waitcnt lgkmcnt(0)
	v_fma_f32 v19, -v20, v21, v19
.LBB100_310:
	s_or_b64 exec, exec, s[10:11]
	s_barrier
	s_and_saveexec_b64 s[10:11], s[36:37]
	s_cbranch_execz .LBB100_312
; %bb.311:
	v_mov_b32_e32 v20, 0
	ds_read_b32 v20, v20 offset:11440
	s_waitcnt lgkmcnt(0)
	v_mul_f32_e32 v19, v19, v20
	v_xor_b32_e32 v20, 0x80000000, v19
	ds_write_b32 v4, v20
.LBB100_312:
	s_or_b64 exec, exec, s[10:11]
	s_waitcnt lgkmcnt(0)
	s_barrier
	s_barrier
	s_and_saveexec_b64 s[10:11], s[0:1]
; %bb.313:
	v_lshlrev_b32_e32 v20, 2, v1
	v_lshl_or_b32 v20, v3, 8, v20
	ds_write_b32 v20, v19 offset:11952
; %bb.314:
	s_or_b64 exec, exec, s[10:11]
	s_waitcnt lgkmcnt(0)
	s_barrier
	s_barrier
	s_and_saveexec_b64 s[10:11], vcc
	s_cbranch_execz .LBB100_316
; %bb.315:
	v_mov_b32_e32 v21, 0
	ds_read_b64 v[19:20], v21 offset:11696
	ds_read_b32 v22, v21 offset:11440
	s_waitcnt lgkmcnt(0)
	v_mul_f32_e32 v20, v22, v20
	v_mul_f32_e32 v19, v19, v20
	ds_write_b32 v21, v19 offset:11696
.LBB100_316:
	s_or_b64 exec, exec, s[10:11]
	v_mov_b32_e32 v19, 0
	s_waitcnt lgkmcnt(0)
	s_barrier
	buffer_wbinvl1_vol
	s_and_saveexec_b64 s[12:13], s[2:3]
	s_cbranch_execz .LBB100_322
; %bb.317:
	v_lshlrev_b32_e32 v21, 2, v6
	v_lshlrev_b32_e32 v20, 8, v11
	ds_read_b32 v19, v21 offset:11424
	ds_read_b32 v22, v20 offset:11440
	v_cmp_gt_u32_e64 s[10:11], 12, v5
	s_waitcnt lgkmcnt(0)
	v_fma_f32 v19, v19, v22, 0
	s_and_saveexec_b64 s[16:17], s[10:11]
	s_cbranch_execnz .LBB100_1157
; %bb.318:
	s_or_b64 exec, exec, s[16:17]
	v_cmp_gt_u32_e64 s[10:11], 8, v5
	s_and_saveexec_b64 s[16:17], s[10:11]
	s_cbranch_execnz .LBB100_1158
.LBB100_319:
	s_or_b64 exec, exec, s[16:17]
	v_cmp_gt_u32_e64 s[10:11], 4, v5
	s_and_saveexec_b64 s[16:17], s[10:11]
	s_cbranch_execz .LBB100_321
.LBB100_320:
	v_lshlrev_b32_e32 v20, 2, v0
	v_mov_b32_e32 v21, 0
	ds_read_b32 v20, v20 offset:12192
	ds_read_b32 v21, v21 offset:12220
	s_waitcnt lgkmcnt(0)
	v_fmac_f32_e32 v19, v20, v21
.LBB100_321:
	s_or_b64 exec, exec, s[16:17]
.LBB100_322:
	s_or_b64 exec, exec, s[12:13]
	s_and_saveexec_b64 s[10:11], s[42:43]
	s_cbranch_execz .LBB100_324
; %bb.323:
	v_mov_b32_e32 v20, 0
	ds_read_b32 v20, v20 offset:11180
	s_waitcnt lgkmcnt(0)
	v_mul_f32_e32 v19, v19, v20
	v_xor_b32_e32 v20, 0x80000000, v19
	ds_write_b32 v12, v20
.LBB100_324:
	s_or_b64 exec, exec, s[10:11]
	s_waitcnt lgkmcnt(0)
	s_barrier
	s_and_saveexec_b64 s[10:11], s[44:45]
	s_cbranch_execz .LBB100_326
; %bb.325:
	v_lshlrev_b32_e32 v20, 2, v6
	ds_read_b32 v20, v20 offset:11168
	ds_read_b32 v21, v12
	s_waitcnt lgkmcnt(0)
	v_fma_f32 v19, -v20, v21, v19
.LBB100_326:
	s_or_b64 exec, exec, s[10:11]
	s_barrier
	s_and_saveexec_b64 s[10:11], s[46:47]
	s_cbranch_execz .LBB100_328
; %bb.327:
	v_mov_b32_e32 v20, 0
	ds_read_b32 v20, v20 offset:10920
	s_waitcnt lgkmcnt(0)
	v_mul_f32_e32 v19, v19, v20
	v_xor_b32_e32 v20, 0x80000000, v19
	ds_write_b32 v12, v20
.LBB100_328:
	s_or_b64 exec, exec, s[10:11]
	s_waitcnt lgkmcnt(0)
	s_barrier
	s_and_saveexec_b64 s[10:11], s[48:49]
	s_cbranch_execz .LBB100_330
; %bb.329:
	v_lshlrev_b32_e32 v20, 2, v6
	ds_read_b32 v20, v20 offset:10912
	ds_read_b32 v21, v12
	s_waitcnt lgkmcnt(0)
	v_fma_f32 v19, -v20, v21, v19
.LBB100_330:
	s_or_b64 exec, exec, s[10:11]
	s_barrier
	s_and_saveexec_b64 s[10:11], s[50:51]
	s_cbranch_execz .LBB100_332
; %bb.331:
	v_mov_b32_e32 v20, 0
	ds_read_b32 v20, v20 offset:10660
	s_waitcnt lgkmcnt(0)
	v_mul_f32_e32 v19, v19, v20
	v_xor_b32_e32 v20, 0x80000000, v19
	ds_write_b32 v12, v20
.LBB100_332:
	s_or_b64 exec, exec, s[10:11]
	s_waitcnt lgkmcnt(0)
	s_barrier
	s_and_saveexec_b64 s[10:11], s[40:41]
	s_cbranch_execz .LBB100_334
; %bb.333:
	v_mov_b32_e32 v20, 0
	ds_read_b32 v20, v20 offset:10656
	ds_read_b32 v21, v12
	s_waitcnt lgkmcnt(0)
	v_fma_f32 v19, -v20, v21, v19
.LBB100_334:
	s_or_b64 exec, exec, s[10:11]
	s_barrier
	s_and_saveexec_b64 s[10:11], s[40:41]
	s_cbranch_execz .LBB100_336
; %bb.335:
	v_mov_b32_e32 v20, 0
	ds_read_b32 v20, v20 offset:10400
	s_waitcnt lgkmcnt(0)
	v_mul_f32_e32 v19, v19, v20
	v_xor_b32_e32 v20, 0x80000000, v19
	ds_write_b32 v12, v20
.LBB100_336:
	s_or_b64 exec, exec, s[10:11]
	s_waitcnt lgkmcnt(0)
	s_barrier
	s_barrier
	s_and_saveexec_b64 s[10:11], s[2:3]
; %bb.337:
	v_lshlrev_b32_e32 v20, 2, v6
	v_lshl_or_b32 v20, v11, 8, v20
	ds_write_b32 v20, v19 offset:11424
; %bb.338:
	s_or_b64 exec, exec, s[10:11]
	s_waitcnt lgkmcnt(0)
	s_barrier
	s_barrier
	s_and_saveexec_b64 s[10:11], vcc
	s_cbranch_execz .LBB100_340
; %bb.339:
	v_mov_b32_e32 v21, 0
	ds_read_b64 v[19:20], v21 offset:11176
	ds_read_b32 v22, v21 offset:10920
	s_waitcnt lgkmcnt(0)
	v_mul_f32_e32 v20, v22, v20
	v_mul_f32_e32 v19, v19, v20
	ds_write_b32 v21, v19 offset:11176
.LBB100_340:
	s_or_b64 exec, exec, s[10:11]
	v_mov_b32_e32 v19, 0
	s_waitcnt lgkmcnt(0)
	s_barrier
	buffer_wbinvl1_vol
	s_and_saveexec_b64 s[12:13], s[0:1]
	s_cbranch_execz .LBB100_344
; %bb.341:
	v_lshlrev_b32_e32 v19, 8, v3
	v_lshlrev_b32_e32 v20, 2, v1
	ds_read_b32 v21, v20 offset:10912
	ds_read_b32 v19, v19 offset:10920
	v_mov_b32_e32 v20, 0
	v_cmp_gt_u32_e64 s[10:11], 2, v5
	s_waitcnt lgkmcnt(0)
	v_fma_f32 v19, v21, v19, 0
	s_and_saveexec_b64 s[16:17], s[10:11]
	s_cbranch_execz .LBB100_343
; %bb.342:
	v_lshlrev_b32_e32 v21, 2, v0
	ds_read_b32 v21, v21 offset:11168
	ds_read_b32 v20, v20 offset:11180
	s_waitcnt lgkmcnt(0)
	v_fmac_f32_e32 v19, v21, v20
.LBB100_343:
	s_or_b64 exec, exec, s[16:17]
.LBB100_344:
	s_or_b64 exec, exec, s[12:13]
	s_and_saveexec_b64 s[10:11], s[38:39]
	s_cbranch_execz .LBB100_346
; %bb.345:
	v_mov_b32_e32 v20, 0
	ds_read_b32 v20, v20 offset:10660
	s_waitcnt lgkmcnt(0)
	v_mul_f32_e32 v19, v19, v20
	v_xor_b32_e32 v20, 0x80000000, v19
	ds_write_b32 v4, v20
.LBB100_346:
	s_or_b64 exec, exec, s[10:11]
	s_waitcnt lgkmcnt(0)
	s_barrier
	s_and_saveexec_b64 s[10:11], s[36:37]
	s_cbranch_execz .LBB100_348
; %bb.347:
	v_mov_b32_e32 v20, 0
	ds_read_b32 v20, v20 offset:10656
	ds_read_b32 v21, v4
	s_waitcnt lgkmcnt(0)
	v_fma_f32 v19, -v20, v21, v19
.LBB100_348:
	s_or_b64 exec, exec, s[10:11]
	s_barrier
	s_and_saveexec_b64 s[10:11], s[36:37]
	s_cbranch_execz .LBB100_350
; %bb.349:
	v_mov_b32_e32 v20, 0
	ds_read_b32 v20, v20 offset:10400
	s_waitcnt lgkmcnt(0)
	v_mul_f32_e32 v19, v19, v20
	v_xor_b32_e32 v20, 0x80000000, v19
	ds_write_b32 v4, v20
.LBB100_350:
	s_or_b64 exec, exec, s[10:11]
	s_waitcnt lgkmcnt(0)
	s_barrier
	s_barrier
	s_and_saveexec_b64 s[10:11], s[0:1]
; %bb.351:
	v_lshlrev_b32_e32 v20, 2, v1
	v_lshl_or_b32 v20, v3, 8, v20
	ds_write_b32 v20, v19 offset:10912
; %bb.352:
	s_or_b64 exec, exec, s[10:11]
	s_waitcnt lgkmcnt(0)
	s_barrier
	s_barrier
	s_and_saveexec_b64 s[10:11], vcc
	s_cbranch_execz .LBB100_354
; %bb.353:
	v_mov_b32_e32 v21, 0
	ds_read_b64 v[19:20], v21 offset:10656
	ds_read_b32 v22, v21 offset:10400
	s_waitcnt lgkmcnt(0)
	v_mul_f32_e32 v20, v22, v20
	v_mul_f32_e32 v19, v19, v20
	ds_write_b32 v21, v19 offset:10656
.LBB100_354:
	s_or_b64 exec, exec, s[10:11]
	v_mov_b32_e32 v19, 0
	s_waitcnt lgkmcnt(0)
	s_barrier
	buffer_wbinvl1_vol
	s_and_saveexec_b64 s[12:13], s[14:15]
	s_cbranch_execz .LBB100_364
; %bb.355:
	v_lshlrev_b32_e32 v21, 2, v13
	v_lshlrev_b32_e32 v20, 8, v14
	ds_read_b32 v19, v21 offset:10368
	ds_read_b32 v22, v20 offset:10400
	v_cmp_gt_u32_e64 s[10:11], 56, v5
	s_waitcnt lgkmcnt(0)
	v_fma_f32 v19, v19, v22, 0
	s_and_saveexec_b64 s[16:17], s[10:11]
	s_cbranch_execnz .LBB100_1159
; %bb.356:
	s_or_b64 exec, exec, s[16:17]
	v_cmp_gt_u32_e64 s[10:11], 48, v5
	s_and_saveexec_b64 s[16:17], s[10:11]
	s_cbranch_execnz .LBB100_1160
.LBB100_357:
	s_or_b64 exec, exec, s[16:17]
	v_cmp_gt_u32_e64 s[10:11], 40, v5
	s_and_saveexec_b64 s[16:17], s[10:11]
	s_cbranch_execnz .LBB100_1161
.LBB100_358:
	s_or_b64 exec, exec, s[16:17]
	v_cmp_gt_u32_e64 s[10:11], 32, v5
	s_and_saveexec_b64 s[16:17], s[10:11]
	s_cbranch_execnz .LBB100_1162
.LBB100_359:
	s_or_b64 exec, exec, s[16:17]
	v_cmp_gt_u32_e64 s[10:11], 24, v5
	s_and_saveexec_b64 s[16:17], s[10:11]
	s_cbranch_execnz .LBB100_1163
.LBB100_360:
	s_or_b64 exec, exec, s[16:17]
	s_and_saveexec_b64 s[10:11], s[2:3]
	s_cbranch_execnz .LBB100_1164
.LBB100_361:
	s_or_b64 exec, exec, s[10:11]
	v_cmp_gt_u32_e64 s[10:11], 8, v5
	s_and_saveexec_b64 s[16:17], s[10:11]
	s_cbranch_execz .LBB100_363
.LBB100_362:
	v_lshlrev_b32_e32 v20, 2, v0
	v_mov_b32_e32 v21, 0
	ds_read_b32 v20, v20 offset:12160
	ds_read_b32 v21, v21 offset:12220
	s_waitcnt lgkmcnt(0)
	v_fmac_f32_e32 v19, v20, v21
.LBB100_363:
	s_or_b64 exec, exec, s[16:17]
.LBB100_364:
	s_or_b64 exec, exec, s[12:13]
	s_and_saveexec_b64 s[10:11], s[52:53]
	s_cbranch_execz .LBB100_366
; %bb.365:
	v_mov_b32_e32 v20, 0
	ds_read_b32 v20, v20 offset:10140
	s_waitcnt lgkmcnt(0)
	v_mul_f32_e32 v19, v19, v20
	v_xor_b32_e32 v20, 0x80000000, v19
	ds_write_b32 v15, v20
.LBB100_366:
	s_or_b64 exec, exec, s[10:11]
	s_waitcnt lgkmcnt(0)
	s_barrier
	s_and_saveexec_b64 s[10:11], s[54:55]
	s_cbranch_execz .LBB100_368
; %bb.367:
	v_lshlrev_b32_e32 v20, 2, v13
	ds_read_b32 v20, v20 offset:10112
	ds_read_b32 v21, v15
	s_waitcnt lgkmcnt(0)
	v_fma_f32 v19, -v20, v21, v19
.LBB100_368:
	s_or_b64 exec, exec, s[10:11]
	s_barrier
	s_and_saveexec_b64 s[10:11], s[56:57]
	s_cbranch_execz .LBB100_370
; %bb.369:
	v_mov_b32_e32 v20, 0
	ds_read_b32 v20, v20 offset:9880
	s_waitcnt lgkmcnt(0)
	v_mul_f32_e32 v19, v19, v20
	v_xor_b32_e32 v20, 0x80000000, v19
	ds_write_b32 v15, v20
.LBB100_370:
	s_or_b64 exec, exec, s[10:11]
	s_waitcnt lgkmcnt(0)
	s_barrier
	s_and_saveexec_b64 s[10:11], s[58:59]
	s_cbranch_execz .LBB100_372
; %bb.371:
	v_lshlrev_b32_e32 v20, 2, v13
	ds_read_b32 v20, v20 offset:9856
	ds_read_b32 v21, v15
	s_waitcnt lgkmcnt(0)
	v_fma_f32 v19, -v20, v21, v19
.LBB100_372:
	s_or_b64 exec, exec, s[10:11]
	s_barrier
	;; [unrolled: 24-line block ×6, first 2 shown]
	s_and_saveexec_b64 s[10:11], s[78:79]
	s_cbranch_execz .LBB100_390
; %bb.389:
	v_mov_b32_e32 v20, 0
	ds_read_b32 v20, v20 offset:8580
	s_waitcnt lgkmcnt(0)
	v_mul_f32_e32 v19, v19, v20
	v_xor_b32_e32 v20, 0x80000000, v19
	ds_write_b32 v15, v20
.LBB100_390:
	s_or_b64 exec, exec, s[10:11]
	s_waitcnt lgkmcnt(0)
	s_barrier
	s_and_saveexec_b64 s[10:11], s[62:63]
	s_cbranch_execz .LBB100_392
; %bb.391:
	v_mov_b32_e32 v20, 0
	ds_read_b32 v20, v20 offset:8576
	ds_read_b32 v21, v15
	s_waitcnt lgkmcnt(0)
	v_fma_f32 v19, -v20, v21, v19
.LBB100_392:
	s_or_b64 exec, exec, s[10:11]
	s_barrier
	s_and_saveexec_b64 s[10:11], s[62:63]
	s_cbranch_execz .LBB100_394
; %bb.393:
	v_mov_b32_e32 v20, 0
	ds_read_b32 v20, v20 offset:8320
	s_waitcnt lgkmcnt(0)
	v_mul_f32_e32 v19, v19, v20
	v_xor_b32_e32 v20, 0x80000000, v19
	ds_write_b32 v15, v20
.LBB100_394:
	s_or_b64 exec, exec, s[10:11]
	s_waitcnt lgkmcnt(0)
	s_barrier
	s_barrier
	s_and_saveexec_b64 s[10:11], s[14:15]
; %bb.395:
	v_lshlrev_b32_e32 v20, 2, v13
	v_lshl_or_b32 v20, v14, 8, v20
	ds_write_b32 v20, v19 offset:10368
; %bb.396:
	s_or_b64 exec, exec, s[10:11]
	s_waitcnt lgkmcnt(0)
	s_barrier
	s_barrier
	s_and_saveexec_b64 s[10:11], vcc
	s_cbranch_execz .LBB100_398
; %bb.397:
	v_mov_b32_e32 v21, 0
	ds_read_b64 v[19:20], v21 offset:10136
	ds_read_b32 v22, v21 offset:9880
	s_waitcnt lgkmcnt(0)
	v_mul_f32_e32 v20, v22, v20
	v_mul_f32_e32 v19, v19, v20
	ds_write_b32 v21, v19 offset:10136
.LBB100_398:
	s_or_b64 exec, exec, s[10:11]
	v_mov_b32_e32 v19, 0
	s_waitcnt lgkmcnt(0)
	s_barrier
	buffer_wbinvl1_vol
	s_and_saveexec_b64 s[12:13], s[0:1]
	s_cbranch_execz .LBB100_402
; %bb.399:
	v_lshlrev_b32_e32 v19, 8, v3
	v_lshlrev_b32_e32 v20, 2, v1
	ds_read_b32 v21, v20 offset:9872
	ds_read_b32 v19, v19 offset:9880
	v_mov_b32_e32 v20, 0
	v_cmp_gt_u32_e64 s[10:11], 2, v5
	s_waitcnt lgkmcnt(0)
	v_fma_f32 v19, v21, v19, 0
	s_and_saveexec_b64 s[16:17], s[10:11]
	s_cbranch_execz .LBB100_401
; %bb.400:
	v_lshlrev_b32_e32 v21, 2, v0
	ds_read_b32 v21, v21 offset:10128
	ds_read_b32 v20, v20 offset:10140
	s_waitcnt lgkmcnt(0)
	v_fmac_f32_e32 v19, v21, v20
.LBB100_401:
	s_or_b64 exec, exec, s[16:17]
.LBB100_402:
	s_or_b64 exec, exec, s[12:13]
	s_and_saveexec_b64 s[10:11], s[38:39]
	s_cbranch_execz .LBB100_404
; %bb.403:
	v_mov_b32_e32 v20, 0
	ds_read_b32 v20, v20 offset:9620
	s_waitcnt lgkmcnt(0)
	v_mul_f32_e32 v19, v19, v20
	v_xor_b32_e32 v20, 0x80000000, v19
	ds_write_b32 v4, v20
.LBB100_404:
	s_or_b64 exec, exec, s[10:11]
	s_waitcnt lgkmcnt(0)
	s_barrier
	s_and_saveexec_b64 s[10:11], s[36:37]
	s_cbranch_execz .LBB100_406
; %bb.405:
	v_mov_b32_e32 v20, 0
	ds_read_b32 v20, v20 offset:9616
	ds_read_b32 v21, v4
	s_waitcnt lgkmcnt(0)
	v_fma_f32 v19, -v20, v21, v19
.LBB100_406:
	s_or_b64 exec, exec, s[10:11]
	s_barrier
	s_and_saveexec_b64 s[10:11], s[36:37]
	s_cbranch_execz .LBB100_408
; %bb.407:
	v_mov_b32_e32 v20, 0
	ds_read_b32 v20, v20 offset:9360
	s_waitcnt lgkmcnt(0)
	v_mul_f32_e32 v19, v19, v20
	v_xor_b32_e32 v20, 0x80000000, v19
	ds_write_b32 v4, v20
.LBB100_408:
	s_or_b64 exec, exec, s[10:11]
	s_waitcnt lgkmcnt(0)
	s_barrier
	s_barrier
	s_and_saveexec_b64 s[10:11], s[0:1]
; %bb.409:
	v_lshlrev_b32_e32 v20, 2, v1
	v_lshl_or_b32 v20, v3, 8, v20
	ds_write_b32 v20, v19 offset:9872
; %bb.410:
	s_or_b64 exec, exec, s[10:11]
	s_waitcnt lgkmcnt(0)
	s_barrier
	s_barrier
	s_and_saveexec_b64 s[10:11], vcc
	s_cbranch_execz .LBB100_412
; %bb.411:
	v_mov_b32_e32 v21, 0
	ds_read_b64 v[19:20], v21 offset:9616
	ds_read_b32 v22, v21 offset:9360
	s_waitcnt lgkmcnt(0)
	v_mul_f32_e32 v20, v22, v20
	v_mul_f32_e32 v19, v19, v20
	ds_write_b32 v21, v19 offset:9616
.LBB100_412:
	s_or_b64 exec, exec, s[10:11]
	v_mov_b32_e32 v19, 0
	s_waitcnt lgkmcnt(0)
	s_barrier
	buffer_wbinvl1_vol
	s_and_saveexec_b64 s[12:13], s[2:3]
	s_cbranch_execz .LBB100_418
; %bb.413:
	v_lshlrev_b32_e32 v21, 2, v6
	v_lshlrev_b32_e32 v20, 8, v11
	ds_read_b32 v19, v21 offset:9344
	ds_read_b32 v22, v20 offset:9360
	v_cmp_gt_u32_e64 s[10:11], 12, v5
	s_waitcnt lgkmcnt(0)
	v_fma_f32 v19, v19, v22, 0
	s_and_saveexec_b64 s[16:17], s[10:11]
	s_cbranch_execnz .LBB100_1165
; %bb.414:
	s_or_b64 exec, exec, s[16:17]
	v_cmp_gt_u32_e64 s[10:11], 8, v5
	s_and_saveexec_b64 s[16:17], s[10:11]
	s_cbranch_execnz .LBB100_1166
.LBB100_415:
	s_or_b64 exec, exec, s[16:17]
	v_cmp_gt_u32_e64 s[10:11], 4, v5
	s_and_saveexec_b64 s[16:17], s[10:11]
	s_cbranch_execz .LBB100_417
.LBB100_416:
	v_lshlrev_b32_e32 v20, 2, v0
	v_mov_b32_e32 v21, 0
	ds_read_b32 v20, v20 offset:10112
	ds_read_b32 v21, v21 offset:10140
	s_waitcnt lgkmcnt(0)
	v_fmac_f32_e32 v19, v20, v21
.LBB100_417:
	s_or_b64 exec, exec, s[16:17]
.LBB100_418:
	s_or_b64 exec, exec, s[12:13]
	s_and_saveexec_b64 s[10:11], s[42:43]
	s_cbranch_execz .LBB100_420
; %bb.419:
	v_mov_b32_e32 v20, 0
	ds_read_b32 v20, v20 offset:9100
	s_waitcnt lgkmcnt(0)
	v_mul_f32_e32 v19, v19, v20
	v_xor_b32_e32 v20, 0x80000000, v19
	ds_write_b32 v12, v20
.LBB100_420:
	s_or_b64 exec, exec, s[10:11]
	s_waitcnt lgkmcnt(0)
	s_barrier
	s_and_saveexec_b64 s[10:11], s[44:45]
	s_cbranch_execz .LBB100_422
; %bb.421:
	v_lshlrev_b32_e32 v20, 2, v6
	ds_read_b32 v20, v20 offset:9088
	ds_read_b32 v21, v12
	s_waitcnt lgkmcnt(0)
	v_fma_f32 v19, -v20, v21, v19
.LBB100_422:
	s_or_b64 exec, exec, s[10:11]
	s_barrier
	s_and_saveexec_b64 s[10:11], s[46:47]
	s_cbranch_execz .LBB100_424
; %bb.423:
	v_mov_b32_e32 v20, 0
	ds_read_b32 v20, v20 offset:8840
	s_waitcnt lgkmcnt(0)
	v_mul_f32_e32 v19, v19, v20
	v_xor_b32_e32 v20, 0x80000000, v19
	ds_write_b32 v12, v20
.LBB100_424:
	s_or_b64 exec, exec, s[10:11]
	s_waitcnt lgkmcnt(0)
	s_barrier
	s_and_saveexec_b64 s[10:11], s[48:49]
	s_cbranch_execz .LBB100_426
; %bb.425:
	v_lshlrev_b32_e32 v20, 2, v6
	ds_read_b32 v20, v20 offset:8832
	ds_read_b32 v21, v12
	s_waitcnt lgkmcnt(0)
	v_fma_f32 v19, -v20, v21, v19
.LBB100_426:
	s_or_b64 exec, exec, s[10:11]
	s_barrier
	s_and_saveexec_b64 s[10:11], s[50:51]
	s_cbranch_execz .LBB100_428
; %bb.427:
	v_mov_b32_e32 v20, 0
	ds_read_b32 v20, v20 offset:8580
	s_waitcnt lgkmcnt(0)
	v_mul_f32_e32 v19, v19, v20
	v_xor_b32_e32 v20, 0x80000000, v19
	ds_write_b32 v12, v20
.LBB100_428:
	s_or_b64 exec, exec, s[10:11]
	s_waitcnt lgkmcnt(0)
	s_barrier
	s_and_saveexec_b64 s[10:11], s[40:41]
	s_cbranch_execz .LBB100_430
; %bb.429:
	v_mov_b32_e32 v20, 0
	ds_read_b32 v20, v20 offset:8576
	ds_read_b32 v21, v12
	s_waitcnt lgkmcnt(0)
	v_fma_f32 v19, -v20, v21, v19
.LBB100_430:
	s_or_b64 exec, exec, s[10:11]
	s_barrier
	s_and_saveexec_b64 s[10:11], s[40:41]
	s_cbranch_execz .LBB100_432
; %bb.431:
	v_mov_b32_e32 v20, 0
	ds_read_b32 v20, v20 offset:8320
	s_waitcnt lgkmcnt(0)
	v_mul_f32_e32 v19, v19, v20
	v_xor_b32_e32 v20, 0x80000000, v19
	ds_write_b32 v12, v20
.LBB100_432:
	s_or_b64 exec, exec, s[10:11]
	s_waitcnt lgkmcnt(0)
	s_barrier
	s_barrier
	s_and_saveexec_b64 s[10:11], s[2:3]
; %bb.433:
	v_lshlrev_b32_e32 v20, 2, v6
	v_lshl_or_b32 v20, v11, 8, v20
	ds_write_b32 v20, v19 offset:9344
; %bb.434:
	s_or_b64 exec, exec, s[10:11]
	s_waitcnt lgkmcnt(0)
	s_barrier
	s_barrier
	s_and_saveexec_b64 s[10:11], vcc
	s_cbranch_execz .LBB100_436
; %bb.435:
	v_mov_b32_e32 v21, 0
	ds_read_b64 v[19:20], v21 offset:9096
	ds_read_b32 v22, v21 offset:8840
	s_waitcnt lgkmcnt(0)
	v_mul_f32_e32 v20, v22, v20
	v_mul_f32_e32 v19, v19, v20
	ds_write_b32 v21, v19 offset:9096
.LBB100_436:
	s_or_b64 exec, exec, s[10:11]
	v_mov_b32_e32 v19, 0
	s_waitcnt lgkmcnt(0)
	s_barrier
	buffer_wbinvl1_vol
	s_and_saveexec_b64 s[12:13], s[0:1]
	s_cbranch_execz .LBB100_440
; %bb.437:
	v_lshlrev_b32_e32 v19, 8, v3
	v_lshlrev_b32_e32 v20, 2, v1
	ds_read_b32 v21, v20 offset:8832
	ds_read_b32 v19, v19 offset:8840
	v_mov_b32_e32 v20, 0
	v_cmp_gt_u32_e64 s[10:11], 2, v5
	s_waitcnt lgkmcnt(0)
	v_fma_f32 v19, v21, v19, 0
	s_and_saveexec_b64 s[16:17], s[10:11]
	s_cbranch_execz .LBB100_439
; %bb.438:
	v_lshlrev_b32_e32 v21, 2, v0
	ds_read_b32 v21, v21 offset:9088
	ds_read_b32 v20, v20 offset:9100
	s_waitcnt lgkmcnt(0)
	v_fmac_f32_e32 v19, v21, v20
.LBB100_439:
	s_or_b64 exec, exec, s[16:17]
.LBB100_440:
	s_or_b64 exec, exec, s[12:13]
	s_and_saveexec_b64 s[10:11], s[38:39]
	s_cbranch_execz .LBB100_442
; %bb.441:
	v_mov_b32_e32 v20, 0
	ds_read_b32 v20, v20 offset:8580
	s_waitcnt lgkmcnt(0)
	v_mul_f32_e32 v19, v19, v20
	v_xor_b32_e32 v20, 0x80000000, v19
	ds_write_b32 v4, v20
.LBB100_442:
	s_or_b64 exec, exec, s[10:11]
	s_waitcnt lgkmcnt(0)
	s_barrier
	s_and_saveexec_b64 s[10:11], s[36:37]
	s_cbranch_execz .LBB100_444
; %bb.443:
	v_mov_b32_e32 v20, 0
	ds_read_b32 v20, v20 offset:8576
	ds_read_b32 v21, v4
	s_waitcnt lgkmcnt(0)
	v_fma_f32 v19, -v20, v21, v19
.LBB100_444:
	s_or_b64 exec, exec, s[10:11]
	s_barrier
	s_and_saveexec_b64 s[10:11], s[36:37]
	s_cbranch_execz .LBB100_446
; %bb.445:
	v_mov_b32_e32 v20, 0
	ds_read_b32 v20, v20 offset:8320
	s_waitcnt lgkmcnt(0)
	v_mul_f32_e32 v19, v19, v20
	v_xor_b32_e32 v20, 0x80000000, v19
	ds_write_b32 v4, v20
.LBB100_446:
	s_or_b64 exec, exec, s[10:11]
	s_waitcnt lgkmcnt(0)
	s_barrier
	s_barrier
	s_and_saveexec_b64 s[10:11], s[0:1]
; %bb.447:
	v_lshlrev_b32_e32 v20, 2, v1
	v_lshl_or_b32 v20, v3, 8, v20
	ds_write_b32 v20, v19 offset:8832
; %bb.448:
	s_or_b64 exec, exec, s[10:11]
	s_waitcnt lgkmcnt(0)
	s_barrier
	s_barrier
	s_and_saveexec_b64 s[10:11], vcc
	s_cbranch_execz .LBB100_450
; %bb.449:
	v_mov_b32_e32 v21, 0
	ds_read_b64 v[19:20], v21 offset:8576
	ds_read_b32 v22, v21 offset:8320
	s_waitcnt lgkmcnt(0)
	v_mul_f32_e32 v20, v22, v20
	v_mul_f32_e32 v19, v19, v20
	ds_write_b32 v21, v19 offset:8576
.LBB100_450:
	s_or_b64 exec, exec, s[10:11]
	s_movk_i32 s10, 0x3ff
	v_lshrrev_b32_e32 v22, 5, v5
	v_cmp_lt_u32_e64 s[12:13], s10, v5
	s_movk_i32 s10, 0x400
	v_and_b32_e32 v19, 31, v0
	v_sub_u32_e32 v20, 31, v22
	v_cmp_gt_u32_e64 s[10:11], s10, v5
	v_mov_b32_e32 v21, 0
	s_waitcnt lgkmcnt(0)
	s_barrier
	buffer_wbinvl1_vol
	s_and_saveexec_b64 s[94:95], s[10:11]
	s_cbranch_execz .LBB100_512
; %bb.451:
	v_lshlrev_b32_e32 v24, 2, v19
	v_lshlrev_b32_e32 v23, 8, v20
	ds_read_b32 v21, v24 offset:8192
	ds_read_b32 v25, v23 offset:8320
	s_movk_i32 s16, 0x3e0
	v_cmp_gt_u32_e64 s[16:17], s16, v5
	s_waitcnt lgkmcnt(0)
	v_fma_f32 v21, v21, v25, 0
	s_and_saveexec_b64 s[80:81], s[16:17]
	s_cbranch_execz .LBB100_453
; %bb.452:
	ds_read_b32 v25, v24 offset:8448
	ds_read_b32 v26, v23 offset:8324
	s_waitcnt lgkmcnt(0)
	v_fmac_f32_e32 v21, v25, v26
.LBB100_453:
	s_or_b64 exec, exec, s[80:81]
	s_movk_i32 s16, 0x3c0
	v_cmp_gt_u32_e64 s[16:17], s16, v5
	s_and_saveexec_b64 s[80:81], s[16:17]
	s_cbranch_execz .LBB100_455
; %bb.454:
	ds_read_b32 v25, v24 offset:8704
	ds_read_b32 v26, v23 offset:8328
	s_waitcnt lgkmcnt(0)
	v_fmac_f32_e32 v21, v25, v26
.LBB100_455:
	s_or_b64 exec, exec, s[80:81]
	s_movk_i32 s16, 0x3a0
	v_cmp_gt_u32_e64 s[16:17], s16, v5
	;; [unrolled: 11-line block ×22, first 2 shown]
	s_and_saveexec_b64 s[80:81], s[16:17]
	s_cbranch_execz .LBB100_497
; %bb.496:
	ds_read_b32 v25, v24 offset:14080
	ds_read_b32 v26, v23 offset:8412
	s_waitcnt lgkmcnt(0)
	v_fmac_f32_e32 v21, v25, v26
.LBB100_497:
	s_or_b64 exec, exec, s[80:81]
	s_and_saveexec_b64 s[16:17], s[8:9]
	s_cbranch_execz .LBB100_499
; %bb.498:
	ds_read_b32 v25, v24 offset:14336
	ds_read_b32 v26, v23 offset:8416
	s_waitcnt lgkmcnt(0)
	v_fmac_f32_e32 v21, v25, v26
.LBB100_499:
	s_or_b64 exec, exec, s[16:17]
	s_movk_i32 s16, 0xe0
	v_cmp_gt_u32_e64 s[16:17], s16, v5
	s_and_saveexec_b64 s[80:81], s[16:17]
	s_cbranch_execz .LBB100_501
; %bb.500:
	ds_read_b32 v25, v24 offset:14592
	ds_read_b32 v26, v23 offset:8420
	s_waitcnt lgkmcnt(0)
	v_fmac_f32_e32 v21, v25, v26
.LBB100_501:
	s_or_b64 exec, exec, s[80:81]
	s_movk_i32 s16, 0xc0
	v_cmp_gt_u32_e64 s[16:17], s16, v5
	;; [unrolled: 11-line block ×5, first 2 shown]
	s_and_saveexec_b64 s[80:81], s[16:17]
	s_cbranch_execnz .LBB100_1167
; %bb.508:
	s_or_b64 exec, exec, s[80:81]
	s_and_saveexec_b64 s[16:17], s[14:15]
	s_cbranch_execnz .LBB100_1168
.LBB100_509:
	s_or_b64 exec, exec, s[16:17]
	v_cmp_gt_u32_e64 s[16:17], 32, v5
	s_and_saveexec_b64 s[80:81], s[16:17]
	s_cbranch_execz .LBB100_511
.LBB100_510:
	v_lshlrev_b32_e32 v23, 2, v0
	v_mov_b32_e32 v24, 0
	ds_read_b32 v23, v23 offset:16128
	ds_read_b32 v24, v24 offset:16380
	s_waitcnt lgkmcnt(0)
	v_fmac_f32_e32 v21, v23, v24
.LBB100_511:
	s_or_b64 exec, exec, s[80:81]
.LBB100_512:
	s_or_b64 exec, exec, s[94:95]
	v_mov_b32_e32 v23, 0x4000
	v_cmp_eq_u32_e64 s[16:17], 31, v19
	s_xor_b64 s[94:95], s[12:13], -1
	v_lshl_add_u32 v22, v22, 2, v23
	s_and_b64 s[16:17], s[16:17], s[94:95]
	s_and_saveexec_b64 s[12:13], s[16:17]
	s_cbranch_execz .LBB100_514
; %bb.513:
	v_mov_b32_e32 v23, 0
	ds_read_b32 v23, v23 offset:8060
	s_waitcnt lgkmcnt(0)
	v_mul_f32_e32 v21, v21, v23
	v_xor_b32_e32 v23, 0x80000000, v21
	ds_write_b32 v22, v23
.LBB100_514:
	s_or_b64 exec, exec, s[12:13]
	v_cmp_ne_u32_e64 s[12:13], 31, v19
	s_and_b64 s[16:17], s[12:13], s[94:95]
	s_waitcnt lgkmcnt(0)
	s_barrier
	s_and_saveexec_b64 s[12:13], s[16:17]
	s_cbranch_execz .LBB100_516
; %bb.515:
	v_lshlrev_b32_e32 v23, 2, v19
	ds_read_b32 v23, v23 offset:7936
	ds_read_b32 v24, v22
	s_waitcnt lgkmcnt(0)
	v_fma_f32 v21, -v23, v24, v21
.LBB100_516:
	s_or_b64 exec, exec, s[12:13]
	v_cmp_eq_u32_e64 s[12:13], 30, v19
	s_and_b64 s[16:17], s[12:13], s[94:95]
	s_barrier
	s_and_saveexec_b64 s[12:13], s[16:17]
	s_cbranch_execz .LBB100_518
; %bb.517:
	v_mov_b32_e32 v23, 0
	ds_read_b32 v23, v23 offset:7800
	s_waitcnt lgkmcnt(0)
	v_mul_f32_e32 v21, v21, v23
	v_xor_b32_e32 v23, 0x80000000, v21
	ds_write_b32 v22, v23
.LBB100_518:
	s_or_b64 exec, exec, s[12:13]
	v_cmp_gt_u32_e64 s[12:13], 30, v19
	s_and_b64 s[16:17], s[12:13], s[94:95]
	s_waitcnt lgkmcnt(0)
	s_barrier
	s_and_saveexec_b64 s[12:13], s[16:17]
	s_cbranch_execz .LBB100_520
; %bb.519:
	v_lshlrev_b32_e32 v23, 2, v19
	ds_read_b32 v23, v23 offset:7680
	ds_read_b32 v24, v22
	s_waitcnt lgkmcnt(0)
	v_fma_f32 v21, -v23, v24, v21
.LBB100_520:
	s_or_b64 exec, exec, s[12:13]
	v_cmp_eq_u32_e64 s[12:13], 29, v19
	s_and_b64 s[16:17], s[12:13], s[94:95]
	s_barrier
	s_and_saveexec_b64 s[12:13], s[16:17]
	s_cbranch_execz .LBB100_522
; %bb.521:
	v_mov_b32_e32 v23, 0
	ds_read_b32 v23, v23 offset:7540
	s_waitcnt lgkmcnt(0)
	v_mul_f32_e32 v21, v21, v23
	v_xor_b32_e32 v23, 0x80000000, v21
	ds_write_b32 v22, v23
.LBB100_522:
	s_or_b64 exec, exec, s[12:13]
	v_cmp_gt_u32_e64 s[12:13], 29, v19
	;; [unrolled: 28-line block ×29, first 2 shown]
	s_and_b64 s[16:17], s[12:13], s[94:95]
	s_waitcnt lgkmcnt(0)
	s_barrier
	s_and_saveexec_b64 s[12:13], s[16:17]
	s_cbranch_execz .LBB100_632
; %bb.631:
	v_lshlrev_b32_e32 v23, 2, v19
	ds_read_b32 v23, v23 offset:512
	ds_read_b32 v24, v22
	s_waitcnt lgkmcnt(0)
	v_fma_f32 v21, -v23, v24, v21
.LBB100_632:
	s_or_b64 exec, exec, s[12:13]
	v_cmp_eq_u32_e64 s[12:13], 1, v19
	s_and_b64 s[16:17], s[12:13], s[94:95]
	s_barrier
	s_and_saveexec_b64 s[12:13], s[16:17]
	s_cbranch_execz .LBB100_634
; %bb.633:
	v_mov_b32_e32 v23, 0
	ds_read_b32 v23, v23 offset:260
	s_waitcnt lgkmcnt(0)
	v_mul_f32_e32 v21, v21, v23
	v_xor_b32_e32 v23, 0x80000000, v21
	ds_write_b32 v22, v23
.LBB100_634:
	s_or_b64 exec, exec, s[12:13]
	v_cmp_eq_u32_e64 s[12:13], 0, v19
	s_and_b64 s[12:13], s[12:13], s[94:95]
	s_waitcnt lgkmcnt(0)
	s_barrier
	s_and_saveexec_b64 s[16:17], s[12:13]
	s_cbranch_execz .LBB100_636
; %bb.635:
	v_mov_b32_e32 v23, 0
	ds_read_b32 v23, v23 offset:256
	ds_read_b32 v24, v22
	s_waitcnt lgkmcnt(0)
	v_fma_f32 v21, -v23, v24, v21
.LBB100_636:
	s_or_b64 exec, exec, s[16:17]
	s_barrier
	s_and_saveexec_b64 s[16:17], s[12:13]
	s_cbranch_execz .LBB100_638
; %bb.637:
	v_mov_b32_e32 v23, 0
	ds_read_b32 v23, v23
	s_waitcnt lgkmcnt(0)
	v_mul_f32_e32 v21, v21, v23
	v_xor_b32_e32 v23, 0x80000000, v21
	ds_write_b32 v22, v23
.LBB100_638:
	s_or_b64 exec, exec, s[16:17]
	s_waitcnt lgkmcnt(0)
	s_barrier
	s_barrier
	s_and_saveexec_b64 s[12:13], s[10:11]
; %bb.639:
	v_lshlrev_b32_e32 v19, 2, v19
	v_lshl_or_b32 v19, v20, 8, v19
	ds_write_b32 v19, v21 offset:8192
; %bb.640:
	s_or_b64 exec, exec, s[12:13]
	s_waitcnt lgkmcnt(0)
	s_barrier
	s_barrier
	s_and_saveexec_b64 s[10:11], vcc
	s_cbranch_execz .LBB100_642
; %bb.641:
	v_mov_b32_e32 v21, 0
	ds_read_b64 v[19:20], v21 offset:8056
	ds_read_b32 v22, v21 offset:7800
	s_waitcnt lgkmcnt(0)
	v_mul_f32_e32 v20, v22, v20
	v_mul_f32_e32 v19, v19, v20
	ds_write_b32 v21, v19 offset:8056
.LBB100_642:
	s_or_b64 exec, exec, s[10:11]
	v_mov_b32_e32 v19, 0
	s_waitcnt lgkmcnt(0)
	s_barrier
	buffer_wbinvl1_vol
	s_and_saveexec_b64 s[12:13], s[0:1]
	s_cbranch_execz .LBB100_646
; %bb.643:
	v_lshlrev_b32_e32 v19, 8, v3
	v_lshlrev_b32_e32 v20, 2, v1
	ds_read_b32 v21, v20 offset:7792
	ds_read_b32 v19, v19 offset:7800
	v_mov_b32_e32 v20, 0
	v_cmp_gt_u32_e64 s[10:11], 2, v5
	s_waitcnt lgkmcnt(0)
	v_fma_f32 v19, v21, v19, 0
	s_and_saveexec_b64 s[16:17], s[10:11]
	s_cbranch_execz .LBB100_645
; %bb.644:
	v_lshlrev_b32_e32 v21, 2, v0
	ds_read_b32 v21, v21 offset:8048
	ds_read_b32 v20, v20 offset:8060
	s_waitcnt lgkmcnt(0)
	v_fmac_f32_e32 v19, v21, v20
.LBB100_645:
	s_or_b64 exec, exec, s[16:17]
.LBB100_646:
	s_or_b64 exec, exec, s[12:13]
	s_and_saveexec_b64 s[10:11], s[38:39]
	s_cbranch_execz .LBB100_648
; %bb.647:
	v_mov_b32_e32 v20, 0
	ds_read_b32 v20, v20 offset:7540
	s_waitcnt lgkmcnt(0)
	v_mul_f32_e32 v19, v19, v20
	v_xor_b32_e32 v20, 0x80000000, v19
	ds_write_b32 v4, v20
.LBB100_648:
	s_or_b64 exec, exec, s[10:11]
	s_waitcnt lgkmcnt(0)
	s_barrier
	s_and_saveexec_b64 s[10:11], s[36:37]
	s_cbranch_execz .LBB100_650
; %bb.649:
	v_mov_b32_e32 v20, 0
	ds_read_b32 v20, v20 offset:7536
	ds_read_b32 v21, v4
	s_waitcnt lgkmcnt(0)
	v_fma_f32 v19, -v20, v21, v19
.LBB100_650:
	s_or_b64 exec, exec, s[10:11]
	s_barrier
	s_and_saveexec_b64 s[10:11], s[36:37]
	s_cbranch_execz .LBB100_652
; %bb.651:
	v_mov_b32_e32 v20, 0
	ds_read_b32 v20, v20 offset:7280
	s_waitcnt lgkmcnt(0)
	v_mul_f32_e32 v19, v19, v20
	v_xor_b32_e32 v20, 0x80000000, v19
	ds_write_b32 v4, v20
.LBB100_652:
	s_or_b64 exec, exec, s[10:11]
	s_waitcnt lgkmcnt(0)
	s_barrier
	s_barrier
	s_and_saveexec_b64 s[10:11], s[0:1]
; %bb.653:
	v_lshlrev_b32_e32 v20, 2, v1
	v_lshl_or_b32 v20, v3, 8, v20
	ds_write_b32 v20, v19 offset:7792
; %bb.654:
	s_or_b64 exec, exec, s[10:11]
	s_waitcnt lgkmcnt(0)
	s_barrier
	s_barrier
	s_and_saveexec_b64 s[10:11], vcc
	s_cbranch_execz .LBB100_656
; %bb.655:
	v_mov_b32_e32 v21, 0
	ds_read_b64 v[19:20], v21 offset:7536
	ds_read_b32 v22, v21 offset:7280
	s_waitcnt lgkmcnt(0)
	v_mul_f32_e32 v20, v22, v20
	v_mul_f32_e32 v19, v19, v20
	ds_write_b32 v21, v19 offset:7536
.LBB100_656:
	s_or_b64 exec, exec, s[10:11]
	v_mov_b32_e32 v19, 0
	s_waitcnt lgkmcnt(0)
	s_barrier
	buffer_wbinvl1_vol
	s_and_saveexec_b64 s[12:13], s[2:3]
	s_cbranch_execz .LBB100_662
; %bb.657:
	v_lshlrev_b32_e32 v21, 2, v6
	v_lshlrev_b32_e32 v20, 8, v11
	ds_read_b32 v19, v21 offset:7264
	ds_read_b32 v22, v20 offset:7280
	v_cmp_gt_u32_e64 s[10:11], 12, v5
	s_waitcnt lgkmcnt(0)
	v_fma_f32 v19, v19, v22, 0
	s_and_saveexec_b64 s[16:17], s[10:11]
	s_cbranch_execnz .LBB100_1169
; %bb.658:
	s_or_b64 exec, exec, s[16:17]
	v_cmp_gt_u32_e64 s[10:11], 8, v5
	s_and_saveexec_b64 s[16:17], s[10:11]
	s_cbranch_execnz .LBB100_1170
.LBB100_659:
	s_or_b64 exec, exec, s[16:17]
	v_cmp_gt_u32_e64 s[10:11], 4, v5
	s_and_saveexec_b64 s[16:17], s[10:11]
	s_cbranch_execz .LBB100_661
.LBB100_660:
	v_lshlrev_b32_e32 v20, 2, v0
	v_mov_b32_e32 v21, 0
	ds_read_b32 v20, v20 offset:8032
	ds_read_b32 v21, v21 offset:8060
	s_waitcnt lgkmcnt(0)
	v_fmac_f32_e32 v19, v20, v21
.LBB100_661:
	s_or_b64 exec, exec, s[16:17]
.LBB100_662:
	s_or_b64 exec, exec, s[12:13]
	s_and_saveexec_b64 s[10:11], s[42:43]
	s_cbranch_execz .LBB100_664
; %bb.663:
	v_mov_b32_e32 v20, 0
	ds_read_b32 v20, v20 offset:7020
	s_waitcnt lgkmcnt(0)
	v_mul_f32_e32 v19, v19, v20
	v_xor_b32_e32 v20, 0x80000000, v19
	ds_write_b32 v12, v20
.LBB100_664:
	s_or_b64 exec, exec, s[10:11]
	s_waitcnt lgkmcnt(0)
	s_barrier
	s_and_saveexec_b64 s[10:11], s[44:45]
	s_cbranch_execz .LBB100_666
; %bb.665:
	v_lshlrev_b32_e32 v20, 2, v6
	ds_read_b32 v20, v20 offset:7008
	ds_read_b32 v21, v12
	s_waitcnt lgkmcnt(0)
	v_fma_f32 v19, -v20, v21, v19
.LBB100_666:
	s_or_b64 exec, exec, s[10:11]
	s_barrier
	s_and_saveexec_b64 s[10:11], s[46:47]
	s_cbranch_execz .LBB100_668
; %bb.667:
	v_mov_b32_e32 v20, 0
	ds_read_b32 v20, v20 offset:6760
	s_waitcnt lgkmcnt(0)
	v_mul_f32_e32 v19, v19, v20
	v_xor_b32_e32 v20, 0x80000000, v19
	ds_write_b32 v12, v20
.LBB100_668:
	s_or_b64 exec, exec, s[10:11]
	s_waitcnt lgkmcnt(0)
	s_barrier
	s_and_saveexec_b64 s[10:11], s[48:49]
	s_cbranch_execz .LBB100_670
; %bb.669:
	v_lshlrev_b32_e32 v20, 2, v6
	ds_read_b32 v20, v20 offset:6752
	ds_read_b32 v21, v12
	s_waitcnt lgkmcnt(0)
	v_fma_f32 v19, -v20, v21, v19
.LBB100_670:
	s_or_b64 exec, exec, s[10:11]
	s_barrier
	s_and_saveexec_b64 s[10:11], s[50:51]
	s_cbranch_execz .LBB100_672
; %bb.671:
	v_mov_b32_e32 v20, 0
	ds_read_b32 v20, v20 offset:6500
	s_waitcnt lgkmcnt(0)
	v_mul_f32_e32 v19, v19, v20
	v_xor_b32_e32 v20, 0x80000000, v19
	ds_write_b32 v12, v20
.LBB100_672:
	s_or_b64 exec, exec, s[10:11]
	s_waitcnt lgkmcnt(0)
	s_barrier
	s_and_saveexec_b64 s[10:11], s[40:41]
	s_cbranch_execz .LBB100_674
; %bb.673:
	v_mov_b32_e32 v20, 0
	ds_read_b32 v20, v20 offset:6496
	ds_read_b32 v21, v12
	s_waitcnt lgkmcnt(0)
	v_fma_f32 v19, -v20, v21, v19
.LBB100_674:
	s_or_b64 exec, exec, s[10:11]
	s_barrier
	s_and_saveexec_b64 s[10:11], s[40:41]
	s_cbranch_execz .LBB100_676
; %bb.675:
	v_mov_b32_e32 v20, 0
	ds_read_b32 v20, v20 offset:6240
	s_waitcnt lgkmcnt(0)
	v_mul_f32_e32 v19, v19, v20
	v_xor_b32_e32 v20, 0x80000000, v19
	ds_write_b32 v12, v20
.LBB100_676:
	s_or_b64 exec, exec, s[10:11]
	s_waitcnt lgkmcnt(0)
	s_barrier
	s_barrier
	s_and_saveexec_b64 s[10:11], s[2:3]
; %bb.677:
	v_lshlrev_b32_e32 v20, 2, v6
	v_lshl_or_b32 v20, v11, 8, v20
	ds_write_b32 v20, v19 offset:7264
; %bb.678:
	s_or_b64 exec, exec, s[10:11]
	s_waitcnt lgkmcnt(0)
	s_barrier
	s_barrier
	s_and_saveexec_b64 s[10:11], vcc
	s_cbranch_execz .LBB100_680
; %bb.679:
	v_mov_b32_e32 v21, 0
	ds_read_b64 v[19:20], v21 offset:7016
	ds_read_b32 v22, v21 offset:6760
	s_waitcnt lgkmcnt(0)
	v_mul_f32_e32 v20, v22, v20
	v_mul_f32_e32 v19, v19, v20
	ds_write_b32 v21, v19 offset:7016
.LBB100_680:
	s_or_b64 exec, exec, s[10:11]
	v_mov_b32_e32 v19, 0
	s_waitcnt lgkmcnt(0)
	s_barrier
	buffer_wbinvl1_vol
	s_and_saveexec_b64 s[12:13], s[0:1]
	s_cbranch_execz .LBB100_684
; %bb.681:
	v_lshlrev_b32_e32 v19, 8, v3
	v_lshlrev_b32_e32 v20, 2, v1
	ds_read_b32 v21, v20 offset:6752
	ds_read_b32 v19, v19 offset:6760
	v_mov_b32_e32 v20, 0
	v_cmp_gt_u32_e64 s[10:11], 2, v5
	s_waitcnt lgkmcnt(0)
	v_fma_f32 v19, v21, v19, 0
	s_and_saveexec_b64 s[16:17], s[10:11]
	s_cbranch_execz .LBB100_683
; %bb.682:
	v_lshlrev_b32_e32 v21, 2, v0
	ds_read_b32 v21, v21 offset:7008
	ds_read_b32 v20, v20 offset:7020
	s_waitcnt lgkmcnt(0)
	v_fmac_f32_e32 v19, v21, v20
.LBB100_683:
	s_or_b64 exec, exec, s[16:17]
.LBB100_684:
	s_or_b64 exec, exec, s[12:13]
	s_and_saveexec_b64 s[10:11], s[38:39]
	s_cbranch_execz .LBB100_686
; %bb.685:
	v_mov_b32_e32 v20, 0
	ds_read_b32 v20, v20 offset:6500
	s_waitcnt lgkmcnt(0)
	v_mul_f32_e32 v19, v19, v20
	v_xor_b32_e32 v20, 0x80000000, v19
	ds_write_b32 v4, v20
.LBB100_686:
	s_or_b64 exec, exec, s[10:11]
	s_waitcnt lgkmcnt(0)
	s_barrier
	s_and_saveexec_b64 s[10:11], s[36:37]
	s_cbranch_execz .LBB100_688
; %bb.687:
	v_mov_b32_e32 v20, 0
	ds_read_b32 v20, v20 offset:6496
	ds_read_b32 v21, v4
	s_waitcnt lgkmcnt(0)
	v_fma_f32 v19, -v20, v21, v19
.LBB100_688:
	s_or_b64 exec, exec, s[10:11]
	s_barrier
	s_and_saveexec_b64 s[10:11], s[36:37]
	s_cbranch_execz .LBB100_690
; %bb.689:
	v_mov_b32_e32 v20, 0
	ds_read_b32 v20, v20 offset:6240
	s_waitcnt lgkmcnt(0)
	v_mul_f32_e32 v19, v19, v20
	v_xor_b32_e32 v20, 0x80000000, v19
	ds_write_b32 v4, v20
.LBB100_690:
	s_or_b64 exec, exec, s[10:11]
	s_waitcnt lgkmcnt(0)
	s_barrier
	s_barrier
	s_and_saveexec_b64 s[10:11], s[0:1]
; %bb.691:
	v_lshlrev_b32_e32 v20, 2, v1
	v_lshl_or_b32 v20, v3, 8, v20
	ds_write_b32 v20, v19 offset:6752
; %bb.692:
	s_or_b64 exec, exec, s[10:11]
	s_waitcnt lgkmcnt(0)
	s_barrier
	s_barrier
	s_and_saveexec_b64 s[10:11], vcc
	s_cbranch_execz .LBB100_694
; %bb.693:
	v_mov_b32_e32 v21, 0
	ds_read_b64 v[19:20], v21 offset:6496
	ds_read_b32 v22, v21 offset:6240
	s_waitcnt lgkmcnt(0)
	v_mul_f32_e32 v20, v22, v20
	v_mul_f32_e32 v19, v19, v20
	ds_write_b32 v21, v19 offset:6496
.LBB100_694:
	s_or_b64 exec, exec, s[10:11]
	v_mov_b32_e32 v19, 0
	s_waitcnt lgkmcnt(0)
	s_barrier
	buffer_wbinvl1_vol
	s_and_saveexec_b64 s[12:13], s[14:15]
	s_cbranch_execz .LBB100_704
; %bb.695:
	v_lshlrev_b32_e32 v21, 2, v13
	v_lshlrev_b32_e32 v20, 8, v14
	ds_read_b32 v19, v21 offset:6208
	ds_read_b32 v22, v20 offset:6240
	v_cmp_gt_u32_e64 s[10:11], 56, v5
	s_waitcnt lgkmcnt(0)
	v_fma_f32 v19, v19, v22, 0
	s_and_saveexec_b64 s[16:17], s[10:11]
	s_cbranch_execnz .LBB100_1171
; %bb.696:
	s_or_b64 exec, exec, s[16:17]
	v_cmp_gt_u32_e64 s[10:11], 48, v5
	s_and_saveexec_b64 s[16:17], s[10:11]
	s_cbranch_execnz .LBB100_1172
.LBB100_697:
	s_or_b64 exec, exec, s[16:17]
	v_cmp_gt_u32_e64 s[10:11], 40, v5
	s_and_saveexec_b64 s[16:17], s[10:11]
	s_cbranch_execnz .LBB100_1173
.LBB100_698:
	s_or_b64 exec, exec, s[16:17]
	v_cmp_gt_u32_e64 s[10:11], 32, v5
	s_and_saveexec_b64 s[16:17], s[10:11]
	s_cbranch_execnz .LBB100_1174
.LBB100_699:
	s_or_b64 exec, exec, s[16:17]
	v_cmp_gt_u32_e64 s[10:11], 24, v5
	s_and_saveexec_b64 s[16:17], s[10:11]
	s_cbranch_execnz .LBB100_1175
.LBB100_700:
	s_or_b64 exec, exec, s[16:17]
	s_and_saveexec_b64 s[10:11], s[2:3]
	s_cbranch_execnz .LBB100_1176
.LBB100_701:
	s_or_b64 exec, exec, s[10:11]
	v_cmp_gt_u32_e64 s[10:11], 8, v5
	s_and_saveexec_b64 s[16:17], s[10:11]
	s_cbranch_execz .LBB100_703
.LBB100_702:
	v_lshlrev_b32_e32 v20, 2, v0
	v_mov_b32_e32 v21, 0
	ds_read_b32 v20, v20 offset:8000
	ds_read_b32 v21, v21 offset:8060
	s_waitcnt lgkmcnt(0)
	v_fmac_f32_e32 v19, v20, v21
.LBB100_703:
	s_or_b64 exec, exec, s[16:17]
.LBB100_704:
	s_or_b64 exec, exec, s[12:13]
	s_and_saveexec_b64 s[10:11], s[52:53]
	s_cbranch_execz .LBB100_706
; %bb.705:
	v_mov_b32_e32 v20, 0
	ds_read_b32 v20, v20 offset:5980
	s_waitcnt lgkmcnt(0)
	v_mul_f32_e32 v19, v19, v20
	v_xor_b32_e32 v20, 0x80000000, v19
	ds_write_b32 v15, v20
.LBB100_706:
	s_or_b64 exec, exec, s[10:11]
	s_waitcnt lgkmcnt(0)
	s_barrier
	s_and_saveexec_b64 s[10:11], s[54:55]
	s_cbranch_execz .LBB100_708
; %bb.707:
	v_lshlrev_b32_e32 v20, 2, v13
	ds_read_b32 v20, v20 offset:5952
	ds_read_b32 v21, v15
	s_waitcnt lgkmcnt(0)
	v_fma_f32 v19, -v20, v21, v19
.LBB100_708:
	s_or_b64 exec, exec, s[10:11]
	s_barrier
	s_and_saveexec_b64 s[10:11], s[56:57]
	s_cbranch_execz .LBB100_710
; %bb.709:
	v_mov_b32_e32 v20, 0
	ds_read_b32 v20, v20 offset:5720
	s_waitcnt lgkmcnt(0)
	v_mul_f32_e32 v19, v19, v20
	v_xor_b32_e32 v20, 0x80000000, v19
	ds_write_b32 v15, v20
.LBB100_710:
	s_or_b64 exec, exec, s[10:11]
	s_waitcnt lgkmcnt(0)
	s_barrier
	s_and_saveexec_b64 s[10:11], s[58:59]
	s_cbranch_execz .LBB100_712
; %bb.711:
	v_lshlrev_b32_e32 v20, 2, v13
	ds_read_b32 v20, v20 offset:5696
	ds_read_b32 v21, v15
	s_waitcnt lgkmcnt(0)
	v_fma_f32 v19, -v20, v21, v19
.LBB100_712:
	s_or_b64 exec, exec, s[10:11]
	s_barrier
	;; [unrolled: 24-line block ×6, first 2 shown]
	s_and_saveexec_b64 s[10:11], s[78:79]
	s_cbranch_execz .LBB100_730
; %bb.729:
	v_mov_b32_e32 v20, 0
	ds_read_b32 v20, v20 offset:4420
	s_waitcnt lgkmcnt(0)
	v_mul_f32_e32 v19, v19, v20
	v_xor_b32_e32 v20, 0x80000000, v19
	ds_write_b32 v15, v20
.LBB100_730:
	s_or_b64 exec, exec, s[10:11]
	s_waitcnt lgkmcnt(0)
	s_barrier
	s_and_saveexec_b64 s[10:11], s[62:63]
	s_cbranch_execz .LBB100_732
; %bb.731:
	v_mov_b32_e32 v20, 0
	ds_read_b32 v20, v20 offset:4416
	ds_read_b32 v21, v15
	s_waitcnt lgkmcnt(0)
	v_fma_f32 v19, -v20, v21, v19
.LBB100_732:
	s_or_b64 exec, exec, s[10:11]
	s_barrier
	s_and_saveexec_b64 s[10:11], s[62:63]
	s_cbranch_execz .LBB100_734
; %bb.733:
	v_mov_b32_e32 v20, 0
	ds_read_b32 v20, v20 offset:4160
	s_waitcnt lgkmcnt(0)
	v_mul_f32_e32 v19, v19, v20
	v_xor_b32_e32 v20, 0x80000000, v19
	ds_write_b32 v15, v20
.LBB100_734:
	s_or_b64 exec, exec, s[10:11]
	s_waitcnt lgkmcnt(0)
	s_barrier
	s_barrier
	s_and_saveexec_b64 s[10:11], s[14:15]
; %bb.735:
	v_lshlrev_b32_e32 v20, 2, v13
	v_lshl_or_b32 v20, v14, 8, v20
	ds_write_b32 v20, v19 offset:6208
; %bb.736:
	s_or_b64 exec, exec, s[10:11]
	s_waitcnt lgkmcnt(0)
	s_barrier
	s_barrier
	s_and_saveexec_b64 s[10:11], vcc
	s_cbranch_execz .LBB100_738
; %bb.737:
	v_mov_b32_e32 v21, 0
	ds_read_b64 v[19:20], v21 offset:5976
	ds_read_b32 v22, v21 offset:5720
	s_waitcnt lgkmcnt(0)
	v_mul_f32_e32 v20, v22, v20
	v_mul_f32_e32 v19, v19, v20
	ds_write_b32 v21, v19 offset:5976
.LBB100_738:
	s_or_b64 exec, exec, s[10:11]
	v_mov_b32_e32 v19, 0
	s_waitcnt lgkmcnt(0)
	s_barrier
	buffer_wbinvl1_vol
	s_and_saveexec_b64 s[12:13], s[0:1]
	s_cbranch_execz .LBB100_742
; %bb.739:
	v_lshlrev_b32_e32 v19, 8, v3
	v_lshlrev_b32_e32 v20, 2, v1
	ds_read_b32 v21, v20 offset:5712
	ds_read_b32 v19, v19 offset:5720
	v_mov_b32_e32 v20, 0
	v_cmp_gt_u32_e64 s[10:11], 2, v5
	s_waitcnt lgkmcnt(0)
	v_fma_f32 v19, v21, v19, 0
	s_and_saveexec_b64 s[16:17], s[10:11]
	s_cbranch_execz .LBB100_741
; %bb.740:
	v_lshlrev_b32_e32 v21, 2, v0
	ds_read_b32 v21, v21 offset:5968
	ds_read_b32 v20, v20 offset:5980
	s_waitcnt lgkmcnt(0)
	v_fmac_f32_e32 v19, v21, v20
.LBB100_741:
	s_or_b64 exec, exec, s[16:17]
.LBB100_742:
	s_or_b64 exec, exec, s[12:13]
	s_and_saveexec_b64 s[10:11], s[38:39]
	s_cbranch_execz .LBB100_744
; %bb.743:
	v_mov_b32_e32 v20, 0
	ds_read_b32 v20, v20 offset:5460
	s_waitcnt lgkmcnt(0)
	v_mul_f32_e32 v19, v19, v20
	v_xor_b32_e32 v20, 0x80000000, v19
	ds_write_b32 v4, v20
.LBB100_744:
	s_or_b64 exec, exec, s[10:11]
	s_waitcnt lgkmcnt(0)
	s_barrier
	s_and_saveexec_b64 s[10:11], s[36:37]
	s_cbranch_execz .LBB100_746
; %bb.745:
	v_mov_b32_e32 v20, 0
	ds_read_b32 v20, v20 offset:5456
	ds_read_b32 v21, v4
	s_waitcnt lgkmcnt(0)
	v_fma_f32 v19, -v20, v21, v19
.LBB100_746:
	s_or_b64 exec, exec, s[10:11]
	s_barrier
	s_and_saveexec_b64 s[10:11], s[36:37]
	s_cbranch_execz .LBB100_748
; %bb.747:
	v_mov_b32_e32 v20, 0
	ds_read_b32 v20, v20 offset:5200
	s_waitcnt lgkmcnt(0)
	v_mul_f32_e32 v19, v19, v20
	v_xor_b32_e32 v20, 0x80000000, v19
	ds_write_b32 v4, v20
.LBB100_748:
	s_or_b64 exec, exec, s[10:11]
	s_waitcnt lgkmcnt(0)
	s_barrier
	s_barrier
	s_and_saveexec_b64 s[10:11], s[0:1]
; %bb.749:
	v_lshlrev_b32_e32 v20, 2, v1
	v_lshl_or_b32 v20, v3, 8, v20
	ds_write_b32 v20, v19 offset:5712
; %bb.750:
	s_or_b64 exec, exec, s[10:11]
	s_waitcnt lgkmcnt(0)
	s_barrier
	s_barrier
	s_and_saveexec_b64 s[10:11], vcc
	s_cbranch_execz .LBB100_752
; %bb.751:
	v_mov_b32_e32 v21, 0
	ds_read_b64 v[19:20], v21 offset:5456
	ds_read_b32 v22, v21 offset:5200
	s_waitcnt lgkmcnt(0)
	v_mul_f32_e32 v20, v22, v20
	v_mul_f32_e32 v19, v19, v20
	ds_write_b32 v21, v19 offset:5456
.LBB100_752:
	s_or_b64 exec, exec, s[10:11]
	v_mov_b32_e32 v19, 0
	s_waitcnt lgkmcnt(0)
	s_barrier
	buffer_wbinvl1_vol
	s_and_saveexec_b64 s[12:13], s[2:3]
	s_cbranch_execz .LBB100_758
; %bb.753:
	v_lshlrev_b32_e32 v21, 2, v6
	v_lshlrev_b32_e32 v20, 8, v11
	ds_read_b32 v19, v21 offset:5184
	ds_read_b32 v22, v20 offset:5200
	v_cmp_gt_u32_e64 s[10:11], 12, v5
	s_waitcnt lgkmcnt(0)
	v_fma_f32 v19, v19, v22, 0
	s_and_saveexec_b64 s[16:17], s[10:11]
	s_cbranch_execnz .LBB100_1177
; %bb.754:
	s_or_b64 exec, exec, s[16:17]
	v_cmp_gt_u32_e64 s[10:11], 8, v5
	s_and_saveexec_b64 s[16:17], s[10:11]
	s_cbranch_execnz .LBB100_1178
.LBB100_755:
	s_or_b64 exec, exec, s[16:17]
	v_cmp_gt_u32_e64 s[10:11], 4, v5
	s_and_saveexec_b64 s[16:17], s[10:11]
	s_cbranch_execz .LBB100_757
.LBB100_756:
	v_lshlrev_b32_e32 v20, 2, v0
	v_mov_b32_e32 v21, 0
	ds_read_b32 v20, v20 offset:5952
	ds_read_b32 v21, v21 offset:5980
	s_waitcnt lgkmcnt(0)
	v_fmac_f32_e32 v19, v20, v21
.LBB100_757:
	s_or_b64 exec, exec, s[16:17]
.LBB100_758:
	s_or_b64 exec, exec, s[12:13]
	s_and_saveexec_b64 s[10:11], s[42:43]
	s_cbranch_execz .LBB100_760
; %bb.759:
	v_mov_b32_e32 v20, 0
	ds_read_b32 v20, v20 offset:4940
	s_waitcnt lgkmcnt(0)
	v_mul_f32_e32 v19, v19, v20
	v_xor_b32_e32 v20, 0x80000000, v19
	ds_write_b32 v12, v20
.LBB100_760:
	s_or_b64 exec, exec, s[10:11]
	s_waitcnt lgkmcnt(0)
	s_barrier
	s_and_saveexec_b64 s[10:11], s[44:45]
	s_cbranch_execz .LBB100_762
; %bb.761:
	v_lshlrev_b32_e32 v20, 2, v6
	ds_read_b32 v20, v20 offset:4928
	ds_read_b32 v21, v12
	s_waitcnt lgkmcnt(0)
	v_fma_f32 v19, -v20, v21, v19
.LBB100_762:
	s_or_b64 exec, exec, s[10:11]
	s_barrier
	s_and_saveexec_b64 s[10:11], s[46:47]
	s_cbranch_execz .LBB100_764
; %bb.763:
	v_mov_b32_e32 v20, 0
	ds_read_b32 v20, v20 offset:4680
	s_waitcnt lgkmcnt(0)
	v_mul_f32_e32 v19, v19, v20
	v_xor_b32_e32 v20, 0x80000000, v19
	ds_write_b32 v12, v20
.LBB100_764:
	s_or_b64 exec, exec, s[10:11]
	s_waitcnt lgkmcnt(0)
	s_barrier
	s_and_saveexec_b64 s[10:11], s[48:49]
	s_cbranch_execz .LBB100_766
; %bb.765:
	v_lshlrev_b32_e32 v20, 2, v6
	ds_read_b32 v20, v20 offset:4672
	ds_read_b32 v21, v12
	s_waitcnt lgkmcnt(0)
	v_fma_f32 v19, -v20, v21, v19
.LBB100_766:
	s_or_b64 exec, exec, s[10:11]
	s_barrier
	s_and_saveexec_b64 s[10:11], s[50:51]
	s_cbranch_execz .LBB100_768
; %bb.767:
	v_mov_b32_e32 v20, 0
	ds_read_b32 v20, v20 offset:4420
	s_waitcnt lgkmcnt(0)
	v_mul_f32_e32 v19, v19, v20
	v_xor_b32_e32 v20, 0x80000000, v19
	ds_write_b32 v12, v20
.LBB100_768:
	s_or_b64 exec, exec, s[10:11]
	s_waitcnt lgkmcnt(0)
	s_barrier
	s_and_saveexec_b64 s[10:11], s[40:41]
	s_cbranch_execz .LBB100_770
; %bb.769:
	v_mov_b32_e32 v20, 0
	ds_read_b32 v20, v20 offset:4416
	ds_read_b32 v21, v12
	s_waitcnt lgkmcnt(0)
	v_fma_f32 v19, -v20, v21, v19
.LBB100_770:
	s_or_b64 exec, exec, s[10:11]
	s_barrier
	s_and_saveexec_b64 s[10:11], s[40:41]
	s_cbranch_execz .LBB100_772
; %bb.771:
	v_mov_b32_e32 v20, 0
	ds_read_b32 v20, v20 offset:4160
	s_waitcnt lgkmcnt(0)
	v_mul_f32_e32 v19, v19, v20
	v_xor_b32_e32 v20, 0x80000000, v19
	ds_write_b32 v12, v20
.LBB100_772:
	s_or_b64 exec, exec, s[10:11]
	s_waitcnt lgkmcnt(0)
	s_barrier
	s_barrier
	s_and_saveexec_b64 s[10:11], s[2:3]
; %bb.773:
	v_lshlrev_b32_e32 v20, 2, v6
	v_lshl_or_b32 v20, v11, 8, v20
	ds_write_b32 v20, v19 offset:5184
; %bb.774:
	s_or_b64 exec, exec, s[10:11]
	s_waitcnt lgkmcnt(0)
	s_barrier
	s_barrier
	s_and_saveexec_b64 s[10:11], vcc
	s_cbranch_execz .LBB100_776
; %bb.775:
	v_mov_b32_e32 v21, 0
	ds_read_b64 v[19:20], v21 offset:4936
	ds_read_b32 v22, v21 offset:4680
	s_waitcnt lgkmcnt(0)
	v_mul_f32_e32 v20, v22, v20
	v_mul_f32_e32 v19, v19, v20
	ds_write_b32 v21, v19 offset:4936
.LBB100_776:
	s_or_b64 exec, exec, s[10:11]
	v_mov_b32_e32 v19, 0
	s_waitcnt lgkmcnt(0)
	s_barrier
	buffer_wbinvl1_vol
	s_and_saveexec_b64 s[12:13], s[0:1]
	s_cbranch_execz .LBB100_780
; %bb.777:
	v_lshlrev_b32_e32 v19, 8, v3
	v_lshlrev_b32_e32 v20, 2, v1
	ds_read_b32 v21, v20 offset:4672
	ds_read_b32 v19, v19 offset:4680
	v_mov_b32_e32 v20, 0
	v_cmp_gt_u32_e64 s[10:11], 2, v5
	s_waitcnt lgkmcnt(0)
	v_fma_f32 v19, v21, v19, 0
	s_and_saveexec_b64 s[16:17], s[10:11]
	s_cbranch_execz .LBB100_779
; %bb.778:
	v_lshlrev_b32_e32 v21, 2, v0
	ds_read_b32 v21, v21 offset:4928
	ds_read_b32 v20, v20 offset:4940
	s_waitcnt lgkmcnt(0)
	v_fmac_f32_e32 v19, v21, v20
.LBB100_779:
	s_or_b64 exec, exec, s[16:17]
.LBB100_780:
	s_or_b64 exec, exec, s[12:13]
	s_and_saveexec_b64 s[10:11], s[38:39]
	s_cbranch_execz .LBB100_782
; %bb.781:
	v_mov_b32_e32 v20, 0
	ds_read_b32 v20, v20 offset:4420
	s_waitcnt lgkmcnt(0)
	v_mul_f32_e32 v19, v19, v20
	v_xor_b32_e32 v20, 0x80000000, v19
	ds_write_b32 v4, v20
.LBB100_782:
	s_or_b64 exec, exec, s[10:11]
	s_waitcnt lgkmcnt(0)
	s_barrier
	s_and_saveexec_b64 s[10:11], s[36:37]
	s_cbranch_execz .LBB100_784
; %bb.783:
	v_mov_b32_e32 v20, 0
	ds_read_b32 v20, v20 offset:4416
	ds_read_b32 v21, v4
	s_waitcnt lgkmcnt(0)
	v_fma_f32 v19, -v20, v21, v19
.LBB100_784:
	s_or_b64 exec, exec, s[10:11]
	s_barrier
	s_and_saveexec_b64 s[10:11], s[36:37]
	s_cbranch_execz .LBB100_786
; %bb.785:
	v_mov_b32_e32 v20, 0
	ds_read_b32 v20, v20 offset:4160
	s_waitcnt lgkmcnt(0)
	v_mul_f32_e32 v19, v19, v20
	v_xor_b32_e32 v20, 0x80000000, v19
	ds_write_b32 v4, v20
.LBB100_786:
	s_or_b64 exec, exec, s[10:11]
	s_waitcnt lgkmcnt(0)
	s_barrier
	s_barrier
	s_and_saveexec_b64 s[10:11], s[0:1]
; %bb.787:
	v_lshlrev_b32_e32 v20, 2, v1
	v_lshl_or_b32 v20, v3, 8, v20
	ds_write_b32 v20, v19 offset:4672
; %bb.788:
	s_or_b64 exec, exec, s[10:11]
	s_waitcnt lgkmcnt(0)
	s_barrier
	s_barrier
	s_and_saveexec_b64 s[10:11], vcc
	s_cbranch_execz .LBB100_790
; %bb.789:
	v_mov_b32_e32 v21, 0
	ds_read_b64 v[19:20], v21 offset:4416
	ds_read_b32 v22, v21 offset:4160
	s_waitcnt lgkmcnt(0)
	v_mul_f32_e32 v20, v22, v20
	v_mul_f32_e32 v19, v19, v20
	ds_write_b32 v21, v19 offset:4416
.LBB100_790:
	s_or_b64 exec, exec, s[10:11]
	v_mov_b32_e32 v19, 0
	s_waitcnt lgkmcnt(0)
	s_barrier
	buffer_wbinvl1_vol
	s_and_saveexec_b64 s[12:13], s[8:9]
	s_cbranch_execz .LBB100_818
; %bb.791:
	v_lshlrev_b32_e32 v21, 2, v16
	v_lshlrev_b32_e32 v20, 8, v17
	ds_read_b32 v19, v21 offset:4096
	ds_read_b32 v22, v20 offset:4160
	s_movk_i32 s10, 0xf0
	v_cmp_gt_u32_e64 s[10:11], s10, v5
	s_waitcnt lgkmcnt(0)
	v_fma_f32 v19, v19, v22, 0
	s_and_saveexec_b64 s[16:17], s[10:11]
	s_cbranch_execz .LBB100_793
; %bb.792:
	ds_read_b32 v22, v21 offset:4352
	ds_read_b32 v23, v20 offset:4164
	s_waitcnt lgkmcnt(0)
	v_fmac_f32_e32 v19, v22, v23
.LBB100_793:
	s_or_b64 exec, exec, s[16:17]
	s_movk_i32 s10, 0xe0
	v_cmp_gt_u32_e64 s[10:11], s10, v5
	s_and_saveexec_b64 s[16:17], s[10:11]
	s_cbranch_execz .LBB100_795
; %bb.794:
	ds_read_b32 v22, v21 offset:4608
	ds_read_b32 v23, v20 offset:4168
	s_waitcnt lgkmcnt(0)
	v_fmac_f32_e32 v19, v22, v23
.LBB100_795:
	s_or_b64 exec, exec, s[16:17]
	s_movk_i32 s10, 0xd0
	v_cmp_gt_u32_e64 s[10:11], s10, v5
	;; [unrolled: 11-line block ×10, first 2 shown]
	s_and_saveexec_b64 s[16:17], s[10:11]
	s_cbranch_execnz .LBB100_1179
; %bb.812:
	s_or_b64 exec, exec, s[16:17]
	s_and_saveexec_b64 s[10:11], s[14:15]
	s_cbranch_execnz .LBB100_1180
.LBB100_813:
	s_or_b64 exec, exec, s[10:11]
	v_cmp_gt_u32_e64 s[10:11], 48, v5
	s_and_saveexec_b64 s[16:17], s[10:11]
	s_cbranch_execnz .LBB100_1181
.LBB100_814:
	s_or_b64 exec, exec, s[16:17]
	v_cmp_gt_u32_e64 s[10:11], 32, v5
	s_and_saveexec_b64 s[16:17], s[10:11]
	s_cbranch_execnz .LBB100_1182
.LBB100_815:
	s_or_b64 exec, exec, s[16:17]
	v_cmp_gt_u32_e64 s[10:11], 16, v5
	s_and_saveexec_b64 s[16:17], s[10:11]
	s_cbranch_execz .LBB100_817
.LBB100_816:
	v_lshlrev_b32_e32 v20, 2, v0
	v_mov_b32_e32 v21, 0
	ds_read_b32 v20, v20 offset:7936
	ds_read_b32 v21, v21 offset:8060
	s_waitcnt lgkmcnt(0)
	v_fmac_f32_e32 v19, v20, v21
.LBB100_817:
	s_or_b64 exec, exec, s[16:17]
.LBB100_818:
	s_or_b64 exec, exec, s[12:13]
	s_mov_b64 s[10:11], exec
	v_readlane_b32 s12, v27, 2
	v_readlane_b32 s13, v27, 3
	s_and_b64 s[12:13], s[10:11], s[12:13]
	s_mov_b64 exec, s[12:13]
	s_cbranch_execz .LBB100_820
; %bb.819:
	v_mov_b32_e32 v20, 0
	ds_read_b32 v20, v20 offset:3900
	s_waitcnt lgkmcnt(0)
	v_mul_f32_e32 v19, v19, v20
	v_xor_b32_e32 v20, 0x80000000, v19
	ds_write_b32 v18, v20
.LBB100_820:
	s_or_b64 exec, exec, s[10:11]
	s_waitcnt lgkmcnt(0)
	s_barrier
	s_mov_b64 s[10:11], exec
	v_readlane_b32 s12, v27, 4
	v_readlane_b32 s13, v27, 5
	s_and_b64 s[12:13], s[10:11], s[12:13]
	s_mov_b64 exec, s[12:13]
	s_cbranch_execz .LBB100_822
; %bb.821:
	v_lshlrev_b32_e32 v20, 2, v16
	ds_read_b32 v20, v20 offset:3840
	ds_read_b32 v21, v18
	s_waitcnt lgkmcnt(0)
	v_fma_f32 v19, -v20, v21, v19
.LBB100_822:
	s_or_b64 exec, exec, s[10:11]
	s_barrier
	s_mov_b64 s[10:11], exec
	v_readlane_b32 s12, v27, 6
	v_readlane_b32 s13, v27, 7
	s_and_b64 s[12:13], s[10:11], s[12:13]
	s_mov_b64 exec, s[12:13]
	s_cbranch_execz .LBB100_824
; %bb.823:
	v_mov_b32_e32 v20, 0
	ds_read_b32 v20, v20 offset:3640
	s_waitcnt lgkmcnt(0)
	v_mul_f32_e32 v19, v19, v20
	v_xor_b32_e32 v20, 0x80000000, v19
	ds_write_b32 v18, v20
.LBB100_824:
	s_or_b64 exec, exec, s[10:11]
	s_waitcnt lgkmcnt(0)
	s_barrier
	s_mov_b64 s[10:11], exec
	v_readlane_b32 s12, v27, 8
	v_readlane_b32 s13, v27, 9
	s_and_b64 s[12:13], s[10:11], s[12:13]
	s_mov_b64 exec, s[12:13]
	s_cbranch_execz .LBB100_826
; %bb.825:
	v_lshlrev_b32_e32 v20, 2, v16
	ds_read_b32 v20, v20 offset:3584
	ds_read_b32 v21, v18
	s_waitcnt lgkmcnt(0)
	v_fma_f32 v19, -v20, v21, v19
.LBB100_826:
	s_or_b64 exec, exec, s[10:11]
	s_barrier
	;; [unrolled: 32-line block ×13, first 2 shown]
	s_and_saveexec_b64 s[10:11], s[86:87]
	s_cbranch_execz .LBB100_872
; %bb.871:
	v_mov_b32_e32 v20, 0
	ds_read_b32 v20, v20 offset:520
	s_waitcnt lgkmcnt(0)
	v_mul_f32_e32 v19, v19, v20
	v_xor_b32_e32 v20, 0x80000000, v19
	ds_write_b32 v18, v20
.LBB100_872:
	s_or_b64 exec, exec, s[10:11]
	s_waitcnt lgkmcnt(0)
	s_barrier
	s_and_saveexec_b64 s[10:11], s[88:89]
	s_cbranch_execz .LBB100_874
; %bb.873:
	v_lshlrev_b32_e32 v20, 2, v16
	ds_read_b32 v20, v20 offset:512
	ds_read_b32 v21, v18
	s_waitcnt lgkmcnt(0)
	v_fma_f32 v19, -v20, v21, v19
.LBB100_874:
	s_or_b64 exec, exec, s[10:11]
	s_barrier
	s_and_saveexec_b64 s[10:11], s[92:93]
	s_cbranch_execz .LBB100_876
; %bb.875:
	v_mov_b32_e32 v20, 0
	ds_read_b32 v20, v20 offset:260
	s_waitcnt lgkmcnt(0)
	v_mul_f32_e32 v19, v19, v20
	v_xor_b32_e32 v20, 0x80000000, v19
	ds_write_b32 v18, v20
.LBB100_876:
	s_or_b64 exec, exec, s[10:11]
	s_waitcnt lgkmcnt(0)
	s_barrier
	s_and_saveexec_b64 s[10:11], s[90:91]
	s_cbranch_execz .LBB100_878
; %bb.877:
	v_mov_b32_e32 v20, 0
	ds_read_b32 v20, v20 offset:256
	ds_read_b32 v21, v18
	s_waitcnt lgkmcnt(0)
	v_fma_f32 v19, -v20, v21, v19
.LBB100_878:
	s_or_b64 exec, exec, s[10:11]
	s_barrier
	s_and_saveexec_b64 s[10:11], s[90:91]
	s_cbranch_execz .LBB100_880
; %bb.879:
	v_mov_b32_e32 v20, 0
	ds_read_b32 v20, v20
	s_waitcnt lgkmcnt(0)
	v_mul_f32_e32 v19, v19, v20
	v_xor_b32_e32 v20, 0x80000000, v19
	ds_write_b32 v18, v20
.LBB100_880:
	s_or_b64 exec, exec, s[10:11]
	s_waitcnt lgkmcnt(0)
	s_barrier
	s_barrier
	s_and_saveexec_b64 s[10:11], s[8:9]
; %bb.881:
	v_lshlrev_b32_e32 v16, 2, v16
	v_lshl_or_b32 v16, v17, 8, v16
	ds_write_b32 v16, v19 offset:4096
; %bb.882:
	s_or_b64 exec, exec, s[10:11]
	s_waitcnt lgkmcnt(0)
	s_barrier
	s_barrier
	s_and_saveexec_b64 s[8:9], vcc
	s_cbranch_execz .LBB100_884
; %bb.883:
	v_mov_b32_e32 v18, 0
	ds_read_b64 v[16:17], v18 offset:3896
	ds_read_b32 v19, v18 offset:3640
	s_waitcnt lgkmcnt(0)
	v_mul_f32_e32 v17, v19, v17
	v_mul_f32_e32 v16, v16, v17
	ds_write_b32 v18, v16 offset:3896
.LBB100_884:
	s_or_b64 exec, exec, s[8:9]
	v_mov_b32_e32 v16, 0
	s_waitcnt lgkmcnt(0)
	s_barrier
	buffer_wbinvl1_vol
	s_and_saveexec_b64 s[10:11], s[0:1]
	s_cbranch_execz .LBB100_888
; %bb.885:
	v_lshlrev_b32_e32 v16, 8, v3
	v_lshlrev_b32_e32 v17, 2, v1
	ds_read_b32 v18, v17 offset:3632
	ds_read_b32 v16, v16 offset:3640
	v_mov_b32_e32 v17, 0
	v_cmp_gt_u32_e64 s[8:9], 2, v5
	s_waitcnt lgkmcnt(0)
	v_fma_f32 v16, v18, v16, 0
	s_and_saveexec_b64 s[12:13], s[8:9]
	s_cbranch_execz .LBB100_887
; %bb.886:
	v_lshlrev_b32_e32 v18, 2, v0
	ds_read_b32 v18, v18 offset:3888
	ds_read_b32 v17, v17 offset:3900
	s_waitcnt lgkmcnt(0)
	v_fmac_f32_e32 v16, v18, v17
.LBB100_887:
	s_or_b64 exec, exec, s[12:13]
.LBB100_888:
	s_or_b64 exec, exec, s[10:11]
	s_and_saveexec_b64 s[8:9], s[38:39]
	s_cbranch_execz .LBB100_890
; %bb.889:
	v_mov_b32_e32 v17, 0
	ds_read_b32 v17, v17 offset:3380
	s_waitcnt lgkmcnt(0)
	v_mul_f32_e32 v16, v16, v17
	v_xor_b32_e32 v17, 0x80000000, v16
	ds_write_b32 v4, v17
.LBB100_890:
	s_or_b64 exec, exec, s[8:9]
	s_waitcnt lgkmcnt(0)
	s_barrier
	s_and_saveexec_b64 s[8:9], s[36:37]
	s_cbranch_execz .LBB100_892
; %bb.891:
	v_mov_b32_e32 v17, 0
	ds_read_b32 v17, v17 offset:3376
	ds_read_b32 v18, v4
	s_waitcnt lgkmcnt(0)
	v_fma_f32 v16, -v17, v18, v16
.LBB100_892:
	s_or_b64 exec, exec, s[8:9]
	s_barrier
	s_and_saveexec_b64 s[8:9], s[36:37]
	s_cbranch_execz .LBB100_894
; %bb.893:
	v_mov_b32_e32 v17, 0
	ds_read_b32 v17, v17 offset:3120
	s_waitcnt lgkmcnt(0)
	v_mul_f32_e32 v16, v16, v17
	v_xor_b32_e32 v17, 0x80000000, v16
	ds_write_b32 v4, v17
.LBB100_894:
	s_or_b64 exec, exec, s[8:9]
	s_waitcnt lgkmcnt(0)
	s_barrier
	s_barrier
	s_and_saveexec_b64 s[8:9], s[0:1]
; %bb.895:
	v_lshlrev_b32_e32 v17, 2, v1
	v_lshl_or_b32 v17, v3, 8, v17
	ds_write_b32 v17, v16 offset:3632
; %bb.896:
	s_or_b64 exec, exec, s[8:9]
	s_waitcnt lgkmcnt(0)
	s_barrier
	s_barrier
	s_and_saveexec_b64 s[8:9], vcc
	s_cbranch_execz .LBB100_898
; %bb.897:
	v_mov_b32_e32 v18, 0
	ds_read_b64 v[16:17], v18 offset:3376
	ds_read_b32 v19, v18 offset:3120
	s_waitcnt lgkmcnt(0)
	v_mul_f32_e32 v17, v19, v17
	v_mul_f32_e32 v16, v16, v17
	ds_write_b32 v18, v16 offset:3376
.LBB100_898:
	s_or_b64 exec, exec, s[8:9]
	v_mov_b32_e32 v16, 0
	s_waitcnt lgkmcnt(0)
	s_barrier
	buffer_wbinvl1_vol
	s_and_saveexec_b64 s[10:11], s[2:3]
	s_cbranch_execz .LBB100_904
; %bb.899:
	v_lshlrev_b32_e32 v18, 2, v6
	v_lshlrev_b32_e32 v17, 8, v11
	ds_read_b32 v16, v18 offset:3104
	ds_read_b32 v19, v17 offset:3120
	v_cmp_gt_u32_e64 s[8:9], 12, v5
	s_waitcnt lgkmcnt(0)
	v_fma_f32 v16, v16, v19, 0
	s_and_saveexec_b64 s[12:13], s[8:9]
	s_cbranch_execnz .LBB100_1183
; %bb.900:
	s_or_b64 exec, exec, s[12:13]
	v_cmp_gt_u32_e64 s[8:9], 8, v5
	s_and_saveexec_b64 s[12:13], s[8:9]
	s_cbranch_execnz .LBB100_1184
.LBB100_901:
	s_or_b64 exec, exec, s[12:13]
	v_cmp_gt_u32_e64 s[8:9], 4, v5
	s_and_saveexec_b64 s[12:13], s[8:9]
	s_cbranch_execz .LBB100_903
.LBB100_902:
	v_lshlrev_b32_e32 v17, 2, v0
	v_mov_b32_e32 v18, 0
	ds_read_b32 v17, v17 offset:3872
	ds_read_b32 v18, v18 offset:3900
	s_waitcnt lgkmcnt(0)
	v_fmac_f32_e32 v16, v17, v18
.LBB100_903:
	s_or_b64 exec, exec, s[12:13]
.LBB100_904:
	s_or_b64 exec, exec, s[10:11]
	s_and_saveexec_b64 s[8:9], s[42:43]
	s_cbranch_execz .LBB100_906
; %bb.905:
	v_mov_b32_e32 v17, 0
	ds_read_b32 v17, v17 offset:2860
	s_waitcnt lgkmcnt(0)
	v_mul_f32_e32 v16, v16, v17
	v_xor_b32_e32 v17, 0x80000000, v16
	ds_write_b32 v12, v17
.LBB100_906:
	s_or_b64 exec, exec, s[8:9]
	s_waitcnt lgkmcnt(0)
	s_barrier
	s_and_saveexec_b64 s[8:9], s[44:45]
	s_cbranch_execz .LBB100_908
; %bb.907:
	v_lshlrev_b32_e32 v17, 2, v6
	ds_read_b32 v17, v17 offset:2848
	ds_read_b32 v18, v12
	s_waitcnt lgkmcnt(0)
	v_fma_f32 v16, -v17, v18, v16
.LBB100_908:
	s_or_b64 exec, exec, s[8:9]
	s_barrier
	s_and_saveexec_b64 s[8:9], s[46:47]
	s_cbranch_execz .LBB100_910
; %bb.909:
	v_mov_b32_e32 v17, 0
	ds_read_b32 v17, v17 offset:2600
	s_waitcnt lgkmcnt(0)
	v_mul_f32_e32 v16, v16, v17
	v_xor_b32_e32 v17, 0x80000000, v16
	ds_write_b32 v12, v17
.LBB100_910:
	s_or_b64 exec, exec, s[8:9]
	s_waitcnt lgkmcnt(0)
	s_barrier
	s_and_saveexec_b64 s[8:9], s[48:49]
	s_cbranch_execz .LBB100_912
; %bb.911:
	v_lshlrev_b32_e32 v17, 2, v6
	ds_read_b32 v17, v17 offset:2592
	ds_read_b32 v18, v12
	s_waitcnt lgkmcnt(0)
	v_fma_f32 v16, -v17, v18, v16
.LBB100_912:
	s_or_b64 exec, exec, s[8:9]
	s_barrier
	s_and_saveexec_b64 s[8:9], s[50:51]
	s_cbranch_execz .LBB100_914
; %bb.913:
	v_mov_b32_e32 v17, 0
	ds_read_b32 v17, v17 offset:2340
	s_waitcnt lgkmcnt(0)
	v_mul_f32_e32 v16, v16, v17
	v_xor_b32_e32 v17, 0x80000000, v16
	ds_write_b32 v12, v17
.LBB100_914:
	s_or_b64 exec, exec, s[8:9]
	s_waitcnt lgkmcnt(0)
	s_barrier
	s_and_saveexec_b64 s[8:9], s[40:41]
	s_cbranch_execz .LBB100_916
; %bb.915:
	v_mov_b32_e32 v17, 0
	ds_read_b32 v17, v17 offset:2336
	ds_read_b32 v18, v12
	s_waitcnt lgkmcnt(0)
	v_fma_f32 v16, -v17, v18, v16
.LBB100_916:
	s_or_b64 exec, exec, s[8:9]
	s_barrier
	s_and_saveexec_b64 s[8:9], s[40:41]
	s_cbranch_execz .LBB100_918
; %bb.917:
	v_mov_b32_e32 v17, 0
	ds_read_b32 v17, v17 offset:2080
	s_waitcnt lgkmcnt(0)
	v_mul_f32_e32 v16, v16, v17
	v_xor_b32_e32 v17, 0x80000000, v16
	ds_write_b32 v12, v17
.LBB100_918:
	s_or_b64 exec, exec, s[8:9]
	s_waitcnt lgkmcnt(0)
	s_barrier
	s_barrier
	s_and_saveexec_b64 s[8:9], s[2:3]
; %bb.919:
	v_lshlrev_b32_e32 v17, 2, v6
	v_lshl_or_b32 v17, v11, 8, v17
	ds_write_b32 v17, v16 offset:3104
; %bb.920:
	s_or_b64 exec, exec, s[8:9]
	s_waitcnt lgkmcnt(0)
	s_barrier
	s_barrier
	s_and_saveexec_b64 s[8:9], vcc
	s_cbranch_execz .LBB100_922
; %bb.921:
	v_mov_b32_e32 v18, 0
	ds_read_b64 v[16:17], v18 offset:2856
	ds_read_b32 v19, v18 offset:2600
	s_waitcnt lgkmcnt(0)
	v_mul_f32_e32 v17, v19, v17
	v_mul_f32_e32 v16, v16, v17
	ds_write_b32 v18, v16 offset:2856
.LBB100_922:
	s_or_b64 exec, exec, s[8:9]
	v_mov_b32_e32 v16, 0
	s_waitcnt lgkmcnt(0)
	s_barrier
	buffer_wbinvl1_vol
	s_and_saveexec_b64 s[10:11], s[0:1]
	s_cbranch_execz .LBB100_926
; %bb.923:
	v_lshlrev_b32_e32 v16, 8, v3
	v_lshlrev_b32_e32 v17, 2, v1
	ds_read_b32 v18, v17 offset:2592
	ds_read_b32 v16, v16 offset:2600
	v_mov_b32_e32 v17, 0
	v_cmp_gt_u32_e64 s[8:9], 2, v5
	s_waitcnt lgkmcnt(0)
	v_fma_f32 v16, v18, v16, 0
	s_and_saveexec_b64 s[12:13], s[8:9]
	s_cbranch_execz .LBB100_925
; %bb.924:
	v_lshlrev_b32_e32 v18, 2, v0
	ds_read_b32 v18, v18 offset:2848
	ds_read_b32 v17, v17 offset:2860
	s_waitcnt lgkmcnt(0)
	v_fmac_f32_e32 v16, v18, v17
.LBB100_925:
	s_or_b64 exec, exec, s[12:13]
.LBB100_926:
	s_or_b64 exec, exec, s[10:11]
	s_and_saveexec_b64 s[8:9], s[38:39]
	s_cbranch_execz .LBB100_928
; %bb.927:
	v_mov_b32_e32 v17, 0
	ds_read_b32 v17, v17 offset:2340
	s_waitcnt lgkmcnt(0)
	v_mul_f32_e32 v16, v16, v17
	v_xor_b32_e32 v17, 0x80000000, v16
	ds_write_b32 v4, v17
.LBB100_928:
	s_or_b64 exec, exec, s[8:9]
	s_waitcnt lgkmcnt(0)
	s_barrier
	s_and_saveexec_b64 s[8:9], s[36:37]
	s_cbranch_execz .LBB100_930
; %bb.929:
	v_mov_b32_e32 v17, 0
	ds_read_b32 v17, v17 offset:2336
	ds_read_b32 v18, v4
	s_waitcnt lgkmcnt(0)
	v_fma_f32 v16, -v17, v18, v16
.LBB100_930:
	s_or_b64 exec, exec, s[8:9]
	s_barrier
	s_and_saveexec_b64 s[8:9], s[36:37]
	s_cbranch_execz .LBB100_932
; %bb.931:
	v_mov_b32_e32 v17, 0
	ds_read_b32 v17, v17 offset:2080
	s_waitcnt lgkmcnt(0)
	v_mul_f32_e32 v16, v16, v17
	v_xor_b32_e32 v17, 0x80000000, v16
	ds_write_b32 v4, v17
.LBB100_932:
	s_or_b64 exec, exec, s[8:9]
	s_waitcnt lgkmcnt(0)
	s_barrier
	s_barrier
	s_and_saveexec_b64 s[8:9], s[0:1]
; %bb.933:
	v_lshlrev_b32_e32 v17, 2, v1
	v_lshl_or_b32 v17, v3, 8, v17
	ds_write_b32 v17, v16 offset:2592
; %bb.934:
	s_or_b64 exec, exec, s[8:9]
	s_waitcnt lgkmcnt(0)
	s_barrier
	s_barrier
	s_and_saveexec_b64 s[8:9], vcc
	s_cbranch_execz .LBB100_936
; %bb.935:
	v_mov_b32_e32 v18, 0
	ds_read_b64 v[16:17], v18 offset:2336
	ds_read_b32 v19, v18 offset:2080
	s_waitcnt lgkmcnt(0)
	v_mul_f32_e32 v17, v19, v17
	v_mul_f32_e32 v16, v16, v17
	ds_write_b32 v18, v16 offset:2336
.LBB100_936:
	s_or_b64 exec, exec, s[8:9]
	v_mov_b32_e32 v16, 0
	s_waitcnt lgkmcnt(0)
	s_barrier
	buffer_wbinvl1_vol
	s_and_saveexec_b64 s[10:11], s[14:15]
	s_cbranch_execz .LBB100_946
; %bb.937:
	v_lshlrev_b32_e32 v18, 2, v13
	v_lshlrev_b32_e32 v17, 8, v14
	ds_read_b32 v16, v18 offset:2048
	ds_read_b32 v19, v17 offset:2080
	v_cmp_gt_u32_e64 s[8:9], 56, v5
	s_waitcnt lgkmcnt(0)
	v_fma_f32 v16, v16, v19, 0
	s_and_saveexec_b64 s[12:13], s[8:9]
	s_cbranch_execnz .LBB100_1185
; %bb.938:
	s_or_b64 exec, exec, s[12:13]
	v_cmp_gt_u32_e64 s[8:9], 48, v5
	s_and_saveexec_b64 s[12:13], s[8:9]
	s_cbranch_execnz .LBB100_1186
.LBB100_939:
	s_or_b64 exec, exec, s[12:13]
	v_cmp_gt_u32_e64 s[8:9], 40, v5
	s_and_saveexec_b64 s[12:13], s[8:9]
	s_cbranch_execnz .LBB100_1187
.LBB100_940:
	s_or_b64 exec, exec, s[12:13]
	v_cmp_gt_u32_e64 s[8:9], 32, v5
	s_and_saveexec_b64 s[12:13], s[8:9]
	s_cbranch_execnz .LBB100_1188
.LBB100_941:
	s_or_b64 exec, exec, s[12:13]
	v_cmp_gt_u32_e64 s[8:9], 24, v5
	s_and_saveexec_b64 s[12:13], s[8:9]
	s_cbranch_execnz .LBB100_1189
.LBB100_942:
	s_or_b64 exec, exec, s[12:13]
	s_and_saveexec_b64 s[8:9], s[2:3]
	s_cbranch_execnz .LBB100_1190
.LBB100_943:
	s_or_b64 exec, exec, s[8:9]
	v_cmp_gt_u32_e64 s[8:9], 8, v5
	s_and_saveexec_b64 s[12:13], s[8:9]
	s_cbranch_execz .LBB100_945
.LBB100_944:
	v_lshlrev_b32_e32 v17, 2, v0
	v_mov_b32_e32 v18, 0
	ds_read_b32 v17, v17 offset:3840
	ds_read_b32 v18, v18 offset:3900
	s_waitcnt lgkmcnt(0)
	v_fmac_f32_e32 v16, v17, v18
.LBB100_945:
	s_or_b64 exec, exec, s[12:13]
.LBB100_946:
	s_or_b64 exec, exec, s[10:11]
	s_and_saveexec_b64 s[8:9], s[52:53]
	s_cbranch_execz .LBB100_948
; %bb.947:
	v_mov_b32_e32 v17, 0
	ds_read_b32 v17, v17 offset:1820
	s_waitcnt lgkmcnt(0)
	v_mul_f32_e32 v16, v16, v17
	v_xor_b32_e32 v17, 0x80000000, v16
	ds_write_b32 v15, v17
.LBB100_948:
	s_or_b64 exec, exec, s[8:9]
	s_waitcnt lgkmcnt(0)
	s_barrier
	s_and_saveexec_b64 s[8:9], s[54:55]
	v_readlane_b32 s52, v27, 1
	s_cbranch_execz .LBB100_950
; %bb.949:
	v_lshlrev_b32_e32 v17, 2, v13
	ds_read_b32 v17, v17 offset:1792
	ds_read_b32 v18, v15
	s_waitcnt lgkmcnt(0)
	v_fma_f32 v16, -v17, v18, v16
.LBB100_950:
	s_or_b64 exec, exec, s[8:9]
	s_barrier
	s_and_saveexec_b64 s[8:9], s[56:57]
	s_cbranch_execz .LBB100_952
; %bb.951:
	v_mov_b32_e32 v17, 0
	ds_read_b32 v17, v17 offset:1560
	s_waitcnt lgkmcnt(0)
	v_mul_f32_e32 v16, v16, v17
	v_xor_b32_e32 v17, 0x80000000, v16
	ds_write_b32 v15, v17
.LBB100_952:
	s_or_b64 exec, exec, s[8:9]
	s_waitcnt lgkmcnt(0)
	s_barrier
	s_and_saveexec_b64 s[8:9], s[58:59]
	s_cbranch_execz .LBB100_954
; %bb.953:
	v_lshlrev_b32_e32 v17, 2, v13
	ds_read_b32 v17, v17 offset:1536
	ds_read_b32 v18, v15
	s_waitcnt lgkmcnt(0)
	v_fma_f32 v16, -v17, v18, v16
.LBB100_954:
	s_or_b64 exec, exec, s[8:9]
	s_barrier
	s_and_saveexec_b64 s[8:9], s[60:61]
	s_cbranch_execz .LBB100_956
; %bb.955:
	v_mov_b32_e32 v17, 0
	ds_read_b32 v17, v17 offset:1300
	s_waitcnt lgkmcnt(0)
	v_mul_f32_e32 v16, v16, v17
	v_xor_b32_e32 v17, 0x80000000, v16
	ds_write_b32 v15, v17
.LBB100_956:
	s_or_b64 exec, exec, s[8:9]
	s_waitcnt lgkmcnt(0)
	s_barrier
	s_and_saveexec_b64 s[8:9], s[64:65]
	;; [unrolled: 24-line block ×6, first 2 shown]
	s_cbranch_execz .LBB100_974
; %bb.973:
	v_mov_b32_e32 v17, 0
	ds_read_b32 v17, v17 offset:256
	ds_read_b32 v18, v15
	s_waitcnt lgkmcnt(0)
	v_fma_f32 v16, -v17, v18, v16
.LBB100_974:
	s_or_b64 exec, exec, s[8:9]
	s_barrier
	s_and_saveexec_b64 s[8:9], s[62:63]
	s_cbranch_execz .LBB100_976
; %bb.975:
	v_mov_b32_e32 v17, 0
	ds_read_b32 v17, v17
	s_waitcnt lgkmcnt(0)
	v_mul_f32_e32 v16, v16, v17
	v_xor_b32_e32 v17, 0x80000000, v16
	ds_write_b32 v15, v17
.LBB100_976:
	s_or_b64 exec, exec, s[8:9]
	s_waitcnt lgkmcnt(0)
	s_barrier
	s_barrier
	s_and_saveexec_b64 s[8:9], s[14:15]
; %bb.977:
	v_lshlrev_b32_e32 v13, 2, v13
	v_lshl_or_b32 v13, v14, 8, v13
	ds_write_b32 v13, v16 offset:2048
; %bb.978:
	s_or_b64 exec, exec, s[8:9]
	s_waitcnt lgkmcnt(0)
	s_barrier
	s_barrier
	s_and_saveexec_b64 s[8:9], vcc
	s_cbranch_execz .LBB100_980
; %bb.979:
	v_mov_b32_e32 v15, 0
	ds_read_b64 v[13:14], v15 offset:1816
	ds_read_b32 v16, v15 offset:1560
	s_waitcnt lgkmcnt(0)
	v_mul_f32_e32 v14, v16, v14
	v_mul_f32_e32 v13, v13, v14
	ds_write_b32 v15, v13 offset:1816
.LBB100_980:
	s_or_b64 exec, exec, s[8:9]
	v_mov_b32_e32 v13, 0
	s_waitcnt lgkmcnt(0)
	s_barrier
	buffer_wbinvl1_vol
	s_and_saveexec_b64 s[10:11], s[0:1]
	s_cbranch_execz .LBB100_984
; %bb.981:
	v_lshlrev_b32_e32 v13, 8, v3
	v_lshlrev_b32_e32 v14, 2, v1
	ds_read_b32 v15, v14 offset:1552
	ds_read_b32 v13, v13 offset:1560
	v_mov_b32_e32 v14, 0
	v_cmp_gt_u32_e64 s[8:9], 2, v5
	s_waitcnt lgkmcnt(0)
	v_fma_f32 v13, v15, v13, 0
	s_and_saveexec_b64 s[12:13], s[8:9]
	s_cbranch_execz .LBB100_983
; %bb.982:
	v_lshlrev_b32_e32 v15, 2, v0
	ds_read_b32 v15, v15 offset:1808
	ds_read_b32 v14, v14 offset:1820
	s_waitcnt lgkmcnt(0)
	v_fmac_f32_e32 v13, v15, v14
.LBB100_983:
	s_or_b64 exec, exec, s[12:13]
.LBB100_984:
	s_or_b64 exec, exec, s[10:11]
	s_and_saveexec_b64 s[8:9], s[38:39]
	s_cbranch_execz .LBB100_986
; %bb.985:
	v_mov_b32_e32 v14, 0
	ds_read_b32 v14, v14 offset:1300
	s_waitcnt lgkmcnt(0)
	v_mul_f32_e32 v13, v13, v14
	v_xor_b32_e32 v14, 0x80000000, v13
	ds_write_b32 v4, v14
.LBB100_986:
	s_or_b64 exec, exec, s[8:9]
	s_waitcnt lgkmcnt(0)
	s_barrier
	s_and_saveexec_b64 s[8:9], s[36:37]
	s_cbranch_execz .LBB100_988
; %bb.987:
	v_mov_b32_e32 v14, 0
	ds_read_b32 v14, v14 offset:1296
	ds_read_b32 v15, v4
	s_waitcnt lgkmcnt(0)
	v_fma_f32 v13, -v14, v15, v13
.LBB100_988:
	s_or_b64 exec, exec, s[8:9]
	s_barrier
	s_and_saveexec_b64 s[8:9], s[36:37]
	s_cbranch_execz .LBB100_990
; %bb.989:
	v_mov_b32_e32 v14, 0
	ds_read_b32 v14, v14 offset:1040
	s_waitcnt lgkmcnt(0)
	v_mul_f32_e32 v13, v13, v14
	v_xor_b32_e32 v14, 0x80000000, v13
	ds_write_b32 v4, v14
.LBB100_990:
	s_or_b64 exec, exec, s[8:9]
	s_waitcnt lgkmcnt(0)
	s_barrier
	s_barrier
	s_and_saveexec_b64 s[8:9], s[0:1]
; %bb.991:
	v_lshlrev_b32_e32 v14, 2, v1
	v_lshl_or_b32 v14, v3, 8, v14
	ds_write_b32 v14, v13 offset:1552
; %bb.992:
	s_or_b64 exec, exec, s[8:9]
	s_waitcnt lgkmcnt(0)
	s_barrier
	s_barrier
	s_and_saveexec_b64 s[8:9], vcc
	s_cbranch_execz .LBB100_994
; %bb.993:
	v_mov_b32_e32 v15, 0
	ds_read_b64 v[13:14], v15 offset:1296
	ds_read_b32 v16, v15 offset:1040
	s_waitcnt lgkmcnt(0)
	v_mul_f32_e32 v14, v16, v14
	v_mul_f32_e32 v13, v13, v14
	ds_write_b32 v15, v13 offset:1296
.LBB100_994:
	s_or_b64 exec, exec, s[8:9]
	v_mov_b32_e32 v13, 0
	s_waitcnt lgkmcnt(0)
	s_barrier
	buffer_wbinvl1_vol
	s_and_saveexec_b64 s[10:11], s[2:3]
	s_cbranch_execz .LBB100_1000
; %bb.995:
	v_lshlrev_b32_e32 v15, 2, v6
	v_lshlrev_b32_e32 v14, 8, v11
	ds_read_b32 v13, v15 offset:1024
	ds_read_b32 v16, v14 offset:1040
	v_cmp_gt_u32_e64 s[8:9], 12, v5
	s_waitcnt lgkmcnt(0)
	v_fma_f32 v13, v13, v16, 0
	s_and_saveexec_b64 s[12:13], s[8:9]
	s_cbranch_execnz .LBB100_1191
; %bb.996:
	s_or_b64 exec, exec, s[12:13]
	v_cmp_gt_u32_e64 s[8:9], 8, v5
	s_and_saveexec_b64 s[12:13], s[8:9]
	s_cbranch_execnz .LBB100_1192
.LBB100_997:
	s_or_b64 exec, exec, s[12:13]
	v_cmp_gt_u32_e64 s[8:9], 4, v5
	s_and_saveexec_b64 s[12:13], s[8:9]
	s_cbranch_execz .LBB100_999
.LBB100_998:
	v_lshlrev_b32_e32 v14, 2, v0
	v_mov_b32_e32 v15, 0
	ds_read_b32 v14, v14 offset:1792
	ds_read_b32 v15, v15 offset:1820
	s_waitcnt lgkmcnt(0)
	v_fmac_f32_e32 v13, v14, v15
.LBB100_999:
	s_or_b64 exec, exec, s[12:13]
.LBB100_1000:
	s_or_b64 exec, exec, s[10:11]
	s_and_saveexec_b64 s[8:9], s[42:43]
	s_cbranch_execz .LBB100_1002
; %bb.1001:
	v_mov_b32_e32 v14, 0
	ds_read_b32 v14, v14 offset:780
	s_waitcnt lgkmcnt(0)
	v_mul_f32_e32 v13, v13, v14
	v_xor_b32_e32 v14, 0x80000000, v13
	ds_write_b32 v12, v14
.LBB100_1002:
	s_or_b64 exec, exec, s[8:9]
	s_waitcnt lgkmcnt(0)
	s_barrier
	s_and_saveexec_b64 s[8:9], s[44:45]
	s_load_dword s42, s[4:5], 0x6c
	v_readlane_b32 s43, v27, 0
	s_cbranch_execz .LBB100_1004
; %bb.1003:
	v_lshlrev_b32_e32 v14, 2, v6
	ds_read_b32 v14, v14 offset:768
	ds_read_b32 v15, v12
	s_waitcnt lgkmcnt(0)
	v_fma_f32 v13, -v14, v15, v13
.LBB100_1004:
	s_or_b64 exec, exec, s[8:9]
	s_waitcnt lgkmcnt(0)
	s_barrier
	s_and_saveexec_b64 s[8:9], s[46:47]
	s_cbranch_execz .LBB100_1006
; %bb.1005:
	v_mov_b32_e32 v14, 0
	ds_read_b32 v14, v14 offset:520
	s_waitcnt lgkmcnt(0)
	v_mul_f32_e32 v13, v13, v14
	v_xor_b32_e32 v14, 0x80000000, v13
	ds_write_b32 v12, v14
.LBB100_1006:
	s_or_b64 exec, exec, s[8:9]
	s_waitcnt lgkmcnt(0)
	s_barrier
	s_and_saveexec_b64 s[8:9], s[48:49]
	s_cbranch_execz .LBB100_1008
; %bb.1007:
	v_lshlrev_b32_e32 v14, 2, v6
	ds_read_b32 v14, v14 offset:512
	ds_read_b32 v15, v12
	s_waitcnt lgkmcnt(0)
	v_fma_f32 v13, -v14, v15, v13
.LBB100_1008:
	s_or_b64 exec, exec, s[8:9]
	s_barrier
	s_and_saveexec_b64 s[8:9], s[50:51]
	s_cbranch_execz .LBB100_1010
; %bb.1009:
	v_mov_b32_e32 v14, 0
	ds_read_b32 v14, v14 offset:260
	s_waitcnt lgkmcnt(0)
	v_mul_f32_e32 v13, v13, v14
	v_xor_b32_e32 v14, 0x80000000, v13
	ds_write_b32 v12, v14
.LBB100_1010:
	s_or_b64 exec, exec, s[8:9]
	s_waitcnt lgkmcnt(0)
	s_barrier
	s_and_saveexec_b64 s[8:9], s[40:41]
	s_cbranch_execz .LBB100_1012
; %bb.1011:
	v_mov_b32_e32 v14, 0
	ds_read_b32 v14, v14 offset:256
	ds_read_b32 v15, v12
	s_waitcnt lgkmcnt(0)
	v_fma_f32 v13, -v14, v15, v13
.LBB100_1012:
	s_or_b64 exec, exec, s[8:9]
	s_barrier
	s_and_saveexec_b64 s[8:9], s[40:41]
	s_cbranch_execz .LBB100_1014
; %bb.1013:
	v_mov_b32_e32 v14, 0
	ds_read_b32 v14, v14
	s_waitcnt lgkmcnt(0)
	v_mul_f32_e32 v13, v13, v14
	v_xor_b32_e32 v14, 0x80000000, v13
	ds_write_b32 v12, v14
.LBB100_1014:
	s_or_b64 exec, exec, s[8:9]
	s_waitcnt lgkmcnt(0)
	s_barrier
	s_barrier
	s_and_saveexec_b64 s[8:9], s[2:3]
; %bb.1015:
	v_lshlrev_b32_e32 v6, 2, v6
	v_lshl_or_b32 v6, v11, 8, v6
	ds_write_b32 v6, v13 offset:1024
; %bb.1016:
	s_or_b64 exec, exec, s[8:9]
	s_waitcnt lgkmcnt(0)
	s_barrier
	s_barrier
	s_and_saveexec_b64 s[2:3], vcc
	s_cbranch_execz .LBB100_1018
; %bb.1017:
	v_mov_b32_e32 v6, 0
	ds_read_b64 v[11:12], v6 offset:776
	ds_read_b32 v13, v6 offset:520
	s_waitcnt lgkmcnt(0)
	v_mul_f32_e32 v12, v13, v12
	v_mul_f32_e32 v11, v11, v12
	ds_write_b32 v6, v11 offset:776
.LBB100_1018:
	s_or_b64 exec, exec, s[2:3]
	v_mov_b32_e32 v6, 0
	s_waitcnt lgkmcnt(0)
	s_barrier
	buffer_wbinvl1_vol
	s_and_saveexec_b64 s[8:9], s[0:1]
	s_cbranch_execz .LBB100_1022
; %bb.1019:
	v_lshlrev_b32_e32 v6, 8, v3
	v_lshlrev_b32_e32 v11, 2, v1
	ds_read_b32 v12, v11 offset:512
	ds_read_b32 v6, v6 offset:520
	v_mov_b32_e32 v11, 0
	v_cmp_gt_u32_e64 s[2:3], 2, v5
	s_waitcnt lgkmcnt(0)
	v_fma_f32 v6, v12, v6, 0
	s_and_saveexec_b64 s[10:11], s[2:3]
	s_cbranch_execz .LBB100_1021
; %bb.1020:
	v_lshlrev_b32_e32 v5, 2, v0
	ds_read_b32 v5, v5 offset:768
	ds_read_b32 v11, v11 offset:780
	s_waitcnt lgkmcnt(0)
	v_fmac_f32_e32 v6, v5, v11
.LBB100_1021:
	s_or_b64 exec, exec, s[10:11]
.LBB100_1022:
	s_or_b64 exec, exec, s[8:9]
	s_and_saveexec_b64 s[2:3], s[38:39]
	s_cbranch_execz .LBB100_1024
; %bb.1023:
	v_mov_b32_e32 v5, 0
	ds_read_b32 v5, v5 offset:260
	s_waitcnt lgkmcnt(0)
	v_mul_f32_e32 v6, v6, v5
	v_xor_b32_e32 v5, 0x80000000, v6
	ds_write_b32 v4, v5
.LBB100_1024:
	s_or_b64 exec, exec, s[2:3]
	s_waitcnt lgkmcnt(0)
	s_barrier
	s_and_saveexec_b64 s[2:3], s[36:37]
	s_cbranch_execz .LBB100_1026
; %bb.1025:
	v_mov_b32_e32 v5, 0
	ds_read_b32 v5, v5 offset:256
	ds_read_b32 v11, v4
	s_waitcnt lgkmcnt(0)
	v_fma_f32 v6, -v5, v11, v6
.LBB100_1026:
	s_or_b64 exec, exec, s[2:3]
	s_barrier
	s_and_saveexec_b64 s[2:3], s[36:37]
	s_cbranch_execz .LBB100_1028
; %bb.1027:
	v_mov_b32_e32 v5, 0
	ds_read_b32 v5, v5
	s_waitcnt lgkmcnt(0)
	v_mul_f32_e32 v6, v6, v5
	v_xor_b32_e32 v5, 0x80000000, v6
	ds_write_b32 v4, v5
.LBB100_1028:
	s_or_b64 exec, exec, s[2:3]
	s_waitcnt lgkmcnt(0)
	s_barrier
	s_barrier
	s_and_saveexec_b64 s[2:3], s[0:1]
; %bb.1029:
	v_lshlrev_b32_e32 v1, 2, v1
	v_lshl_or_b32 v1, v3, 8, v1
	ds_write_b32 v1, v6 offset:512
; %bb.1030:
	s_or_b64 exec, exec, s[2:3]
	s_waitcnt lgkmcnt(0)
	s_barrier
	s_barrier
	s_and_saveexec_b64 s[0:1], vcc
	s_cbranch_execz .LBB100_1032
; %bb.1031:
	v_mov_b32_e32 v1, 0
	ds_read_b64 v[3:4], v1 offset:256
	ds_read_b32 v5, v1
	s_waitcnt lgkmcnt(0)
	v_mul_f32_e32 v4, v5, v4
	v_mul_f32_e32 v3, v3, v4
	ds_write_b32 v1, v3 offset:256
.LBB100_1032:
	s_or_b64 exec, exec, s[0:1]
.LBB100_1033:
	s_lshl_b64 s[0:1], s[20:21], 2
	s_add_u32 s38, s30, s0
	v_cmp_le_i32_e32 vcc, s82, v0
	s_addc_u32 s39, s31, s1
	s_and_b64 s[14:15], vcc, s[18:19]
	v_cmp_eq_u32_e64 s[0:1], 0, v2
	s_xor_b64 s[2:3], s[14:15], -1
	s_and_b64 s[8:9], s[0:1], s[2:3]
	v_mov_b32_e32 v5, 0
	v_add_u32_e32 v3, s33, v0
	s_waitcnt lgkmcnt(0)
	s_barrier
	s_and_saveexec_b64 s[2:3], s[8:9]
	s_cbranch_execz .LBB100_1035
; %bb.1034:
	v_ashrrev_i32_e32 v1, 31, v3
	v_mul_lo_u32 v6, s23, v3
	v_mad_u64_u32 v[4:5], s[8:9], s22, v3, 0
	v_mul_lo_u32 v1, s22, v1
	v_add3_u32 v5, v5, v1, v6
	v_lshlrev_b64 v[4:5], 2, v[4:5]
	v_mov_b32_e32 v1, s39
	v_add_co_u32_e32 v4, vcc, s38, v4
	v_addc_co_u32_e32 v5, vcc, v1, v5, vcc
	flat_load_dword v1, v[4:5]
	s_waitcnt vmcnt(0) lgkmcnt(0)
	v_mul_f32_e64 v5, v1, -s43
.LBB100_1035:
	s_or_b64 exec, exec, s[2:3]
	s_load_dwordx2 s[12:13], s[4:5], 0x50
	s_and_b32 s2, 0xffff, s42
	v_mad_u32_u24 v1, v2, s2, v0
	s_cmp_lt_i32 s6, 1
	v_cmp_eq_u32_e64 s[2:3], 0, v1
	s_cbranch_scc1 .LBB100_1061
; %bb.1036:
	v_ashrrev_i32_e32 v4, 31, v3
	v_cmp_gt_i32_e64 s[10:11], s26, v3
	v_lshlrev_b64 v[3:4], 2, v[3:4]
	s_lshl_b64 s[4:5], s[24:25], 2
	s_waitcnt lgkmcnt(0)
	s_add_u32 s16, s12, s4
	v_mov_b32_e32 v11, 0x5000
	v_mov_b32_e32 v13, s84
	v_add_co_u32_e32 v12, vcc, s83, v3
	s_mul_i32 s8, s29, 0xc0
	s_mul_hi_u32 s9, s28, 0xc0
	s_mov_b32 s40, 0
	s_addc_u32 s17, s13, s5
	v_cmp_gt_u32_e64 s[4:5], 64, v1
	v_lshl_add_u32 v6, v1, 2, v11
	v_lshl_or_b32 v11, v2, 2, v11
	s_add_i32 s85, s85, 1
	v_addc_co_u32_e32 v13, vcc, v13, v4, vcc
	s_lshl_b64 s[20:21], s[28:29], 6
	s_lshl_b64 s[30:31], s[28:29], 7
	s_add_i32 s41, s9, s8
	s_mul_i32 s42, s28, 0xc0
	v_mov_b32_e32 v15, -1
	v_mov_b32_e32 v14, 0
	s_branch .LBB100_1039
.LBB100_1037:                           ;   in Loop: Header=BB100_1039 Depth=1
	ds_read_b32 v3, v11 offset:192
	s_waitcnt vmcnt(0) lgkmcnt(0)
	v_fmac_f32_e32 v5, v16, v3
.LBB100_1038:                           ;   in Loop: Header=BB100_1039 Depth=1
	s_or_b64 exec, exec, s[36:37]
	s_add_i32 s40, s40, 1
	s_cmp_eq_u32 s40, s6
	s_cbranch_scc1 .LBB100_1061
.LBB100_1039:                           ; =>This Loop Header: Depth=1
                                        ;     Child Loop BB100_1041 Depth 2
	v_cmp_gt_i32_e32 vcc, s40, v15
	s_and_b64 s[36:37], s[2:3], vcc
	s_and_saveexec_b64 s[8:9], s[36:37]
	s_cbranch_execz .LBB100_1042
; %bb.1040:                             ;   in Loop: Header=BB100_1039 Depth=1
	global_load_dword v15, v14, s[16:17]
	s_waitcnt vmcnt(0)
	v_cmp_le_i32_e32 vcc, s40, v15
	s_cbranch_vccnz .LBB100_1042
.LBB100_1041:                           ;   Parent Loop BB100_1039 Depth=1
                                        ; =>  This Inner Loop Header: Depth=2
	buffer_wbinvl1_vol
	global_load_dword v15, v14, s[16:17]
	s_waitcnt vmcnt(0)
	v_cmp_gt_i32_e32 vcc, s40, v15
	s_cbranch_vccnz .LBB100_1041
.LBB100_1042:                           ;   in Loop: Header=BB100_1039 Depth=1
	s_or_b64 exec, exec, s[8:9]
	s_sub_i32 s43, s7, s40
	s_lshl_b32 s44, s43, 6
	buffer_wbinvl1_vol
	s_barrier
	s_and_saveexec_b64 s[8:9], s[4:5]
	s_cbranch_execz .LBB100_1046
; %bb.1043:                             ;   in Loop: Header=BB100_1039 Depth=1
	s_ashr_i32 s36, s44, 31
	v_mov_b32_e32 v4, s36
	v_or_b32_e32 v3, s44, v1
	v_cmp_gt_i64_e32 vcc, s[26:27], v[3:4]
	v_mov_b32_e32 v16, 0
	s_and_saveexec_b64 s[36:37], vcc
	s_cbranch_execz .LBB100_1045
; %bb.1044:                             ;   in Loop: Header=BB100_1039 Depth=1
	v_mul_lo_u32 v16, v4, s22
	v_mul_lo_u32 v17, v3, s23
	v_mad_u64_u32 v[3:4], s[46:47], v3, s22, 0
	v_add3_u32 v4, v4, v17, v16
	v_lshlrev_b64 v[3:4], 2, v[3:4]
	v_mov_b32_e32 v16, s39
	v_add_co_u32_e32 v3, vcc, s38, v3
	v_addc_co_u32_e32 v4, vcc, v16, v4, vcc
	flat_load_dword v16, v[3:4]
.LBB100_1045:                           ;   in Loop: Header=BB100_1039 Depth=1
	s_or_b64 exec, exec, s[36:37]
	s_waitcnt vmcnt(0) lgkmcnt(0)
	ds_write_b32 v6, v16
.LBB100_1046:                           ;   in Loop: Header=BB100_1039 Depth=1
	s_or_b64 exec, exec, s[8:9]
	v_add_u32_e32 v16, s44, v2
	v_ashrrev_i32_e32 v17, 31, v16
	v_mul_lo_u32 v18, s29, v16
	v_mad_u64_u32 v[3:4], s[8:9], s28, v16, 0
	v_mul_lo_u32 v17, s28, v17
	s_cmp_lg_u32 s43, s85
	s_cselect_b64 s[8:9], -1, 0
	s_waitcnt lgkmcnt(0)
	v_add3_u32 v4, v4, v17, v18
	v_lshlrev_b64 v[3:4], 2, v[3:4]
	v_cndmask_b32_e64 v17, 0, 1, s[8:9]
	v_add_co_u32_e32 v3, vcc, v12, v3
	v_addc_co_u32_e32 v4, vcc, v13, v4, vcc
	v_cmp_gt_i32_e32 vcc, s26, v16
	s_and_b64 s[44:45], s[10:11], vcc
	v_cmp_ne_u32_e64 s[8:9], 1, v17
	s_barrier
	s_and_saveexec_b64 s[36:37], s[44:45]
	s_cbranch_execz .LBB100_1050
; %bb.1047:                             ;   in Loop: Header=BB100_1039 Depth=1
	s_and_b64 vcc, exec, s[8:9]
	v_mov_b32_e32 v17, v7
	s_cbranch_vccnz .LBB100_1049
; %bb.1048:                             ;   in Loop: Header=BB100_1039 Depth=1
	flat_load_dword v17, v[3:4]
.LBB100_1049:                           ;   in Loop: Header=BB100_1039 Depth=1
	ds_read_b32 v18, v11
	s_waitcnt vmcnt(0) lgkmcnt(0)
	v_fmac_f32_e32 v5, v17, v18
.LBB100_1050:                           ;   in Loop: Header=BB100_1039 Depth=1
	s_or_b64 exec, exec, s[36:37]
	v_add_u32_e32 v17, 16, v16
	v_cmp_gt_i32_e32 vcc, s26, v17
	s_and_b64 s[44:45], s[10:11], vcc
	s_and_saveexec_b64 s[36:37], s[44:45]
	s_cbranch_execz .LBB100_1054
; %bb.1051:                             ;   in Loop: Header=BB100_1039 Depth=1
	s_and_b64 vcc, exec, s[8:9]
	v_mov_b32_e32 v17, v8
	s_cbranch_vccnz .LBB100_1053
; %bb.1052:                             ;   in Loop: Header=BB100_1039 Depth=1
	v_mov_b32_e32 v18, s21
	v_add_co_u32_e32 v17, vcc, s20, v3
	v_addc_co_u32_e32 v18, vcc, v4, v18, vcc
	flat_load_dword v17, v[17:18]
.LBB100_1053:                           ;   in Loop: Header=BB100_1039 Depth=1
	ds_read_b32 v18, v11 offset:64
	s_waitcnt vmcnt(0) lgkmcnt(0)
	v_fmac_f32_e32 v5, v17, v18
.LBB100_1054:                           ;   in Loop: Header=BB100_1039 Depth=1
	s_or_b64 exec, exec, s[36:37]
	v_add_u32_e32 v17, 32, v16
	v_cmp_gt_i32_e32 vcc, s26, v17
	s_and_b64 s[44:45], s[10:11], vcc
	s_and_saveexec_b64 s[36:37], s[44:45]
	s_cbranch_execz .LBB100_1058
; %bb.1055:                             ;   in Loop: Header=BB100_1039 Depth=1
	s_and_b64 vcc, exec, s[8:9]
	v_mov_b32_e32 v17, v10
	s_cbranch_vccnz .LBB100_1057
; %bb.1056:                             ;   in Loop: Header=BB100_1039 Depth=1
	v_mov_b32_e32 v18, s31
	v_add_co_u32_e32 v17, vcc, s30, v3
	v_addc_co_u32_e32 v18, vcc, v4, v18, vcc
	flat_load_dword v17, v[17:18]
.LBB100_1057:                           ;   in Loop: Header=BB100_1039 Depth=1
	ds_read_b32 v18, v11 offset:128
	s_waitcnt vmcnt(0) lgkmcnt(0)
	v_fmac_f32_e32 v5, v17, v18
.LBB100_1058:                           ;   in Loop: Header=BB100_1039 Depth=1
	s_or_b64 exec, exec, s[36:37]
	v_add_u32_e32 v16, 48, v16
	v_cmp_gt_i32_e32 vcc, s26, v16
	s_and_b64 s[44:45], s[10:11], vcc
	s_and_saveexec_b64 s[36:37], s[44:45]
	s_cbranch_execz .LBB100_1038
; %bb.1059:                             ;   in Loop: Header=BB100_1039 Depth=1
	s_and_b64 vcc, exec, s[8:9]
	v_mov_b32_e32 v16, v9
	s_cbranch_vccnz .LBB100_1037
; %bb.1060:                             ;   in Loop: Header=BB100_1039 Depth=1
	v_mov_b32_e32 v16, s41
	v_add_co_u32_e32 v3, vcc, s42, v3
	v_addc_co_u32_e32 v4, vcc, v4, v16, vcc
	flat_load_dword v16, v[3:4]
	s_branch .LBB100_1037
.LBB100_1061:
	v_lshl_add_u32 v3, v2, 6, v0
	s_xor_b64 s[2:3], s[18:19], -1
	s_xor_b64 s[4:5], s[34:35], -1
	v_lshlrev_b32_e32 v3, 2, v3
	ds_write_b32 v3, v5 offset:16384
	s_waitcnt lgkmcnt(0)
	s_barrier
	s_and_saveexec_b64 s[6:7], s[0:1]
	s_cbranch_execz .LBB100_1063
; %bb.1062:
	v_lshlrev_b32_e32 v16, 2, v0
	ds_read2st64_b32 v[6:7], v16 offset0:65 offset1:66
	ds_read2st64_b32 v[8:9], v16 offset0:67 offset1:68
	ds_read2st64_b32 v[10:11], v16 offset0:69 offset1:70
	ds_read2st64_b32 v[12:13], v16 offset0:71 offset1:72
	ds_read2st64_b32 v[14:15], v16 offset0:73 offset1:74
	s_waitcnt lgkmcnt(4)
	v_add_f32_e32 v4, v5, v6
	v_add_f32_e32 v4, v4, v7
	s_waitcnt lgkmcnt(3)
	v_add_f32_e32 v4, v4, v8
	v_add_f32_e32 v4, v4, v9
	;; [unrolled: 3-line block ×4, first 2 shown]
	ds_read2st64_b32 v[4:5], v16 offset0:75 offset1:76
	ds_read2st64_b32 v[6:7], v16 offset0:77 offset1:78
	ds_read_b32 v9, v16 offset:20224
	s_waitcnt lgkmcnt(3)
	v_add_f32_e32 v8, v8, v14
	v_add_f32_e32 v8, v8, v15
	s_waitcnt lgkmcnt(2)
	v_add_f32_e32 v4, v8, v4
	v_add_f32_e32 v4, v4, v5
	;; [unrolled: 3-line block ×3, first 2 shown]
	s_waitcnt lgkmcnt(0)
	v_add_f32_e32 v4, v4, v9
	v_cndmask_b32_e64 v5, -v4, 0, s[14:15]
.LBB100_1063:
	s_or_b64 exec, exec, s[6:7]
	s_andn2_b64 vcc, exec, s[4:5]
	s_cbranch_vccnz .LBB100_1076
; %bb.1064:
	v_mov_b32_e32 v4, 0x5000
	v_lshl_or_b32 v6, v2, 2, v4
	s_and_saveexec_b64 s[4:5], s[0:1]
; %bb.1065:
	v_lshl_add_u32 v4, v0, 2, v6
	ds_write_b32 v4, v5
; %bb.1066:
	s_or_b64 exec, exec, s[4:5]
	v_cmp_le_u32_e32 vcc, v0, v2
	v_mov_b32_e32 v4, 0
	s_waitcnt lgkmcnt(0)
	s_barrier
	s_and_saveexec_b64 s[4:5], vcc
	s_cbranch_execz .LBB100_1068
; %bb.1067:
	ds_read_b32 v4, v3
	ds_read_b32 v7, v6
	s_waitcnt lgkmcnt(0)
	v_fma_f32 v4, v4, v7, 0
.LBB100_1068:
	s_or_b64 exec, exec, s[4:5]
	v_add_u32_e32 v7, 16, v2
	v_cmp_le_u32_e32 vcc, v0, v7
	s_and_saveexec_b64 s[4:5], vcc
	s_cbranch_execz .LBB100_1070
; %bb.1069:
	ds_read_b32 v7, v3 offset:4096
	ds_read_b32 v8, v6 offset:64
	s_waitcnt lgkmcnt(0)
	v_fmac_f32_e32 v4, v7, v8
.LBB100_1070:
	s_or_b64 exec, exec, s[4:5]
	v_add_u32_e32 v7, 32, v2
	v_cmp_le_u32_e32 vcc, v0, v7
	s_and_saveexec_b64 s[4:5], vcc
	s_cbranch_execz .LBB100_1072
; %bb.1071:
	ds_read_b32 v7, v3 offset:8192
	ds_read_b32 v8, v6 offset:128
	s_waitcnt lgkmcnt(0)
	v_fmac_f32_e32 v4, v7, v8
.LBB100_1072:
	s_or_b64 exec, exec, s[4:5]
	v_add_u32_e32 v2, 48, v2
	v_add_u32_e32 v7, 0x4000, v3
	v_cmp_le_u32_e32 vcc, v0, v2
	s_and_saveexec_b64 s[4:5], vcc
	s_cbranch_execz .LBB100_1074
; %bb.1073:
	ds_read_b32 v2, v3 offset:12288
	ds_read_b32 v3, v6 offset:192
	s_waitcnt lgkmcnt(0)
	v_fmac_f32_e32 v4, v2, v3
.LBB100_1074:
	s_or_b64 exec, exec, s[4:5]
	s_mov_b64 s[6:7], 0
	s_mov_b64 s[4:5], 0
	ds_write_b32 v7, v4
	s_waitcnt lgkmcnt(0)
	s_barrier
                                        ; implicit-def: $vgpr2
	s_and_saveexec_b64 s[8:9], s[0:1]
	s_cbranch_execz .LBB100_1139
; %bb.1075:
	v_lshlrev_b32_e32 v12, 2, v0
	ds_read2st64_b32 v[2:3], v12 offset0:65 offset1:66
	ds_read2st64_b32 v[6:7], v12 offset0:67 offset1:68
	;; [unrolled: 1-line block ×4, first 2 shown]
	s_mov_b64 s[4:5], exec
	s_waitcnt lgkmcnt(3)
	v_add_f32_e32 v2, v4, v2
	v_add_f32_e32 v2, v3, v2
	s_waitcnt lgkmcnt(2)
	v_add_f32_e32 v2, v6, v2
	v_add_f32_e32 v2, v7, v2
	;; [unrolled: 3-line block ×3, first 2 shown]
	s_waitcnt lgkmcnt(0)
	v_add_f32_e32 v4, v10, v2
	ds_read2st64_b32 v[2:3], v12 offset0:73 offset1:74
	v_add_f32_e32 v4, v11, v4
	ds_read2st64_b32 v[6:7], v12 offset0:75 offset1:76
	ds_read2st64_b32 v[8:9], v12 offset0:77 offset1:78
	ds_read_b32 v10, v12 offset:20224
	s_waitcnt lgkmcnt(3)
	v_add_f32_e32 v2, v2, v4
	v_add_f32_e32 v2, v3, v2
	s_waitcnt lgkmcnt(2)
	v_add_f32_e32 v2, v6, v2
	v_add_f32_e32 v2, v7, v2
	;; [unrolled: 3-line block ×3, first 2 shown]
	s_waitcnt lgkmcnt(0)
	v_add_f32_e32 v2, v10, v2
	s_or_b64 exec, exec, s[8:9]
	s_and_b64 vcc, exec, s[6:7]
	s_cbranch_vccnz .LBB100_1077
	s_branch .LBB100_1140
.LBB100_1076:
	s_mov_b64 s[4:5], 0
                                        ; implicit-def: $vgpr2
	s_cbranch_execz .LBB100_1140
.LBB100_1077:
	s_movk_i32 s6, 0x104
	v_lshlrev_b32_e32 v3, 8, v0
	v_mov_b32_e32 v4, 0x3c00
	v_mul_u32_u24_e32 v2, 0x104, v0
	v_sub_u32_e32 v3, 0, v3
	v_mad_u32_u24 v4, v0, s6, v4
	s_mov_b32 s8, 63
	s_movk_i32 s9, 0xc100
	v_mov_b32_e32 v6, 0
	s_branch .LBB100_1079
.LBB100_1078:                           ;   in Loop: Header=BB100_1079 Depth=1
	s_or_b64 exec, exec, s[6:7]
	s_add_i32 s8, s8, -4
	s_cmp_lg_u32 s10, 0
	v_add_u32_e32 v3, 0xfffffc00, v3
	s_barrier
	s_cbranch_scc0 .LBB100_1095
.LBB100_1079:                           ; =>This Inner Loop Header: Depth=1
	v_cmp_eq_u32_e32 vcc, s9, v3
	s_and_b64 s[10:11], s[0:1], vcc
	s_and_saveexec_b64 s[6:7], s[10:11]
	s_cbranch_execz .LBB100_1081
; %bb.1080:                             ;   in Loop: Header=BB100_1079 Depth=1
	ds_read_b32 v7, v2
	s_waitcnt lgkmcnt(0)
	v_mul_f32_e32 v5, v5, v7
	ds_write_b32 v6, v5 offset:20736
.LBB100_1081:                           ;   in Loop: Header=BB100_1079 Depth=1
	s_or_b64 exec, exec, s[6:7]
	v_cmp_gt_u32_e32 vcc, s8, v0
	s_and_b64 s[10:11], s[0:1], vcc
	v_add_u32_e32 v7, v4, v3
	s_waitcnt lgkmcnt(0)
	s_barrier
	s_and_saveexec_b64 s[6:7], s[10:11]
	s_cbranch_execz .LBB100_1083
; %bb.1082:                             ;   in Loop: Header=BB100_1079 Depth=1
	ds_read_b32 v8, v7 offset:768
	ds_read_b32 v9, v6 offset:20736
	s_waitcnt lgkmcnt(0)
	v_fmac_f32_e32 v5, v8, v9
.LBB100_1083:                           ;   in Loop: Header=BB100_1079 Depth=1
	s_or_b64 exec, exec, s[6:7]
	s_add_i32 s10, s8, -1
	v_cmp_eq_u32_e32 vcc, s10, v0
	s_and_b64 s[14:15], s[0:1], vcc
	s_barrier
	s_and_saveexec_b64 s[6:7], s[14:15]
	s_cbranch_execz .LBB100_1085
; %bb.1084:                             ;   in Loop: Header=BB100_1079 Depth=1
	ds_read_b32 v8, v2
	s_waitcnt lgkmcnt(0)
	v_mul_f32_e32 v5, v5, v8
	ds_write_b32 v6, v5 offset:20736
.LBB100_1085:                           ;   in Loop: Header=BB100_1079 Depth=1
	s_or_b64 exec, exec, s[6:7]
	v_cmp_gt_u32_e32 vcc, s10, v0
	s_and_b64 s[10:11], s[0:1], vcc
	s_waitcnt lgkmcnt(0)
	s_barrier
	s_and_saveexec_b64 s[6:7], s[10:11]
	s_cbranch_execz .LBB100_1087
; %bb.1086:                             ;   in Loop: Header=BB100_1079 Depth=1
	ds_read_b32 v8, v7 offset:512
	ds_read_b32 v9, v6 offset:20736
	s_waitcnt lgkmcnt(0)
	v_fmac_f32_e32 v5, v8, v9
.LBB100_1087:                           ;   in Loop: Header=BB100_1079 Depth=1
	s_or_b64 exec, exec, s[6:7]
	s_add_i32 s10, s8, -2
	v_cmp_eq_u32_e32 vcc, s10, v0
	s_and_b64 s[14:15], s[0:1], vcc
	s_barrier
	s_and_saveexec_b64 s[6:7], s[14:15]
	s_cbranch_execz .LBB100_1089
; %bb.1088:                             ;   in Loop: Header=BB100_1079 Depth=1
	ds_read_b32 v8, v2
	s_waitcnt lgkmcnt(0)
	v_mul_f32_e32 v5, v5, v8
	ds_write_b32 v6, v5 offset:20736
.LBB100_1089:                           ;   in Loop: Header=BB100_1079 Depth=1
	s_or_b64 exec, exec, s[6:7]
	v_cmp_gt_u32_e32 vcc, s10, v0
	s_and_b64 s[10:11], s[0:1], vcc
	;; [unrolled: 26-line block ×3, first 2 shown]
	s_waitcnt lgkmcnt(0)
	s_barrier
	s_and_saveexec_b64 s[6:7], s[14:15]
	s_cbranch_execz .LBB100_1078
; %bb.1094:                             ;   in Loop: Header=BB100_1079 Depth=1
	ds_read_b32 v7, v7
	ds_read_b32 v8, v6 offset:20736
	s_waitcnt lgkmcnt(0)
	v_fmac_f32_e32 v5, v7, v8
	s_branch .LBB100_1078
.LBB100_1095:
	s_mov_b64 s[6:7], -1
	s_and_b64 vcc, exec, s[2:3]
	s_cbranch_vccnz .LBB100_1141
; %bb.1096:
	s_andn2_b64 vcc, exec, s[6:7]
	s_cbranch_vccz .LBB100_1142
.LBB100_1097:
	s_and_saveexec_b64 s[0:1], s[4:5]
	s_cbranch_execz .LBB100_1099
.LBB100_1098:
	v_mov_b32_e32 v0, s52
	v_add_co_u32_e32 v2, vcc, s33, v1
	v_addc_co_u32_e32 v0, vcc, 0, v0, vcc
	v_mul_lo_u32 v0, v0, s22
	v_mul_lo_u32 v4, v2, s23
	v_mad_u64_u32 v[2:3], s[2:3], v2, s22, 0
	v_add3_u32 v3, v3, v4, v0
	v_lshlrev_b64 v[2:3], 2, v[2:3]
	v_mov_b32_e32 v0, s39
	v_add_co_u32_e32 v2, vcc, s38, v2
	v_addc_co_u32_e32 v3, vcc, v0, v3, vcc
	flat_store_dword v[2:3], v5
.LBB100_1099:
	s_or_b64 exec, exec, s[0:1]
	v_cmp_eq_u32_e32 vcc, 0, v1
	s_waitcnt vmcnt(0) lgkmcnt(0)
	buffer_wbinvl1_vol
	s_barrier
	s_and_saveexec_b64 s[0:1], vcc
	s_cbranch_execz .LBB100_1101
; %bb.1100:
	s_lshl_b64 s[2:3], s[24:25], 2
	s_add_u32 s2, s12, s2
	s_addc_u32 s3, s13, s3
	v_mov_b32_e32 v0, 0
	global_load_dword v1, v0, s[2:3]
	s_waitcnt vmcnt(0)
	v_add_u32_e32 v1, 1, v1
	global_store_dword v0, v1, s[2:3]
.LBB100_1101:
	s_or_b64 exec, exec, s[0:1]
	s_waitcnt vmcnt(0)
	buffer_wbinvl1_vol
	s_endpgm
.LBB100_1102:
                                        ; implicit-def: $vgpr9
                                        ; implicit-def: $vgpr10
                                        ; implicit-def: $vgpr8
                                        ; implicit-def: $vgpr7
                                        ; implicit-def: $sgpr33
	s_cbranch_execnz .LBB100_10
	s_branch .LBB100_11
.LBB100_1103:
	v_cmp_ne_u32_e32 vcc, v0, v2
	s_and_saveexec_b64 s[8:9], vcc
	s_xor_b64 s[8:9], exec, s[8:9]
; %bb.1104:
	v_or_b32_e32 v1, v2, v0
	v_cmp_gt_u32_e32 vcc, 64, v1
	s_and_b64 s[2:3], vcc, exec
                                        ; implicit-def: $vgpr5_vgpr6
; %bb.1105:
	s_or_saveexec_b64 s[8:9], s[8:9]
	v_mov_b32_e32 v1, 0
	s_xor_b64 exec, exec, s[8:9]
	s_cbranch_execz .LBB100_1107
; %bb.1106:
	v_lshlrev_b64 v[5:6], 2, v[5:6]
	v_mov_b32_e32 v1, s84
	v_add_co_u32_e32 v5, vcc, s83, v5
	v_addc_co_u32_e32 v6, vcc, v1, v6, vcc
	flat_load_dword v1, v[5:6]
	s_or_b64 s[2:3], s[2:3], exec
	s_waitcnt vmcnt(0) lgkmcnt(0)
	v_div_scale_f32 v5, s[10:11], v1, v1, 1.0
	v_div_scale_f32 v6, vcc, 1.0, v1, 1.0
	v_rcp_f32_e32 v11, v5
	v_fma_f32 v12, -v5, v11, 1.0
	v_fmac_f32_e32 v11, v12, v11
	v_mul_f32_e32 v12, v6, v11
	v_fma_f32 v13, -v5, v12, v6
	v_fmac_f32_e32 v12, v13, v11
	v_fma_f32 v5, -v5, v12, v6
	v_div_fmas_f32 v5, v5, v11, v12
	v_div_fixup_f32 v1, v5, v1, 1.0
.LBB100_1107:
	s_or_b64 exec, exec, s[8:9]
	s_and_b64 s[2:3], s[2:3], exec
                                        ; implicit-def: $vgpr5_vgpr6
	s_andn2_saveexec_b64 s[0:1], s[0:1]
	s_cbranch_execz .LBB100_14
.LBB100_1108:
	v_lshlrev_b64 v[5:6], 2, v[5:6]
	v_mov_b32_e32 v1, s84
	v_add_co_u32_e32 v5, vcc, s83, v5
	v_addc_co_u32_e32 v6, vcc, v1, v6, vcc
	flat_load_dword v1, v[5:6]
	s_or_b64 s[2:3], s[2:3], exec
	s_waitcnt vmcnt(0) lgkmcnt(0)
	v_xor_b32_e32 v1, 0x80000000, v1
	s_or_b64 exec, exec, s[0:1]
	s_and_saveexec_b64 s[0:1], s[2:3]
	s_cbranch_execnz .LBB100_15
	s_branch .LBB100_16
.LBB100_1109:
	v_cmp_ne_u32_e32 vcc, v0, v1
	s_and_saveexec_b64 s[8:9], vcc
	s_xor_b64 s[8:9], exec, s[8:9]
; %bb.1110:
	v_or_b32_e32 v5, v1, v0
	v_cmp_gt_u32_e32 vcc, 64, v5
	s_and_b64 s[2:3], vcc, exec
                                        ; implicit-def: $vgpr5_vgpr6
; %bb.1111:
	s_or_saveexec_b64 s[8:9], s[8:9]
	v_mov_b32_e32 v11, 0
	s_xor_b64 exec, exec, s[8:9]
	s_cbranch_execz .LBB100_1113
; %bb.1112:
	v_lshlrev_b64 v[5:6], 2, v[5:6]
	v_mov_b32_e32 v11, s84
	v_add_co_u32_e32 v5, vcc, s83, v5
	v_addc_co_u32_e32 v6, vcc, v11, v6, vcc
	flat_load_dword v5, v[5:6]
	s_or_b64 s[2:3], s[2:3], exec
	s_waitcnt vmcnt(0) lgkmcnt(0)
	v_div_scale_f32 v6, s[10:11], v5, v5, 1.0
	v_div_scale_f32 v11, vcc, 1.0, v5, 1.0
	v_rcp_f32_e32 v12, v6
	v_fma_f32 v13, -v6, v12, 1.0
	v_fmac_f32_e32 v12, v13, v12
	v_mul_f32_e32 v13, v11, v12
	v_fma_f32 v14, -v6, v13, v11
	v_fmac_f32_e32 v13, v14, v12
	v_fma_f32 v6, -v6, v13, v11
	v_div_fmas_f32 v6, v6, v12, v13
	v_div_fixup_f32 v11, v6, v5, 1.0
.LBB100_1113:
	s_or_b64 exec, exec, s[8:9]
	s_and_b64 s[2:3], s[2:3], exec
                                        ; implicit-def: $vgpr5_vgpr6
	s_andn2_saveexec_b64 s[0:1], s[0:1]
	s_cbranch_execz .LBB100_18
.LBB100_1114:
	v_lshlrev_b64 v[5:6], 2, v[5:6]
	v_mov_b32_e32 v11, s84
	v_add_co_u32_e32 v5, vcc, s83, v5
	v_addc_co_u32_e32 v6, vcc, v11, v6, vcc
	flat_load_dword v5, v[5:6]
	s_or_b64 s[2:3], s[2:3], exec
	s_waitcnt vmcnt(0) lgkmcnt(0)
	v_xor_b32_e32 v11, 0x80000000, v5
	s_or_b64 exec, exec, s[0:1]
	s_and_saveexec_b64 s[0:1], s[2:3]
	s_cbranch_execnz .LBB100_19
	s_branch .LBB100_20
.LBB100_1115:
	v_cmp_ne_u32_e32 vcc, v0, v1
	s_and_saveexec_b64 s[8:9], vcc
	s_xor_b64 s[8:9], exec, s[8:9]
; %bb.1116:
	v_or_b32_e32 v5, v1, v0
	v_cmp_gt_u32_e32 vcc, 64, v5
	s_and_b64 s[2:3], vcc, exec
                                        ; implicit-def: $vgpr5_vgpr6
; %bb.1117:
	s_or_saveexec_b64 s[8:9], s[8:9]
	v_mov_b32_e32 v11, 0
	s_xor_b64 exec, exec, s[8:9]
	s_cbranch_execz .LBB100_1119
; %bb.1118:
	v_lshlrev_b64 v[5:6], 2, v[5:6]
	v_mov_b32_e32 v11, s84
	v_add_co_u32_e32 v5, vcc, s83, v5
	v_addc_co_u32_e32 v6, vcc, v11, v6, vcc
	flat_load_dword v5, v[5:6]
	s_or_b64 s[2:3], s[2:3], exec
	s_waitcnt vmcnt(0) lgkmcnt(0)
	v_div_scale_f32 v6, s[10:11], v5, v5, 1.0
	v_div_scale_f32 v11, vcc, 1.0, v5, 1.0
	v_rcp_f32_e32 v12, v6
	v_fma_f32 v13, -v6, v12, 1.0
	v_fmac_f32_e32 v12, v13, v12
	v_mul_f32_e32 v13, v11, v12
	v_fma_f32 v14, -v6, v13, v11
	v_fmac_f32_e32 v13, v14, v12
	v_fma_f32 v6, -v6, v13, v11
	v_div_fmas_f32 v6, v6, v12, v13
	v_div_fixup_f32 v11, v6, v5, 1.0
.LBB100_1119:
	s_or_b64 exec, exec, s[8:9]
	s_and_b64 s[2:3], s[2:3], exec
                                        ; implicit-def: $vgpr5_vgpr6
	s_andn2_saveexec_b64 s[0:1], s[0:1]
	s_cbranch_execz .LBB100_22
.LBB100_1120:
	v_lshlrev_b64 v[5:6], 2, v[5:6]
	v_mov_b32_e32 v11, s84
	v_add_co_u32_e32 v5, vcc, s83, v5
	v_addc_co_u32_e32 v6, vcc, v11, v6, vcc
	flat_load_dword v5, v[5:6]
	s_or_b64 s[2:3], s[2:3], exec
	s_waitcnt vmcnt(0) lgkmcnt(0)
	v_xor_b32_e32 v11, 0x80000000, v5
	s_or_b64 exec, exec, s[0:1]
	s_and_saveexec_b64 s[0:1], s[2:3]
	s_cbranch_execnz .LBB100_23
	s_branch .LBB100_24
.LBB100_1121:
	v_cmp_ne_u32_e32 vcc, v0, v2
	s_xor_b64 s[10:11], s[0:1], -1
	s_or_b64 s[12:13], s[10:11], vcc
	s_mov_b64 s[10:11], 0
	s_and_saveexec_b64 s[14:15], s[12:13]
	s_xor_b64 s[12:13], exec, s[14:15]
; %bb.1122:
	v_or_b32_e32 v1, v2, v0
	v_cmp_gt_u32_e32 vcc, 64, v1
	s_and_b64 s[10:11], vcc, exec
                                        ; implicit-def: $vgpr5_vgpr6
; %bb.1123:
	s_or_saveexec_b64 s[12:13], s[12:13]
	v_mov_b32_e32 v1, 0
	s_xor_b64 exec, exec, s[12:13]
	s_cbranch_execz .LBB100_1125
; %bb.1124:
	v_lshlrev_b64 v[5:6], 2, v[5:6]
	v_mov_b32_e32 v1, s84
	v_add_co_u32_e32 v5, vcc, s83, v5
	v_addc_co_u32_e32 v6, vcc, v1, v6, vcc
	flat_load_dword v1, v[5:6]
	s_or_b64 s[10:11], s[10:11], exec
	s_waitcnt vmcnt(0) lgkmcnt(0)
	v_div_scale_f32 v5, s[14:15], v1, v1, 1.0
	v_div_scale_f32 v6, vcc, 1.0, v1, 1.0
	v_rcp_f32_e32 v11, v5
	v_fma_f32 v12, -v5, v11, 1.0
	v_fmac_f32_e32 v11, v12, v11
	v_mul_f32_e32 v12, v6, v11
	v_fma_f32 v13, -v5, v12, v6
	v_fmac_f32_e32 v12, v13, v11
	v_fma_f32 v5, -v5, v12, v6
	v_div_fmas_f32 v5, v5, v11, v12
	v_div_fixup_f32 v1, v5, v1, 1.0
.LBB100_1125:
	s_or_b64 exec, exec, s[12:13]
	s_and_b64 s[10:11], s[10:11], exec
                                        ; implicit-def: $vgpr5_vgpr6
	s_andn2_saveexec_b64 s[2:3], s[2:3]
	s_cbranch_execz .LBB100_36
.LBB100_1126:
	v_lshlrev_b64 v[5:6], 2, v[5:6]
	v_mov_b32_e32 v1, s84
	v_add_co_u32_e32 v5, vcc, s83, v5
	v_addc_co_u32_e32 v6, vcc, v1, v6, vcc
	flat_load_dword v1, v[5:6]
	s_or_b64 s[10:11], s[10:11], exec
	s_waitcnt vmcnt(0) lgkmcnt(0)
	v_xor_b32_e32 v1, 0x80000000, v1
	s_or_b64 exec, exec, s[2:3]
	s_and_saveexec_b64 s[2:3], s[10:11]
	s_cbranch_execnz .LBB100_37
	s_branch .LBB100_38
.LBB100_1127:
	v_cmp_ne_u32_e32 vcc, v0, v1
	s_xor_b64 s[10:11], s[0:1], -1
	s_or_b64 s[12:13], s[10:11], vcc
	s_mov_b64 s[10:11], 0
	s_and_saveexec_b64 s[14:15], s[12:13]
	s_xor_b64 s[12:13], exec, s[14:15]
; %bb.1128:
	v_or_b32_e32 v5, v1, v0
	v_cmp_gt_u32_e32 vcc, 64, v5
	s_and_b64 s[10:11], vcc, exec
                                        ; implicit-def: $vgpr5_vgpr6
; %bb.1129:
	s_or_saveexec_b64 s[12:13], s[12:13]
	v_mov_b32_e32 v11, 0
	s_xor_b64 exec, exec, s[12:13]
	s_cbranch_execz .LBB100_1131
; %bb.1130:
	v_lshlrev_b64 v[5:6], 2, v[5:6]
	v_mov_b32_e32 v11, s84
	v_add_co_u32_e32 v5, vcc, s83, v5
	v_addc_co_u32_e32 v6, vcc, v11, v6, vcc
	flat_load_dword v5, v[5:6]
	s_or_b64 s[10:11], s[10:11], exec
	s_waitcnt vmcnt(0) lgkmcnt(0)
	v_div_scale_f32 v6, s[14:15], v5, v5, 1.0
	v_div_scale_f32 v11, vcc, 1.0, v5, 1.0
	v_rcp_f32_e32 v12, v6
	v_fma_f32 v13, -v6, v12, 1.0
	v_fmac_f32_e32 v12, v13, v12
	v_mul_f32_e32 v13, v11, v12
	v_fma_f32 v14, -v6, v13, v11
	v_fmac_f32_e32 v13, v14, v12
	v_fma_f32 v6, -v6, v13, v11
	v_div_fmas_f32 v6, v6, v12, v13
	v_div_fixup_f32 v11, v6, v5, 1.0
.LBB100_1131:
	s_or_b64 exec, exec, s[12:13]
	s_and_b64 s[10:11], s[10:11], exec
                                        ; implicit-def: $vgpr5_vgpr6
	s_andn2_saveexec_b64 s[2:3], s[2:3]
	s_cbranch_execz .LBB100_40
.LBB100_1132:
	v_lshlrev_b64 v[5:6], 2, v[5:6]
	v_mov_b32_e32 v11, s84
	v_add_co_u32_e32 v5, vcc, s83, v5
	v_addc_co_u32_e32 v6, vcc, v11, v6, vcc
	flat_load_dword v5, v[5:6]
	s_or_b64 s[10:11], s[10:11], exec
	s_waitcnt vmcnt(0) lgkmcnt(0)
	v_xor_b32_e32 v11, 0x80000000, v5
	s_or_b64 exec, exec, s[2:3]
	s_and_saveexec_b64 s[2:3], s[10:11]
	s_cbranch_execnz .LBB100_41
	s_branch .LBB100_42
.LBB100_1133:
	v_cmp_ne_u32_e32 vcc, v0, v1
	s_xor_b64 s[10:11], s[0:1], -1
	s_or_b64 s[12:13], s[10:11], vcc
	s_mov_b64 s[10:11], 0
	s_and_saveexec_b64 s[14:15], s[12:13]
	s_xor_b64 s[12:13], exec, s[14:15]
; %bb.1134:
	v_or_b32_e32 v5, v1, v0
	v_cmp_gt_u32_e32 vcc, 64, v5
	s_and_b64 s[10:11], vcc, exec
                                        ; implicit-def: $vgpr5_vgpr6
; %bb.1135:
	s_or_saveexec_b64 s[12:13], s[12:13]
	v_mov_b32_e32 v11, 0
	s_xor_b64 exec, exec, s[12:13]
	s_cbranch_execz .LBB100_1137
; %bb.1136:
	v_lshlrev_b64 v[5:6], 2, v[5:6]
	v_mov_b32_e32 v11, s84
	v_add_co_u32_e32 v5, vcc, s83, v5
	v_addc_co_u32_e32 v6, vcc, v11, v6, vcc
	flat_load_dword v5, v[5:6]
	s_or_b64 s[10:11], s[10:11], exec
	s_waitcnt vmcnt(0) lgkmcnt(0)
	v_div_scale_f32 v6, s[14:15], v5, v5, 1.0
	v_div_scale_f32 v11, vcc, 1.0, v5, 1.0
	v_rcp_f32_e32 v12, v6
	v_fma_f32 v13, -v6, v12, 1.0
	v_fmac_f32_e32 v12, v13, v12
	v_mul_f32_e32 v13, v11, v12
	v_fma_f32 v14, -v6, v13, v11
	v_fmac_f32_e32 v13, v14, v12
	v_fma_f32 v6, -v6, v13, v11
	v_div_fmas_f32 v6, v6, v12, v13
	v_div_fixup_f32 v11, v6, v5, 1.0
.LBB100_1137:
	s_or_b64 exec, exec, s[12:13]
	s_and_b64 s[10:11], s[10:11], exec
                                        ; implicit-def: $vgpr5_vgpr6
	s_andn2_saveexec_b64 s[2:3], s[2:3]
	s_cbranch_execz .LBB100_44
.LBB100_1138:
	v_lshlrev_b64 v[5:6], 2, v[5:6]
	v_mov_b32_e32 v11, s84
	v_add_co_u32_e32 v5, vcc, s83, v5
	v_addc_co_u32_e32 v6, vcc, v11, v6, vcc
	flat_load_dword v5, v[5:6]
	s_or_b64 s[10:11], s[10:11], exec
	s_waitcnt vmcnt(0) lgkmcnt(0)
	v_xor_b32_e32 v11, 0x80000000, v5
	s_or_b64 exec, exec, s[2:3]
	s_and_saveexec_b64 s[2:3], s[10:11]
	s_cbranch_execnz .LBB100_45
	s_branch .LBB100_46
.LBB100_1139:
	s_or_b64 exec, exec, s[8:9]
	s_and_b64 vcc, exec, s[6:7]
	s_cbranch_vccnz .LBB100_1077
.LBB100_1140:
	v_mov_b32_e32 v5, v2
	s_and_saveexec_b64 s[0:1], s[4:5]
	s_cbranch_execnz .LBB100_1098
	s_branch .LBB100_1099
.LBB100_1141:
	s_andn2_b64 s[2:3], s[4:5], exec
	s_and_b64 s[4:5], s[0:1], exec
	s_or_b64 s[4:5], s[2:3], s[4:5]
	s_cbranch_execnz .LBB100_1097
.LBB100_1142:
	v_cmp_gt_i32_e32 vcc, s82, v0
	s_and_b64 s[0:1], s[0:1], vcc
	s_andn2_b64 s[2:3], s[4:5], exec
	s_and_b64 s[0:1], s[0:1], exec
	s_or_b64 s[4:5], s[2:3], s[0:1]
	s_and_saveexec_b64 s[0:1], s[4:5]
	s_cbranch_execnz .LBB100_1098
	s_branch .LBB100_1099
.LBB100_1143:
	ds_read_b32 v16, v15 offset:15840
	ds_read_b32 v17, v14 offset:15604
	s_waitcnt lgkmcnt(0)
	v_fmac_f32_e32 v13, v16, v17
	s_or_b64 exec, exec, s[14:15]
	v_cmp_gt_u32_e64 s[10:11], 8, v5
	s_and_saveexec_b64 s[14:15], s[10:11]
	s_cbranch_execz .LBB100_77
.LBB100_1144:
	ds_read_b32 v15, v15 offset:16096
	ds_read_b32 v14, v14 offset:15608
	s_waitcnt lgkmcnt(0)
	v_fmac_f32_e32 v13, v15, v14
	s_or_b64 exec, exec, s[14:15]
	v_cmp_gt_u32_e64 s[10:11], 4, v5
	s_and_saveexec_b64 s[14:15], s[10:11]
	s_cbranch_execnz .LBB100_78
	s_branch .LBB100_79
.LBB100_1145:
	ds_read_b32 v19, v18 offset:14784
	ds_read_b32 v20, v17 offset:14564
	s_waitcnt lgkmcnt(0)
	v_fmac_f32_e32 v16, v19, v20
	s_or_b64 exec, exec, s[16:17]
	v_cmp_gt_u32_e64 s[10:11], 48, v5
	s_and_saveexec_b64 s[16:17], s[10:11]
	s_cbranch_execz .LBB100_115
.LBB100_1146:
	ds_read_b32 v19, v18 offset:15040
	ds_read_b32 v20, v17 offset:14568
	s_waitcnt lgkmcnt(0)
	v_fmac_f32_e32 v16, v19, v20
	s_or_b64 exec, exec, s[16:17]
	v_cmp_gt_u32_e64 s[10:11], 40, v5
	s_and_saveexec_b64 s[16:17], s[10:11]
	s_cbranch_execz .LBB100_116
.LBB100_1147:
	ds_read_b32 v19, v18 offset:15296
	ds_read_b32 v20, v17 offset:14572
	s_waitcnt lgkmcnt(0)
	v_fmac_f32_e32 v16, v19, v20
	s_or_b64 exec, exec, s[16:17]
	v_cmp_gt_u32_e64 s[10:11], 32, v5
	s_and_saveexec_b64 s[16:17], s[10:11]
	s_cbranch_execz .LBB100_117
.LBB100_1148:
	ds_read_b32 v19, v18 offset:15552
	ds_read_b32 v20, v17 offset:14576
	s_waitcnt lgkmcnt(0)
	v_fmac_f32_e32 v16, v19, v20
	s_or_b64 exec, exec, s[16:17]
	v_cmp_gt_u32_e64 s[10:11], 24, v5
	s_and_saveexec_b64 s[16:17], s[10:11]
	s_cbranch_execz .LBB100_118
.LBB100_1149:
	ds_read_b32 v19, v18 offset:15808
	ds_read_b32 v20, v17 offset:14580
	s_waitcnt lgkmcnt(0)
	v_fmac_f32_e32 v16, v19, v20
	s_or_b64 exec, exec, s[16:17]
	s_and_saveexec_b64 s[10:11], s[2:3]
	s_cbranch_execz .LBB100_119
.LBB100_1150:
	ds_read_b32 v18, v18 offset:16064
	ds_read_b32 v17, v17 offset:14584
	s_waitcnt lgkmcnt(0)
	v_fmac_f32_e32 v16, v18, v17
	s_or_b64 exec, exec, s[10:11]
	v_cmp_gt_u32_e64 s[10:11], 8, v5
	s_and_saveexec_b64 s[16:17], s[10:11]
	s_cbranch_execnz .LBB100_120
	s_branch .LBB100_121
.LBB100_1151:
	ds_read_b32 v19, v18 offset:13760
	ds_read_b32 v20, v17 offset:13524
	s_waitcnt lgkmcnt(0)
	v_fmac_f32_e32 v16, v19, v20
	s_or_b64 exec, exec, s[12:13]
	v_cmp_gt_u32_e64 s[8:9], 8, v5
	s_and_saveexec_b64 s[12:13], s[8:9]
	s_cbranch_execz .LBB100_173
.LBB100_1152:
	ds_read_b32 v18, v18 offset:14016
	ds_read_b32 v17, v17 offset:13528
	s_waitcnt lgkmcnt(0)
	v_fmac_f32_e32 v16, v18, v17
	s_or_b64 exec, exec, s[12:13]
	v_cmp_gt_u32_e64 s[8:9], 4, v5
	s_and_saveexec_b64 s[12:13], s[8:9]
	s_cbranch_execnz .LBB100_174
	s_branch .LBB100_175
.LBB100_1153:
	ds_read_b32 v22, v21 offset:15232
	ds_read_b32 v23, v20 offset:12524
	s_waitcnt lgkmcnt(0)
	v_fmac_f32_e32 v19, v22, v23
	s_or_b64 exec, exec, s[80:81]
	s_and_saveexec_b64 s[12:13], s[14:15]
	s_cbranch_execz .LBB100_231
.LBB100_1154:
	ds_read_b32 v22, v21 offset:15488
	ds_read_b32 v23, v20 offset:12528
	s_waitcnt lgkmcnt(0)
	v_fmac_f32_e32 v19, v22, v23
	s_or_b64 exec, exec, s[12:13]
	v_cmp_gt_u32_e64 s[12:13], 48, v5
	s_and_saveexec_b64 s[80:81], s[12:13]
	s_cbranch_execz .LBB100_232
.LBB100_1155:
	ds_read_b32 v22, v21 offset:15744
	ds_read_b32 v23, v20 offset:12532
	s_waitcnt lgkmcnt(0)
	v_fmac_f32_e32 v19, v22, v23
	s_or_b64 exec, exec, s[80:81]
	v_cmp_gt_u32_e64 s[12:13], 32, v5
	s_and_saveexec_b64 s[80:81], s[12:13]
	s_cbranch_execz .LBB100_233
.LBB100_1156:
	ds_read_b32 v21, v21 offset:16000
	ds_read_b32 v20, v20 offset:12536
	s_waitcnt lgkmcnt(0)
	v_fmac_f32_e32 v19, v21, v20
	s_or_b64 exec, exec, s[80:81]
	v_cmp_gt_u32_e64 s[12:13], 16, v5
	s_and_saveexec_b64 s[80:81], s[12:13]
	s_cbranch_execnz .LBB100_234
	s_branch .LBB100_235
.LBB100_1157:
	ds_read_b32 v22, v21 offset:11680
	ds_read_b32 v23, v20 offset:11444
	s_waitcnt lgkmcnt(0)
	v_fmac_f32_e32 v19, v22, v23
	s_or_b64 exec, exec, s[16:17]
	v_cmp_gt_u32_e64 s[10:11], 8, v5
	s_and_saveexec_b64 s[16:17], s[10:11]
	s_cbranch_execz .LBB100_319
.LBB100_1158:
	ds_read_b32 v21, v21 offset:11936
	ds_read_b32 v20, v20 offset:11448
	s_waitcnt lgkmcnt(0)
	v_fmac_f32_e32 v19, v21, v20
	s_or_b64 exec, exec, s[16:17]
	v_cmp_gt_u32_e64 s[10:11], 4, v5
	s_and_saveexec_b64 s[16:17], s[10:11]
	s_cbranch_execnz .LBB100_320
	s_branch .LBB100_321
.LBB100_1159:
	ds_read_b32 v22, v21 offset:10624
	ds_read_b32 v23, v20 offset:10404
	s_waitcnt lgkmcnt(0)
	v_fmac_f32_e32 v19, v22, v23
	s_or_b64 exec, exec, s[16:17]
	v_cmp_gt_u32_e64 s[10:11], 48, v5
	s_and_saveexec_b64 s[16:17], s[10:11]
	s_cbranch_execz .LBB100_357
.LBB100_1160:
	ds_read_b32 v22, v21 offset:10880
	ds_read_b32 v23, v20 offset:10408
	s_waitcnt lgkmcnt(0)
	v_fmac_f32_e32 v19, v22, v23
	s_or_b64 exec, exec, s[16:17]
	v_cmp_gt_u32_e64 s[10:11], 40, v5
	s_and_saveexec_b64 s[16:17], s[10:11]
	s_cbranch_execz .LBB100_358
.LBB100_1161:
	ds_read_b32 v22, v21 offset:11136
	ds_read_b32 v23, v20 offset:10412
	s_waitcnt lgkmcnt(0)
	v_fmac_f32_e32 v19, v22, v23
	s_or_b64 exec, exec, s[16:17]
	v_cmp_gt_u32_e64 s[10:11], 32, v5
	s_and_saveexec_b64 s[16:17], s[10:11]
	s_cbranch_execz .LBB100_359
.LBB100_1162:
	ds_read_b32 v22, v21 offset:11392
	ds_read_b32 v23, v20 offset:10416
	s_waitcnt lgkmcnt(0)
	v_fmac_f32_e32 v19, v22, v23
	s_or_b64 exec, exec, s[16:17]
	v_cmp_gt_u32_e64 s[10:11], 24, v5
	s_and_saveexec_b64 s[16:17], s[10:11]
	s_cbranch_execz .LBB100_360
.LBB100_1163:
	ds_read_b32 v22, v21 offset:11648
	ds_read_b32 v23, v20 offset:10420
	s_waitcnt lgkmcnt(0)
	v_fmac_f32_e32 v19, v22, v23
	s_or_b64 exec, exec, s[16:17]
	s_and_saveexec_b64 s[10:11], s[2:3]
	s_cbranch_execz .LBB100_361
.LBB100_1164:
	ds_read_b32 v21, v21 offset:11904
	ds_read_b32 v20, v20 offset:10424
	s_waitcnt lgkmcnt(0)
	v_fmac_f32_e32 v19, v21, v20
	s_or_b64 exec, exec, s[10:11]
	v_cmp_gt_u32_e64 s[10:11], 8, v5
	s_and_saveexec_b64 s[16:17], s[10:11]
	s_cbranch_execnz .LBB100_362
	s_branch .LBB100_363
.LBB100_1165:
	ds_read_b32 v22, v21 offset:9600
	ds_read_b32 v23, v20 offset:9364
	s_waitcnt lgkmcnt(0)
	v_fmac_f32_e32 v19, v22, v23
	s_or_b64 exec, exec, s[16:17]
	v_cmp_gt_u32_e64 s[10:11], 8, v5
	s_and_saveexec_b64 s[16:17], s[10:11]
	s_cbranch_execz .LBB100_415
.LBB100_1166:
	ds_read_b32 v21, v21 offset:9856
	ds_read_b32 v20, v20 offset:9368
	s_waitcnt lgkmcnt(0)
	v_fmac_f32_e32 v19, v21, v20
	s_or_b64 exec, exec, s[16:17]
	v_cmp_gt_u32_e64 s[10:11], 4, v5
	s_and_saveexec_b64 s[16:17], s[10:11]
	s_cbranch_execnz .LBB100_416
	s_branch .LBB100_417
.LBB100_1167:
	ds_read_b32 v25, v24 offset:15616
	ds_read_b32 v26, v23 offset:8436
	s_waitcnt lgkmcnt(0)
	v_fmac_f32_e32 v21, v25, v26
	s_or_b64 exec, exec, s[80:81]
	s_and_saveexec_b64 s[16:17], s[14:15]
	s_cbranch_execz .LBB100_509
.LBB100_1168:
	ds_read_b32 v24, v24 offset:15872
	ds_read_b32 v23, v23 offset:8440
	s_waitcnt lgkmcnt(0)
	v_fmac_f32_e32 v21, v24, v23
	s_or_b64 exec, exec, s[16:17]
	v_cmp_gt_u32_e64 s[16:17], 32, v5
	s_and_saveexec_b64 s[80:81], s[16:17]
	s_cbranch_execnz .LBB100_510
	s_branch .LBB100_511
.LBB100_1169:
	ds_read_b32 v22, v21 offset:7520
	ds_read_b32 v23, v20 offset:7284
	s_waitcnt lgkmcnt(0)
	v_fmac_f32_e32 v19, v22, v23
	s_or_b64 exec, exec, s[16:17]
	v_cmp_gt_u32_e64 s[10:11], 8, v5
	s_and_saveexec_b64 s[16:17], s[10:11]
	s_cbranch_execz .LBB100_659
.LBB100_1170:
	ds_read_b32 v21, v21 offset:7776
	ds_read_b32 v20, v20 offset:7288
	s_waitcnt lgkmcnt(0)
	v_fmac_f32_e32 v19, v21, v20
	s_or_b64 exec, exec, s[16:17]
	v_cmp_gt_u32_e64 s[10:11], 4, v5
	s_and_saveexec_b64 s[16:17], s[10:11]
	s_cbranch_execnz .LBB100_660
	s_branch .LBB100_661
.LBB100_1171:
	ds_read_b32 v22, v21 offset:6464
	ds_read_b32 v23, v20 offset:6244
	s_waitcnt lgkmcnt(0)
	v_fmac_f32_e32 v19, v22, v23
	s_or_b64 exec, exec, s[16:17]
	v_cmp_gt_u32_e64 s[10:11], 48, v5
	s_and_saveexec_b64 s[16:17], s[10:11]
	s_cbranch_execz .LBB100_697
.LBB100_1172:
	ds_read_b32 v22, v21 offset:6720
	ds_read_b32 v23, v20 offset:6248
	s_waitcnt lgkmcnt(0)
	v_fmac_f32_e32 v19, v22, v23
	s_or_b64 exec, exec, s[16:17]
	v_cmp_gt_u32_e64 s[10:11], 40, v5
	s_and_saveexec_b64 s[16:17], s[10:11]
	s_cbranch_execz .LBB100_698
.LBB100_1173:
	ds_read_b32 v22, v21 offset:6976
	ds_read_b32 v23, v20 offset:6252
	s_waitcnt lgkmcnt(0)
	v_fmac_f32_e32 v19, v22, v23
	s_or_b64 exec, exec, s[16:17]
	v_cmp_gt_u32_e64 s[10:11], 32, v5
	s_and_saveexec_b64 s[16:17], s[10:11]
	s_cbranch_execz .LBB100_699
.LBB100_1174:
	ds_read_b32 v22, v21 offset:7232
	ds_read_b32 v23, v20 offset:6256
	s_waitcnt lgkmcnt(0)
	v_fmac_f32_e32 v19, v22, v23
	s_or_b64 exec, exec, s[16:17]
	v_cmp_gt_u32_e64 s[10:11], 24, v5
	s_and_saveexec_b64 s[16:17], s[10:11]
	s_cbranch_execz .LBB100_700
.LBB100_1175:
	ds_read_b32 v22, v21 offset:7488
	ds_read_b32 v23, v20 offset:6260
	s_waitcnt lgkmcnt(0)
	v_fmac_f32_e32 v19, v22, v23
	s_or_b64 exec, exec, s[16:17]
	s_and_saveexec_b64 s[10:11], s[2:3]
	s_cbranch_execz .LBB100_701
.LBB100_1176:
	ds_read_b32 v21, v21 offset:7744
	ds_read_b32 v20, v20 offset:6264
	s_waitcnt lgkmcnt(0)
	v_fmac_f32_e32 v19, v21, v20
	s_or_b64 exec, exec, s[10:11]
	v_cmp_gt_u32_e64 s[10:11], 8, v5
	s_and_saveexec_b64 s[16:17], s[10:11]
	s_cbranch_execnz .LBB100_702
	s_branch .LBB100_703
.LBB100_1177:
	ds_read_b32 v22, v21 offset:5440
	ds_read_b32 v23, v20 offset:5204
	s_waitcnt lgkmcnt(0)
	v_fmac_f32_e32 v19, v22, v23
	s_or_b64 exec, exec, s[16:17]
	v_cmp_gt_u32_e64 s[10:11], 8, v5
	s_and_saveexec_b64 s[16:17], s[10:11]
	s_cbranch_execz .LBB100_755
.LBB100_1178:
	ds_read_b32 v21, v21 offset:5696
	ds_read_b32 v20, v20 offset:5208
	s_waitcnt lgkmcnt(0)
	v_fmac_f32_e32 v19, v21, v20
	s_or_b64 exec, exec, s[16:17]
	v_cmp_gt_u32_e64 s[10:11], 4, v5
	s_and_saveexec_b64 s[16:17], s[10:11]
	s_cbranch_execnz .LBB100_756
	s_branch .LBB100_757
.LBB100_1179:
	ds_read_b32 v22, v21 offset:6912
	ds_read_b32 v23, v20 offset:4204
	s_waitcnt lgkmcnt(0)
	v_fmac_f32_e32 v19, v22, v23
	s_or_b64 exec, exec, s[16:17]
	s_and_saveexec_b64 s[10:11], s[14:15]
	s_cbranch_execz .LBB100_813
.LBB100_1180:
	ds_read_b32 v22, v21 offset:7168
	ds_read_b32 v23, v20 offset:4208
	s_waitcnt lgkmcnt(0)
	v_fmac_f32_e32 v19, v22, v23
	s_or_b64 exec, exec, s[10:11]
	v_cmp_gt_u32_e64 s[10:11], 48, v5
	s_and_saveexec_b64 s[16:17], s[10:11]
	s_cbranch_execz .LBB100_814
.LBB100_1181:
	ds_read_b32 v22, v21 offset:7424
	ds_read_b32 v23, v20 offset:4212
	s_waitcnt lgkmcnt(0)
	v_fmac_f32_e32 v19, v22, v23
	s_or_b64 exec, exec, s[16:17]
	v_cmp_gt_u32_e64 s[10:11], 32, v5
	s_and_saveexec_b64 s[16:17], s[10:11]
	s_cbranch_execz .LBB100_815
.LBB100_1182:
	ds_read_b32 v21, v21 offset:7680
	ds_read_b32 v20, v20 offset:4216
	s_waitcnt lgkmcnt(0)
	v_fmac_f32_e32 v19, v21, v20
	s_or_b64 exec, exec, s[16:17]
	v_cmp_gt_u32_e64 s[10:11], 16, v5
	s_and_saveexec_b64 s[16:17], s[10:11]
	s_cbranch_execnz .LBB100_816
	s_branch .LBB100_817
.LBB100_1183:
	ds_read_b32 v19, v18 offset:3360
	ds_read_b32 v20, v17 offset:3124
	s_waitcnt lgkmcnt(0)
	v_fmac_f32_e32 v16, v19, v20
	s_or_b64 exec, exec, s[12:13]
	v_cmp_gt_u32_e64 s[8:9], 8, v5
	s_and_saveexec_b64 s[12:13], s[8:9]
	s_cbranch_execz .LBB100_901
.LBB100_1184:
	ds_read_b32 v18, v18 offset:3616
	ds_read_b32 v17, v17 offset:3128
	s_waitcnt lgkmcnt(0)
	v_fmac_f32_e32 v16, v18, v17
	s_or_b64 exec, exec, s[12:13]
	v_cmp_gt_u32_e64 s[8:9], 4, v5
	s_and_saveexec_b64 s[12:13], s[8:9]
	s_cbranch_execnz .LBB100_902
	s_branch .LBB100_903
.LBB100_1185:
	ds_read_b32 v19, v18 offset:2304
	ds_read_b32 v20, v17 offset:2084
	s_waitcnt lgkmcnt(0)
	v_fmac_f32_e32 v16, v19, v20
	s_or_b64 exec, exec, s[12:13]
	v_cmp_gt_u32_e64 s[8:9], 48, v5
	s_and_saveexec_b64 s[12:13], s[8:9]
	s_cbranch_execz .LBB100_939
.LBB100_1186:
	ds_read_b32 v19, v18 offset:2560
	ds_read_b32 v20, v17 offset:2088
	s_waitcnt lgkmcnt(0)
	v_fmac_f32_e32 v16, v19, v20
	s_or_b64 exec, exec, s[12:13]
	v_cmp_gt_u32_e64 s[8:9], 40, v5
	s_and_saveexec_b64 s[12:13], s[8:9]
	s_cbranch_execz .LBB100_940
.LBB100_1187:
	ds_read_b32 v19, v18 offset:2816
	ds_read_b32 v20, v17 offset:2092
	s_waitcnt lgkmcnt(0)
	v_fmac_f32_e32 v16, v19, v20
	s_or_b64 exec, exec, s[12:13]
	v_cmp_gt_u32_e64 s[8:9], 32, v5
	s_and_saveexec_b64 s[12:13], s[8:9]
	s_cbranch_execz .LBB100_941
.LBB100_1188:
	ds_read_b32 v19, v18 offset:3072
	ds_read_b32 v20, v17 offset:2096
	s_waitcnt lgkmcnt(0)
	v_fmac_f32_e32 v16, v19, v20
	s_or_b64 exec, exec, s[12:13]
	v_cmp_gt_u32_e64 s[8:9], 24, v5
	s_and_saveexec_b64 s[12:13], s[8:9]
	s_cbranch_execz .LBB100_942
.LBB100_1189:
	ds_read_b32 v19, v18 offset:3328
	ds_read_b32 v20, v17 offset:2100
	s_waitcnt lgkmcnt(0)
	v_fmac_f32_e32 v16, v19, v20
	s_or_b64 exec, exec, s[12:13]
	s_and_saveexec_b64 s[8:9], s[2:3]
	s_cbranch_execz .LBB100_943
.LBB100_1190:
	ds_read_b32 v18, v18 offset:3584
	ds_read_b32 v17, v17 offset:2104
	s_waitcnt lgkmcnt(0)
	v_fmac_f32_e32 v16, v18, v17
	s_or_b64 exec, exec, s[8:9]
	v_cmp_gt_u32_e64 s[8:9], 8, v5
	s_and_saveexec_b64 s[12:13], s[8:9]
	s_cbranch_execnz .LBB100_944
	s_branch .LBB100_945
.LBB100_1191:
	ds_read_b32 v16, v15 offset:1280
	ds_read_b32 v17, v14 offset:1044
	s_waitcnt lgkmcnt(0)
	v_fmac_f32_e32 v13, v16, v17
	s_or_b64 exec, exec, s[12:13]
	v_cmp_gt_u32_e64 s[8:9], 8, v5
	s_and_saveexec_b64 s[12:13], s[8:9]
	s_cbranch_execz .LBB100_997
.LBB100_1192:
	ds_read_b32 v15, v15 offset:1536
	ds_read_b32 v14, v14 offset:1048
	s_waitcnt lgkmcnt(0)
	v_fmac_f32_e32 v13, v15, v14
	s_or_b64 exec, exec, s[12:13]
	v_cmp_gt_u32_e64 s[8:9], 4, v5
	s_and_saveexec_b64 s[12:13], s[8:9]
	s_cbranch_execnz .LBB100_998
	s_branch .LBB100_999
	.section	.rodata,"a",@progbits
	.p2align	6, 0x0
	.amdhsa_kernel _ZL19rocblas_trsv_deviceILi64ELi16ELb0ELb0ELb0ELb0EfPKfPKS1_PKPfEviT7_lllT6_T8_lllPii
		.amdhsa_group_segment_fixed_size 20740
		.amdhsa_private_segment_fixed_size 0
		.amdhsa_kernarg_size 352
		.amdhsa_user_sgpr_count 6
		.amdhsa_user_sgpr_private_segment_buffer 1
		.amdhsa_user_sgpr_dispatch_ptr 0
		.amdhsa_user_sgpr_queue_ptr 0
		.amdhsa_user_sgpr_kernarg_segment_ptr 1
		.amdhsa_user_sgpr_dispatch_id 0
		.amdhsa_user_sgpr_flat_scratch_init 0
		.amdhsa_user_sgpr_private_segment_size 0
		.amdhsa_uses_dynamic_stack 0
		.amdhsa_system_sgpr_private_segment_wavefront_offset 0
		.amdhsa_system_sgpr_workgroup_id_x 1
		.amdhsa_system_sgpr_workgroup_id_y 0
		.amdhsa_system_sgpr_workgroup_id_z 1
		.amdhsa_system_sgpr_workgroup_info 0
		.amdhsa_system_vgpr_workitem_id 1
		.amdhsa_next_free_vgpr 29
		.amdhsa_next_free_sgpr 96
		.amdhsa_reserve_vcc 1
		.amdhsa_reserve_flat_scratch 0
		.amdhsa_float_round_mode_32 0
		.amdhsa_float_round_mode_16_64 0
		.amdhsa_float_denorm_mode_32 3
		.amdhsa_float_denorm_mode_16_64 3
		.amdhsa_dx10_clamp 1
		.amdhsa_ieee_mode 1
		.amdhsa_fp16_overflow 0
		.amdhsa_exception_fp_ieee_invalid_op 0
		.amdhsa_exception_fp_denorm_src 0
		.amdhsa_exception_fp_ieee_div_zero 0
		.amdhsa_exception_fp_ieee_overflow 0
		.amdhsa_exception_fp_ieee_underflow 0
		.amdhsa_exception_fp_ieee_inexact 0
		.amdhsa_exception_int_div_zero 0
	.end_amdhsa_kernel
	.section	.text._ZL19rocblas_trsv_deviceILi64ELi16ELb0ELb0ELb0ELb0EfPKfPKS1_PKPfEviT7_lllT6_T8_lllPii,"axG",@progbits,_ZL19rocblas_trsv_deviceILi64ELi16ELb0ELb0ELb0ELb0EfPKfPKS1_PKPfEviT7_lllT6_T8_lllPii,comdat
.Lfunc_end100:
	.size	_ZL19rocblas_trsv_deviceILi64ELi16ELb0ELb0ELb0ELb0EfPKfPKS1_PKPfEviT7_lllT6_T8_lllPii, .Lfunc_end100-_ZL19rocblas_trsv_deviceILi64ELi16ELb0ELb0ELb0ELb0EfPKfPKS1_PKPfEviT7_lllT6_T8_lllPii
                                        ; -- End function
	.set _ZL19rocblas_trsv_deviceILi64ELi16ELb0ELb0ELb0ELb0EfPKfPKS1_PKPfEviT7_lllT6_T8_lllPii.num_vgpr, 28
	.set _ZL19rocblas_trsv_deviceILi64ELi16ELb0ELb0ELb0ELb0EfPKfPKS1_PKPfEviT7_lllT6_T8_lllPii.num_agpr, 0
	.set _ZL19rocblas_trsv_deviceILi64ELi16ELb0ELb0ELb0ELb0EfPKfPKS1_PKPfEviT7_lllT6_T8_lllPii.numbered_sgpr, 96
	.set _ZL19rocblas_trsv_deviceILi64ELi16ELb0ELb0ELb0ELb0EfPKfPKS1_PKPfEviT7_lllT6_T8_lllPii.num_named_barrier, 0
	.set _ZL19rocblas_trsv_deviceILi64ELi16ELb0ELb0ELb0ELb0EfPKfPKS1_PKPfEviT7_lllT6_T8_lllPii.private_seg_size, 0
	.set _ZL19rocblas_trsv_deviceILi64ELi16ELb0ELb0ELb0ELb0EfPKfPKS1_PKPfEviT7_lllT6_T8_lllPii.uses_vcc, 1
	.set _ZL19rocblas_trsv_deviceILi64ELi16ELb0ELb0ELb0ELb0EfPKfPKS1_PKPfEviT7_lllT6_T8_lllPii.uses_flat_scratch, 0
	.set _ZL19rocblas_trsv_deviceILi64ELi16ELb0ELb0ELb0ELb0EfPKfPKS1_PKPfEviT7_lllT6_T8_lllPii.has_dyn_sized_stack, 0
	.set _ZL19rocblas_trsv_deviceILi64ELi16ELb0ELb0ELb0ELb0EfPKfPKS1_PKPfEviT7_lllT6_T8_lllPii.has_recursion, 0
	.set _ZL19rocblas_trsv_deviceILi64ELi16ELb0ELb0ELb0ELb0EfPKfPKS1_PKPfEviT7_lllT6_T8_lllPii.has_indirect_call, 0
	.section	.AMDGPU.csdata,"",@progbits
; Kernel info:
; codeLenInByte = 35868
; TotalNumSgprs: 100
; NumVgprs: 28
; ScratchSize: 0
; MemoryBound: 0
; FloatMode: 240
; IeeeMode: 1
; LDSByteSize: 20740 bytes/workgroup (compile time only)
; SGPRBlocks: 12
; VGPRBlocks: 7
; NumSGPRsForWavesPerEU: 100
; NumVGPRsForWavesPerEU: 29
; Occupancy: 8
; WaveLimiterHint : 1
; COMPUTE_PGM_RSRC2:SCRATCH_EN: 0
; COMPUTE_PGM_RSRC2:USER_SGPR: 6
; COMPUTE_PGM_RSRC2:TRAP_HANDLER: 0
; COMPUTE_PGM_RSRC2:TGID_X_EN: 1
; COMPUTE_PGM_RSRC2:TGID_Y_EN: 0
; COMPUTE_PGM_RSRC2:TGID_Z_EN: 1
; COMPUTE_PGM_RSRC2:TIDIG_COMP_CNT: 1
	.section	.text._ZL19rocblas_trsv_deviceILi64ELi16ELb0ELb1ELb0ELb0EfPKfPKS1_PKPfEviT7_lllT6_T8_lllPii,"axG",@progbits,_ZL19rocblas_trsv_deviceILi64ELi16ELb0ELb1ELb0ELb0EfPKfPKS1_PKPfEviT7_lllT6_T8_lllPii,comdat
	.globl	_ZL19rocblas_trsv_deviceILi64ELi16ELb0ELb1ELb0ELb0EfPKfPKS1_PKPfEviT7_lllT6_T8_lllPii ; -- Begin function _ZL19rocblas_trsv_deviceILi64ELi16ELb0ELb1ELb0ELb0EfPKfPKS1_PKPfEviT7_lllT6_T8_lllPii
	.p2align	8
	.type	_ZL19rocblas_trsv_deviceILi64ELi16ELb0ELb1ELb0ELb0EfPKfPKS1_PKPfEviT7_lllT6_T8_lllPii,@function
_ZL19rocblas_trsv_deviceILi64ELi16ELb0ELb1ELb0ELb0EfPKfPKS1_PKPfEviT7_lllT6_T8_lllPii: ; @_ZL19rocblas_trsv_deviceILi64ELi16ELb0ELb1ELb0ELb0EfPKfPKS1_PKPfEviT7_lllT6_T8_lllPii
; %bb.0:
	s_load_dwordx4 s[0:3], s[4:5], 0x8
	s_mov_b32 s28, s7
	s_mov_b32 s29, 0
	s_lshl_b64 s[8:9], s[28:29], 3
	v_mov_b32_e32 v2, v1
	s_waitcnt lgkmcnt(0)
	s_add_u32 s0, s0, s8
	s_addc_u32 s1, s1, s9
	s_load_dwordx2 s[10:11], s[0:1], 0x0
	s_load_dword s7, s[4:5], 0x0
	s_load_dwordx8 s[20:27], s[4:5], 0x28
	s_load_dwordx2 s[30:31], s[4:5], 0x18
	s_lshl_b64 s[0:1], s[2:3], 2
	s_waitcnt lgkmcnt(0)
	s_add_u32 s87, s10, s0
	s_addc_u32 s88, s11, s1
	s_add_u32 s0, s22, s8
	s_addc_u32 s1, s23, s9
	s_load_dwordx2 s[34:35], s[0:1], 0x0
	s_load_dword s45, s[20:21], 0x0
	s_load_dword s89, s[4:5], 0x6c
	s_cmp_eq_u32 s6, 0
	s_cbranch_scc1 .LBB101_10
; %bb.1:
	s_lshl_b32 s33, s6, 6
	v_add_u32_e32 v1, s33, v0
	v_ashrrev_i32_e32 v3, 31, v1
	v_mul_lo_u32 v7, s30, v3
	v_mul_lo_u32 v8, s31, v1
	v_mad_u64_u32 v[5:6], s[0:1], s30, v1, 0
	v_add_u32_e32 v3, s33, v2
	v_subrev_u32_e32 v3, 64, v3
	v_add3_u32 v6, v6, v7, v8
	v_lshlrev_b64 v[5:6], 2, v[5:6]
	v_ashrrev_i32_e32 v4, 31, v3
	v_cmp_gt_i32_e32 vcc, s7, v1
	v_mov_b32_e32 v1, s88
	v_add_co_u32_e64 v7, s[0:1], s87, v5
	v_lshlrev_b64 v[4:5], 2, v[3:4]
	v_addc_co_u32_e64 v1, s[0:1], v1, v6, s[0:1]
	v_add_co_u32_e64 v4, s[0:1], v7, v4
	v_addc_co_u32_e64 v5, s[0:1], v1, v5, s[0:1]
	v_cmp_gt_i32_e64 s[0:1], s7, v3
	s_and_b64 s[2:3], s[0:1], vcc
	v_mov_b32_e32 v7, 0
	v_mov_b32_e32 v8, 0
	s_waitcnt lgkmcnt(0)
	s_barrier
	s_and_saveexec_b64 s[0:1], s[2:3]
	s_cbranch_execz .LBB101_3
; %bb.2:
	flat_load_dword v8, v[4:5]
.LBB101_3:
	s_or_b64 exec, exec, s[0:1]
	v_add_u32_e32 v1, 16, v3
	v_cmp_gt_i32_e64 s[0:1], s7, v1
	s_and_b64 s[2:3], s[0:1], vcc
	s_waitcnt vmcnt(0) lgkmcnt(0)
	s_barrier
	s_and_saveexec_b64 s[0:1], s[2:3]
	s_cbranch_execz .LBB101_5
; %bb.4:
	flat_load_dword v7, v[4:5] offset:64
.LBB101_5:
	s_or_b64 exec, exec, s[0:1]
	v_add_u32_e32 v1, 32, v3
	v_cmp_gt_i32_e64 s[0:1], s7, v1
	s_and_b64 s[2:3], s[0:1], vcc
	v_mov_b32_e32 v9, 0
	v_mov_b32_e32 v10, 0
	s_waitcnt vmcnt(0) lgkmcnt(0)
	s_barrier
	s_and_saveexec_b64 s[0:1], s[2:3]
	s_cbranch_execz .LBB101_7
; %bb.6:
	flat_load_dword v10, v[4:5] offset:128
.LBB101_7:
	s_or_b64 exec, exec, s[0:1]
	v_add_u32_e32 v1, 48, v3
	v_cmp_gt_i32_e64 s[0:1], s7, v1
	s_and_b64 s[2:3], s[0:1], vcc
	s_waitcnt vmcnt(0) lgkmcnt(0)
	s_barrier
	s_and_saveexec_b64 s[0:1], s[2:3]
	s_cbranch_execz .LBB101_9
; %bb.8:
	flat_load_dword v9, v[4:5] offset:192
.LBB101_9:
	s_or_b64 exec, exec, s[0:1]
	s_branch .LBB101_11
.LBB101_10:
                                        ; implicit-def: $vgpr9
                                        ; implicit-def: $vgpr10
                                        ; implicit-def: $vgpr7
                                        ; implicit-def: $vgpr8
	s_mov_b32 s33, s29
.LBB101_11:
	s_ashr_i32 s0, s7, 31
	s_lshr_b32 s0, s0, 26
	s_add_i32 s0, s7, s0
	s_andn2_b32 s0, s0, 63
	s_sub_i32 s86, s7, s0
	s_add_i32 s0, s7, -1
	s_ashr_i32 s1, s0, 31
	s_lshr_b32 s1, s1, 26
	s_add_i32 s0, s0, s1
	s_ashr_i32 s0, s0, 6
	s_cmp_eq_u32 s0, s6
	s_cselect_b64 s[0:1], -1, 0
	s_cmp_lg_u32 s86, 0
	s_cselect_b64 s[2:3], -1, 0
	s_and_b64 s[22:23], s[2:3], s[0:1]
	s_cmp_lt_i32 s6, 5
	s_cselect_b64 s[2:3], -1, 0
	s_or_b64 s[0:1], s[2:3], s[22:23]
	s_ashr_i32 s44, s33, 31
	s_add_u32 s10, s30, 1
	v_mov_b32_e32 v1, 0
	v_mov_b32_e32 v3, s33
	v_mad_u64_u32 v[3:4], s[8:9], s10, v3, v[0:1]
	s_addc_u32 s11, s31, 0
	s_mul_i32 s8, s10, s44
	s_mul_i32 s11, s11, s33
	s_add_i32 s8, s8, s11
	s_mov_b64 s[12:13], -1
	v_lshlrev_b32_e32 v11, 6, v0
	v_add_u32_e32 v4, s8, v4
	s_and_b64 vcc, exec, s[22:23]
	v_cmp_le_u32_e64 s[8:9], v2, v0
	s_cbranch_vccnz .LBB101_33
; %bb.12:
	v_mad_u64_u32 v[5:6], s[10:11], s30, v2, v[3:4]
	v_mov_b32_e32 v1, v6
	v_mad_u64_u32 v[12:13], s[10:11], s31, v2, v[1:2]
	s_mov_b64 s[10:11], 0
                                        ; implicit-def: $vgpr1
	v_mov_b32_e32 v6, v12
	s_and_saveexec_b64 s[12:13], s[8:9]
	s_xor_b64 s[8:9], exec, s[12:13]
	s_cbranch_execnz .LBB101_1159
; %bb.13:
	s_andn2_saveexec_b64 s[8:9], s[8:9]
	s_cbranch_execnz .LBB101_1164
.LBB101_14:
	s_or_b64 exec, exec, s[8:9]
	s_and_saveexec_b64 s[8:9], s[10:11]
.LBB101_15:
	v_add_u32_e32 v5, v2, v11
	v_lshl_add_u32 v6, v2, 6, v0
	v_cndmask_b32_e64 v5, v6, v5, s[2:3]
	v_lshlrev_b32_e32 v5, 2, v5
	ds_write_b32 v5, v1
.LBB101_16:
	s_or_b64 exec, exec, s[8:9]
	v_add_u32_e32 v1, 16, v2
	v_mad_u64_u32 v[5:6], s[2:3], s30, v1, v[3:4]
	v_cmp_le_u32_e32 vcc, v1, v0
	s_mov_b64 s[8:9], 0
	v_mad_u64_u32 v[12:13], s[2:3], s31, v1, v[6:7]
	v_mov_b32_e32 v6, v12
                                        ; implicit-def: $vgpr12
	s_and_saveexec_b64 s[2:3], vcc
	s_xor_b64 s[2:3], exec, s[2:3]
	s_cbranch_execnz .LBB101_1165
; %bb.17:
	s_andn2_saveexec_b64 s[2:3], s[2:3]
	s_cbranch_execnz .LBB101_1170
.LBB101_18:
	s_or_b64 exec, exec, s[2:3]
	s_and_saveexec_b64 s[2:3], s[8:9]
.LBB101_19:
	v_add_u32_e32 v5, v1, v11
	v_lshl_add_u32 v1, v1, 6, v0
	v_cndmask_b32_e64 v1, v1, v5, s[0:1]
	v_lshlrev_b32_e32 v1, 2, v1
	ds_write_b32 v1, v12
.LBB101_20:
	s_or_b64 exec, exec, s[2:3]
	v_add_u32_e32 v1, 32, v2
	v_mad_u64_u32 v[5:6], s[2:3], s30, v1, v[3:4]
	v_cmp_le_u32_e32 vcc, v1, v0
	s_mov_b64 s[8:9], 0
	v_mad_u64_u32 v[12:13], s[2:3], s31, v1, v[6:7]
	v_mov_b32_e32 v6, v12
                                        ; implicit-def: $vgpr12
	s_and_saveexec_b64 s[2:3], vcc
	s_xor_b64 s[2:3], exec, s[2:3]
	s_cbranch_execnz .LBB101_1171
; %bb.21:
	s_andn2_saveexec_b64 s[2:3], s[2:3]
	s_cbranch_execnz .LBB101_1176
.LBB101_22:
	s_or_b64 exec, exec, s[2:3]
	s_and_saveexec_b64 s[2:3], s[8:9]
.LBB101_23:
	v_add_u32_e32 v5, v1, v11
	v_lshl_add_u32 v1, v1, 6, v0
	v_cndmask_b32_e64 v1, v1, v5, s[0:1]
	v_lshlrev_b32_e32 v1, 2, v1
	ds_write_b32 v1, v12
.LBB101_24:
	s_or_b64 exec, exec, s[2:3]
	v_add_u32_e32 v12, 48, v2
	v_mad_u64_u32 v[5:6], s[2:3], s30, v12, v[3:4]
	v_cmp_le_u32_e32 vcc, v12, v0
	s_mov_b64 s[10:11], 0
	v_mov_b32_e32 v1, v6
	v_mad_u64_u32 v[13:14], s[2:3], s31, v12, v[1:2]
                                        ; implicit-def: $vgpr1
	v_mov_b32_e32 v6, v13
	s_and_saveexec_b64 s[2:3], vcc
	s_xor_b64 s[2:3], exec, s[2:3]
	s_cbranch_execz .LBB101_30
; %bb.25:
	v_cmp_ne_u32_e32 vcc, v0, v12
	s_mov_b64 s[8:9], 0
	s_and_saveexec_b64 s[10:11], vcc
	s_xor_b64 s[10:11], exec, s[10:11]
; %bb.26:
	v_or_b32_e32 v1, v12, v0
	v_cmp_gt_u32_e32 vcc, 64, v1
	s_and_b64 s[8:9], vcc, exec
                                        ; implicit-def: $vgpr5_vgpr6
; %bb.27:
	s_or_saveexec_b64 s[10:11], s[10:11]
	v_mov_b32_e32 v1, 0
	s_xor_b64 exec, exec, s[10:11]
	s_cbranch_execz .LBB101_29
; %bb.28:
	v_lshlrev_b64 v[5:6], 2, v[5:6]
	v_mov_b32_e32 v1, s88
	v_add_co_u32_e32 v5, vcc, s87, v5
	v_addc_co_u32_e32 v6, vcc, v1, v6, vcc
	flat_load_dword v1, v[5:6]
	s_or_b64 s[8:9], s[8:9], exec
	s_waitcnt vmcnt(0) lgkmcnt(0)
	v_div_scale_f32 v5, s[12:13], v1, v1, 1.0
	v_div_scale_f32 v6, vcc, 1.0, v1, 1.0
	v_rcp_f32_e32 v13, v5
	v_fma_f32 v14, -v5, v13, 1.0
	v_fmac_f32_e32 v13, v14, v13
	v_mul_f32_e32 v14, v6, v13
	v_fma_f32 v15, -v5, v14, v6
	v_fmac_f32_e32 v14, v15, v13
	v_fma_f32 v5, -v5, v14, v6
	v_div_fmas_f32 v5, v5, v13, v14
	v_div_fixup_f32 v1, v5, v1, 1.0
.LBB101_29:
	s_or_b64 exec, exec, s[10:11]
	s_and_b64 s[10:11], s[8:9], exec
                                        ; implicit-def: $vgpr5_vgpr6
.LBB101_30:
	s_or_saveexec_b64 s[2:3], s[2:3]
	v_add_u32_e32 v13, v12, v11
	v_lshl_add_u32 v12, v12, 6, v0
	s_xor_b64 exec, exec, s[2:3]
	s_cbranch_execz .LBB101_32
; %bb.31:
	v_lshlrev_b64 v[5:6], 2, v[5:6]
	v_mov_b32_e32 v1, s88
	v_add_co_u32_e32 v5, vcc, s87, v5
	v_addc_co_u32_e32 v6, vcc, v1, v6, vcc
	flat_load_dword v1, v[5:6]
	s_or_b64 s[10:11], s[10:11], exec
	s_waitcnt vmcnt(0) lgkmcnt(0)
	v_xor_b32_e32 v1, 0x80000000, v1
.LBB101_32:
	s_or_b64 exec, exec, s[2:3]
	v_cndmask_b32_e64 v5, v12, v13, s[0:1]
	s_branch .LBB101_55
.LBB101_33:
	s_mov_b64 s[10:11], 0
                                        ; implicit-def: $vgpr1
                                        ; implicit-def: $vgpr5
	s_and_b64 vcc, exec, s[12:13]
	s_cbranch_vccz .LBB101_55
; %bb.34:
	v_mad_u64_u32 v[5:6], s[2:3], s30, v2, v[3:4]
	v_cmp_le_u32_e32 vcc, v2, v0
	v_cmp_gt_i32_e64 s[2:3], s86, v0
	v_mov_b32_e32 v1, v6
	v_mad_u64_u32 v[12:13], s[8:9], s31, v2, v[1:2]
	v_max_i32_e32 v1, v2, v0
	v_cmp_le_i32_e64 s[8:9], s86, v1
	v_mov_b32_e32 v6, v12
	s_or_b64 s[8:9], s[8:9], vcc
	s_mov_b64 s[12:13], 0
                                        ; implicit-def: $vgpr1
	s_and_saveexec_b64 s[14:15], s[8:9]
	s_xor_b64 s[8:9], exec, s[14:15]
	s_cbranch_execnz .LBB101_1177
; %bb.35:
	s_andn2_saveexec_b64 s[8:9], s[8:9]
	s_cbranch_execnz .LBB101_1182
.LBB101_36:
	s_or_b64 exec, exec, s[8:9]
	s_and_saveexec_b64 s[8:9], s[12:13]
.LBB101_37:
	v_lshlrev_b32_e32 v5, 2, v11
	v_lshl_add_u32 v5, v2, 2, v5
	ds_write_b32 v5, v1
.LBB101_38:
	s_or_b64 exec, exec, s[8:9]
	v_add_u32_e32 v1, 16, v2
	v_mad_u64_u32 v[5:6], s[8:9], s30, v1, v[3:4]
	v_cmp_gt_u32_e32 vcc, v1, v0
	s_mov_b64 s[12:13], 0
	v_mad_u64_u32 v[12:13], s[8:9], s31, v1, v[6:7]
	v_cmp_gt_i32_e64 s[8:9], s86, v1
	s_and_b64 s[8:9], vcc, s[8:9]
	s_and_b64 s[8:9], s[2:3], s[8:9]
	v_mov_b32_e32 v6, v12
	s_xor_b64 s[8:9], s[8:9], -1
                                        ; implicit-def: $vgpr12
	s_and_saveexec_b64 s[14:15], s[8:9]
	s_xor_b64 s[8:9], exec, s[14:15]
	s_cbranch_execnz .LBB101_1183
; %bb.39:
	s_andn2_saveexec_b64 s[8:9], s[8:9]
	s_cbranch_execnz .LBB101_1188
.LBB101_40:
	s_or_b64 exec, exec, s[8:9]
	s_and_saveexec_b64 s[8:9], s[12:13]
.LBB101_41:
	v_add_u32_e32 v5, v1, v11
	v_lshl_add_u32 v1, v1, 6, v0
	v_cndmask_b32_e64 v1, v1, v5, s[0:1]
	v_lshlrev_b32_e32 v1, 2, v1
	ds_write_b32 v1, v12
.LBB101_42:
	s_or_b64 exec, exec, s[8:9]
	v_add_u32_e32 v1, 32, v2
	v_mad_u64_u32 v[5:6], s[8:9], s30, v1, v[3:4]
	v_cmp_gt_u32_e32 vcc, v1, v0
	s_mov_b64 s[12:13], 0
	v_mad_u64_u32 v[12:13], s[8:9], s31, v1, v[6:7]
	v_cmp_gt_i32_e64 s[8:9], s86, v1
	s_and_b64 s[8:9], vcc, s[8:9]
	s_and_b64 s[8:9], s[2:3], s[8:9]
	v_mov_b32_e32 v6, v12
	s_xor_b64 s[8:9], s[8:9], -1
                                        ; implicit-def: $vgpr12
	s_and_saveexec_b64 s[14:15], s[8:9]
	s_xor_b64 s[8:9], exec, s[14:15]
	s_cbranch_execnz .LBB101_1189
; %bb.43:
	s_andn2_saveexec_b64 s[8:9], s[8:9]
	s_cbranch_execnz .LBB101_1194
.LBB101_44:
	s_or_b64 exec, exec, s[8:9]
	s_and_saveexec_b64 s[8:9], s[12:13]
.LBB101_45:
	v_add_u32_e32 v5, v1, v11
	v_lshl_add_u32 v1, v1, 6, v0
	v_cndmask_b32_e64 v1, v1, v5, s[0:1]
	v_lshlrev_b32_e32 v1, 2, v1
	ds_write_b32 v1, v12
.LBB101_46:
	s_or_b64 exec, exec, s[8:9]
	v_add_u32_e32 v5, 48, v2
	v_mad_u64_u32 v[3:4], s[8:9], s30, v5, v[3:4]
	v_cmp_gt_u32_e32 vcc, v5, v0
	v_mov_b32_e32 v1, v4
	v_mad_u64_u32 v[12:13], s[8:9], s31, v5, v[1:2]
	v_cmp_gt_i32_e64 s[8:9], s86, v5
	s_and_b64 s[8:9], vcc, s[8:9]
	s_and_b64 s[8:9], s[2:3], s[8:9]
	v_mov_b32_e32 v4, v12
	s_xor_b64 s[8:9], s[8:9], -1
                                        ; implicit-def: $vgpr1
	s_and_saveexec_b64 s[12:13], s[8:9]
	s_xor_b64 s[8:9], exec, s[12:13]
	s_cbranch_execz .LBB101_52
; %bb.47:
	v_cmp_ne_u32_e32 vcc, v0, v5
	s_xor_b64 s[2:3], s[2:3], -1
	s_or_b64 s[12:13], s[2:3], vcc
	s_mov_b64 s[2:3], s[10:11]
	s_and_saveexec_b64 s[14:15], s[12:13]
	s_xor_b64 s[12:13], exec, s[14:15]
; %bb.48:
	v_or_b32_e32 v1, v5, v0
	v_cmp_gt_u32_e32 vcc, 64, v1
	s_andn2_b64 s[2:3], s[10:11], exec
	s_and_b64 s[14:15], vcc, exec
	s_or_b64 s[2:3], s[2:3], s[14:15]
                                        ; implicit-def: $vgpr3_vgpr4
; %bb.49:
	s_or_saveexec_b64 s[12:13], s[12:13]
	v_mov_b32_e32 v1, 0
	s_xor_b64 exec, exec, s[12:13]
	s_cbranch_execz .LBB101_51
; %bb.50:
	v_lshlrev_b64 v[3:4], 2, v[3:4]
	v_mov_b32_e32 v1, s88
	v_add_co_u32_e32 v3, vcc, s87, v3
	v_addc_co_u32_e32 v4, vcc, v1, v4, vcc
	flat_load_dword v1, v[3:4]
	s_or_b64 s[2:3], s[2:3], exec
	s_waitcnt vmcnt(0) lgkmcnt(0)
	v_div_scale_f32 v3, s[14:15], v1, v1, 1.0
	v_div_scale_f32 v4, vcc, 1.0, v1, 1.0
	v_rcp_f32_e32 v6, v3
	v_fma_f32 v12, -v3, v6, 1.0
	v_fmac_f32_e32 v6, v12, v6
	v_mul_f32_e32 v12, v4, v6
	v_fma_f32 v13, -v3, v12, v4
	v_fmac_f32_e32 v12, v13, v6
	v_fma_f32 v3, -v3, v12, v4
	v_div_fmas_f32 v3, v3, v6, v12
	v_div_fixup_f32 v1, v3, v1, 1.0
.LBB101_51:
	s_or_b64 exec, exec, s[12:13]
	s_andn2_b64 s[10:11], s[10:11], exec
	s_and_b64 s[2:3], s[2:3], exec
	s_or_b64 s[10:11], s[10:11], s[2:3]
                                        ; implicit-def: $vgpr3_vgpr4
.LBB101_52:
	s_or_saveexec_b64 s[2:3], s[8:9]
	v_add_u32_e32 v6, v5, v11
	v_lshl_add_u32 v5, v5, 6, v0
	s_xor_b64 exec, exec, s[2:3]
	s_cbranch_execz .LBB101_54
; %bb.53:
	v_lshlrev_b64 v[3:4], 2, v[3:4]
	v_mov_b32_e32 v1, s88
	v_add_co_u32_e32 v3, vcc, s87, v3
	v_addc_co_u32_e32 v4, vcc, v1, v4, vcc
	flat_load_dword v1, v[3:4]
	s_or_b64 s[10:11], s[10:11], exec
	s_waitcnt vmcnt(0) lgkmcnt(0)
	v_xor_b32_e32 v1, 0x80000000, v1
.LBB101_54:
	s_or_b64 exec, exec, s[2:3]
	v_cndmask_b32_e64 v5, v5, v6, s[0:1]
.LBB101_55:
	s_xor_b64 s[0:1], s[0:1], -1
	s_and_saveexec_b64 s[2:3], s[10:11]
; %bb.56:
	v_lshlrev_b32_e32 v3, 2, v5
	ds_write_b32 v3, v1
; %bb.57:
	s_or_b64 exec, exec, s[2:3]
	v_cndmask_b32_e64 v1, 0, 1, s[0:1]
	v_cmp_ne_u32_e64 s[56:57], 1, v1
	s_andn2_b64 vcc, exec, s[0:1]
	s_waitcnt vmcnt(0) lgkmcnt(0)
	s_barrier
	s_cbranch_vccnz .LBB101_1095
; %bb.58:
	v_or_b32_e32 v1, v0, v2
	v_cmp_eq_u32_e32 vcc, 0, v1
	s_and_saveexec_b64 s[0:1], vcc
	s_cbranch_execz .LBB101_60
; %bb.59:
	v_mov_b32_e32 v1, 0
	ds_read_b64 v[3:4], v1 offset:16376
	ds_read_b32 v1, v1 offset:16120
	s_movk_i32 s2, 0x3c00
	s_waitcnt lgkmcnt(0)
	v_mul_f32_e32 v1, v1, v4
	v_mul_f32_e32 v1, v3, v1
	v_add_u32_e64 v3, s2, 0
	ds_write2_b32 v3, v1, v1 offset0:191 offset1:254
.LBB101_60:
	s_or_b64 exec, exec, s[0:1]
	v_lshlrev_b32_e32 v3, 6, v2
	v_add_u32_e32 v5, v3, v0
	v_and_b32_e32 v4, v3, v0
	v_xor_b32_e32 v3, v3, v0
	v_lshrrev_b16_e32 v3, 1, v3
	v_add_u16_e32 v4, v4, v3
	v_and_b32_e32 v1, 1, v0
	v_sub_u32_e32 v3, 1, v4
	v_cmp_lt_u32_e64 s[8:9], 3, v5
	v_cmp_gt_u32_e64 s[2:3], 4, v5
	v_mov_b32_e32 v6, 0
	s_waitcnt lgkmcnt(0)
	s_barrier
	buffer_wbinvl1_vol
	s_and_saveexec_b64 s[0:1], s[2:3]
	s_cbranch_execz .LBB101_64
; %bb.61:
	v_lshlrev_b32_e32 v6, 8, v3
	v_lshlrev_b32_e32 v11, 2, v1
	ds_read_b32 v12, v11 offset:16112
	ds_read_b32 v6, v6 offset:16120
	v_mov_b32_e32 v11, 0
	v_cmp_gt_u32_e64 s[10:11], 2, v5
	s_waitcnt lgkmcnt(0)
	v_fma_f32 v6, v12, v6, 0
	s_and_saveexec_b64 s[12:13], s[10:11]
	s_cbranch_execz .LBB101_63
; %bb.62:
	v_lshlrev_b32_e32 v12, 2, v0
	ds_read_b32 v12, v12 offset:16368
	ds_read_b32 v11, v11 offset:16380
	s_waitcnt lgkmcnt(0)
	v_fmac_f32_e32 v6, v12, v11
.LBB101_63:
	s_or_b64 exec, exec, s[12:13]
.LBB101_64:
	s_or_b64 exec, exec, s[0:1]
	v_mov_b32_e32 v11, 0x4000
	v_cmp_ne_u32_e64 s[10:11], 0, v1
	s_xor_b64 s[0:1], s[8:9], -1
	v_lshl_add_u32 v4, v4, 2, v11
	s_and_b64 s[38:39], s[10:11], s[0:1]
	s_and_saveexec_b64 s[8:9], s[38:39]
	s_cbranch_execz .LBB101_66
; %bb.65:
	v_mov_b32_e32 v11, 0
	ds_read_b32 v11, v11 offset:15860
	s_waitcnt lgkmcnt(0)
	v_mul_f32_e32 v6, v6, v11
	v_xor_b32_e32 v11, 0x80000000, v6
	ds_write_b32 v4, v11
.LBB101_66:
	s_or_b64 exec, exec, s[8:9]
	v_cmp_eq_u32_e64 s[8:9], 0, v1
	s_and_b64 s[36:37], s[8:9], s[0:1]
	s_waitcnt lgkmcnt(0)
	s_barrier
	s_and_saveexec_b64 s[0:1], s[36:37]
	s_cbranch_execz .LBB101_68
; %bb.67:
	v_mov_b32_e32 v11, 0
	ds_read_b32 v11, v11 offset:15856
	ds_read_b32 v12, v4
	s_waitcnt lgkmcnt(0)
	v_fma_f32 v6, -v11, v12, v6
.LBB101_68:
	s_or_b64 exec, exec, s[0:1]
	s_barrier
	s_and_saveexec_b64 s[0:1], s[36:37]
	s_cbranch_execz .LBB101_70
; %bb.69:
	v_mov_b32_e32 v11, 0
	ds_read_b32 v11, v11 offset:15600
	s_waitcnt lgkmcnt(0)
	v_mul_f32_e32 v6, v6, v11
	v_xor_b32_e32 v11, 0x80000000, v6
	ds_write_b32 v4, v11
.LBB101_70:
	s_or_b64 exec, exec, s[0:1]
	s_waitcnt lgkmcnt(0)
	s_barrier
	s_barrier
	s_and_saveexec_b64 s[0:1], s[2:3]
; %bb.71:
	v_lshlrev_b32_e32 v11, 2, v1
	v_lshl_or_b32 v11, v3, 8, v11
	ds_write_b32 v11, v6 offset:16112
; %bb.72:
	s_or_b64 exec, exec, s[0:1]
	v_cmp_eq_u32_e64 s[12:13], 0, v2
	v_cmp_gt_u32_e64 s[8:9], 2, v0
	s_and_b64 s[40:41], s[12:13], s[8:9]
	s_waitcnt lgkmcnt(0)
	s_barrier
	s_barrier
	s_and_saveexec_b64 s[0:1], s[40:41]
	s_cbranch_execz .LBB101_74
; %bb.73:
	v_lshlrev_b32_e32 v6, 2, v0
	s_movk_i32 s8, 0xfc
	v_mad_u32_u24 v11, v0, s8, v6
	ds_read_b32 v12, v11 offset:16112
	s_waitcnt lgkmcnt(0)
	ds_write_b32 v6, v12 offset:15608
	ds_read_b32 v11, v11 offset:16116
	s_waitcnt lgkmcnt(0)
	ds_write_b32 v6, v11 offset:15864
.LBB101_74:
	s_or_b64 exec, exec, s[0:1]
	s_waitcnt lgkmcnt(0)
	s_barrier
	s_and_saveexec_b64 s[0:1], vcc
	s_cbranch_execz .LBB101_76
; %bb.75:
	v_mov_b32_e32 v6, 0
	ds_read_b64 v[11:12], v6 offset:15856
	ds_read_b32 v6, v6 offset:15600
	s_movk_i32 s8, 0x3c00
	s_waitcnt lgkmcnt(0)
	v_mul_f32_e32 v6, v6, v12
	v_mul_f32_e32 v6, v11, v6
	v_add_u32_e64 v11, s8, 0
	ds_write2_b32 v11, v6, v6 offset0:61 offset1:124
.LBB101_76:
	s_or_b64 exec, exec, s[0:1]
	v_lshrrev_b32_e32 v12, 2, v5
	v_and_b32_e32 v6, 3, v0
	v_sub_u32_e32 v11, 3, v12
	v_cmp_lt_u32_e64 s[8:9], 15, v5
	v_cmp_gt_u32_e64 s[18:19], 16, v5
	v_mov_b32_e32 v13, 0
	s_waitcnt lgkmcnt(0)
	s_barrier
	buffer_wbinvl1_vol
	s_and_saveexec_b64 s[0:1], s[18:19]
	s_cbranch_execz .LBB101_82
; %bb.77:
	v_lshlrev_b32_e32 v15, 2, v6
	v_lshlrev_b32_e32 v14, 8, v11
	ds_read_b32 v13, v15 offset:15584
	ds_read_b32 v16, v14 offset:15600
	v_cmp_gt_u32_e64 s[10:11], 12, v5
	s_waitcnt lgkmcnt(0)
	v_fma_f32 v13, v13, v16, 0
	s_and_saveexec_b64 s[14:15], s[10:11]
	s_cbranch_execnz .LBB101_1206
; %bb.78:
	s_or_b64 exec, exec, s[14:15]
	v_cmp_gt_u32_e64 s[10:11], 8, v5
	s_and_saveexec_b64 s[14:15], s[10:11]
	s_cbranch_execnz .LBB101_1207
.LBB101_79:
	s_or_b64 exec, exec, s[14:15]
	v_cmp_gt_u32_e64 s[10:11], 4, v5
	s_and_saveexec_b64 s[14:15], s[10:11]
	s_cbranch_execz .LBB101_81
.LBB101_80:
	v_lshlrev_b32_e32 v14, 2, v0
	v_mov_b32_e32 v15, 0
	ds_read_b32 v14, v14 offset:16352
	ds_read_b32 v15, v15 offset:16380
	s_waitcnt lgkmcnt(0)
	v_fmac_f32_e32 v13, v14, v15
.LBB101_81:
	s_or_b64 exec, exec, s[14:15]
.LBB101_82:
                                        ; implicit-def: $vgpr27 : SGPR spill to VGPR lane
	v_writelane_b32 v27, s45, 0
	v_writelane_b32 v27, s44, 1
	s_or_b64 exec, exec, s[0:1]
	v_mov_b32_e32 v14, 0x4000
	v_cmp_eq_u32_e64 s[10:11], 3, v6
	s_xor_b64 s[0:1], s[8:9], -1
	v_lshl_add_u32 v12, v12, 2, v14
	s_and_b64 s[44:45], s[10:11], s[0:1]
	s_and_saveexec_b64 s[8:9], s[44:45]
	s_cbranch_execz .LBB101_84
; %bb.83:
	v_mov_b32_e32 v14, 0
	ds_read_b32 v14, v14 offset:15340
	s_waitcnt lgkmcnt(0)
	v_mul_f32_e32 v13, v13, v14
	v_xor_b32_e32 v14, 0x80000000, v13
	ds_write_b32 v12, v14
.LBB101_84:
	s_or_b64 exec, exec, s[8:9]
	v_cmp_ne_u32_e64 s[8:9], 3, v6
	s_and_b64 s[46:47], s[8:9], s[0:1]
	s_waitcnt lgkmcnt(0)
	s_barrier
	s_and_saveexec_b64 s[8:9], s[46:47]
	s_cbranch_execz .LBB101_86
; %bb.85:
	v_lshlrev_b32_e32 v14, 2, v6
	ds_read_b32 v14, v14 offset:15328
	ds_read_b32 v15, v12
	s_waitcnt lgkmcnt(0)
	v_fma_f32 v13, -v14, v15, v13
.LBB101_86:
	s_or_b64 exec, exec, s[8:9]
	v_cmp_eq_u32_e64 s[8:9], 2, v6
	s_and_b64 s[48:49], s[8:9], s[0:1]
	s_barrier
	s_and_saveexec_b64 s[8:9], s[48:49]
	s_cbranch_execz .LBB101_88
; %bb.87:
	v_mov_b32_e32 v14, 0
	ds_read_b32 v14, v14 offset:15080
	s_waitcnt lgkmcnt(0)
	v_mul_f32_e32 v13, v13, v14
	v_xor_b32_e32 v14, 0x80000000, v13
	ds_write_b32 v12, v14
.LBB101_88:
	s_or_b64 exec, exec, s[8:9]
	v_cmp_gt_u32_e64 s[8:9], 2, v6
	s_and_b64 s[50:51], s[8:9], s[0:1]
	s_waitcnt lgkmcnt(0)
	s_barrier
	s_and_saveexec_b64 s[8:9], s[50:51]
	s_cbranch_execz .LBB101_90
; %bb.89:
	v_lshlrev_b32_e32 v14, 2, v6
	ds_read_b32 v14, v14 offset:15072
	ds_read_b32 v15, v12
	s_waitcnt lgkmcnt(0)
	v_fma_f32 v13, -v14, v15, v13
.LBB101_90:
	s_or_b64 exec, exec, s[8:9]
	v_cmp_eq_u32_e64 s[8:9], 1, v6
	s_and_b64 s[52:53], s[8:9], s[0:1]
	s_barrier
	s_and_saveexec_b64 s[8:9], s[52:53]
	s_cbranch_execz .LBB101_92
; %bb.91:
	v_mov_b32_e32 v14, 0
	ds_read_b32 v14, v14 offset:14820
	s_waitcnt lgkmcnt(0)
	v_mul_f32_e32 v13, v13, v14
	v_xor_b32_e32 v14, 0x80000000, v13
	ds_write_b32 v12, v14
.LBB101_92:
	s_or_b64 exec, exec, s[8:9]
	v_cmp_eq_u32_e64 s[8:9], 0, v6
	s_and_b64 s[42:43], s[8:9], s[0:1]
	s_waitcnt lgkmcnt(0)
	s_barrier
	s_and_saveexec_b64 s[0:1], s[42:43]
	s_cbranch_execz .LBB101_94
; %bb.93:
	v_mov_b32_e32 v14, 0
	ds_read_b32 v14, v14 offset:14816
	ds_read_b32 v15, v12
	s_waitcnt lgkmcnt(0)
	v_fma_f32 v13, -v14, v15, v13
.LBB101_94:
	s_or_b64 exec, exec, s[0:1]
	s_barrier
	s_and_saveexec_b64 s[0:1], s[42:43]
	s_cbranch_execz .LBB101_96
; %bb.95:
	v_mov_b32_e32 v14, 0
	ds_read_b32 v14, v14 offset:14560
	s_waitcnt lgkmcnt(0)
	v_mul_f32_e32 v13, v13, v14
	v_xor_b32_e32 v14, 0x80000000, v13
	ds_write_b32 v12, v14
.LBB101_96:
	s_or_b64 exec, exec, s[0:1]
	s_waitcnt lgkmcnt(0)
	s_barrier
	s_barrier
	s_and_saveexec_b64 s[0:1], s[18:19]
; %bb.97:
	v_lshlrev_b32_e32 v14, 2, v6
	v_lshl_or_b32 v14, v11, 8, v14
	ds_write_b32 v14, v13 offset:15584
; %bb.98:
	s_or_b64 exec, exec, s[0:1]
	v_cmp_gt_u32_e64 s[8:9], 4, v0
	s_and_b64 s[54:55], s[12:13], s[8:9]
	s_waitcnt lgkmcnt(0)
	s_barrier
	s_barrier
	s_and_saveexec_b64 s[0:1], s[54:55]
	s_cbranch_execz .LBB101_100
; %bb.99:
	v_lshlrev_b32_e32 v13, 8, v0
	ds_read_b32 v14, v13 offset:15584
	s_movk_i32 s8, 0xff04
	v_mad_i32_i24 v15, v0, s8, v13
	s_waitcnt lgkmcnt(0)
	ds_write_b32 v15, v14 offset:14576
	ds_read_b32 v14, v13 offset:15588
	s_waitcnt lgkmcnt(0)
	ds_write_b32 v15, v14 offset:14832
	ds_read_b32 v14, v13 offset:15592
	;; [unrolled: 3-line block ×3, first 2 shown]
	s_waitcnt lgkmcnt(0)
	ds_write_b32 v15, v13 offset:15344
.LBB101_100:
	s_or_b64 exec, exec, s[0:1]
	s_waitcnt lgkmcnt(0)
	s_barrier
	s_and_saveexec_b64 s[0:1], vcc
	s_cbranch_execz .LBB101_102
; %bb.101:
	v_mov_b32_e32 v15, 0
	ds_read_b64 v[13:14], v15 offset:15336
	ds_read_b32 v15, v15 offset:15080
	s_movk_i32 s8, 0x3800
	s_waitcnt lgkmcnt(0)
	v_mul_f32_e32 v14, v15, v14
	v_mul_f32_e32 v13, v13, v14
	v_add_u32_e64 v14, s8, 0
	ds_write2_b32 v14, v13, v13 offset0:187 offset1:250
.LBB101_102:
	s_or_b64 exec, exec, s[0:1]
	v_mov_b32_e32 v13, 0
	s_waitcnt lgkmcnt(0)
	s_barrier
	buffer_wbinvl1_vol
	s_and_saveexec_b64 s[0:1], s[2:3]
	s_cbranch_execz .LBB101_106
; %bb.103:
	v_lshlrev_b32_e32 v13, 8, v3
	v_lshlrev_b32_e32 v14, 2, v1
	ds_read_b32 v15, v14 offset:15072
	ds_read_b32 v13, v13 offset:15080
	v_mov_b32_e32 v14, 0
	v_cmp_gt_u32_e64 s[8:9], 2, v5
	s_waitcnt lgkmcnt(0)
	v_fma_f32 v13, v15, v13, 0
	s_and_saveexec_b64 s[10:11], s[8:9]
	s_cbranch_execz .LBB101_105
; %bb.104:
	v_lshlrev_b32_e32 v15, 2, v0
	ds_read_b32 v15, v15 offset:15328
	ds_read_b32 v14, v14 offset:15340
	s_waitcnt lgkmcnt(0)
	v_fmac_f32_e32 v13, v15, v14
.LBB101_105:
	s_or_b64 exec, exec, s[10:11]
.LBB101_106:
	s_or_b64 exec, exec, s[0:1]
	s_and_saveexec_b64 s[0:1], s[38:39]
	s_cbranch_execz .LBB101_108
; %bb.107:
	v_mov_b32_e32 v14, 0
	ds_read_b32 v14, v14 offset:14820
	s_waitcnt lgkmcnt(0)
	v_mul_f32_e32 v13, v13, v14
	v_xor_b32_e32 v14, 0x80000000, v13
	ds_write_b32 v4, v14
.LBB101_108:
	s_or_b64 exec, exec, s[0:1]
	s_waitcnt lgkmcnt(0)
	s_barrier
	s_and_saveexec_b64 s[0:1], s[36:37]
	s_cbranch_execz .LBB101_110
; %bb.109:
	v_mov_b32_e32 v14, 0
	ds_read_b32 v14, v14 offset:14816
	ds_read_b32 v15, v4
	s_waitcnt lgkmcnt(0)
	v_fma_f32 v13, -v14, v15, v13
.LBB101_110:
	s_or_b64 exec, exec, s[0:1]
	s_barrier
	s_and_saveexec_b64 s[0:1], s[36:37]
	s_cbranch_execz .LBB101_112
; %bb.111:
	v_mov_b32_e32 v14, 0
	ds_read_b32 v14, v14 offset:14560
	s_waitcnt lgkmcnt(0)
	v_mul_f32_e32 v13, v13, v14
	v_xor_b32_e32 v14, 0x80000000, v13
	ds_write_b32 v4, v14
.LBB101_112:
	s_or_b64 exec, exec, s[0:1]
	s_waitcnt lgkmcnt(0)
	s_barrier
	s_barrier
	s_and_saveexec_b64 s[0:1], s[2:3]
; %bb.113:
	v_lshlrev_b32_e32 v14, 2, v1
	v_lshl_or_b32 v14, v3, 8, v14
	ds_write_b32 v14, v13 offset:15072
; %bb.114:
	s_or_b64 exec, exec, s[0:1]
	s_waitcnt lgkmcnt(0)
	s_barrier
	s_barrier
	s_and_saveexec_b64 s[0:1], s[40:41]
	s_cbranch_execz .LBB101_116
; %bb.115:
	v_lshlrev_b32_e32 v13, 2, v0
	s_movk_i32 s8, 0xfc
	v_mad_u32_u24 v14, v0, s8, v13
	ds_read_b32 v15, v14 offset:15072
	s_waitcnt lgkmcnt(0)
	ds_write_b32 v13, v15 offset:14568
	ds_read_b32 v14, v14 offset:15076
	s_waitcnt lgkmcnt(0)
	ds_write_b32 v13, v14 offset:14824
.LBB101_116:
	s_or_b64 exec, exec, s[0:1]
	s_waitcnt lgkmcnt(0)
	s_barrier
	s_and_saveexec_b64 s[0:1], vcc
	s_cbranch_execz .LBB101_118
; %bb.117:
	v_mov_b32_e32 v15, 0
	ds_read_b64 v[13:14], v15 offset:14816
	ds_read_b32 v15, v15 offset:14560
	s_movk_i32 s8, 0x3800
	s_waitcnt lgkmcnt(0)
	v_mul_f32_e32 v14, v15, v14
	v_mul_f32_e32 v13, v13, v14
	v_add_u32_e64 v14, s8, 0
	ds_write2_b32 v14, v13, v13 offset0:57 offset1:120
.LBB101_118:
	s_or_b64 exec, exec, s[0:1]
	v_lshrrev_b32_e32 v15, 3, v5
	v_and_b32_e32 v13, 7, v0
	v_sub_u32_e32 v14, 7, v15
	v_cmp_lt_u32_e64 s[10:11], 63, v5
	v_cmp_gt_u32_e64 s[8:9], 64, v5
	v_mov_b32_e32 v16, 0
	s_waitcnt lgkmcnt(0)
	s_barrier
	buffer_wbinvl1_vol
	s_and_saveexec_b64 s[0:1], s[8:9]
	s_cbranch_execz .LBB101_128
; %bb.119:
	v_lshlrev_b32_e32 v18, 2, v13
	v_lshlrev_b32_e32 v17, 8, v14
	ds_read_b32 v16, v18 offset:14528
	ds_read_b32 v19, v17 offset:14560
	v_cmp_gt_u32_e64 s[14:15], 56, v5
	s_waitcnt lgkmcnt(0)
	v_fma_f32 v16, v16, v19, 0
	s_and_saveexec_b64 s[16:17], s[14:15]
	s_cbranch_execnz .LBB101_1208
; %bb.120:
	s_or_b64 exec, exec, s[16:17]
	v_cmp_gt_u32_e64 s[14:15], 48, v5
	s_and_saveexec_b64 s[16:17], s[14:15]
	s_cbranch_execnz .LBB101_1209
.LBB101_121:
	s_or_b64 exec, exec, s[16:17]
	v_cmp_gt_u32_e64 s[14:15], 40, v5
	s_and_saveexec_b64 s[16:17], s[14:15]
	s_cbranch_execnz .LBB101_1210
.LBB101_122:
	s_or_b64 exec, exec, s[16:17]
	v_cmp_gt_u32_e64 s[14:15], 32, v5
	s_and_saveexec_b64 s[16:17], s[14:15]
	s_cbranch_execnz .LBB101_1211
.LBB101_123:
	s_or_b64 exec, exec, s[16:17]
	v_cmp_gt_u32_e64 s[14:15], 24, v5
	s_and_saveexec_b64 s[16:17], s[14:15]
	s_cbranch_execnz .LBB101_1212
.LBB101_124:
	s_or_b64 exec, exec, s[16:17]
	s_and_saveexec_b64 s[14:15], s[18:19]
	s_cbranch_execnz .LBB101_1213
.LBB101_125:
	s_or_b64 exec, exec, s[14:15]
	v_cmp_gt_u32_e64 s[14:15], 8, v5
	s_and_saveexec_b64 s[16:17], s[14:15]
	s_cbranch_execz .LBB101_127
.LBB101_126:
	v_lshlrev_b32_e32 v17, 2, v0
	v_mov_b32_e32 v18, 0
	ds_read_b32 v17, v17 offset:16320
	ds_read_b32 v18, v18 offset:16380
	s_waitcnt lgkmcnt(0)
	v_fmac_f32_e32 v16, v17, v18
.LBB101_127:
	s_or_b64 exec, exec, s[16:17]
.LBB101_128:
	v_writelane_b32 v27, s56, 2
	v_writelane_b32 v27, s57, 3
	s_or_b64 exec, exec, s[0:1]
	v_mov_b32_e32 v17, 0x4000
	v_cmp_eq_u32_e64 s[14:15], 7, v13
	s_xor_b64 s[0:1], s[10:11], -1
	v_lshl_add_u32 v15, v15, 2, v17
	s_and_b64 s[56:57], s[14:15], s[0:1]
	s_and_saveexec_b64 s[10:11], s[56:57]
	s_cbranch_execz .LBB101_130
; %bb.129:
	v_mov_b32_e32 v17, 0
	ds_read_b32 v17, v17 offset:14300
	s_waitcnt lgkmcnt(0)
	v_mul_f32_e32 v16, v16, v17
	v_xor_b32_e32 v17, 0x80000000, v16
	ds_write_b32 v15, v17
.LBB101_130:
	s_or_b64 exec, exec, s[10:11]
	v_cmp_ne_u32_e64 s[10:11], 7, v13
	s_and_b64 s[58:59], s[10:11], s[0:1]
	s_waitcnt lgkmcnt(0)
	s_barrier
	s_and_saveexec_b64 s[10:11], s[58:59]
	s_cbranch_execz .LBB101_132
; %bb.131:
	v_lshlrev_b32_e32 v17, 2, v13
	ds_read_b32 v17, v17 offset:14272
	ds_read_b32 v18, v15
	s_waitcnt lgkmcnt(0)
	v_fma_f32 v16, -v17, v18, v16
.LBB101_132:
	s_or_b64 exec, exec, s[10:11]
	v_cmp_eq_u32_e64 s[10:11], 6, v13
	s_and_b64 s[60:61], s[10:11], s[0:1]
	s_barrier
	s_and_saveexec_b64 s[10:11], s[60:61]
	s_cbranch_execz .LBB101_134
; %bb.133:
	v_mov_b32_e32 v17, 0
	ds_read_b32 v17, v17 offset:14040
	s_waitcnt lgkmcnt(0)
	v_mul_f32_e32 v16, v16, v17
	v_xor_b32_e32 v17, 0x80000000, v16
	ds_write_b32 v15, v17
.LBB101_134:
	s_or_b64 exec, exec, s[10:11]
	v_cmp_gt_u32_e64 s[10:11], 6, v13
	s_and_b64 s[62:63], s[10:11], s[0:1]
	s_waitcnt lgkmcnt(0)
	s_barrier
	s_and_saveexec_b64 s[10:11], s[62:63]
	s_cbranch_execz .LBB101_136
; %bb.135:
	v_lshlrev_b32_e32 v17, 2, v13
	ds_read_b32 v17, v17 offset:14016
	ds_read_b32 v18, v15
	s_waitcnt lgkmcnt(0)
	v_fma_f32 v16, -v17, v18, v16
.LBB101_136:
	s_or_b64 exec, exec, s[10:11]
	v_cmp_eq_u32_e64 s[10:11], 5, v13
	s_and_b64 s[64:65], s[10:11], s[0:1]
	s_barrier
	s_and_saveexec_b64 s[10:11], s[64:65]
	s_cbranch_execz .LBB101_138
; %bb.137:
	v_mov_b32_e32 v17, 0
	ds_read_b32 v17, v17 offset:13780
	s_waitcnt lgkmcnt(0)
	v_mul_f32_e32 v16, v16, v17
	v_xor_b32_e32 v17, 0x80000000, v16
	ds_write_b32 v15, v17
.LBB101_138:
	s_or_b64 exec, exec, s[10:11]
	v_cmp_gt_u32_e64 s[10:11], 5, v13
	;; [unrolled: 28-line block ×5, first 2 shown]
	s_and_b64 s[80:81], s[10:11], s[0:1]
	s_waitcnt lgkmcnt(0)
	s_barrier
	s_and_saveexec_b64 s[10:11], s[80:81]
	s_cbranch_execz .LBB101_152
; %bb.151:
	v_lshlrev_b32_e32 v17, 2, v13
	ds_read_b32 v17, v17 offset:12992
	ds_read_b32 v18, v15
	s_waitcnt lgkmcnt(0)
	v_fma_f32 v16, -v17, v18, v16
.LBB101_152:
	s_or_b64 exec, exec, s[10:11]
	v_cmp_eq_u32_e64 s[10:11], 1, v13
	s_and_b64 s[82:83], s[10:11], s[0:1]
	s_barrier
	s_and_saveexec_b64 s[10:11], s[82:83]
	s_cbranch_execz .LBB101_154
; %bb.153:
	v_mov_b32_e32 v17, 0
	ds_read_b32 v17, v17 offset:12740
	s_waitcnt lgkmcnt(0)
	v_mul_f32_e32 v16, v16, v17
	v_xor_b32_e32 v17, 0x80000000, v16
	ds_write_b32 v15, v17
.LBB101_154:
	s_or_b64 exec, exec, s[10:11]
	v_cmp_eq_u32_e64 s[10:11], 0, v13
	s_and_b64 s[66:67], s[10:11], s[0:1]
	s_waitcnt lgkmcnt(0)
	s_barrier
	s_and_saveexec_b64 s[0:1], s[66:67]
	s_cbranch_execz .LBB101_156
; %bb.155:
	v_mov_b32_e32 v17, 0
	ds_read_b32 v17, v17 offset:12736
	ds_read_b32 v18, v15
	s_waitcnt lgkmcnt(0)
	v_fma_f32 v16, -v17, v18, v16
.LBB101_156:
	s_or_b64 exec, exec, s[0:1]
	s_barrier
	s_and_saveexec_b64 s[0:1], s[66:67]
	s_cbranch_execz .LBB101_158
; %bb.157:
	v_mov_b32_e32 v17, 0
	ds_read_b32 v17, v17 offset:12480
	s_waitcnt lgkmcnt(0)
	v_mul_f32_e32 v16, v16, v17
	v_xor_b32_e32 v17, 0x80000000, v16
	ds_write_b32 v15, v17
.LBB101_158:
	s_or_b64 exec, exec, s[0:1]
	s_waitcnt lgkmcnt(0)
	s_barrier
	s_barrier
	s_and_saveexec_b64 s[0:1], s[8:9]
; %bb.159:
	v_lshlrev_b32_e32 v17, 2, v13
	v_lshl_or_b32 v17, v14, 8, v17
	ds_write_b32 v17, v16 offset:14528
; %bb.160:
	s_or_b64 exec, exec, s[0:1]
	v_cmp_gt_u32_e64 s[10:11], 8, v0
	s_and_b64 s[84:85], s[12:13], s[10:11]
	s_waitcnt lgkmcnt(0)
	s_barrier
	s_barrier
	s_and_saveexec_b64 s[0:1], s[84:85]
	s_cbranch_execz .LBB101_162
; %bb.161:
	v_lshlrev_b32_e32 v16, 8, v0
	ds_read_b32 v17, v16 offset:14528
	s_movk_i32 s10, 0xff04
	v_mad_i32_i24 v18, v0, s10, v16
	s_waitcnt lgkmcnt(0)
	ds_write_b32 v18, v17 offset:12512
	ds_read_b32 v17, v16 offset:14532
	s_waitcnt lgkmcnt(0)
	ds_write_b32 v18, v17 offset:12768
	ds_read_b32 v17, v16 offset:14536
	;; [unrolled: 3-line block ×7, first 2 shown]
	s_waitcnt lgkmcnt(0)
	ds_write_b32 v18, v16 offset:14304
.LBB101_162:
	s_or_b64 exec, exec, s[0:1]
	s_waitcnt lgkmcnt(0)
	s_barrier
	s_and_saveexec_b64 s[0:1], vcc
	s_cbranch_execz .LBB101_164
; %bb.163:
	v_mov_b32_e32 v18, 0
	ds_read_b64 v[16:17], v18 offset:14296
	ds_read_b32 v18, v18 offset:14040
	s_movk_i32 s10, 0x3400
	s_waitcnt lgkmcnt(0)
	v_mul_f32_e32 v17, v18, v17
	v_mul_f32_e32 v16, v16, v17
	v_add_u32_e64 v17, s10, 0
	ds_write2_b32 v17, v16, v16 offset0:183 offset1:246
.LBB101_164:
	s_or_b64 exec, exec, s[0:1]
	v_mov_b32_e32 v16, 0
	s_waitcnt lgkmcnt(0)
	s_barrier
	buffer_wbinvl1_vol
	s_and_saveexec_b64 s[0:1], s[2:3]
	s_cbranch_execz .LBB101_168
; %bb.165:
	v_lshlrev_b32_e32 v16, 8, v3
	v_lshlrev_b32_e32 v17, 2, v1
	ds_read_b32 v18, v17 offset:14032
	ds_read_b32 v16, v16 offset:14040
	v_mov_b32_e32 v17, 0
	v_cmp_gt_u32_e64 s[10:11], 2, v5
	s_waitcnt lgkmcnt(0)
	v_fma_f32 v16, v18, v16, 0
	s_and_saveexec_b64 s[14:15], s[10:11]
	s_cbranch_execz .LBB101_167
; %bb.166:
	v_lshlrev_b32_e32 v18, 2, v0
	ds_read_b32 v18, v18 offset:14288
	ds_read_b32 v17, v17 offset:14300
	s_waitcnt lgkmcnt(0)
	v_fmac_f32_e32 v16, v18, v17
.LBB101_167:
	s_or_b64 exec, exec, s[14:15]
.LBB101_168:
	s_or_b64 exec, exec, s[0:1]
	s_and_saveexec_b64 s[0:1], s[38:39]
	s_cbranch_execz .LBB101_170
; %bb.169:
	v_mov_b32_e32 v17, 0
	ds_read_b32 v17, v17 offset:13780
	s_waitcnt lgkmcnt(0)
	v_mul_f32_e32 v16, v16, v17
	v_xor_b32_e32 v17, 0x80000000, v16
	ds_write_b32 v4, v17
.LBB101_170:
	s_or_b64 exec, exec, s[0:1]
	s_waitcnt lgkmcnt(0)
	s_barrier
	s_and_saveexec_b64 s[0:1], s[36:37]
	s_cbranch_execz .LBB101_172
; %bb.171:
	v_mov_b32_e32 v17, 0
	ds_read_b32 v17, v17 offset:13776
	ds_read_b32 v18, v4
	s_waitcnt lgkmcnt(0)
	v_fma_f32 v16, -v17, v18, v16
.LBB101_172:
	s_or_b64 exec, exec, s[0:1]
	s_barrier
	s_and_saveexec_b64 s[0:1], s[36:37]
	s_cbranch_execz .LBB101_174
; %bb.173:
	v_mov_b32_e32 v17, 0
	ds_read_b32 v17, v17 offset:13520
	s_waitcnt lgkmcnt(0)
	v_mul_f32_e32 v16, v16, v17
	v_xor_b32_e32 v17, 0x80000000, v16
	ds_write_b32 v4, v17
.LBB101_174:
	s_or_b64 exec, exec, s[0:1]
	s_waitcnt lgkmcnt(0)
	s_barrier
	s_barrier
	s_and_saveexec_b64 s[0:1], s[2:3]
; %bb.175:
	v_lshlrev_b32_e32 v17, 2, v1
	v_lshl_or_b32 v17, v3, 8, v17
	ds_write_b32 v17, v16 offset:14032
; %bb.176:
	s_or_b64 exec, exec, s[0:1]
	s_waitcnt lgkmcnt(0)
	s_barrier
	s_barrier
	s_and_saveexec_b64 s[0:1], s[40:41]
	s_cbranch_execz .LBB101_178
; %bb.177:
	v_lshlrev_b32_e32 v16, 2, v0
	s_movk_i32 s10, 0xfc
	v_mad_u32_u24 v17, v0, s10, v16
	ds_read_b32 v18, v17 offset:14032
	s_waitcnt lgkmcnt(0)
	ds_write_b32 v16, v18 offset:13528
	ds_read_b32 v17, v17 offset:14036
	s_waitcnt lgkmcnt(0)
	ds_write_b32 v16, v17 offset:13784
.LBB101_178:
	s_or_b64 exec, exec, s[0:1]
	s_waitcnt lgkmcnt(0)
	s_barrier
	s_and_saveexec_b64 s[0:1], vcc
	s_cbranch_execz .LBB101_180
; %bb.179:
	v_mov_b32_e32 v18, 0
	ds_read_b64 v[16:17], v18 offset:13776
	ds_read_b32 v18, v18 offset:13520
	s_movk_i32 s10, 0x3400
	s_waitcnt lgkmcnt(0)
	v_mul_f32_e32 v17, v18, v17
	v_mul_f32_e32 v16, v16, v17
	v_add_u32_e64 v17, s10, 0
	ds_write2_b32 v17, v16, v16 offset0:53 offset1:116
.LBB101_180:
	s_or_b64 exec, exec, s[0:1]
	v_mov_b32_e32 v16, 0
	s_waitcnt lgkmcnt(0)
	s_barrier
	buffer_wbinvl1_vol
	s_and_saveexec_b64 s[0:1], s[18:19]
	s_cbranch_execz .LBB101_186
; %bb.181:
	v_lshlrev_b32_e32 v18, 2, v6
	v_lshlrev_b32_e32 v17, 8, v11
	ds_read_b32 v16, v18 offset:13504
	ds_read_b32 v19, v17 offset:13520
	v_cmp_gt_u32_e64 s[10:11], 12, v5
	s_waitcnt lgkmcnt(0)
	v_fma_f32 v16, v16, v19, 0
	s_and_saveexec_b64 s[14:15], s[10:11]
	s_cbranch_execnz .LBB101_1214
; %bb.182:
	s_or_b64 exec, exec, s[14:15]
	v_cmp_gt_u32_e64 s[10:11], 8, v5
	s_and_saveexec_b64 s[14:15], s[10:11]
	s_cbranch_execnz .LBB101_1215
.LBB101_183:
	s_or_b64 exec, exec, s[14:15]
	v_cmp_gt_u32_e64 s[10:11], 4, v5
	s_and_saveexec_b64 s[14:15], s[10:11]
	s_cbranch_execz .LBB101_185
.LBB101_184:
	v_lshlrev_b32_e32 v17, 2, v0
	v_mov_b32_e32 v18, 0
	ds_read_b32 v17, v17 offset:14272
	ds_read_b32 v18, v18 offset:14300
	s_waitcnt lgkmcnt(0)
	v_fmac_f32_e32 v16, v17, v18
.LBB101_185:
	s_or_b64 exec, exec, s[14:15]
.LBB101_186:
	s_or_b64 exec, exec, s[0:1]
	s_and_saveexec_b64 s[0:1], s[44:45]
	s_cbranch_execz .LBB101_188
; %bb.187:
	v_mov_b32_e32 v17, 0
	ds_read_b32 v17, v17 offset:13260
	s_waitcnt lgkmcnt(0)
	v_mul_f32_e32 v16, v16, v17
	v_xor_b32_e32 v17, 0x80000000, v16
	ds_write_b32 v12, v17
.LBB101_188:
	s_or_b64 exec, exec, s[0:1]
	s_waitcnt lgkmcnt(0)
	s_barrier
	s_and_saveexec_b64 s[0:1], s[46:47]
	s_cbranch_execz .LBB101_190
; %bb.189:
	v_lshlrev_b32_e32 v17, 2, v6
	ds_read_b32 v17, v17 offset:13248
	ds_read_b32 v18, v12
	s_waitcnt lgkmcnt(0)
	v_fma_f32 v16, -v17, v18, v16
.LBB101_190:
	s_or_b64 exec, exec, s[0:1]
	s_barrier
	s_and_saveexec_b64 s[0:1], s[48:49]
	s_cbranch_execz .LBB101_192
; %bb.191:
	v_mov_b32_e32 v17, 0
	ds_read_b32 v17, v17 offset:13000
	s_waitcnt lgkmcnt(0)
	v_mul_f32_e32 v16, v16, v17
	v_xor_b32_e32 v17, 0x80000000, v16
	ds_write_b32 v12, v17
.LBB101_192:
	s_or_b64 exec, exec, s[0:1]
	s_waitcnt lgkmcnt(0)
	s_barrier
	s_and_saveexec_b64 s[0:1], s[50:51]
	s_cbranch_execz .LBB101_194
; %bb.193:
	v_lshlrev_b32_e32 v17, 2, v6
	ds_read_b32 v17, v17 offset:12992
	ds_read_b32 v18, v12
	s_waitcnt lgkmcnt(0)
	v_fma_f32 v16, -v17, v18, v16
.LBB101_194:
	s_or_b64 exec, exec, s[0:1]
	s_barrier
	s_and_saveexec_b64 s[0:1], s[52:53]
	s_cbranch_execz .LBB101_196
; %bb.195:
	v_mov_b32_e32 v17, 0
	ds_read_b32 v17, v17 offset:12740
	s_waitcnt lgkmcnt(0)
	v_mul_f32_e32 v16, v16, v17
	v_xor_b32_e32 v17, 0x80000000, v16
	ds_write_b32 v12, v17
.LBB101_196:
	s_or_b64 exec, exec, s[0:1]
	s_waitcnt lgkmcnt(0)
	s_barrier
	s_and_saveexec_b64 s[0:1], s[42:43]
	s_cbranch_execz .LBB101_198
; %bb.197:
	v_mov_b32_e32 v17, 0
	ds_read_b32 v17, v17 offset:12736
	ds_read_b32 v18, v12
	s_waitcnt lgkmcnt(0)
	v_fma_f32 v16, -v17, v18, v16
.LBB101_198:
	s_or_b64 exec, exec, s[0:1]
	s_barrier
	s_and_saveexec_b64 s[0:1], s[42:43]
	s_cbranch_execz .LBB101_200
; %bb.199:
	v_mov_b32_e32 v17, 0
	ds_read_b32 v17, v17 offset:12480
	s_waitcnt lgkmcnt(0)
	v_mul_f32_e32 v16, v16, v17
	v_xor_b32_e32 v17, 0x80000000, v16
	ds_write_b32 v12, v17
.LBB101_200:
	s_or_b64 exec, exec, s[0:1]
	s_waitcnt lgkmcnt(0)
	s_barrier
	s_barrier
	s_and_saveexec_b64 s[0:1], s[18:19]
; %bb.201:
	v_lshlrev_b32_e32 v17, 2, v6
	v_lshl_or_b32 v17, v11, 8, v17
	ds_write_b32 v17, v16 offset:13504
; %bb.202:
	s_or_b64 exec, exec, s[0:1]
	s_waitcnt lgkmcnt(0)
	s_barrier
	s_barrier
	s_and_saveexec_b64 s[0:1], s[54:55]
	s_cbranch_execz .LBB101_204
; %bb.203:
	v_lshlrev_b32_e32 v16, 8, v0
	ds_read_b32 v17, v16 offset:13504
	s_movk_i32 s10, 0xff04
	v_mad_i32_i24 v18, v0, s10, v16
	s_waitcnt lgkmcnt(0)
	ds_write_b32 v18, v17 offset:12496
	ds_read_b32 v17, v16 offset:13508
	s_waitcnt lgkmcnt(0)
	ds_write_b32 v18, v17 offset:12752
	ds_read_b32 v17, v16 offset:13512
	s_waitcnt lgkmcnt(0)
	ds_write_b32 v18, v17 offset:13008
	ds_read_b32 v16, v16 offset:13516
	s_waitcnt lgkmcnt(0)
	ds_write_b32 v18, v16 offset:13264
.LBB101_204:
	s_or_b64 exec, exec, s[0:1]
	s_waitcnt lgkmcnt(0)
	s_barrier
	s_and_saveexec_b64 s[0:1], vcc
	s_cbranch_execz .LBB101_206
; %bb.205:
	v_mov_b32_e32 v18, 0
	ds_read_b64 v[16:17], v18 offset:13256
	ds_read_b32 v18, v18 offset:13000
	s_movk_i32 s10, 0x3000
	s_waitcnt lgkmcnt(0)
	v_mul_f32_e32 v17, v18, v17
	v_mul_f32_e32 v16, v16, v17
	v_add_u32_e64 v17, s10, 0
	ds_write2_b32 v17, v16, v16 offset0:179 offset1:242
.LBB101_206:
	s_or_b64 exec, exec, s[0:1]
	v_mov_b32_e32 v16, 0
	s_waitcnt lgkmcnt(0)
	s_barrier
	buffer_wbinvl1_vol
	s_and_saveexec_b64 s[0:1], s[2:3]
	s_cbranch_execz .LBB101_210
; %bb.207:
	v_lshlrev_b32_e32 v16, 8, v3
	v_lshlrev_b32_e32 v17, 2, v1
	ds_read_b32 v18, v17 offset:12992
	ds_read_b32 v16, v16 offset:13000
	v_mov_b32_e32 v17, 0
	v_cmp_gt_u32_e64 s[10:11], 2, v5
	s_waitcnt lgkmcnt(0)
	v_fma_f32 v16, v18, v16, 0
	s_and_saveexec_b64 s[14:15], s[10:11]
	s_cbranch_execz .LBB101_209
; %bb.208:
	v_lshlrev_b32_e32 v18, 2, v0
	ds_read_b32 v18, v18 offset:13248
	ds_read_b32 v17, v17 offset:13260
	s_waitcnt lgkmcnt(0)
	v_fmac_f32_e32 v16, v18, v17
.LBB101_209:
	s_or_b64 exec, exec, s[14:15]
.LBB101_210:
	s_or_b64 exec, exec, s[0:1]
	s_and_saveexec_b64 s[0:1], s[38:39]
	s_cbranch_execz .LBB101_212
; %bb.211:
	v_mov_b32_e32 v17, 0
	ds_read_b32 v17, v17 offset:12740
	s_waitcnt lgkmcnt(0)
	v_mul_f32_e32 v16, v16, v17
	v_xor_b32_e32 v17, 0x80000000, v16
	ds_write_b32 v4, v17
.LBB101_212:
	s_or_b64 exec, exec, s[0:1]
	s_waitcnt lgkmcnt(0)
	s_barrier
	s_and_saveexec_b64 s[0:1], s[36:37]
	s_cbranch_execz .LBB101_214
; %bb.213:
	v_mov_b32_e32 v17, 0
	ds_read_b32 v17, v17 offset:12736
	ds_read_b32 v18, v4
	s_waitcnt lgkmcnt(0)
	v_fma_f32 v16, -v17, v18, v16
.LBB101_214:
	s_or_b64 exec, exec, s[0:1]
	s_barrier
	s_and_saveexec_b64 s[0:1], s[36:37]
	s_cbranch_execz .LBB101_216
; %bb.215:
	v_mov_b32_e32 v17, 0
	ds_read_b32 v17, v17 offset:12480
	s_waitcnt lgkmcnt(0)
	v_mul_f32_e32 v16, v16, v17
	v_xor_b32_e32 v17, 0x80000000, v16
	ds_write_b32 v4, v17
.LBB101_216:
	s_or_b64 exec, exec, s[0:1]
	s_waitcnt lgkmcnt(0)
	s_barrier
	s_barrier
	s_and_saveexec_b64 s[0:1], s[2:3]
; %bb.217:
	v_lshlrev_b32_e32 v17, 2, v1
	v_lshl_or_b32 v17, v3, 8, v17
	ds_write_b32 v17, v16 offset:12992
; %bb.218:
	s_or_b64 exec, exec, s[0:1]
	s_waitcnt lgkmcnt(0)
	s_barrier
	s_barrier
	s_and_saveexec_b64 s[0:1], s[40:41]
	s_cbranch_execz .LBB101_220
; %bb.219:
	v_lshlrev_b32_e32 v16, 2, v0
	s_movk_i32 s10, 0xfc
	v_mad_u32_u24 v17, v0, s10, v16
	ds_read_b32 v18, v17 offset:12992
	s_waitcnt lgkmcnt(0)
	ds_write_b32 v16, v18 offset:12488
	ds_read_b32 v17, v17 offset:12996
	s_waitcnt lgkmcnt(0)
	ds_write_b32 v16, v17 offset:12744
.LBB101_220:
	s_or_b64 exec, exec, s[0:1]
	s_waitcnt lgkmcnt(0)
	s_barrier
	s_and_saveexec_b64 s[0:1], vcc
	s_cbranch_execz .LBB101_222
; %bb.221:
	v_mov_b32_e32 v18, 0
	ds_read_b64 v[16:17], v18 offset:12736
	ds_read_b32 v18, v18 offset:12480
	s_movk_i32 s10, 0x3000
	s_waitcnt lgkmcnt(0)
	v_mul_f32_e32 v17, v18, v17
	v_mul_f32_e32 v16, v16, v17
	v_add_u32_e64 v17, s10, 0
	ds_write2_b32 v17, v16, v16 offset0:49 offset1:112
.LBB101_222:
	s_or_b64 exec, exec, s[0:1]
	s_movk_i32 s0, 0xff
	v_lshrrev_b32_e32 v18, 4, v5
	v_cmp_lt_u32_e64 s[14:15], s0, v5
	s_movk_i32 s0, 0x100
	v_and_b32_e32 v16, 15, v0
	v_sub_u32_e32 v17, 15, v18
	v_cmp_gt_u32_e64 s[10:11], s0, v5
	v_mov_b32_e32 v19, 0
	s_waitcnt lgkmcnt(0)
	s_barrier
	buffer_wbinvl1_vol
	s_and_saveexec_b64 s[0:1], s[10:11]
	s_cbranch_execz .LBB101_250
; %bb.223:
	v_lshlrev_b32_e32 v21, 2, v16
	v_lshlrev_b32_e32 v20, 8, v17
	ds_read_b32 v19, v21 offset:12416
	ds_read_b32 v22, v20 offset:12480
	s_movk_i32 s16, 0xf0
	v_cmp_gt_u32_e64 s[16:17], s16, v5
	s_waitcnt lgkmcnt(0)
	v_fma_f32 v19, v19, v22, 0
	s_and_saveexec_b64 s[20:21], s[16:17]
	s_cbranch_execz .LBB101_225
; %bb.224:
	ds_read_b32 v22, v21 offset:12672
	ds_read_b32 v23, v20 offset:12484
	s_waitcnt lgkmcnt(0)
	v_fmac_f32_e32 v19, v22, v23
.LBB101_225:
	s_or_b64 exec, exec, s[20:21]
	s_movk_i32 s16, 0xe0
	v_cmp_gt_u32_e64 s[16:17], s16, v5
	s_and_saveexec_b64 s[20:21], s[16:17]
	s_cbranch_execz .LBB101_227
; %bb.226:
	ds_read_b32 v22, v21 offset:12928
	ds_read_b32 v23, v20 offset:12488
	s_waitcnt lgkmcnt(0)
	v_fmac_f32_e32 v19, v22, v23
.LBB101_227:
	s_or_b64 exec, exec, s[20:21]
	s_movk_i32 s16, 0xd0
	v_cmp_gt_u32_e64 s[16:17], s16, v5
	;; [unrolled: 11-line block ×10, first 2 shown]
	s_and_saveexec_b64 s[20:21], s[16:17]
	s_cbranch_execnz .LBB101_1216
; %bb.244:
	s_or_b64 exec, exec, s[20:21]
	s_and_saveexec_b64 s[16:17], s[8:9]
	s_cbranch_execnz .LBB101_1217
.LBB101_245:
	s_or_b64 exec, exec, s[16:17]
	v_cmp_gt_u32_e64 s[16:17], 48, v5
	s_and_saveexec_b64 s[20:21], s[16:17]
	s_cbranch_execnz .LBB101_1218
.LBB101_246:
	s_or_b64 exec, exec, s[20:21]
	v_cmp_gt_u32_e64 s[16:17], 32, v5
	s_and_saveexec_b64 s[20:21], s[16:17]
	s_cbranch_execnz .LBB101_1219
.LBB101_247:
	s_or_b64 exec, exec, s[20:21]
	v_cmp_gt_u32_e64 s[16:17], 16, v5
	s_and_saveexec_b64 s[20:21], s[16:17]
	s_cbranch_execz .LBB101_249
.LBB101_248:
	v_lshlrev_b32_e32 v20, 2, v0
	v_mov_b32_e32 v21, 0
	ds_read_b32 v20, v20 offset:16256
	ds_read_b32 v21, v21 offset:16380
	s_waitcnt lgkmcnt(0)
	v_fmac_f32_e32 v19, v20, v21
.LBB101_249:
	s_or_b64 exec, exec, s[20:21]
.LBB101_250:
	s_or_b64 exec, exec, s[0:1]
	v_mov_b32_e32 v20, 0x4000
	v_lshl_add_u32 v18, v18, 2, v20
	v_cmp_eq_u32_e64 s[16:17], 15, v16
	s_xor_b64 s[20:21], s[14:15], -1
	s_and_b64 s[14:15], s[16:17], s[20:21]
	s_mov_b64 s[0:1], exec
	v_writelane_b32 v27, s14, 4
	v_writelane_b32 v27, s15, 5
	s_and_b64 s[14:15], s[0:1], s[14:15]
	s_mov_b64 exec, s[14:15]
	s_cbranch_execz .LBB101_252
; %bb.251:
	v_mov_b32_e32 v20, 0
	ds_read_b32 v20, v20 offset:12220
	s_waitcnt lgkmcnt(0)
	v_mul_f32_e32 v19, v19, v20
	v_xor_b32_e32 v20, 0x80000000, v19
	ds_write_b32 v18, v20
.LBB101_252:
	s_or_b64 exec, exec, s[0:1]
	v_cmp_ne_u32_e64 s[14:15], 15, v16
	s_waitcnt lgkmcnt(0)
	s_barrier
	s_and_b64 s[14:15], s[14:15], s[20:21]
	s_mov_b64 s[0:1], exec
	v_writelane_b32 v27, s14, 6
	v_writelane_b32 v27, s15, 7
	s_and_b64 s[14:15], s[0:1], s[14:15]
	s_mov_b64 exec, s[14:15]
	s_cbranch_execz .LBB101_254
; %bb.253:
	v_lshlrev_b32_e32 v20, 2, v16
	ds_read_b32 v20, v20 offset:12160
	ds_read_b32 v21, v18
	s_waitcnt lgkmcnt(0)
	v_fma_f32 v19, -v20, v21, v19
.LBB101_254:
	s_or_b64 exec, exec, s[0:1]
	v_cmp_eq_u32_e64 s[14:15], 14, v16
	s_barrier
	s_and_b64 s[14:15], s[14:15], s[20:21]
	s_mov_b64 s[0:1], exec
	v_writelane_b32 v27, s14, 8
	v_writelane_b32 v27, s15, 9
	s_and_b64 s[14:15], s[0:1], s[14:15]
	s_mov_b64 exec, s[14:15]
	s_cbranch_execz .LBB101_256
; %bb.255:
	v_mov_b32_e32 v20, 0
	ds_read_b32 v20, v20 offset:11960
	s_waitcnt lgkmcnt(0)
	v_mul_f32_e32 v19, v19, v20
	v_xor_b32_e32 v20, 0x80000000, v19
	ds_write_b32 v18, v20
.LBB101_256:
	s_or_b64 exec, exec, s[0:1]
	v_cmp_gt_u32_e64 s[14:15], 14, v16
	s_waitcnt lgkmcnt(0)
	s_barrier
	s_and_b64 s[14:15], s[14:15], s[20:21]
	s_mov_b64 s[0:1], exec
	v_writelane_b32 v27, s14, 10
	v_writelane_b32 v27, s15, 11
	s_and_b64 s[14:15], s[0:1], s[14:15]
	s_mov_b64 exec, s[14:15]
	s_cbranch_execz .LBB101_258
; %bb.257:
	v_lshlrev_b32_e32 v20, 2, v16
	ds_read_b32 v20, v20 offset:11904
	ds_read_b32 v21, v18
	s_waitcnt lgkmcnt(0)
	v_fma_f32 v19, -v20, v21, v19
.LBB101_258:
	s_or_b64 exec, exec, s[0:1]
	v_cmp_eq_u32_e64 s[14:15], 13, v16
	s_barrier
	s_and_b64 s[14:15], s[14:15], s[20:21]
	s_mov_b64 s[0:1], exec
	v_writelane_b32 v27, s14, 12
	v_writelane_b32 v27, s15, 13
	s_and_b64 s[14:15], s[0:1], s[14:15]
	s_mov_b64 exec, s[14:15]
	s_cbranch_execz .LBB101_260
; %bb.259:
	v_mov_b32_e32 v20, 0
	ds_read_b32 v20, v20 offset:11700
	s_waitcnt lgkmcnt(0)
	v_mul_f32_e32 v19, v19, v20
	v_xor_b32_e32 v20, 0x80000000, v19
	ds_write_b32 v18, v20
.LBB101_260:
	s_or_b64 exec, exec, s[0:1]
	v_cmp_gt_u32_e64 s[14:15], 13, v16
	;; [unrolled: 36-line block ×13, first 2 shown]
	s_and_b64 s[0:1], s[14:15], s[20:21]
	s_waitcnt lgkmcnt(0)
	s_barrier
	s_and_saveexec_b64 s[14:15], s[0:1]
	s_cbranch_execz .LBB101_306
; %bb.305:
	v_lshlrev_b32_e32 v20, 2, v16
	ds_read_b32 v20, v20 offset:8832
	ds_read_b32 v21, v18
	s_waitcnt lgkmcnt(0)
	v_fma_f32 v19, -v20, v21, v19
.LBB101_306:
	s_or_b64 exec, exec, s[14:15]
	v_cmp_eq_u32_e64 s[14:15], 1, v16
	s_barrier
	s_and_b64 s[16:17], s[14:15], s[20:21]
	s_mov_b64 s[14:15], exec
	v_writelane_b32 v27, s16, 58
	v_writelane_b32 v27, s17, 59
	s_and_b64 s[16:17], s[14:15], s[16:17]
	s_mov_b64 exec, s[16:17]
	s_cbranch_execz .LBB101_308
; %bb.307:
	v_mov_b32_e32 v20, 0
	ds_read_b32 v20, v20 offset:8580
	s_waitcnt lgkmcnt(0)
	v_mul_f32_e32 v19, v19, v20
	v_xor_b32_e32 v20, 0x80000000, v19
	ds_write_b32 v18, v20
.LBB101_308:
	s_or_b64 exec, exec, s[14:15]
	v_cmp_eq_u32_e64 s[14:15], 0, v16
	s_and_b64 s[92:93], s[14:15], s[20:21]
	s_waitcnt lgkmcnt(0)
	s_barrier
	s_and_saveexec_b64 s[14:15], s[92:93]
	s_cbranch_execz .LBB101_310
; %bb.309:
	v_mov_b32_e32 v20, 0
	ds_read_b32 v20, v20 offset:8576
	ds_read_b32 v21, v18
	s_waitcnt lgkmcnt(0)
	v_fma_f32 v19, -v20, v21, v19
.LBB101_310:
	s_or_b64 exec, exec, s[14:15]
	s_barrier
	s_and_saveexec_b64 s[14:15], s[92:93]
	s_cbranch_execz .LBB101_312
; %bb.311:
	v_mov_b32_e32 v20, 0
	ds_read_b32 v20, v20 offset:8320
	s_waitcnt lgkmcnt(0)
	v_mul_f32_e32 v19, v19, v20
	v_xor_b32_e32 v20, 0x80000000, v19
	ds_write_b32 v18, v20
.LBB101_312:
	s_or_b64 exec, exec, s[14:15]
	s_waitcnt lgkmcnt(0)
	s_barrier
	s_barrier
	s_and_saveexec_b64 s[14:15], s[10:11]
; %bb.313:
	v_lshlrev_b32_e32 v20, 2, v16
	v_lshl_or_b32 v20, v17, 8, v20
	ds_write_b32 v20, v19 offset:12416
; %bb.314:
	s_or_b64 exec, exec, s[14:15]
	v_cmp_gt_u32_e64 s[14:15], 16, v0
	s_waitcnt lgkmcnt(0)
	s_barrier
	s_barrier
	s_and_b64 s[16:17], s[12:13], s[14:15]
	s_mov_b64 s[14:15], exec
	v_writelane_b32 v27, s16, 60
	v_writelane_b32 v27, s17, 61
	s_and_b64 s[16:17], s[14:15], s[16:17]
	s_mov_b64 exec, s[16:17]
	s_cbranch_execz .LBB101_316
; %bb.315:
	v_lshlrev_b32_e32 v19, 8, v0
	ds_read_b32 v20, v19 offset:12416
	s_movk_i32 s16, 0xff04
	v_mad_i32_i24 v21, v0, s16, v19
	s_waitcnt lgkmcnt(0)
	ds_write_b32 v21, v20 offset:8384
	ds_read_b32 v20, v19 offset:12420
	s_waitcnt lgkmcnt(0)
	ds_write_b32 v21, v20 offset:8640
	ds_read_b32 v20, v19 offset:12424
	;; [unrolled: 3-line block ×15, first 2 shown]
	s_waitcnt lgkmcnt(0)
	ds_write_b32 v21, v19 offset:12224
.LBB101_316:
	s_or_b64 exec, exec, s[14:15]
	s_waitcnt lgkmcnt(0)
	s_barrier
	s_and_saveexec_b64 s[14:15], vcc
	s_cbranch_execz .LBB101_318
; %bb.317:
	v_mov_b32_e32 v21, 0
	ds_read_b64 v[19:20], v21 offset:12216
	ds_read_b32 v21, v21 offset:11960
	s_movk_i32 s16, 0x2c00
	s_waitcnt lgkmcnt(0)
	v_mul_f32_e32 v20, v21, v20
	v_mul_f32_e32 v19, v19, v20
	v_add_u32_e64 v20, s16, 0
	ds_write2_b32 v20, v19, v19 offset0:175 offset1:238
.LBB101_318:
	s_or_b64 exec, exec, s[14:15]
	v_mov_b32_e32 v19, 0
	s_waitcnt lgkmcnt(0)
	s_barrier
	buffer_wbinvl1_vol
	s_and_saveexec_b64 s[16:17], s[2:3]
	s_cbranch_execz .LBB101_322
; %bb.319:
	v_lshlrev_b32_e32 v19, 8, v3
	v_lshlrev_b32_e32 v20, 2, v1
	ds_read_b32 v21, v20 offset:11952
	ds_read_b32 v19, v19 offset:11960
	v_mov_b32_e32 v20, 0
	v_cmp_gt_u32_e64 s[14:15], 2, v5
	s_waitcnt lgkmcnt(0)
	v_fma_f32 v19, v21, v19, 0
	s_and_saveexec_b64 s[20:21], s[14:15]
	s_cbranch_execz .LBB101_321
; %bb.320:
	v_lshlrev_b32_e32 v21, 2, v0
	ds_read_b32 v21, v21 offset:12208
	ds_read_b32 v20, v20 offset:12220
	s_waitcnt lgkmcnt(0)
	v_fmac_f32_e32 v19, v21, v20
.LBB101_321:
	s_or_b64 exec, exec, s[20:21]
.LBB101_322:
	s_or_b64 exec, exec, s[16:17]
	s_and_saveexec_b64 s[14:15], s[38:39]
	s_cbranch_execz .LBB101_324
; %bb.323:
	v_mov_b32_e32 v20, 0
	ds_read_b32 v20, v20 offset:11700
	s_waitcnt lgkmcnt(0)
	v_mul_f32_e32 v19, v19, v20
	v_xor_b32_e32 v20, 0x80000000, v19
	ds_write_b32 v4, v20
.LBB101_324:
	s_or_b64 exec, exec, s[14:15]
	s_waitcnt lgkmcnt(0)
	s_barrier
	s_and_saveexec_b64 s[14:15], s[36:37]
	s_cbranch_execz .LBB101_326
; %bb.325:
	v_mov_b32_e32 v20, 0
	ds_read_b32 v20, v20 offset:11696
	ds_read_b32 v21, v4
	s_waitcnt lgkmcnt(0)
	v_fma_f32 v19, -v20, v21, v19
.LBB101_326:
	s_or_b64 exec, exec, s[14:15]
	s_barrier
	s_and_saveexec_b64 s[14:15], s[36:37]
	s_cbranch_execz .LBB101_328
; %bb.327:
	v_mov_b32_e32 v20, 0
	ds_read_b32 v20, v20 offset:11440
	s_waitcnt lgkmcnt(0)
	v_mul_f32_e32 v19, v19, v20
	v_xor_b32_e32 v20, 0x80000000, v19
	ds_write_b32 v4, v20
.LBB101_328:
	s_or_b64 exec, exec, s[14:15]
	s_waitcnt lgkmcnt(0)
	s_barrier
	s_barrier
	s_and_saveexec_b64 s[14:15], s[2:3]
; %bb.329:
	v_lshlrev_b32_e32 v20, 2, v1
	v_lshl_or_b32 v20, v3, 8, v20
	ds_write_b32 v20, v19 offset:11952
; %bb.330:
	s_or_b64 exec, exec, s[14:15]
	s_waitcnt lgkmcnt(0)
	s_barrier
	s_barrier
	s_and_saveexec_b64 s[14:15], s[40:41]
	s_cbranch_execz .LBB101_332
; %bb.331:
	v_lshlrev_b32_e32 v19, 2, v0
	s_movk_i32 s16, 0xfc
	v_mad_u32_u24 v20, v0, s16, v19
	ds_read_b32 v21, v20 offset:11952
	s_waitcnt lgkmcnt(0)
	ds_write_b32 v19, v21 offset:11448
	ds_read_b32 v20, v20 offset:11956
	s_waitcnt lgkmcnt(0)
	ds_write_b32 v19, v20 offset:11704
.LBB101_332:
	s_or_b64 exec, exec, s[14:15]
	s_waitcnt lgkmcnt(0)
	s_barrier
	s_and_saveexec_b64 s[14:15], vcc
	s_cbranch_execz .LBB101_334
; %bb.333:
	v_mov_b32_e32 v21, 0
	ds_read_b64 v[19:20], v21 offset:11696
	ds_read_b32 v21, v21 offset:11440
	s_movk_i32 s16, 0x2c00
	s_waitcnt lgkmcnt(0)
	v_mul_f32_e32 v20, v21, v20
	v_mul_f32_e32 v19, v19, v20
	v_add_u32_e64 v20, s16, 0
	ds_write2_b32 v20, v19, v19 offset0:45 offset1:108
.LBB101_334:
	s_or_b64 exec, exec, s[14:15]
	v_mov_b32_e32 v19, 0
	s_waitcnt lgkmcnt(0)
	s_barrier
	buffer_wbinvl1_vol
	s_and_saveexec_b64 s[16:17], s[18:19]
	s_cbranch_execz .LBB101_340
; %bb.335:
	v_lshlrev_b32_e32 v21, 2, v6
	v_lshlrev_b32_e32 v20, 8, v11
	ds_read_b32 v19, v21 offset:11424
	ds_read_b32 v22, v20 offset:11440
	v_cmp_gt_u32_e64 s[14:15], 12, v5
	s_waitcnt lgkmcnt(0)
	v_fma_f32 v19, v19, v22, 0
	s_and_saveexec_b64 s[20:21], s[14:15]
	s_cbranch_execnz .LBB101_1220
; %bb.336:
	s_or_b64 exec, exec, s[20:21]
	v_cmp_gt_u32_e64 s[14:15], 8, v5
	s_and_saveexec_b64 s[20:21], s[14:15]
	s_cbranch_execnz .LBB101_1221
.LBB101_337:
	s_or_b64 exec, exec, s[20:21]
	v_cmp_gt_u32_e64 s[14:15], 4, v5
	s_and_saveexec_b64 s[20:21], s[14:15]
	s_cbranch_execz .LBB101_339
.LBB101_338:
	v_lshlrev_b32_e32 v20, 2, v0
	v_mov_b32_e32 v21, 0
	ds_read_b32 v20, v20 offset:12192
	ds_read_b32 v21, v21 offset:12220
	s_waitcnt lgkmcnt(0)
	v_fmac_f32_e32 v19, v20, v21
.LBB101_339:
	s_or_b64 exec, exec, s[20:21]
.LBB101_340:
	s_or_b64 exec, exec, s[16:17]
	s_and_saveexec_b64 s[14:15], s[44:45]
	s_cbranch_execz .LBB101_342
; %bb.341:
	v_mov_b32_e32 v20, 0
	ds_read_b32 v20, v20 offset:11180
	s_waitcnt lgkmcnt(0)
	v_mul_f32_e32 v19, v19, v20
	v_xor_b32_e32 v20, 0x80000000, v19
	ds_write_b32 v12, v20
.LBB101_342:
	s_or_b64 exec, exec, s[14:15]
	s_waitcnt lgkmcnt(0)
	s_barrier
	s_and_saveexec_b64 s[14:15], s[46:47]
	s_cbranch_execz .LBB101_344
; %bb.343:
	v_lshlrev_b32_e32 v20, 2, v6
	ds_read_b32 v20, v20 offset:11168
	ds_read_b32 v21, v12
	s_waitcnt lgkmcnt(0)
	v_fma_f32 v19, -v20, v21, v19
.LBB101_344:
	s_or_b64 exec, exec, s[14:15]
	s_barrier
	s_and_saveexec_b64 s[14:15], s[48:49]
	s_cbranch_execz .LBB101_346
; %bb.345:
	v_mov_b32_e32 v20, 0
	ds_read_b32 v20, v20 offset:10920
	s_waitcnt lgkmcnt(0)
	v_mul_f32_e32 v19, v19, v20
	v_xor_b32_e32 v20, 0x80000000, v19
	ds_write_b32 v12, v20
.LBB101_346:
	s_or_b64 exec, exec, s[14:15]
	s_waitcnt lgkmcnt(0)
	s_barrier
	s_and_saveexec_b64 s[14:15], s[50:51]
	s_cbranch_execz .LBB101_348
; %bb.347:
	v_lshlrev_b32_e32 v20, 2, v6
	ds_read_b32 v20, v20 offset:10912
	ds_read_b32 v21, v12
	s_waitcnt lgkmcnt(0)
	v_fma_f32 v19, -v20, v21, v19
.LBB101_348:
	s_or_b64 exec, exec, s[14:15]
	s_barrier
	s_and_saveexec_b64 s[14:15], s[52:53]
	s_cbranch_execz .LBB101_350
; %bb.349:
	v_mov_b32_e32 v20, 0
	ds_read_b32 v20, v20 offset:10660
	s_waitcnt lgkmcnt(0)
	v_mul_f32_e32 v19, v19, v20
	v_xor_b32_e32 v20, 0x80000000, v19
	ds_write_b32 v12, v20
.LBB101_350:
	s_or_b64 exec, exec, s[14:15]
	s_waitcnt lgkmcnt(0)
	s_barrier
	s_and_saveexec_b64 s[14:15], s[42:43]
	s_cbranch_execz .LBB101_352
; %bb.351:
	v_mov_b32_e32 v20, 0
	ds_read_b32 v20, v20 offset:10656
	ds_read_b32 v21, v12
	s_waitcnt lgkmcnt(0)
	v_fma_f32 v19, -v20, v21, v19
.LBB101_352:
	s_or_b64 exec, exec, s[14:15]
	s_barrier
	s_and_saveexec_b64 s[14:15], s[42:43]
	s_cbranch_execz .LBB101_354
; %bb.353:
	v_mov_b32_e32 v20, 0
	ds_read_b32 v20, v20 offset:10400
	s_waitcnt lgkmcnt(0)
	v_mul_f32_e32 v19, v19, v20
	v_xor_b32_e32 v20, 0x80000000, v19
	ds_write_b32 v12, v20
.LBB101_354:
	s_or_b64 exec, exec, s[14:15]
	s_waitcnt lgkmcnt(0)
	s_barrier
	s_barrier
	s_and_saveexec_b64 s[14:15], s[18:19]
; %bb.355:
	v_lshlrev_b32_e32 v20, 2, v6
	v_lshl_or_b32 v20, v11, 8, v20
	ds_write_b32 v20, v19 offset:11424
; %bb.356:
	s_or_b64 exec, exec, s[14:15]
	s_waitcnt lgkmcnt(0)
	s_barrier
	s_barrier
	s_and_saveexec_b64 s[14:15], s[54:55]
	s_cbranch_execz .LBB101_358
; %bb.357:
	v_lshlrev_b32_e32 v19, 8, v0
	ds_read_b32 v20, v19 offset:11424
	s_movk_i32 s16, 0xff04
	v_mad_i32_i24 v21, v0, s16, v19
	s_waitcnt lgkmcnt(0)
	ds_write_b32 v21, v20 offset:10416
	ds_read_b32 v20, v19 offset:11428
	s_waitcnt lgkmcnt(0)
	ds_write_b32 v21, v20 offset:10672
	ds_read_b32 v20, v19 offset:11432
	;; [unrolled: 3-line block ×3, first 2 shown]
	s_waitcnt lgkmcnt(0)
	ds_write_b32 v21, v19 offset:11184
.LBB101_358:
	s_or_b64 exec, exec, s[14:15]
	s_waitcnt lgkmcnt(0)
	s_barrier
	s_and_saveexec_b64 s[14:15], vcc
	s_cbranch_execz .LBB101_360
; %bb.359:
	v_mov_b32_e32 v21, 0
	ds_read_b64 v[19:20], v21 offset:11176
	ds_read_b32 v21, v21 offset:10920
	s_movk_i32 s16, 0x2800
	s_waitcnt lgkmcnt(0)
	v_mul_f32_e32 v20, v21, v20
	v_mul_f32_e32 v19, v19, v20
	v_add_u32_e64 v20, s16, 0
	ds_write2_b32 v20, v19, v19 offset0:171 offset1:234
.LBB101_360:
	s_or_b64 exec, exec, s[14:15]
	v_mov_b32_e32 v19, 0
	s_waitcnt lgkmcnt(0)
	s_barrier
	buffer_wbinvl1_vol
	s_and_saveexec_b64 s[16:17], s[2:3]
	s_cbranch_execz .LBB101_364
; %bb.361:
	v_lshlrev_b32_e32 v19, 8, v3
	v_lshlrev_b32_e32 v20, 2, v1
	ds_read_b32 v21, v20 offset:10912
	ds_read_b32 v19, v19 offset:10920
	v_mov_b32_e32 v20, 0
	v_cmp_gt_u32_e64 s[14:15], 2, v5
	s_waitcnt lgkmcnt(0)
	v_fma_f32 v19, v21, v19, 0
	s_and_saveexec_b64 s[20:21], s[14:15]
	s_cbranch_execz .LBB101_363
; %bb.362:
	v_lshlrev_b32_e32 v21, 2, v0
	ds_read_b32 v21, v21 offset:11168
	ds_read_b32 v20, v20 offset:11180
	s_waitcnt lgkmcnt(0)
	v_fmac_f32_e32 v19, v21, v20
.LBB101_363:
	s_or_b64 exec, exec, s[20:21]
.LBB101_364:
	s_or_b64 exec, exec, s[16:17]
	s_and_saveexec_b64 s[14:15], s[38:39]
	s_cbranch_execz .LBB101_366
; %bb.365:
	v_mov_b32_e32 v20, 0
	ds_read_b32 v20, v20 offset:10660
	s_waitcnt lgkmcnt(0)
	v_mul_f32_e32 v19, v19, v20
	v_xor_b32_e32 v20, 0x80000000, v19
	ds_write_b32 v4, v20
.LBB101_366:
	s_or_b64 exec, exec, s[14:15]
	s_waitcnt lgkmcnt(0)
	s_barrier
	s_and_saveexec_b64 s[14:15], s[36:37]
	s_cbranch_execz .LBB101_368
; %bb.367:
	v_mov_b32_e32 v20, 0
	ds_read_b32 v20, v20 offset:10656
	ds_read_b32 v21, v4
	s_waitcnt lgkmcnt(0)
	v_fma_f32 v19, -v20, v21, v19
.LBB101_368:
	s_or_b64 exec, exec, s[14:15]
	s_barrier
	s_and_saveexec_b64 s[14:15], s[36:37]
	s_cbranch_execz .LBB101_370
; %bb.369:
	v_mov_b32_e32 v20, 0
	ds_read_b32 v20, v20 offset:10400
	s_waitcnt lgkmcnt(0)
	v_mul_f32_e32 v19, v19, v20
	v_xor_b32_e32 v20, 0x80000000, v19
	ds_write_b32 v4, v20
.LBB101_370:
	s_or_b64 exec, exec, s[14:15]
	s_waitcnt lgkmcnt(0)
	s_barrier
	s_barrier
	s_and_saveexec_b64 s[14:15], s[2:3]
; %bb.371:
	v_lshlrev_b32_e32 v20, 2, v1
	v_lshl_or_b32 v20, v3, 8, v20
	ds_write_b32 v20, v19 offset:10912
; %bb.372:
	s_or_b64 exec, exec, s[14:15]
	s_waitcnt lgkmcnt(0)
	s_barrier
	s_barrier
	s_and_saveexec_b64 s[14:15], s[40:41]
	s_cbranch_execz .LBB101_374
; %bb.373:
	v_lshlrev_b32_e32 v19, 2, v0
	s_movk_i32 s16, 0xfc
	v_mad_u32_u24 v20, v0, s16, v19
	ds_read_b32 v21, v20 offset:10912
	s_waitcnt lgkmcnt(0)
	ds_write_b32 v19, v21 offset:10408
	ds_read_b32 v20, v20 offset:10916
	s_waitcnt lgkmcnt(0)
	ds_write_b32 v19, v20 offset:10664
.LBB101_374:
	s_or_b64 exec, exec, s[14:15]
	s_waitcnt lgkmcnt(0)
	s_barrier
	s_and_saveexec_b64 s[14:15], vcc
	s_cbranch_execz .LBB101_376
; %bb.375:
	v_mov_b32_e32 v21, 0
	ds_read_b64 v[19:20], v21 offset:10656
	ds_read_b32 v21, v21 offset:10400
	s_movk_i32 s16, 0x2800
	s_waitcnt lgkmcnt(0)
	v_mul_f32_e32 v20, v21, v20
	v_mul_f32_e32 v19, v19, v20
	v_add_u32_e64 v20, s16, 0
	ds_write2_b32 v20, v19, v19 offset0:41 offset1:104
.LBB101_376:
	s_or_b64 exec, exec, s[14:15]
	v_mov_b32_e32 v19, 0
	s_waitcnt lgkmcnt(0)
	s_barrier
	buffer_wbinvl1_vol
	s_and_saveexec_b64 s[16:17], s[8:9]
	s_cbranch_execz .LBB101_386
; %bb.377:
	v_lshlrev_b32_e32 v21, 2, v13
	v_lshlrev_b32_e32 v20, 8, v14
	ds_read_b32 v19, v21 offset:10368
	ds_read_b32 v22, v20 offset:10400
	v_cmp_gt_u32_e64 s[14:15], 56, v5
	s_waitcnt lgkmcnt(0)
	v_fma_f32 v19, v19, v22, 0
	s_and_saveexec_b64 s[20:21], s[14:15]
	s_cbranch_execnz .LBB101_1222
; %bb.378:
	s_or_b64 exec, exec, s[20:21]
	v_cmp_gt_u32_e64 s[14:15], 48, v5
	s_and_saveexec_b64 s[20:21], s[14:15]
	s_cbranch_execnz .LBB101_1223
.LBB101_379:
	s_or_b64 exec, exec, s[20:21]
	v_cmp_gt_u32_e64 s[14:15], 40, v5
	s_and_saveexec_b64 s[20:21], s[14:15]
	s_cbranch_execnz .LBB101_1224
.LBB101_380:
	s_or_b64 exec, exec, s[20:21]
	v_cmp_gt_u32_e64 s[14:15], 32, v5
	s_and_saveexec_b64 s[20:21], s[14:15]
	s_cbranch_execnz .LBB101_1225
.LBB101_381:
	s_or_b64 exec, exec, s[20:21]
	v_cmp_gt_u32_e64 s[14:15], 24, v5
	s_and_saveexec_b64 s[20:21], s[14:15]
	s_cbranch_execnz .LBB101_1226
.LBB101_382:
	s_or_b64 exec, exec, s[20:21]
	s_and_saveexec_b64 s[14:15], s[18:19]
	s_cbranch_execnz .LBB101_1227
.LBB101_383:
	s_or_b64 exec, exec, s[14:15]
	v_cmp_gt_u32_e64 s[14:15], 8, v5
	s_and_saveexec_b64 s[20:21], s[14:15]
	s_cbranch_execz .LBB101_385
.LBB101_384:
	v_lshlrev_b32_e32 v20, 2, v0
	v_mov_b32_e32 v21, 0
	ds_read_b32 v20, v20 offset:12160
	ds_read_b32 v21, v21 offset:12220
	s_waitcnt lgkmcnt(0)
	v_fmac_f32_e32 v19, v20, v21
.LBB101_385:
	s_or_b64 exec, exec, s[20:21]
.LBB101_386:
	s_or_b64 exec, exec, s[16:17]
	s_and_saveexec_b64 s[14:15], s[56:57]
	s_cbranch_execz .LBB101_388
; %bb.387:
	v_mov_b32_e32 v20, 0
	ds_read_b32 v20, v20 offset:10140
	s_waitcnt lgkmcnt(0)
	v_mul_f32_e32 v19, v19, v20
	v_xor_b32_e32 v20, 0x80000000, v19
	ds_write_b32 v15, v20
.LBB101_388:
	s_or_b64 exec, exec, s[14:15]
	s_waitcnt lgkmcnt(0)
	s_barrier
	s_and_saveexec_b64 s[14:15], s[58:59]
	s_cbranch_execz .LBB101_390
; %bb.389:
	v_lshlrev_b32_e32 v20, 2, v13
	ds_read_b32 v20, v20 offset:10112
	ds_read_b32 v21, v15
	s_waitcnt lgkmcnt(0)
	v_fma_f32 v19, -v20, v21, v19
.LBB101_390:
	s_or_b64 exec, exec, s[14:15]
	s_barrier
	s_and_saveexec_b64 s[14:15], s[60:61]
	s_cbranch_execz .LBB101_392
; %bb.391:
	v_mov_b32_e32 v20, 0
	ds_read_b32 v20, v20 offset:9880
	s_waitcnt lgkmcnt(0)
	v_mul_f32_e32 v19, v19, v20
	v_xor_b32_e32 v20, 0x80000000, v19
	ds_write_b32 v15, v20
.LBB101_392:
	s_or_b64 exec, exec, s[14:15]
	s_waitcnt lgkmcnt(0)
	s_barrier
	s_and_saveexec_b64 s[14:15], s[62:63]
	s_cbranch_execz .LBB101_394
; %bb.393:
	v_lshlrev_b32_e32 v20, 2, v13
	ds_read_b32 v20, v20 offset:9856
	ds_read_b32 v21, v15
	s_waitcnt lgkmcnt(0)
	v_fma_f32 v19, -v20, v21, v19
.LBB101_394:
	s_or_b64 exec, exec, s[14:15]
	s_barrier
	;; [unrolled: 24-line block ×6, first 2 shown]
	s_and_saveexec_b64 s[14:15], s[82:83]
	s_cbranch_execz .LBB101_412
; %bb.411:
	v_mov_b32_e32 v20, 0
	ds_read_b32 v20, v20 offset:8580
	s_waitcnt lgkmcnt(0)
	v_mul_f32_e32 v19, v19, v20
	v_xor_b32_e32 v20, 0x80000000, v19
	ds_write_b32 v15, v20
.LBB101_412:
	s_or_b64 exec, exec, s[14:15]
	s_waitcnt lgkmcnt(0)
	s_barrier
	s_and_saveexec_b64 s[14:15], s[66:67]
	s_cbranch_execz .LBB101_414
; %bb.413:
	v_mov_b32_e32 v20, 0
	ds_read_b32 v20, v20 offset:8576
	ds_read_b32 v21, v15
	s_waitcnt lgkmcnt(0)
	v_fma_f32 v19, -v20, v21, v19
.LBB101_414:
	s_or_b64 exec, exec, s[14:15]
	s_barrier
	s_and_saveexec_b64 s[14:15], s[66:67]
	s_cbranch_execz .LBB101_416
; %bb.415:
	v_mov_b32_e32 v20, 0
	ds_read_b32 v20, v20 offset:8320
	s_waitcnt lgkmcnt(0)
	v_mul_f32_e32 v19, v19, v20
	v_xor_b32_e32 v20, 0x80000000, v19
	ds_write_b32 v15, v20
.LBB101_416:
	s_or_b64 exec, exec, s[14:15]
	s_waitcnt lgkmcnt(0)
	s_barrier
	s_barrier
	s_and_saveexec_b64 s[14:15], s[8:9]
; %bb.417:
	v_lshlrev_b32_e32 v20, 2, v13
	v_lshl_or_b32 v20, v14, 8, v20
	ds_write_b32 v20, v19 offset:10368
; %bb.418:
	s_or_b64 exec, exec, s[14:15]
	s_waitcnt lgkmcnt(0)
	s_barrier
	s_barrier
	s_and_saveexec_b64 s[14:15], s[84:85]
	s_cbranch_execz .LBB101_420
; %bb.419:
	v_lshlrev_b32_e32 v19, 8, v0
	ds_read_b32 v20, v19 offset:10368
	s_movk_i32 s16, 0xff04
	v_mad_i32_i24 v21, v0, s16, v19
	s_waitcnt lgkmcnt(0)
	ds_write_b32 v21, v20 offset:8352
	ds_read_b32 v20, v19 offset:10372
	s_waitcnt lgkmcnt(0)
	ds_write_b32 v21, v20 offset:8608
	ds_read_b32 v20, v19 offset:10376
	;; [unrolled: 3-line block ×7, first 2 shown]
	s_waitcnt lgkmcnt(0)
	ds_write_b32 v21, v19 offset:10144
.LBB101_420:
	s_or_b64 exec, exec, s[14:15]
	s_waitcnt lgkmcnt(0)
	s_barrier
	s_and_saveexec_b64 s[14:15], vcc
	s_cbranch_execz .LBB101_422
; %bb.421:
	v_mov_b32_e32 v21, 0
	ds_read_b64 v[19:20], v21 offset:10136
	ds_read_b32 v21, v21 offset:9880
	s_movk_i32 s16, 0x2400
	s_waitcnt lgkmcnt(0)
	v_mul_f32_e32 v20, v21, v20
	v_mul_f32_e32 v19, v19, v20
	v_add_u32_e64 v20, s16, 0
	ds_write2_b32 v20, v19, v19 offset0:167 offset1:230
.LBB101_422:
	s_or_b64 exec, exec, s[14:15]
	v_mov_b32_e32 v19, 0
	s_waitcnt lgkmcnt(0)
	s_barrier
	buffer_wbinvl1_vol
	s_and_saveexec_b64 s[16:17], s[2:3]
	s_cbranch_execz .LBB101_426
; %bb.423:
	v_lshlrev_b32_e32 v19, 8, v3
	v_lshlrev_b32_e32 v20, 2, v1
	ds_read_b32 v21, v20 offset:9872
	ds_read_b32 v19, v19 offset:9880
	v_mov_b32_e32 v20, 0
	v_cmp_gt_u32_e64 s[14:15], 2, v5
	s_waitcnt lgkmcnt(0)
	v_fma_f32 v19, v21, v19, 0
	s_and_saveexec_b64 s[20:21], s[14:15]
	s_cbranch_execz .LBB101_425
; %bb.424:
	v_lshlrev_b32_e32 v21, 2, v0
	ds_read_b32 v21, v21 offset:10128
	ds_read_b32 v20, v20 offset:10140
	s_waitcnt lgkmcnt(0)
	v_fmac_f32_e32 v19, v21, v20
.LBB101_425:
	s_or_b64 exec, exec, s[20:21]
.LBB101_426:
	s_or_b64 exec, exec, s[16:17]
	s_and_saveexec_b64 s[14:15], s[38:39]
	s_cbranch_execz .LBB101_428
; %bb.427:
	v_mov_b32_e32 v20, 0
	ds_read_b32 v20, v20 offset:9620
	s_waitcnt lgkmcnt(0)
	v_mul_f32_e32 v19, v19, v20
	v_xor_b32_e32 v20, 0x80000000, v19
	ds_write_b32 v4, v20
.LBB101_428:
	s_or_b64 exec, exec, s[14:15]
	s_waitcnt lgkmcnt(0)
	s_barrier
	s_and_saveexec_b64 s[14:15], s[36:37]
	s_cbranch_execz .LBB101_430
; %bb.429:
	v_mov_b32_e32 v20, 0
	ds_read_b32 v20, v20 offset:9616
	ds_read_b32 v21, v4
	s_waitcnt lgkmcnt(0)
	v_fma_f32 v19, -v20, v21, v19
.LBB101_430:
	s_or_b64 exec, exec, s[14:15]
	s_barrier
	s_and_saveexec_b64 s[14:15], s[36:37]
	s_cbranch_execz .LBB101_432
; %bb.431:
	v_mov_b32_e32 v20, 0
	ds_read_b32 v20, v20 offset:9360
	s_waitcnt lgkmcnt(0)
	v_mul_f32_e32 v19, v19, v20
	v_xor_b32_e32 v20, 0x80000000, v19
	ds_write_b32 v4, v20
.LBB101_432:
	s_or_b64 exec, exec, s[14:15]
	s_waitcnt lgkmcnt(0)
	s_barrier
	s_barrier
	s_and_saveexec_b64 s[14:15], s[2:3]
; %bb.433:
	v_lshlrev_b32_e32 v20, 2, v1
	v_lshl_or_b32 v20, v3, 8, v20
	ds_write_b32 v20, v19 offset:9872
; %bb.434:
	s_or_b64 exec, exec, s[14:15]
	s_waitcnt lgkmcnt(0)
	s_barrier
	s_barrier
	s_and_saveexec_b64 s[14:15], s[40:41]
	s_cbranch_execz .LBB101_436
; %bb.435:
	v_lshlrev_b32_e32 v19, 2, v0
	s_movk_i32 s16, 0xfc
	v_mad_u32_u24 v20, v0, s16, v19
	ds_read_b32 v21, v20 offset:9872
	s_waitcnt lgkmcnt(0)
	ds_write_b32 v19, v21 offset:9368
	ds_read_b32 v20, v20 offset:9876
	s_waitcnt lgkmcnt(0)
	ds_write_b32 v19, v20 offset:9624
.LBB101_436:
	s_or_b64 exec, exec, s[14:15]
	s_waitcnt lgkmcnt(0)
	s_barrier
	s_and_saveexec_b64 s[14:15], vcc
	s_cbranch_execz .LBB101_438
; %bb.437:
	v_mov_b32_e32 v21, 0
	ds_read_b64 v[19:20], v21 offset:9616
	ds_read_b32 v21, v21 offset:9360
	s_movk_i32 s16, 0x2400
	s_waitcnt lgkmcnt(0)
	v_mul_f32_e32 v20, v21, v20
	v_mul_f32_e32 v19, v19, v20
	v_add_u32_e64 v20, s16, 0
	ds_write2_b32 v20, v19, v19 offset0:37 offset1:100
.LBB101_438:
	s_or_b64 exec, exec, s[14:15]
	v_mov_b32_e32 v19, 0
	s_waitcnt lgkmcnt(0)
	s_barrier
	buffer_wbinvl1_vol
	s_and_saveexec_b64 s[16:17], s[18:19]
	s_cbranch_execz .LBB101_444
; %bb.439:
	v_lshlrev_b32_e32 v21, 2, v6
	v_lshlrev_b32_e32 v20, 8, v11
	ds_read_b32 v19, v21 offset:9344
	ds_read_b32 v22, v20 offset:9360
	v_cmp_gt_u32_e64 s[14:15], 12, v5
	s_waitcnt lgkmcnt(0)
	v_fma_f32 v19, v19, v22, 0
	s_and_saveexec_b64 s[20:21], s[14:15]
	s_cbranch_execnz .LBB101_1228
; %bb.440:
	s_or_b64 exec, exec, s[20:21]
	v_cmp_gt_u32_e64 s[14:15], 8, v5
	s_and_saveexec_b64 s[20:21], s[14:15]
	s_cbranch_execnz .LBB101_1229
.LBB101_441:
	s_or_b64 exec, exec, s[20:21]
	v_cmp_gt_u32_e64 s[14:15], 4, v5
	s_and_saveexec_b64 s[20:21], s[14:15]
	s_cbranch_execz .LBB101_443
.LBB101_442:
	v_lshlrev_b32_e32 v20, 2, v0
	v_mov_b32_e32 v21, 0
	ds_read_b32 v20, v20 offset:10112
	ds_read_b32 v21, v21 offset:10140
	s_waitcnt lgkmcnt(0)
	v_fmac_f32_e32 v19, v20, v21
.LBB101_443:
	s_or_b64 exec, exec, s[20:21]
.LBB101_444:
	s_or_b64 exec, exec, s[16:17]
	s_and_saveexec_b64 s[14:15], s[44:45]
	s_cbranch_execz .LBB101_446
; %bb.445:
	v_mov_b32_e32 v20, 0
	ds_read_b32 v20, v20 offset:9100
	s_waitcnt lgkmcnt(0)
	v_mul_f32_e32 v19, v19, v20
	v_xor_b32_e32 v20, 0x80000000, v19
	ds_write_b32 v12, v20
.LBB101_446:
	s_or_b64 exec, exec, s[14:15]
	s_waitcnt lgkmcnt(0)
	s_barrier
	s_and_saveexec_b64 s[14:15], s[46:47]
	s_cbranch_execz .LBB101_448
; %bb.447:
	v_lshlrev_b32_e32 v20, 2, v6
	ds_read_b32 v20, v20 offset:9088
	ds_read_b32 v21, v12
	s_waitcnt lgkmcnt(0)
	v_fma_f32 v19, -v20, v21, v19
.LBB101_448:
	s_or_b64 exec, exec, s[14:15]
	s_barrier
	s_and_saveexec_b64 s[14:15], s[48:49]
	s_cbranch_execz .LBB101_450
; %bb.449:
	v_mov_b32_e32 v20, 0
	ds_read_b32 v20, v20 offset:8840
	s_waitcnt lgkmcnt(0)
	v_mul_f32_e32 v19, v19, v20
	v_xor_b32_e32 v20, 0x80000000, v19
	ds_write_b32 v12, v20
.LBB101_450:
	s_or_b64 exec, exec, s[14:15]
	s_waitcnt lgkmcnt(0)
	s_barrier
	s_and_saveexec_b64 s[14:15], s[50:51]
	s_cbranch_execz .LBB101_452
; %bb.451:
	v_lshlrev_b32_e32 v20, 2, v6
	ds_read_b32 v20, v20 offset:8832
	ds_read_b32 v21, v12
	s_waitcnt lgkmcnt(0)
	v_fma_f32 v19, -v20, v21, v19
.LBB101_452:
	s_or_b64 exec, exec, s[14:15]
	s_barrier
	s_and_saveexec_b64 s[14:15], s[52:53]
	s_cbranch_execz .LBB101_454
; %bb.453:
	v_mov_b32_e32 v20, 0
	ds_read_b32 v20, v20 offset:8580
	s_waitcnt lgkmcnt(0)
	v_mul_f32_e32 v19, v19, v20
	v_xor_b32_e32 v20, 0x80000000, v19
	ds_write_b32 v12, v20
.LBB101_454:
	s_or_b64 exec, exec, s[14:15]
	s_waitcnt lgkmcnt(0)
	s_barrier
	s_and_saveexec_b64 s[14:15], s[42:43]
	s_cbranch_execz .LBB101_456
; %bb.455:
	v_mov_b32_e32 v20, 0
	ds_read_b32 v20, v20 offset:8576
	ds_read_b32 v21, v12
	s_waitcnt lgkmcnt(0)
	v_fma_f32 v19, -v20, v21, v19
.LBB101_456:
	s_or_b64 exec, exec, s[14:15]
	s_barrier
	s_and_saveexec_b64 s[14:15], s[42:43]
	s_cbranch_execz .LBB101_458
; %bb.457:
	v_mov_b32_e32 v20, 0
	ds_read_b32 v20, v20 offset:8320
	s_waitcnt lgkmcnt(0)
	v_mul_f32_e32 v19, v19, v20
	v_xor_b32_e32 v20, 0x80000000, v19
	ds_write_b32 v12, v20
.LBB101_458:
	s_or_b64 exec, exec, s[14:15]
	s_waitcnt lgkmcnt(0)
	s_barrier
	s_barrier
	s_and_saveexec_b64 s[14:15], s[18:19]
; %bb.459:
	v_lshlrev_b32_e32 v20, 2, v6
	v_lshl_or_b32 v20, v11, 8, v20
	ds_write_b32 v20, v19 offset:9344
; %bb.460:
	s_or_b64 exec, exec, s[14:15]
	s_waitcnt lgkmcnt(0)
	s_barrier
	s_barrier
	s_and_saveexec_b64 s[14:15], s[54:55]
	s_cbranch_execz .LBB101_462
; %bb.461:
	v_lshlrev_b32_e32 v19, 8, v0
	ds_read_b32 v20, v19 offset:9344
	s_movk_i32 s16, 0xff04
	v_mad_i32_i24 v21, v0, s16, v19
	s_waitcnt lgkmcnt(0)
	ds_write_b32 v21, v20 offset:8336
	ds_read_b32 v20, v19 offset:9348
	s_waitcnt lgkmcnt(0)
	ds_write_b32 v21, v20 offset:8592
	ds_read_b32 v20, v19 offset:9352
	s_waitcnt lgkmcnt(0)
	ds_write_b32 v21, v20 offset:8848
	ds_read_b32 v19, v19 offset:9356
	s_waitcnt lgkmcnt(0)
	ds_write_b32 v21, v19 offset:9104
.LBB101_462:
	s_or_b64 exec, exec, s[14:15]
	s_waitcnt lgkmcnt(0)
	s_barrier
	s_and_saveexec_b64 s[14:15], vcc
	s_cbranch_execz .LBB101_464
; %bb.463:
	v_mov_b32_e32 v21, 0
	ds_read_b64 v[19:20], v21 offset:9096
	ds_read_b32 v21, v21 offset:8840
	s_movk_i32 s16, 0x2000
	s_waitcnt lgkmcnt(0)
	v_mul_f32_e32 v20, v21, v20
	v_mul_f32_e32 v19, v19, v20
	v_add_u32_e64 v20, s16, 0
	ds_write2_b32 v20, v19, v19 offset0:163 offset1:226
.LBB101_464:
	s_or_b64 exec, exec, s[14:15]
	v_mov_b32_e32 v19, 0
	s_waitcnt lgkmcnt(0)
	s_barrier
	buffer_wbinvl1_vol
	s_and_saveexec_b64 s[16:17], s[2:3]
	s_cbranch_execz .LBB101_468
; %bb.465:
	v_lshlrev_b32_e32 v19, 8, v3
	v_lshlrev_b32_e32 v20, 2, v1
	ds_read_b32 v21, v20 offset:8832
	ds_read_b32 v19, v19 offset:8840
	v_mov_b32_e32 v20, 0
	v_cmp_gt_u32_e64 s[14:15], 2, v5
	s_waitcnt lgkmcnt(0)
	v_fma_f32 v19, v21, v19, 0
	s_and_saveexec_b64 s[20:21], s[14:15]
	s_cbranch_execz .LBB101_467
; %bb.466:
	v_lshlrev_b32_e32 v21, 2, v0
	ds_read_b32 v21, v21 offset:9088
	ds_read_b32 v20, v20 offset:9100
	s_waitcnt lgkmcnt(0)
	v_fmac_f32_e32 v19, v21, v20
.LBB101_467:
	s_or_b64 exec, exec, s[20:21]
.LBB101_468:
	s_or_b64 exec, exec, s[16:17]
	s_and_saveexec_b64 s[14:15], s[38:39]
	s_cbranch_execz .LBB101_470
; %bb.469:
	v_mov_b32_e32 v20, 0
	ds_read_b32 v20, v20 offset:8580
	s_waitcnt lgkmcnt(0)
	v_mul_f32_e32 v19, v19, v20
	v_xor_b32_e32 v20, 0x80000000, v19
	ds_write_b32 v4, v20
.LBB101_470:
	s_or_b64 exec, exec, s[14:15]
	s_waitcnt lgkmcnt(0)
	s_barrier
	s_and_saveexec_b64 s[14:15], s[36:37]
	s_cbranch_execz .LBB101_472
; %bb.471:
	v_mov_b32_e32 v20, 0
	ds_read_b32 v20, v20 offset:8576
	ds_read_b32 v21, v4
	s_waitcnt lgkmcnt(0)
	v_fma_f32 v19, -v20, v21, v19
.LBB101_472:
	s_or_b64 exec, exec, s[14:15]
	s_barrier
	s_and_saveexec_b64 s[14:15], s[36:37]
	s_cbranch_execz .LBB101_474
; %bb.473:
	v_mov_b32_e32 v20, 0
	ds_read_b32 v20, v20 offset:8320
	s_waitcnt lgkmcnt(0)
	v_mul_f32_e32 v19, v19, v20
	v_xor_b32_e32 v20, 0x80000000, v19
	ds_write_b32 v4, v20
.LBB101_474:
	s_or_b64 exec, exec, s[14:15]
	s_waitcnt lgkmcnt(0)
	s_barrier
	s_barrier
	s_and_saveexec_b64 s[14:15], s[2:3]
; %bb.475:
	v_lshlrev_b32_e32 v20, 2, v1
	v_lshl_or_b32 v20, v3, 8, v20
	ds_write_b32 v20, v19 offset:8832
; %bb.476:
	s_or_b64 exec, exec, s[14:15]
	s_waitcnt lgkmcnt(0)
	s_barrier
	s_barrier
	s_and_saveexec_b64 s[14:15], s[40:41]
	s_cbranch_execz .LBB101_478
; %bb.477:
	v_lshlrev_b32_e32 v19, 2, v0
	s_movk_i32 s16, 0xfc
	v_mad_u32_u24 v20, v0, s16, v19
	ds_read_b32 v21, v20 offset:8832
	s_waitcnt lgkmcnt(0)
	ds_write_b32 v19, v21 offset:8328
	ds_read_b32 v20, v20 offset:8836
	s_waitcnt lgkmcnt(0)
	ds_write_b32 v19, v20 offset:8584
.LBB101_478:
	s_or_b64 exec, exec, s[14:15]
	s_waitcnt lgkmcnt(0)
	s_barrier
	s_and_saveexec_b64 s[14:15], vcc
	s_cbranch_execz .LBB101_480
; %bb.479:
	v_mov_b32_e32 v21, 0
	ds_read_b64 v[19:20], v21 offset:8576
	ds_read_b32 v21, v21 offset:8320
	s_movk_i32 s16, 0x2000
	s_waitcnt lgkmcnt(0)
	v_mul_f32_e32 v20, v21, v20
	v_mul_f32_e32 v19, v19, v20
	v_add_u32_e64 v20, s16, 0
	ds_write2_b32 v20, v19, v19 offset0:33 offset1:96
.LBB101_480:
	s_or_b64 exec, exec, s[14:15]
	s_movk_i32 s14, 0x3ff
	v_lshrrev_b32_e32 v22, 5, v5
	v_cmp_lt_u32_e64 s[16:17], s14, v5
	s_movk_i32 s14, 0x400
	v_and_b32_e32 v19, 31, v0
	v_sub_u32_e32 v20, 31, v22
	v_cmp_gt_u32_e64 s[14:15], s14, v5
	v_mov_b32_e32 v21, 0
	s_waitcnt lgkmcnt(0)
	s_barrier
	buffer_wbinvl1_vol
	s_and_saveexec_b64 s[90:91], s[14:15]
	s_cbranch_execz .LBB101_542
; %bb.481:
	v_lshlrev_b32_e32 v24, 2, v19
	v_lshlrev_b32_e32 v23, 8, v20
	ds_read_b32 v21, v24 offset:8192
	ds_read_b32 v25, v23 offset:8320
	s_movk_i32 s20, 0x3e0
	v_cmp_gt_u32_e64 s[20:21], s20, v5
	s_waitcnt lgkmcnt(0)
	v_fma_f32 v21, v21, v25, 0
	s_and_saveexec_b64 s[94:95], s[20:21]
	s_cbranch_execz .LBB101_483
; %bb.482:
	ds_read_b32 v25, v24 offset:8448
	ds_read_b32 v26, v23 offset:8324
	s_waitcnt lgkmcnt(0)
	v_fmac_f32_e32 v21, v25, v26
.LBB101_483:
	s_or_b64 exec, exec, s[94:95]
	s_movk_i32 s20, 0x3c0
	v_cmp_gt_u32_e64 s[20:21], s20, v5
	s_and_saveexec_b64 s[94:95], s[20:21]
	s_cbranch_execz .LBB101_485
; %bb.484:
	ds_read_b32 v25, v24 offset:8704
	ds_read_b32 v26, v23 offset:8328
	s_waitcnt lgkmcnt(0)
	v_fmac_f32_e32 v21, v25, v26
.LBB101_485:
	s_or_b64 exec, exec, s[94:95]
	s_movk_i32 s20, 0x3a0
	v_cmp_gt_u32_e64 s[20:21], s20, v5
	;; [unrolled: 11-line block ×22, first 2 shown]
	s_and_saveexec_b64 s[94:95], s[20:21]
	s_cbranch_execz .LBB101_527
; %bb.526:
	ds_read_b32 v25, v24 offset:14080
	ds_read_b32 v26, v23 offset:8412
	s_waitcnt lgkmcnt(0)
	v_fmac_f32_e32 v21, v25, v26
.LBB101_527:
	s_or_b64 exec, exec, s[94:95]
	s_and_saveexec_b64 s[20:21], s[10:11]
	s_cbranch_execz .LBB101_529
; %bb.528:
	ds_read_b32 v25, v24 offset:14336
	ds_read_b32 v26, v23 offset:8416
	s_waitcnt lgkmcnt(0)
	v_fmac_f32_e32 v21, v25, v26
.LBB101_529:
	s_or_b64 exec, exec, s[20:21]
	s_movk_i32 s20, 0xe0
	v_cmp_gt_u32_e64 s[20:21], s20, v5
	s_and_saveexec_b64 s[94:95], s[20:21]
	s_cbranch_execz .LBB101_531
; %bb.530:
	ds_read_b32 v25, v24 offset:14592
	ds_read_b32 v26, v23 offset:8420
	s_waitcnt lgkmcnt(0)
	v_fmac_f32_e32 v21, v25, v26
.LBB101_531:
	s_or_b64 exec, exec, s[94:95]
	s_movk_i32 s20, 0xc0
	v_cmp_gt_u32_e64 s[20:21], s20, v5
	;; [unrolled: 11-line block ×5, first 2 shown]
	s_and_saveexec_b64 s[94:95], s[20:21]
	s_cbranch_execnz .LBB101_1230
; %bb.538:
	s_or_b64 exec, exec, s[94:95]
	s_and_saveexec_b64 s[20:21], s[8:9]
	s_cbranch_execnz .LBB101_1231
.LBB101_539:
	s_or_b64 exec, exec, s[20:21]
	v_cmp_gt_u32_e64 s[20:21], 32, v5
	s_and_saveexec_b64 s[94:95], s[20:21]
	s_cbranch_execz .LBB101_541
.LBB101_540:
	v_lshlrev_b32_e32 v23, 2, v0
	v_mov_b32_e32 v24, 0
	ds_read_b32 v23, v23 offset:16128
	ds_read_b32 v24, v24 offset:16380
	s_waitcnt lgkmcnt(0)
	v_fmac_f32_e32 v21, v23, v24
.LBB101_541:
	s_or_b64 exec, exec, s[94:95]
.LBB101_542:
	s_or_b64 exec, exec, s[90:91]
	v_mov_b32_e32 v23, 0x4000
	v_cmp_eq_u32_e64 s[20:21], 31, v19
	s_xor_b64 s[90:91], s[16:17], -1
	v_lshl_add_u32 v22, v22, 2, v23
	s_and_b64 s[20:21], s[20:21], s[90:91]
	s_and_saveexec_b64 s[16:17], s[20:21]
	s_cbranch_execz .LBB101_544
; %bb.543:
	v_mov_b32_e32 v23, 0
	ds_read_b32 v23, v23 offset:8060
	s_waitcnt lgkmcnt(0)
	v_mul_f32_e32 v21, v21, v23
	v_xor_b32_e32 v23, 0x80000000, v21
	ds_write_b32 v22, v23
.LBB101_544:
	s_or_b64 exec, exec, s[16:17]
	v_cmp_ne_u32_e64 s[16:17], 31, v19
	s_and_b64 s[20:21], s[16:17], s[90:91]
	s_waitcnt lgkmcnt(0)
	s_barrier
	s_and_saveexec_b64 s[16:17], s[20:21]
	s_cbranch_execz .LBB101_546
; %bb.545:
	v_lshlrev_b32_e32 v23, 2, v19
	ds_read_b32 v23, v23 offset:7936
	ds_read_b32 v24, v22
	s_waitcnt lgkmcnt(0)
	v_fma_f32 v21, -v23, v24, v21
.LBB101_546:
	s_or_b64 exec, exec, s[16:17]
	v_cmp_eq_u32_e64 s[16:17], 30, v19
	s_and_b64 s[20:21], s[16:17], s[90:91]
	s_barrier
	s_and_saveexec_b64 s[16:17], s[20:21]
	s_cbranch_execz .LBB101_548
; %bb.547:
	v_mov_b32_e32 v23, 0
	ds_read_b32 v23, v23 offset:7800
	s_waitcnt lgkmcnt(0)
	v_mul_f32_e32 v21, v21, v23
	v_xor_b32_e32 v23, 0x80000000, v21
	ds_write_b32 v22, v23
.LBB101_548:
	s_or_b64 exec, exec, s[16:17]
	v_cmp_gt_u32_e64 s[16:17], 30, v19
	s_and_b64 s[20:21], s[16:17], s[90:91]
	s_waitcnt lgkmcnt(0)
	s_barrier
	s_and_saveexec_b64 s[16:17], s[20:21]
	s_cbranch_execz .LBB101_550
; %bb.549:
	v_lshlrev_b32_e32 v23, 2, v19
	ds_read_b32 v23, v23 offset:7680
	ds_read_b32 v24, v22
	s_waitcnt lgkmcnt(0)
	v_fma_f32 v21, -v23, v24, v21
.LBB101_550:
	s_or_b64 exec, exec, s[16:17]
	v_cmp_eq_u32_e64 s[16:17], 29, v19
	s_and_b64 s[20:21], s[16:17], s[90:91]
	s_barrier
	s_and_saveexec_b64 s[16:17], s[20:21]
	s_cbranch_execz .LBB101_552
; %bb.551:
	v_mov_b32_e32 v23, 0
	ds_read_b32 v23, v23 offset:7540
	s_waitcnt lgkmcnt(0)
	v_mul_f32_e32 v21, v21, v23
	v_xor_b32_e32 v23, 0x80000000, v21
	ds_write_b32 v22, v23
.LBB101_552:
	s_or_b64 exec, exec, s[16:17]
	v_cmp_gt_u32_e64 s[16:17], 29, v19
	;; [unrolled: 28-line block ×29, first 2 shown]
	s_and_b64 s[20:21], s[16:17], s[90:91]
	s_waitcnt lgkmcnt(0)
	s_barrier
	s_and_saveexec_b64 s[16:17], s[20:21]
	s_cbranch_execz .LBB101_662
; %bb.661:
	v_lshlrev_b32_e32 v23, 2, v19
	ds_read_b32 v23, v23 offset:512
	ds_read_b32 v24, v22
	s_waitcnt lgkmcnt(0)
	v_fma_f32 v21, -v23, v24, v21
.LBB101_662:
	s_or_b64 exec, exec, s[16:17]
	v_cmp_eq_u32_e64 s[16:17], 1, v19
	s_and_b64 s[20:21], s[16:17], s[90:91]
	s_barrier
	s_and_saveexec_b64 s[16:17], s[20:21]
	s_cbranch_execz .LBB101_664
; %bb.663:
	v_mov_b32_e32 v23, 0
	ds_read_b32 v23, v23 offset:260
	s_waitcnt lgkmcnt(0)
	v_mul_f32_e32 v21, v21, v23
	v_xor_b32_e32 v23, 0x80000000, v21
	ds_write_b32 v22, v23
.LBB101_664:
	s_or_b64 exec, exec, s[16:17]
	v_cmp_eq_u32_e64 s[16:17], 0, v19
	s_and_b64 s[16:17], s[16:17], s[90:91]
	s_waitcnt lgkmcnt(0)
	s_barrier
	s_and_saveexec_b64 s[20:21], s[16:17]
	s_cbranch_execz .LBB101_666
; %bb.665:
	v_mov_b32_e32 v23, 0
	ds_read_b32 v23, v23 offset:256
	ds_read_b32 v24, v22
	s_waitcnt lgkmcnt(0)
	v_fma_f32 v21, -v23, v24, v21
.LBB101_666:
	s_or_b64 exec, exec, s[20:21]
	s_barrier
	s_and_saveexec_b64 s[20:21], s[16:17]
	s_cbranch_execz .LBB101_668
; %bb.667:
	v_mov_b32_e32 v23, 0
	ds_read_b32 v23, v23
	s_waitcnt lgkmcnt(0)
	v_mul_f32_e32 v21, v21, v23
	v_xor_b32_e32 v23, 0x80000000, v21
	ds_write_b32 v22, v23
.LBB101_668:
	s_or_b64 exec, exec, s[20:21]
	s_waitcnt lgkmcnt(0)
	s_barrier
	s_barrier
	s_and_saveexec_b64 s[16:17], s[14:15]
; %bb.669:
	v_lshlrev_b32_e32 v19, 2, v19
	v_lshl_or_b32 v19, v20, 8, v19
	ds_write_b32 v19, v21 offset:8192
; %bb.670:
	s_or_b64 exec, exec, s[16:17]
	v_cmp_gt_u32_e64 s[14:15], 32, v0
	s_and_b64 s[14:15], s[12:13], s[14:15]
	s_waitcnt lgkmcnt(0)
	s_barrier
	s_barrier
	s_and_saveexec_b64 s[12:13], s[14:15]
	s_cbranch_execz .LBB101_672
; %bb.671:
	v_lshlrev_b32_e32 v19, 8, v0
	ds_read_b32 v20, v19 offset:8192
	s_movk_i32 s14, 0xff04
	v_mad_i32_i24 v21, v0, s14, v19
	s_waitcnt lgkmcnt(0)
	ds_write_b32 v21, v20 offset:128
	ds_read_b32 v20, v19 offset:8196
	s_waitcnt lgkmcnt(0)
	ds_write_b32 v21, v20 offset:384
	ds_read_b32 v20, v19 offset:8200
	;; [unrolled: 3-line block ×31, first 2 shown]
	s_waitcnt lgkmcnt(0)
	ds_write_b32 v21, v19 offset:8064
.LBB101_672:
	s_or_b64 exec, exec, s[12:13]
	s_waitcnt lgkmcnt(0)
	s_barrier
	s_and_saveexec_b64 s[12:13], vcc
	s_cbranch_execz .LBB101_674
; %bb.673:
	v_mov_b32_e32 v21, 0
	ds_read_b64 v[19:20], v21 offset:8056
	ds_read_b32 v21, v21 offset:7800
	s_movk_i32 s14, 0x1c00
	s_waitcnt lgkmcnt(0)
	v_mul_f32_e32 v20, v21, v20
	v_mul_f32_e32 v19, v19, v20
	v_add_u32_e64 v20, s14, 0
	ds_write2_b32 v20, v19, v19 offset0:159 offset1:222
.LBB101_674:
	s_or_b64 exec, exec, s[12:13]
	v_mov_b32_e32 v19, 0
	s_waitcnt lgkmcnt(0)
	s_barrier
	buffer_wbinvl1_vol
	s_and_saveexec_b64 s[14:15], s[2:3]
	s_cbranch_execz .LBB101_678
; %bb.675:
	v_lshlrev_b32_e32 v19, 8, v3
	v_lshlrev_b32_e32 v20, 2, v1
	ds_read_b32 v21, v20 offset:7792
	ds_read_b32 v19, v19 offset:7800
	v_mov_b32_e32 v20, 0
	v_cmp_gt_u32_e64 s[12:13], 2, v5
	s_waitcnt lgkmcnt(0)
	v_fma_f32 v19, v21, v19, 0
	s_and_saveexec_b64 s[16:17], s[12:13]
	s_cbranch_execz .LBB101_677
; %bb.676:
	v_lshlrev_b32_e32 v21, 2, v0
	ds_read_b32 v21, v21 offset:8048
	ds_read_b32 v20, v20 offset:8060
	s_waitcnt lgkmcnt(0)
	v_fmac_f32_e32 v19, v21, v20
.LBB101_677:
	s_or_b64 exec, exec, s[16:17]
.LBB101_678:
	s_or_b64 exec, exec, s[14:15]
	s_and_saveexec_b64 s[12:13], s[38:39]
	s_cbranch_execz .LBB101_680
; %bb.679:
	v_mov_b32_e32 v20, 0
	ds_read_b32 v20, v20 offset:7540
	s_waitcnt lgkmcnt(0)
	v_mul_f32_e32 v19, v19, v20
	v_xor_b32_e32 v20, 0x80000000, v19
	ds_write_b32 v4, v20
.LBB101_680:
	s_or_b64 exec, exec, s[12:13]
	s_waitcnt lgkmcnt(0)
	s_barrier
	s_and_saveexec_b64 s[12:13], s[36:37]
	s_cbranch_execz .LBB101_682
; %bb.681:
	v_mov_b32_e32 v20, 0
	ds_read_b32 v20, v20 offset:7536
	ds_read_b32 v21, v4
	s_waitcnt lgkmcnt(0)
	v_fma_f32 v19, -v20, v21, v19
.LBB101_682:
	s_or_b64 exec, exec, s[12:13]
	s_barrier
	s_and_saveexec_b64 s[12:13], s[36:37]
	s_cbranch_execz .LBB101_684
; %bb.683:
	v_mov_b32_e32 v20, 0
	ds_read_b32 v20, v20 offset:7280
	s_waitcnt lgkmcnt(0)
	v_mul_f32_e32 v19, v19, v20
	v_xor_b32_e32 v20, 0x80000000, v19
	ds_write_b32 v4, v20
.LBB101_684:
	s_or_b64 exec, exec, s[12:13]
	s_waitcnt lgkmcnt(0)
	s_barrier
	s_barrier
	s_and_saveexec_b64 s[12:13], s[2:3]
; %bb.685:
	v_lshlrev_b32_e32 v20, 2, v1
	v_lshl_or_b32 v20, v3, 8, v20
	ds_write_b32 v20, v19 offset:7792
; %bb.686:
	s_or_b64 exec, exec, s[12:13]
	s_waitcnt lgkmcnt(0)
	s_barrier
	s_barrier
	s_and_saveexec_b64 s[12:13], s[40:41]
	s_cbranch_execz .LBB101_688
; %bb.687:
	v_lshlrev_b32_e32 v19, 2, v0
	s_movk_i32 s14, 0xfc
	v_mad_u32_u24 v20, v0, s14, v19
	ds_read_b32 v21, v20 offset:7792
	s_waitcnt lgkmcnt(0)
	ds_write_b32 v19, v21 offset:7288
	ds_read_b32 v20, v20 offset:7796
	s_waitcnt lgkmcnt(0)
	ds_write_b32 v19, v20 offset:7544
.LBB101_688:
	s_or_b64 exec, exec, s[12:13]
	s_waitcnt lgkmcnt(0)
	s_barrier
	s_and_saveexec_b64 s[12:13], vcc
	s_cbranch_execz .LBB101_690
; %bb.689:
	v_mov_b32_e32 v21, 0
	ds_read_b64 v[19:20], v21 offset:7536
	ds_read_b32 v21, v21 offset:7280
	s_movk_i32 s14, 0x1c00
	s_waitcnt lgkmcnt(0)
	v_mul_f32_e32 v20, v21, v20
	v_mul_f32_e32 v19, v19, v20
	v_add_u32_e64 v20, s14, 0
	ds_write2_b32 v20, v19, v19 offset0:29 offset1:92
.LBB101_690:
	s_or_b64 exec, exec, s[12:13]
	v_mov_b32_e32 v19, 0
	s_waitcnt lgkmcnt(0)
	s_barrier
	buffer_wbinvl1_vol
	s_and_saveexec_b64 s[14:15], s[18:19]
	s_cbranch_execz .LBB101_696
; %bb.691:
	v_lshlrev_b32_e32 v21, 2, v6
	v_lshlrev_b32_e32 v20, 8, v11
	ds_read_b32 v19, v21 offset:7264
	ds_read_b32 v22, v20 offset:7280
	v_cmp_gt_u32_e64 s[12:13], 12, v5
	s_waitcnt lgkmcnt(0)
	v_fma_f32 v19, v19, v22, 0
	s_and_saveexec_b64 s[16:17], s[12:13]
	s_cbranch_execnz .LBB101_1232
; %bb.692:
	s_or_b64 exec, exec, s[16:17]
	v_cmp_gt_u32_e64 s[12:13], 8, v5
	s_and_saveexec_b64 s[16:17], s[12:13]
	s_cbranch_execnz .LBB101_1233
.LBB101_693:
	s_or_b64 exec, exec, s[16:17]
	v_cmp_gt_u32_e64 s[12:13], 4, v5
	s_and_saveexec_b64 s[16:17], s[12:13]
	s_cbranch_execz .LBB101_695
.LBB101_694:
	v_lshlrev_b32_e32 v20, 2, v0
	v_mov_b32_e32 v21, 0
	ds_read_b32 v20, v20 offset:8032
	ds_read_b32 v21, v21 offset:8060
	s_waitcnt lgkmcnt(0)
	v_fmac_f32_e32 v19, v20, v21
.LBB101_695:
	s_or_b64 exec, exec, s[16:17]
.LBB101_696:
	s_or_b64 exec, exec, s[14:15]
	s_and_saveexec_b64 s[12:13], s[44:45]
	s_cbranch_execz .LBB101_698
; %bb.697:
	v_mov_b32_e32 v20, 0
	ds_read_b32 v20, v20 offset:7020
	s_waitcnt lgkmcnt(0)
	v_mul_f32_e32 v19, v19, v20
	v_xor_b32_e32 v20, 0x80000000, v19
	ds_write_b32 v12, v20
.LBB101_698:
	s_or_b64 exec, exec, s[12:13]
	s_waitcnt lgkmcnt(0)
	s_barrier
	s_and_saveexec_b64 s[12:13], s[46:47]
	s_cbranch_execz .LBB101_700
; %bb.699:
	v_lshlrev_b32_e32 v20, 2, v6
	ds_read_b32 v20, v20 offset:7008
	ds_read_b32 v21, v12
	s_waitcnt lgkmcnt(0)
	v_fma_f32 v19, -v20, v21, v19
.LBB101_700:
	s_or_b64 exec, exec, s[12:13]
	s_barrier
	s_and_saveexec_b64 s[12:13], s[48:49]
	s_cbranch_execz .LBB101_702
; %bb.701:
	v_mov_b32_e32 v20, 0
	ds_read_b32 v20, v20 offset:6760
	s_waitcnt lgkmcnt(0)
	v_mul_f32_e32 v19, v19, v20
	v_xor_b32_e32 v20, 0x80000000, v19
	ds_write_b32 v12, v20
.LBB101_702:
	s_or_b64 exec, exec, s[12:13]
	s_waitcnt lgkmcnt(0)
	s_barrier
	s_and_saveexec_b64 s[12:13], s[50:51]
	s_cbranch_execz .LBB101_704
; %bb.703:
	v_lshlrev_b32_e32 v20, 2, v6
	ds_read_b32 v20, v20 offset:6752
	ds_read_b32 v21, v12
	s_waitcnt lgkmcnt(0)
	v_fma_f32 v19, -v20, v21, v19
.LBB101_704:
	s_or_b64 exec, exec, s[12:13]
	s_barrier
	s_and_saveexec_b64 s[12:13], s[52:53]
	s_cbranch_execz .LBB101_706
; %bb.705:
	v_mov_b32_e32 v20, 0
	ds_read_b32 v20, v20 offset:6500
	s_waitcnt lgkmcnt(0)
	v_mul_f32_e32 v19, v19, v20
	v_xor_b32_e32 v20, 0x80000000, v19
	ds_write_b32 v12, v20
.LBB101_706:
	s_or_b64 exec, exec, s[12:13]
	s_waitcnt lgkmcnt(0)
	s_barrier
	s_and_saveexec_b64 s[12:13], s[42:43]
	s_cbranch_execz .LBB101_708
; %bb.707:
	v_mov_b32_e32 v20, 0
	ds_read_b32 v20, v20 offset:6496
	ds_read_b32 v21, v12
	s_waitcnt lgkmcnt(0)
	v_fma_f32 v19, -v20, v21, v19
.LBB101_708:
	s_or_b64 exec, exec, s[12:13]
	s_barrier
	s_and_saveexec_b64 s[12:13], s[42:43]
	s_cbranch_execz .LBB101_710
; %bb.709:
	v_mov_b32_e32 v20, 0
	ds_read_b32 v20, v20 offset:6240
	s_waitcnt lgkmcnt(0)
	v_mul_f32_e32 v19, v19, v20
	v_xor_b32_e32 v20, 0x80000000, v19
	ds_write_b32 v12, v20
.LBB101_710:
	s_or_b64 exec, exec, s[12:13]
	s_waitcnt lgkmcnt(0)
	s_barrier
	s_barrier
	s_and_saveexec_b64 s[12:13], s[18:19]
; %bb.711:
	v_lshlrev_b32_e32 v20, 2, v6
	v_lshl_or_b32 v20, v11, 8, v20
	ds_write_b32 v20, v19 offset:7264
; %bb.712:
	s_or_b64 exec, exec, s[12:13]
	s_waitcnt lgkmcnt(0)
	s_barrier
	s_barrier
	s_and_saveexec_b64 s[12:13], s[54:55]
	s_cbranch_execz .LBB101_714
; %bb.713:
	v_lshlrev_b32_e32 v19, 8, v0
	ds_read_b32 v20, v19 offset:7264
	s_movk_i32 s14, 0xff04
	v_mad_i32_i24 v21, v0, s14, v19
	s_waitcnt lgkmcnt(0)
	ds_write_b32 v21, v20 offset:6256
	ds_read_b32 v20, v19 offset:7268
	s_waitcnt lgkmcnt(0)
	ds_write_b32 v21, v20 offset:6512
	ds_read_b32 v20, v19 offset:7272
	s_waitcnt lgkmcnt(0)
	ds_write_b32 v21, v20 offset:6768
	ds_read_b32 v19, v19 offset:7276
	s_waitcnt lgkmcnt(0)
	ds_write_b32 v21, v19 offset:7024
.LBB101_714:
	s_or_b64 exec, exec, s[12:13]
	s_waitcnt lgkmcnt(0)
	s_barrier
	s_and_saveexec_b64 s[12:13], vcc
	s_cbranch_execz .LBB101_716
; %bb.715:
	v_mov_b32_e32 v21, 0
	ds_read_b64 v[19:20], v21 offset:7016
	ds_read_b32 v21, v21 offset:6760
	s_movk_i32 s14, 0x1800
	s_waitcnt lgkmcnt(0)
	v_mul_f32_e32 v20, v21, v20
	v_mul_f32_e32 v19, v19, v20
	v_add_u32_e64 v20, s14, 0
	ds_write2_b32 v20, v19, v19 offset0:155 offset1:218
.LBB101_716:
	s_or_b64 exec, exec, s[12:13]
	v_mov_b32_e32 v19, 0
	s_waitcnt lgkmcnt(0)
	s_barrier
	buffer_wbinvl1_vol
	s_and_saveexec_b64 s[14:15], s[2:3]
	s_cbranch_execz .LBB101_720
; %bb.717:
	v_lshlrev_b32_e32 v19, 8, v3
	v_lshlrev_b32_e32 v20, 2, v1
	ds_read_b32 v21, v20 offset:6752
	ds_read_b32 v19, v19 offset:6760
	v_mov_b32_e32 v20, 0
	v_cmp_gt_u32_e64 s[12:13], 2, v5
	s_waitcnt lgkmcnt(0)
	v_fma_f32 v19, v21, v19, 0
	s_and_saveexec_b64 s[16:17], s[12:13]
	s_cbranch_execz .LBB101_719
; %bb.718:
	v_lshlrev_b32_e32 v21, 2, v0
	ds_read_b32 v21, v21 offset:7008
	ds_read_b32 v20, v20 offset:7020
	s_waitcnt lgkmcnt(0)
	v_fmac_f32_e32 v19, v21, v20
.LBB101_719:
	s_or_b64 exec, exec, s[16:17]
.LBB101_720:
	s_or_b64 exec, exec, s[14:15]
	s_and_saveexec_b64 s[12:13], s[38:39]
	s_cbranch_execz .LBB101_722
; %bb.721:
	v_mov_b32_e32 v20, 0
	ds_read_b32 v20, v20 offset:6500
	s_waitcnt lgkmcnt(0)
	v_mul_f32_e32 v19, v19, v20
	v_xor_b32_e32 v20, 0x80000000, v19
	ds_write_b32 v4, v20
.LBB101_722:
	s_or_b64 exec, exec, s[12:13]
	s_waitcnt lgkmcnt(0)
	s_barrier
	s_and_saveexec_b64 s[12:13], s[36:37]
	s_cbranch_execz .LBB101_724
; %bb.723:
	v_mov_b32_e32 v20, 0
	ds_read_b32 v20, v20 offset:6496
	ds_read_b32 v21, v4
	s_waitcnt lgkmcnt(0)
	v_fma_f32 v19, -v20, v21, v19
.LBB101_724:
	s_or_b64 exec, exec, s[12:13]
	s_barrier
	s_and_saveexec_b64 s[12:13], s[36:37]
	s_cbranch_execz .LBB101_726
; %bb.725:
	v_mov_b32_e32 v20, 0
	ds_read_b32 v20, v20 offset:6240
	s_waitcnt lgkmcnt(0)
	v_mul_f32_e32 v19, v19, v20
	v_xor_b32_e32 v20, 0x80000000, v19
	ds_write_b32 v4, v20
.LBB101_726:
	s_or_b64 exec, exec, s[12:13]
	s_waitcnt lgkmcnt(0)
	s_barrier
	s_barrier
	s_and_saveexec_b64 s[12:13], s[2:3]
; %bb.727:
	v_lshlrev_b32_e32 v20, 2, v1
	v_lshl_or_b32 v20, v3, 8, v20
	ds_write_b32 v20, v19 offset:6752
; %bb.728:
	s_or_b64 exec, exec, s[12:13]
	s_waitcnt lgkmcnt(0)
	s_barrier
	s_barrier
	s_and_saveexec_b64 s[12:13], s[40:41]
	s_cbranch_execz .LBB101_730
; %bb.729:
	v_lshlrev_b32_e32 v19, 2, v0
	s_movk_i32 s14, 0xfc
	v_mad_u32_u24 v20, v0, s14, v19
	ds_read_b32 v21, v20 offset:6752
	s_waitcnt lgkmcnt(0)
	ds_write_b32 v19, v21 offset:6248
	ds_read_b32 v20, v20 offset:6756
	s_waitcnt lgkmcnt(0)
	ds_write_b32 v19, v20 offset:6504
.LBB101_730:
	s_or_b64 exec, exec, s[12:13]
	s_waitcnt lgkmcnt(0)
	s_barrier
	s_and_saveexec_b64 s[12:13], vcc
	s_cbranch_execz .LBB101_732
; %bb.731:
	v_mov_b32_e32 v21, 0
	ds_read_b64 v[19:20], v21 offset:6496
	ds_read_b32 v21, v21 offset:6240
	s_movk_i32 s14, 0x1800
	s_waitcnt lgkmcnt(0)
	v_mul_f32_e32 v20, v21, v20
	v_mul_f32_e32 v19, v19, v20
	v_add_u32_e64 v20, s14, 0
	ds_write2_b32 v20, v19, v19 offset0:25 offset1:88
.LBB101_732:
	s_or_b64 exec, exec, s[12:13]
	v_mov_b32_e32 v19, 0
	s_waitcnt lgkmcnt(0)
	s_barrier
	buffer_wbinvl1_vol
	s_and_saveexec_b64 s[14:15], s[8:9]
	s_cbranch_execz .LBB101_742
; %bb.733:
	v_lshlrev_b32_e32 v21, 2, v13
	v_lshlrev_b32_e32 v20, 8, v14
	ds_read_b32 v19, v21 offset:6208
	ds_read_b32 v22, v20 offset:6240
	v_cmp_gt_u32_e64 s[12:13], 56, v5
	s_waitcnt lgkmcnt(0)
	v_fma_f32 v19, v19, v22, 0
	s_and_saveexec_b64 s[16:17], s[12:13]
	s_cbranch_execnz .LBB101_1234
; %bb.734:
	s_or_b64 exec, exec, s[16:17]
	v_cmp_gt_u32_e64 s[12:13], 48, v5
	s_and_saveexec_b64 s[16:17], s[12:13]
	s_cbranch_execnz .LBB101_1235
.LBB101_735:
	s_or_b64 exec, exec, s[16:17]
	v_cmp_gt_u32_e64 s[12:13], 40, v5
	s_and_saveexec_b64 s[16:17], s[12:13]
	s_cbranch_execnz .LBB101_1236
.LBB101_736:
	s_or_b64 exec, exec, s[16:17]
	v_cmp_gt_u32_e64 s[12:13], 32, v5
	s_and_saveexec_b64 s[16:17], s[12:13]
	s_cbranch_execnz .LBB101_1237
.LBB101_737:
	s_or_b64 exec, exec, s[16:17]
	v_cmp_gt_u32_e64 s[12:13], 24, v5
	s_and_saveexec_b64 s[16:17], s[12:13]
	s_cbranch_execnz .LBB101_1238
.LBB101_738:
	s_or_b64 exec, exec, s[16:17]
	s_and_saveexec_b64 s[12:13], s[18:19]
	s_cbranch_execnz .LBB101_1239
.LBB101_739:
	s_or_b64 exec, exec, s[12:13]
	v_cmp_gt_u32_e64 s[12:13], 8, v5
	s_and_saveexec_b64 s[16:17], s[12:13]
	s_cbranch_execz .LBB101_741
.LBB101_740:
	v_lshlrev_b32_e32 v20, 2, v0
	v_mov_b32_e32 v21, 0
	ds_read_b32 v20, v20 offset:8000
	ds_read_b32 v21, v21 offset:8060
	s_waitcnt lgkmcnt(0)
	v_fmac_f32_e32 v19, v20, v21
.LBB101_741:
	s_or_b64 exec, exec, s[16:17]
.LBB101_742:
	s_or_b64 exec, exec, s[14:15]
	s_and_saveexec_b64 s[12:13], s[56:57]
	s_cbranch_execz .LBB101_744
; %bb.743:
	v_mov_b32_e32 v20, 0
	ds_read_b32 v20, v20 offset:5980
	s_waitcnt lgkmcnt(0)
	v_mul_f32_e32 v19, v19, v20
	v_xor_b32_e32 v20, 0x80000000, v19
	ds_write_b32 v15, v20
.LBB101_744:
	s_or_b64 exec, exec, s[12:13]
	s_waitcnt lgkmcnt(0)
	s_barrier
	s_and_saveexec_b64 s[12:13], s[58:59]
	s_cbranch_execz .LBB101_746
; %bb.745:
	v_lshlrev_b32_e32 v20, 2, v13
	ds_read_b32 v20, v20 offset:5952
	ds_read_b32 v21, v15
	s_waitcnt lgkmcnt(0)
	v_fma_f32 v19, -v20, v21, v19
.LBB101_746:
	s_or_b64 exec, exec, s[12:13]
	s_barrier
	s_and_saveexec_b64 s[12:13], s[60:61]
	s_cbranch_execz .LBB101_748
; %bb.747:
	v_mov_b32_e32 v20, 0
	ds_read_b32 v20, v20 offset:5720
	s_waitcnt lgkmcnt(0)
	v_mul_f32_e32 v19, v19, v20
	v_xor_b32_e32 v20, 0x80000000, v19
	ds_write_b32 v15, v20
.LBB101_748:
	s_or_b64 exec, exec, s[12:13]
	s_waitcnt lgkmcnt(0)
	s_barrier
	s_and_saveexec_b64 s[12:13], s[62:63]
	s_cbranch_execz .LBB101_750
; %bb.749:
	v_lshlrev_b32_e32 v20, 2, v13
	ds_read_b32 v20, v20 offset:5696
	ds_read_b32 v21, v15
	s_waitcnt lgkmcnt(0)
	v_fma_f32 v19, -v20, v21, v19
.LBB101_750:
	s_or_b64 exec, exec, s[12:13]
	s_barrier
	;; [unrolled: 24-line block ×6, first 2 shown]
	s_and_saveexec_b64 s[12:13], s[82:83]
	s_cbranch_execz .LBB101_768
; %bb.767:
	v_mov_b32_e32 v20, 0
	ds_read_b32 v20, v20 offset:4420
	s_waitcnt lgkmcnt(0)
	v_mul_f32_e32 v19, v19, v20
	v_xor_b32_e32 v20, 0x80000000, v19
	ds_write_b32 v15, v20
.LBB101_768:
	s_or_b64 exec, exec, s[12:13]
	s_waitcnt lgkmcnt(0)
	s_barrier
	s_and_saveexec_b64 s[12:13], s[66:67]
	s_cbranch_execz .LBB101_770
; %bb.769:
	v_mov_b32_e32 v20, 0
	ds_read_b32 v20, v20 offset:4416
	ds_read_b32 v21, v15
	s_waitcnt lgkmcnt(0)
	v_fma_f32 v19, -v20, v21, v19
.LBB101_770:
	s_or_b64 exec, exec, s[12:13]
	s_barrier
	s_and_saveexec_b64 s[12:13], s[66:67]
	s_cbranch_execz .LBB101_772
; %bb.771:
	v_mov_b32_e32 v20, 0
	ds_read_b32 v20, v20 offset:4160
	s_waitcnt lgkmcnt(0)
	v_mul_f32_e32 v19, v19, v20
	v_xor_b32_e32 v20, 0x80000000, v19
	ds_write_b32 v15, v20
.LBB101_772:
	s_or_b64 exec, exec, s[12:13]
	s_waitcnt lgkmcnt(0)
	s_barrier
	s_barrier
	s_and_saveexec_b64 s[12:13], s[8:9]
; %bb.773:
	v_lshlrev_b32_e32 v20, 2, v13
	v_lshl_or_b32 v20, v14, 8, v20
	ds_write_b32 v20, v19 offset:6208
; %bb.774:
	s_or_b64 exec, exec, s[12:13]
	s_waitcnt lgkmcnt(0)
	s_barrier
	s_barrier
	s_and_saveexec_b64 s[12:13], s[84:85]
	s_cbranch_execz .LBB101_776
; %bb.775:
	v_lshlrev_b32_e32 v19, 8, v0
	ds_read_b32 v20, v19 offset:6208
	s_movk_i32 s14, 0xff04
	v_mad_i32_i24 v21, v0, s14, v19
	s_waitcnt lgkmcnt(0)
	ds_write_b32 v21, v20 offset:4192
	ds_read_b32 v20, v19 offset:6212
	s_waitcnt lgkmcnt(0)
	ds_write_b32 v21, v20 offset:4448
	ds_read_b32 v20, v19 offset:6216
	;; [unrolled: 3-line block ×7, first 2 shown]
	s_waitcnt lgkmcnt(0)
	ds_write_b32 v21, v19 offset:5984
.LBB101_776:
	s_or_b64 exec, exec, s[12:13]
	s_waitcnt lgkmcnt(0)
	s_barrier
	s_and_saveexec_b64 s[12:13], vcc
	s_cbranch_execz .LBB101_778
; %bb.777:
	v_mov_b32_e32 v21, 0
	ds_read_b64 v[19:20], v21 offset:5976
	ds_read_b32 v21, v21 offset:5720
	s_movk_i32 s14, 0x1400
	s_waitcnt lgkmcnt(0)
	v_mul_f32_e32 v20, v21, v20
	v_mul_f32_e32 v19, v19, v20
	v_add_u32_e64 v20, s14, 0
	ds_write2_b32 v20, v19, v19 offset0:151 offset1:214
.LBB101_778:
	s_or_b64 exec, exec, s[12:13]
	v_mov_b32_e32 v19, 0
	s_waitcnt lgkmcnt(0)
	s_barrier
	buffer_wbinvl1_vol
	s_and_saveexec_b64 s[14:15], s[2:3]
	s_cbranch_execz .LBB101_782
; %bb.779:
	v_lshlrev_b32_e32 v19, 8, v3
	v_lshlrev_b32_e32 v20, 2, v1
	ds_read_b32 v21, v20 offset:5712
	ds_read_b32 v19, v19 offset:5720
	v_mov_b32_e32 v20, 0
	v_cmp_gt_u32_e64 s[12:13], 2, v5
	s_waitcnt lgkmcnt(0)
	v_fma_f32 v19, v21, v19, 0
	s_and_saveexec_b64 s[16:17], s[12:13]
	s_cbranch_execz .LBB101_781
; %bb.780:
	v_lshlrev_b32_e32 v21, 2, v0
	ds_read_b32 v21, v21 offset:5968
	ds_read_b32 v20, v20 offset:5980
	s_waitcnt lgkmcnt(0)
	v_fmac_f32_e32 v19, v21, v20
.LBB101_781:
	s_or_b64 exec, exec, s[16:17]
.LBB101_782:
	s_or_b64 exec, exec, s[14:15]
	s_and_saveexec_b64 s[12:13], s[38:39]
	s_cbranch_execz .LBB101_784
; %bb.783:
	v_mov_b32_e32 v20, 0
	ds_read_b32 v20, v20 offset:5460
	s_waitcnt lgkmcnt(0)
	v_mul_f32_e32 v19, v19, v20
	v_xor_b32_e32 v20, 0x80000000, v19
	ds_write_b32 v4, v20
.LBB101_784:
	s_or_b64 exec, exec, s[12:13]
	s_waitcnt lgkmcnt(0)
	s_barrier
	s_and_saveexec_b64 s[12:13], s[36:37]
	s_cbranch_execz .LBB101_786
; %bb.785:
	v_mov_b32_e32 v20, 0
	ds_read_b32 v20, v20 offset:5456
	ds_read_b32 v21, v4
	s_waitcnt lgkmcnt(0)
	v_fma_f32 v19, -v20, v21, v19
.LBB101_786:
	s_or_b64 exec, exec, s[12:13]
	s_barrier
	s_and_saveexec_b64 s[12:13], s[36:37]
	s_cbranch_execz .LBB101_788
; %bb.787:
	v_mov_b32_e32 v20, 0
	ds_read_b32 v20, v20 offset:5200
	s_waitcnt lgkmcnt(0)
	v_mul_f32_e32 v19, v19, v20
	v_xor_b32_e32 v20, 0x80000000, v19
	ds_write_b32 v4, v20
.LBB101_788:
	s_or_b64 exec, exec, s[12:13]
	s_waitcnt lgkmcnt(0)
	s_barrier
	s_barrier
	s_and_saveexec_b64 s[12:13], s[2:3]
; %bb.789:
	v_lshlrev_b32_e32 v20, 2, v1
	v_lshl_or_b32 v20, v3, 8, v20
	ds_write_b32 v20, v19 offset:5712
; %bb.790:
	s_or_b64 exec, exec, s[12:13]
	s_waitcnt lgkmcnt(0)
	s_barrier
	s_barrier
	s_and_saveexec_b64 s[12:13], s[40:41]
	s_cbranch_execz .LBB101_792
; %bb.791:
	v_lshlrev_b32_e32 v19, 2, v0
	s_movk_i32 s14, 0xfc
	v_mad_u32_u24 v20, v0, s14, v19
	ds_read_b32 v21, v20 offset:5712
	s_waitcnt lgkmcnt(0)
	ds_write_b32 v19, v21 offset:5208
	ds_read_b32 v20, v20 offset:5716
	s_waitcnt lgkmcnt(0)
	ds_write_b32 v19, v20 offset:5464
.LBB101_792:
	s_or_b64 exec, exec, s[12:13]
	s_waitcnt lgkmcnt(0)
	s_barrier
	s_and_saveexec_b64 s[12:13], vcc
	s_cbranch_execz .LBB101_794
; %bb.793:
	v_mov_b32_e32 v21, 0
	ds_read_b64 v[19:20], v21 offset:5456
	ds_read_b32 v21, v21 offset:5200
	s_movk_i32 s14, 0x1400
	s_waitcnt lgkmcnt(0)
	v_mul_f32_e32 v20, v21, v20
	v_mul_f32_e32 v19, v19, v20
	v_add_u32_e64 v20, s14, 0
	ds_write2_b32 v20, v19, v19 offset0:21 offset1:84
.LBB101_794:
	s_or_b64 exec, exec, s[12:13]
	v_mov_b32_e32 v19, 0
	s_waitcnt lgkmcnt(0)
	s_barrier
	buffer_wbinvl1_vol
	s_and_saveexec_b64 s[14:15], s[18:19]
	s_cbranch_execz .LBB101_800
; %bb.795:
	v_lshlrev_b32_e32 v21, 2, v6
	v_lshlrev_b32_e32 v20, 8, v11
	ds_read_b32 v19, v21 offset:5184
	ds_read_b32 v22, v20 offset:5200
	v_cmp_gt_u32_e64 s[12:13], 12, v5
	s_waitcnt lgkmcnt(0)
	v_fma_f32 v19, v19, v22, 0
	s_and_saveexec_b64 s[16:17], s[12:13]
	s_cbranch_execnz .LBB101_1240
; %bb.796:
	s_or_b64 exec, exec, s[16:17]
	v_cmp_gt_u32_e64 s[12:13], 8, v5
	s_and_saveexec_b64 s[16:17], s[12:13]
	s_cbranch_execnz .LBB101_1241
.LBB101_797:
	s_or_b64 exec, exec, s[16:17]
	v_cmp_gt_u32_e64 s[12:13], 4, v5
	s_and_saveexec_b64 s[16:17], s[12:13]
	s_cbranch_execz .LBB101_799
.LBB101_798:
	v_lshlrev_b32_e32 v20, 2, v0
	v_mov_b32_e32 v21, 0
	ds_read_b32 v20, v20 offset:5952
	ds_read_b32 v21, v21 offset:5980
	s_waitcnt lgkmcnt(0)
	v_fmac_f32_e32 v19, v20, v21
.LBB101_799:
	s_or_b64 exec, exec, s[16:17]
.LBB101_800:
	s_or_b64 exec, exec, s[14:15]
	s_and_saveexec_b64 s[12:13], s[44:45]
	s_cbranch_execz .LBB101_802
; %bb.801:
	v_mov_b32_e32 v20, 0
	ds_read_b32 v20, v20 offset:4940
	s_waitcnt lgkmcnt(0)
	v_mul_f32_e32 v19, v19, v20
	v_xor_b32_e32 v20, 0x80000000, v19
	ds_write_b32 v12, v20
.LBB101_802:
	s_or_b64 exec, exec, s[12:13]
	s_waitcnt lgkmcnt(0)
	s_barrier
	s_and_saveexec_b64 s[12:13], s[46:47]
	s_cbranch_execz .LBB101_804
; %bb.803:
	v_lshlrev_b32_e32 v20, 2, v6
	ds_read_b32 v20, v20 offset:4928
	ds_read_b32 v21, v12
	s_waitcnt lgkmcnt(0)
	v_fma_f32 v19, -v20, v21, v19
.LBB101_804:
	s_or_b64 exec, exec, s[12:13]
	s_barrier
	s_and_saveexec_b64 s[12:13], s[48:49]
	s_cbranch_execz .LBB101_806
; %bb.805:
	v_mov_b32_e32 v20, 0
	ds_read_b32 v20, v20 offset:4680
	s_waitcnt lgkmcnt(0)
	v_mul_f32_e32 v19, v19, v20
	v_xor_b32_e32 v20, 0x80000000, v19
	ds_write_b32 v12, v20
.LBB101_806:
	s_or_b64 exec, exec, s[12:13]
	s_waitcnt lgkmcnt(0)
	s_barrier
	s_and_saveexec_b64 s[12:13], s[50:51]
	s_cbranch_execz .LBB101_808
; %bb.807:
	v_lshlrev_b32_e32 v20, 2, v6
	ds_read_b32 v20, v20 offset:4672
	ds_read_b32 v21, v12
	s_waitcnt lgkmcnt(0)
	v_fma_f32 v19, -v20, v21, v19
.LBB101_808:
	s_or_b64 exec, exec, s[12:13]
	s_barrier
	s_and_saveexec_b64 s[12:13], s[52:53]
	s_cbranch_execz .LBB101_810
; %bb.809:
	v_mov_b32_e32 v20, 0
	ds_read_b32 v20, v20 offset:4420
	s_waitcnt lgkmcnt(0)
	v_mul_f32_e32 v19, v19, v20
	v_xor_b32_e32 v20, 0x80000000, v19
	ds_write_b32 v12, v20
.LBB101_810:
	s_or_b64 exec, exec, s[12:13]
	s_waitcnt lgkmcnt(0)
	s_barrier
	s_and_saveexec_b64 s[12:13], s[42:43]
	s_cbranch_execz .LBB101_812
; %bb.811:
	v_mov_b32_e32 v20, 0
	ds_read_b32 v20, v20 offset:4416
	ds_read_b32 v21, v12
	s_waitcnt lgkmcnt(0)
	v_fma_f32 v19, -v20, v21, v19
.LBB101_812:
	s_or_b64 exec, exec, s[12:13]
	s_barrier
	s_and_saveexec_b64 s[12:13], s[42:43]
	s_cbranch_execz .LBB101_814
; %bb.813:
	v_mov_b32_e32 v20, 0
	ds_read_b32 v20, v20 offset:4160
	s_waitcnt lgkmcnt(0)
	v_mul_f32_e32 v19, v19, v20
	v_xor_b32_e32 v20, 0x80000000, v19
	ds_write_b32 v12, v20
.LBB101_814:
	s_or_b64 exec, exec, s[12:13]
	s_waitcnt lgkmcnt(0)
	s_barrier
	s_barrier
	s_and_saveexec_b64 s[12:13], s[18:19]
; %bb.815:
	v_lshlrev_b32_e32 v20, 2, v6
	v_lshl_or_b32 v20, v11, 8, v20
	ds_write_b32 v20, v19 offset:5184
; %bb.816:
	s_or_b64 exec, exec, s[12:13]
	s_waitcnt lgkmcnt(0)
	s_barrier
	s_barrier
	s_and_saveexec_b64 s[12:13], s[54:55]
	s_cbranch_execz .LBB101_818
; %bb.817:
	v_lshlrev_b32_e32 v19, 8, v0
	ds_read_b32 v20, v19 offset:5184
	s_movk_i32 s14, 0xff04
	v_mad_i32_i24 v21, v0, s14, v19
	s_waitcnt lgkmcnt(0)
	ds_write_b32 v21, v20 offset:4176
	ds_read_b32 v20, v19 offset:5188
	s_waitcnt lgkmcnt(0)
	ds_write_b32 v21, v20 offset:4432
	ds_read_b32 v20, v19 offset:5192
	;; [unrolled: 3-line block ×3, first 2 shown]
	s_waitcnt lgkmcnt(0)
	ds_write_b32 v21, v19 offset:4944
.LBB101_818:
	s_or_b64 exec, exec, s[12:13]
	s_waitcnt lgkmcnt(0)
	s_barrier
	s_and_saveexec_b64 s[12:13], vcc
	s_cbranch_execz .LBB101_820
; %bb.819:
	v_mov_b32_e32 v21, 0
	ds_read_b64 v[19:20], v21 offset:4936
	ds_read_b32 v21, v21 offset:4680
	s_movk_i32 s14, 0x1000
	s_waitcnt lgkmcnt(0)
	v_mul_f32_e32 v20, v21, v20
	v_mul_f32_e32 v19, v19, v20
	v_add_u32_e64 v20, s14, 0
	ds_write2_b32 v20, v19, v19 offset0:147 offset1:210
.LBB101_820:
	s_or_b64 exec, exec, s[12:13]
	v_mov_b32_e32 v19, 0
	s_waitcnt lgkmcnt(0)
	s_barrier
	buffer_wbinvl1_vol
	s_and_saveexec_b64 s[14:15], s[2:3]
	s_cbranch_execz .LBB101_824
; %bb.821:
	v_lshlrev_b32_e32 v19, 8, v3
	v_lshlrev_b32_e32 v20, 2, v1
	ds_read_b32 v21, v20 offset:4672
	ds_read_b32 v19, v19 offset:4680
	v_mov_b32_e32 v20, 0
	v_cmp_gt_u32_e64 s[12:13], 2, v5
	s_waitcnt lgkmcnt(0)
	v_fma_f32 v19, v21, v19, 0
	s_and_saveexec_b64 s[16:17], s[12:13]
	s_cbranch_execz .LBB101_823
; %bb.822:
	v_lshlrev_b32_e32 v21, 2, v0
	ds_read_b32 v21, v21 offset:4928
	ds_read_b32 v20, v20 offset:4940
	s_waitcnt lgkmcnt(0)
	v_fmac_f32_e32 v19, v21, v20
.LBB101_823:
	s_or_b64 exec, exec, s[16:17]
.LBB101_824:
	s_or_b64 exec, exec, s[14:15]
	s_and_saveexec_b64 s[12:13], s[38:39]
	s_cbranch_execz .LBB101_826
; %bb.825:
	v_mov_b32_e32 v20, 0
	ds_read_b32 v20, v20 offset:4420
	s_waitcnt lgkmcnt(0)
	v_mul_f32_e32 v19, v19, v20
	v_xor_b32_e32 v20, 0x80000000, v19
	ds_write_b32 v4, v20
.LBB101_826:
	s_or_b64 exec, exec, s[12:13]
	s_waitcnt lgkmcnt(0)
	s_barrier
	s_and_saveexec_b64 s[12:13], s[36:37]
	s_cbranch_execz .LBB101_828
; %bb.827:
	v_mov_b32_e32 v20, 0
	ds_read_b32 v20, v20 offset:4416
	ds_read_b32 v21, v4
	s_waitcnt lgkmcnt(0)
	v_fma_f32 v19, -v20, v21, v19
.LBB101_828:
	s_or_b64 exec, exec, s[12:13]
	s_barrier
	s_and_saveexec_b64 s[12:13], s[36:37]
	s_cbranch_execz .LBB101_830
; %bb.829:
	v_mov_b32_e32 v20, 0
	ds_read_b32 v20, v20 offset:4160
	s_waitcnt lgkmcnt(0)
	v_mul_f32_e32 v19, v19, v20
	v_xor_b32_e32 v20, 0x80000000, v19
	ds_write_b32 v4, v20
.LBB101_830:
	s_or_b64 exec, exec, s[12:13]
	s_waitcnt lgkmcnt(0)
	s_barrier
	s_barrier
	s_and_saveexec_b64 s[12:13], s[2:3]
; %bb.831:
	v_lshlrev_b32_e32 v20, 2, v1
	v_lshl_or_b32 v20, v3, 8, v20
	ds_write_b32 v20, v19 offset:4672
; %bb.832:
	s_or_b64 exec, exec, s[12:13]
	s_waitcnt lgkmcnt(0)
	s_barrier
	s_barrier
	s_and_saveexec_b64 s[12:13], s[40:41]
	s_cbranch_execz .LBB101_834
; %bb.833:
	v_lshlrev_b32_e32 v19, 2, v0
	s_movk_i32 s14, 0xfc
	v_mad_u32_u24 v20, v0, s14, v19
	ds_read_b32 v21, v20 offset:4672
	s_waitcnt lgkmcnt(0)
	ds_write_b32 v19, v21 offset:4168
	ds_read_b32 v20, v20 offset:4676
	s_waitcnt lgkmcnt(0)
	ds_write_b32 v19, v20 offset:4424
.LBB101_834:
	s_or_b64 exec, exec, s[12:13]
	s_waitcnt lgkmcnt(0)
	s_barrier
	s_and_saveexec_b64 s[12:13], vcc
	s_cbranch_execz .LBB101_836
; %bb.835:
	v_mov_b32_e32 v21, 0
	ds_read_b64 v[19:20], v21 offset:4416
	ds_read_b32 v21, v21 offset:4160
	s_movk_i32 s14, 0x1000
	s_waitcnt lgkmcnt(0)
	v_mul_f32_e32 v20, v21, v20
	v_mul_f32_e32 v19, v19, v20
	v_add_u32_e64 v20, s14, 0
	ds_write2_b32 v20, v19, v19 offset0:17 offset1:80
.LBB101_836:
	s_or_b64 exec, exec, s[12:13]
	v_mov_b32_e32 v19, 0
	s_waitcnt lgkmcnt(0)
	s_barrier
	buffer_wbinvl1_vol
	s_and_saveexec_b64 s[14:15], s[10:11]
	s_cbranch_execz .LBB101_864
; %bb.837:
	v_lshlrev_b32_e32 v21, 2, v16
	v_lshlrev_b32_e32 v20, 8, v17
	ds_read_b32 v19, v21 offset:4096
	ds_read_b32 v22, v20 offset:4160
	s_movk_i32 s12, 0xf0
	v_cmp_gt_u32_e64 s[12:13], s12, v5
	s_waitcnt lgkmcnt(0)
	v_fma_f32 v19, v19, v22, 0
	s_and_saveexec_b64 s[16:17], s[12:13]
	s_cbranch_execz .LBB101_839
; %bb.838:
	ds_read_b32 v22, v21 offset:4352
	ds_read_b32 v23, v20 offset:4164
	s_waitcnt lgkmcnt(0)
	v_fmac_f32_e32 v19, v22, v23
.LBB101_839:
	s_or_b64 exec, exec, s[16:17]
	s_movk_i32 s12, 0xe0
	v_cmp_gt_u32_e64 s[12:13], s12, v5
	s_and_saveexec_b64 s[16:17], s[12:13]
	s_cbranch_execz .LBB101_841
; %bb.840:
	ds_read_b32 v22, v21 offset:4608
	ds_read_b32 v23, v20 offset:4168
	s_waitcnt lgkmcnt(0)
	v_fmac_f32_e32 v19, v22, v23
.LBB101_841:
	s_or_b64 exec, exec, s[16:17]
	s_movk_i32 s12, 0xd0
	v_cmp_gt_u32_e64 s[12:13], s12, v5
	;; [unrolled: 11-line block ×10, first 2 shown]
	s_and_saveexec_b64 s[16:17], s[12:13]
	s_cbranch_execnz .LBB101_1242
; %bb.858:
	s_or_b64 exec, exec, s[16:17]
	s_and_saveexec_b64 s[12:13], s[8:9]
	s_cbranch_execnz .LBB101_1243
.LBB101_859:
	s_or_b64 exec, exec, s[12:13]
	v_cmp_gt_u32_e64 s[12:13], 48, v5
	s_and_saveexec_b64 s[16:17], s[12:13]
	s_cbranch_execnz .LBB101_1244
.LBB101_860:
	s_or_b64 exec, exec, s[16:17]
	v_cmp_gt_u32_e64 s[12:13], 32, v5
	s_and_saveexec_b64 s[16:17], s[12:13]
	s_cbranch_execnz .LBB101_1245
.LBB101_861:
	s_or_b64 exec, exec, s[16:17]
	v_cmp_gt_u32_e64 s[12:13], 16, v5
	s_and_saveexec_b64 s[16:17], s[12:13]
	s_cbranch_execz .LBB101_863
.LBB101_862:
	v_lshlrev_b32_e32 v20, 2, v0
	v_mov_b32_e32 v21, 0
	ds_read_b32 v20, v20 offset:7936
	ds_read_b32 v21, v21 offset:8060
	s_waitcnt lgkmcnt(0)
	v_fmac_f32_e32 v19, v20, v21
.LBB101_863:
	s_or_b64 exec, exec, s[16:17]
.LBB101_864:
	s_or_b64 exec, exec, s[14:15]
	s_mov_b64 s[12:13], exec
	v_readlane_b32 s14, v27, 4
	v_readlane_b32 s15, v27, 5
	s_and_b64 s[14:15], s[12:13], s[14:15]
	s_mov_b64 exec, s[14:15]
	s_cbranch_execz .LBB101_866
; %bb.865:
	v_mov_b32_e32 v20, 0
	ds_read_b32 v20, v20 offset:3900
	s_waitcnt lgkmcnt(0)
	v_mul_f32_e32 v19, v19, v20
	v_xor_b32_e32 v20, 0x80000000, v19
	ds_write_b32 v18, v20
.LBB101_866:
	s_or_b64 exec, exec, s[12:13]
	s_waitcnt lgkmcnt(0)
	s_barrier
	s_mov_b64 s[12:13], exec
	v_readlane_b32 s14, v27, 6
	v_readlane_b32 s15, v27, 7
	s_and_b64 s[14:15], s[12:13], s[14:15]
	s_mov_b64 exec, s[14:15]
	s_cbranch_execz .LBB101_868
; %bb.867:
	v_lshlrev_b32_e32 v20, 2, v16
	ds_read_b32 v20, v20 offset:3840
	ds_read_b32 v21, v18
	s_waitcnt lgkmcnt(0)
	v_fma_f32 v19, -v20, v21, v19
.LBB101_868:
	s_or_b64 exec, exec, s[12:13]
	s_barrier
	s_mov_b64 s[12:13], exec
	v_readlane_b32 s14, v27, 8
	v_readlane_b32 s15, v27, 9
	s_and_b64 s[14:15], s[12:13], s[14:15]
	s_mov_b64 exec, s[14:15]
	s_cbranch_execz .LBB101_870
; %bb.869:
	v_mov_b32_e32 v20, 0
	ds_read_b32 v20, v20 offset:3640
	s_waitcnt lgkmcnt(0)
	v_mul_f32_e32 v19, v19, v20
	v_xor_b32_e32 v20, 0x80000000, v19
	ds_write_b32 v18, v20
.LBB101_870:
	s_or_b64 exec, exec, s[12:13]
	s_waitcnt lgkmcnt(0)
	s_barrier
	s_mov_b64 s[12:13], exec
	v_readlane_b32 s14, v27, 10
	v_readlane_b32 s15, v27, 11
	s_and_b64 s[14:15], s[12:13], s[14:15]
	s_mov_b64 exec, s[14:15]
	s_cbranch_execz .LBB101_872
; %bb.871:
	v_lshlrev_b32_e32 v20, 2, v16
	ds_read_b32 v20, v20 offset:3584
	ds_read_b32 v21, v18
	s_waitcnt lgkmcnt(0)
	v_fma_f32 v19, -v20, v21, v19
.LBB101_872:
	s_or_b64 exec, exec, s[12:13]
	s_barrier
	;; [unrolled: 32-line block ×13, first 2 shown]
	s_mov_b64 s[12:13], exec
	v_readlane_b32 s14, v27, 56
	v_readlane_b32 s15, v27, 57
	s_and_b64 s[14:15], s[12:13], s[14:15]
	s_mov_b64 exec, s[14:15]
	s_cbranch_execz .LBB101_918
; %bb.917:
	v_mov_b32_e32 v20, 0
	ds_read_b32 v20, v20 offset:520
	s_waitcnt lgkmcnt(0)
	v_mul_f32_e32 v19, v19, v20
	v_xor_b32_e32 v20, 0x80000000, v19
	ds_write_b32 v18, v20
.LBB101_918:
	s_or_b64 exec, exec, s[12:13]
	s_waitcnt lgkmcnt(0)
	s_barrier
	s_and_saveexec_b64 s[12:13], s[0:1]
	s_cbranch_execz .LBB101_920
; %bb.919:
	v_lshlrev_b32_e32 v20, 2, v16
	ds_read_b32 v20, v20 offset:512
	ds_read_b32 v21, v18
	s_waitcnt lgkmcnt(0)
	v_fma_f32 v19, -v20, v21, v19
.LBB101_920:
	s_or_b64 exec, exec, s[12:13]
	s_barrier
	s_mov_b64 s[0:1], exec
	v_readlane_b32 s12, v27, 58
	v_readlane_b32 s13, v27, 59
	s_and_b64 s[12:13], s[0:1], s[12:13]
	s_mov_b64 exec, s[12:13]
	s_cbranch_execz .LBB101_922
; %bb.921:
	v_mov_b32_e32 v20, 0
	ds_read_b32 v20, v20 offset:260
	s_waitcnt lgkmcnt(0)
	v_mul_f32_e32 v19, v19, v20
	v_xor_b32_e32 v20, 0x80000000, v19
	ds_write_b32 v18, v20
.LBB101_922:
	s_or_b64 exec, exec, s[0:1]
	s_waitcnt lgkmcnt(0)
	s_barrier
	s_and_saveexec_b64 s[0:1], s[92:93]
	s_cbranch_execz .LBB101_924
; %bb.923:
	v_mov_b32_e32 v20, 0
	ds_read_b32 v20, v20 offset:256
	ds_read_b32 v21, v18
	s_waitcnt lgkmcnt(0)
	v_fma_f32 v19, -v20, v21, v19
.LBB101_924:
	s_or_b64 exec, exec, s[0:1]
	s_barrier
	s_and_saveexec_b64 s[0:1], s[92:93]
	s_cbranch_execz .LBB101_926
; %bb.925:
	v_mov_b32_e32 v20, 0
	ds_read_b32 v20, v20
	s_waitcnt lgkmcnt(0)
	v_mul_f32_e32 v19, v19, v20
	v_xor_b32_e32 v20, 0x80000000, v19
	ds_write_b32 v18, v20
.LBB101_926:
	s_or_b64 exec, exec, s[0:1]
	s_waitcnt lgkmcnt(0)
	s_barrier
	s_barrier
	s_and_saveexec_b64 s[0:1], s[10:11]
; %bb.927:
	v_lshlrev_b32_e32 v16, 2, v16
	v_lshl_or_b32 v16, v17, 8, v16
	ds_write_b32 v16, v19 offset:4096
; %bb.928:
	s_or_b64 exec, exec, s[0:1]
	s_waitcnt lgkmcnt(0)
	s_barrier
	s_barrier
	s_mov_b64 s[0:1], exec
	v_readlane_b32 s10, v27, 60
	v_readlane_b32 s11, v27, 61
	s_and_b64 s[10:11], s[0:1], s[10:11]
	s_mov_b64 exec, s[10:11]
	s_cbranch_execz .LBB101_930
; %bb.929:
	v_lshlrev_b32_e32 v16, 8, v0
	ds_read_b32 v17, v16 offset:4096
	s_movk_i32 s10, 0xff04
	v_mad_i32_i24 v18, v0, s10, v16
	s_waitcnt lgkmcnt(0)
	ds_write_b32 v18, v17 offset:64
	ds_read_b32 v17, v16 offset:4100
	s_waitcnt lgkmcnt(0)
	ds_write_b32 v18, v17 offset:320
	ds_read_b32 v17, v16 offset:4104
	;; [unrolled: 3-line block ×15, first 2 shown]
	s_waitcnt lgkmcnt(0)
	ds_write_b32 v18, v16 offset:3904
.LBB101_930:
	s_or_b64 exec, exec, s[0:1]
	s_waitcnt lgkmcnt(0)
	s_barrier
	s_and_saveexec_b64 s[0:1], vcc
	s_cbranch_execz .LBB101_932
; %bb.931:
	v_mov_b32_e32 v18, 0
	ds_read_b64 v[16:17], v18 offset:3896
	ds_read_b32 v18, v18 offset:3640
	s_movk_i32 s10, 0xc00
	s_waitcnt lgkmcnt(0)
	v_mul_f32_e32 v17, v18, v17
	v_mul_f32_e32 v16, v16, v17
	v_add_u32_e64 v17, s10, 0
	ds_write2_b32 v17, v16, v16 offset0:143 offset1:206
.LBB101_932:
	s_or_b64 exec, exec, s[0:1]
	v_mov_b32_e32 v16, 0
	s_waitcnt lgkmcnt(0)
	s_barrier
	buffer_wbinvl1_vol
	s_and_saveexec_b64 s[0:1], s[2:3]
	s_cbranch_execz .LBB101_936
; %bb.933:
	v_lshlrev_b32_e32 v16, 8, v3
	v_lshlrev_b32_e32 v17, 2, v1
	ds_read_b32 v18, v17 offset:3632
	ds_read_b32 v16, v16 offset:3640
	v_mov_b32_e32 v17, 0
	v_cmp_gt_u32_e64 s[10:11], 2, v5
	s_waitcnt lgkmcnt(0)
	v_fma_f32 v16, v18, v16, 0
	s_and_saveexec_b64 s[12:13], s[10:11]
	s_cbranch_execz .LBB101_935
; %bb.934:
	v_lshlrev_b32_e32 v18, 2, v0
	ds_read_b32 v18, v18 offset:3888
	ds_read_b32 v17, v17 offset:3900
	s_waitcnt lgkmcnt(0)
	v_fmac_f32_e32 v16, v18, v17
.LBB101_935:
	s_or_b64 exec, exec, s[12:13]
.LBB101_936:
	s_or_b64 exec, exec, s[0:1]
	s_and_saveexec_b64 s[0:1], s[38:39]
	s_cbranch_execz .LBB101_938
; %bb.937:
	v_mov_b32_e32 v17, 0
	ds_read_b32 v17, v17 offset:3380
	s_waitcnt lgkmcnt(0)
	v_mul_f32_e32 v16, v16, v17
	v_xor_b32_e32 v17, 0x80000000, v16
	ds_write_b32 v4, v17
.LBB101_938:
	s_or_b64 exec, exec, s[0:1]
	s_waitcnt lgkmcnt(0)
	s_barrier
	s_and_saveexec_b64 s[0:1], s[36:37]
	s_cbranch_execz .LBB101_940
; %bb.939:
	v_mov_b32_e32 v17, 0
	ds_read_b32 v17, v17 offset:3376
	ds_read_b32 v18, v4
	s_waitcnt lgkmcnt(0)
	v_fma_f32 v16, -v17, v18, v16
.LBB101_940:
	s_or_b64 exec, exec, s[0:1]
	s_barrier
	s_and_saveexec_b64 s[0:1], s[36:37]
	s_cbranch_execz .LBB101_942
; %bb.941:
	v_mov_b32_e32 v17, 0
	ds_read_b32 v17, v17 offset:3120
	s_waitcnt lgkmcnt(0)
	v_mul_f32_e32 v16, v16, v17
	v_xor_b32_e32 v17, 0x80000000, v16
	ds_write_b32 v4, v17
.LBB101_942:
	s_or_b64 exec, exec, s[0:1]
	s_waitcnt lgkmcnt(0)
	s_barrier
	s_barrier
	s_and_saveexec_b64 s[0:1], s[2:3]
; %bb.943:
	v_lshlrev_b32_e32 v17, 2, v1
	v_lshl_or_b32 v17, v3, 8, v17
	ds_write_b32 v17, v16 offset:3632
; %bb.944:
	s_or_b64 exec, exec, s[0:1]
	s_waitcnt lgkmcnt(0)
	s_barrier
	s_barrier
	s_and_saveexec_b64 s[0:1], s[40:41]
	s_cbranch_execz .LBB101_946
; %bb.945:
	v_lshlrev_b32_e32 v16, 2, v0
	s_movk_i32 s10, 0xfc
	v_mad_u32_u24 v17, v0, s10, v16
	ds_read_b32 v18, v17 offset:3632
	s_waitcnt lgkmcnt(0)
	ds_write_b32 v16, v18 offset:3128
	ds_read_b32 v17, v17 offset:3636
	s_waitcnt lgkmcnt(0)
	ds_write_b32 v16, v17 offset:3384
.LBB101_946:
	s_or_b64 exec, exec, s[0:1]
	s_waitcnt lgkmcnt(0)
	s_barrier
	s_and_saveexec_b64 s[0:1], vcc
	s_cbranch_execz .LBB101_948
; %bb.947:
	v_mov_b32_e32 v18, 0
	ds_read_b64 v[16:17], v18 offset:3376
	ds_read_b32 v18, v18 offset:3120
	s_movk_i32 s10, 0xc00
	s_waitcnt lgkmcnt(0)
	v_mul_f32_e32 v17, v18, v17
	v_mul_f32_e32 v16, v16, v17
	v_add_u32_e64 v17, s10, 0
	ds_write2_b32 v17, v16, v16 offset0:13 offset1:76
.LBB101_948:
	s_or_b64 exec, exec, s[0:1]
	v_mov_b32_e32 v16, 0
	s_waitcnt lgkmcnt(0)
	s_barrier
	buffer_wbinvl1_vol
	s_and_saveexec_b64 s[0:1], s[18:19]
	s_cbranch_execz .LBB101_954
; %bb.949:
	v_lshlrev_b32_e32 v18, 2, v6
	v_lshlrev_b32_e32 v17, 8, v11
	ds_read_b32 v16, v18 offset:3104
	ds_read_b32 v19, v17 offset:3120
	v_cmp_gt_u32_e64 s[10:11], 12, v5
	s_waitcnt lgkmcnt(0)
	v_fma_f32 v16, v16, v19, 0
	s_and_saveexec_b64 s[12:13], s[10:11]
	s_cbranch_execnz .LBB101_1246
; %bb.950:
	s_or_b64 exec, exec, s[12:13]
	v_cmp_gt_u32_e64 s[10:11], 8, v5
	s_and_saveexec_b64 s[12:13], s[10:11]
	s_cbranch_execnz .LBB101_1247
.LBB101_951:
	s_or_b64 exec, exec, s[12:13]
	v_cmp_gt_u32_e64 s[10:11], 4, v5
	s_and_saveexec_b64 s[12:13], s[10:11]
	s_cbranch_execz .LBB101_953
.LBB101_952:
	v_lshlrev_b32_e32 v17, 2, v0
	v_mov_b32_e32 v18, 0
	ds_read_b32 v17, v17 offset:3872
	ds_read_b32 v18, v18 offset:3900
	s_waitcnt lgkmcnt(0)
	v_fmac_f32_e32 v16, v17, v18
.LBB101_953:
	s_or_b64 exec, exec, s[12:13]
.LBB101_954:
	s_or_b64 exec, exec, s[0:1]
	s_and_saveexec_b64 s[0:1], s[44:45]
	s_cbranch_execz .LBB101_956
; %bb.955:
	v_mov_b32_e32 v17, 0
	ds_read_b32 v17, v17 offset:2860
	s_waitcnt lgkmcnt(0)
	v_mul_f32_e32 v16, v16, v17
	v_xor_b32_e32 v17, 0x80000000, v16
	ds_write_b32 v12, v17
.LBB101_956:
	s_or_b64 exec, exec, s[0:1]
	s_waitcnt lgkmcnt(0)
	s_barrier
	s_and_saveexec_b64 s[0:1], s[46:47]
	s_cbranch_execz .LBB101_958
; %bb.957:
	v_lshlrev_b32_e32 v17, 2, v6
	ds_read_b32 v17, v17 offset:2848
	ds_read_b32 v18, v12
	s_waitcnt lgkmcnt(0)
	v_fma_f32 v16, -v17, v18, v16
.LBB101_958:
	s_or_b64 exec, exec, s[0:1]
	s_barrier
	s_and_saveexec_b64 s[0:1], s[48:49]
	s_cbranch_execz .LBB101_960
; %bb.959:
	v_mov_b32_e32 v17, 0
	ds_read_b32 v17, v17 offset:2600
	s_waitcnt lgkmcnt(0)
	v_mul_f32_e32 v16, v16, v17
	v_xor_b32_e32 v17, 0x80000000, v16
	ds_write_b32 v12, v17
.LBB101_960:
	s_or_b64 exec, exec, s[0:1]
	s_waitcnt lgkmcnt(0)
	s_barrier
	s_and_saveexec_b64 s[0:1], s[50:51]
	s_cbranch_execz .LBB101_962
; %bb.961:
	v_lshlrev_b32_e32 v17, 2, v6
	ds_read_b32 v17, v17 offset:2592
	ds_read_b32 v18, v12
	s_waitcnt lgkmcnt(0)
	v_fma_f32 v16, -v17, v18, v16
.LBB101_962:
	s_or_b64 exec, exec, s[0:1]
	s_barrier
	s_and_saveexec_b64 s[0:1], s[52:53]
	s_cbranch_execz .LBB101_964
; %bb.963:
	v_mov_b32_e32 v17, 0
	ds_read_b32 v17, v17 offset:2340
	s_waitcnt lgkmcnt(0)
	v_mul_f32_e32 v16, v16, v17
	v_xor_b32_e32 v17, 0x80000000, v16
	ds_write_b32 v12, v17
.LBB101_964:
	s_or_b64 exec, exec, s[0:1]
	s_waitcnt lgkmcnt(0)
	s_barrier
	s_and_saveexec_b64 s[0:1], s[42:43]
	s_cbranch_execz .LBB101_966
; %bb.965:
	v_mov_b32_e32 v17, 0
	ds_read_b32 v17, v17 offset:2336
	ds_read_b32 v18, v12
	s_waitcnt lgkmcnt(0)
	v_fma_f32 v16, -v17, v18, v16
.LBB101_966:
	s_or_b64 exec, exec, s[0:1]
	s_barrier
	s_and_saveexec_b64 s[0:1], s[42:43]
	s_cbranch_execz .LBB101_968
; %bb.967:
	v_mov_b32_e32 v17, 0
	ds_read_b32 v17, v17 offset:2080
	s_waitcnt lgkmcnt(0)
	v_mul_f32_e32 v16, v16, v17
	v_xor_b32_e32 v17, 0x80000000, v16
	ds_write_b32 v12, v17
.LBB101_968:
	s_or_b64 exec, exec, s[0:1]
	s_waitcnt lgkmcnt(0)
	s_barrier
	s_barrier
	s_and_saveexec_b64 s[0:1], s[18:19]
; %bb.969:
	v_lshlrev_b32_e32 v17, 2, v6
	v_lshl_or_b32 v17, v11, 8, v17
	ds_write_b32 v17, v16 offset:3104
; %bb.970:
	s_or_b64 exec, exec, s[0:1]
	s_waitcnt lgkmcnt(0)
	s_barrier
	s_barrier
	s_and_saveexec_b64 s[0:1], s[54:55]
	s_cbranch_execz .LBB101_972
; %bb.971:
	v_lshlrev_b32_e32 v16, 8, v0
	ds_read_b32 v17, v16 offset:3104
	s_movk_i32 s10, 0xff04
	v_mad_i32_i24 v18, v0, s10, v16
	s_waitcnt lgkmcnt(0)
	ds_write_b32 v18, v17 offset:2096
	ds_read_b32 v17, v16 offset:3108
	s_waitcnt lgkmcnt(0)
	ds_write_b32 v18, v17 offset:2352
	ds_read_b32 v17, v16 offset:3112
	;; [unrolled: 3-line block ×3, first 2 shown]
	s_waitcnt lgkmcnt(0)
	ds_write_b32 v18, v16 offset:2864
.LBB101_972:
	s_or_b64 exec, exec, s[0:1]
	s_waitcnt lgkmcnt(0)
	s_barrier
	s_and_saveexec_b64 s[0:1], vcc
	s_cbranch_execz .LBB101_974
; %bb.973:
	v_mov_b32_e32 v18, 0
	ds_read_b64 v[16:17], v18 offset:2856
	ds_read_b32 v18, v18 offset:2600
	s_movk_i32 s10, 0x800
	s_waitcnt lgkmcnt(0)
	v_mul_f32_e32 v17, v18, v17
	v_mul_f32_e32 v16, v16, v17
	v_add_u32_e64 v17, s10, 0
	ds_write2_b32 v17, v16, v16 offset0:139 offset1:202
.LBB101_974:
	s_or_b64 exec, exec, s[0:1]
	v_mov_b32_e32 v16, 0
	s_waitcnt lgkmcnt(0)
	s_barrier
	buffer_wbinvl1_vol
	s_and_saveexec_b64 s[0:1], s[2:3]
	s_cbranch_execz .LBB101_978
; %bb.975:
	v_lshlrev_b32_e32 v16, 8, v3
	v_lshlrev_b32_e32 v17, 2, v1
	ds_read_b32 v18, v17 offset:2592
	ds_read_b32 v16, v16 offset:2600
	v_mov_b32_e32 v17, 0
	v_cmp_gt_u32_e64 s[10:11], 2, v5
	s_waitcnt lgkmcnt(0)
	v_fma_f32 v16, v18, v16, 0
	s_and_saveexec_b64 s[12:13], s[10:11]
	s_cbranch_execz .LBB101_977
; %bb.976:
	v_lshlrev_b32_e32 v18, 2, v0
	ds_read_b32 v18, v18 offset:2848
	ds_read_b32 v17, v17 offset:2860
	s_waitcnt lgkmcnt(0)
	v_fmac_f32_e32 v16, v18, v17
.LBB101_977:
	s_or_b64 exec, exec, s[12:13]
.LBB101_978:
	s_or_b64 exec, exec, s[0:1]
	s_and_saveexec_b64 s[0:1], s[38:39]
	s_cbranch_execz .LBB101_980
; %bb.979:
	v_mov_b32_e32 v17, 0
	ds_read_b32 v17, v17 offset:2340
	s_waitcnt lgkmcnt(0)
	v_mul_f32_e32 v16, v16, v17
	v_xor_b32_e32 v17, 0x80000000, v16
	ds_write_b32 v4, v17
.LBB101_980:
	s_or_b64 exec, exec, s[0:1]
	s_waitcnt lgkmcnt(0)
	s_barrier
	s_and_saveexec_b64 s[0:1], s[36:37]
	s_cbranch_execz .LBB101_982
; %bb.981:
	v_mov_b32_e32 v17, 0
	ds_read_b32 v17, v17 offset:2336
	ds_read_b32 v18, v4
	s_waitcnt lgkmcnt(0)
	v_fma_f32 v16, -v17, v18, v16
.LBB101_982:
	s_or_b64 exec, exec, s[0:1]
	s_barrier
	s_and_saveexec_b64 s[0:1], s[36:37]
	s_cbranch_execz .LBB101_984
; %bb.983:
	v_mov_b32_e32 v17, 0
	ds_read_b32 v17, v17 offset:2080
	s_waitcnt lgkmcnt(0)
	v_mul_f32_e32 v16, v16, v17
	v_xor_b32_e32 v17, 0x80000000, v16
	ds_write_b32 v4, v17
.LBB101_984:
	s_or_b64 exec, exec, s[0:1]
	s_waitcnt lgkmcnt(0)
	s_barrier
	s_barrier
	s_and_saveexec_b64 s[0:1], s[2:3]
; %bb.985:
	v_lshlrev_b32_e32 v17, 2, v1
	v_lshl_or_b32 v17, v3, 8, v17
	ds_write_b32 v17, v16 offset:2592
; %bb.986:
	s_or_b64 exec, exec, s[0:1]
	s_waitcnt lgkmcnt(0)
	s_barrier
	s_barrier
	s_and_saveexec_b64 s[0:1], s[40:41]
	s_cbranch_execz .LBB101_988
; %bb.987:
	v_lshlrev_b32_e32 v16, 2, v0
	s_movk_i32 s10, 0xfc
	v_mad_u32_u24 v17, v0, s10, v16
	ds_read_b32 v18, v17 offset:2592
	s_waitcnt lgkmcnt(0)
	ds_write_b32 v16, v18 offset:2088
	ds_read_b32 v17, v17 offset:2596
	s_waitcnt lgkmcnt(0)
	ds_write_b32 v16, v17 offset:2344
.LBB101_988:
	s_or_b64 exec, exec, s[0:1]
	s_waitcnt lgkmcnt(0)
	s_barrier
	s_and_saveexec_b64 s[0:1], vcc
	s_cbranch_execz .LBB101_990
; %bb.989:
	v_mov_b32_e32 v18, 0
	ds_read_b64 v[16:17], v18 offset:2336
	ds_read_b32 v18, v18 offset:2080
	s_movk_i32 s10, 0x800
	s_waitcnt lgkmcnt(0)
	v_mul_f32_e32 v17, v18, v17
	v_mul_f32_e32 v16, v16, v17
	v_add_u32_e64 v17, s10, 0
	ds_write2_b32 v17, v16, v16 offset0:9 offset1:72
.LBB101_990:
	s_or_b64 exec, exec, s[0:1]
	v_mov_b32_e32 v16, 0
	s_waitcnt lgkmcnt(0)
	s_barrier
	buffer_wbinvl1_vol
	s_and_saveexec_b64 s[0:1], s[8:9]
	s_cbranch_execz .LBB101_1000
; %bb.991:
	v_lshlrev_b32_e32 v18, 2, v13
	v_lshlrev_b32_e32 v17, 8, v14
	ds_read_b32 v16, v18 offset:2048
	ds_read_b32 v19, v17 offset:2080
	v_cmp_gt_u32_e64 s[10:11], 56, v5
	s_waitcnt lgkmcnt(0)
	v_fma_f32 v16, v16, v19, 0
	s_and_saveexec_b64 s[12:13], s[10:11]
	s_cbranch_execnz .LBB101_1248
; %bb.992:
	s_or_b64 exec, exec, s[12:13]
	v_cmp_gt_u32_e64 s[10:11], 48, v5
	s_and_saveexec_b64 s[12:13], s[10:11]
	s_cbranch_execnz .LBB101_1249
.LBB101_993:
	s_or_b64 exec, exec, s[12:13]
	v_cmp_gt_u32_e64 s[10:11], 40, v5
	s_and_saveexec_b64 s[12:13], s[10:11]
	s_cbranch_execnz .LBB101_1250
.LBB101_994:
	s_or_b64 exec, exec, s[12:13]
	v_cmp_gt_u32_e64 s[10:11], 32, v5
	s_and_saveexec_b64 s[12:13], s[10:11]
	s_cbranch_execnz .LBB101_1251
.LBB101_995:
	s_or_b64 exec, exec, s[12:13]
	v_cmp_gt_u32_e64 s[10:11], 24, v5
	s_and_saveexec_b64 s[12:13], s[10:11]
	s_cbranch_execnz .LBB101_1252
.LBB101_996:
	s_or_b64 exec, exec, s[12:13]
	s_and_saveexec_b64 s[10:11], s[18:19]
	s_cbranch_execnz .LBB101_1253
.LBB101_997:
	s_or_b64 exec, exec, s[10:11]
	v_cmp_gt_u32_e64 s[10:11], 8, v5
	s_and_saveexec_b64 s[12:13], s[10:11]
	s_cbranch_execz .LBB101_999
.LBB101_998:
	v_lshlrev_b32_e32 v17, 2, v0
	v_mov_b32_e32 v18, 0
	ds_read_b32 v17, v17 offset:3840
	ds_read_b32 v18, v18 offset:3900
	s_waitcnt lgkmcnt(0)
	v_fmac_f32_e32 v16, v17, v18
.LBB101_999:
	s_or_b64 exec, exec, s[12:13]
.LBB101_1000:
	s_or_b64 exec, exec, s[0:1]
	s_and_saveexec_b64 s[0:1], s[56:57]
	s_cbranch_execz .LBB101_1002
; %bb.1001:
	v_mov_b32_e32 v17, 0
	ds_read_b32 v17, v17 offset:1820
	s_waitcnt lgkmcnt(0)
	v_mul_f32_e32 v16, v16, v17
	v_xor_b32_e32 v17, 0x80000000, v16
	ds_write_b32 v15, v17
.LBB101_1002:
	s_or_b64 exec, exec, s[0:1]
	s_waitcnt lgkmcnt(0)
	s_barrier
	s_and_saveexec_b64 s[0:1], s[58:59]
	v_readlane_b32 s56, v27, 2
	v_readlane_b32 s57, v27, 3
	s_cbranch_execz .LBB101_1004
; %bb.1003:
	v_lshlrev_b32_e32 v17, 2, v13
	ds_read_b32 v17, v17 offset:1792
	ds_read_b32 v18, v15
	s_waitcnt lgkmcnt(0)
	v_fma_f32 v16, -v17, v18, v16
.LBB101_1004:
	s_or_b64 exec, exec, s[0:1]
	s_barrier
	s_and_saveexec_b64 s[0:1], s[60:61]
	s_cbranch_execz .LBB101_1006
; %bb.1005:
	v_mov_b32_e32 v17, 0
	ds_read_b32 v17, v17 offset:1560
	s_waitcnt lgkmcnt(0)
	v_mul_f32_e32 v16, v16, v17
	v_xor_b32_e32 v17, 0x80000000, v16
	ds_write_b32 v15, v17
.LBB101_1006:
	s_or_b64 exec, exec, s[0:1]
	s_waitcnt lgkmcnt(0)
	s_barrier
	s_and_saveexec_b64 s[0:1], s[62:63]
	s_cbranch_execz .LBB101_1008
; %bb.1007:
	v_lshlrev_b32_e32 v17, 2, v13
	ds_read_b32 v17, v17 offset:1536
	ds_read_b32 v18, v15
	s_waitcnt lgkmcnt(0)
	v_fma_f32 v16, -v17, v18, v16
.LBB101_1008:
	s_or_b64 exec, exec, s[0:1]
	s_barrier
	s_and_saveexec_b64 s[0:1], s[64:65]
	s_cbranch_execz .LBB101_1010
; %bb.1009:
	v_mov_b32_e32 v17, 0
	ds_read_b32 v17, v17 offset:1300
	s_waitcnt lgkmcnt(0)
	v_mul_f32_e32 v16, v16, v17
	v_xor_b32_e32 v17, 0x80000000, v16
	ds_write_b32 v15, v17
.LBB101_1010:
	s_or_b64 exec, exec, s[0:1]
	s_waitcnt lgkmcnt(0)
	s_barrier
	s_and_saveexec_b64 s[0:1], s[68:69]
	s_cbranch_execz .LBB101_1012
; %bb.1011:
	v_lshlrev_b32_e32 v17, 2, v13
	ds_read_b32 v17, v17 offset:1280
	ds_read_b32 v18, v15
	s_waitcnt lgkmcnt(0)
	v_fma_f32 v16, -v17, v18, v16
.LBB101_1012:
	s_or_b64 exec, exec, s[0:1]
	s_barrier
	s_and_saveexec_b64 s[0:1], s[70:71]
	s_cbranch_execz .LBB101_1014
; %bb.1013:
	v_mov_b32_e32 v17, 0
	ds_read_b32 v17, v17 offset:1040
	s_waitcnt lgkmcnt(0)
	v_mul_f32_e32 v16, v16, v17
	v_xor_b32_e32 v17, 0x80000000, v16
	ds_write_b32 v15, v17
.LBB101_1014:
	s_or_b64 exec, exec, s[0:1]
	s_waitcnt lgkmcnt(0)
	s_barrier
	s_and_saveexec_b64 s[0:1], s[72:73]
	s_cbranch_execz .LBB101_1016
; %bb.1015:
	v_lshlrev_b32_e32 v17, 2, v13
	ds_read_b32 v17, v17 offset:1024
	ds_read_b32 v18, v15
	s_waitcnt lgkmcnt(0)
	v_fma_f32 v16, -v17, v18, v16
.LBB101_1016:
	s_or_b64 exec, exec, s[0:1]
	s_barrier
	s_and_saveexec_b64 s[0:1], s[74:75]
	s_cbranch_execz .LBB101_1018
; %bb.1017:
	v_mov_b32_e32 v17, 0
	ds_read_b32 v17, v17 offset:780
	s_waitcnt lgkmcnt(0)
	v_mul_f32_e32 v16, v16, v17
	v_xor_b32_e32 v17, 0x80000000, v16
	ds_write_b32 v15, v17
.LBB101_1018:
	s_or_b64 exec, exec, s[0:1]
	s_waitcnt lgkmcnt(0)
	s_barrier
	s_and_saveexec_b64 s[0:1], s[76:77]
	s_cbranch_execz .LBB101_1020
; %bb.1019:
	v_lshlrev_b32_e32 v17, 2, v13
	ds_read_b32 v17, v17 offset:768
	ds_read_b32 v18, v15
	s_waitcnt lgkmcnt(0)
	v_fma_f32 v16, -v17, v18, v16
.LBB101_1020:
	s_or_b64 exec, exec, s[0:1]
	s_barrier
	s_and_saveexec_b64 s[0:1], s[78:79]
	s_cbranch_execz .LBB101_1022
; %bb.1021:
	v_mov_b32_e32 v17, 0
	ds_read_b32 v17, v17 offset:520
	s_waitcnt lgkmcnt(0)
	v_mul_f32_e32 v16, v16, v17
	v_xor_b32_e32 v17, 0x80000000, v16
	ds_write_b32 v15, v17
.LBB101_1022:
	s_or_b64 exec, exec, s[0:1]
	s_waitcnt lgkmcnt(0)
	s_barrier
	s_and_saveexec_b64 s[0:1], s[80:81]
	s_cbranch_execz .LBB101_1024
; %bb.1023:
	v_lshlrev_b32_e32 v17, 2, v13
	ds_read_b32 v17, v17 offset:512
	ds_read_b32 v18, v15
	s_waitcnt lgkmcnt(0)
	v_fma_f32 v16, -v17, v18, v16
.LBB101_1024:
	s_or_b64 exec, exec, s[0:1]
	s_barrier
	s_and_saveexec_b64 s[0:1], s[82:83]
	s_cbranch_execz .LBB101_1026
; %bb.1025:
	v_mov_b32_e32 v17, 0
	ds_read_b32 v17, v17 offset:260
	s_waitcnt lgkmcnt(0)
	v_mul_f32_e32 v16, v16, v17
	v_xor_b32_e32 v17, 0x80000000, v16
	ds_write_b32 v15, v17
.LBB101_1026:
	s_or_b64 exec, exec, s[0:1]
	s_waitcnt lgkmcnt(0)
	s_barrier
	s_and_saveexec_b64 s[0:1], s[66:67]
	s_cbranch_execz .LBB101_1028
; %bb.1027:
	v_mov_b32_e32 v17, 0
	ds_read_b32 v17, v17 offset:256
	ds_read_b32 v18, v15
	s_waitcnt lgkmcnt(0)
	v_fma_f32 v16, -v17, v18, v16
.LBB101_1028:
	s_or_b64 exec, exec, s[0:1]
	s_barrier
	s_and_saveexec_b64 s[0:1], s[66:67]
	s_cbranch_execz .LBB101_1030
; %bb.1029:
	v_mov_b32_e32 v17, 0
	ds_read_b32 v17, v17
	s_waitcnt lgkmcnt(0)
	v_mul_f32_e32 v16, v16, v17
	v_xor_b32_e32 v17, 0x80000000, v16
	ds_write_b32 v15, v17
.LBB101_1030:
	s_or_b64 exec, exec, s[0:1]
	s_waitcnt lgkmcnt(0)
	s_barrier
	s_barrier
	s_and_saveexec_b64 s[0:1], s[8:9]
; %bb.1031:
	v_lshlrev_b32_e32 v13, 2, v13
	v_lshl_or_b32 v13, v14, 8, v13
	ds_write_b32 v13, v16 offset:2048
; %bb.1032:
	s_or_b64 exec, exec, s[0:1]
	s_waitcnt lgkmcnt(0)
	s_barrier
	s_barrier
	s_and_saveexec_b64 s[0:1], s[84:85]
	s_cbranch_execz .LBB101_1034
; %bb.1033:
	v_lshlrev_b32_e32 v13, 8, v0
	ds_read_b32 v14, v13 offset:2048
	s_movk_i32 s8, 0xff04
	v_mad_i32_i24 v15, v0, s8, v13
	s_waitcnt lgkmcnt(0)
	ds_write_b32 v15, v14 offset:32
	ds_read_b32 v14, v13 offset:2052
	s_waitcnt lgkmcnt(0)
	ds_write_b32 v15, v14 offset:288
	ds_read_b32 v14, v13 offset:2056
	;; [unrolled: 3-line block ×7, first 2 shown]
	s_waitcnt lgkmcnt(0)
	ds_write_b32 v15, v13 offset:1824
.LBB101_1034:
	s_or_b64 exec, exec, s[0:1]
	s_waitcnt lgkmcnt(0)
	s_barrier
	s_and_saveexec_b64 s[0:1], vcc
	s_cbranch_execz .LBB101_1036
; %bb.1035:
	v_mov_b32_e32 v15, 0
	ds_read_b64 v[13:14], v15 offset:1816
	ds_read_b32 v15, v15 offset:1560
	s_movk_i32 s8, 0x400
	s_waitcnt lgkmcnt(0)
	v_mul_f32_e32 v14, v15, v14
	v_mul_f32_e32 v13, v13, v14
	v_add_u32_e64 v14, s8, 0
	ds_write2_b32 v14, v13, v13 offset0:135 offset1:198
.LBB101_1036:
	s_or_b64 exec, exec, s[0:1]
	v_mov_b32_e32 v13, 0
	s_waitcnt lgkmcnt(0)
	s_barrier
	buffer_wbinvl1_vol
	s_and_saveexec_b64 s[0:1], s[2:3]
	s_cbranch_execz .LBB101_1040
; %bb.1037:
	v_lshlrev_b32_e32 v13, 8, v3
	v_lshlrev_b32_e32 v14, 2, v1
	ds_read_b32 v15, v14 offset:1552
	ds_read_b32 v13, v13 offset:1560
	v_mov_b32_e32 v14, 0
	v_cmp_gt_u32_e64 s[8:9], 2, v5
	s_waitcnt lgkmcnt(0)
	v_fma_f32 v13, v15, v13, 0
	s_and_saveexec_b64 s[10:11], s[8:9]
	s_cbranch_execz .LBB101_1039
; %bb.1038:
	v_lshlrev_b32_e32 v15, 2, v0
	ds_read_b32 v15, v15 offset:1808
	ds_read_b32 v14, v14 offset:1820
	s_waitcnt lgkmcnt(0)
	v_fmac_f32_e32 v13, v15, v14
.LBB101_1039:
	s_or_b64 exec, exec, s[10:11]
.LBB101_1040:
	s_or_b64 exec, exec, s[0:1]
	s_and_saveexec_b64 s[0:1], s[38:39]
	s_cbranch_execz .LBB101_1042
; %bb.1041:
	v_mov_b32_e32 v14, 0
	ds_read_b32 v14, v14 offset:1300
	s_waitcnt lgkmcnt(0)
	v_mul_f32_e32 v13, v13, v14
	v_xor_b32_e32 v14, 0x80000000, v13
	ds_write_b32 v4, v14
.LBB101_1042:
	s_or_b64 exec, exec, s[0:1]
	s_waitcnt lgkmcnt(0)
	s_barrier
	s_and_saveexec_b64 s[0:1], s[36:37]
	s_cbranch_execz .LBB101_1044
; %bb.1043:
	v_mov_b32_e32 v14, 0
	ds_read_b32 v14, v14 offset:1296
	ds_read_b32 v15, v4
	s_waitcnt lgkmcnt(0)
	v_fma_f32 v13, -v14, v15, v13
.LBB101_1044:
	s_or_b64 exec, exec, s[0:1]
	s_barrier
	s_and_saveexec_b64 s[0:1], s[36:37]
	s_cbranch_execz .LBB101_1046
; %bb.1045:
	v_mov_b32_e32 v14, 0
	ds_read_b32 v14, v14 offset:1040
	s_waitcnt lgkmcnt(0)
	v_mul_f32_e32 v13, v13, v14
	v_xor_b32_e32 v14, 0x80000000, v13
	ds_write_b32 v4, v14
.LBB101_1046:
	s_or_b64 exec, exec, s[0:1]
	s_waitcnt lgkmcnt(0)
	s_barrier
	s_barrier
	s_and_saveexec_b64 s[0:1], s[2:3]
; %bb.1047:
	v_lshlrev_b32_e32 v14, 2, v1
	v_lshl_or_b32 v14, v3, 8, v14
	ds_write_b32 v14, v13 offset:1552
; %bb.1048:
	s_or_b64 exec, exec, s[0:1]
	s_waitcnt lgkmcnt(0)
	s_barrier
	s_barrier
	s_and_saveexec_b64 s[0:1], s[40:41]
	s_cbranch_execz .LBB101_1050
; %bb.1049:
	v_lshlrev_b32_e32 v13, 2, v0
	s_movk_i32 s8, 0xfc
	v_mad_u32_u24 v14, v0, s8, v13
	ds_read_b32 v15, v14 offset:1552
	s_waitcnt lgkmcnt(0)
	ds_write_b32 v13, v15 offset:1048
	ds_read_b32 v14, v14 offset:1556
	s_waitcnt lgkmcnt(0)
	ds_write_b32 v13, v14 offset:1304
.LBB101_1050:
	s_or_b64 exec, exec, s[0:1]
	s_waitcnt lgkmcnt(0)
	s_barrier
	s_and_saveexec_b64 s[0:1], vcc
	s_cbranch_execz .LBB101_1052
; %bb.1051:
	v_mov_b32_e32 v15, 0
	ds_read_b64 v[13:14], v15 offset:1296
	ds_read_b32 v15, v15 offset:1040
	s_movk_i32 s8, 0x400
	s_waitcnt lgkmcnt(0)
	v_mul_f32_e32 v14, v15, v14
	v_mul_f32_e32 v13, v13, v14
	v_add_u32_e64 v14, s8, 0
	ds_write2_b32 v14, v13, v13 offset0:5 offset1:68
.LBB101_1052:
	s_or_b64 exec, exec, s[0:1]
	v_mov_b32_e32 v13, 0
	s_waitcnt lgkmcnt(0)
	s_barrier
	buffer_wbinvl1_vol
	s_and_saveexec_b64 s[0:1], s[18:19]
	s_cbranch_execz .LBB101_1058
; %bb.1053:
	v_lshlrev_b32_e32 v15, 2, v6
	v_lshlrev_b32_e32 v14, 8, v11
	ds_read_b32 v13, v15 offset:1024
	ds_read_b32 v16, v14 offset:1040
	v_cmp_gt_u32_e64 s[8:9], 12, v5
	s_waitcnt lgkmcnt(0)
	v_fma_f32 v13, v13, v16, 0
	s_and_saveexec_b64 s[10:11], s[8:9]
	s_cbranch_execnz .LBB101_1254
; %bb.1054:
	s_or_b64 exec, exec, s[10:11]
	v_cmp_gt_u32_e64 s[8:9], 8, v5
	s_and_saveexec_b64 s[10:11], s[8:9]
	s_cbranch_execnz .LBB101_1255
.LBB101_1055:
	s_or_b64 exec, exec, s[10:11]
	v_cmp_gt_u32_e64 s[8:9], 4, v5
	s_and_saveexec_b64 s[10:11], s[8:9]
	s_cbranch_execz .LBB101_1057
.LBB101_1056:
	v_lshlrev_b32_e32 v14, 2, v0
	v_mov_b32_e32 v15, 0
	ds_read_b32 v14, v14 offset:1792
	ds_read_b32 v15, v15 offset:1820
	s_waitcnt lgkmcnt(0)
	v_fmac_f32_e32 v13, v14, v15
.LBB101_1057:
	s_or_b64 exec, exec, s[10:11]
.LBB101_1058:
	s_or_b64 exec, exec, s[0:1]
	s_and_saveexec_b64 s[0:1], s[44:45]
	s_cbranch_execz .LBB101_1060
; %bb.1059:
	v_mov_b32_e32 v14, 0
	ds_read_b32 v14, v14 offset:780
	s_waitcnt lgkmcnt(0)
	v_mul_f32_e32 v13, v13, v14
	v_xor_b32_e32 v14, 0x80000000, v13
	ds_write_b32 v12, v14
.LBB101_1060:
	s_or_b64 exec, exec, s[0:1]
	s_waitcnt lgkmcnt(0)
	s_barrier
	s_and_saveexec_b64 s[0:1], s[46:47]
	v_readlane_b32 s44, v27, 1
	v_readlane_b32 s45, v27, 0
	s_cbranch_execz .LBB101_1062
; %bb.1061:
	v_lshlrev_b32_e32 v14, 2, v6
	ds_read_b32 v14, v14 offset:768
	ds_read_b32 v15, v12
	s_waitcnt lgkmcnt(0)
	v_fma_f32 v13, -v14, v15, v13
.LBB101_1062:
	s_or_b64 exec, exec, s[0:1]
	s_barrier
	s_and_saveexec_b64 s[0:1], s[48:49]
	s_cbranch_execz .LBB101_1064
; %bb.1063:
	v_mov_b32_e32 v14, 0
	ds_read_b32 v14, v14 offset:520
	s_waitcnt lgkmcnt(0)
	v_mul_f32_e32 v13, v13, v14
	v_xor_b32_e32 v14, 0x80000000, v13
	ds_write_b32 v12, v14
.LBB101_1064:
	s_or_b64 exec, exec, s[0:1]
	s_waitcnt lgkmcnt(0)
	s_barrier
	s_and_saveexec_b64 s[0:1], s[50:51]
	s_cbranch_execz .LBB101_1066
; %bb.1065:
	v_lshlrev_b32_e32 v14, 2, v6
	ds_read_b32 v14, v14 offset:512
	ds_read_b32 v15, v12
	s_waitcnt lgkmcnt(0)
	v_fma_f32 v13, -v14, v15, v13
.LBB101_1066:
	s_or_b64 exec, exec, s[0:1]
	s_barrier
	s_and_saveexec_b64 s[0:1], s[52:53]
	s_cbranch_execz .LBB101_1068
; %bb.1067:
	v_mov_b32_e32 v14, 0
	ds_read_b32 v14, v14 offset:260
	s_waitcnt lgkmcnt(0)
	v_mul_f32_e32 v13, v13, v14
	v_xor_b32_e32 v14, 0x80000000, v13
	ds_write_b32 v12, v14
.LBB101_1068:
	s_or_b64 exec, exec, s[0:1]
	s_waitcnt lgkmcnt(0)
	s_barrier
	s_and_saveexec_b64 s[0:1], s[42:43]
	s_cbranch_execz .LBB101_1070
; %bb.1069:
	v_mov_b32_e32 v14, 0
	ds_read_b32 v14, v14 offset:256
	ds_read_b32 v15, v12
	s_waitcnt lgkmcnt(0)
	v_fma_f32 v13, -v14, v15, v13
.LBB101_1070:
	s_or_b64 exec, exec, s[0:1]
	s_barrier
	s_and_saveexec_b64 s[0:1], s[42:43]
	s_cbranch_execz .LBB101_1072
; %bb.1071:
	v_mov_b32_e32 v14, 0
	ds_read_b32 v14, v14
	s_waitcnt lgkmcnt(0)
	v_mul_f32_e32 v13, v13, v14
	v_xor_b32_e32 v14, 0x80000000, v13
	ds_write_b32 v12, v14
.LBB101_1072:
	s_or_b64 exec, exec, s[0:1]
	s_waitcnt lgkmcnt(0)
	s_barrier
	s_barrier
	s_and_saveexec_b64 s[0:1], s[18:19]
; %bb.1073:
	v_lshlrev_b32_e32 v6, 2, v6
	v_lshl_or_b32 v6, v11, 8, v6
	ds_write_b32 v6, v13 offset:1024
; %bb.1074:
	s_or_b64 exec, exec, s[0:1]
	s_waitcnt lgkmcnt(0)
	s_barrier
	s_barrier
	s_and_saveexec_b64 s[0:1], s[54:55]
	s_cbranch_execz .LBB101_1076
; %bb.1075:
	v_lshlrev_b32_e32 v6, 8, v0
	ds_read_b32 v11, v6 offset:1024
	s_movk_i32 s8, 0xff04
	v_mad_i32_i24 v12, v0, s8, v6
	s_waitcnt lgkmcnt(0)
	ds_write_b32 v12, v11 offset:16
	ds_read_b32 v11, v6 offset:1028
	s_waitcnt lgkmcnt(0)
	ds_write_b32 v12, v11 offset:272
	ds_read_b32 v11, v6 offset:1032
	s_waitcnt lgkmcnt(0)
	ds_write_b32 v12, v11 offset:528
	ds_read_b32 v6, v6 offset:1036
	s_waitcnt lgkmcnt(0)
	ds_write_b32 v12, v6 offset:784
.LBB101_1076:
	s_or_b64 exec, exec, s[0:1]
	s_waitcnt lgkmcnt(0)
	s_barrier
	s_and_saveexec_b64 s[0:1], vcc
	s_cbranch_execz .LBB101_1078
; %bb.1077:
	v_mov_b32_e32 v6, 0
	ds_read_b64 v[11:12], v6 offset:776
	ds_read_b32 v13, v6 offset:520
	s_waitcnt lgkmcnt(0)
	v_mul_f32_e32 v12, v13, v12
	v_mul_f32_e32 v11, v11, v12
	ds_write2_b32 v6, v11, v11 offset0:131 offset1:194
.LBB101_1078:
	s_or_b64 exec, exec, s[0:1]
	v_mov_b32_e32 v6, 0
	s_waitcnt lgkmcnt(0)
	s_barrier
	buffer_wbinvl1_vol
	s_and_saveexec_b64 s[0:1], s[2:3]
	s_cbranch_execz .LBB101_1082
; %bb.1079:
	v_lshlrev_b32_e32 v6, 8, v3
	v_lshlrev_b32_e32 v11, 2, v1
	ds_read_b32 v12, v11 offset:512
	ds_read_b32 v6, v6 offset:520
	v_mov_b32_e32 v11, 0
	v_cmp_gt_u32_e64 s[8:9], 2, v5
	s_waitcnt lgkmcnt(0)
	v_fma_f32 v6, v12, v6, 0
	s_and_saveexec_b64 s[10:11], s[8:9]
	s_cbranch_execz .LBB101_1081
; %bb.1080:
	v_lshlrev_b32_e32 v5, 2, v0
	ds_read_b32 v5, v5 offset:768
	ds_read_b32 v11, v11 offset:780
	s_waitcnt lgkmcnt(0)
	v_fmac_f32_e32 v6, v5, v11
.LBB101_1081:
	s_or_b64 exec, exec, s[10:11]
.LBB101_1082:
	s_or_b64 exec, exec, s[0:1]
	s_and_saveexec_b64 s[0:1], s[38:39]
	s_cbranch_execz .LBB101_1084
; %bb.1083:
	v_mov_b32_e32 v5, 0
	ds_read_b32 v5, v5 offset:260
	s_waitcnt lgkmcnt(0)
	v_mul_f32_e32 v6, v6, v5
	v_xor_b32_e32 v5, 0x80000000, v6
	ds_write_b32 v4, v5
.LBB101_1084:
	s_or_b64 exec, exec, s[0:1]
	s_waitcnt lgkmcnt(0)
	s_barrier
	s_and_saveexec_b64 s[0:1], s[36:37]
	s_cbranch_execz .LBB101_1086
; %bb.1085:
	v_mov_b32_e32 v5, 0
	ds_read_b32 v5, v5 offset:256
	ds_read_b32 v11, v4
	s_waitcnt lgkmcnt(0)
	v_fma_f32 v6, -v5, v11, v6
.LBB101_1086:
	s_or_b64 exec, exec, s[0:1]
	s_barrier
	s_and_saveexec_b64 s[0:1], s[36:37]
	s_cbranch_execz .LBB101_1088
; %bb.1087:
	v_mov_b32_e32 v5, 0
	ds_read_b32 v5, v5
	s_waitcnt lgkmcnt(0)
	v_mul_f32_e32 v6, v6, v5
	v_xor_b32_e32 v5, 0x80000000, v6
	ds_write_b32 v4, v5
.LBB101_1088:
	s_or_b64 exec, exec, s[0:1]
	s_waitcnt lgkmcnt(0)
	s_barrier
	s_barrier
	s_and_saveexec_b64 s[0:1], s[2:3]
; %bb.1089:
	v_lshlrev_b32_e32 v1, 2, v1
	v_lshl_or_b32 v1, v3, 8, v1
	ds_write_b32 v1, v6 offset:512
; %bb.1090:
	s_or_b64 exec, exec, s[0:1]
	s_waitcnt lgkmcnt(0)
	s_barrier
	s_barrier
	s_and_saveexec_b64 s[0:1], s[40:41]
	s_cbranch_execz .LBB101_1092
; %bb.1091:
	v_lshlrev_b32_e32 v1, 2, v0
	s_movk_i32 s2, 0xfc
	v_mad_u32_u24 v3, v0, s2, v1
	ds_read_b32 v4, v3 offset:512
	s_waitcnt lgkmcnt(0)
	ds_write_b32 v1, v4 offset:8
	ds_read_b32 v3, v3 offset:516
	s_waitcnt lgkmcnt(0)
	ds_write_b32 v1, v3 offset:264
.LBB101_1092:
	s_or_b64 exec, exec, s[0:1]
	s_waitcnt lgkmcnt(0)
	s_barrier
	s_and_saveexec_b64 s[0:1], vcc
	s_cbranch_execz .LBB101_1094
; %bb.1093:
	v_mov_b32_e32 v1, 0
	ds_read_b64 v[3:4], v1 offset:256
	ds_read_b32 v5, v1
	s_waitcnt lgkmcnt(0)
	v_mul_f32_e32 v4, v5, v4
	v_mul_f32_e32 v3, v3, v4
	ds_write2_b32 v1, v3, v3 offset0:1 offset1:64
.LBB101_1094:
	s_or_b64 exec, exec, s[0:1]
.LBB101_1095:
	s_lshl_b64 s[0:1], s[24:25], 2
	s_add_u32 s20, s34, s0
	v_cmp_le_i32_e32 vcc, s86, v0
	s_addc_u32 s21, s35, s1
	s_and_b64 s[14:15], vcc, s[22:23]
	v_cmp_eq_u32_e64 s[2:3], 0, v2
	s_xor_b64 s[0:1], s[14:15], -1
	s_and_b64 s[8:9], s[2:3], s[0:1]
	v_mov_b32_e32 v12, 0
	v_add_u32_e32 v3, s33, v0
	s_waitcnt lgkmcnt(0)
	s_barrier
	s_and_saveexec_b64 s[0:1], s[8:9]
	s_cbranch_execz .LBB101_1097
; %bb.1096:
	v_ashrrev_i32_e32 v1, 31, v3
	v_mul_lo_u32 v6, s27, v3
	v_mad_u64_u32 v[4:5], s[8:9], s26, v3, 0
	v_mul_lo_u32 v1, s26, v1
	v_add3_u32 v5, v5, v1, v6
	v_lshlrev_b64 v[4:5], 2, v[4:5]
	v_mov_b32_e32 v1, s21
	v_add_co_u32_e32 v4, vcc, s20, v4
	v_addc_co_u32_e32 v5, vcc, v1, v5, vcc
	flat_load_dword v1, v[4:5]
	s_waitcnt vmcnt(0) lgkmcnt(0)
	v_mul_f32_e64 v12, v1, -s45
.LBB101_1097:
	s_or_b64 exec, exec, s[0:1]
	s_load_dwordx2 s[0:1], s[4:5], 0x50
	s_and_b32 s4, 0xffff, s89
	v_mad_u32_u24 v11, v2, s4, v0
	s_cmp_lt_i32 s6, 1
	v_cmp_eq_u32_e64 s[4:5], 0, v11
	s_cbranch_scc1 .LBB101_1123
; %bb.1098:
	v_mad_u64_u32 v[4:5], s[8:9], s30, v3, 0
	s_mov_b32 s24, 0
	v_cmp_gt_u32_e64 s[12:13], 64, v11
	v_mov_b32_e32 v1, v5
	v_mad_u64_u32 v[5:6], s[8:9], s31, v3, v[1:2]
	s_lshl_b64 s[8:9], s[28:29], 2
	s_waitcnt lgkmcnt(0)
	s_add_u32 s16, s0, s8
	s_addc_u32 s17, s1, s9
	v_cmp_gt_i32_e64 s[8:9], s7, v3
	v_lshlrev_b64 v[3:4], 2, v[4:5]
	v_mov_b32_e32 v6, 0x5000
	v_mov_b32_e32 v5, s88
	v_add_co_u32_e32 v14, vcc, s87, v3
	v_lshl_add_u32 v1, v11, 2, v6
	v_lshl_or_b32 v13, v2, 2, v6
	s_add_i32 s25, s6, -1
	v_addc_co_u32_e32 v15, vcc, v5, v4, vcc
	v_mov_b32_e32 v16, -1
	v_mov_b32_e32 v4, 0
	s_branch .LBB101_1101
.LBB101_1099:                           ;   in Loop: Header=BB101_1101 Depth=1
	ds_read_b32 v5, v13 offset:192
	s_waitcnt vmcnt(0) lgkmcnt(0)
	v_fmac_f32_e32 v12, v3, v5
.LBB101_1100:                           ;   in Loop: Header=BB101_1101 Depth=1
	s_or_b64 exec, exec, s[18:19]
	s_add_i32 s24, s24, 1
	s_cmp_eq_u32 s24, s6
	s_cbranch_scc1 .LBB101_1123
.LBB101_1101:                           ; =>This Loop Header: Depth=1
                                        ;     Child Loop BB101_1103 Depth 2
	v_cmp_gt_i32_e32 vcc, s24, v16
	s_and_b64 s[18:19], s[4:5], vcc
	s_and_saveexec_b64 s[10:11], s[18:19]
	s_cbranch_execz .LBB101_1104
; %bb.1102:                             ;   in Loop: Header=BB101_1101 Depth=1
	global_load_dword v16, v4, s[16:17]
	s_waitcnt vmcnt(0)
	v_cmp_le_i32_e32 vcc, s24, v16
	s_cbranch_vccnz .LBB101_1104
.LBB101_1103:                           ;   Parent Loop BB101_1101 Depth=1
                                        ; =>  This Inner Loop Header: Depth=2
	buffer_wbinvl1_vol
	global_load_dword v16, v4, s[16:17]
	s_waitcnt vmcnt(0)
	v_cmp_gt_i32_e32 vcc, s24, v16
	s_cbranch_vccnz .LBB101_1103
.LBB101_1104:                           ;   in Loop: Header=BB101_1101 Depth=1
	s_or_b64 exec, exec, s[10:11]
	s_lshl_b32 s30, s24, 6
	buffer_wbinvl1_vol
	s_barrier
	s_and_saveexec_b64 s[10:11], s[12:13]
	s_cbranch_execz .LBB101_1108
; %bb.1105:                             ;   in Loop: Header=BB101_1101 Depth=1
	v_or_b32_e32 v5, s30, v11
	v_cmp_gt_i32_e32 vcc, s7, v5
	v_mov_b32_e32 v3, 0
	s_and_saveexec_b64 s[18:19], vcc
	s_cbranch_execz .LBB101_1107
; %bb.1106:                             ;   in Loop: Header=BB101_1101 Depth=1
	v_mad_u64_u32 v[17:18], s[34:35], s26, v5, 0
	v_mov_b32_e32 v3, v18
	v_mad_u64_u32 v[5:6], s[34:35], s27, v5, v[3:4]
	v_mov_b32_e32 v3, s21
	v_mov_b32_e32 v18, v5
	v_lshlrev_b64 v[5:6], 2, v[17:18]
	v_add_co_u32_e32 v5, vcc, s20, v5
	v_addc_co_u32_e32 v6, vcc, v3, v6, vcc
	flat_load_dword v3, v[5:6]
.LBB101_1107:                           ;   in Loop: Header=BB101_1101 Depth=1
	s_or_b64 exec, exec, s[18:19]
	s_waitcnt vmcnt(0) lgkmcnt(0)
	ds_write_b32 v1, v3
.LBB101_1108:                           ;   in Loop: Header=BB101_1101 Depth=1
	s_or_b64 exec, exec, s[10:11]
	v_add_u32_e32 v3, s30, v2
	v_lshlrev_b64 v[5:6], 2, v[3:4]
	s_cmp_lg_u32 s24, s25
	v_add_co_u32_e32 v5, vcc, v14, v5
	s_cselect_b64 s[10:11], -1, 0
	v_addc_co_u32_e32 v6, vcc, v15, v6, vcc
	v_cmp_gt_i32_e32 vcc, s7, v3
	v_cndmask_b32_e64 v17, 0, 1, s[10:11]
	s_and_b64 s[30:31], vcc, s[8:9]
	v_cmp_ne_u32_e64 s[10:11], 1, v17
	s_waitcnt lgkmcnt(0)
	s_barrier
	s_and_saveexec_b64 s[18:19], s[30:31]
	s_cbranch_execz .LBB101_1112
; %bb.1109:                             ;   in Loop: Header=BB101_1101 Depth=1
	s_and_b64 vcc, exec, s[10:11]
	v_mov_b32_e32 v17, v8
	s_cbranch_vccnz .LBB101_1111
; %bb.1110:                             ;   in Loop: Header=BB101_1101 Depth=1
	flat_load_dword v17, v[5:6]
.LBB101_1111:                           ;   in Loop: Header=BB101_1101 Depth=1
	ds_read_b32 v18, v13
	s_waitcnt vmcnt(0) lgkmcnt(0)
	v_fmac_f32_e32 v12, v17, v18
.LBB101_1112:                           ;   in Loop: Header=BB101_1101 Depth=1
	s_or_b64 exec, exec, s[18:19]
	v_add_u32_e32 v17, 16, v3
	v_cmp_gt_i32_e32 vcc, s7, v17
	s_and_b64 s[30:31], vcc, s[8:9]
	s_and_saveexec_b64 s[18:19], s[30:31]
	s_cbranch_execz .LBB101_1116
; %bb.1113:                             ;   in Loop: Header=BB101_1101 Depth=1
	s_and_b64 vcc, exec, s[10:11]
	v_mov_b32_e32 v17, v7
	s_cbranch_vccnz .LBB101_1115
; %bb.1114:                             ;   in Loop: Header=BB101_1101 Depth=1
	flat_load_dword v17, v[5:6] offset:64
.LBB101_1115:                           ;   in Loop: Header=BB101_1101 Depth=1
	ds_read_b32 v18, v13 offset:64
	s_waitcnt vmcnt(0) lgkmcnt(0)
	v_fmac_f32_e32 v12, v17, v18
.LBB101_1116:                           ;   in Loop: Header=BB101_1101 Depth=1
	s_or_b64 exec, exec, s[18:19]
	v_add_u32_e32 v17, 32, v3
	v_cmp_gt_i32_e32 vcc, s7, v17
	s_and_b64 s[30:31], vcc, s[8:9]
	s_and_saveexec_b64 s[18:19], s[30:31]
	s_cbranch_execz .LBB101_1120
; %bb.1117:                             ;   in Loop: Header=BB101_1101 Depth=1
	s_and_b64 vcc, exec, s[10:11]
	v_mov_b32_e32 v17, v10
	s_cbranch_vccnz .LBB101_1119
; %bb.1118:                             ;   in Loop: Header=BB101_1101 Depth=1
	flat_load_dword v17, v[5:6] offset:128
.LBB101_1119:                           ;   in Loop: Header=BB101_1101 Depth=1
	ds_read_b32 v18, v13 offset:128
	s_waitcnt vmcnt(0) lgkmcnt(0)
	v_fmac_f32_e32 v12, v17, v18
.LBB101_1120:                           ;   in Loop: Header=BB101_1101 Depth=1
	s_or_b64 exec, exec, s[18:19]
	v_add_u32_e32 v3, 48, v3
	v_cmp_gt_i32_e32 vcc, s7, v3
	s_and_b64 s[30:31], vcc, s[8:9]
	s_and_saveexec_b64 s[18:19], s[30:31]
	s_cbranch_execz .LBB101_1100
; %bb.1121:                             ;   in Loop: Header=BB101_1101 Depth=1
	s_and_b64 vcc, exec, s[10:11]
	v_mov_b32_e32 v3, v9
	s_cbranch_vccnz .LBB101_1099
; %bb.1122:                             ;   in Loop: Header=BB101_1101 Depth=1
	flat_load_dword v3, v[5:6] offset:192
	s_branch .LBB101_1099
.LBB101_1123:
	v_lshl_add_u32 v1, v2, 6, v0
	s_xor_b64 s[4:5], s[22:23], -1
	v_lshlrev_b32_e32 v1, 2, v1
	ds_write_b32 v1, v12 offset:16384
	s_waitcnt lgkmcnt(0)
	s_barrier
	s_and_saveexec_b64 s[6:7], s[2:3]
	s_cbranch_execz .LBB101_1125
; %bb.1124:
	v_lshlrev_b32_e32 v15, 2, v0
	ds_read2st64_b32 v[3:4], v15 offset0:65 offset1:66
	ds_read2st64_b32 v[5:6], v15 offset0:67 offset1:68
	;; [unrolled: 1-line block ×5, first 2 shown]
	s_waitcnt lgkmcnt(4)
	v_add_f32_e32 v3, v12, v3
	v_add_f32_e32 v3, v3, v4
	s_waitcnt lgkmcnt(3)
	v_add_f32_e32 v3, v3, v5
	v_add_f32_e32 v3, v3, v6
	s_waitcnt lgkmcnt(2)
	v_add_f32_e32 v3, v3, v7
	v_add_f32_e32 v3, v3, v8
	s_waitcnt lgkmcnt(1)
	v_add_f32_e32 v3, v3, v9
	v_add_f32_e32 v7, v3, v10
	ds_read2st64_b32 v[3:4], v15 offset0:75 offset1:76
	ds_read2st64_b32 v[5:6], v15 offset0:77 offset1:78
	ds_read_b32 v8, v15 offset:20224
	s_waitcnt lgkmcnt(3)
	v_add_f32_e32 v7, v7, v13
	v_add_f32_e32 v7, v7, v14
	s_waitcnt lgkmcnt(2)
	v_add_f32_e32 v3, v7, v3
	v_add_f32_e32 v3, v3, v4
	;; [unrolled: 3-line block ×3, first 2 shown]
	s_waitcnt lgkmcnt(0)
	v_add_f32_e32 v3, v3, v8
	v_cndmask_b32_e64 v12, -v3, 0, s[14:15]
.LBB101_1125:
	s_or_b64 exec, exec, s[6:7]
	s_and_b64 vcc, exec, s[56:57]
	s_cbranch_vccnz .LBB101_1138
; %bb.1126:
	v_mov_b32_e32 v3, 0x5000
	v_lshl_or_b32 v4, v2, 2, v3
	s_and_saveexec_b64 s[6:7], s[2:3]
; %bb.1127:
	v_lshl_add_u32 v3, v0, 2, v4
	ds_write_b32 v3, v12
; %bb.1128:
	s_or_b64 exec, exec, s[6:7]
	v_cmp_le_u32_e32 vcc, v2, v0
	v_mov_b32_e32 v3, 0
	s_waitcnt lgkmcnt(0)
	s_barrier
	s_and_saveexec_b64 s[6:7], vcc
	s_cbranch_execz .LBB101_1130
; %bb.1129:
	ds_read_b32 v3, v1
	ds_read_b32 v5, v4
	s_waitcnt lgkmcnt(0)
	v_fma_f32 v3, v3, v5, 0
.LBB101_1130:
	s_or_b64 exec, exec, s[6:7]
	v_add_u32_e32 v5, 16, v2
	v_cmp_ge_u32_e32 vcc, v0, v5
	s_and_saveexec_b64 s[6:7], vcc
	s_cbranch_execz .LBB101_1132
; %bb.1131:
	ds_read_b32 v5, v1 offset:4096
	ds_read_b32 v6, v4 offset:64
	s_waitcnt lgkmcnt(0)
	v_fmac_f32_e32 v3, v5, v6
.LBB101_1132:
	s_or_b64 exec, exec, s[6:7]
	v_add_u32_e32 v5, 32, v2
	v_cmp_ge_u32_e32 vcc, v0, v5
	s_and_saveexec_b64 s[6:7], vcc
	s_cbranch_execz .LBB101_1134
; %bb.1133:
	ds_read_b32 v5, v1 offset:8192
	ds_read_b32 v6, v4 offset:128
	s_waitcnt lgkmcnt(0)
	v_fmac_f32_e32 v3, v5, v6
.LBB101_1134:
	s_or_b64 exec, exec, s[6:7]
	v_add_u32_e32 v2, 48, v2
	v_add_u32_e32 v5, 0x4000, v1
	v_cmp_ge_u32_e32 vcc, v0, v2
	s_and_saveexec_b64 s[6:7], vcc
	s_cbranch_execz .LBB101_1136
; %bb.1135:
	ds_read_b32 v1, v1 offset:12288
	ds_read_b32 v2, v4 offset:192
	s_waitcnt lgkmcnt(0)
	v_fmac_f32_e32 v3, v1, v2
.LBB101_1136:
	s_or_b64 exec, exec, s[6:7]
	s_mov_b64 s[8:9], 0
	s_mov_b64 s[6:7], 0
	ds_write_b32 v5, v3
	s_waitcnt lgkmcnt(0)
	s_barrier
                                        ; implicit-def: $vgpr4
                                        ; implicit-def: $vgpr1_vgpr2
	s_and_saveexec_b64 s[10:11], s[2:3]
	s_cbranch_execz .LBB101_1195
; %bb.1137:
	v_lshlrev_b32_e32 v10, 2, v0
	ds_read2st64_b32 v[1:2], v10 offset0:65 offset1:66
	ds_read2st64_b32 v[4:5], v10 offset0:67 offset1:68
	;; [unrolled: 1-line block ×4, first 2 shown]
	s_mov_b64 s[6:7], exec
	s_waitcnt lgkmcnt(3)
	v_add_f32_e32 v1, v3, v1
	v_add_f32_e32 v1, v2, v1
	s_waitcnt lgkmcnt(2)
	v_add_f32_e32 v1, v4, v1
	v_add_f32_e32 v1, v5, v1
	ds_read2st64_b32 v[2:3], v10 offset0:73 offset1:74
	s_waitcnt lgkmcnt(2)
	v_add_f32_e32 v1, v6, v1
	v_add_f32_e32 v1, v7, v1
	s_waitcnt lgkmcnt(1)
	v_add_f32_e32 v1, v8, v1
	v_add_f32_e32 v1, v9, v1
	ds_read2st64_b32 v[4:5], v10 offset0:75 offset1:76
	ds_read2st64_b32 v[6:7], v10 offset0:77 offset1:78
	ds_read_b32 v8, v10 offset:20224
	v_add_u32_e32 v10, s33, v11
	s_waitcnt lgkmcnt(3)
	v_add_f32_e32 v9, v2, v1
	v_mad_u64_u32 v[1:2], s[12:13], s26, v10, 0
	v_add_f32_e32 v3, v3, v9
	s_waitcnt lgkmcnt(2)
	v_add_f32_e32 v3, v4, v3
	v_add_f32_e32 v4, v5, v3
	v_mad_u64_u32 v[2:3], s[12:13], s27, v10, v[2:3]
	s_waitcnt lgkmcnt(1)
	v_add_f32_e32 v3, v6, v4
	v_add_f32_e32 v3, v7, v3
	s_waitcnt lgkmcnt(0)
	v_add_f32_e32 v4, v8, v3
	s_or_b64 exec, exec, s[10:11]
	s_and_b64 vcc, exec, s[8:9]
	s_cbranch_vccnz .LBB101_1139
	s_branch .LBB101_1196
.LBB101_1138:
	s_mov_b64 s[6:7], 0
                                        ; implicit-def: $vgpr4
                                        ; implicit-def: $vgpr1_vgpr2
	s_cbranch_execz .LBB101_1196
.LBB101_1139:
	v_mul_u32_u24_e32 v1, 0x104, v0
	v_lshlrev_b32_e32 v2, 8, v0
	v_sub_u32_e32 v2, v1, v2
	s_mov_b32 s10, 0
	v_mov_b32_e32 v3, 0
	v_mov_b32_e32 v4, v0
	s_branch .LBB101_1141
.LBB101_1140:                           ;   in Loop: Header=BB101_1141 Depth=1
	s_or_b64 exec, exec, s[8:9]
	s_add_i32 s10, s10, 4
	v_add_u32_e32 v2, 0x400, v2
	s_cmp_lg_u32 s10, 64
	v_add_u32_e32 v4, -4, v4
	s_barrier
	s_cbranch_scc0 .LBB101_1157
.LBB101_1141:                           ; =>This Inner Loop Header: Depth=1
	v_cmp_eq_u32_e32 vcc, 0, v4
	s_and_b64 s[12:13], s[2:3], vcc
	s_and_saveexec_b64 s[8:9], s[12:13]
	s_cbranch_execz .LBB101_1143
; %bb.1142:                             ;   in Loop: Header=BB101_1141 Depth=1
	ds_read_b32 v5, v1
	s_waitcnt lgkmcnt(0)
	v_mul_f32_e32 v12, v12, v5
	ds_write_b32 v3, v12 offset:20736
.LBB101_1143:                           ;   in Loop: Header=BB101_1141 Depth=1
	s_or_b64 exec, exec, s[8:9]
	v_cmp_lt_u32_e32 vcc, s10, v0
	s_and_b64 s[12:13], s[2:3], vcc
	s_waitcnt lgkmcnt(0)
	s_barrier
	s_and_saveexec_b64 s[8:9], s[12:13]
	s_cbranch_execz .LBB101_1145
; %bb.1144:                             ;   in Loop: Header=BB101_1141 Depth=1
	ds_read_b32 v5, v2
	ds_read_b32 v6, v3 offset:20736
	s_waitcnt lgkmcnt(0)
	v_fmac_f32_e32 v12, v5, v6
.LBB101_1145:                           ;   in Loop: Header=BB101_1141 Depth=1
	s_or_b64 exec, exec, s[8:9]
	s_or_b32 s11, s10, 1
	v_cmp_eq_u32_e32 vcc, s11, v0
	s_and_b64 s[12:13], s[2:3], vcc
	s_barrier
	s_and_saveexec_b64 s[8:9], s[12:13]
	s_cbranch_execz .LBB101_1147
; %bb.1146:                             ;   in Loop: Header=BB101_1141 Depth=1
	ds_read_b32 v5, v1
	s_waitcnt lgkmcnt(0)
	v_mul_f32_e32 v12, v12, v5
	ds_write_b32 v3, v12 offset:20736
.LBB101_1147:                           ;   in Loop: Header=BB101_1141 Depth=1
	s_or_b64 exec, exec, s[8:9]
	v_cmp_lt_u32_e32 vcc, s11, v0
	s_and_b64 s[12:13], s[2:3], vcc
	s_waitcnt lgkmcnt(0)
	s_barrier
	s_and_saveexec_b64 s[8:9], s[12:13]
	s_cbranch_execz .LBB101_1149
; %bb.1148:                             ;   in Loop: Header=BB101_1141 Depth=1
	ds_read_b32 v5, v2 offset:256
	ds_read_b32 v6, v3 offset:20736
	s_waitcnt lgkmcnt(0)
	v_fmac_f32_e32 v12, v5, v6
.LBB101_1149:                           ;   in Loop: Header=BB101_1141 Depth=1
	s_or_b64 exec, exec, s[8:9]
	s_or_b32 s11, s10, 2
	v_cmp_eq_u32_e32 vcc, s11, v0
	s_and_b64 s[12:13], s[2:3], vcc
	s_barrier
	s_and_saveexec_b64 s[8:9], s[12:13]
	s_cbranch_execz .LBB101_1151
; %bb.1150:                             ;   in Loop: Header=BB101_1141 Depth=1
	ds_read_b32 v5, v1
	s_waitcnt lgkmcnt(0)
	v_mul_f32_e32 v12, v12, v5
	ds_write_b32 v3, v12 offset:20736
.LBB101_1151:                           ;   in Loop: Header=BB101_1141 Depth=1
	s_or_b64 exec, exec, s[8:9]
	v_cmp_lt_u32_e32 vcc, s11, v0
	s_and_b64 s[12:13], s[2:3], vcc
	s_waitcnt lgkmcnt(0)
	s_barrier
	s_and_saveexec_b64 s[8:9], s[12:13]
	s_cbranch_execz .LBB101_1153
; %bb.1152:                             ;   in Loop: Header=BB101_1141 Depth=1
	ds_read_b32 v5, v2 offset:512
	ds_read_b32 v6, v3 offset:20736
	s_waitcnt lgkmcnt(0)
	v_fmac_f32_e32 v12, v5, v6
.LBB101_1153:                           ;   in Loop: Header=BB101_1141 Depth=1
	s_or_b64 exec, exec, s[8:9]
	s_or_b32 s11, s10, 3
	v_cmp_eq_u32_e32 vcc, s11, v0
	s_and_b64 s[12:13], s[2:3], vcc
	s_barrier
	s_and_saveexec_b64 s[8:9], s[12:13]
	s_cbranch_execz .LBB101_1155
; %bb.1154:                             ;   in Loop: Header=BB101_1141 Depth=1
	ds_read_b32 v5, v1
	s_waitcnt lgkmcnt(0)
	v_mul_f32_e32 v12, v12, v5
	ds_write_b32 v3, v12 offset:20736
.LBB101_1155:                           ;   in Loop: Header=BB101_1141 Depth=1
	s_or_b64 exec, exec, s[8:9]
	v_cmp_lt_u32_e32 vcc, s11, v0
	s_and_b64 s[12:13], s[2:3], vcc
	s_waitcnt lgkmcnt(0)
	s_barrier
	s_and_saveexec_b64 s[8:9], s[12:13]
	s_cbranch_execz .LBB101_1140
; %bb.1156:                             ;   in Loop: Header=BB101_1141 Depth=1
	ds_read_b32 v5, v2 offset:768
	ds_read_b32 v6, v3 offset:20736
	s_waitcnt lgkmcnt(0)
	v_fmac_f32_e32 v12, v5, v6
	s_branch .LBB101_1140
.LBB101_1157:
	s_and_b64 vcc, exec, s[4:5]
	s_cbranch_vccz .LBB101_1197
; %bb.1158:
	s_and_b64 s[4:5], s[2:3], exec
	s_cbranch_execz .LBB101_1198
	s_branch .LBB101_1199
.LBB101_1159:
	v_cmp_ne_u32_e32 vcc, v0, v2
	s_and_saveexec_b64 s[12:13], vcc
	s_xor_b64 s[12:13], exec, s[12:13]
; %bb.1160:
	v_or_b32_e32 v1, v2, v0
	v_cmp_gt_u32_e32 vcc, 64, v1
	s_and_b64 s[10:11], vcc, exec
                                        ; implicit-def: $vgpr5_vgpr6
; %bb.1161:
	s_or_saveexec_b64 s[12:13], s[12:13]
	v_mov_b32_e32 v1, 0
	s_xor_b64 exec, exec, s[12:13]
	s_cbranch_execz .LBB101_1163
; %bb.1162:
	v_lshlrev_b64 v[5:6], 2, v[5:6]
	v_mov_b32_e32 v1, s88
	v_add_co_u32_e32 v5, vcc, s87, v5
	v_addc_co_u32_e32 v6, vcc, v1, v6, vcc
	flat_load_dword v1, v[5:6]
	s_or_b64 s[10:11], s[10:11], exec
	s_waitcnt vmcnt(0) lgkmcnt(0)
	v_div_scale_f32 v5, s[14:15], v1, v1, 1.0
	v_div_scale_f32 v6, vcc, 1.0, v1, 1.0
	v_rcp_f32_e32 v12, v5
	v_fma_f32 v13, -v5, v12, 1.0
	v_fmac_f32_e32 v12, v13, v12
	v_mul_f32_e32 v13, v6, v12
	v_fma_f32 v14, -v5, v13, v6
	v_fmac_f32_e32 v13, v14, v12
	v_fma_f32 v5, -v5, v13, v6
	v_div_fmas_f32 v5, v5, v12, v13
	v_div_fixup_f32 v1, v5, v1, 1.0
.LBB101_1163:
	s_or_b64 exec, exec, s[12:13]
	s_and_b64 s[10:11], s[10:11], exec
                                        ; implicit-def: $vgpr5_vgpr6
	s_andn2_saveexec_b64 s[8:9], s[8:9]
	s_cbranch_execz .LBB101_14
.LBB101_1164:
	v_lshlrev_b64 v[5:6], 2, v[5:6]
	v_mov_b32_e32 v1, s88
	v_add_co_u32_e32 v5, vcc, s87, v5
	v_addc_co_u32_e32 v6, vcc, v1, v6, vcc
	flat_load_dword v1, v[5:6]
	s_or_b64 s[10:11], s[10:11], exec
	s_waitcnt vmcnt(0) lgkmcnt(0)
	v_xor_b32_e32 v1, 0x80000000, v1
	s_or_b64 exec, exec, s[8:9]
	s_and_saveexec_b64 s[8:9], s[10:11]
	s_cbranch_execnz .LBB101_15
	s_branch .LBB101_16
.LBB101_1165:
	v_cmp_ne_u32_e32 vcc, v0, v1
	s_and_saveexec_b64 s[10:11], vcc
	s_xor_b64 s[10:11], exec, s[10:11]
; %bb.1166:
	v_or_b32_e32 v5, v1, v0
	v_cmp_gt_u32_e32 vcc, 64, v5
	s_and_b64 s[8:9], vcc, exec
                                        ; implicit-def: $vgpr5_vgpr6
; %bb.1167:
	s_or_saveexec_b64 s[10:11], s[10:11]
	v_mov_b32_e32 v12, 0
	s_xor_b64 exec, exec, s[10:11]
	s_cbranch_execz .LBB101_1169
; %bb.1168:
	v_lshlrev_b64 v[5:6], 2, v[5:6]
	v_mov_b32_e32 v12, s88
	v_add_co_u32_e32 v5, vcc, s87, v5
	v_addc_co_u32_e32 v6, vcc, v12, v6, vcc
	flat_load_dword v5, v[5:6]
	s_or_b64 s[8:9], s[8:9], exec
	s_waitcnt vmcnt(0) lgkmcnt(0)
	v_div_scale_f32 v6, s[12:13], v5, v5, 1.0
	v_div_scale_f32 v12, vcc, 1.0, v5, 1.0
	v_rcp_f32_e32 v13, v6
	v_fma_f32 v14, -v6, v13, 1.0
	v_fmac_f32_e32 v13, v14, v13
	v_mul_f32_e32 v14, v12, v13
	v_fma_f32 v15, -v6, v14, v12
	v_fmac_f32_e32 v14, v15, v13
	v_fma_f32 v6, -v6, v14, v12
	v_div_fmas_f32 v6, v6, v13, v14
	v_div_fixup_f32 v12, v6, v5, 1.0
.LBB101_1169:
	s_or_b64 exec, exec, s[10:11]
	s_and_b64 s[8:9], s[8:9], exec
                                        ; implicit-def: $vgpr5_vgpr6
	s_andn2_saveexec_b64 s[2:3], s[2:3]
	s_cbranch_execz .LBB101_18
.LBB101_1170:
	v_lshlrev_b64 v[5:6], 2, v[5:6]
	v_mov_b32_e32 v12, s88
	v_add_co_u32_e32 v5, vcc, s87, v5
	v_addc_co_u32_e32 v6, vcc, v12, v6, vcc
	flat_load_dword v5, v[5:6]
	s_or_b64 s[8:9], s[8:9], exec
	s_waitcnt vmcnt(0) lgkmcnt(0)
	v_xor_b32_e32 v12, 0x80000000, v5
	s_or_b64 exec, exec, s[2:3]
	s_and_saveexec_b64 s[2:3], s[8:9]
	s_cbranch_execnz .LBB101_19
	s_branch .LBB101_20
.LBB101_1171:
	v_cmp_ne_u32_e32 vcc, v0, v1
	s_and_saveexec_b64 s[10:11], vcc
	s_xor_b64 s[10:11], exec, s[10:11]
; %bb.1172:
	v_or_b32_e32 v5, v1, v0
	v_cmp_gt_u32_e32 vcc, 64, v5
	s_and_b64 s[8:9], vcc, exec
                                        ; implicit-def: $vgpr5_vgpr6
; %bb.1173:
	s_or_saveexec_b64 s[10:11], s[10:11]
	v_mov_b32_e32 v12, 0
	s_xor_b64 exec, exec, s[10:11]
	s_cbranch_execz .LBB101_1175
; %bb.1174:
	v_lshlrev_b64 v[5:6], 2, v[5:6]
	v_mov_b32_e32 v12, s88
	v_add_co_u32_e32 v5, vcc, s87, v5
	v_addc_co_u32_e32 v6, vcc, v12, v6, vcc
	flat_load_dword v5, v[5:6]
	s_or_b64 s[8:9], s[8:9], exec
	s_waitcnt vmcnt(0) lgkmcnt(0)
	v_div_scale_f32 v6, s[12:13], v5, v5, 1.0
	v_div_scale_f32 v12, vcc, 1.0, v5, 1.0
	v_rcp_f32_e32 v13, v6
	v_fma_f32 v14, -v6, v13, 1.0
	v_fmac_f32_e32 v13, v14, v13
	v_mul_f32_e32 v14, v12, v13
	v_fma_f32 v15, -v6, v14, v12
	v_fmac_f32_e32 v14, v15, v13
	v_fma_f32 v6, -v6, v14, v12
	v_div_fmas_f32 v6, v6, v13, v14
	v_div_fixup_f32 v12, v6, v5, 1.0
.LBB101_1175:
	s_or_b64 exec, exec, s[10:11]
	s_and_b64 s[8:9], s[8:9], exec
                                        ; implicit-def: $vgpr5_vgpr6
	s_andn2_saveexec_b64 s[2:3], s[2:3]
	s_cbranch_execz .LBB101_22
.LBB101_1176:
	v_lshlrev_b64 v[5:6], 2, v[5:6]
	v_mov_b32_e32 v12, s88
	v_add_co_u32_e32 v5, vcc, s87, v5
	v_addc_co_u32_e32 v6, vcc, v12, v6, vcc
	flat_load_dword v5, v[5:6]
	s_or_b64 s[8:9], s[8:9], exec
	s_waitcnt vmcnt(0) lgkmcnt(0)
	v_xor_b32_e32 v12, 0x80000000, v5
	s_or_b64 exec, exec, s[2:3]
	s_and_saveexec_b64 s[2:3], s[8:9]
	s_cbranch_execnz .LBB101_23
	s_branch .LBB101_24
.LBB101_1177:
	v_cmp_ne_u32_e32 vcc, v0, v2
	s_xor_b64 s[12:13], s[2:3], -1
	s_or_b64 s[14:15], s[12:13], vcc
	s_mov_b64 s[12:13], 0
	s_and_saveexec_b64 s[16:17], s[14:15]
	s_xor_b64 s[14:15], exec, s[16:17]
; %bb.1178:
	v_or_b32_e32 v1, v2, v0
	v_cmp_gt_u32_e32 vcc, 64, v1
	s_and_b64 s[12:13], vcc, exec
                                        ; implicit-def: $vgpr5_vgpr6
; %bb.1179:
	s_or_saveexec_b64 s[14:15], s[14:15]
	v_mov_b32_e32 v1, 0
	s_xor_b64 exec, exec, s[14:15]
	s_cbranch_execz .LBB101_1181
; %bb.1180:
	v_lshlrev_b64 v[5:6], 2, v[5:6]
	v_mov_b32_e32 v1, s88
	v_add_co_u32_e32 v5, vcc, s87, v5
	v_addc_co_u32_e32 v6, vcc, v1, v6, vcc
	flat_load_dword v1, v[5:6]
	s_or_b64 s[12:13], s[12:13], exec
	s_waitcnt vmcnt(0) lgkmcnt(0)
	v_div_scale_f32 v5, s[16:17], v1, v1, 1.0
	v_div_scale_f32 v6, vcc, 1.0, v1, 1.0
	v_rcp_f32_e32 v12, v5
	v_fma_f32 v13, -v5, v12, 1.0
	v_fmac_f32_e32 v12, v13, v12
	v_mul_f32_e32 v13, v6, v12
	v_fma_f32 v14, -v5, v13, v6
	v_fmac_f32_e32 v13, v14, v12
	v_fma_f32 v5, -v5, v13, v6
	v_div_fmas_f32 v5, v5, v12, v13
	v_div_fixup_f32 v1, v5, v1, 1.0
.LBB101_1181:
	s_or_b64 exec, exec, s[14:15]
	s_and_b64 s[12:13], s[12:13], exec
                                        ; implicit-def: $vgpr5_vgpr6
	s_andn2_saveexec_b64 s[8:9], s[8:9]
	s_cbranch_execz .LBB101_36
.LBB101_1182:
	v_lshlrev_b64 v[5:6], 2, v[5:6]
	v_mov_b32_e32 v1, s88
	v_add_co_u32_e32 v5, vcc, s87, v5
	v_addc_co_u32_e32 v6, vcc, v1, v6, vcc
	flat_load_dword v1, v[5:6]
	s_or_b64 s[12:13], s[12:13], exec
	s_waitcnt vmcnt(0) lgkmcnt(0)
	v_xor_b32_e32 v1, 0x80000000, v1
	s_or_b64 exec, exec, s[8:9]
	s_and_saveexec_b64 s[8:9], s[12:13]
	s_cbranch_execnz .LBB101_37
	s_branch .LBB101_38
.LBB101_1183:
	v_cmp_ne_u32_e32 vcc, v0, v1
	s_xor_b64 s[12:13], s[2:3], -1
	s_or_b64 s[14:15], s[12:13], vcc
	s_mov_b64 s[12:13], 0
	s_and_saveexec_b64 s[16:17], s[14:15]
	s_xor_b64 s[14:15], exec, s[16:17]
; %bb.1184:
	v_or_b32_e32 v5, v1, v0
	v_cmp_gt_u32_e32 vcc, 64, v5
	s_and_b64 s[12:13], vcc, exec
                                        ; implicit-def: $vgpr5_vgpr6
; %bb.1185:
	s_or_saveexec_b64 s[14:15], s[14:15]
	v_mov_b32_e32 v12, 0
	s_xor_b64 exec, exec, s[14:15]
	s_cbranch_execz .LBB101_1187
; %bb.1186:
	v_lshlrev_b64 v[5:6], 2, v[5:6]
	v_mov_b32_e32 v12, s88
	v_add_co_u32_e32 v5, vcc, s87, v5
	v_addc_co_u32_e32 v6, vcc, v12, v6, vcc
	flat_load_dword v5, v[5:6]
	s_or_b64 s[12:13], s[12:13], exec
	s_waitcnt vmcnt(0) lgkmcnt(0)
	v_div_scale_f32 v6, s[16:17], v5, v5, 1.0
	v_div_scale_f32 v12, vcc, 1.0, v5, 1.0
	v_rcp_f32_e32 v13, v6
	v_fma_f32 v14, -v6, v13, 1.0
	v_fmac_f32_e32 v13, v14, v13
	v_mul_f32_e32 v14, v12, v13
	v_fma_f32 v15, -v6, v14, v12
	v_fmac_f32_e32 v14, v15, v13
	v_fma_f32 v6, -v6, v14, v12
	v_div_fmas_f32 v6, v6, v13, v14
	v_div_fixup_f32 v12, v6, v5, 1.0
.LBB101_1187:
	s_or_b64 exec, exec, s[14:15]
	s_and_b64 s[12:13], s[12:13], exec
                                        ; implicit-def: $vgpr5_vgpr6
	s_andn2_saveexec_b64 s[8:9], s[8:9]
	s_cbranch_execz .LBB101_40
.LBB101_1188:
	v_lshlrev_b64 v[5:6], 2, v[5:6]
	v_mov_b32_e32 v12, s88
	v_add_co_u32_e32 v5, vcc, s87, v5
	v_addc_co_u32_e32 v6, vcc, v12, v6, vcc
	flat_load_dword v5, v[5:6]
	s_or_b64 s[12:13], s[12:13], exec
	s_waitcnt vmcnt(0) lgkmcnt(0)
	v_xor_b32_e32 v12, 0x80000000, v5
	s_or_b64 exec, exec, s[8:9]
	s_and_saveexec_b64 s[8:9], s[12:13]
	s_cbranch_execnz .LBB101_41
	s_branch .LBB101_42
.LBB101_1189:
	v_cmp_ne_u32_e32 vcc, v0, v1
	s_xor_b64 s[12:13], s[2:3], -1
	s_or_b64 s[14:15], s[12:13], vcc
	s_mov_b64 s[12:13], 0
	s_and_saveexec_b64 s[16:17], s[14:15]
	s_xor_b64 s[14:15], exec, s[16:17]
; %bb.1190:
	v_or_b32_e32 v5, v1, v0
	v_cmp_gt_u32_e32 vcc, 64, v5
	s_and_b64 s[12:13], vcc, exec
                                        ; implicit-def: $vgpr5_vgpr6
; %bb.1191:
	s_or_saveexec_b64 s[14:15], s[14:15]
	v_mov_b32_e32 v12, 0
	s_xor_b64 exec, exec, s[14:15]
	s_cbranch_execz .LBB101_1193
; %bb.1192:
	v_lshlrev_b64 v[5:6], 2, v[5:6]
	v_mov_b32_e32 v12, s88
	v_add_co_u32_e32 v5, vcc, s87, v5
	v_addc_co_u32_e32 v6, vcc, v12, v6, vcc
	flat_load_dword v5, v[5:6]
	s_or_b64 s[12:13], s[12:13], exec
	s_waitcnt vmcnt(0) lgkmcnt(0)
	v_div_scale_f32 v6, s[16:17], v5, v5, 1.0
	v_div_scale_f32 v12, vcc, 1.0, v5, 1.0
	v_rcp_f32_e32 v13, v6
	v_fma_f32 v14, -v6, v13, 1.0
	v_fmac_f32_e32 v13, v14, v13
	v_mul_f32_e32 v14, v12, v13
	v_fma_f32 v15, -v6, v14, v12
	v_fmac_f32_e32 v14, v15, v13
	v_fma_f32 v6, -v6, v14, v12
	v_div_fmas_f32 v6, v6, v13, v14
	v_div_fixup_f32 v12, v6, v5, 1.0
.LBB101_1193:
	s_or_b64 exec, exec, s[14:15]
	s_and_b64 s[12:13], s[12:13], exec
                                        ; implicit-def: $vgpr5_vgpr6
	s_andn2_saveexec_b64 s[8:9], s[8:9]
	s_cbranch_execz .LBB101_44
.LBB101_1194:
	v_lshlrev_b64 v[5:6], 2, v[5:6]
	v_mov_b32_e32 v12, s88
	v_add_co_u32_e32 v5, vcc, s87, v5
	v_addc_co_u32_e32 v6, vcc, v12, v6, vcc
	flat_load_dword v5, v[5:6]
	s_or_b64 s[12:13], s[12:13], exec
	s_waitcnt vmcnt(0) lgkmcnt(0)
	v_xor_b32_e32 v12, 0x80000000, v5
	s_or_b64 exec, exec, s[8:9]
	s_and_saveexec_b64 s[8:9], s[12:13]
	s_cbranch_execnz .LBB101_45
	s_branch .LBB101_46
.LBB101_1195:
	s_or_b64 exec, exec, s[10:11]
	s_and_b64 vcc, exec, s[8:9]
	s_cbranch_vccnz .LBB101_1139
.LBB101_1196:
	v_mov_b32_e32 v12, v4
	s_and_saveexec_b64 s[2:3], s[6:7]
	s_cbranch_execnz .LBB101_1202
	s_branch .LBB101_1203
.LBB101_1197:
	s_mov_b64 s[4:5], 0
.LBB101_1198:
	v_cmp_gt_i32_e32 vcc, s86, v0
	s_and_b64 s[2:3], s[2:3], vcc
	s_andn2_b64 s[4:5], s[4:5], exec
	s_and_b64 s[2:3], s[2:3], exec
	s_or_b64 s[4:5], s[4:5], s[2:3]
.LBB101_1199:
                                        ; implicit-def: $vgpr1_vgpr2
	s_and_saveexec_b64 s[2:3], s[4:5]
	s_cbranch_execz .LBB101_1201
; %bb.1200:
	v_mov_b32_e32 v0, s44
	v_add_co_u32_e32 v1, vcc, s33, v11
	v_addc_co_u32_e32 v0, vcc, 0, v0, vcc
	v_mul_lo_u32 v0, v0, s26
	v_mul_lo_u32 v3, v1, s27
	v_mad_u64_u32 v[1:2], s[4:5], v1, s26, 0
	s_or_b64 s[6:7], s[6:7], exec
	v_add3_u32 v2, v2, v3, v0
.LBB101_1201:
	s_or_b64 exec, exec, s[2:3]
	s_and_saveexec_b64 s[2:3], s[6:7]
	s_cbranch_execz .LBB101_1203
.LBB101_1202:
	v_lshlrev_b64 v[0:1], 2, v[1:2]
	v_mov_b32_e32 v2, s21
	v_add_co_u32_e32 v0, vcc, s20, v0
	v_addc_co_u32_e32 v1, vcc, v2, v1, vcc
	flat_store_dword v[0:1], v12
.LBB101_1203:
	s_or_b64 exec, exec, s[2:3]
	v_cmp_eq_u32_e32 vcc, 0, v11
	s_waitcnt vmcnt(0) lgkmcnt(0)
	buffer_wbinvl1_vol
	s_barrier
	s_and_saveexec_b64 s[2:3], vcc
	s_cbranch_execz .LBB101_1205
; %bb.1204:
	s_lshl_b64 s[4:5], s[28:29], 2
	s_add_u32 s0, s0, s4
	s_addc_u32 s1, s1, s5
	v_mov_b32_e32 v0, 0
	global_load_dword v1, v0, s[0:1]
	s_waitcnt vmcnt(0)
	v_add_u32_e32 v1, 1, v1
	global_store_dword v0, v1, s[0:1]
.LBB101_1205:
	s_or_b64 exec, exec, s[2:3]
	s_waitcnt vmcnt(0)
	buffer_wbinvl1_vol
	s_endpgm
.LBB101_1206:
	ds_read_b32 v16, v15 offset:15840
	ds_read_b32 v17, v14 offset:15604
	s_waitcnt lgkmcnt(0)
	v_fmac_f32_e32 v13, v16, v17
	s_or_b64 exec, exec, s[14:15]
	v_cmp_gt_u32_e64 s[10:11], 8, v5
	s_and_saveexec_b64 s[14:15], s[10:11]
	s_cbranch_execz .LBB101_79
.LBB101_1207:
	ds_read_b32 v15, v15 offset:16096
	ds_read_b32 v14, v14 offset:15608
	s_waitcnt lgkmcnt(0)
	v_fmac_f32_e32 v13, v15, v14
	s_or_b64 exec, exec, s[14:15]
	v_cmp_gt_u32_e64 s[10:11], 4, v5
	s_and_saveexec_b64 s[14:15], s[10:11]
	s_cbranch_execnz .LBB101_80
	s_branch .LBB101_81
.LBB101_1208:
	ds_read_b32 v19, v18 offset:14784
	ds_read_b32 v20, v17 offset:14564
	s_waitcnt lgkmcnt(0)
	v_fmac_f32_e32 v16, v19, v20
	s_or_b64 exec, exec, s[16:17]
	v_cmp_gt_u32_e64 s[14:15], 48, v5
	s_and_saveexec_b64 s[16:17], s[14:15]
	s_cbranch_execz .LBB101_121
.LBB101_1209:
	ds_read_b32 v19, v18 offset:15040
	ds_read_b32 v20, v17 offset:14568
	s_waitcnt lgkmcnt(0)
	v_fmac_f32_e32 v16, v19, v20
	s_or_b64 exec, exec, s[16:17]
	v_cmp_gt_u32_e64 s[14:15], 40, v5
	s_and_saveexec_b64 s[16:17], s[14:15]
	s_cbranch_execz .LBB101_122
.LBB101_1210:
	ds_read_b32 v19, v18 offset:15296
	ds_read_b32 v20, v17 offset:14572
	s_waitcnt lgkmcnt(0)
	v_fmac_f32_e32 v16, v19, v20
	s_or_b64 exec, exec, s[16:17]
	v_cmp_gt_u32_e64 s[14:15], 32, v5
	s_and_saveexec_b64 s[16:17], s[14:15]
	s_cbranch_execz .LBB101_123
.LBB101_1211:
	ds_read_b32 v19, v18 offset:15552
	ds_read_b32 v20, v17 offset:14576
	s_waitcnt lgkmcnt(0)
	v_fmac_f32_e32 v16, v19, v20
	s_or_b64 exec, exec, s[16:17]
	v_cmp_gt_u32_e64 s[14:15], 24, v5
	s_and_saveexec_b64 s[16:17], s[14:15]
	s_cbranch_execz .LBB101_124
.LBB101_1212:
	ds_read_b32 v19, v18 offset:15808
	ds_read_b32 v20, v17 offset:14580
	s_waitcnt lgkmcnt(0)
	v_fmac_f32_e32 v16, v19, v20
	s_or_b64 exec, exec, s[16:17]
	s_and_saveexec_b64 s[14:15], s[18:19]
	s_cbranch_execz .LBB101_125
.LBB101_1213:
	ds_read_b32 v18, v18 offset:16064
	ds_read_b32 v17, v17 offset:14584
	s_waitcnt lgkmcnt(0)
	v_fmac_f32_e32 v16, v18, v17
	s_or_b64 exec, exec, s[14:15]
	v_cmp_gt_u32_e64 s[14:15], 8, v5
	s_and_saveexec_b64 s[16:17], s[14:15]
	s_cbranch_execnz .LBB101_126
	s_branch .LBB101_127
.LBB101_1214:
	ds_read_b32 v19, v18 offset:13760
	ds_read_b32 v20, v17 offset:13524
	s_waitcnt lgkmcnt(0)
	v_fmac_f32_e32 v16, v19, v20
	s_or_b64 exec, exec, s[14:15]
	v_cmp_gt_u32_e64 s[10:11], 8, v5
	s_and_saveexec_b64 s[14:15], s[10:11]
	s_cbranch_execz .LBB101_183
.LBB101_1215:
	ds_read_b32 v18, v18 offset:14016
	ds_read_b32 v17, v17 offset:13528
	s_waitcnt lgkmcnt(0)
	v_fmac_f32_e32 v16, v18, v17
	s_or_b64 exec, exec, s[14:15]
	v_cmp_gt_u32_e64 s[10:11], 4, v5
	s_and_saveexec_b64 s[14:15], s[10:11]
	s_cbranch_execnz .LBB101_184
	s_branch .LBB101_185
.LBB101_1216:
	ds_read_b32 v22, v21 offset:15232
	ds_read_b32 v23, v20 offset:12524
	s_waitcnt lgkmcnt(0)
	v_fmac_f32_e32 v19, v22, v23
	s_or_b64 exec, exec, s[20:21]
	s_and_saveexec_b64 s[16:17], s[8:9]
	s_cbranch_execz .LBB101_245
.LBB101_1217:
	ds_read_b32 v22, v21 offset:15488
	ds_read_b32 v23, v20 offset:12528
	s_waitcnt lgkmcnt(0)
	v_fmac_f32_e32 v19, v22, v23
	s_or_b64 exec, exec, s[16:17]
	v_cmp_gt_u32_e64 s[16:17], 48, v5
	s_and_saveexec_b64 s[20:21], s[16:17]
	s_cbranch_execz .LBB101_246
.LBB101_1218:
	ds_read_b32 v22, v21 offset:15744
	ds_read_b32 v23, v20 offset:12532
	s_waitcnt lgkmcnt(0)
	v_fmac_f32_e32 v19, v22, v23
	s_or_b64 exec, exec, s[20:21]
	v_cmp_gt_u32_e64 s[16:17], 32, v5
	s_and_saveexec_b64 s[20:21], s[16:17]
	s_cbranch_execz .LBB101_247
.LBB101_1219:
	ds_read_b32 v21, v21 offset:16000
	ds_read_b32 v20, v20 offset:12536
	s_waitcnt lgkmcnt(0)
	v_fmac_f32_e32 v19, v21, v20
	s_or_b64 exec, exec, s[20:21]
	v_cmp_gt_u32_e64 s[16:17], 16, v5
	s_and_saveexec_b64 s[20:21], s[16:17]
	s_cbranch_execnz .LBB101_248
	s_branch .LBB101_249
.LBB101_1220:
	ds_read_b32 v22, v21 offset:11680
	ds_read_b32 v23, v20 offset:11444
	s_waitcnt lgkmcnt(0)
	v_fmac_f32_e32 v19, v22, v23
	s_or_b64 exec, exec, s[20:21]
	v_cmp_gt_u32_e64 s[14:15], 8, v5
	s_and_saveexec_b64 s[20:21], s[14:15]
	s_cbranch_execz .LBB101_337
.LBB101_1221:
	ds_read_b32 v21, v21 offset:11936
	ds_read_b32 v20, v20 offset:11448
	s_waitcnt lgkmcnt(0)
	v_fmac_f32_e32 v19, v21, v20
	s_or_b64 exec, exec, s[20:21]
	v_cmp_gt_u32_e64 s[14:15], 4, v5
	s_and_saveexec_b64 s[20:21], s[14:15]
	s_cbranch_execnz .LBB101_338
	s_branch .LBB101_339
.LBB101_1222:
	ds_read_b32 v22, v21 offset:10624
	ds_read_b32 v23, v20 offset:10404
	s_waitcnt lgkmcnt(0)
	v_fmac_f32_e32 v19, v22, v23
	s_or_b64 exec, exec, s[20:21]
	v_cmp_gt_u32_e64 s[14:15], 48, v5
	s_and_saveexec_b64 s[20:21], s[14:15]
	s_cbranch_execz .LBB101_379
.LBB101_1223:
	ds_read_b32 v22, v21 offset:10880
	ds_read_b32 v23, v20 offset:10408
	s_waitcnt lgkmcnt(0)
	v_fmac_f32_e32 v19, v22, v23
	s_or_b64 exec, exec, s[20:21]
	v_cmp_gt_u32_e64 s[14:15], 40, v5
	s_and_saveexec_b64 s[20:21], s[14:15]
	s_cbranch_execz .LBB101_380
.LBB101_1224:
	ds_read_b32 v22, v21 offset:11136
	ds_read_b32 v23, v20 offset:10412
	s_waitcnt lgkmcnt(0)
	v_fmac_f32_e32 v19, v22, v23
	s_or_b64 exec, exec, s[20:21]
	v_cmp_gt_u32_e64 s[14:15], 32, v5
	s_and_saveexec_b64 s[20:21], s[14:15]
	s_cbranch_execz .LBB101_381
.LBB101_1225:
	ds_read_b32 v22, v21 offset:11392
	ds_read_b32 v23, v20 offset:10416
	s_waitcnt lgkmcnt(0)
	v_fmac_f32_e32 v19, v22, v23
	s_or_b64 exec, exec, s[20:21]
	v_cmp_gt_u32_e64 s[14:15], 24, v5
	s_and_saveexec_b64 s[20:21], s[14:15]
	s_cbranch_execz .LBB101_382
.LBB101_1226:
	ds_read_b32 v22, v21 offset:11648
	ds_read_b32 v23, v20 offset:10420
	s_waitcnt lgkmcnt(0)
	v_fmac_f32_e32 v19, v22, v23
	s_or_b64 exec, exec, s[20:21]
	s_and_saveexec_b64 s[14:15], s[18:19]
	s_cbranch_execz .LBB101_383
.LBB101_1227:
	ds_read_b32 v21, v21 offset:11904
	ds_read_b32 v20, v20 offset:10424
	s_waitcnt lgkmcnt(0)
	v_fmac_f32_e32 v19, v21, v20
	s_or_b64 exec, exec, s[14:15]
	v_cmp_gt_u32_e64 s[14:15], 8, v5
	s_and_saveexec_b64 s[20:21], s[14:15]
	s_cbranch_execnz .LBB101_384
	s_branch .LBB101_385
.LBB101_1228:
	ds_read_b32 v22, v21 offset:9600
	ds_read_b32 v23, v20 offset:9364
	s_waitcnt lgkmcnt(0)
	v_fmac_f32_e32 v19, v22, v23
	s_or_b64 exec, exec, s[20:21]
	v_cmp_gt_u32_e64 s[14:15], 8, v5
	s_and_saveexec_b64 s[20:21], s[14:15]
	s_cbranch_execz .LBB101_441
.LBB101_1229:
	ds_read_b32 v21, v21 offset:9856
	ds_read_b32 v20, v20 offset:9368
	s_waitcnt lgkmcnt(0)
	v_fmac_f32_e32 v19, v21, v20
	s_or_b64 exec, exec, s[20:21]
	v_cmp_gt_u32_e64 s[14:15], 4, v5
	s_and_saveexec_b64 s[20:21], s[14:15]
	s_cbranch_execnz .LBB101_442
	s_branch .LBB101_443
.LBB101_1230:
	ds_read_b32 v25, v24 offset:15616
	ds_read_b32 v26, v23 offset:8436
	s_waitcnt lgkmcnt(0)
	v_fmac_f32_e32 v21, v25, v26
	s_or_b64 exec, exec, s[94:95]
	s_and_saveexec_b64 s[20:21], s[8:9]
	s_cbranch_execz .LBB101_539
.LBB101_1231:
	ds_read_b32 v24, v24 offset:15872
	ds_read_b32 v23, v23 offset:8440
	s_waitcnt lgkmcnt(0)
	v_fmac_f32_e32 v21, v24, v23
	s_or_b64 exec, exec, s[20:21]
	v_cmp_gt_u32_e64 s[20:21], 32, v5
	s_and_saveexec_b64 s[94:95], s[20:21]
	s_cbranch_execnz .LBB101_540
	s_branch .LBB101_541
.LBB101_1232:
	ds_read_b32 v22, v21 offset:7520
	ds_read_b32 v23, v20 offset:7284
	s_waitcnt lgkmcnt(0)
	v_fmac_f32_e32 v19, v22, v23
	s_or_b64 exec, exec, s[16:17]
	v_cmp_gt_u32_e64 s[12:13], 8, v5
	s_and_saveexec_b64 s[16:17], s[12:13]
	s_cbranch_execz .LBB101_693
.LBB101_1233:
	ds_read_b32 v21, v21 offset:7776
	ds_read_b32 v20, v20 offset:7288
	s_waitcnt lgkmcnt(0)
	v_fmac_f32_e32 v19, v21, v20
	s_or_b64 exec, exec, s[16:17]
	v_cmp_gt_u32_e64 s[12:13], 4, v5
	s_and_saveexec_b64 s[16:17], s[12:13]
	s_cbranch_execnz .LBB101_694
	s_branch .LBB101_695
.LBB101_1234:
	ds_read_b32 v22, v21 offset:6464
	ds_read_b32 v23, v20 offset:6244
	s_waitcnt lgkmcnt(0)
	v_fmac_f32_e32 v19, v22, v23
	s_or_b64 exec, exec, s[16:17]
	v_cmp_gt_u32_e64 s[12:13], 48, v5
	s_and_saveexec_b64 s[16:17], s[12:13]
	s_cbranch_execz .LBB101_735
.LBB101_1235:
	ds_read_b32 v22, v21 offset:6720
	ds_read_b32 v23, v20 offset:6248
	s_waitcnt lgkmcnt(0)
	v_fmac_f32_e32 v19, v22, v23
	s_or_b64 exec, exec, s[16:17]
	v_cmp_gt_u32_e64 s[12:13], 40, v5
	s_and_saveexec_b64 s[16:17], s[12:13]
	s_cbranch_execz .LBB101_736
.LBB101_1236:
	ds_read_b32 v22, v21 offset:6976
	ds_read_b32 v23, v20 offset:6252
	s_waitcnt lgkmcnt(0)
	v_fmac_f32_e32 v19, v22, v23
	s_or_b64 exec, exec, s[16:17]
	v_cmp_gt_u32_e64 s[12:13], 32, v5
	s_and_saveexec_b64 s[16:17], s[12:13]
	s_cbranch_execz .LBB101_737
.LBB101_1237:
	ds_read_b32 v22, v21 offset:7232
	ds_read_b32 v23, v20 offset:6256
	s_waitcnt lgkmcnt(0)
	v_fmac_f32_e32 v19, v22, v23
	s_or_b64 exec, exec, s[16:17]
	v_cmp_gt_u32_e64 s[12:13], 24, v5
	s_and_saveexec_b64 s[16:17], s[12:13]
	s_cbranch_execz .LBB101_738
.LBB101_1238:
	ds_read_b32 v22, v21 offset:7488
	ds_read_b32 v23, v20 offset:6260
	s_waitcnt lgkmcnt(0)
	v_fmac_f32_e32 v19, v22, v23
	s_or_b64 exec, exec, s[16:17]
	s_and_saveexec_b64 s[12:13], s[18:19]
	s_cbranch_execz .LBB101_739
.LBB101_1239:
	ds_read_b32 v21, v21 offset:7744
	ds_read_b32 v20, v20 offset:6264
	s_waitcnt lgkmcnt(0)
	v_fmac_f32_e32 v19, v21, v20
	s_or_b64 exec, exec, s[12:13]
	v_cmp_gt_u32_e64 s[12:13], 8, v5
	s_and_saveexec_b64 s[16:17], s[12:13]
	s_cbranch_execnz .LBB101_740
	s_branch .LBB101_741
.LBB101_1240:
	ds_read_b32 v22, v21 offset:5440
	ds_read_b32 v23, v20 offset:5204
	s_waitcnt lgkmcnt(0)
	v_fmac_f32_e32 v19, v22, v23
	s_or_b64 exec, exec, s[16:17]
	v_cmp_gt_u32_e64 s[12:13], 8, v5
	s_and_saveexec_b64 s[16:17], s[12:13]
	s_cbranch_execz .LBB101_797
.LBB101_1241:
	ds_read_b32 v21, v21 offset:5696
	ds_read_b32 v20, v20 offset:5208
	s_waitcnt lgkmcnt(0)
	v_fmac_f32_e32 v19, v21, v20
	s_or_b64 exec, exec, s[16:17]
	v_cmp_gt_u32_e64 s[12:13], 4, v5
	s_and_saveexec_b64 s[16:17], s[12:13]
	s_cbranch_execnz .LBB101_798
	s_branch .LBB101_799
.LBB101_1242:
	ds_read_b32 v22, v21 offset:6912
	ds_read_b32 v23, v20 offset:4204
	s_waitcnt lgkmcnt(0)
	v_fmac_f32_e32 v19, v22, v23
	s_or_b64 exec, exec, s[16:17]
	s_and_saveexec_b64 s[12:13], s[8:9]
	s_cbranch_execz .LBB101_859
.LBB101_1243:
	ds_read_b32 v22, v21 offset:7168
	ds_read_b32 v23, v20 offset:4208
	s_waitcnt lgkmcnt(0)
	v_fmac_f32_e32 v19, v22, v23
	s_or_b64 exec, exec, s[12:13]
	v_cmp_gt_u32_e64 s[12:13], 48, v5
	s_and_saveexec_b64 s[16:17], s[12:13]
	s_cbranch_execz .LBB101_860
.LBB101_1244:
	ds_read_b32 v22, v21 offset:7424
	ds_read_b32 v23, v20 offset:4212
	s_waitcnt lgkmcnt(0)
	v_fmac_f32_e32 v19, v22, v23
	s_or_b64 exec, exec, s[16:17]
	v_cmp_gt_u32_e64 s[12:13], 32, v5
	s_and_saveexec_b64 s[16:17], s[12:13]
	s_cbranch_execz .LBB101_861
.LBB101_1245:
	ds_read_b32 v21, v21 offset:7680
	ds_read_b32 v20, v20 offset:4216
	s_waitcnt lgkmcnt(0)
	v_fmac_f32_e32 v19, v21, v20
	s_or_b64 exec, exec, s[16:17]
	v_cmp_gt_u32_e64 s[12:13], 16, v5
	s_and_saveexec_b64 s[16:17], s[12:13]
	s_cbranch_execnz .LBB101_862
	s_branch .LBB101_863
.LBB101_1246:
	ds_read_b32 v19, v18 offset:3360
	ds_read_b32 v20, v17 offset:3124
	s_waitcnt lgkmcnt(0)
	v_fmac_f32_e32 v16, v19, v20
	s_or_b64 exec, exec, s[12:13]
	v_cmp_gt_u32_e64 s[10:11], 8, v5
	s_and_saveexec_b64 s[12:13], s[10:11]
	s_cbranch_execz .LBB101_951
.LBB101_1247:
	ds_read_b32 v18, v18 offset:3616
	ds_read_b32 v17, v17 offset:3128
	s_waitcnt lgkmcnt(0)
	v_fmac_f32_e32 v16, v18, v17
	s_or_b64 exec, exec, s[12:13]
	v_cmp_gt_u32_e64 s[10:11], 4, v5
	s_and_saveexec_b64 s[12:13], s[10:11]
	s_cbranch_execnz .LBB101_952
	s_branch .LBB101_953
.LBB101_1248:
	ds_read_b32 v19, v18 offset:2304
	ds_read_b32 v20, v17 offset:2084
	s_waitcnt lgkmcnt(0)
	v_fmac_f32_e32 v16, v19, v20
	s_or_b64 exec, exec, s[12:13]
	v_cmp_gt_u32_e64 s[10:11], 48, v5
	s_and_saveexec_b64 s[12:13], s[10:11]
	s_cbranch_execz .LBB101_993
.LBB101_1249:
	ds_read_b32 v19, v18 offset:2560
	ds_read_b32 v20, v17 offset:2088
	s_waitcnt lgkmcnt(0)
	v_fmac_f32_e32 v16, v19, v20
	s_or_b64 exec, exec, s[12:13]
	v_cmp_gt_u32_e64 s[10:11], 40, v5
	s_and_saveexec_b64 s[12:13], s[10:11]
	s_cbranch_execz .LBB101_994
.LBB101_1250:
	ds_read_b32 v19, v18 offset:2816
	ds_read_b32 v20, v17 offset:2092
	s_waitcnt lgkmcnt(0)
	v_fmac_f32_e32 v16, v19, v20
	s_or_b64 exec, exec, s[12:13]
	v_cmp_gt_u32_e64 s[10:11], 32, v5
	s_and_saveexec_b64 s[12:13], s[10:11]
	s_cbranch_execz .LBB101_995
.LBB101_1251:
	ds_read_b32 v19, v18 offset:3072
	ds_read_b32 v20, v17 offset:2096
	s_waitcnt lgkmcnt(0)
	v_fmac_f32_e32 v16, v19, v20
	s_or_b64 exec, exec, s[12:13]
	v_cmp_gt_u32_e64 s[10:11], 24, v5
	s_and_saveexec_b64 s[12:13], s[10:11]
	s_cbranch_execz .LBB101_996
.LBB101_1252:
	ds_read_b32 v19, v18 offset:3328
	ds_read_b32 v20, v17 offset:2100
	s_waitcnt lgkmcnt(0)
	v_fmac_f32_e32 v16, v19, v20
	s_or_b64 exec, exec, s[12:13]
	s_and_saveexec_b64 s[10:11], s[18:19]
	s_cbranch_execz .LBB101_997
.LBB101_1253:
	ds_read_b32 v18, v18 offset:3584
	ds_read_b32 v17, v17 offset:2104
	s_waitcnt lgkmcnt(0)
	v_fmac_f32_e32 v16, v18, v17
	s_or_b64 exec, exec, s[10:11]
	v_cmp_gt_u32_e64 s[10:11], 8, v5
	s_and_saveexec_b64 s[12:13], s[10:11]
	s_cbranch_execnz .LBB101_998
	s_branch .LBB101_999
.LBB101_1254:
	ds_read_b32 v16, v15 offset:1280
	ds_read_b32 v17, v14 offset:1044
	s_waitcnt lgkmcnt(0)
	v_fmac_f32_e32 v13, v16, v17
	s_or_b64 exec, exec, s[10:11]
	v_cmp_gt_u32_e64 s[8:9], 8, v5
	s_and_saveexec_b64 s[10:11], s[8:9]
	s_cbranch_execz .LBB101_1055
.LBB101_1255:
	ds_read_b32 v15, v15 offset:1536
	ds_read_b32 v14, v14 offset:1048
	s_waitcnt lgkmcnt(0)
	v_fmac_f32_e32 v13, v15, v14
	s_or_b64 exec, exec, s[10:11]
	v_cmp_gt_u32_e64 s[8:9], 4, v5
	s_and_saveexec_b64 s[10:11], s[8:9]
	s_cbranch_execnz .LBB101_1056
	s_branch .LBB101_1057
	.section	.rodata,"a",@progbits
	.p2align	6, 0x0
	.amdhsa_kernel _ZL19rocblas_trsv_deviceILi64ELi16ELb0ELb1ELb0ELb0EfPKfPKS1_PKPfEviT7_lllT6_T8_lllPii
		.amdhsa_group_segment_fixed_size 20740
		.amdhsa_private_segment_fixed_size 0
		.amdhsa_kernarg_size 352
		.amdhsa_user_sgpr_count 6
		.amdhsa_user_sgpr_private_segment_buffer 1
		.amdhsa_user_sgpr_dispatch_ptr 0
		.amdhsa_user_sgpr_queue_ptr 0
		.amdhsa_user_sgpr_kernarg_segment_ptr 1
		.amdhsa_user_sgpr_dispatch_id 0
		.amdhsa_user_sgpr_flat_scratch_init 0
		.amdhsa_user_sgpr_private_segment_size 0
		.amdhsa_uses_dynamic_stack 0
		.amdhsa_system_sgpr_private_segment_wavefront_offset 0
		.amdhsa_system_sgpr_workgroup_id_x 1
		.amdhsa_system_sgpr_workgroup_id_y 0
		.amdhsa_system_sgpr_workgroup_id_z 1
		.amdhsa_system_sgpr_workgroup_info 0
		.amdhsa_system_vgpr_workitem_id 1
		.amdhsa_next_free_vgpr 29
		.amdhsa_next_free_sgpr 96
		.amdhsa_reserve_vcc 1
		.amdhsa_reserve_flat_scratch 0
		.amdhsa_float_round_mode_32 0
		.amdhsa_float_round_mode_16_64 0
		.amdhsa_float_denorm_mode_32 3
		.amdhsa_float_denorm_mode_16_64 3
		.amdhsa_dx10_clamp 1
		.amdhsa_ieee_mode 1
		.amdhsa_fp16_overflow 0
		.amdhsa_exception_fp_ieee_invalid_op 0
		.amdhsa_exception_fp_denorm_src 0
		.amdhsa_exception_fp_ieee_div_zero 0
		.amdhsa_exception_fp_ieee_overflow 0
		.amdhsa_exception_fp_ieee_underflow 0
		.amdhsa_exception_fp_ieee_inexact 0
		.amdhsa_exception_int_div_zero 0
	.end_amdhsa_kernel
	.section	.text._ZL19rocblas_trsv_deviceILi64ELi16ELb0ELb1ELb0ELb0EfPKfPKS1_PKPfEviT7_lllT6_T8_lllPii,"axG",@progbits,_ZL19rocblas_trsv_deviceILi64ELi16ELb0ELb1ELb0ELb0EfPKfPKS1_PKPfEviT7_lllT6_T8_lllPii,comdat
.Lfunc_end101:
	.size	_ZL19rocblas_trsv_deviceILi64ELi16ELb0ELb1ELb0ELb0EfPKfPKS1_PKPfEviT7_lllT6_T8_lllPii, .Lfunc_end101-_ZL19rocblas_trsv_deviceILi64ELi16ELb0ELb1ELb0ELb0EfPKfPKS1_PKPfEviT7_lllT6_T8_lllPii
                                        ; -- End function
	.set _ZL19rocblas_trsv_deviceILi64ELi16ELb0ELb1ELb0ELb0EfPKfPKS1_PKPfEviT7_lllT6_T8_lllPii.num_vgpr, 28
	.set _ZL19rocblas_trsv_deviceILi64ELi16ELb0ELb1ELb0ELb0EfPKfPKS1_PKPfEviT7_lllT6_T8_lllPii.num_agpr, 0
	.set _ZL19rocblas_trsv_deviceILi64ELi16ELb0ELb1ELb0ELb0EfPKfPKS1_PKPfEviT7_lllT6_T8_lllPii.numbered_sgpr, 96
	.set _ZL19rocblas_trsv_deviceILi64ELi16ELb0ELb1ELb0ELb0EfPKfPKS1_PKPfEviT7_lllT6_T8_lllPii.num_named_barrier, 0
	.set _ZL19rocblas_trsv_deviceILi64ELi16ELb0ELb1ELb0ELb0EfPKfPKS1_PKPfEviT7_lllT6_T8_lllPii.private_seg_size, 0
	.set _ZL19rocblas_trsv_deviceILi64ELi16ELb0ELb1ELb0ELb0EfPKfPKS1_PKPfEviT7_lllT6_T8_lllPii.uses_vcc, 1
	.set _ZL19rocblas_trsv_deviceILi64ELi16ELb0ELb1ELb0ELb0EfPKfPKS1_PKPfEviT7_lllT6_T8_lllPii.uses_flat_scratch, 0
	.set _ZL19rocblas_trsv_deviceILi64ELi16ELb0ELb1ELb0ELb0EfPKfPKS1_PKPfEviT7_lllT6_T8_lllPii.has_dyn_sized_stack, 0
	.set _ZL19rocblas_trsv_deviceILi64ELi16ELb0ELb1ELb0ELb0EfPKfPKS1_PKPfEviT7_lllT6_T8_lllPii.has_recursion, 0
	.set _ZL19rocblas_trsv_deviceILi64ELi16ELb0ELb1ELb0ELb0EfPKfPKS1_PKPfEviT7_lllT6_T8_lllPii.has_indirect_call, 0
	.section	.AMDGPU.csdata,"",@progbits
; Kernel info:
; codeLenInByte = 40680
; TotalNumSgprs: 100
; NumVgprs: 28
; ScratchSize: 0
; MemoryBound: 0
; FloatMode: 240
; IeeeMode: 1
; LDSByteSize: 20740 bytes/workgroup (compile time only)
; SGPRBlocks: 12
; VGPRBlocks: 7
; NumSGPRsForWavesPerEU: 100
; NumVGPRsForWavesPerEU: 29
; Occupancy: 8
; WaveLimiterHint : 1
; COMPUTE_PGM_RSRC2:SCRATCH_EN: 0
; COMPUTE_PGM_RSRC2:USER_SGPR: 6
; COMPUTE_PGM_RSRC2:TRAP_HANDLER: 0
; COMPUTE_PGM_RSRC2:TGID_X_EN: 1
; COMPUTE_PGM_RSRC2:TGID_Y_EN: 0
; COMPUTE_PGM_RSRC2:TGID_Z_EN: 1
; COMPUTE_PGM_RSRC2:TIDIG_COMP_CNT: 1
	.section	.text._ZL19rocblas_trsv_deviceILi64ELi16ELb0ELb1ELb1ELb0EfPKfPKS1_PKPfEviT7_lllT6_T8_lllPii,"axG",@progbits,_ZL19rocblas_trsv_deviceILi64ELi16ELb0ELb1ELb1ELb0EfPKfPKS1_PKPfEviT7_lllT6_T8_lllPii,comdat
	.globl	_ZL19rocblas_trsv_deviceILi64ELi16ELb0ELb1ELb1ELb0EfPKfPKS1_PKPfEviT7_lllT6_T8_lllPii ; -- Begin function _ZL19rocblas_trsv_deviceILi64ELi16ELb0ELb1ELb1ELb0EfPKfPKS1_PKPfEviT7_lllT6_T8_lllPii
	.p2align	8
	.type	_ZL19rocblas_trsv_deviceILi64ELi16ELb0ELb1ELb1ELb0EfPKfPKS1_PKPfEviT7_lllT6_T8_lllPii,@function
_ZL19rocblas_trsv_deviceILi64ELi16ELb0ELb1ELb1ELb0EfPKfPKS1_PKPfEviT7_lllT6_T8_lllPii: ; @_ZL19rocblas_trsv_deviceILi64ELi16ELb0ELb1ELb1ELb0EfPKfPKS1_PKPfEviT7_lllT6_T8_lllPii
; %bb.0:
	s_load_dwordx4 s[0:3], s[4:5], 0x8
	s_mov_b32 s28, s7
	s_mov_b32 s29, 0
	s_lshl_b64 s[8:9], s[28:29], 3
	v_mov_b32_e32 v2, v1
	s_waitcnt lgkmcnt(0)
	s_add_u32 s0, s0, s8
	s_addc_u32 s1, s1, s9
	s_load_dwordx2 s[10:11], s[0:1], 0x0
	s_load_dword s7, s[4:5], 0x0
	s_load_dwordx8 s[20:27], s[4:5], 0x28
	s_load_dwordx2 s[30:31], s[4:5], 0x18
	s_lshl_b64 s[0:1], s[2:3], 2
	s_waitcnt lgkmcnt(0)
	s_add_u32 s87, s10, s0
	s_addc_u32 s88, s11, s1
	s_add_u32 s0, s22, s8
	s_addc_u32 s1, s23, s9
	s_load_dwordx2 s[34:35], s[0:1], 0x0
	s_load_dword s45, s[20:21], 0x0
	s_load_dword s89, s[4:5], 0x6c
	s_cmp_eq_u32 s6, 0
	s_cbranch_scc1 .LBB102_10
; %bb.1:
	s_lshl_b32 s33, s6, 6
	v_add_u32_e32 v1, s33, v0
	v_ashrrev_i32_e32 v3, 31, v1
	v_mul_lo_u32 v7, s30, v3
	v_mul_lo_u32 v8, s31, v1
	v_mad_u64_u32 v[5:6], s[0:1], s30, v1, 0
	v_add_u32_e32 v3, s33, v2
	v_subrev_u32_e32 v3, 64, v3
	v_add3_u32 v6, v6, v7, v8
	v_lshlrev_b64 v[5:6], 2, v[5:6]
	v_ashrrev_i32_e32 v4, 31, v3
	v_cmp_gt_i32_e32 vcc, s7, v1
	v_mov_b32_e32 v1, s88
	v_add_co_u32_e64 v7, s[0:1], s87, v5
	v_lshlrev_b64 v[4:5], 2, v[3:4]
	v_addc_co_u32_e64 v1, s[0:1], v1, v6, s[0:1]
	v_add_co_u32_e64 v4, s[0:1], v7, v4
	v_addc_co_u32_e64 v5, s[0:1], v1, v5, s[0:1]
	v_cmp_gt_i32_e64 s[0:1], s7, v3
	s_and_b64 s[2:3], s[0:1], vcc
	v_mov_b32_e32 v7, 0
	v_mov_b32_e32 v8, 0
	s_waitcnt lgkmcnt(0)
	s_barrier
	s_and_saveexec_b64 s[0:1], s[2:3]
	s_cbranch_execz .LBB102_3
; %bb.2:
	flat_load_dword v8, v[4:5]
.LBB102_3:
	s_or_b64 exec, exec, s[0:1]
	v_add_u32_e32 v1, 16, v3
	v_cmp_gt_i32_e64 s[0:1], s7, v1
	s_and_b64 s[2:3], s[0:1], vcc
	s_waitcnt vmcnt(0) lgkmcnt(0)
	s_barrier
	s_and_saveexec_b64 s[0:1], s[2:3]
	s_cbranch_execz .LBB102_5
; %bb.4:
	flat_load_dword v7, v[4:5] offset:64
.LBB102_5:
	s_or_b64 exec, exec, s[0:1]
	v_add_u32_e32 v1, 32, v3
	v_cmp_gt_i32_e64 s[0:1], s7, v1
	s_and_b64 s[2:3], s[0:1], vcc
	v_mov_b32_e32 v9, 0
	v_mov_b32_e32 v10, 0
	s_waitcnt vmcnt(0) lgkmcnt(0)
	s_barrier
	s_and_saveexec_b64 s[0:1], s[2:3]
	s_cbranch_execz .LBB102_7
; %bb.6:
	flat_load_dword v10, v[4:5] offset:128
.LBB102_7:
	s_or_b64 exec, exec, s[0:1]
	v_add_u32_e32 v1, 48, v3
	v_cmp_gt_i32_e64 s[0:1], s7, v1
	s_and_b64 s[2:3], s[0:1], vcc
	s_waitcnt vmcnt(0) lgkmcnt(0)
	s_barrier
	s_and_saveexec_b64 s[0:1], s[2:3]
	s_cbranch_execz .LBB102_9
; %bb.8:
	flat_load_dword v9, v[4:5] offset:192
.LBB102_9:
	s_or_b64 exec, exec, s[0:1]
	s_branch .LBB102_11
.LBB102_10:
                                        ; implicit-def: $vgpr9
                                        ; implicit-def: $vgpr10
                                        ; implicit-def: $vgpr7
                                        ; implicit-def: $vgpr8
	s_mov_b32 s33, s29
.LBB102_11:
	s_ashr_i32 s0, s7, 31
	s_lshr_b32 s0, s0, 26
	s_add_i32 s0, s7, s0
	s_andn2_b32 s0, s0, 63
	s_sub_i32 s86, s7, s0
	s_add_i32 s0, s7, -1
	s_ashr_i32 s1, s0, 31
	s_lshr_b32 s1, s1, 26
	s_add_i32 s0, s0, s1
	s_ashr_i32 s0, s0, 6
	s_cmp_eq_u32 s0, s6
	s_cselect_b64 s[0:1], -1, 0
	s_cmp_lg_u32 s86, 0
	s_cselect_b64 s[2:3], -1, 0
	s_and_b64 s[22:23], s[2:3], s[0:1]
	s_cmp_lt_i32 s6, 5
	s_cselect_b64 s[2:3], -1, 0
	s_or_b64 s[0:1], s[2:3], s[22:23]
	s_ashr_i32 s44, s33, 31
	s_add_u32 s10, s30, 1
	v_mov_b32_e32 v1, 0
	v_mov_b32_e32 v3, s33
	v_mad_u64_u32 v[3:4], s[8:9], s10, v3, v[0:1]
	s_addc_u32 s11, s31, 0
	s_mul_i32 s8, s10, s44
	s_mul_i32 s11, s11, s33
	s_add_i32 s8, s8, s11
	s_mov_b64 s[12:13], -1
	v_lshlrev_b32_e32 v11, 6, v0
	v_add_u32_e32 v4, s8, v4
	s_and_b64 vcc, exec, s[22:23]
	v_cmp_le_u32_e64 s[8:9], v2, v0
	s_cbranch_vccnz .LBB102_33
; %bb.12:
	v_mad_u64_u32 v[5:6], s[10:11], s30, v2, v[3:4]
	v_mov_b32_e32 v1, v6
	v_mad_u64_u32 v[12:13], s[10:11], s31, v2, v[1:2]
	s_mov_b64 s[10:11], 0
                                        ; implicit-def: $vgpr1
	v_mov_b32_e32 v6, v12
	s_and_saveexec_b64 s[12:13], s[8:9]
	s_xor_b64 s[8:9], exec, s[12:13]
	s_cbranch_execnz .LBB102_1159
; %bb.13:
	s_andn2_saveexec_b64 s[8:9], s[8:9]
	s_cbranch_execnz .LBB102_1164
.LBB102_14:
	s_or_b64 exec, exec, s[8:9]
	s_and_saveexec_b64 s[8:9], s[10:11]
.LBB102_15:
	v_add_u32_e32 v5, v2, v11
	v_lshl_add_u32 v6, v2, 6, v0
	v_cndmask_b32_e64 v5, v6, v5, s[2:3]
	v_lshlrev_b32_e32 v5, 2, v5
	ds_write_b32 v5, v1
.LBB102_16:
	s_or_b64 exec, exec, s[8:9]
	v_add_u32_e32 v1, 16, v2
	v_mad_u64_u32 v[5:6], s[2:3], s30, v1, v[3:4]
	v_cmp_le_u32_e32 vcc, v1, v0
	s_mov_b64 s[8:9], 0
	v_mad_u64_u32 v[12:13], s[2:3], s31, v1, v[6:7]
	v_mov_b32_e32 v6, v12
                                        ; implicit-def: $vgpr12
	s_and_saveexec_b64 s[2:3], vcc
	s_xor_b64 s[2:3], exec, s[2:3]
	s_cbranch_execnz .LBB102_1165
; %bb.17:
	s_andn2_saveexec_b64 s[2:3], s[2:3]
	s_cbranch_execnz .LBB102_1170
.LBB102_18:
	s_or_b64 exec, exec, s[2:3]
	s_and_saveexec_b64 s[2:3], s[8:9]
.LBB102_19:
	v_add_u32_e32 v5, v1, v11
	v_lshl_add_u32 v1, v1, 6, v0
	v_cndmask_b32_e64 v1, v1, v5, s[0:1]
	v_lshlrev_b32_e32 v1, 2, v1
	ds_write_b32 v1, v12
.LBB102_20:
	s_or_b64 exec, exec, s[2:3]
	v_add_u32_e32 v1, 32, v2
	v_mad_u64_u32 v[5:6], s[2:3], s30, v1, v[3:4]
	v_cmp_le_u32_e32 vcc, v1, v0
	s_mov_b64 s[8:9], 0
	v_mad_u64_u32 v[12:13], s[2:3], s31, v1, v[6:7]
	v_mov_b32_e32 v6, v12
                                        ; implicit-def: $vgpr12
	s_and_saveexec_b64 s[2:3], vcc
	s_xor_b64 s[2:3], exec, s[2:3]
	s_cbranch_execnz .LBB102_1171
; %bb.21:
	s_andn2_saveexec_b64 s[2:3], s[2:3]
	s_cbranch_execnz .LBB102_1176
.LBB102_22:
	s_or_b64 exec, exec, s[2:3]
	s_and_saveexec_b64 s[2:3], s[8:9]
.LBB102_23:
	v_add_u32_e32 v5, v1, v11
	v_lshl_add_u32 v1, v1, 6, v0
	v_cndmask_b32_e64 v1, v1, v5, s[0:1]
	v_lshlrev_b32_e32 v1, 2, v1
	ds_write_b32 v1, v12
.LBB102_24:
	s_or_b64 exec, exec, s[2:3]
	v_add_u32_e32 v12, 48, v2
	v_mad_u64_u32 v[5:6], s[2:3], s30, v12, v[3:4]
	v_cmp_le_u32_e32 vcc, v12, v0
	s_mov_b64 s[10:11], 0
	v_mov_b32_e32 v1, v6
	v_mad_u64_u32 v[13:14], s[2:3], s31, v12, v[1:2]
                                        ; implicit-def: $vgpr1
	v_mov_b32_e32 v6, v13
	s_and_saveexec_b64 s[2:3], vcc
	s_xor_b64 s[2:3], exec, s[2:3]
	s_cbranch_execz .LBB102_30
; %bb.25:
	v_cmp_ne_u32_e32 vcc, v0, v12
	s_mov_b64 s[8:9], 0
	s_and_saveexec_b64 s[10:11], vcc
	s_xor_b64 s[10:11], exec, s[10:11]
; %bb.26:
	v_or_b32_e32 v1, v12, v0
	v_cmp_gt_u32_e32 vcc, 64, v1
	s_and_b64 s[8:9], vcc, exec
                                        ; implicit-def: $vgpr5_vgpr6
; %bb.27:
	s_or_saveexec_b64 s[10:11], s[10:11]
	v_mov_b32_e32 v1, 0
	s_xor_b64 exec, exec, s[10:11]
	s_cbranch_execz .LBB102_29
; %bb.28:
	v_lshlrev_b64 v[5:6], 2, v[5:6]
	v_mov_b32_e32 v1, s88
	v_add_co_u32_e32 v5, vcc, s87, v5
	v_addc_co_u32_e32 v6, vcc, v1, v6, vcc
	flat_load_dword v1, v[5:6]
	s_or_b64 s[8:9], s[8:9], exec
	s_waitcnt vmcnt(0) lgkmcnt(0)
	v_div_scale_f32 v5, s[12:13], v1, v1, 1.0
	v_div_scale_f32 v6, vcc, 1.0, v1, 1.0
	v_rcp_f32_e32 v13, v5
	v_fma_f32 v14, -v5, v13, 1.0
	v_fmac_f32_e32 v13, v14, v13
	v_mul_f32_e32 v14, v6, v13
	v_fma_f32 v15, -v5, v14, v6
	v_fmac_f32_e32 v14, v15, v13
	v_fma_f32 v5, -v5, v14, v6
	v_div_fmas_f32 v5, v5, v13, v14
	v_div_fixup_f32 v1, v5, v1, 1.0
.LBB102_29:
	s_or_b64 exec, exec, s[10:11]
	s_and_b64 s[10:11], s[8:9], exec
                                        ; implicit-def: $vgpr5_vgpr6
.LBB102_30:
	s_or_saveexec_b64 s[2:3], s[2:3]
	v_add_u32_e32 v13, v12, v11
	v_lshl_add_u32 v12, v12, 6, v0
	s_xor_b64 exec, exec, s[2:3]
	s_cbranch_execz .LBB102_32
; %bb.31:
	v_lshlrev_b64 v[5:6], 2, v[5:6]
	v_mov_b32_e32 v1, s88
	v_add_co_u32_e32 v5, vcc, s87, v5
	v_addc_co_u32_e32 v6, vcc, v1, v6, vcc
	flat_load_dword v1, v[5:6]
	s_or_b64 s[10:11], s[10:11], exec
	s_waitcnt vmcnt(0) lgkmcnt(0)
	v_xor_b32_e32 v1, 0x80000000, v1
.LBB102_32:
	s_or_b64 exec, exec, s[2:3]
	v_cndmask_b32_e64 v5, v12, v13, s[0:1]
	s_branch .LBB102_55
.LBB102_33:
	s_mov_b64 s[10:11], 0
                                        ; implicit-def: $vgpr1
                                        ; implicit-def: $vgpr5
	s_and_b64 vcc, exec, s[12:13]
	s_cbranch_vccz .LBB102_55
; %bb.34:
	v_mad_u64_u32 v[5:6], s[2:3], s30, v2, v[3:4]
	v_cmp_le_u32_e32 vcc, v2, v0
	v_cmp_gt_i32_e64 s[2:3], s86, v0
	v_mov_b32_e32 v1, v6
	v_mad_u64_u32 v[12:13], s[8:9], s31, v2, v[1:2]
	v_max_i32_e32 v1, v2, v0
	v_cmp_le_i32_e64 s[8:9], s86, v1
	v_mov_b32_e32 v6, v12
	s_or_b64 s[8:9], s[8:9], vcc
	s_mov_b64 s[12:13], 0
                                        ; implicit-def: $vgpr1
	s_and_saveexec_b64 s[14:15], s[8:9]
	s_xor_b64 s[8:9], exec, s[14:15]
	s_cbranch_execnz .LBB102_1177
; %bb.35:
	s_andn2_saveexec_b64 s[8:9], s[8:9]
	s_cbranch_execnz .LBB102_1182
.LBB102_36:
	s_or_b64 exec, exec, s[8:9]
	s_and_saveexec_b64 s[8:9], s[12:13]
.LBB102_37:
	v_lshlrev_b32_e32 v5, 2, v11
	v_lshl_add_u32 v5, v2, 2, v5
	ds_write_b32 v5, v1
.LBB102_38:
	s_or_b64 exec, exec, s[8:9]
	v_add_u32_e32 v1, 16, v2
	v_mad_u64_u32 v[5:6], s[8:9], s30, v1, v[3:4]
	v_cmp_gt_u32_e32 vcc, v1, v0
	s_mov_b64 s[12:13], 0
	v_mad_u64_u32 v[12:13], s[8:9], s31, v1, v[6:7]
	v_cmp_gt_i32_e64 s[8:9], s86, v1
	s_and_b64 s[8:9], vcc, s[8:9]
	s_and_b64 s[8:9], s[2:3], s[8:9]
	v_mov_b32_e32 v6, v12
	s_xor_b64 s[8:9], s[8:9], -1
                                        ; implicit-def: $vgpr12
	s_and_saveexec_b64 s[14:15], s[8:9]
	s_xor_b64 s[8:9], exec, s[14:15]
	s_cbranch_execnz .LBB102_1183
; %bb.39:
	s_andn2_saveexec_b64 s[8:9], s[8:9]
	s_cbranch_execnz .LBB102_1188
.LBB102_40:
	s_or_b64 exec, exec, s[8:9]
	s_and_saveexec_b64 s[8:9], s[12:13]
.LBB102_41:
	v_add_u32_e32 v5, v1, v11
	v_lshl_add_u32 v1, v1, 6, v0
	v_cndmask_b32_e64 v1, v1, v5, s[0:1]
	v_lshlrev_b32_e32 v1, 2, v1
	ds_write_b32 v1, v12
.LBB102_42:
	s_or_b64 exec, exec, s[8:9]
	v_add_u32_e32 v1, 32, v2
	v_mad_u64_u32 v[5:6], s[8:9], s30, v1, v[3:4]
	v_cmp_gt_u32_e32 vcc, v1, v0
	s_mov_b64 s[12:13], 0
	v_mad_u64_u32 v[12:13], s[8:9], s31, v1, v[6:7]
	v_cmp_gt_i32_e64 s[8:9], s86, v1
	s_and_b64 s[8:9], vcc, s[8:9]
	s_and_b64 s[8:9], s[2:3], s[8:9]
	v_mov_b32_e32 v6, v12
	s_xor_b64 s[8:9], s[8:9], -1
                                        ; implicit-def: $vgpr12
	s_and_saveexec_b64 s[14:15], s[8:9]
	s_xor_b64 s[8:9], exec, s[14:15]
	s_cbranch_execnz .LBB102_1189
; %bb.43:
	s_andn2_saveexec_b64 s[8:9], s[8:9]
	s_cbranch_execnz .LBB102_1194
.LBB102_44:
	s_or_b64 exec, exec, s[8:9]
	s_and_saveexec_b64 s[8:9], s[12:13]
.LBB102_45:
	v_add_u32_e32 v5, v1, v11
	v_lshl_add_u32 v1, v1, 6, v0
	v_cndmask_b32_e64 v1, v1, v5, s[0:1]
	v_lshlrev_b32_e32 v1, 2, v1
	ds_write_b32 v1, v12
.LBB102_46:
	s_or_b64 exec, exec, s[8:9]
	v_add_u32_e32 v5, 48, v2
	v_mad_u64_u32 v[3:4], s[8:9], s30, v5, v[3:4]
	v_cmp_gt_u32_e32 vcc, v5, v0
	v_mov_b32_e32 v1, v4
	v_mad_u64_u32 v[12:13], s[8:9], s31, v5, v[1:2]
	v_cmp_gt_i32_e64 s[8:9], s86, v5
	s_and_b64 s[8:9], vcc, s[8:9]
	s_and_b64 s[8:9], s[2:3], s[8:9]
	v_mov_b32_e32 v4, v12
	s_xor_b64 s[8:9], s[8:9], -1
                                        ; implicit-def: $vgpr1
	s_and_saveexec_b64 s[12:13], s[8:9]
	s_xor_b64 s[8:9], exec, s[12:13]
	s_cbranch_execz .LBB102_52
; %bb.47:
	v_cmp_ne_u32_e32 vcc, v0, v5
	s_xor_b64 s[2:3], s[2:3], -1
	s_or_b64 s[12:13], s[2:3], vcc
	s_mov_b64 s[2:3], s[10:11]
	s_and_saveexec_b64 s[14:15], s[12:13]
	s_xor_b64 s[12:13], exec, s[14:15]
; %bb.48:
	v_or_b32_e32 v1, v5, v0
	v_cmp_gt_u32_e32 vcc, 64, v1
	s_andn2_b64 s[2:3], s[10:11], exec
	s_and_b64 s[14:15], vcc, exec
	s_or_b64 s[2:3], s[2:3], s[14:15]
                                        ; implicit-def: $vgpr3_vgpr4
; %bb.49:
	s_or_saveexec_b64 s[12:13], s[12:13]
	v_mov_b32_e32 v1, 0
	s_xor_b64 exec, exec, s[12:13]
	s_cbranch_execz .LBB102_51
; %bb.50:
	v_lshlrev_b64 v[3:4], 2, v[3:4]
	v_mov_b32_e32 v1, s88
	v_add_co_u32_e32 v3, vcc, s87, v3
	v_addc_co_u32_e32 v4, vcc, v1, v4, vcc
	flat_load_dword v1, v[3:4]
	s_or_b64 s[2:3], s[2:3], exec
	s_waitcnt vmcnt(0) lgkmcnt(0)
	v_div_scale_f32 v3, s[14:15], v1, v1, 1.0
	v_div_scale_f32 v4, vcc, 1.0, v1, 1.0
	v_rcp_f32_e32 v6, v3
	v_fma_f32 v12, -v3, v6, 1.0
	v_fmac_f32_e32 v6, v12, v6
	v_mul_f32_e32 v12, v4, v6
	v_fma_f32 v13, -v3, v12, v4
	v_fmac_f32_e32 v12, v13, v6
	v_fma_f32 v3, -v3, v12, v4
	v_div_fmas_f32 v3, v3, v6, v12
	v_div_fixup_f32 v1, v3, v1, 1.0
.LBB102_51:
	s_or_b64 exec, exec, s[12:13]
	s_andn2_b64 s[10:11], s[10:11], exec
	s_and_b64 s[2:3], s[2:3], exec
	s_or_b64 s[10:11], s[10:11], s[2:3]
                                        ; implicit-def: $vgpr3_vgpr4
.LBB102_52:
	s_or_saveexec_b64 s[2:3], s[8:9]
	v_add_u32_e32 v6, v5, v11
	v_lshl_add_u32 v5, v5, 6, v0
	s_xor_b64 exec, exec, s[2:3]
	s_cbranch_execz .LBB102_54
; %bb.53:
	v_lshlrev_b64 v[3:4], 2, v[3:4]
	v_mov_b32_e32 v1, s88
	v_add_co_u32_e32 v3, vcc, s87, v3
	v_addc_co_u32_e32 v4, vcc, v1, v4, vcc
	flat_load_dword v1, v[3:4]
	s_or_b64 s[10:11], s[10:11], exec
	s_waitcnt vmcnt(0) lgkmcnt(0)
	v_xor_b32_e32 v1, 0x80000000, v1
.LBB102_54:
	s_or_b64 exec, exec, s[2:3]
	v_cndmask_b32_e64 v5, v5, v6, s[0:1]
.LBB102_55:
	s_xor_b64 s[0:1], s[0:1], -1
	s_and_saveexec_b64 s[2:3], s[10:11]
; %bb.56:
	v_lshlrev_b32_e32 v3, 2, v5
	ds_write_b32 v3, v1
; %bb.57:
	s_or_b64 exec, exec, s[2:3]
	v_cndmask_b32_e64 v1, 0, 1, s[0:1]
	v_cmp_ne_u32_e64 s[56:57], 1, v1
	s_andn2_b64 vcc, exec, s[0:1]
	s_waitcnt vmcnt(0) lgkmcnt(0)
	s_barrier
	s_cbranch_vccnz .LBB102_1095
; %bb.58:
	v_or_b32_e32 v1, v0, v2
	v_cmp_eq_u32_e32 vcc, 0, v1
	s_and_saveexec_b64 s[0:1], vcc
	s_cbranch_execz .LBB102_60
; %bb.59:
	v_mov_b32_e32 v1, 0
	ds_read_b64 v[3:4], v1 offset:16376
	ds_read_b32 v1, v1 offset:16120
	s_movk_i32 s2, 0x3c00
	s_waitcnt lgkmcnt(0)
	v_mul_f32_e32 v1, v1, v4
	v_mul_f32_e32 v1, v3, v1
	v_add_u32_e64 v3, s2, 0
	ds_write2_b32 v3, v1, v1 offset0:191 offset1:254
.LBB102_60:
	s_or_b64 exec, exec, s[0:1]
	v_lshlrev_b32_e32 v3, 6, v2
	v_add_u32_e32 v5, v3, v0
	v_and_b32_e32 v4, v3, v0
	v_xor_b32_e32 v3, v3, v0
	v_lshrrev_b16_e32 v3, 1, v3
	v_add_u16_e32 v4, v4, v3
	v_and_b32_e32 v1, 1, v0
	v_sub_u32_e32 v3, 1, v4
	v_cmp_lt_u32_e64 s[8:9], 3, v5
	v_cmp_gt_u32_e64 s[2:3], 4, v5
	v_mov_b32_e32 v6, 0
	s_waitcnt lgkmcnt(0)
	s_barrier
	buffer_wbinvl1_vol
	s_and_saveexec_b64 s[0:1], s[2:3]
	s_cbranch_execz .LBB102_64
; %bb.61:
	v_lshlrev_b32_e32 v6, 8, v3
	v_lshlrev_b32_e32 v11, 2, v1
	ds_read_b32 v12, v11 offset:16112
	ds_read_b32 v6, v6 offset:16120
	v_mov_b32_e32 v11, 0
	v_cmp_gt_u32_e64 s[10:11], 2, v5
	s_waitcnt lgkmcnt(0)
	v_fma_f32 v6, v12, v6, 0
	s_and_saveexec_b64 s[12:13], s[10:11]
	s_cbranch_execz .LBB102_63
; %bb.62:
	v_lshlrev_b32_e32 v12, 2, v0
	ds_read_b32 v12, v12 offset:16368
	ds_read_b32 v11, v11 offset:16380
	s_waitcnt lgkmcnt(0)
	v_fmac_f32_e32 v6, v12, v11
.LBB102_63:
	s_or_b64 exec, exec, s[12:13]
.LBB102_64:
	s_or_b64 exec, exec, s[0:1]
	v_mov_b32_e32 v11, 0x4000
	v_cmp_ne_u32_e64 s[10:11], 0, v1
	s_xor_b64 s[0:1], s[8:9], -1
	v_lshl_add_u32 v4, v4, 2, v11
	s_and_b64 s[38:39], s[10:11], s[0:1]
	s_and_saveexec_b64 s[8:9], s[38:39]
	s_cbranch_execz .LBB102_66
; %bb.65:
	v_mov_b32_e32 v11, 0
	ds_read_b32 v11, v11 offset:15860
	s_waitcnt lgkmcnt(0)
	v_mul_f32_e32 v6, v6, v11
	v_xor_b32_e32 v11, 0x80000000, v6
	ds_write_b32 v4, v11
.LBB102_66:
	s_or_b64 exec, exec, s[8:9]
	v_cmp_eq_u32_e64 s[8:9], 0, v1
	s_and_b64 s[36:37], s[8:9], s[0:1]
	s_waitcnt lgkmcnt(0)
	s_barrier
	s_and_saveexec_b64 s[0:1], s[36:37]
	s_cbranch_execz .LBB102_68
; %bb.67:
	v_mov_b32_e32 v11, 0
	ds_read_b32 v11, v11 offset:15856
	ds_read_b32 v12, v4
	s_waitcnt lgkmcnt(0)
	v_fma_f32 v6, -v11, v12, v6
.LBB102_68:
	s_or_b64 exec, exec, s[0:1]
	s_barrier
	s_and_saveexec_b64 s[0:1], s[36:37]
	s_cbranch_execz .LBB102_70
; %bb.69:
	v_mov_b32_e32 v11, 0
	ds_read_b32 v11, v11 offset:15600
	s_waitcnt lgkmcnt(0)
	v_mul_f32_e32 v6, v6, v11
	v_xor_b32_e32 v11, 0x80000000, v6
	ds_write_b32 v4, v11
.LBB102_70:
	s_or_b64 exec, exec, s[0:1]
	s_waitcnt lgkmcnt(0)
	s_barrier
	s_barrier
	s_and_saveexec_b64 s[0:1], s[2:3]
; %bb.71:
	v_lshlrev_b32_e32 v11, 2, v1
	v_lshl_or_b32 v11, v3, 8, v11
	ds_write_b32 v11, v6 offset:16112
; %bb.72:
	s_or_b64 exec, exec, s[0:1]
	v_cmp_eq_u32_e64 s[12:13], 0, v2
	v_cmp_gt_u32_e64 s[8:9], 2, v0
	s_and_b64 s[40:41], s[12:13], s[8:9]
	s_waitcnt lgkmcnt(0)
	s_barrier
	s_barrier
	s_and_saveexec_b64 s[0:1], s[40:41]
	s_cbranch_execz .LBB102_74
; %bb.73:
	v_lshlrev_b32_e32 v6, 2, v0
	s_movk_i32 s8, 0xfc
	v_mad_u32_u24 v11, v0, s8, v6
	ds_read_b32 v12, v11 offset:16112
	s_waitcnt lgkmcnt(0)
	ds_write_b32 v6, v12 offset:15608
	ds_read_b32 v11, v11 offset:16116
	s_waitcnt lgkmcnt(0)
	ds_write_b32 v6, v11 offset:15864
.LBB102_74:
	s_or_b64 exec, exec, s[0:1]
	s_waitcnt lgkmcnt(0)
	s_barrier
	s_and_saveexec_b64 s[0:1], vcc
	s_cbranch_execz .LBB102_76
; %bb.75:
	v_mov_b32_e32 v6, 0
	ds_read_b64 v[11:12], v6 offset:15856
	ds_read_b32 v6, v6 offset:15600
	s_movk_i32 s8, 0x3c00
	s_waitcnt lgkmcnt(0)
	v_mul_f32_e32 v6, v6, v12
	v_mul_f32_e32 v6, v11, v6
	v_add_u32_e64 v11, s8, 0
	ds_write2_b32 v11, v6, v6 offset0:61 offset1:124
.LBB102_76:
	s_or_b64 exec, exec, s[0:1]
	v_lshrrev_b32_e32 v12, 2, v5
	v_and_b32_e32 v6, 3, v0
	v_sub_u32_e32 v11, 3, v12
	v_cmp_lt_u32_e64 s[8:9], 15, v5
	v_cmp_gt_u32_e64 s[18:19], 16, v5
	v_mov_b32_e32 v13, 0
	s_waitcnt lgkmcnt(0)
	s_barrier
	buffer_wbinvl1_vol
	s_and_saveexec_b64 s[0:1], s[18:19]
	s_cbranch_execz .LBB102_82
; %bb.77:
	v_lshlrev_b32_e32 v15, 2, v6
	v_lshlrev_b32_e32 v14, 8, v11
	ds_read_b32 v13, v15 offset:15584
	ds_read_b32 v16, v14 offset:15600
	v_cmp_gt_u32_e64 s[10:11], 12, v5
	s_waitcnt lgkmcnt(0)
	v_fma_f32 v13, v13, v16, 0
	s_and_saveexec_b64 s[14:15], s[10:11]
	s_cbranch_execnz .LBB102_1206
; %bb.78:
	s_or_b64 exec, exec, s[14:15]
	v_cmp_gt_u32_e64 s[10:11], 8, v5
	s_and_saveexec_b64 s[14:15], s[10:11]
	s_cbranch_execnz .LBB102_1207
.LBB102_79:
	s_or_b64 exec, exec, s[14:15]
	v_cmp_gt_u32_e64 s[10:11], 4, v5
	s_and_saveexec_b64 s[14:15], s[10:11]
	s_cbranch_execz .LBB102_81
.LBB102_80:
	v_lshlrev_b32_e32 v14, 2, v0
	v_mov_b32_e32 v15, 0
	ds_read_b32 v14, v14 offset:16352
	ds_read_b32 v15, v15 offset:16380
	s_waitcnt lgkmcnt(0)
	v_fmac_f32_e32 v13, v14, v15
.LBB102_81:
	s_or_b64 exec, exec, s[14:15]
.LBB102_82:
                                        ; implicit-def: $vgpr27 : SGPR spill to VGPR lane
	v_writelane_b32 v27, s45, 0
	v_writelane_b32 v27, s44, 1
	s_or_b64 exec, exec, s[0:1]
	v_mov_b32_e32 v14, 0x4000
	v_cmp_eq_u32_e64 s[10:11], 3, v6
	s_xor_b64 s[0:1], s[8:9], -1
	v_lshl_add_u32 v12, v12, 2, v14
	s_and_b64 s[44:45], s[10:11], s[0:1]
	s_and_saveexec_b64 s[8:9], s[44:45]
	s_cbranch_execz .LBB102_84
; %bb.83:
	v_mov_b32_e32 v14, 0
	ds_read_b32 v14, v14 offset:15340
	s_waitcnt lgkmcnt(0)
	v_mul_f32_e32 v13, v13, v14
	v_xor_b32_e32 v14, 0x80000000, v13
	ds_write_b32 v12, v14
.LBB102_84:
	s_or_b64 exec, exec, s[8:9]
	v_cmp_ne_u32_e64 s[8:9], 3, v6
	s_and_b64 s[46:47], s[8:9], s[0:1]
	s_waitcnt lgkmcnt(0)
	s_barrier
	s_and_saveexec_b64 s[8:9], s[46:47]
	s_cbranch_execz .LBB102_86
; %bb.85:
	v_lshlrev_b32_e32 v14, 2, v6
	ds_read_b32 v14, v14 offset:15328
	ds_read_b32 v15, v12
	s_waitcnt lgkmcnt(0)
	v_fma_f32 v13, -v14, v15, v13
.LBB102_86:
	s_or_b64 exec, exec, s[8:9]
	v_cmp_eq_u32_e64 s[8:9], 2, v6
	s_and_b64 s[48:49], s[8:9], s[0:1]
	s_barrier
	s_and_saveexec_b64 s[8:9], s[48:49]
	s_cbranch_execz .LBB102_88
; %bb.87:
	v_mov_b32_e32 v14, 0
	ds_read_b32 v14, v14 offset:15080
	s_waitcnt lgkmcnt(0)
	v_mul_f32_e32 v13, v13, v14
	v_xor_b32_e32 v14, 0x80000000, v13
	ds_write_b32 v12, v14
.LBB102_88:
	s_or_b64 exec, exec, s[8:9]
	v_cmp_gt_u32_e64 s[8:9], 2, v6
	s_and_b64 s[50:51], s[8:9], s[0:1]
	s_waitcnt lgkmcnt(0)
	s_barrier
	s_and_saveexec_b64 s[8:9], s[50:51]
	s_cbranch_execz .LBB102_90
; %bb.89:
	v_lshlrev_b32_e32 v14, 2, v6
	ds_read_b32 v14, v14 offset:15072
	ds_read_b32 v15, v12
	s_waitcnt lgkmcnt(0)
	v_fma_f32 v13, -v14, v15, v13
.LBB102_90:
	s_or_b64 exec, exec, s[8:9]
	v_cmp_eq_u32_e64 s[8:9], 1, v6
	s_and_b64 s[52:53], s[8:9], s[0:1]
	s_barrier
	s_and_saveexec_b64 s[8:9], s[52:53]
	s_cbranch_execz .LBB102_92
; %bb.91:
	v_mov_b32_e32 v14, 0
	ds_read_b32 v14, v14 offset:14820
	s_waitcnt lgkmcnt(0)
	v_mul_f32_e32 v13, v13, v14
	v_xor_b32_e32 v14, 0x80000000, v13
	ds_write_b32 v12, v14
.LBB102_92:
	s_or_b64 exec, exec, s[8:9]
	v_cmp_eq_u32_e64 s[8:9], 0, v6
	s_and_b64 s[42:43], s[8:9], s[0:1]
	s_waitcnt lgkmcnt(0)
	s_barrier
	s_and_saveexec_b64 s[0:1], s[42:43]
	s_cbranch_execz .LBB102_94
; %bb.93:
	v_mov_b32_e32 v14, 0
	ds_read_b32 v14, v14 offset:14816
	ds_read_b32 v15, v12
	s_waitcnt lgkmcnt(0)
	v_fma_f32 v13, -v14, v15, v13
.LBB102_94:
	s_or_b64 exec, exec, s[0:1]
	s_barrier
	s_and_saveexec_b64 s[0:1], s[42:43]
	s_cbranch_execz .LBB102_96
; %bb.95:
	v_mov_b32_e32 v14, 0
	ds_read_b32 v14, v14 offset:14560
	s_waitcnt lgkmcnt(0)
	v_mul_f32_e32 v13, v13, v14
	v_xor_b32_e32 v14, 0x80000000, v13
	ds_write_b32 v12, v14
.LBB102_96:
	s_or_b64 exec, exec, s[0:1]
	s_waitcnt lgkmcnt(0)
	s_barrier
	s_barrier
	s_and_saveexec_b64 s[0:1], s[18:19]
; %bb.97:
	v_lshlrev_b32_e32 v14, 2, v6
	v_lshl_or_b32 v14, v11, 8, v14
	ds_write_b32 v14, v13 offset:15584
; %bb.98:
	s_or_b64 exec, exec, s[0:1]
	v_cmp_gt_u32_e64 s[8:9], 4, v0
	s_and_b64 s[54:55], s[12:13], s[8:9]
	s_waitcnt lgkmcnt(0)
	s_barrier
	s_barrier
	s_and_saveexec_b64 s[0:1], s[54:55]
	s_cbranch_execz .LBB102_100
; %bb.99:
	v_lshlrev_b32_e32 v13, 8, v0
	ds_read_b32 v14, v13 offset:15584
	s_movk_i32 s8, 0xff04
	v_mad_i32_i24 v15, v0, s8, v13
	s_waitcnt lgkmcnt(0)
	ds_write_b32 v15, v14 offset:14576
	ds_read_b32 v14, v13 offset:15588
	s_waitcnt lgkmcnt(0)
	ds_write_b32 v15, v14 offset:14832
	ds_read_b32 v14, v13 offset:15592
	;; [unrolled: 3-line block ×3, first 2 shown]
	s_waitcnt lgkmcnt(0)
	ds_write_b32 v15, v13 offset:15344
.LBB102_100:
	s_or_b64 exec, exec, s[0:1]
	s_waitcnt lgkmcnt(0)
	s_barrier
	s_and_saveexec_b64 s[0:1], vcc
	s_cbranch_execz .LBB102_102
; %bb.101:
	v_mov_b32_e32 v15, 0
	ds_read_b64 v[13:14], v15 offset:15336
	ds_read_b32 v15, v15 offset:15080
	s_movk_i32 s8, 0x3800
	s_waitcnt lgkmcnt(0)
	v_mul_f32_e32 v14, v15, v14
	v_mul_f32_e32 v13, v13, v14
	v_add_u32_e64 v14, s8, 0
	ds_write2_b32 v14, v13, v13 offset0:187 offset1:250
.LBB102_102:
	s_or_b64 exec, exec, s[0:1]
	v_mov_b32_e32 v13, 0
	s_waitcnt lgkmcnt(0)
	s_barrier
	buffer_wbinvl1_vol
	s_and_saveexec_b64 s[0:1], s[2:3]
	s_cbranch_execz .LBB102_106
; %bb.103:
	v_lshlrev_b32_e32 v13, 8, v3
	v_lshlrev_b32_e32 v14, 2, v1
	ds_read_b32 v15, v14 offset:15072
	ds_read_b32 v13, v13 offset:15080
	v_mov_b32_e32 v14, 0
	v_cmp_gt_u32_e64 s[8:9], 2, v5
	s_waitcnt lgkmcnt(0)
	v_fma_f32 v13, v15, v13, 0
	s_and_saveexec_b64 s[10:11], s[8:9]
	s_cbranch_execz .LBB102_105
; %bb.104:
	v_lshlrev_b32_e32 v15, 2, v0
	ds_read_b32 v15, v15 offset:15328
	ds_read_b32 v14, v14 offset:15340
	s_waitcnt lgkmcnt(0)
	v_fmac_f32_e32 v13, v15, v14
.LBB102_105:
	s_or_b64 exec, exec, s[10:11]
.LBB102_106:
	s_or_b64 exec, exec, s[0:1]
	s_and_saveexec_b64 s[0:1], s[38:39]
	s_cbranch_execz .LBB102_108
; %bb.107:
	v_mov_b32_e32 v14, 0
	ds_read_b32 v14, v14 offset:14820
	s_waitcnt lgkmcnt(0)
	v_mul_f32_e32 v13, v13, v14
	v_xor_b32_e32 v14, 0x80000000, v13
	ds_write_b32 v4, v14
.LBB102_108:
	s_or_b64 exec, exec, s[0:1]
	s_waitcnt lgkmcnt(0)
	s_barrier
	s_and_saveexec_b64 s[0:1], s[36:37]
	s_cbranch_execz .LBB102_110
; %bb.109:
	v_mov_b32_e32 v14, 0
	ds_read_b32 v14, v14 offset:14816
	ds_read_b32 v15, v4
	s_waitcnt lgkmcnt(0)
	v_fma_f32 v13, -v14, v15, v13
.LBB102_110:
	s_or_b64 exec, exec, s[0:1]
	s_barrier
	s_and_saveexec_b64 s[0:1], s[36:37]
	s_cbranch_execz .LBB102_112
; %bb.111:
	v_mov_b32_e32 v14, 0
	ds_read_b32 v14, v14 offset:14560
	s_waitcnt lgkmcnt(0)
	v_mul_f32_e32 v13, v13, v14
	v_xor_b32_e32 v14, 0x80000000, v13
	ds_write_b32 v4, v14
.LBB102_112:
	s_or_b64 exec, exec, s[0:1]
	s_waitcnt lgkmcnt(0)
	s_barrier
	s_barrier
	s_and_saveexec_b64 s[0:1], s[2:3]
; %bb.113:
	v_lshlrev_b32_e32 v14, 2, v1
	v_lshl_or_b32 v14, v3, 8, v14
	ds_write_b32 v14, v13 offset:15072
; %bb.114:
	s_or_b64 exec, exec, s[0:1]
	s_waitcnt lgkmcnt(0)
	s_barrier
	s_barrier
	s_and_saveexec_b64 s[0:1], s[40:41]
	s_cbranch_execz .LBB102_116
; %bb.115:
	v_lshlrev_b32_e32 v13, 2, v0
	s_movk_i32 s8, 0xfc
	v_mad_u32_u24 v14, v0, s8, v13
	ds_read_b32 v15, v14 offset:15072
	s_waitcnt lgkmcnt(0)
	ds_write_b32 v13, v15 offset:14568
	ds_read_b32 v14, v14 offset:15076
	s_waitcnt lgkmcnt(0)
	ds_write_b32 v13, v14 offset:14824
.LBB102_116:
	s_or_b64 exec, exec, s[0:1]
	s_waitcnt lgkmcnt(0)
	s_barrier
	s_and_saveexec_b64 s[0:1], vcc
	s_cbranch_execz .LBB102_118
; %bb.117:
	v_mov_b32_e32 v15, 0
	ds_read_b64 v[13:14], v15 offset:14816
	ds_read_b32 v15, v15 offset:14560
	s_movk_i32 s8, 0x3800
	s_waitcnt lgkmcnt(0)
	v_mul_f32_e32 v14, v15, v14
	v_mul_f32_e32 v13, v13, v14
	v_add_u32_e64 v14, s8, 0
	ds_write2_b32 v14, v13, v13 offset0:57 offset1:120
.LBB102_118:
	s_or_b64 exec, exec, s[0:1]
	v_lshrrev_b32_e32 v15, 3, v5
	v_and_b32_e32 v13, 7, v0
	v_sub_u32_e32 v14, 7, v15
	v_cmp_lt_u32_e64 s[10:11], 63, v5
	v_cmp_gt_u32_e64 s[8:9], 64, v5
	v_mov_b32_e32 v16, 0
	s_waitcnt lgkmcnt(0)
	s_barrier
	buffer_wbinvl1_vol
	s_and_saveexec_b64 s[0:1], s[8:9]
	s_cbranch_execz .LBB102_128
; %bb.119:
	v_lshlrev_b32_e32 v18, 2, v13
	v_lshlrev_b32_e32 v17, 8, v14
	ds_read_b32 v16, v18 offset:14528
	ds_read_b32 v19, v17 offset:14560
	v_cmp_gt_u32_e64 s[14:15], 56, v5
	s_waitcnt lgkmcnt(0)
	v_fma_f32 v16, v16, v19, 0
	s_and_saveexec_b64 s[16:17], s[14:15]
	s_cbranch_execnz .LBB102_1208
; %bb.120:
	s_or_b64 exec, exec, s[16:17]
	v_cmp_gt_u32_e64 s[14:15], 48, v5
	s_and_saveexec_b64 s[16:17], s[14:15]
	s_cbranch_execnz .LBB102_1209
.LBB102_121:
	s_or_b64 exec, exec, s[16:17]
	v_cmp_gt_u32_e64 s[14:15], 40, v5
	s_and_saveexec_b64 s[16:17], s[14:15]
	s_cbranch_execnz .LBB102_1210
.LBB102_122:
	s_or_b64 exec, exec, s[16:17]
	v_cmp_gt_u32_e64 s[14:15], 32, v5
	s_and_saveexec_b64 s[16:17], s[14:15]
	s_cbranch_execnz .LBB102_1211
.LBB102_123:
	s_or_b64 exec, exec, s[16:17]
	v_cmp_gt_u32_e64 s[14:15], 24, v5
	s_and_saveexec_b64 s[16:17], s[14:15]
	s_cbranch_execnz .LBB102_1212
.LBB102_124:
	s_or_b64 exec, exec, s[16:17]
	s_and_saveexec_b64 s[14:15], s[18:19]
	s_cbranch_execnz .LBB102_1213
.LBB102_125:
	s_or_b64 exec, exec, s[14:15]
	v_cmp_gt_u32_e64 s[14:15], 8, v5
	s_and_saveexec_b64 s[16:17], s[14:15]
	s_cbranch_execz .LBB102_127
.LBB102_126:
	v_lshlrev_b32_e32 v17, 2, v0
	v_mov_b32_e32 v18, 0
	ds_read_b32 v17, v17 offset:16320
	ds_read_b32 v18, v18 offset:16380
	s_waitcnt lgkmcnt(0)
	v_fmac_f32_e32 v16, v17, v18
.LBB102_127:
	s_or_b64 exec, exec, s[16:17]
.LBB102_128:
	v_writelane_b32 v27, s56, 2
	v_writelane_b32 v27, s57, 3
	s_or_b64 exec, exec, s[0:1]
	v_mov_b32_e32 v17, 0x4000
	v_cmp_eq_u32_e64 s[14:15], 7, v13
	s_xor_b64 s[0:1], s[10:11], -1
	v_lshl_add_u32 v15, v15, 2, v17
	s_and_b64 s[56:57], s[14:15], s[0:1]
	s_and_saveexec_b64 s[10:11], s[56:57]
	s_cbranch_execz .LBB102_130
; %bb.129:
	v_mov_b32_e32 v17, 0
	ds_read_b32 v17, v17 offset:14300
	s_waitcnt lgkmcnt(0)
	v_mul_f32_e32 v16, v16, v17
	v_xor_b32_e32 v17, 0x80000000, v16
	ds_write_b32 v15, v17
.LBB102_130:
	s_or_b64 exec, exec, s[10:11]
	v_cmp_ne_u32_e64 s[10:11], 7, v13
	s_and_b64 s[58:59], s[10:11], s[0:1]
	s_waitcnt lgkmcnt(0)
	s_barrier
	s_and_saveexec_b64 s[10:11], s[58:59]
	s_cbranch_execz .LBB102_132
; %bb.131:
	v_lshlrev_b32_e32 v17, 2, v13
	ds_read_b32 v17, v17 offset:14272
	ds_read_b32 v18, v15
	s_waitcnt lgkmcnt(0)
	v_fma_f32 v16, -v17, v18, v16
.LBB102_132:
	s_or_b64 exec, exec, s[10:11]
	v_cmp_eq_u32_e64 s[10:11], 6, v13
	s_and_b64 s[60:61], s[10:11], s[0:1]
	s_barrier
	s_and_saveexec_b64 s[10:11], s[60:61]
	s_cbranch_execz .LBB102_134
; %bb.133:
	v_mov_b32_e32 v17, 0
	ds_read_b32 v17, v17 offset:14040
	s_waitcnt lgkmcnt(0)
	v_mul_f32_e32 v16, v16, v17
	v_xor_b32_e32 v17, 0x80000000, v16
	ds_write_b32 v15, v17
.LBB102_134:
	s_or_b64 exec, exec, s[10:11]
	v_cmp_gt_u32_e64 s[10:11], 6, v13
	s_and_b64 s[62:63], s[10:11], s[0:1]
	s_waitcnt lgkmcnt(0)
	s_barrier
	s_and_saveexec_b64 s[10:11], s[62:63]
	s_cbranch_execz .LBB102_136
; %bb.135:
	v_lshlrev_b32_e32 v17, 2, v13
	ds_read_b32 v17, v17 offset:14016
	ds_read_b32 v18, v15
	s_waitcnt lgkmcnt(0)
	v_fma_f32 v16, -v17, v18, v16
.LBB102_136:
	s_or_b64 exec, exec, s[10:11]
	v_cmp_eq_u32_e64 s[10:11], 5, v13
	s_and_b64 s[64:65], s[10:11], s[0:1]
	s_barrier
	s_and_saveexec_b64 s[10:11], s[64:65]
	s_cbranch_execz .LBB102_138
; %bb.137:
	v_mov_b32_e32 v17, 0
	ds_read_b32 v17, v17 offset:13780
	s_waitcnt lgkmcnt(0)
	v_mul_f32_e32 v16, v16, v17
	v_xor_b32_e32 v17, 0x80000000, v16
	ds_write_b32 v15, v17
.LBB102_138:
	s_or_b64 exec, exec, s[10:11]
	v_cmp_gt_u32_e64 s[10:11], 5, v13
	;; [unrolled: 28-line block ×5, first 2 shown]
	s_and_b64 s[80:81], s[10:11], s[0:1]
	s_waitcnt lgkmcnt(0)
	s_barrier
	s_and_saveexec_b64 s[10:11], s[80:81]
	s_cbranch_execz .LBB102_152
; %bb.151:
	v_lshlrev_b32_e32 v17, 2, v13
	ds_read_b32 v17, v17 offset:12992
	ds_read_b32 v18, v15
	s_waitcnt lgkmcnt(0)
	v_fma_f32 v16, -v17, v18, v16
.LBB102_152:
	s_or_b64 exec, exec, s[10:11]
	v_cmp_eq_u32_e64 s[10:11], 1, v13
	s_and_b64 s[82:83], s[10:11], s[0:1]
	s_barrier
	s_and_saveexec_b64 s[10:11], s[82:83]
	s_cbranch_execz .LBB102_154
; %bb.153:
	v_mov_b32_e32 v17, 0
	ds_read_b32 v17, v17 offset:12740
	s_waitcnt lgkmcnt(0)
	v_mul_f32_e32 v16, v16, v17
	v_xor_b32_e32 v17, 0x80000000, v16
	ds_write_b32 v15, v17
.LBB102_154:
	s_or_b64 exec, exec, s[10:11]
	v_cmp_eq_u32_e64 s[10:11], 0, v13
	s_and_b64 s[66:67], s[10:11], s[0:1]
	s_waitcnt lgkmcnt(0)
	s_barrier
	s_and_saveexec_b64 s[0:1], s[66:67]
	s_cbranch_execz .LBB102_156
; %bb.155:
	v_mov_b32_e32 v17, 0
	ds_read_b32 v17, v17 offset:12736
	ds_read_b32 v18, v15
	s_waitcnt lgkmcnt(0)
	v_fma_f32 v16, -v17, v18, v16
.LBB102_156:
	s_or_b64 exec, exec, s[0:1]
	s_barrier
	s_and_saveexec_b64 s[0:1], s[66:67]
	s_cbranch_execz .LBB102_158
; %bb.157:
	v_mov_b32_e32 v17, 0
	ds_read_b32 v17, v17 offset:12480
	s_waitcnt lgkmcnt(0)
	v_mul_f32_e32 v16, v16, v17
	v_xor_b32_e32 v17, 0x80000000, v16
	ds_write_b32 v15, v17
.LBB102_158:
	s_or_b64 exec, exec, s[0:1]
	s_waitcnt lgkmcnt(0)
	s_barrier
	s_barrier
	s_and_saveexec_b64 s[0:1], s[8:9]
; %bb.159:
	v_lshlrev_b32_e32 v17, 2, v13
	v_lshl_or_b32 v17, v14, 8, v17
	ds_write_b32 v17, v16 offset:14528
; %bb.160:
	s_or_b64 exec, exec, s[0:1]
	v_cmp_gt_u32_e64 s[10:11], 8, v0
	s_and_b64 s[84:85], s[12:13], s[10:11]
	s_waitcnt lgkmcnt(0)
	s_barrier
	s_barrier
	s_and_saveexec_b64 s[0:1], s[84:85]
	s_cbranch_execz .LBB102_162
; %bb.161:
	v_lshlrev_b32_e32 v16, 8, v0
	ds_read_b32 v17, v16 offset:14528
	s_movk_i32 s10, 0xff04
	v_mad_i32_i24 v18, v0, s10, v16
	s_waitcnt lgkmcnt(0)
	ds_write_b32 v18, v17 offset:12512
	ds_read_b32 v17, v16 offset:14532
	s_waitcnt lgkmcnt(0)
	ds_write_b32 v18, v17 offset:12768
	ds_read_b32 v17, v16 offset:14536
	;; [unrolled: 3-line block ×7, first 2 shown]
	s_waitcnt lgkmcnt(0)
	ds_write_b32 v18, v16 offset:14304
.LBB102_162:
	s_or_b64 exec, exec, s[0:1]
	s_waitcnt lgkmcnt(0)
	s_barrier
	s_and_saveexec_b64 s[0:1], vcc
	s_cbranch_execz .LBB102_164
; %bb.163:
	v_mov_b32_e32 v18, 0
	ds_read_b64 v[16:17], v18 offset:14296
	ds_read_b32 v18, v18 offset:14040
	s_movk_i32 s10, 0x3400
	s_waitcnt lgkmcnt(0)
	v_mul_f32_e32 v17, v18, v17
	v_mul_f32_e32 v16, v16, v17
	v_add_u32_e64 v17, s10, 0
	ds_write2_b32 v17, v16, v16 offset0:183 offset1:246
.LBB102_164:
	s_or_b64 exec, exec, s[0:1]
	v_mov_b32_e32 v16, 0
	s_waitcnt lgkmcnt(0)
	s_barrier
	buffer_wbinvl1_vol
	s_and_saveexec_b64 s[0:1], s[2:3]
	s_cbranch_execz .LBB102_168
; %bb.165:
	v_lshlrev_b32_e32 v16, 8, v3
	v_lshlrev_b32_e32 v17, 2, v1
	ds_read_b32 v18, v17 offset:14032
	ds_read_b32 v16, v16 offset:14040
	v_mov_b32_e32 v17, 0
	v_cmp_gt_u32_e64 s[10:11], 2, v5
	s_waitcnt lgkmcnt(0)
	v_fma_f32 v16, v18, v16, 0
	s_and_saveexec_b64 s[14:15], s[10:11]
	s_cbranch_execz .LBB102_167
; %bb.166:
	v_lshlrev_b32_e32 v18, 2, v0
	ds_read_b32 v18, v18 offset:14288
	ds_read_b32 v17, v17 offset:14300
	s_waitcnt lgkmcnt(0)
	v_fmac_f32_e32 v16, v18, v17
.LBB102_167:
	s_or_b64 exec, exec, s[14:15]
.LBB102_168:
	s_or_b64 exec, exec, s[0:1]
	s_and_saveexec_b64 s[0:1], s[38:39]
	s_cbranch_execz .LBB102_170
; %bb.169:
	v_mov_b32_e32 v17, 0
	ds_read_b32 v17, v17 offset:13780
	s_waitcnt lgkmcnt(0)
	v_mul_f32_e32 v16, v16, v17
	v_xor_b32_e32 v17, 0x80000000, v16
	ds_write_b32 v4, v17
.LBB102_170:
	s_or_b64 exec, exec, s[0:1]
	s_waitcnt lgkmcnt(0)
	s_barrier
	s_and_saveexec_b64 s[0:1], s[36:37]
	s_cbranch_execz .LBB102_172
; %bb.171:
	v_mov_b32_e32 v17, 0
	ds_read_b32 v17, v17 offset:13776
	ds_read_b32 v18, v4
	s_waitcnt lgkmcnt(0)
	v_fma_f32 v16, -v17, v18, v16
.LBB102_172:
	s_or_b64 exec, exec, s[0:1]
	s_barrier
	s_and_saveexec_b64 s[0:1], s[36:37]
	s_cbranch_execz .LBB102_174
; %bb.173:
	v_mov_b32_e32 v17, 0
	ds_read_b32 v17, v17 offset:13520
	s_waitcnt lgkmcnt(0)
	v_mul_f32_e32 v16, v16, v17
	v_xor_b32_e32 v17, 0x80000000, v16
	ds_write_b32 v4, v17
.LBB102_174:
	s_or_b64 exec, exec, s[0:1]
	s_waitcnt lgkmcnt(0)
	s_barrier
	s_barrier
	s_and_saveexec_b64 s[0:1], s[2:3]
; %bb.175:
	v_lshlrev_b32_e32 v17, 2, v1
	v_lshl_or_b32 v17, v3, 8, v17
	ds_write_b32 v17, v16 offset:14032
; %bb.176:
	s_or_b64 exec, exec, s[0:1]
	s_waitcnt lgkmcnt(0)
	s_barrier
	s_barrier
	s_and_saveexec_b64 s[0:1], s[40:41]
	s_cbranch_execz .LBB102_178
; %bb.177:
	v_lshlrev_b32_e32 v16, 2, v0
	s_movk_i32 s10, 0xfc
	v_mad_u32_u24 v17, v0, s10, v16
	ds_read_b32 v18, v17 offset:14032
	s_waitcnt lgkmcnt(0)
	ds_write_b32 v16, v18 offset:13528
	ds_read_b32 v17, v17 offset:14036
	s_waitcnt lgkmcnt(0)
	ds_write_b32 v16, v17 offset:13784
.LBB102_178:
	s_or_b64 exec, exec, s[0:1]
	s_waitcnt lgkmcnt(0)
	s_barrier
	s_and_saveexec_b64 s[0:1], vcc
	s_cbranch_execz .LBB102_180
; %bb.179:
	v_mov_b32_e32 v18, 0
	ds_read_b64 v[16:17], v18 offset:13776
	ds_read_b32 v18, v18 offset:13520
	s_movk_i32 s10, 0x3400
	s_waitcnt lgkmcnt(0)
	v_mul_f32_e32 v17, v18, v17
	v_mul_f32_e32 v16, v16, v17
	v_add_u32_e64 v17, s10, 0
	ds_write2_b32 v17, v16, v16 offset0:53 offset1:116
.LBB102_180:
	s_or_b64 exec, exec, s[0:1]
	v_mov_b32_e32 v16, 0
	s_waitcnt lgkmcnt(0)
	s_barrier
	buffer_wbinvl1_vol
	s_and_saveexec_b64 s[0:1], s[18:19]
	s_cbranch_execz .LBB102_186
; %bb.181:
	v_lshlrev_b32_e32 v18, 2, v6
	v_lshlrev_b32_e32 v17, 8, v11
	ds_read_b32 v16, v18 offset:13504
	ds_read_b32 v19, v17 offset:13520
	v_cmp_gt_u32_e64 s[10:11], 12, v5
	s_waitcnt lgkmcnt(0)
	v_fma_f32 v16, v16, v19, 0
	s_and_saveexec_b64 s[14:15], s[10:11]
	s_cbranch_execnz .LBB102_1214
; %bb.182:
	s_or_b64 exec, exec, s[14:15]
	v_cmp_gt_u32_e64 s[10:11], 8, v5
	s_and_saveexec_b64 s[14:15], s[10:11]
	s_cbranch_execnz .LBB102_1215
.LBB102_183:
	s_or_b64 exec, exec, s[14:15]
	v_cmp_gt_u32_e64 s[10:11], 4, v5
	s_and_saveexec_b64 s[14:15], s[10:11]
	s_cbranch_execz .LBB102_185
.LBB102_184:
	v_lshlrev_b32_e32 v17, 2, v0
	v_mov_b32_e32 v18, 0
	ds_read_b32 v17, v17 offset:14272
	ds_read_b32 v18, v18 offset:14300
	s_waitcnt lgkmcnt(0)
	v_fmac_f32_e32 v16, v17, v18
.LBB102_185:
	s_or_b64 exec, exec, s[14:15]
.LBB102_186:
	s_or_b64 exec, exec, s[0:1]
	s_and_saveexec_b64 s[0:1], s[44:45]
	s_cbranch_execz .LBB102_188
; %bb.187:
	v_mov_b32_e32 v17, 0
	ds_read_b32 v17, v17 offset:13260
	s_waitcnt lgkmcnt(0)
	v_mul_f32_e32 v16, v16, v17
	v_xor_b32_e32 v17, 0x80000000, v16
	ds_write_b32 v12, v17
.LBB102_188:
	s_or_b64 exec, exec, s[0:1]
	s_waitcnt lgkmcnt(0)
	s_barrier
	s_and_saveexec_b64 s[0:1], s[46:47]
	s_cbranch_execz .LBB102_190
; %bb.189:
	v_lshlrev_b32_e32 v17, 2, v6
	ds_read_b32 v17, v17 offset:13248
	ds_read_b32 v18, v12
	s_waitcnt lgkmcnt(0)
	v_fma_f32 v16, -v17, v18, v16
.LBB102_190:
	s_or_b64 exec, exec, s[0:1]
	s_barrier
	s_and_saveexec_b64 s[0:1], s[48:49]
	s_cbranch_execz .LBB102_192
; %bb.191:
	v_mov_b32_e32 v17, 0
	ds_read_b32 v17, v17 offset:13000
	s_waitcnt lgkmcnt(0)
	v_mul_f32_e32 v16, v16, v17
	v_xor_b32_e32 v17, 0x80000000, v16
	ds_write_b32 v12, v17
.LBB102_192:
	s_or_b64 exec, exec, s[0:1]
	s_waitcnt lgkmcnt(0)
	s_barrier
	s_and_saveexec_b64 s[0:1], s[50:51]
	s_cbranch_execz .LBB102_194
; %bb.193:
	v_lshlrev_b32_e32 v17, 2, v6
	ds_read_b32 v17, v17 offset:12992
	ds_read_b32 v18, v12
	s_waitcnt lgkmcnt(0)
	v_fma_f32 v16, -v17, v18, v16
.LBB102_194:
	s_or_b64 exec, exec, s[0:1]
	s_barrier
	s_and_saveexec_b64 s[0:1], s[52:53]
	s_cbranch_execz .LBB102_196
; %bb.195:
	v_mov_b32_e32 v17, 0
	ds_read_b32 v17, v17 offset:12740
	s_waitcnt lgkmcnt(0)
	v_mul_f32_e32 v16, v16, v17
	v_xor_b32_e32 v17, 0x80000000, v16
	ds_write_b32 v12, v17
.LBB102_196:
	s_or_b64 exec, exec, s[0:1]
	s_waitcnt lgkmcnt(0)
	s_barrier
	s_and_saveexec_b64 s[0:1], s[42:43]
	s_cbranch_execz .LBB102_198
; %bb.197:
	v_mov_b32_e32 v17, 0
	ds_read_b32 v17, v17 offset:12736
	ds_read_b32 v18, v12
	s_waitcnt lgkmcnt(0)
	v_fma_f32 v16, -v17, v18, v16
.LBB102_198:
	s_or_b64 exec, exec, s[0:1]
	s_barrier
	s_and_saveexec_b64 s[0:1], s[42:43]
	s_cbranch_execz .LBB102_200
; %bb.199:
	v_mov_b32_e32 v17, 0
	ds_read_b32 v17, v17 offset:12480
	s_waitcnt lgkmcnt(0)
	v_mul_f32_e32 v16, v16, v17
	v_xor_b32_e32 v17, 0x80000000, v16
	ds_write_b32 v12, v17
.LBB102_200:
	s_or_b64 exec, exec, s[0:1]
	s_waitcnt lgkmcnt(0)
	s_barrier
	s_barrier
	s_and_saveexec_b64 s[0:1], s[18:19]
; %bb.201:
	v_lshlrev_b32_e32 v17, 2, v6
	v_lshl_or_b32 v17, v11, 8, v17
	ds_write_b32 v17, v16 offset:13504
; %bb.202:
	s_or_b64 exec, exec, s[0:1]
	s_waitcnt lgkmcnt(0)
	s_barrier
	s_barrier
	s_and_saveexec_b64 s[0:1], s[54:55]
	s_cbranch_execz .LBB102_204
; %bb.203:
	v_lshlrev_b32_e32 v16, 8, v0
	ds_read_b32 v17, v16 offset:13504
	s_movk_i32 s10, 0xff04
	v_mad_i32_i24 v18, v0, s10, v16
	s_waitcnt lgkmcnt(0)
	ds_write_b32 v18, v17 offset:12496
	ds_read_b32 v17, v16 offset:13508
	s_waitcnt lgkmcnt(0)
	ds_write_b32 v18, v17 offset:12752
	ds_read_b32 v17, v16 offset:13512
	;; [unrolled: 3-line block ×3, first 2 shown]
	s_waitcnt lgkmcnt(0)
	ds_write_b32 v18, v16 offset:13264
.LBB102_204:
	s_or_b64 exec, exec, s[0:1]
	s_waitcnt lgkmcnt(0)
	s_barrier
	s_and_saveexec_b64 s[0:1], vcc
	s_cbranch_execz .LBB102_206
; %bb.205:
	v_mov_b32_e32 v18, 0
	ds_read_b64 v[16:17], v18 offset:13256
	ds_read_b32 v18, v18 offset:13000
	s_movk_i32 s10, 0x3000
	s_waitcnt lgkmcnt(0)
	v_mul_f32_e32 v17, v18, v17
	v_mul_f32_e32 v16, v16, v17
	v_add_u32_e64 v17, s10, 0
	ds_write2_b32 v17, v16, v16 offset0:179 offset1:242
.LBB102_206:
	s_or_b64 exec, exec, s[0:1]
	v_mov_b32_e32 v16, 0
	s_waitcnt lgkmcnt(0)
	s_barrier
	buffer_wbinvl1_vol
	s_and_saveexec_b64 s[0:1], s[2:3]
	s_cbranch_execz .LBB102_210
; %bb.207:
	v_lshlrev_b32_e32 v16, 8, v3
	v_lshlrev_b32_e32 v17, 2, v1
	ds_read_b32 v18, v17 offset:12992
	ds_read_b32 v16, v16 offset:13000
	v_mov_b32_e32 v17, 0
	v_cmp_gt_u32_e64 s[10:11], 2, v5
	s_waitcnt lgkmcnt(0)
	v_fma_f32 v16, v18, v16, 0
	s_and_saveexec_b64 s[14:15], s[10:11]
	s_cbranch_execz .LBB102_209
; %bb.208:
	v_lshlrev_b32_e32 v18, 2, v0
	ds_read_b32 v18, v18 offset:13248
	ds_read_b32 v17, v17 offset:13260
	s_waitcnt lgkmcnt(0)
	v_fmac_f32_e32 v16, v18, v17
.LBB102_209:
	s_or_b64 exec, exec, s[14:15]
.LBB102_210:
	s_or_b64 exec, exec, s[0:1]
	s_and_saveexec_b64 s[0:1], s[38:39]
	s_cbranch_execz .LBB102_212
; %bb.211:
	v_mov_b32_e32 v17, 0
	ds_read_b32 v17, v17 offset:12740
	s_waitcnt lgkmcnt(0)
	v_mul_f32_e32 v16, v16, v17
	v_xor_b32_e32 v17, 0x80000000, v16
	ds_write_b32 v4, v17
.LBB102_212:
	s_or_b64 exec, exec, s[0:1]
	s_waitcnt lgkmcnt(0)
	s_barrier
	s_and_saveexec_b64 s[0:1], s[36:37]
	s_cbranch_execz .LBB102_214
; %bb.213:
	v_mov_b32_e32 v17, 0
	ds_read_b32 v17, v17 offset:12736
	ds_read_b32 v18, v4
	s_waitcnt lgkmcnt(0)
	v_fma_f32 v16, -v17, v18, v16
.LBB102_214:
	s_or_b64 exec, exec, s[0:1]
	s_barrier
	s_and_saveexec_b64 s[0:1], s[36:37]
	s_cbranch_execz .LBB102_216
; %bb.215:
	v_mov_b32_e32 v17, 0
	ds_read_b32 v17, v17 offset:12480
	s_waitcnt lgkmcnt(0)
	v_mul_f32_e32 v16, v16, v17
	v_xor_b32_e32 v17, 0x80000000, v16
	ds_write_b32 v4, v17
.LBB102_216:
	s_or_b64 exec, exec, s[0:1]
	s_waitcnt lgkmcnt(0)
	s_barrier
	s_barrier
	s_and_saveexec_b64 s[0:1], s[2:3]
; %bb.217:
	v_lshlrev_b32_e32 v17, 2, v1
	v_lshl_or_b32 v17, v3, 8, v17
	ds_write_b32 v17, v16 offset:12992
; %bb.218:
	s_or_b64 exec, exec, s[0:1]
	s_waitcnt lgkmcnt(0)
	s_barrier
	s_barrier
	s_and_saveexec_b64 s[0:1], s[40:41]
	s_cbranch_execz .LBB102_220
; %bb.219:
	v_lshlrev_b32_e32 v16, 2, v0
	s_movk_i32 s10, 0xfc
	v_mad_u32_u24 v17, v0, s10, v16
	ds_read_b32 v18, v17 offset:12992
	s_waitcnt lgkmcnt(0)
	ds_write_b32 v16, v18 offset:12488
	ds_read_b32 v17, v17 offset:12996
	s_waitcnt lgkmcnt(0)
	ds_write_b32 v16, v17 offset:12744
.LBB102_220:
	s_or_b64 exec, exec, s[0:1]
	s_waitcnt lgkmcnt(0)
	s_barrier
	s_and_saveexec_b64 s[0:1], vcc
	s_cbranch_execz .LBB102_222
; %bb.221:
	v_mov_b32_e32 v18, 0
	ds_read_b64 v[16:17], v18 offset:12736
	ds_read_b32 v18, v18 offset:12480
	s_movk_i32 s10, 0x3000
	s_waitcnt lgkmcnt(0)
	v_mul_f32_e32 v17, v18, v17
	v_mul_f32_e32 v16, v16, v17
	v_add_u32_e64 v17, s10, 0
	ds_write2_b32 v17, v16, v16 offset0:49 offset1:112
.LBB102_222:
	s_or_b64 exec, exec, s[0:1]
	s_movk_i32 s0, 0xff
	v_lshrrev_b32_e32 v18, 4, v5
	v_cmp_lt_u32_e64 s[14:15], s0, v5
	s_movk_i32 s0, 0x100
	v_and_b32_e32 v16, 15, v0
	v_sub_u32_e32 v17, 15, v18
	v_cmp_gt_u32_e64 s[10:11], s0, v5
	v_mov_b32_e32 v19, 0
	s_waitcnt lgkmcnt(0)
	s_barrier
	buffer_wbinvl1_vol
	s_and_saveexec_b64 s[0:1], s[10:11]
	s_cbranch_execz .LBB102_250
; %bb.223:
	v_lshlrev_b32_e32 v21, 2, v16
	v_lshlrev_b32_e32 v20, 8, v17
	ds_read_b32 v19, v21 offset:12416
	ds_read_b32 v22, v20 offset:12480
	s_movk_i32 s16, 0xf0
	v_cmp_gt_u32_e64 s[16:17], s16, v5
	s_waitcnt lgkmcnt(0)
	v_fma_f32 v19, v19, v22, 0
	s_and_saveexec_b64 s[20:21], s[16:17]
	s_cbranch_execz .LBB102_225
; %bb.224:
	ds_read_b32 v22, v21 offset:12672
	ds_read_b32 v23, v20 offset:12484
	s_waitcnt lgkmcnt(0)
	v_fmac_f32_e32 v19, v22, v23
.LBB102_225:
	s_or_b64 exec, exec, s[20:21]
	s_movk_i32 s16, 0xe0
	v_cmp_gt_u32_e64 s[16:17], s16, v5
	s_and_saveexec_b64 s[20:21], s[16:17]
	s_cbranch_execz .LBB102_227
; %bb.226:
	ds_read_b32 v22, v21 offset:12928
	ds_read_b32 v23, v20 offset:12488
	s_waitcnt lgkmcnt(0)
	v_fmac_f32_e32 v19, v22, v23
.LBB102_227:
	s_or_b64 exec, exec, s[20:21]
	s_movk_i32 s16, 0xd0
	v_cmp_gt_u32_e64 s[16:17], s16, v5
	;; [unrolled: 11-line block ×10, first 2 shown]
	s_and_saveexec_b64 s[20:21], s[16:17]
	s_cbranch_execnz .LBB102_1216
; %bb.244:
	s_or_b64 exec, exec, s[20:21]
	s_and_saveexec_b64 s[16:17], s[8:9]
	s_cbranch_execnz .LBB102_1217
.LBB102_245:
	s_or_b64 exec, exec, s[16:17]
	v_cmp_gt_u32_e64 s[16:17], 48, v5
	s_and_saveexec_b64 s[20:21], s[16:17]
	s_cbranch_execnz .LBB102_1218
.LBB102_246:
	s_or_b64 exec, exec, s[20:21]
	v_cmp_gt_u32_e64 s[16:17], 32, v5
	s_and_saveexec_b64 s[20:21], s[16:17]
	s_cbranch_execnz .LBB102_1219
.LBB102_247:
	s_or_b64 exec, exec, s[20:21]
	v_cmp_gt_u32_e64 s[16:17], 16, v5
	s_and_saveexec_b64 s[20:21], s[16:17]
	s_cbranch_execz .LBB102_249
.LBB102_248:
	v_lshlrev_b32_e32 v20, 2, v0
	v_mov_b32_e32 v21, 0
	ds_read_b32 v20, v20 offset:16256
	ds_read_b32 v21, v21 offset:16380
	s_waitcnt lgkmcnt(0)
	v_fmac_f32_e32 v19, v20, v21
.LBB102_249:
	s_or_b64 exec, exec, s[20:21]
.LBB102_250:
	s_or_b64 exec, exec, s[0:1]
	v_mov_b32_e32 v20, 0x4000
	v_lshl_add_u32 v18, v18, 2, v20
	v_cmp_eq_u32_e64 s[16:17], 15, v16
	s_xor_b64 s[20:21], s[14:15], -1
	s_and_b64 s[14:15], s[16:17], s[20:21]
	s_mov_b64 s[0:1], exec
	v_writelane_b32 v27, s14, 4
	v_writelane_b32 v27, s15, 5
	s_and_b64 s[14:15], s[0:1], s[14:15]
	s_mov_b64 exec, s[14:15]
	s_cbranch_execz .LBB102_252
; %bb.251:
	v_mov_b32_e32 v20, 0
	ds_read_b32 v20, v20 offset:12220
	s_waitcnt lgkmcnt(0)
	v_mul_f32_e32 v19, v19, v20
	v_xor_b32_e32 v20, 0x80000000, v19
	ds_write_b32 v18, v20
.LBB102_252:
	s_or_b64 exec, exec, s[0:1]
	v_cmp_ne_u32_e64 s[14:15], 15, v16
	s_waitcnt lgkmcnt(0)
	s_barrier
	s_and_b64 s[14:15], s[14:15], s[20:21]
	s_mov_b64 s[0:1], exec
	v_writelane_b32 v27, s14, 6
	v_writelane_b32 v27, s15, 7
	s_and_b64 s[14:15], s[0:1], s[14:15]
	s_mov_b64 exec, s[14:15]
	s_cbranch_execz .LBB102_254
; %bb.253:
	v_lshlrev_b32_e32 v20, 2, v16
	ds_read_b32 v20, v20 offset:12160
	ds_read_b32 v21, v18
	s_waitcnt lgkmcnt(0)
	v_fma_f32 v19, -v20, v21, v19
.LBB102_254:
	s_or_b64 exec, exec, s[0:1]
	v_cmp_eq_u32_e64 s[14:15], 14, v16
	s_barrier
	s_and_b64 s[14:15], s[14:15], s[20:21]
	s_mov_b64 s[0:1], exec
	v_writelane_b32 v27, s14, 8
	v_writelane_b32 v27, s15, 9
	s_and_b64 s[14:15], s[0:1], s[14:15]
	s_mov_b64 exec, s[14:15]
	s_cbranch_execz .LBB102_256
; %bb.255:
	v_mov_b32_e32 v20, 0
	ds_read_b32 v20, v20 offset:11960
	s_waitcnt lgkmcnt(0)
	v_mul_f32_e32 v19, v19, v20
	v_xor_b32_e32 v20, 0x80000000, v19
	ds_write_b32 v18, v20
.LBB102_256:
	s_or_b64 exec, exec, s[0:1]
	v_cmp_gt_u32_e64 s[14:15], 14, v16
	s_waitcnt lgkmcnt(0)
	s_barrier
	s_and_b64 s[14:15], s[14:15], s[20:21]
	s_mov_b64 s[0:1], exec
	v_writelane_b32 v27, s14, 10
	v_writelane_b32 v27, s15, 11
	s_and_b64 s[14:15], s[0:1], s[14:15]
	s_mov_b64 exec, s[14:15]
	s_cbranch_execz .LBB102_258
; %bb.257:
	v_lshlrev_b32_e32 v20, 2, v16
	ds_read_b32 v20, v20 offset:11904
	ds_read_b32 v21, v18
	s_waitcnt lgkmcnt(0)
	v_fma_f32 v19, -v20, v21, v19
.LBB102_258:
	s_or_b64 exec, exec, s[0:1]
	v_cmp_eq_u32_e64 s[14:15], 13, v16
	s_barrier
	s_and_b64 s[14:15], s[14:15], s[20:21]
	s_mov_b64 s[0:1], exec
	v_writelane_b32 v27, s14, 12
	v_writelane_b32 v27, s15, 13
	s_and_b64 s[14:15], s[0:1], s[14:15]
	s_mov_b64 exec, s[14:15]
	s_cbranch_execz .LBB102_260
; %bb.259:
	v_mov_b32_e32 v20, 0
	ds_read_b32 v20, v20 offset:11700
	s_waitcnt lgkmcnt(0)
	v_mul_f32_e32 v19, v19, v20
	v_xor_b32_e32 v20, 0x80000000, v19
	ds_write_b32 v18, v20
.LBB102_260:
	s_or_b64 exec, exec, s[0:1]
	v_cmp_gt_u32_e64 s[14:15], 13, v16
	;; [unrolled: 36-line block ×13, first 2 shown]
	s_and_b64 s[0:1], s[14:15], s[20:21]
	s_waitcnt lgkmcnt(0)
	s_barrier
	s_and_saveexec_b64 s[14:15], s[0:1]
	s_cbranch_execz .LBB102_306
; %bb.305:
	v_lshlrev_b32_e32 v20, 2, v16
	ds_read_b32 v20, v20 offset:8832
	ds_read_b32 v21, v18
	s_waitcnt lgkmcnt(0)
	v_fma_f32 v19, -v20, v21, v19
.LBB102_306:
	s_or_b64 exec, exec, s[14:15]
	v_cmp_eq_u32_e64 s[14:15], 1, v16
	s_barrier
	s_and_b64 s[16:17], s[14:15], s[20:21]
	s_mov_b64 s[14:15], exec
	v_writelane_b32 v27, s16, 58
	v_writelane_b32 v27, s17, 59
	s_and_b64 s[16:17], s[14:15], s[16:17]
	s_mov_b64 exec, s[16:17]
	s_cbranch_execz .LBB102_308
; %bb.307:
	v_mov_b32_e32 v20, 0
	ds_read_b32 v20, v20 offset:8580
	s_waitcnt lgkmcnt(0)
	v_mul_f32_e32 v19, v19, v20
	v_xor_b32_e32 v20, 0x80000000, v19
	ds_write_b32 v18, v20
.LBB102_308:
	s_or_b64 exec, exec, s[14:15]
	v_cmp_eq_u32_e64 s[14:15], 0, v16
	s_and_b64 s[92:93], s[14:15], s[20:21]
	s_waitcnt lgkmcnt(0)
	s_barrier
	s_and_saveexec_b64 s[14:15], s[92:93]
	s_cbranch_execz .LBB102_310
; %bb.309:
	v_mov_b32_e32 v20, 0
	ds_read_b32 v20, v20 offset:8576
	ds_read_b32 v21, v18
	s_waitcnt lgkmcnt(0)
	v_fma_f32 v19, -v20, v21, v19
.LBB102_310:
	s_or_b64 exec, exec, s[14:15]
	s_barrier
	s_and_saveexec_b64 s[14:15], s[92:93]
	s_cbranch_execz .LBB102_312
; %bb.311:
	v_mov_b32_e32 v20, 0
	ds_read_b32 v20, v20 offset:8320
	s_waitcnt lgkmcnt(0)
	v_mul_f32_e32 v19, v19, v20
	v_xor_b32_e32 v20, 0x80000000, v19
	ds_write_b32 v18, v20
.LBB102_312:
	s_or_b64 exec, exec, s[14:15]
	s_waitcnt lgkmcnt(0)
	s_barrier
	s_barrier
	s_and_saveexec_b64 s[14:15], s[10:11]
; %bb.313:
	v_lshlrev_b32_e32 v20, 2, v16
	v_lshl_or_b32 v20, v17, 8, v20
	ds_write_b32 v20, v19 offset:12416
; %bb.314:
	s_or_b64 exec, exec, s[14:15]
	v_cmp_gt_u32_e64 s[14:15], 16, v0
	s_waitcnt lgkmcnt(0)
	s_barrier
	s_barrier
	s_and_b64 s[16:17], s[12:13], s[14:15]
	s_mov_b64 s[14:15], exec
	v_writelane_b32 v27, s16, 60
	v_writelane_b32 v27, s17, 61
	s_and_b64 s[16:17], s[14:15], s[16:17]
	s_mov_b64 exec, s[16:17]
	s_cbranch_execz .LBB102_316
; %bb.315:
	v_lshlrev_b32_e32 v19, 8, v0
	ds_read_b32 v20, v19 offset:12416
	s_movk_i32 s16, 0xff04
	v_mad_i32_i24 v21, v0, s16, v19
	s_waitcnt lgkmcnt(0)
	ds_write_b32 v21, v20 offset:8384
	ds_read_b32 v20, v19 offset:12420
	s_waitcnt lgkmcnt(0)
	ds_write_b32 v21, v20 offset:8640
	ds_read_b32 v20, v19 offset:12424
	;; [unrolled: 3-line block ×15, first 2 shown]
	s_waitcnt lgkmcnt(0)
	ds_write_b32 v21, v19 offset:12224
.LBB102_316:
	s_or_b64 exec, exec, s[14:15]
	s_waitcnt lgkmcnt(0)
	s_barrier
	s_and_saveexec_b64 s[14:15], vcc
	s_cbranch_execz .LBB102_318
; %bb.317:
	v_mov_b32_e32 v21, 0
	ds_read_b64 v[19:20], v21 offset:12216
	ds_read_b32 v21, v21 offset:11960
	s_movk_i32 s16, 0x2c00
	s_waitcnt lgkmcnt(0)
	v_mul_f32_e32 v20, v21, v20
	v_mul_f32_e32 v19, v19, v20
	v_add_u32_e64 v20, s16, 0
	ds_write2_b32 v20, v19, v19 offset0:175 offset1:238
.LBB102_318:
	s_or_b64 exec, exec, s[14:15]
	v_mov_b32_e32 v19, 0
	s_waitcnt lgkmcnt(0)
	s_barrier
	buffer_wbinvl1_vol
	s_and_saveexec_b64 s[16:17], s[2:3]
	s_cbranch_execz .LBB102_322
; %bb.319:
	v_lshlrev_b32_e32 v19, 8, v3
	v_lshlrev_b32_e32 v20, 2, v1
	ds_read_b32 v21, v20 offset:11952
	ds_read_b32 v19, v19 offset:11960
	v_mov_b32_e32 v20, 0
	v_cmp_gt_u32_e64 s[14:15], 2, v5
	s_waitcnt lgkmcnt(0)
	v_fma_f32 v19, v21, v19, 0
	s_and_saveexec_b64 s[20:21], s[14:15]
	s_cbranch_execz .LBB102_321
; %bb.320:
	v_lshlrev_b32_e32 v21, 2, v0
	ds_read_b32 v21, v21 offset:12208
	ds_read_b32 v20, v20 offset:12220
	s_waitcnt lgkmcnt(0)
	v_fmac_f32_e32 v19, v21, v20
.LBB102_321:
	s_or_b64 exec, exec, s[20:21]
.LBB102_322:
	s_or_b64 exec, exec, s[16:17]
	s_and_saveexec_b64 s[14:15], s[38:39]
	s_cbranch_execz .LBB102_324
; %bb.323:
	v_mov_b32_e32 v20, 0
	ds_read_b32 v20, v20 offset:11700
	s_waitcnt lgkmcnt(0)
	v_mul_f32_e32 v19, v19, v20
	v_xor_b32_e32 v20, 0x80000000, v19
	ds_write_b32 v4, v20
.LBB102_324:
	s_or_b64 exec, exec, s[14:15]
	s_waitcnt lgkmcnt(0)
	s_barrier
	s_and_saveexec_b64 s[14:15], s[36:37]
	s_cbranch_execz .LBB102_326
; %bb.325:
	v_mov_b32_e32 v20, 0
	ds_read_b32 v20, v20 offset:11696
	ds_read_b32 v21, v4
	s_waitcnt lgkmcnt(0)
	v_fma_f32 v19, -v20, v21, v19
.LBB102_326:
	s_or_b64 exec, exec, s[14:15]
	s_barrier
	s_and_saveexec_b64 s[14:15], s[36:37]
	s_cbranch_execz .LBB102_328
; %bb.327:
	v_mov_b32_e32 v20, 0
	ds_read_b32 v20, v20 offset:11440
	s_waitcnt lgkmcnt(0)
	v_mul_f32_e32 v19, v19, v20
	v_xor_b32_e32 v20, 0x80000000, v19
	ds_write_b32 v4, v20
.LBB102_328:
	s_or_b64 exec, exec, s[14:15]
	s_waitcnt lgkmcnt(0)
	s_barrier
	s_barrier
	s_and_saveexec_b64 s[14:15], s[2:3]
; %bb.329:
	v_lshlrev_b32_e32 v20, 2, v1
	v_lshl_or_b32 v20, v3, 8, v20
	ds_write_b32 v20, v19 offset:11952
; %bb.330:
	s_or_b64 exec, exec, s[14:15]
	s_waitcnt lgkmcnt(0)
	s_barrier
	s_barrier
	s_and_saveexec_b64 s[14:15], s[40:41]
	s_cbranch_execz .LBB102_332
; %bb.331:
	v_lshlrev_b32_e32 v19, 2, v0
	s_movk_i32 s16, 0xfc
	v_mad_u32_u24 v20, v0, s16, v19
	ds_read_b32 v21, v20 offset:11952
	s_waitcnt lgkmcnt(0)
	ds_write_b32 v19, v21 offset:11448
	ds_read_b32 v20, v20 offset:11956
	s_waitcnt lgkmcnt(0)
	ds_write_b32 v19, v20 offset:11704
.LBB102_332:
	s_or_b64 exec, exec, s[14:15]
	s_waitcnt lgkmcnt(0)
	s_barrier
	s_and_saveexec_b64 s[14:15], vcc
	s_cbranch_execz .LBB102_334
; %bb.333:
	v_mov_b32_e32 v21, 0
	ds_read_b64 v[19:20], v21 offset:11696
	ds_read_b32 v21, v21 offset:11440
	s_movk_i32 s16, 0x2c00
	s_waitcnt lgkmcnt(0)
	v_mul_f32_e32 v20, v21, v20
	v_mul_f32_e32 v19, v19, v20
	v_add_u32_e64 v20, s16, 0
	ds_write2_b32 v20, v19, v19 offset0:45 offset1:108
.LBB102_334:
	s_or_b64 exec, exec, s[14:15]
	v_mov_b32_e32 v19, 0
	s_waitcnt lgkmcnt(0)
	s_barrier
	buffer_wbinvl1_vol
	s_and_saveexec_b64 s[16:17], s[18:19]
	s_cbranch_execz .LBB102_340
; %bb.335:
	v_lshlrev_b32_e32 v21, 2, v6
	v_lshlrev_b32_e32 v20, 8, v11
	ds_read_b32 v19, v21 offset:11424
	ds_read_b32 v22, v20 offset:11440
	v_cmp_gt_u32_e64 s[14:15], 12, v5
	s_waitcnt lgkmcnt(0)
	v_fma_f32 v19, v19, v22, 0
	s_and_saveexec_b64 s[20:21], s[14:15]
	s_cbranch_execnz .LBB102_1220
; %bb.336:
	s_or_b64 exec, exec, s[20:21]
	v_cmp_gt_u32_e64 s[14:15], 8, v5
	s_and_saveexec_b64 s[20:21], s[14:15]
	s_cbranch_execnz .LBB102_1221
.LBB102_337:
	s_or_b64 exec, exec, s[20:21]
	v_cmp_gt_u32_e64 s[14:15], 4, v5
	s_and_saveexec_b64 s[20:21], s[14:15]
	s_cbranch_execz .LBB102_339
.LBB102_338:
	v_lshlrev_b32_e32 v20, 2, v0
	v_mov_b32_e32 v21, 0
	ds_read_b32 v20, v20 offset:12192
	ds_read_b32 v21, v21 offset:12220
	s_waitcnt lgkmcnt(0)
	v_fmac_f32_e32 v19, v20, v21
.LBB102_339:
	s_or_b64 exec, exec, s[20:21]
.LBB102_340:
	s_or_b64 exec, exec, s[16:17]
	s_and_saveexec_b64 s[14:15], s[44:45]
	s_cbranch_execz .LBB102_342
; %bb.341:
	v_mov_b32_e32 v20, 0
	ds_read_b32 v20, v20 offset:11180
	s_waitcnt lgkmcnt(0)
	v_mul_f32_e32 v19, v19, v20
	v_xor_b32_e32 v20, 0x80000000, v19
	ds_write_b32 v12, v20
.LBB102_342:
	s_or_b64 exec, exec, s[14:15]
	s_waitcnt lgkmcnt(0)
	s_barrier
	s_and_saveexec_b64 s[14:15], s[46:47]
	s_cbranch_execz .LBB102_344
; %bb.343:
	v_lshlrev_b32_e32 v20, 2, v6
	ds_read_b32 v20, v20 offset:11168
	ds_read_b32 v21, v12
	s_waitcnt lgkmcnt(0)
	v_fma_f32 v19, -v20, v21, v19
.LBB102_344:
	s_or_b64 exec, exec, s[14:15]
	s_barrier
	s_and_saveexec_b64 s[14:15], s[48:49]
	s_cbranch_execz .LBB102_346
; %bb.345:
	v_mov_b32_e32 v20, 0
	ds_read_b32 v20, v20 offset:10920
	s_waitcnt lgkmcnt(0)
	v_mul_f32_e32 v19, v19, v20
	v_xor_b32_e32 v20, 0x80000000, v19
	ds_write_b32 v12, v20
.LBB102_346:
	s_or_b64 exec, exec, s[14:15]
	s_waitcnt lgkmcnt(0)
	s_barrier
	s_and_saveexec_b64 s[14:15], s[50:51]
	s_cbranch_execz .LBB102_348
; %bb.347:
	v_lshlrev_b32_e32 v20, 2, v6
	ds_read_b32 v20, v20 offset:10912
	ds_read_b32 v21, v12
	s_waitcnt lgkmcnt(0)
	v_fma_f32 v19, -v20, v21, v19
.LBB102_348:
	s_or_b64 exec, exec, s[14:15]
	s_barrier
	s_and_saveexec_b64 s[14:15], s[52:53]
	s_cbranch_execz .LBB102_350
; %bb.349:
	v_mov_b32_e32 v20, 0
	ds_read_b32 v20, v20 offset:10660
	s_waitcnt lgkmcnt(0)
	v_mul_f32_e32 v19, v19, v20
	v_xor_b32_e32 v20, 0x80000000, v19
	ds_write_b32 v12, v20
.LBB102_350:
	s_or_b64 exec, exec, s[14:15]
	s_waitcnt lgkmcnt(0)
	s_barrier
	s_and_saveexec_b64 s[14:15], s[42:43]
	s_cbranch_execz .LBB102_352
; %bb.351:
	v_mov_b32_e32 v20, 0
	ds_read_b32 v20, v20 offset:10656
	ds_read_b32 v21, v12
	s_waitcnt lgkmcnt(0)
	v_fma_f32 v19, -v20, v21, v19
.LBB102_352:
	s_or_b64 exec, exec, s[14:15]
	s_barrier
	s_and_saveexec_b64 s[14:15], s[42:43]
	s_cbranch_execz .LBB102_354
; %bb.353:
	v_mov_b32_e32 v20, 0
	ds_read_b32 v20, v20 offset:10400
	s_waitcnt lgkmcnt(0)
	v_mul_f32_e32 v19, v19, v20
	v_xor_b32_e32 v20, 0x80000000, v19
	ds_write_b32 v12, v20
.LBB102_354:
	s_or_b64 exec, exec, s[14:15]
	s_waitcnt lgkmcnt(0)
	s_barrier
	s_barrier
	s_and_saveexec_b64 s[14:15], s[18:19]
; %bb.355:
	v_lshlrev_b32_e32 v20, 2, v6
	v_lshl_or_b32 v20, v11, 8, v20
	ds_write_b32 v20, v19 offset:11424
; %bb.356:
	s_or_b64 exec, exec, s[14:15]
	s_waitcnt lgkmcnt(0)
	s_barrier
	s_barrier
	s_and_saveexec_b64 s[14:15], s[54:55]
	s_cbranch_execz .LBB102_358
; %bb.357:
	v_lshlrev_b32_e32 v19, 8, v0
	ds_read_b32 v20, v19 offset:11424
	s_movk_i32 s16, 0xff04
	v_mad_i32_i24 v21, v0, s16, v19
	s_waitcnt lgkmcnt(0)
	ds_write_b32 v21, v20 offset:10416
	ds_read_b32 v20, v19 offset:11428
	s_waitcnt lgkmcnt(0)
	ds_write_b32 v21, v20 offset:10672
	ds_read_b32 v20, v19 offset:11432
	;; [unrolled: 3-line block ×3, first 2 shown]
	s_waitcnt lgkmcnt(0)
	ds_write_b32 v21, v19 offset:11184
.LBB102_358:
	s_or_b64 exec, exec, s[14:15]
	s_waitcnt lgkmcnt(0)
	s_barrier
	s_and_saveexec_b64 s[14:15], vcc
	s_cbranch_execz .LBB102_360
; %bb.359:
	v_mov_b32_e32 v21, 0
	ds_read_b64 v[19:20], v21 offset:11176
	ds_read_b32 v21, v21 offset:10920
	s_movk_i32 s16, 0x2800
	s_waitcnt lgkmcnt(0)
	v_mul_f32_e32 v20, v21, v20
	v_mul_f32_e32 v19, v19, v20
	v_add_u32_e64 v20, s16, 0
	ds_write2_b32 v20, v19, v19 offset0:171 offset1:234
.LBB102_360:
	s_or_b64 exec, exec, s[14:15]
	v_mov_b32_e32 v19, 0
	s_waitcnt lgkmcnt(0)
	s_barrier
	buffer_wbinvl1_vol
	s_and_saveexec_b64 s[16:17], s[2:3]
	s_cbranch_execz .LBB102_364
; %bb.361:
	v_lshlrev_b32_e32 v19, 8, v3
	v_lshlrev_b32_e32 v20, 2, v1
	ds_read_b32 v21, v20 offset:10912
	ds_read_b32 v19, v19 offset:10920
	v_mov_b32_e32 v20, 0
	v_cmp_gt_u32_e64 s[14:15], 2, v5
	s_waitcnt lgkmcnt(0)
	v_fma_f32 v19, v21, v19, 0
	s_and_saveexec_b64 s[20:21], s[14:15]
	s_cbranch_execz .LBB102_363
; %bb.362:
	v_lshlrev_b32_e32 v21, 2, v0
	ds_read_b32 v21, v21 offset:11168
	ds_read_b32 v20, v20 offset:11180
	s_waitcnt lgkmcnt(0)
	v_fmac_f32_e32 v19, v21, v20
.LBB102_363:
	s_or_b64 exec, exec, s[20:21]
.LBB102_364:
	s_or_b64 exec, exec, s[16:17]
	s_and_saveexec_b64 s[14:15], s[38:39]
	s_cbranch_execz .LBB102_366
; %bb.365:
	v_mov_b32_e32 v20, 0
	ds_read_b32 v20, v20 offset:10660
	s_waitcnt lgkmcnt(0)
	v_mul_f32_e32 v19, v19, v20
	v_xor_b32_e32 v20, 0x80000000, v19
	ds_write_b32 v4, v20
.LBB102_366:
	s_or_b64 exec, exec, s[14:15]
	s_waitcnt lgkmcnt(0)
	s_barrier
	s_and_saveexec_b64 s[14:15], s[36:37]
	s_cbranch_execz .LBB102_368
; %bb.367:
	v_mov_b32_e32 v20, 0
	ds_read_b32 v20, v20 offset:10656
	ds_read_b32 v21, v4
	s_waitcnt lgkmcnt(0)
	v_fma_f32 v19, -v20, v21, v19
.LBB102_368:
	s_or_b64 exec, exec, s[14:15]
	s_barrier
	s_and_saveexec_b64 s[14:15], s[36:37]
	s_cbranch_execz .LBB102_370
; %bb.369:
	v_mov_b32_e32 v20, 0
	ds_read_b32 v20, v20 offset:10400
	s_waitcnt lgkmcnt(0)
	v_mul_f32_e32 v19, v19, v20
	v_xor_b32_e32 v20, 0x80000000, v19
	ds_write_b32 v4, v20
.LBB102_370:
	s_or_b64 exec, exec, s[14:15]
	s_waitcnt lgkmcnt(0)
	s_barrier
	s_barrier
	s_and_saveexec_b64 s[14:15], s[2:3]
; %bb.371:
	v_lshlrev_b32_e32 v20, 2, v1
	v_lshl_or_b32 v20, v3, 8, v20
	ds_write_b32 v20, v19 offset:10912
; %bb.372:
	s_or_b64 exec, exec, s[14:15]
	s_waitcnt lgkmcnt(0)
	s_barrier
	s_barrier
	s_and_saveexec_b64 s[14:15], s[40:41]
	s_cbranch_execz .LBB102_374
; %bb.373:
	v_lshlrev_b32_e32 v19, 2, v0
	s_movk_i32 s16, 0xfc
	v_mad_u32_u24 v20, v0, s16, v19
	ds_read_b32 v21, v20 offset:10912
	s_waitcnt lgkmcnt(0)
	ds_write_b32 v19, v21 offset:10408
	ds_read_b32 v20, v20 offset:10916
	s_waitcnt lgkmcnt(0)
	ds_write_b32 v19, v20 offset:10664
.LBB102_374:
	s_or_b64 exec, exec, s[14:15]
	s_waitcnt lgkmcnt(0)
	s_barrier
	s_and_saveexec_b64 s[14:15], vcc
	s_cbranch_execz .LBB102_376
; %bb.375:
	v_mov_b32_e32 v21, 0
	ds_read_b64 v[19:20], v21 offset:10656
	ds_read_b32 v21, v21 offset:10400
	s_movk_i32 s16, 0x2800
	s_waitcnt lgkmcnt(0)
	v_mul_f32_e32 v20, v21, v20
	v_mul_f32_e32 v19, v19, v20
	v_add_u32_e64 v20, s16, 0
	ds_write2_b32 v20, v19, v19 offset0:41 offset1:104
.LBB102_376:
	s_or_b64 exec, exec, s[14:15]
	v_mov_b32_e32 v19, 0
	s_waitcnt lgkmcnt(0)
	s_barrier
	buffer_wbinvl1_vol
	s_and_saveexec_b64 s[16:17], s[8:9]
	s_cbranch_execz .LBB102_386
; %bb.377:
	v_lshlrev_b32_e32 v21, 2, v13
	v_lshlrev_b32_e32 v20, 8, v14
	ds_read_b32 v19, v21 offset:10368
	ds_read_b32 v22, v20 offset:10400
	v_cmp_gt_u32_e64 s[14:15], 56, v5
	s_waitcnt lgkmcnt(0)
	v_fma_f32 v19, v19, v22, 0
	s_and_saveexec_b64 s[20:21], s[14:15]
	s_cbranch_execnz .LBB102_1222
; %bb.378:
	s_or_b64 exec, exec, s[20:21]
	v_cmp_gt_u32_e64 s[14:15], 48, v5
	s_and_saveexec_b64 s[20:21], s[14:15]
	s_cbranch_execnz .LBB102_1223
.LBB102_379:
	s_or_b64 exec, exec, s[20:21]
	v_cmp_gt_u32_e64 s[14:15], 40, v5
	s_and_saveexec_b64 s[20:21], s[14:15]
	s_cbranch_execnz .LBB102_1224
.LBB102_380:
	s_or_b64 exec, exec, s[20:21]
	v_cmp_gt_u32_e64 s[14:15], 32, v5
	s_and_saveexec_b64 s[20:21], s[14:15]
	s_cbranch_execnz .LBB102_1225
.LBB102_381:
	s_or_b64 exec, exec, s[20:21]
	v_cmp_gt_u32_e64 s[14:15], 24, v5
	s_and_saveexec_b64 s[20:21], s[14:15]
	s_cbranch_execnz .LBB102_1226
.LBB102_382:
	s_or_b64 exec, exec, s[20:21]
	s_and_saveexec_b64 s[14:15], s[18:19]
	s_cbranch_execnz .LBB102_1227
.LBB102_383:
	s_or_b64 exec, exec, s[14:15]
	v_cmp_gt_u32_e64 s[14:15], 8, v5
	s_and_saveexec_b64 s[20:21], s[14:15]
	s_cbranch_execz .LBB102_385
.LBB102_384:
	v_lshlrev_b32_e32 v20, 2, v0
	v_mov_b32_e32 v21, 0
	ds_read_b32 v20, v20 offset:12160
	ds_read_b32 v21, v21 offset:12220
	s_waitcnt lgkmcnt(0)
	v_fmac_f32_e32 v19, v20, v21
.LBB102_385:
	s_or_b64 exec, exec, s[20:21]
.LBB102_386:
	s_or_b64 exec, exec, s[16:17]
	s_and_saveexec_b64 s[14:15], s[56:57]
	s_cbranch_execz .LBB102_388
; %bb.387:
	v_mov_b32_e32 v20, 0
	ds_read_b32 v20, v20 offset:10140
	s_waitcnt lgkmcnt(0)
	v_mul_f32_e32 v19, v19, v20
	v_xor_b32_e32 v20, 0x80000000, v19
	ds_write_b32 v15, v20
.LBB102_388:
	s_or_b64 exec, exec, s[14:15]
	s_waitcnt lgkmcnt(0)
	s_barrier
	s_and_saveexec_b64 s[14:15], s[58:59]
	s_cbranch_execz .LBB102_390
; %bb.389:
	v_lshlrev_b32_e32 v20, 2, v13
	ds_read_b32 v20, v20 offset:10112
	ds_read_b32 v21, v15
	s_waitcnt lgkmcnt(0)
	v_fma_f32 v19, -v20, v21, v19
.LBB102_390:
	s_or_b64 exec, exec, s[14:15]
	s_barrier
	s_and_saveexec_b64 s[14:15], s[60:61]
	s_cbranch_execz .LBB102_392
; %bb.391:
	v_mov_b32_e32 v20, 0
	ds_read_b32 v20, v20 offset:9880
	s_waitcnt lgkmcnt(0)
	v_mul_f32_e32 v19, v19, v20
	v_xor_b32_e32 v20, 0x80000000, v19
	ds_write_b32 v15, v20
.LBB102_392:
	s_or_b64 exec, exec, s[14:15]
	s_waitcnt lgkmcnt(0)
	s_barrier
	s_and_saveexec_b64 s[14:15], s[62:63]
	s_cbranch_execz .LBB102_394
; %bb.393:
	v_lshlrev_b32_e32 v20, 2, v13
	ds_read_b32 v20, v20 offset:9856
	ds_read_b32 v21, v15
	s_waitcnt lgkmcnt(0)
	v_fma_f32 v19, -v20, v21, v19
.LBB102_394:
	s_or_b64 exec, exec, s[14:15]
	s_barrier
	;; [unrolled: 24-line block ×6, first 2 shown]
	s_and_saveexec_b64 s[14:15], s[82:83]
	s_cbranch_execz .LBB102_412
; %bb.411:
	v_mov_b32_e32 v20, 0
	ds_read_b32 v20, v20 offset:8580
	s_waitcnt lgkmcnt(0)
	v_mul_f32_e32 v19, v19, v20
	v_xor_b32_e32 v20, 0x80000000, v19
	ds_write_b32 v15, v20
.LBB102_412:
	s_or_b64 exec, exec, s[14:15]
	s_waitcnt lgkmcnt(0)
	s_barrier
	s_and_saveexec_b64 s[14:15], s[66:67]
	s_cbranch_execz .LBB102_414
; %bb.413:
	v_mov_b32_e32 v20, 0
	ds_read_b32 v20, v20 offset:8576
	ds_read_b32 v21, v15
	s_waitcnt lgkmcnt(0)
	v_fma_f32 v19, -v20, v21, v19
.LBB102_414:
	s_or_b64 exec, exec, s[14:15]
	s_barrier
	s_and_saveexec_b64 s[14:15], s[66:67]
	s_cbranch_execz .LBB102_416
; %bb.415:
	v_mov_b32_e32 v20, 0
	ds_read_b32 v20, v20 offset:8320
	s_waitcnt lgkmcnt(0)
	v_mul_f32_e32 v19, v19, v20
	v_xor_b32_e32 v20, 0x80000000, v19
	ds_write_b32 v15, v20
.LBB102_416:
	s_or_b64 exec, exec, s[14:15]
	s_waitcnt lgkmcnt(0)
	s_barrier
	s_barrier
	s_and_saveexec_b64 s[14:15], s[8:9]
; %bb.417:
	v_lshlrev_b32_e32 v20, 2, v13
	v_lshl_or_b32 v20, v14, 8, v20
	ds_write_b32 v20, v19 offset:10368
; %bb.418:
	s_or_b64 exec, exec, s[14:15]
	s_waitcnt lgkmcnt(0)
	s_barrier
	s_barrier
	s_and_saveexec_b64 s[14:15], s[84:85]
	s_cbranch_execz .LBB102_420
; %bb.419:
	v_lshlrev_b32_e32 v19, 8, v0
	ds_read_b32 v20, v19 offset:10368
	s_movk_i32 s16, 0xff04
	v_mad_i32_i24 v21, v0, s16, v19
	s_waitcnt lgkmcnt(0)
	ds_write_b32 v21, v20 offset:8352
	ds_read_b32 v20, v19 offset:10372
	s_waitcnt lgkmcnt(0)
	ds_write_b32 v21, v20 offset:8608
	ds_read_b32 v20, v19 offset:10376
	;; [unrolled: 3-line block ×7, first 2 shown]
	s_waitcnt lgkmcnt(0)
	ds_write_b32 v21, v19 offset:10144
.LBB102_420:
	s_or_b64 exec, exec, s[14:15]
	s_waitcnt lgkmcnt(0)
	s_barrier
	s_and_saveexec_b64 s[14:15], vcc
	s_cbranch_execz .LBB102_422
; %bb.421:
	v_mov_b32_e32 v21, 0
	ds_read_b64 v[19:20], v21 offset:10136
	ds_read_b32 v21, v21 offset:9880
	s_movk_i32 s16, 0x2400
	s_waitcnt lgkmcnt(0)
	v_mul_f32_e32 v20, v21, v20
	v_mul_f32_e32 v19, v19, v20
	v_add_u32_e64 v20, s16, 0
	ds_write2_b32 v20, v19, v19 offset0:167 offset1:230
.LBB102_422:
	s_or_b64 exec, exec, s[14:15]
	v_mov_b32_e32 v19, 0
	s_waitcnt lgkmcnt(0)
	s_barrier
	buffer_wbinvl1_vol
	s_and_saveexec_b64 s[16:17], s[2:3]
	s_cbranch_execz .LBB102_426
; %bb.423:
	v_lshlrev_b32_e32 v19, 8, v3
	v_lshlrev_b32_e32 v20, 2, v1
	ds_read_b32 v21, v20 offset:9872
	ds_read_b32 v19, v19 offset:9880
	v_mov_b32_e32 v20, 0
	v_cmp_gt_u32_e64 s[14:15], 2, v5
	s_waitcnt lgkmcnt(0)
	v_fma_f32 v19, v21, v19, 0
	s_and_saveexec_b64 s[20:21], s[14:15]
	s_cbranch_execz .LBB102_425
; %bb.424:
	v_lshlrev_b32_e32 v21, 2, v0
	ds_read_b32 v21, v21 offset:10128
	ds_read_b32 v20, v20 offset:10140
	s_waitcnt lgkmcnt(0)
	v_fmac_f32_e32 v19, v21, v20
.LBB102_425:
	s_or_b64 exec, exec, s[20:21]
.LBB102_426:
	s_or_b64 exec, exec, s[16:17]
	s_and_saveexec_b64 s[14:15], s[38:39]
	s_cbranch_execz .LBB102_428
; %bb.427:
	v_mov_b32_e32 v20, 0
	ds_read_b32 v20, v20 offset:9620
	s_waitcnt lgkmcnt(0)
	v_mul_f32_e32 v19, v19, v20
	v_xor_b32_e32 v20, 0x80000000, v19
	ds_write_b32 v4, v20
.LBB102_428:
	s_or_b64 exec, exec, s[14:15]
	s_waitcnt lgkmcnt(0)
	s_barrier
	s_and_saveexec_b64 s[14:15], s[36:37]
	s_cbranch_execz .LBB102_430
; %bb.429:
	v_mov_b32_e32 v20, 0
	ds_read_b32 v20, v20 offset:9616
	ds_read_b32 v21, v4
	s_waitcnt lgkmcnt(0)
	v_fma_f32 v19, -v20, v21, v19
.LBB102_430:
	s_or_b64 exec, exec, s[14:15]
	s_barrier
	s_and_saveexec_b64 s[14:15], s[36:37]
	s_cbranch_execz .LBB102_432
; %bb.431:
	v_mov_b32_e32 v20, 0
	ds_read_b32 v20, v20 offset:9360
	s_waitcnt lgkmcnt(0)
	v_mul_f32_e32 v19, v19, v20
	v_xor_b32_e32 v20, 0x80000000, v19
	ds_write_b32 v4, v20
.LBB102_432:
	s_or_b64 exec, exec, s[14:15]
	s_waitcnt lgkmcnt(0)
	s_barrier
	s_barrier
	s_and_saveexec_b64 s[14:15], s[2:3]
; %bb.433:
	v_lshlrev_b32_e32 v20, 2, v1
	v_lshl_or_b32 v20, v3, 8, v20
	ds_write_b32 v20, v19 offset:9872
; %bb.434:
	s_or_b64 exec, exec, s[14:15]
	s_waitcnt lgkmcnt(0)
	s_barrier
	s_barrier
	s_and_saveexec_b64 s[14:15], s[40:41]
	s_cbranch_execz .LBB102_436
; %bb.435:
	v_lshlrev_b32_e32 v19, 2, v0
	s_movk_i32 s16, 0xfc
	v_mad_u32_u24 v20, v0, s16, v19
	ds_read_b32 v21, v20 offset:9872
	s_waitcnt lgkmcnt(0)
	ds_write_b32 v19, v21 offset:9368
	ds_read_b32 v20, v20 offset:9876
	s_waitcnt lgkmcnt(0)
	ds_write_b32 v19, v20 offset:9624
.LBB102_436:
	s_or_b64 exec, exec, s[14:15]
	s_waitcnt lgkmcnt(0)
	s_barrier
	s_and_saveexec_b64 s[14:15], vcc
	s_cbranch_execz .LBB102_438
; %bb.437:
	v_mov_b32_e32 v21, 0
	ds_read_b64 v[19:20], v21 offset:9616
	ds_read_b32 v21, v21 offset:9360
	s_movk_i32 s16, 0x2400
	s_waitcnt lgkmcnt(0)
	v_mul_f32_e32 v20, v21, v20
	v_mul_f32_e32 v19, v19, v20
	v_add_u32_e64 v20, s16, 0
	ds_write2_b32 v20, v19, v19 offset0:37 offset1:100
.LBB102_438:
	s_or_b64 exec, exec, s[14:15]
	v_mov_b32_e32 v19, 0
	s_waitcnt lgkmcnt(0)
	s_barrier
	buffer_wbinvl1_vol
	s_and_saveexec_b64 s[16:17], s[18:19]
	s_cbranch_execz .LBB102_444
; %bb.439:
	v_lshlrev_b32_e32 v21, 2, v6
	v_lshlrev_b32_e32 v20, 8, v11
	ds_read_b32 v19, v21 offset:9344
	ds_read_b32 v22, v20 offset:9360
	v_cmp_gt_u32_e64 s[14:15], 12, v5
	s_waitcnt lgkmcnt(0)
	v_fma_f32 v19, v19, v22, 0
	s_and_saveexec_b64 s[20:21], s[14:15]
	s_cbranch_execnz .LBB102_1228
; %bb.440:
	s_or_b64 exec, exec, s[20:21]
	v_cmp_gt_u32_e64 s[14:15], 8, v5
	s_and_saveexec_b64 s[20:21], s[14:15]
	s_cbranch_execnz .LBB102_1229
.LBB102_441:
	s_or_b64 exec, exec, s[20:21]
	v_cmp_gt_u32_e64 s[14:15], 4, v5
	s_and_saveexec_b64 s[20:21], s[14:15]
	s_cbranch_execz .LBB102_443
.LBB102_442:
	v_lshlrev_b32_e32 v20, 2, v0
	v_mov_b32_e32 v21, 0
	ds_read_b32 v20, v20 offset:10112
	ds_read_b32 v21, v21 offset:10140
	s_waitcnt lgkmcnt(0)
	v_fmac_f32_e32 v19, v20, v21
.LBB102_443:
	s_or_b64 exec, exec, s[20:21]
.LBB102_444:
	s_or_b64 exec, exec, s[16:17]
	s_and_saveexec_b64 s[14:15], s[44:45]
	s_cbranch_execz .LBB102_446
; %bb.445:
	v_mov_b32_e32 v20, 0
	ds_read_b32 v20, v20 offset:9100
	s_waitcnt lgkmcnt(0)
	v_mul_f32_e32 v19, v19, v20
	v_xor_b32_e32 v20, 0x80000000, v19
	ds_write_b32 v12, v20
.LBB102_446:
	s_or_b64 exec, exec, s[14:15]
	s_waitcnt lgkmcnt(0)
	s_barrier
	s_and_saveexec_b64 s[14:15], s[46:47]
	s_cbranch_execz .LBB102_448
; %bb.447:
	v_lshlrev_b32_e32 v20, 2, v6
	ds_read_b32 v20, v20 offset:9088
	ds_read_b32 v21, v12
	s_waitcnt lgkmcnt(0)
	v_fma_f32 v19, -v20, v21, v19
.LBB102_448:
	s_or_b64 exec, exec, s[14:15]
	s_barrier
	s_and_saveexec_b64 s[14:15], s[48:49]
	s_cbranch_execz .LBB102_450
; %bb.449:
	v_mov_b32_e32 v20, 0
	ds_read_b32 v20, v20 offset:8840
	s_waitcnt lgkmcnt(0)
	v_mul_f32_e32 v19, v19, v20
	v_xor_b32_e32 v20, 0x80000000, v19
	ds_write_b32 v12, v20
.LBB102_450:
	s_or_b64 exec, exec, s[14:15]
	s_waitcnt lgkmcnt(0)
	s_barrier
	s_and_saveexec_b64 s[14:15], s[50:51]
	s_cbranch_execz .LBB102_452
; %bb.451:
	v_lshlrev_b32_e32 v20, 2, v6
	ds_read_b32 v20, v20 offset:8832
	ds_read_b32 v21, v12
	s_waitcnt lgkmcnt(0)
	v_fma_f32 v19, -v20, v21, v19
.LBB102_452:
	s_or_b64 exec, exec, s[14:15]
	s_barrier
	s_and_saveexec_b64 s[14:15], s[52:53]
	s_cbranch_execz .LBB102_454
; %bb.453:
	v_mov_b32_e32 v20, 0
	ds_read_b32 v20, v20 offset:8580
	s_waitcnt lgkmcnt(0)
	v_mul_f32_e32 v19, v19, v20
	v_xor_b32_e32 v20, 0x80000000, v19
	ds_write_b32 v12, v20
.LBB102_454:
	s_or_b64 exec, exec, s[14:15]
	s_waitcnt lgkmcnt(0)
	s_barrier
	s_and_saveexec_b64 s[14:15], s[42:43]
	s_cbranch_execz .LBB102_456
; %bb.455:
	v_mov_b32_e32 v20, 0
	ds_read_b32 v20, v20 offset:8576
	ds_read_b32 v21, v12
	s_waitcnt lgkmcnt(0)
	v_fma_f32 v19, -v20, v21, v19
.LBB102_456:
	s_or_b64 exec, exec, s[14:15]
	s_barrier
	s_and_saveexec_b64 s[14:15], s[42:43]
	s_cbranch_execz .LBB102_458
; %bb.457:
	v_mov_b32_e32 v20, 0
	ds_read_b32 v20, v20 offset:8320
	s_waitcnt lgkmcnt(0)
	v_mul_f32_e32 v19, v19, v20
	v_xor_b32_e32 v20, 0x80000000, v19
	ds_write_b32 v12, v20
.LBB102_458:
	s_or_b64 exec, exec, s[14:15]
	s_waitcnt lgkmcnt(0)
	s_barrier
	s_barrier
	s_and_saveexec_b64 s[14:15], s[18:19]
; %bb.459:
	v_lshlrev_b32_e32 v20, 2, v6
	v_lshl_or_b32 v20, v11, 8, v20
	ds_write_b32 v20, v19 offset:9344
; %bb.460:
	s_or_b64 exec, exec, s[14:15]
	s_waitcnt lgkmcnt(0)
	s_barrier
	s_barrier
	s_and_saveexec_b64 s[14:15], s[54:55]
	s_cbranch_execz .LBB102_462
; %bb.461:
	v_lshlrev_b32_e32 v19, 8, v0
	ds_read_b32 v20, v19 offset:9344
	s_movk_i32 s16, 0xff04
	v_mad_i32_i24 v21, v0, s16, v19
	s_waitcnt lgkmcnt(0)
	ds_write_b32 v21, v20 offset:8336
	ds_read_b32 v20, v19 offset:9348
	s_waitcnt lgkmcnt(0)
	ds_write_b32 v21, v20 offset:8592
	ds_read_b32 v20, v19 offset:9352
	;; [unrolled: 3-line block ×3, first 2 shown]
	s_waitcnt lgkmcnt(0)
	ds_write_b32 v21, v19 offset:9104
.LBB102_462:
	s_or_b64 exec, exec, s[14:15]
	s_waitcnt lgkmcnt(0)
	s_barrier
	s_and_saveexec_b64 s[14:15], vcc
	s_cbranch_execz .LBB102_464
; %bb.463:
	v_mov_b32_e32 v21, 0
	ds_read_b64 v[19:20], v21 offset:9096
	ds_read_b32 v21, v21 offset:8840
	s_movk_i32 s16, 0x2000
	s_waitcnt lgkmcnt(0)
	v_mul_f32_e32 v20, v21, v20
	v_mul_f32_e32 v19, v19, v20
	v_add_u32_e64 v20, s16, 0
	ds_write2_b32 v20, v19, v19 offset0:163 offset1:226
.LBB102_464:
	s_or_b64 exec, exec, s[14:15]
	v_mov_b32_e32 v19, 0
	s_waitcnt lgkmcnt(0)
	s_barrier
	buffer_wbinvl1_vol
	s_and_saveexec_b64 s[16:17], s[2:3]
	s_cbranch_execz .LBB102_468
; %bb.465:
	v_lshlrev_b32_e32 v19, 8, v3
	v_lshlrev_b32_e32 v20, 2, v1
	ds_read_b32 v21, v20 offset:8832
	ds_read_b32 v19, v19 offset:8840
	v_mov_b32_e32 v20, 0
	v_cmp_gt_u32_e64 s[14:15], 2, v5
	s_waitcnt lgkmcnt(0)
	v_fma_f32 v19, v21, v19, 0
	s_and_saveexec_b64 s[20:21], s[14:15]
	s_cbranch_execz .LBB102_467
; %bb.466:
	v_lshlrev_b32_e32 v21, 2, v0
	ds_read_b32 v21, v21 offset:9088
	ds_read_b32 v20, v20 offset:9100
	s_waitcnt lgkmcnt(0)
	v_fmac_f32_e32 v19, v21, v20
.LBB102_467:
	s_or_b64 exec, exec, s[20:21]
.LBB102_468:
	s_or_b64 exec, exec, s[16:17]
	s_and_saveexec_b64 s[14:15], s[38:39]
	s_cbranch_execz .LBB102_470
; %bb.469:
	v_mov_b32_e32 v20, 0
	ds_read_b32 v20, v20 offset:8580
	s_waitcnt lgkmcnt(0)
	v_mul_f32_e32 v19, v19, v20
	v_xor_b32_e32 v20, 0x80000000, v19
	ds_write_b32 v4, v20
.LBB102_470:
	s_or_b64 exec, exec, s[14:15]
	s_waitcnt lgkmcnt(0)
	s_barrier
	s_and_saveexec_b64 s[14:15], s[36:37]
	s_cbranch_execz .LBB102_472
; %bb.471:
	v_mov_b32_e32 v20, 0
	ds_read_b32 v20, v20 offset:8576
	ds_read_b32 v21, v4
	s_waitcnt lgkmcnt(0)
	v_fma_f32 v19, -v20, v21, v19
.LBB102_472:
	s_or_b64 exec, exec, s[14:15]
	s_barrier
	s_and_saveexec_b64 s[14:15], s[36:37]
	s_cbranch_execz .LBB102_474
; %bb.473:
	v_mov_b32_e32 v20, 0
	ds_read_b32 v20, v20 offset:8320
	s_waitcnt lgkmcnt(0)
	v_mul_f32_e32 v19, v19, v20
	v_xor_b32_e32 v20, 0x80000000, v19
	ds_write_b32 v4, v20
.LBB102_474:
	s_or_b64 exec, exec, s[14:15]
	s_waitcnt lgkmcnt(0)
	s_barrier
	s_barrier
	s_and_saveexec_b64 s[14:15], s[2:3]
; %bb.475:
	v_lshlrev_b32_e32 v20, 2, v1
	v_lshl_or_b32 v20, v3, 8, v20
	ds_write_b32 v20, v19 offset:8832
; %bb.476:
	s_or_b64 exec, exec, s[14:15]
	s_waitcnt lgkmcnt(0)
	s_barrier
	s_barrier
	s_and_saveexec_b64 s[14:15], s[40:41]
	s_cbranch_execz .LBB102_478
; %bb.477:
	v_lshlrev_b32_e32 v19, 2, v0
	s_movk_i32 s16, 0xfc
	v_mad_u32_u24 v20, v0, s16, v19
	ds_read_b32 v21, v20 offset:8832
	s_waitcnt lgkmcnt(0)
	ds_write_b32 v19, v21 offset:8328
	ds_read_b32 v20, v20 offset:8836
	s_waitcnt lgkmcnt(0)
	ds_write_b32 v19, v20 offset:8584
.LBB102_478:
	s_or_b64 exec, exec, s[14:15]
	s_waitcnt lgkmcnt(0)
	s_barrier
	s_and_saveexec_b64 s[14:15], vcc
	s_cbranch_execz .LBB102_480
; %bb.479:
	v_mov_b32_e32 v21, 0
	ds_read_b64 v[19:20], v21 offset:8576
	ds_read_b32 v21, v21 offset:8320
	s_movk_i32 s16, 0x2000
	s_waitcnt lgkmcnt(0)
	v_mul_f32_e32 v20, v21, v20
	v_mul_f32_e32 v19, v19, v20
	v_add_u32_e64 v20, s16, 0
	ds_write2_b32 v20, v19, v19 offset0:33 offset1:96
.LBB102_480:
	s_or_b64 exec, exec, s[14:15]
	s_movk_i32 s14, 0x3ff
	v_lshrrev_b32_e32 v22, 5, v5
	v_cmp_lt_u32_e64 s[16:17], s14, v5
	s_movk_i32 s14, 0x400
	v_and_b32_e32 v19, 31, v0
	v_sub_u32_e32 v20, 31, v22
	v_cmp_gt_u32_e64 s[14:15], s14, v5
	v_mov_b32_e32 v21, 0
	s_waitcnt lgkmcnt(0)
	s_barrier
	buffer_wbinvl1_vol
	s_and_saveexec_b64 s[90:91], s[14:15]
	s_cbranch_execz .LBB102_542
; %bb.481:
	v_lshlrev_b32_e32 v24, 2, v19
	v_lshlrev_b32_e32 v23, 8, v20
	ds_read_b32 v21, v24 offset:8192
	ds_read_b32 v25, v23 offset:8320
	s_movk_i32 s20, 0x3e0
	v_cmp_gt_u32_e64 s[20:21], s20, v5
	s_waitcnt lgkmcnt(0)
	v_fma_f32 v21, v21, v25, 0
	s_and_saveexec_b64 s[94:95], s[20:21]
	s_cbranch_execz .LBB102_483
; %bb.482:
	ds_read_b32 v25, v24 offset:8448
	ds_read_b32 v26, v23 offset:8324
	s_waitcnt lgkmcnt(0)
	v_fmac_f32_e32 v21, v25, v26
.LBB102_483:
	s_or_b64 exec, exec, s[94:95]
	s_movk_i32 s20, 0x3c0
	v_cmp_gt_u32_e64 s[20:21], s20, v5
	s_and_saveexec_b64 s[94:95], s[20:21]
	s_cbranch_execz .LBB102_485
; %bb.484:
	ds_read_b32 v25, v24 offset:8704
	ds_read_b32 v26, v23 offset:8328
	s_waitcnt lgkmcnt(0)
	v_fmac_f32_e32 v21, v25, v26
.LBB102_485:
	s_or_b64 exec, exec, s[94:95]
	s_movk_i32 s20, 0x3a0
	v_cmp_gt_u32_e64 s[20:21], s20, v5
	;; [unrolled: 11-line block ×22, first 2 shown]
	s_and_saveexec_b64 s[94:95], s[20:21]
	s_cbranch_execz .LBB102_527
; %bb.526:
	ds_read_b32 v25, v24 offset:14080
	ds_read_b32 v26, v23 offset:8412
	s_waitcnt lgkmcnt(0)
	v_fmac_f32_e32 v21, v25, v26
.LBB102_527:
	s_or_b64 exec, exec, s[94:95]
	s_and_saveexec_b64 s[20:21], s[10:11]
	s_cbranch_execz .LBB102_529
; %bb.528:
	ds_read_b32 v25, v24 offset:14336
	ds_read_b32 v26, v23 offset:8416
	s_waitcnt lgkmcnt(0)
	v_fmac_f32_e32 v21, v25, v26
.LBB102_529:
	s_or_b64 exec, exec, s[20:21]
	s_movk_i32 s20, 0xe0
	v_cmp_gt_u32_e64 s[20:21], s20, v5
	s_and_saveexec_b64 s[94:95], s[20:21]
	s_cbranch_execz .LBB102_531
; %bb.530:
	ds_read_b32 v25, v24 offset:14592
	ds_read_b32 v26, v23 offset:8420
	s_waitcnt lgkmcnt(0)
	v_fmac_f32_e32 v21, v25, v26
.LBB102_531:
	s_or_b64 exec, exec, s[94:95]
	s_movk_i32 s20, 0xc0
	v_cmp_gt_u32_e64 s[20:21], s20, v5
	;; [unrolled: 11-line block ×5, first 2 shown]
	s_and_saveexec_b64 s[94:95], s[20:21]
	s_cbranch_execnz .LBB102_1230
; %bb.538:
	s_or_b64 exec, exec, s[94:95]
	s_and_saveexec_b64 s[20:21], s[8:9]
	s_cbranch_execnz .LBB102_1231
.LBB102_539:
	s_or_b64 exec, exec, s[20:21]
	v_cmp_gt_u32_e64 s[20:21], 32, v5
	s_and_saveexec_b64 s[94:95], s[20:21]
	s_cbranch_execz .LBB102_541
.LBB102_540:
	v_lshlrev_b32_e32 v23, 2, v0
	v_mov_b32_e32 v24, 0
	ds_read_b32 v23, v23 offset:16128
	ds_read_b32 v24, v24 offset:16380
	s_waitcnt lgkmcnt(0)
	v_fmac_f32_e32 v21, v23, v24
.LBB102_541:
	s_or_b64 exec, exec, s[94:95]
.LBB102_542:
	s_or_b64 exec, exec, s[90:91]
	v_mov_b32_e32 v23, 0x4000
	v_cmp_eq_u32_e64 s[20:21], 31, v19
	s_xor_b64 s[90:91], s[16:17], -1
	v_lshl_add_u32 v22, v22, 2, v23
	s_and_b64 s[20:21], s[20:21], s[90:91]
	s_and_saveexec_b64 s[16:17], s[20:21]
	s_cbranch_execz .LBB102_544
; %bb.543:
	v_mov_b32_e32 v23, 0
	ds_read_b32 v23, v23 offset:8060
	s_waitcnt lgkmcnt(0)
	v_mul_f32_e32 v21, v21, v23
	v_xor_b32_e32 v23, 0x80000000, v21
	ds_write_b32 v22, v23
.LBB102_544:
	s_or_b64 exec, exec, s[16:17]
	v_cmp_ne_u32_e64 s[16:17], 31, v19
	s_and_b64 s[20:21], s[16:17], s[90:91]
	s_waitcnt lgkmcnt(0)
	s_barrier
	s_and_saveexec_b64 s[16:17], s[20:21]
	s_cbranch_execz .LBB102_546
; %bb.545:
	v_lshlrev_b32_e32 v23, 2, v19
	ds_read_b32 v23, v23 offset:7936
	ds_read_b32 v24, v22
	s_waitcnt lgkmcnt(0)
	v_fma_f32 v21, -v23, v24, v21
.LBB102_546:
	s_or_b64 exec, exec, s[16:17]
	v_cmp_eq_u32_e64 s[16:17], 30, v19
	s_and_b64 s[20:21], s[16:17], s[90:91]
	s_barrier
	s_and_saveexec_b64 s[16:17], s[20:21]
	s_cbranch_execz .LBB102_548
; %bb.547:
	v_mov_b32_e32 v23, 0
	ds_read_b32 v23, v23 offset:7800
	s_waitcnt lgkmcnt(0)
	v_mul_f32_e32 v21, v21, v23
	v_xor_b32_e32 v23, 0x80000000, v21
	ds_write_b32 v22, v23
.LBB102_548:
	s_or_b64 exec, exec, s[16:17]
	v_cmp_gt_u32_e64 s[16:17], 30, v19
	s_and_b64 s[20:21], s[16:17], s[90:91]
	s_waitcnt lgkmcnt(0)
	s_barrier
	s_and_saveexec_b64 s[16:17], s[20:21]
	s_cbranch_execz .LBB102_550
; %bb.549:
	v_lshlrev_b32_e32 v23, 2, v19
	ds_read_b32 v23, v23 offset:7680
	ds_read_b32 v24, v22
	s_waitcnt lgkmcnt(0)
	v_fma_f32 v21, -v23, v24, v21
.LBB102_550:
	s_or_b64 exec, exec, s[16:17]
	v_cmp_eq_u32_e64 s[16:17], 29, v19
	s_and_b64 s[20:21], s[16:17], s[90:91]
	s_barrier
	s_and_saveexec_b64 s[16:17], s[20:21]
	s_cbranch_execz .LBB102_552
; %bb.551:
	v_mov_b32_e32 v23, 0
	ds_read_b32 v23, v23 offset:7540
	s_waitcnt lgkmcnt(0)
	v_mul_f32_e32 v21, v21, v23
	v_xor_b32_e32 v23, 0x80000000, v21
	ds_write_b32 v22, v23
.LBB102_552:
	s_or_b64 exec, exec, s[16:17]
	v_cmp_gt_u32_e64 s[16:17], 29, v19
	;; [unrolled: 28-line block ×29, first 2 shown]
	s_and_b64 s[20:21], s[16:17], s[90:91]
	s_waitcnt lgkmcnt(0)
	s_barrier
	s_and_saveexec_b64 s[16:17], s[20:21]
	s_cbranch_execz .LBB102_662
; %bb.661:
	v_lshlrev_b32_e32 v23, 2, v19
	ds_read_b32 v23, v23 offset:512
	ds_read_b32 v24, v22
	s_waitcnt lgkmcnt(0)
	v_fma_f32 v21, -v23, v24, v21
.LBB102_662:
	s_or_b64 exec, exec, s[16:17]
	v_cmp_eq_u32_e64 s[16:17], 1, v19
	s_and_b64 s[20:21], s[16:17], s[90:91]
	s_barrier
	s_and_saveexec_b64 s[16:17], s[20:21]
	s_cbranch_execz .LBB102_664
; %bb.663:
	v_mov_b32_e32 v23, 0
	ds_read_b32 v23, v23 offset:260
	s_waitcnt lgkmcnt(0)
	v_mul_f32_e32 v21, v21, v23
	v_xor_b32_e32 v23, 0x80000000, v21
	ds_write_b32 v22, v23
.LBB102_664:
	s_or_b64 exec, exec, s[16:17]
	v_cmp_eq_u32_e64 s[16:17], 0, v19
	s_and_b64 s[16:17], s[16:17], s[90:91]
	s_waitcnt lgkmcnt(0)
	s_barrier
	s_and_saveexec_b64 s[20:21], s[16:17]
	s_cbranch_execz .LBB102_666
; %bb.665:
	v_mov_b32_e32 v23, 0
	ds_read_b32 v23, v23 offset:256
	ds_read_b32 v24, v22
	s_waitcnt lgkmcnt(0)
	v_fma_f32 v21, -v23, v24, v21
.LBB102_666:
	s_or_b64 exec, exec, s[20:21]
	s_barrier
	s_and_saveexec_b64 s[20:21], s[16:17]
	s_cbranch_execz .LBB102_668
; %bb.667:
	v_mov_b32_e32 v23, 0
	ds_read_b32 v23, v23
	s_waitcnt lgkmcnt(0)
	v_mul_f32_e32 v21, v21, v23
	v_xor_b32_e32 v23, 0x80000000, v21
	ds_write_b32 v22, v23
.LBB102_668:
	s_or_b64 exec, exec, s[20:21]
	s_waitcnt lgkmcnt(0)
	s_barrier
	s_barrier
	s_and_saveexec_b64 s[16:17], s[14:15]
; %bb.669:
	v_lshlrev_b32_e32 v19, 2, v19
	v_lshl_or_b32 v19, v20, 8, v19
	ds_write_b32 v19, v21 offset:8192
; %bb.670:
	s_or_b64 exec, exec, s[16:17]
	v_cmp_gt_u32_e64 s[14:15], 32, v0
	s_and_b64 s[14:15], s[12:13], s[14:15]
	s_waitcnt lgkmcnt(0)
	s_barrier
	s_barrier
	s_and_saveexec_b64 s[12:13], s[14:15]
	s_cbranch_execz .LBB102_672
; %bb.671:
	v_lshlrev_b32_e32 v19, 8, v0
	ds_read_b32 v20, v19 offset:8192
	s_movk_i32 s14, 0xff04
	v_mad_i32_i24 v21, v0, s14, v19
	s_waitcnt lgkmcnt(0)
	ds_write_b32 v21, v20 offset:128
	ds_read_b32 v20, v19 offset:8196
	s_waitcnt lgkmcnt(0)
	ds_write_b32 v21, v20 offset:384
	ds_read_b32 v20, v19 offset:8200
	;; [unrolled: 3-line block ×31, first 2 shown]
	s_waitcnt lgkmcnt(0)
	ds_write_b32 v21, v19 offset:8064
.LBB102_672:
	s_or_b64 exec, exec, s[12:13]
	s_waitcnt lgkmcnt(0)
	s_barrier
	s_and_saveexec_b64 s[12:13], vcc
	s_cbranch_execz .LBB102_674
; %bb.673:
	v_mov_b32_e32 v21, 0
	ds_read_b64 v[19:20], v21 offset:8056
	ds_read_b32 v21, v21 offset:7800
	s_movk_i32 s14, 0x1c00
	s_waitcnt lgkmcnt(0)
	v_mul_f32_e32 v20, v21, v20
	v_mul_f32_e32 v19, v19, v20
	v_add_u32_e64 v20, s14, 0
	ds_write2_b32 v20, v19, v19 offset0:159 offset1:222
.LBB102_674:
	s_or_b64 exec, exec, s[12:13]
	v_mov_b32_e32 v19, 0
	s_waitcnt lgkmcnt(0)
	s_barrier
	buffer_wbinvl1_vol
	s_and_saveexec_b64 s[14:15], s[2:3]
	s_cbranch_execz .LBB102_678
; %bb.675:
	v_lshlrev_b32_e32 v19, 8, v3
	v_lshlrev_b32_e32 v20, 2, v1
	ds_read_b32 v21, v20 offset:7792
	ds_read_b32 v19, v19 offset:7800
	v_mov_b32_e32 v20, 0
	v_cmp_gt_u32_e64 s[12:13], 2, v5
	s_waitcnt lgkmcnt(0)
	v_fma_f32 v19, v21, v19, 0
	s_and_saveexec_b64 s[16:17], s[12:13]
	s_cbranch_execz .LBB102_677
; %bb.676:
	v_lshlrev_b32_e32 v21, 2, v0
	ds_read_b32 v21, v21 offset:8048
	ds_read_b32 v20, v20 offset:8060
	s_waitcnt lgkmcnt(0)
	v_fmac_f32_e32 v19, v21, v20
.LBB102_677:
	s_or_b64 exec, exec, s[16:17]
.LBB102_678:
	s_or_b64 exec, exec, s[14:15]
	s_and_saveexec_b64 s[12:13], s[38:39]
	s_cbranch_execz .LBB102_680
; %bb.679:
	v_mov_b32_e32 v20, 0
	ds_read_b32 v20, v20 offset:7540
	s_waitcnt lgkmcnt(0)
	v_mul_f32_e32 v19, v19, v20
	v_xor_b32_e32 v20, 0x80000000, v19
	ds_write_b32 v4, v20
.LBB102_680:
	s_or_b64 exec, exec, s[12:13]
	s_waitcnt lgkmcnt(0)
	s_barrier
	s_and_saveexec_b64 s[12:13], s[36:37]
	s_cbranch_execz .LBB102_682
; %bb.681:
	v_mov_b32_e32 v20, 0
	ds_read_b32 v20, v20 offset:7536
	ds_read_b32 v21, v4
	s_waitcnt lgkmcnt(0)
	v_fma_f32 v19, -v20, v21, v19
.LBB102_682:
	s_or_b64 exec, exec, s[12:13]
	s_barrier
	s_and_saveexec_b64 s[12:13], s[36:37]
	s_cbranch_execz .LBB102_684
; %bb.683:
	v_mov_b32_e32 v20, 0
	ds_read_b32 v20, v20 offset:7280
	s_waitcnt lgkmcnt(0)
	v_mul_f32_e32 v19, v19, v20
	v_xor_b32_e32 v20, 0x80000000, v19
	ds_write_b32 v4, v20
.LBB102_684:
	s_or_b64 exec, exec, s[12:13]
	s_waitcnt lgkmcnt(0)
	s_barrier
	s_barrier
	s_and_saveexec_b64 s[12:13], s[2:3]
; %bb.685:
	v_lshlrev_b32_e32 v20, 2, v1
	v_lshl_or_b32 v20, v3, 8, v20
	ds_write_b32 v20, v19 offset:7792
; %bb.686:
	s_or_b64 exec, exec, s[12:13]
	s_waitcnt lgkmcnt(0)
	s_barrier
	s_barrier
	s_and_saveexec_b64 s[12:13], s[40:41]
	s_cbranch_execz .LBB102_688
; %bb.687:
	v_lshlrev_b32_e32 v19, 2, v0
	s_movk_i32 s14, 0xfc
	v_mad_u32_u24 v20, v0, s14, v19
	ds_read_b32 v21, v20 offset:7792
	s_waitcnt lgkmcnt(0)
	ds_write_b32 v19, v21 offset:7288
	ds_read_b32 v20, v20 offset:7796
	s_waitcnt lgkmcnt(0)
	ds_write_b32 v19, v20 offset:7544
.LBB102_688:
	s_or_b64 exec, exec, s[12:13]
	s_waitcnt lgkmcnt(0)
	s_barrier
	s_and_saveexec_b64 s[12:13], vcc
	s_cbranch_execz .LBB102_690
; %bb.689:
	v_mov_b32_e32 v21, 0
	ds_read_b64 v[19:20], v21 offset:7536
	ds_read_b32 v21, v21 offset:7280
	s_movk_i32 s14, 0x1c00
	s_waitcnt lgkmcnt(0)
	v_mul_f32_e32 v20, v21, v20
	v_mul_f32_e32 v19, v19, v20
	v_add_u32_e64 v20, s14, 0
	ds_write2_b32 v20, v19, v19 offset0:29 offset1:92
.LBB102_690:
	s_or_b64 exec, exec, s[12:13]
	v_mov_b32_e32 v19, 0
	s_waitcnt lgkmcnt(0)
	s_barrier
	buffer_wbinvl1_vol
	s_and_saveexec_b64 s[14:15], s[18:19]
	s_cbranch_execz .LBB102_696
; %bb.691:
	v_lshlrev_b32_e32 v21, 2, v6
	v_lshlrev_b32_e32 v20, 8, v11
	ds_read_b32 v19, v21 offset:7264
	ds_read_b32 v22, v20 offset:7280
	v_cmp_gt_u32_e64 s[12:13], 12, v5
	s_waitcnt lgkmcnt(0)
	v_fma_f32 v19, v19, v22, 0
	s_and_saveexec_b64 s[16:17], s[12:13]
	s_cbranch_execnz .LBB102_1232
; %bb.692:
	s_or_b64 exec, exec, s[16:17]
	v_cmp_gt_u32_e64 s[12:13], 8, v5
	s_and_saveexec_b64 s[16:17], s[12:13]
	s_cbranch_execnz .LBB102_1233
.LBB102_693:
	s_or_b64 exec, exec, s[16:17]
	v_cmp_gt_u32_e64 s[12:13], 4, v5
	s_and_saveexec_b64 s[16:17], s[12:13]
	s_cbranch_execz .LBB102_695
.LBB102_694:
	v_lshlrev_b32_e32 v20, 2, v0
	v_mov_b32_e32 v21, 0
	ds_read_b32 v20, v20 offset:8032
	ds_read_b32 v21, v21 offset:8060
	s_waitcnt lgkmcnt(0)
	v_fmac_f32_e32 v19, v20, v21
.LBB102_695:
	s_or_b64 exec, exec, s[16:17]
.LBB102_696:
	s_or_b64 exec, exec, s[14:15]
	s_and_saveexec_b64 s[12:13], s[44:45]
	s_cbranch_execz .LBB102_698
; %bb.697:
	v_mov_b32_e32 v20, 0
	ds_read_b32 v20, v20 offset:7020
	s_waitcnt lgkmcnt(0)
	v_mul_f32_e32 v19, v19, v20
	v_xor_b32_e32 v20, 0x80000000, v19
	ds_write_b32 v12, v20
.LBB102_698:
	s_or_b64 exec, exec, s[12:13]
	s_waitcnt lgkmcnt(0)
	s_barrier
	s_and_saveexec_b64 s[12:13], s[46:47]
	s_cbranch_execz .LBB102_700
; %bb.699:
	v_lshlrev_b32_e32 v20, 2, v6
	ds_read_b32 v20, v20 offset:7008
	ds_read_b32 v21, v12
	s_waitcnt lgkmcnt(0)
	v_fma_f32 v19, -v20, v21, v19
.LBB102_700:
	s_or_b64 exec, exec, s[12:13]
	s_barrier
	s_and_saveexec_b64 s[12:13], s[48:49]
	s_cbranch_execz .LBB102_702
; %bb.701:
	v_mov_b32_e32 v20, 0
	ds_read_b32 v20, v20 offset:6760
	s_waitcnt lgkmcnt(0)
	v_mul_f32_e32 v19, v19, v20
	v_xor_b32_e32 v20, 0x80000000, v19
	ds_write_b32 v12, v20
.LBB102_702:
	s_or_b64 exec, exec, s[12:13]
	s_waitcnt lgkmcnt(0)
	s_barrier
	s_and_saveexec_b64 s[12:13], s[50:51]
	s_cbranch_execz .LBB102_704
; %bb.703:
	v_lshlrev_b32_e32 v20, 2, v6
	ds_read_b32 v20, v20 offset:6752
	ds_read_b32 v21, v12
	s_waitcnt lgkmcnt(0)
	v_fma_f32 v19, -v20, v21, v19
.LBB102_704:
	s_or_b64 exec, exec, s[12:13]
	s_barrier
	s_and_saveexec_b64 s[12:13], s[52:53]
	s_cbranch_execz .LBB102_706
; %bb.705:
	v_mov_b32_e32 v20, 0
	ds_read_b32 v20, v20 offset:6500
	s_waitcnt lgkmcnt(0)
	v_mul_f32_e32 v19, v19, v20
	v_xor_b32_e32 v20, 0x80000000, v19
	ds_write_b32 v12, v20
.LBB102_706:
	s_or_b64 exec, exec, s[12:13]
	s_waitcnt lgkmcnt(0)
	s_barrier
	s_and_saveexec_b64 s[12:13], s[42:43]
	s_cbranch_execz .LBB102_708
; %bb.707:
	v_mov_b32_e32 v20, 0
	ds_read_b32 v20, v20 offset:6496
	ds_read_b32 v21, v12
	s_waitcnt lgkmcnt(0)
	v_fma_f32 v19, -v20, v21, v19
.LBB102_708:
	s_or_b64 exec, exec, s[12:13]
	s_barrier
	s_and_saveexec_b64 s[12:13], s[42:43]
	s_cbranch_execz .LBB102_710
; %bb.709:
	v_mov_b32_e32 v20, 0
	ds_read_b32 v20, v20 offset:6240
	s_waitcnt lgkmcnt(0)
	v_mul_f32_e32 v19, v19, v20
	v_xor_b32_e32 v20, 0x80000000, v19
	ds_write_b32 v12, v20
.LBB102_710:
	s_or_b64 exec, exec, s[12:13]
	s_waitcnt lgkmcnt(0)
	s_barrier
	s_barrier
	s_and_saveexec_b64 s[12:13], s[18:19]
; %bb.711:
	v_lshlrev_b32_e32 v20, 2, v6
	v_lshl_or_b32 v20, v11, 8, v20
	ds_write_b32 v20, v19 offset:7264
; %bb.712:
	s_or_b64 exec, exec, s[12:13]
	s_waitcnt lgkmcnt(0)
	s_barrier
	s_barrier
	s_and_saveexec_b64 s[12:13], s[54:55]
	s_cbranch_execz .LBB102_714
; %bb.713:
	v_lshlrev_b32_e32 v19, 8, v0
	ds_read_b32 v20, v19 offset:7264
	s_movk_i32 s14, 0xff04
	v_mad_i32_i24 v21, v0, s14, v19
	s_waitcnt lgkmcnt(0)
	ds_write_b32 v21, v20 offset:6256
	ds_read_b32 v20, v19 offset:7268
	s_waitcnt lgkmcnt(0)
	ds_write_b32 v21, v20 offset:6512
	ds_read_b32 v20, v19 offset:7272
	;; [unrolled: 3-line block ×3, first 2 shown]
	s_waitcnt lgkmcnt(0)
	ds_write_b32 v21, v19 offset:7024
.LBB102_714:
	s_or_b64 exec, exec, s[12:13]
	s_waitcnt lgkmcnt(0)
	s_barrier
	s_and_saveexec_b64 s[12:13], vcc
	s_cbranch_execz .LBB102_716
; %bb.715:
	v_mov_b32_e32 v21, 0
	ds_read_b64 v[19:20], v21 offset:7016
	ds_read_b32 v21, v21 offset:6760
	s_movk_i32 s14, 0x1800
	s_waitcnt lgkmcnt(0)
	v_mul_f32_e32 v20, v21, v20
	v_mul_f32_e32 v19, v19, v20
	v_add_u32_e64 v20, s14, 0
	ds_write2_b32 v20, v19, v19 offset0:155 offset1:218
.LBB102_716:
	s_or_b64 exec, exec, s[12:13]
	v_mov_b32_e32 v19, 0
	s_waitcnt lgkmcnt(0)
	s_barrier
	buffer_wbinvl1_vol
	s_and_saveexec_b64 s[14:15], s[2:3]
	s_cbranch_execz .LBB102_720
; %bb.717:
	v_lshlrev_b32_e32 v19, 8, v3
	v_lshlrev_b32_e32 v20, 2, v1
	ds_read_b32 v21, v20 offset:6752
	ds_read_b32 v19, v19 offset:6760
	v_mov_b32_e32 v20, 0
	v_cmp_gt_u32_e64 s[12:13], 2, v5
	s_waitcnt lgkmcnt(0)
	v_fma_f32 v19, v21, v19, 0
	s_and_saveexec_b64 s[16:17], s[12:13]
	s_cbranch_execz .LBB102_719
; %bb.718:
	v_lshlrev_b32_e32 v21, 2, v0
	ds_read_b32 v21, v21 offset:7008
	ds_read_b32 v20, v20 offset:7020
	s_waitcnt lgkmcnt(0)
	v_fmac_f32_e32 v19, v21, v20
.LBB102_719:
	s_or_b64 exec, exec, s[16:17]
.LBB102_720:
	s_or_b64 exec, exec, s[14:15]
	s_and_saveexec_b64 s[12:13], s[38:39]
	s_cbranch_execz .LBB102_722
; %bb.721:
	v_mov_b32_e32 v20, 0
	ds_read_b32 v20, v20 offset:6500
	s_waitcnt lgkmcnt(0)
	v_mul_f32_e32 v19, v19, v20
	v_xor_b32_e32 v20, 0x80000000, v19
	ds_write_b32 v4, v20
.LBB102_722:
	s_or_b64 exec, exec, s[12:13]
	s_waitcnt lgkmcnt(0)
	s_barrier
	s_and_saveexec_b64 s[12:13], s[36:37]
	s_cbranch_execz .LBB102_724
; %bb.723:
	v_mov_b32_e32 v20, 0
	ds_read_b32 v20, v20 offset:6496
	ds_read_b32 v21, v4
	s_waitcnt lgkmcnt(0)
	v_fma_f32 v19, -v20, v21, v19
.LBB102_724:
	s_or_b64 exec, exec, s[12:13]
	s_barrier
	s_and_saveexec_b64 s[12:13], s[36:37]
	s_cbranch_execz .LBB102_726
; %bb.725:
	v_mov_b32_e32 v20, 0
	ds_read_b32 v20, v20 offset:6240
	s_waitcnt lgkmcnt(0)
	v_mul_f32_e32 v19, v19, v20
	v_xor_b32_e32 v20, 0x80000000, v19
	ds_write_b32 v4, v20
.LBB102_726:
	s_or_b64 exec, exec, s[12:13]
	s_waitcnt lgkmcnt(0)
	s_barrier
	s_barrier
	s_and_saveexec_b64 s[12:13], s[2:3]
; %bb.727:
	v_lshlrev_b32_e32 v20, 2, v1
	v_lshl_or_b32 v20, v3, 8, v20
	ds_write_b32 v20, v19 offset:6752
; %bb.728:
	s_or_b64 exec, exec, s[12:13]
	s_waitcnt lgkmcnt(0)
	s_barrier
	s_barrier
	s_and_saveexec_b64 s[12:13], s[40:41]
	s_cbranch_execz .LBB102_730
; %bb.729:
	v_lshlrev_b32_e32 v19, 2, v0
	s_movk_i32 s14, 0xfc
	v_mad_u32_u24 v20, v0, s14, v19
	ds_read_b32 v21, v20 offset:6752
	s_waitcnt lgkmcnt(0)
	ds_write_b32 v19, v21 offset:6248
	ds_read_b32 v20, v20 offset:6756
	s_waitcnt lgkmcnt(0)
	ds_write_b32 v19, v20 offset:6504
.LBB102_730:
	s_or_b64 exec, exec, s[12:13]
	s_waitcnt lgkmcnt(0)
	s_barrier
	s_and_saveexec_b64 s[12:13], vcc
	s_cbranch_execz .LBB102_732
; %bb.731:
	v_mov_b32_e32 v21, 0
	ds_read_b64 v[19:20], v21 offset:6496
	ds_read_b32 v21, v21 offset:6240
	s_movk_i32 s14, 0x1800
	s_waitcnt lgkmcnt(0)
	v_mul_f32_e32 v20, v21, v20
	v_mul_f32_e32 v19, v19, v20
	v_add_u32_e64 v20, s14, 0
	ds_write2_b32 v20, v19, v19 offset0:25 offset1:88
.LBB102_732:
	s_or_b64 exec, exec, s[12:13]
	v_mov_b32_e32 v19, 0
	s_waitcnt lgkmcnt(0)
	s_barrier
	buffer_wbinvl1_vol
	s_and_saveexec_b64 s[14:15], s[8:9]
	s_cbranch_execz .LBB102_742
; %bb.733:
	v_lshlrev_b32_e32 v21, 2, v13
	v_lshlrev_b32_e32 v20, 8, v14
	ds_read_b32 v19, v21 offset:6208
	ds_read_b32 v22, v20 offset:6240
	v_cmp_gt_u32_e64 s[12:13], 56, v5
	s_waitcnt lgkmcnt(0)
	v_fma_f32 v19, v19, v22, 0
	s_and_saveexec_b64 s[16:17], s[12:13]
	s_cbranch_execnz .LBB102_1234
; %bb.734:
	s_or_b64 exec, exec, s[16:17]
	v_cmp_gt_u32_e64 s[12:13], 48, v5
	s_and_saveexec_b64 s[16:17], s[12:13]
	s_cbranch_execnz .LBB102_1235
.LBB102_735:
	s_or_b64 exec, exec, s[16:17]
	v_cmp_gt_u32_e64 s[12:13], 40, v5
	s_and_saveexec_b64 s[16:17], s[12:13]
	s_cbranch_execnz .LBB102_1236
.LBB102_736:
	s_or_b64 exec, exec, s[16:17]
	v_cmp_gt_u32_e64 s[12:13], 32, v5
	s_and_saveexec_b64 s[16:17], s[12:13]
	s_cbranch_execnz .LBB102_1237
.LBB102_737:
	s_or_b64 exec, exec, s[16:17]
	v_cmp_gt_u32_e64 s[12:13], 24, v5
	s_and_saveexec_b64 s[16:17], s[12:13]
	s_cbranch_execnz .LBB102_1238
.LBB102_738:
	s_or_b64 exec, exec, s[16:17]
	s_and_saveexec_b64 s[12:13], s[18:19]
	s_cbranch_execnz .LBB102_1239
.LBB102_739:
	s_or_b64 exec, exec, s[12:13]
	v_cmp_gt_u32_e64 s[12:13], 8, v5
	s_and_saveexec_b64 s[16:17], s[12:13]
	s_cbranch_execz .LBB102_741
.LBB102_740:
	v_lshlrev_b32_e32 v20, 2, v0
	v_mov_b32_e32 v21, 0
	ds_read_b32 v20, v20 offset:8000
	ds_read_b32 v21, v21 offset:8060
	s_waitcnt lgkmcnt(0)
	v_fmac_f32_e32 v19, v20, v21
.LBB102_741:
	s_or_b64 exec, exec, s[16:17]
.LBB102_742:
	s_or_b64 exec, exec, s[14:15]
	s_and_saveexec_b64 s[12:13], s[56:57]
	s_cbranch_execz .LBB102_744
; %bb.743:
	v_mov_b32_e32 v20, 0
	ds_read_b32 v20, v20 offset:5980
	s_waitcnt lgkmcnt(0)
	v_mul_f32_e32 v19, v19, v20
	v_xor_b32_e32 v20, 0x80000000, v19
	ds_write_b32 v15, v20
.LBB102_744:
	s_or_b64 exec, exec, s[12:13]
	s_waitcnt lgkmcnt(0)
	s_barrier
	s_and_saveexec_b64 s[12:13], s[58:59]
	s_cbranch_execz .LBB102_746
; %bb.745:
	v_lshlrev_b32_e32 v20, 2, v13
	ds_read_b32 v20, v20 offset:5952
	ds_read_b32 v21, v15
	s_waitcnt lgkmcnt(0)
	v_fma_f32 v19, -v20, v21, v19
.LBB102_746:
	s_or_b64 exec, exec, s[12:13]
	s_barrier
	s_and_saveexec_b64 s[12:13], s[60:61]
	s_cbranch_execz .LBB102_748
; %bb.747:
	v_mov_b32_e32 v20, 0
	ds_read_b32 v20, v20 offset:5720
	s_waitcnt lgkmcnt(0)
	v_mul_f32_e32 v19, v19, v20
	v_xor_b32_e32 v20, 0x80000000, v19
	ds_write_b32 v15, v20
.LBB102_748:
	s_or_b64 exec, exec, s[12:13]
	s_waitcnt lgkmcnt(0)
	s_barrier
	s_and_saveexec_b64 s[12:13], s[62:63]
	s_cbranch_execz .LBB102_750
; %bb.749:
	v_lshlrev_b32_e32 v20, 2, v13
	ds_read_b32 v20, v20 offset:5696
	ds_read_b32 v21, v15
	s_waitcnt lgkmcnt(0)
	v_fma_f32 v19, -v20, v21, v19
.LBB102_750:
	s_or_b64 exec, exec, s[12:13]
	s_barrier
	;; [unrolled: 24-line block ×6, first 2 shown]
	s_and_saveexec_b64 s[12:13], s[82:83]
	s_cbranch_execz .LBB102_768
; %bb.767:
	v_mov_b32_e32 v20, 0
	ds_read_b32 v20, v20 offset:4420
	s_waitcnt lgkmcnt(0)
	v_mul_f32_e32 v19, v19, v20
	v_xor_b32_e32 v20, 0x80000000, v19
	ds_write_b32 v15, v20
.LBB102_768:
	s_or_b64 exec, exec, s[12:13]
	s_waitcnt lgkmcnt(0)
	s_barrier
	s_and_saveexec_b64 s[12:13], s[66:67]
	s_cbranch_execz .LBB102_770
; %bb.769:
	v_mov_b32_e32 v20, 0
	ds_read_b32 v20, v20 offset:4416
	ds_read_b32 v21, v15
	s_waitcnt lgkmcnt(0)
	v_fma_f32 v19, -v20, v21, v19
.LBB102_770:
	s_or_b64 exec, exec, s[12:13]
	s_barrier
	s_and_saveexec_b64 s[12:13], s[66:67]
	s_cbranch_execz .LBB102_772
; %bb.771:
	v_mov_b32_e32 v20, 0
	ds_read_b32 v20, v20 offset:4160
	s_waitcnt lgkmcnt(0)
	v_mul_f32_e32 v19, v19, v20
	v_xor_b32_e32 v20, 0x80000000, v19
	ds_write_b32 v15, v20
.LBB102_772:
	s_or_b64 exec, exec, s[12:13]
	s_waitcnt lgkmcnt(0)
	s_barrier
	s_barrier
	s_and_saveexec_b64 s[12:13], s[8:9]
; %bb.773:
	v_lshlrev_b32_e32 v20, 2, v13
	v_lshl_or_b32 v20, v14, 8, v20
	ds_write_b32 v20, v19 offset:6208
; %bb.774:
	s_or_b64 exec, exec, s[12:13]
	s_waitcnt lgkmcnt(0)
	s_barrier
	s_barrier
	s_and_saveexec_b64 s[12:13], s[84:85]
	s_cbranch_execz .LBB102_776
; %bb.775:
	v_lshlrev_b32_e32 v19, 8, v0
	ds_read_b32 v20, v19 offset:6208
	s_movk_i32 s14, 0xff04
	v_mad_i32_i24 v21, v0, s14, v19
	s_waitcnt lgkmcnt(0)
	ds_write_b32 v21, v20 offset:4192
	ds_read_b32 v20, v19 offset:6212
	s_waitcnt lgkmcnt(0)
	ds_write_b32 v21, v20 offset:4448
	ds_read_b32 v20, v19 offset:6216
	;; [unrolled: 3-line block ×7, first 2 shown]
	s_waitcnt lgkmcnt(0)
	ds_write_b32 v21, v19 offset:5984
.LBB102_776:
	s_or_b64 exec, exec, s[12:13]
	s_waitcnt lgkmcnt(0)
	s_barrier
	s_and_saveexec_b64 s[12:13], vcc
	s_cbranch_execz .LBB102_778
; %bb.777:
	v_mov_b32_e32 v21, 0
	ds_read_b64 v[19:20], v21 offset:5976
	ds_read_b32 v21, v21 offset:5720
	s_movk_i32 s14, 0x1400
	s_waitcnt lgkmcnt(0)
	v_mul_f32_e32 v20, v21, v20
	v_mul_f32_e32 v19, v19, v20
	v_add_u32_e64 v20, s14, 0
	ds_write2_b32 v20, v19, v19 offset0:151 offset1:214
.LBB102_778:
	s_or_b64 exec, exec, s[12:13]
	v_mov_b32_e32 v19, 0
	s_waitcnt lgkmcnt(0)
	s_barrier
	buffer_wbinvl1_vol
	s_and_saveexec_b64 s[14:15], s[2:3]
	s_cbranch_execz .LBB102_782
; %bb.779:
	v_lshlrev_b32_e32 v19, 8, v3
	v_lshlrev_b32_e32 v20, 2, v1
	ds_read_b32 v21, v20 offset:5712
	ds_read_b32 v19, v19 offset:5720
	v_mov_b32_e32 v20, 0
	v_cmp_gt_u32_e64 s[12:13], 2, v5
	s_waitcnt lgkmcnt(0)
	v_fma_f32 v19, v21, v19, 0
	s_and_saveexec_b64 s[16:17], s[12:13]
	s_cbranch_execz .LBB102_781
; %bb.780:
	v_lshlrev_b32_e32 v21, 2, v0
	ds_read_b32 v21, v21 offset:5968
	ds_read_b32 v20, v20 offset:5980
	s_waitcnt lgkmcnt(0)
	v_fmac_f32_e32 v19, v21, v20
.LBB102_781:
	s_or_b64 exec, exec, s[16:17]
.LBB102_782:
	s_or_b64 exec, exec, s[14:15]
	s_and_saveexec_b64 s[12:13], s[38:39]
	s_cbranch_execz .LBB102_784
; %bb.783:
	v_mov_b32_e32 v20, 0
	ds_read_b32 v20, v20 offset:5460
	s_waitcnt lgkmcnt(0)
	v_mul_f32_e32 v19, v19, v20
	v_xor_b32_e32 v20, 0x80000000, v19
	ds_write_b32 v4, v20
.LBB102_784:
	s_or_b64 exec, exec, s[12:13]
	s_waitcnt lgkmcnt(0)
	s_barrier
	s_and_saveexec_b64 s[12:13], s[36:37]
	s_cbranch_execz .LBB102_786
; %bb.785:
	v_mov_b32_e32 v20, 0
	ds_read_b32 v20, v20 offset:5456
	ds_read_b32 v21, v4
	s_waitcnt lgkmcnt(0)
	v_fma_f32 v19, -v20, v21, v19
.LBB102_786:
	s_or_b64 exec, exec, s[12:13]
	s_barrier
	s_and_saveexec_b64 s[12:13], s[36:37]
	s_cbranch_execz .LBB102_788
; %bb.787:
	v_mov_b32_e32 v20, 0
	ds_read_b32 v20, v20 offset:5200
	s_waitcnt lgkmcnt(0)
	v_mul_f32_e32 v19, v19, v20
	v_xor_b32_e32 v20, 0x80000000, v19
	ds_write_b32 v4, v20
.LBB102_788:
	s_or_b64 exec, exec, s[12:13]
	s_waitcnt lgkmcnt(0)
	s_barrier
	s_barrier
	s_and_saveexec_b64 s[12:13], s[2:3]
; %bb.789:
	v_lshlrev_b32_e32 v20, 2, v1
	v_lshl_or_b32 v20, v3, 8, v20
	ds_write_b32 v20, v19 offset:5712
; %bb.790:
	s_or_b64 exec, exec, s[12:13]
	s_waitcnt lgkmcnt(0)
	s_barrier
	s_barrier
	s_and_saveexec_b64 s[12:13], s[40:41]
	s_cbranch_execz .LBB102_792
; %bb.791:
	v_lshlrev_b32_e32 v19, 2, v0
	s_movk_i32 s14, 0xfc
	v_mad_u32_u24 v20, v0, s14, v19
	ds_read_b32 v21, v20 offset:5712
	s_waitcnt lgkmcnt(0)
	ds_write_b32 v19, v21 offset:5208
	ds_read_b32 v20, v20 offset:5716
	s_waitcnt lgkmcnt(0)
	ds_write_b32 v19, v20 offset:5464
.LBB102_792:
	s_or_b64 exec, exec, s[12:13]
	s_waitcnt lgkmcnt(0)
	s_barrier
	s_and_saveexec_b64 s[12:13], vcc
	s_cbranch_execz .LBB102_794
; %bb.793:
	v_mov_b32_e32 v21, 0
	ds_read_b64 v[19:20], v21 offset:5456
	ds_read_b32 v21, v21 offset:5200
	s_movk_i32 s14, 0x1400
	s_waitcnt lgkmcnt(0)
	v_mul_f32_e32 v20, v21, v20
	v_mul_f32_e32 v19, v19, v20
	v_add_u32_e64 v20, s14, 0
	ds_write2_b32 v20, v19, v19 offset0:21 offset1:84
.LBB102_794:
	s_or_b64 exec, exec, s[12:13]
	v_mov_b32_e32 v19, 0
	s_waitcnt lgkmcnt(0)
	s_barrier
	buffer_wbinvl1_vol
	s_and_saveexec_b64 s[14:15], s[18:19]
	s_cbranch_execz .LBB102_800
; %bb.795:
	v_lshlrev_b32_e32 v21, 2, v6
	v_lshlrev_b32_e32 v20, 8, v11
	ds_read_b32 v19, v21 offset:5184
	ds_read_b32 v22, v20 offset:5200
	v_cmp_gt_u32_e64 s[12:13], 12, v5
	s_waitcnt lgkmcnt(0)
	v_fma_f32 v19, v19, v22, 0
	s_and_saveexec_b64 s[16:17], s[12:13]
	s_cbranch_execnz .LBB102_1240
; %bb.796:
	s_or_b64 exec, exec, s[16:17]
	v_cmp_gt_u32_e64 s[12:13], 8, v5
	s_and_saveexec_b64 s[16:17], s[12:13]
	s_cbranch_execnz .LBB102_1241
.LBB102_797:
	s_or_b64 exec, exec, s[16:17]
	v_cmp_gt_u32_e64 s[12:13], 4, v5
	s_and_saveexec_b64 s[16:17], s[12:13]
	s_cbranch_execz .LBB102_799
.LBB102_798:
	v_lshlrev_b32_e32 v20, 2, v0
	v_mov_b32_e32 v21, 0
	ds_read_b32 v20, v20 offset:5952
	ds_read_b32 v21, v21 offset:5980
	s_waitcnt lgkmcnt(0)
	v_fmac_f32_e32 v19, v20, v21
.LBB102_799:
	s_or_b64 exec, exec, s[16:17]
.LBB102_800:
	s_or_b64 exec, exec, s[14:15]
	s_and_saveexec_b64 s[12:13], s[44:45]
	s_cbranch_execz .LBB102_802
; %bb.801:
	v_mov_b32_e32 v20, 0
	ds_read_b32 v20, v20 offset:4940
	s_waitcnt lgkmcnt(0)
	v_mul_f32_e32 v19, v19, v20
	v_xor_b32_e32 v20, 0x80000000, v19
	ds_write_b32 v12, v20
.LBB102_802:
	s_or_b64 exec, exec, s[12:13]
	s_waitcnt lgkmcnt(0)
	s_barrier
	s_and_saveexec_b64 s[12:13], s[46:47]
	s_cbranch_execz .LBB102_804
; %bb.803:
	v_lshlrev_b32_e32 v20, 2, v6
	ds_read_b32 v20, v20 offset:4928
	ds_read_b32 v21, v12
	s_waitcnt lgkmcnt(0)
	v_fma_f32 v19, -v20, v21, v19
.LBB102_804:
	s_or_b64 exec, exec, s[12:13]
	s_barrier
	s_and_saveexec_b64 s[12:13], s[48:49]
	s_cbranch_execz .LBB102_806
; %bb.805:
	v_mov_b32_e32 v20, 0
	ds_read_b32 v20, v20 offset:4680
	s_waitcnt lgkmcnt(0)
	v_mul_f32_e32 v19, v19, v20
	v_xor_b32_e32 v20, 0x80000000, v19
	ds_write_b32 v12, v20
.LBB102_806:
	s_or_b64 exec, exec, s[12:13]
	s_waitcnt lgkmcnt(0)
	s_barrier
	s_and_saveexec_b64 s[12:13], s[50:51]
	s_cbranch_execz .LBB102_808
; %bb.807:
	v_lshlrev_b32_e32 v20, 2, v6
	ds_read_b32 v20, v20 offset:4672
	ds_read_b32 v21, v12
	s_waitcnt lgkmcnt(0)
	v_fma_f32 v19, -v20, v21, v19
.LBB102_808:
	s_or_b64 exec, exec, s[12:13]
	s_barrier
	s_and_saveexec_b64 s[12:13], s[52:53]
	s_cbranch_execz .LBB102_810
; %bb.809:
	v_mov_b32_e32 v20, 0
	ds_read_b32 v20, v20 offset:4420
	s_waitcnt lgkmcnt(0)
	v_mul_f32_e32 v19, v19, v20
	v_xor_b32_e32 v20, 0x80000000, v19
	ds_write_b32 v12, v20
.LBB102_810:
	s_or_b64 exec, exec, s[12:13]
	s_waitcnt lgkmcnt(0)
	s_barrier
	s_and_saveexec_b64 s[12:13], s[42:43]
	s_cbranch_execz .LBB102_812
; %bb.811:
	v_mov_b32_e32 v20, 0
	ds_read_b32 v20, v20 offset:4416
	ds_read_b32 v21, v12
	s_waitcnt lgkmcnt(0)
	v_fma_f32 v19, -v20, v21, v19
.LBB102_812:
	s_or_b64 exec, exec, s[12:13]
	s_barrier
	s_and_saveexec_b64 s[12:13], s[42:43]
	s_cbranch_execz .LBB102_814
; %bb.813:
	v_mov_b32_e32 v20, 0
	ds_read_b32 v20, v20 offset:4160
	s_waitcnt lgkmcnt(0)
	v_mul_f32_e32 v19, v19, v20
	v_xor_b32_e32 v20, 0x80000000, v19
	ds_write_b32 v12, v20
.LBB102_814:
	s_or_b64 exec, exec, s[12:13]
	s_waitcnt lgkmcnt(0)
	s_barrier
	s_barrier
	s_and_saveexec_b64 s[12:13], s[18:19]
; %bb.815:
	v_lshlrev_b32_e32 v20, 2, v6
	v_lshl_or_b32 v20, v11, 8, v20
	ds_write_b32 v20, v19 offset:5184
; %bb.816:
	s_or_b64 exec, exec, s[12:13]
	s_waitcnt lgkmcnt(0)
	s_barrier
	s_barrier
	s_and_saveexec_b64 s[12:13], s[54:55]
	s_cbranch_execz .LBB102_818
; %bb.817:
	v_lshlrev_b32_e32 v19, 8, v0
	ds_read_b32 v20, v19 offset:5184
	s_movk_i32 s14, 0xff04
	v_mad_i32_i24 v21, v0, s14, v19
	s_waitcnt lgkmcnt(0)
	ds_write_b32 v21, v20 offset:4176
	ds_read_b32 v20, v19 offset:5188
	s_waitcnt lgkmcnt(0)
	ds_write_b32 v21, v20 offset:4432
	ds_read_b32 v20, v19 offset:5192
	;; [unrolled: 3-line block ×3, first 2 shown]
	s_waitcnt lgkmcnt(0)
	ds_write_b32 v21, v19 offset:4944
.LBB102_818:
	s_or_b64 exec, exec, s[12:13]
	s_waitcnt lgkmcnt(0)
	s_barrier
	s_and_saveexec_b64 s[12:13], vcc
	s_cbranch_execz .LBB102_820
; %bb.819:
	v_mov_b32_e32 v21, 0
	ds_read_b64 v[19:20], v21 offset:4936
	ds_read_b32 v21, v21 offset:4680
	s_movk_i32 s14, 0x1000
	s_waitcnt lgkmcnt(0)
	v_mul_f32_e32 v20, v21, v20
	v_mul_f32_e32 v19, v19, v20
	v_add_u32_e64 v20, s14, 0
	ds_write2_b32 v20, v19, v19 offset0:147 offset1:210
.LBB102_820:
	s_or_b64 exec, exec, s[12:13]
	v_mov_b32_e32 v19, 0
	s_waitcnt lgkmcnt(0)
	s_barrier
	buffer_wbinvl1_vol
	s_and_saveexec_b64 s[14:15], s[2:3]
	s_cbranch_execz .LBB102_824
; %bb.821:
	v_lshlrev_b32_e32 v19, 8, v3
	v_lshlrev_b32_e32 v20, 2, v1
	ds_read_b32 v21, v20 offset:4672
	ds_read_b32 v19, v19 offset:4680
	v_mov_b32_e32 v20, 0
	v_cmp_gt_u32_e64 s[12:13], 2, v5
	s_waitcnt lgkmcnt(0)
	v_fma_f32 v19, v21, v19, 0
	s_and_saveexec_b64 s[16:17], s[12:13]
	s_cbranch_execz .LBB102_823
; %bb.822:
	v_lshlrev_b32_e32 v21, 2, v0
	ds_read_b32 v21, v21 offset:4928
	ds_read_b32 v20, v20 offset:4940
	s_waitcnt lgkmcnt(0)
	v_fmac_f32_e32 v19, v21, v20
.LBB102_823:
	s_or_b64 exec, exec, s[16:17]
.LBB102_824:
	s_or_b64 exec, exec, s[14:15]
	s_and_saveexec_b64 s[12:13], s[38:39]
	s_cbranch_execz .LBB102_826
; %bb.825:
	v_mov_b32_e32 v20, 0
	ds_read_b32 v20, v20 offset:4420
	s_waitcnt lgkmcnt(0)
	v_mul_f32_e32 v19, v19, v20
	v_xor_b32_e32 v20, 0x80000000, v19
	ds_write_b32 v4, v20
.LBB102_826:
	s_or_b64 exec, exec, s[12:13]
	s_waitcnt lgkmcnt(0)
	s_barrier
	s_and_saveexec_b64 s[12:13], s[36:37]
	s_cbranch_execz .LBB102_828
; %bb.827:
	v_mov_b32_e32 v20, 0
	ds_read_b32 v20, v20 offset:4416
	ds_read_b32 v21, v4
	s_waitcnt lgkmcnt(0)
	v_fma_f32 v19, -v20, v21, v19
.LBB102_828:
	s_or_b64 exec, exec, s[12:13]
	s_barrier
	s_and_saveexec_b64 s[12:13], s[36:37]
	s_cbranch_execz .LBB102_830
; %bb.829:
	v_mov_b32_e32 v20, 0
	ds_read_b32 v20, v20 offset:4160
	s_waitcnt lgkmcnt(0)
	v_mul_f32_e32 v19, v19, v20
	v_xor_b32_e32 v20, 0x80000000, v19
	ds_write_b32 v4, v20
.LBB102_830:
	s_or_b64 exec, exec, s[12:13]
	s_waitcnt lgkmcnt(0)
	s_barrier
	s_barrier
	s_and_saveexec_b64 s[12:13], s[2:3]
; %bb.831:
	v_lshlrev_b32_e32 v20, 2, v1
	v_lshl_or_b32 v20, v3, 8, v20
	ds_write_b32 v20, v19 offset:4672
; %bb.832:
	s_or_b64 exec, exec, s[12:13]
	s_waitcnt lgkmcnt(0)
	s_barrier
	s_barrier
	s_and_saveexec_b64 s[12:13], s[40:41]
	s_cbranch_execz .LBB102_834
; %bb.833:
	v_lshlrev_b32_e32 v19, 2, v0
	s_movk_i32 s14, 0xfc
	v_mad_u32_u24 v20, v0, s14, v19
	ds_read_b32 v21, v20 offset:4672
	s_waitcnt lgkmcnt(0)
	ds_write_b32 v19, v21 offset:4168
	ds_read_b32 v20, v20 offset:4676
	s_waitcnt lgkmcnt(0)
	ds_write_b32 v19, v20 offset:4424
.LBB102_834:
	s_or_b64 exec, exec, s[12:13]
	s_waitcnt lgkmcnt(0)
	s_barrier
	s_and_saveexec_b64 s[12:13], vcc
	s_cbranch_execz .LBB102_836
; %bb.835:
	v_mov_b32_e32 v21, 0
	ds_read_b64 v[19:20], v21 offset:4416
	ds_read_b32 v21, v21 offset:4160
	s_movk_i32 s14, 0x1000
	s_waitcnt lgkmcnt(0)
	v_mul_f32_e32 v20, v21, v20
	v_mul_f32_e32 v19, v19, v20
	v_add_u32_e64 v20, s14, 0
	ds_write2_b32 v20, v19, v19 offset0:17 offset1:80
.LBB102_836:
	s_or_b64 exec, exec, s[12:13]
	v_mov_b32_e32 v19, 0
	s_waitcnt lgkmcnt(0)
	s_barrier
	buffer_wbinvl1_vol
	s_and_saveexec_b64 s[14:15], s[10:11]
	s_cbranch_execz .LBB102_864
; %bb.837:
	v_lshlrev_b32_e32 v21, 2, v16
	v_lshlrev_b32_e32 v20, 8, v17
	ds_read_b32 v19, v21 offset:4096
	ds_read_b32 v22, v20 offset:4160
	s_movk_i32 s12, 0xf0
	v_cmp_gt_u32_e64 s[12:13], s12, v5
	s_waitcnt lgkmcnt(0)
	v_fma_f32 v19, v19, v22, 0
	s_and_saveexec_b64 s[16:17], s[12:13]
	s_cbranch_execz .LBB102_839
; %bb.838:
	ds_read_b32 v22, v21 offset:4352
	ds_read_b32 v23, v20 offset:4164
	s_waitcnt lgkmcnt(0)
	v_fmac_f32_e32 v19, v22, v23
.LBB102_839:
	s_or_b64 exec, exec, s[16:17]
	s_movk_i32 s12, 0xe0
	v_cmp_gt_u32_e64 s[12:13], s12, v5
	s_and_saveexec_b64 s[16:17], s[12:13]
	s_cbranch_execz .LBB102_841
; %bb.840:
	ds_read_b32 v22, v21 offset:4608
	ds_read_b32 v23, v20 offset:4168
	s_waitcnt lgkmcnt(0)
	v_fmac_f32_e32 v19, v22, v23
.LBB102_841:
	s_or_b64 exec, exec, s[16:17]
	s_movk_i32 s12, 0xd0
	v_cmp_gt_u32_e64 s[12:13], s12, v5
	;; [unrolled: 11-line block ×10, first 2 shown]
	s_and_saveexec_b64 s[16:17], s[12:13]
	s_cbranch_execnz .LBB102_1242
; %bb.858:
	s_or_b64 exec, exec, s[16:17]
	s_and_saveexec_b64 s[12:13], s[8:9]
	s_cbranch_execnz .LBB102_1243
.LBB102_859:
	s_or_b64 exec, exec, s[12:13]
	v_cmp_gt_u32_e64 s[12:13], 48, v5
	s_and_saveexec_b64 s[16:17], s[12:13]
	s_cbranch_execnz .LBB102_1244
.LBB102_860:
	s_or_b64 exec, exec, s[16:17]
	v_cmp_gt_u32_e64 s[12:13], 32, v5
	s_and_saveexec_b64 s[16:17], s[12:13]
	s_cbranch_execnz .LBB102_1245
.LBB102_861:
	s_or_b64 exec, exec, s[16:17]
	v_cmp_gt_u32_e64 s[12:13], 16, v5
	s_and_saveexec_b64 s[16:17], s[12:13]
	s_cbranch_execz .LBB102_863
.LBB102_862:
	v_lshlrev_b32_e32 v20, 2, v0
	v_mov_b32_e32 v21, 0
	ds_read_b32 v20, v20 offset:7936
	ds_read_b32 v21, v21 offset:8060
	s_waitcnt lgkmcnt(0)
	v_fmac_f32_e32 v19, v20, v21
.LBB102_863:
	s_or_b64 exec, exec, s[16:17]
.LBB102_864:
	s_or_b64 exec, exec, s[14:15]
	s_mov_b64 s[12:13], exec
	v_readlane_b32 s14, v27, 4
	v_readlane_b32 s15, v27, 5
	s_and_b64 s[14:15], s[12:13], s[14:15]
	s_mov_b64 exec, s[14:15]
	s_cbranch_execz .LBB102_866
; %bb.865:
	v_mov_b32_e32 v20, 0
	ds_read_b32 v20, v20 offset:3900
	s_waitcnt lgkmcnt(0)
	v_mul_f32_e32 v19, v19, v20
	v_xor_b32_e32 v20, 0x80000000, v19
	ds_write_b32 v18, v20
.LBB102_866:
	s_or_b64 exec, exec, s[12:13]
	s_waitcnt lgkmcnt(0)
	s_barrier
	s_mov_b64 s[12:13], exec
	v_readlane_b32 s14, v27, 6
	v_readlane_b32 s15, v27, 7
	s_and_b64 s[14:15], s[12:13], s[14:15]
	s_mov_b64 exec, s[14:15]
	s_cbranch_execz .LBB102_868
; %bb.867:
	v_lshlrev_b32_e32 v20, 2, v16
	ds_read_b32 v20, v20 offset:3840
	ds_read_b32 v21, v18
	s_waitcnt lgkmcnt(0)
	v_fma_f32 v19, -v20, v21, v19
.LBB102_868:
	s_or_b64 exec, exec, s[12:13]
	s_barrier
	s_mov_b64 s[12:13], exec
	v_readlane_b32 s14, v27, 8
	v_readlane_b32 s15, v27, 9
	s_and_b64 s[14:15], s[12:13], s[14:15]
	s_mov_b64 exec, s[14:15]
	s_cbranch_execz .LBB102_870
; %bb.869:
	v_mov_b32_e32 v20, 0
	ds_read_b32 v20, v20 offset:3640
	s_waitcnt lgkmcnt(0)
	v_mul_f32_e32 v19, v19, v20
	v_xor_b32_e32 v20, 0x80000000, v19
	ds_write_b32 v18, v20
.LBB102_870:
	s_or_b64 exec, exec, s[12:13]
	s_waitcnt lgkmcnt(0)
	s_barrier
	s_mov_b64 s[12:13], exec
	v_readlane_b32 s14, v27, 10
	v_readlane_b32 s15, v27, 11
	s_and_b64 s[14:15], s[12:13], s[14:15]
	s_mov_b64 exec, s[14:15]
	s_cbranch_execz .LBB102_872
; %bb.871:
	v_lshlrev_b32_e32 v20, 2, v16
	ds_read_b32 v20, v20 offset:3584
	ds_read_b32 v21, v18
	s_waitcnt lgkmcnt(0)
	v_fma_f32 v19, -v20, v21, v19
.LBB102_872:
	s_or_b64 exec, exec, s[12:13]
	s_barrier
	;; [unrolled: 32-line block ×13, first 2 shown]
	s_mov_b64 s[12:13], exec
	v_readlane_b32 s14, v27, 56
	v_readlane_b32 s15, v27, 57
	s_and_b64 s[14:15], s[12:13], s[14:15]
	s_mov_b64 exec, s[14:15]
	s_cbranch_execz .LBB102_918
; %bb.917:
	v_mov_b32_e32 v20, 0
	ds_read_b32 v20, v20 offset:520
	s_waitcnt lgkmcnt(0)
	v_mul_f32_e32 v19, v19, v20
	v_xor_b32_e32 v20, 0x80000000, v19
	ds_write_b32 v18, v20
.LBB102_918:
	s_or_b64 exec, exec, s[12:13]
	s_waitcnt lgkmcnt(0)
	s_barrier
	s_and_saveexec_b64 s[12:13], s[0:1]
	s_cbranch_execz .LBB102_920
; %bb.919:
	v_lshlrev_b32_e32 v20, 2, v16
	ds_read_b32 v20, v20 offset:512
	ds_read_b32 v21, v18
	s_waitcnt lgkmcnt(0)
	v_fma_f32 v19, -v20, v21, v19
.LBB102_920:
	s_or_b64 exec, exec, s[12:13]
	s_barrier
	s_mov_b64 s[0:1], exec
	v_readlane_b32 s12, v27, 58
	v_readlane_b32 s13, v27, 59
	s_and_b64 s[12:13], s[0:1], s[12:13]
	s_mov_b64 exec, s[12:13]
	s_cbranch_execz .LBB102_922
; %bb.921:
	v_mov_b32_e32 v20, 0
	ds_read_b32 v20, v20 offset:260
	s_waitcnt lgkmcnt(0)
	v_mul_f32_e32 v19, v19, v20
	v_xor_b32_e32 v20, 0x80000000, v19
	ds_write_b32 v18, v20
.LBB102_922:
	s_or_b64 exec, exec, s[0:1]
	s_waitcnt lgkmcnt(0)
	s_barrier
	s_and_saveexec_b64 s[0:1], s[92:93]
	s_cbranch_execz .LBB102_924
; %bb.923:
	v_mov_b32_e32 v20, 0
	ds_read_b32 v20, v20 offset:256
	ds_read_b32 v21, v18
	s_waitcnt lgkmcnt(0)
	v_fma_f32 v19, -v20, v21, v19
.LBB102_924:
	s_or_b64 exec, exec, s[0:1]
	s_barrier
	s_and_saveexec_b64 s[0:1], s[92:93]
	s_cbranch_execz .LBB102_926
; %bb.925:
	v_mov_b32_e32 v20, 0
	ds_read_b32 v20, v20
	s_waitcnt lgkmcnt(0)
	v_mul_f32_e32 v19, v19, v20
	v_xor_b32_e32 v20, 0x80000000, v19
	ds_write_b32 v18, v20
.LBB102_926:
	s_or_b64 exec, exec, s[0:1]
	s_waitcnt lgkmcnt(0)
	s_barrier
	s_barrier
	s_and_saveexec_b64 s[0:1], s[10:11]
; %bb.927:
	v_lshlrev_b32_e32 v16, 2, v16
	v_lshl_or_b32 v16, v17, 8, v16
	ds_write_b32 v16, v19 offset:4096
; %bb.928:
	s_or_b64 exec, exec, s[0:1]
	s_waitcnt lgkmcnt(0)
	s_barrier
	s_barrier
	s_mov_b64 s[0:1], exec
	v_readlane_b32 s10, v27, 60
	v_readlane_b32 s11, v27, 61
	s_and_b64 s[10:11], s[0:1], s[10:11]
	s_mov_b64 exec, s[10:11]
	s_cbranch_execz .LBB102_930
; %bb.929:
	v_lshlrev_b32_e32 v16, 8, v0
	ds_read_b32 v17, v16 offset:4096
	s_movk_i32 s10, 0xff04
	v_mad_i32_i24 v18, v0, s10, v16
	s_waitcnt lgkmcnt(0)
	ds_write_b32 v18, v17 offset:64
	ds_read_b32 v17, v16 offset:4100
	s_waitcnt lgkmcnt(0)
	ds_write_b32 v18, v17 offset:320
	ds_read_b32 v17, v16 offset:4104
	s_waitcnt lgkmcnt(0)
	ds_write_b32 v18, v17 offset:576
	ds_read_b32 v17, v16 offset:4108
	s_waitcnt lgkmcnt(0)
	ds_write_b32 v18, v17 offset:832
	ds_read_b32 v17, v16 offset:4112
	s_waitcnt lgkmcnt(0)
	ds_write_b32 v18, v17 offset:1088
	ds_read_b32 v17, v16 offset:4116
	s_waitcnt lgkmcnt(0)
	ds_write_b32 v18, v17 offset:1344
	ds_read_b32 v17, v16 offset:4120
	s_waitcnt lgkmcnt(0)
	ds_write_b32 v18, v17 offset:1600
	ds_read_b32 v17, v16 offset:4124
	s_waitcnt lgkmcnt(0)
	ds_write_b32 v18, v17 offset:1856
	ds_read_b32 v17, v16 offset:4128
	s_waitcnt lgkmcnt(0)
	ds_write_b32 v18, v17 offset:2112
	ds_read_b32 v17, v16 offset:4132
	s_waitcnt lgkmcnt(0)
	ds_write_b32 v18, v17 offset:2368
	ds_read_b32 v17, v16 offset:4136
	s_waitcnt lgkmcnt(0)
	ds_write_b32 v18, v17 offset:2624
	ds_read_b32 v17, v16 offset:4140
	s_waitcnt lgkmcnt(0)
	ds_write_b32 v18, v17 offset:2880
	ds_read_b32 v17, v16 offset:4144
	s_waitcnt lgkmcnt(0)
	ds_write_b32 v18, v17 offset:3136
	ds_read_b32 v17, v16 offset:4148
	s_waitcnt lgkmcnt(0)
	ds_write_b32 v18, v17 offset:3392
	ds_read_b32 v17, v16 offset:4152
	s_waitcnt lgkmcnt(0)
	ds_write_b32 v18, v17 offset:3648
	ds_read_b32 v16, v16 offset:4156
	s_waitcnt lgkmcnt(0)
	ds_write_b32 v18, v16 offset:3904
.LBB102_930:
	s_or_b64 exec, exec, s[0:1]
	s_waitcnt lgkmcnt(0)
	s_barrier
	s_and_saveexec_b64 s[0:1], vcc
	s_cbranch_execz .LBB102_932
; %bb.931:
	v_mov_b32_e32 v18, 0
	ds_read_b64 v[16:17], v18 offset:3896
	ds_read_b32 v18, v18 offset:3640
	s_movk_i32 s10, 0xc00
	s_waitcnt lgkmcnt(0)
	v_mul_f32_e32 v17, v18, v17
	v_mul_f32_e32 v16, v16, v17
	v_add_u32_e64 v17, s10, 0
	ds_write2_b32 v17, v16, v16 offset0:143 offset1:206
.LBB102_932:
	s_or_b64 exec, exec, s[0:1]
	v_mov_b32_e32 v16, 0
	s_waitcnt lgkmcnt(0)
	s_barrier
	buffer_wbinvl1_vol
	s_and_saveexec_b64 s[0:1], s[2:3]
	s_cbranch_execz .LBB102_936
; %bb.933:
	v_lshlrev_b32_e32 v16, 8, v3
	v_lshlrev_b32_e32 v17, 2, v1
	ds_read_b32 v18, v17 offset:3632
	ds_read_b32 v16, v16 offset:3640
	v_mov_b32_e32 v17, 0
	v_cmp_gt_u32_e64 s[10:11], 2, v5
	s_waitcnt lgkmcnt(0)
	v_fma_f32 v16, v18, v16, 0
	s_and_saveexec_b64 s[12:13], s[10:11]
	s_cbranch_execz .LBB102_935
; %bb.934:
	v_lshlrev_b32_e32 v18, 2, v0
	ds_read_b32 v18, v18 offset:3888
	ds_read_b32 v17, v17 offset:3900
	s_waitcnt lgkmcnt(0)
	v_fmac_f32_e32 v16, v18, v17
.LBB102_935:
	s_or_b64 exec, exec, s[12:13]
.LBB102_936:
	s_or_b64 exec, exec, s[0:1]
	s_and_saveexec_b64 s[0:1], s[38:39]
	s_cbranch_execz .LBB102_938
; %bb.937:
	v_mov_b32_e32 v17, 0
	ds_read_b32 v17, v17 offset:3380
	s_waitcnt lgkmcnt(0)
	v_mul_f32_e32 v16, v16, v17
	v_xor_b32_e32 v17, 0x80000000, v16
	ds_write_b32 v4, v17
.LBB102_938:
	s_or_b64 exec, exec, s[0:1]
	s_waitcnt lgkmcnt(0)
	s_barrier
	s_and_saveexec_b64 s[0:1], s[36:37]
	s_cbranch_execz .LBB102_940
; %bb.939:
	v_mov_b32_e32 v17, 0
	ds_read_b32 v17, v17 offset:3376
	ds_read_b32 v18, v4
	s_waitcnt lgkmcnt(0)
	v_fma_f32 v16, -v17, v18, v16
.LBB102_940:
	s_or_b64 exec, exec, s[0:1]
	s_barrier
	s_and_saveexec_b64 s[0:1], s[36:37]
	s_cbranch_execz .LBB102_942
; %bb.941:
	v_mov_b32_e32 v17, 0
	ds_read_b32 v17, v17 offset:3120
	s_waitcnt lgkmcnt(0)
	v_mul_f32_e32 v16, v16, v17
	v_xor_b32_e32 v17, 0x80000000, v16
	ds_write_b32 v4, v17
.LBB102_942:
	s_or_b64 exec, exec, s[0:1]
	s_waitcnt lgkmcnt(0)
	s_barrier
	s_barrier
	s_and_saveexec_b64 s[0:1], s[2:3]
; %bb.943:
	v_lshlrev_b32_e32 v17, 2, v1
	v_lshl_or_b32 v17, v3, 8, v17
	ds_write_b32 v17, v16 offset:3632
; %bb.944:
	s_or_b64 exec, exec, s[0:1]
	s_waitcnt lgkmcnt(0)
	s_barrier
	s_barrier
	s_and_saveexec_b64 s[0:1], s[40:41]
	s_cbranch_execz .LBB102_946
; %bb.945:
	v_lshlrev_b32_e32 v16, 2, v0
	s_movk_i32 s10, 0xfc
	v_mad_u32_u24 v17, v0, s10, v16
	ds_read_b32 v18, v17 offset:3632
	s_waitcnt lgkmcnt(0)
	ds_write_b32 v16, v18 offset:3128
	ds_read_b32 v17, v17 offset:3636
	s_waitcnt lgkmcnt(0)
	ds_write_b32 v16, v17 offset:3384
.LBB102_946:
	s_or_b64 exec, exec, s[0:1]
	s_waitcnt lgkmcnt(0)
	s_barrier
	s_and_saveexec_b64 s[0:1], vcc
	s_cbranch_execz .LBB102_948
; %bb.947:
	v_mov_b32_e32 v18, 0
	ds_read_b64 v[16:17], v18 offset:3376
	ds_read_b32 v18, v18 offset:3120
	s_movk_i32 s10, 0xc00
	s_waitcnt lgkmcnt(0)
	v_mul_f32_e32 v17, v18, v17
	v_mul_f32_e32 v16, v16, v17
	v_add_u32_e64 v17, s10, 0
	ds_write2_b32 v17, v16, v16 offset0:13 offset1:76
.LBB102_948:
	s_or_b64 exec, exec, s[0:1]
	v_mov_b32_e32 v16, 0
	s_waitcnt lgkmcnt(0)
	s_barrier
	buffer_wbinvl1_vol
	s_and_saveexec_b64 s[0:1], s[18:19]
	s_cbranch_execz .LBB102_954
; %bb.949:
	v_lshlrev_b32_e32 v18, 2, v6
	v_lshlrev_b32_e32 v17, 8, v11
	ds_read_b32 v16, v18 offset:3104
	ds_read_b32 v19, v17 offset:3120
	v_cmp_gt_u32_e64 s[10:11], 12, v5
	s_waitcnt lgkmcnt(0)
	v_fma_f32 v16, v16, v19, 0
	s_and_saveexec_b64 s[12:13], s[10:11]
	s_cbranch_execnz .LBB102_1246
; %bb.950:
	s_or_b64 exec, exec, s[12:13]
	v_cmp_gt_u32_e64 s[10:11], 8, v5
	s_and_saveexec_b64 s[12:13], s[10:11]
	s_cbranch_execnz .LBB102_1247
.LBB102_951:
	s_or_b64 exec, exec, s[12:13]
	v_cmp_gt_u32_e64 s[10:11], 4, v5
	s_and_saveexec_b64 s[12:13], s[10:11]
	s_cbranch_execz .LBB102_953
.LBB102_952:
	v_lshlrev_b32_e32 v17, 2, v0
	v_mov_b32_e32 v18, 0
	ds_read_b32 v17, v17 offset:3872
	ds_read_b32 v18, v18 offset:3900
	s_waitcnt lgkmcnt(0)
	v_fmac_f32_e32 v16, v17, v18
.LBB102_953:
	s_or_b64 exec, exec, s[12:13]
.LBB102_954:
	s_or_b64 exec, exec, s[0:1]
	s_and_saveexec_b64 s[0:1], s[44:45]
	s_cbranch_execz .LBB102_956
; %bb.955:
	v_mov_b32_e32 v17, 0
	ds_read_b32 v17, v17 offset:2860
	s_waitcnt lgkmcnt(0)
	v_mul_f32_e32 v16, v16, v17
	v_xor_b32_e32 v17, 0x80000000, v16
	ds_write_b32 v12, v17
.LBB102_956:
	s_or_b64 exec, exec, s[0:1]
	s_waitcnt lgkmcnt(0)
	s_barrier
	s_and_saveexec_b64 s[0:1], s[46:47]
	s_cbranch_execz .LBB102_958
; %bb.957:
	v_lshlrev_b32_e32 v17, 2, v6
	ds_read_b32 v17, v17 offset:2848
	ds_read_b32 v18, v12
	s_waitcnt lgkmcnt(0)
	v_fma_f32 v16, -v17, v18, v16
.LBB102_958:
	s_or_b64 exec, exec, s[0:1]
	s_barrier
	s_and_saveexec_b64 s[0:1], s[48:49]
	s_cbranch_execz .LBB102_960
; %bb.959:
	v_mov_b32_e32 v17, 0
	ds_read_b32 v17, v17 offset:2600
	s_waitcnt lgkmcnt(0)
	v_mul_f32_e32 v16, v16, v17
	v_xor_b32_e32 v17, 0x80000000, v16
	ds_write_b32 v12, v17
.LBB102_960:
	s_or_b64 exec, exec, s[0:1]
	s_waitcnt lgkmcnt(0)
	s_barrier
	s_and_saveexec_b64 s[0:1], s[50:51]
	s_cbranch_execz .LBB102_962
; %bb.961:
	v_lshlrev_b32_e32 v17, 2, v6
	ds_read_b32 v17, v17 offset:2592
	ds_read_b32 v18, v12
	s_waitcnt lgkmcnt(0)
	v_fma_f32 v16, -v17, v18, v16
.LBB102_962:
	s_or_b64 exec, exec, s[0:1]
	s_barrier
	s_and_saveexec_b64 s[0:1], s[52:53]
	s_cbranch_execz .LBB102_964
; %bb.963:
	v_mov_b32_e32 v17, 0
	ds_read_b32 v17, v17 offset:2340
	s_waitcnt lgkmcnt(0)
	v_mul_f32_e32 v16, v16, v17
	v_xor_b32_e32 v17, 0x80000000, v16
	ds_write_b32 v12, v17
.LBB102_964:
	s_or_b64 exec, exec, s[0:1]
	s_waitcnt lgkmcnt(0)
	s_barrier
	s_and_saveexec_b64 s[0:1], s[42:43]
	s_cbranch_execz .LBB102_966
; %bb.965:
	v_mov_b32_e32 v17, 0
	ds_read_b32 v17, v17 offset:2336
	ds_read_b32 v18, v12
	s_waitcnt lgkmcnt(0)
	v_fma_f32 v16, -v17, v18, v16
.LBB102_966:
	s_or_b64 exec, exec, s[0:1]
	s_barrier
	s_and_saveexec_b64 s[0:1], s[42:43]
	s_cbranch_execz .LBB102_968
; %bb.967:
	v_mov_b32_e32 v17, 0
	ds_read_b32 v17, v17 offset:2080
	s_waitcnt lgkmcnt(0)
	v_mul_f32_e32 v16, v16, v17
	v_xor_b32_e32 v17, 0x80000000, v16
	ds_write_b32 v12, v17
.LBB102_968:
	s_or_b64 exec, exec, s[0:1]
	s_waitcnt lgkmcnt(0)
	s_barrier
	s_barrier
	s_and_saveexec_b64 s[0:1], s[18:19]
; %bb.969:
	v_lshlrev_b32_e32 v17, 2, v6
	v_lshl_or_b32 v17, v11, 8, v17
	ds_write_b32 v17, v16 offset:3104
; %bb.970:
	s_or_b64 exec, exec, s[0:1]
	s_waitcnt lgkmcnt(0)
	s_barrier
	s_barrier
	s_and_saveexec_b64 s[0:1], s[54:55]
	s_cbranch_execz .LBB102_972
; %bb.971:
	v_lshlrev_b32_e32 v16, 8, v0
	ds_read_b32 v17, v16 offset:3104
	s_movk_i32 s10, 0xff04
	v_mad_i32_i24 v18, v0, s10, v16
	s_waitcnt lgkmcnt(0)
	ds_write_b32 v18, v17 offset:2096
	ds_read_b32 v17, v16 offset:3108
	s_waitcnt lgkmcnt(0)
	ds_write_b32 v18, v17 offset:2352
	ds_read_b32 v17, v16 offset:3112
	s_waitcnt lgkmcnt(0)
	ds_write_b32 v18, v17 offset:2608
	ds_read_b32 v16, v16 offset:3116
	s_waitcnt lgkmcnt(0)
	ds_write_b32 v18, v16 offset:2864
.LBB102_972:
	s_or_b64 exec, exec, s[0:1]
	s_waitcnt lgkmcnt(0)
	s_barrier
	s_and_saveexec_b64 s[0:1], vcc
	s_cbranch_execz .LBB102_974
; %bb.973:
	v_mov_b32_e32 v18, 0
	ds_read_b64 v[16:17], v18 offset:2856
	ds_read_b32 v18, v18 offset:2600
	s_movk_i32 s10, 0x800
	s_waitcnt lgkmcnt(0)
	v_mul_f32_e32 v17, v18, v17
	v_mul_f32_e32 v16, v16, v17
	v_add_u32_e64 v17, s10, 0
	ds_write2_b32 v17, v16, v16 offset0:139 offset1:202
.LBB102_974:
	s_or_b64 exec, exec, s[0:1]
	v_mov_b32_e32 v16, 0
	s_waitcnt lgkmcnt(0)
	s_barrier
	buffer_wbinvl1_vol
	s_and_saveexec_b64 s[0:1], s[2:3]
	s_cbranch_execz .LBB102_978
; %bb.975:
	v_lshlrev_b32_e32 v16, 8, v3
	v_lshlrev_b32_e32 v17, 2, v1
	ds_read_b32 v18, v17 offset:2592
	ds_read_b32 v16, v16 offset:2600
	v_mov_b32_e32 v17, 0
	v_cmp_gt_u32_e64 s[10:11], 2, v5
	s_waitcnt lgkmcnt(0)
	v_fma_f32 v16, v18, v16, 0
	s_and_saveexec_b64 s[12:13], s[10:11]
	s_cbranch_execz .LBB102_977
; %bb.976:
	v_lshlrev_b32_e32 v18, 2, v0
	ds_read_b32 v18, v18 offset:2848
	ds_read_b32 v17, v17 offset:2860
	s_waitcnt lgkmcnt(0)
	v_fmac_f32_e32 v16, v18, v17
.LBB102_977:
	s_or_b64 exec, exec, s[12:13]
.LBB102_978:
	s_or_b64 exec, exec, s[0:1]
	s_and_saveexec_b64 s[0:1], s[38:39]
	s_cbranch_execz .LBB102_980
; %bb.979:
	v_mov_b32_e32 v17, 0
	ds_read_b32 v17, v17 offset:2340
	s_waitcnt lgkmcnt(0)
	v_mul_f32_e32 v16, v16, v17
	v_xor_b32_e32 v17, 0x80000000, v16
	ds_write_b32 v4, v17
.LBB102_980:
	s_or_b64 exec, exec, s[0:1]
	s_waitcnt lgkmcnt(0)
	s_barrier
	s_and_saveexec_b64 s[0:1], s[36:37]
	s_cbranch_execz .LBB102_982
; %bb.981:
	v_mov_b32_e32 v17, 0
	ds_read_b32 v17, v17 offset:2336
	ds_read_b32 v18, v4
	s_waitcnt lgkmcnt(0)
	v_fma_f32 v16, -v17, v18, v16
.LBB102_982:
	s_or_b64 exec, exec, s[0:1]
	s_barrier
	s_and_saveexec_b64 s[0:1], s[36:37]
	s_cbranch_execz .LBB102_984
; %bb.983:
	v_mov_b32_e32 v17, 0
	ds_read_b32 v17, v17 offset:2080
	s_waitcnt lgkmcnt(0)
	v_mul_f32_e32 v16, v16, v17
	v_xor_b32_e32 v17, 0x80000000, v16
	ds_write_b32 v4, v17
.LBB102_984:
	s_or_b64 exec, exec, s[0:1]
	s_waitcnt lgkmcnt(0)
	s_barrier
	s_barrier
	s_and_saveexec_b64 s[0:1], s[2:3]
; %bb.985:
	v_lshlrev_b32_e32 v17, 2, v1
	v_lshl_or_b32 v17, v3, 8, v17
	ds_write_b32 v17, v16 offset:2592
; %bb.986:
	s_or_b64 exec, exec, s[0:1]
	s_waitcnt lgkmcnt(0)
	s_barrier
	s_barrier
	s_and_saveexec_b64 s[0:1], s[40:41]
	s_cbranch_execz .LBB102_988
; %bb.987:
	v_lshlrev_b32_e32 v16, 2, v0
	s_movk_i32 s10, 0xfc
	v_mad_u32_u24 v17, v0, s10, v16
	ds_read_b32 v18, v17 offset:2592
	s_waitcnt lgkmcnt(0)
	ds_write_b32 v16, v18 offset:2088
	ds_read_b32 v17, v17 offset:2596
	s_waitcnt lgkmcnt(0)
	ds_write_b32 v16, v17 offset:2344
.LBB102_988:
	s_or_b64 exec, exec, s[0:1]
	s_waitcnt lgkmcnt(0)
	s_barrier
	s_and_saveexec_b64 s[0:1], vcc
	s_cbranch_execz .LBB102_990
; %bb.989:
	v_mov_b32_e32 v18, 0
	ds_read_b64 v[16:17], v18 offset:2336
	ds_read_b32 v18, v18 offset:2080
	s_movk_i32 s10, 0x800
	s_waitcnt lgkmcnt(0)
	v_mul_f32_e32 v17, v18, v17
	v_mul_f32_e32 v16, v16, v17
	v_add_u32_e64 v17, s10, 0
	ds_write2_b32 v17, v16, v16 offset0:9 offset1:72
.LBB102_990:
	s_or_b64 exec, exec, s[0:1]
	v_mov_b32_e32 v16, 0
	s_waitcnt lgkmcnt(0)
	s_barrier
	buffer_wbinvl1_vol
	s_and_saveexec_b64 s[0:1], s[8:9]
	s_cbranch_execz .LBB102_1000
; %bb.991:
	v_lshlrev_b32_e32 v18, 2, v13
	v_lshlrev_b32_e32 v17, 8, v14
	ds_read_b32 v16, v18 offset:2048
	ds_read_b32 v19, v17 offset:2080
	v_cmp_gt_u32_e64 s[10:11], 56, v5
	s_waitcnt lgkmcnt(0)
	v_fma_f32 v16, v16, v19, 0
	s_and_saveexec_b64 s[12:13], s[10:11]
	s_cbranch_execnz .LBB102_1248
; %bb.992:
	s_or_b64 exec, exec, s[12:13]
	v_cmp_gt_u32_e64 s[10:11], 48, v5
	s_and_saveexec_b64 s[12:13], s[10:11]
	s_cbranch_execnz .LBB102_1249
.LBB102_993:
	s_or_b64 exec, exec, s[12:13]
	v_cmp_gt_u32_e64 s[10:11], 40, v5
	s_and_saveexec_b64 s[12:13], s[10:11]
	s_cbranch_execnz .LBB102_1250
.LBB102_994:
	s_or_b64 exec, exec, s[12:13]
	v_cmp_gt_u32_e64 s[10:11], 32, v5
	s_and_saveexec_b64 s[12:13], s[10:11]
	s_cbranch_execnz .LBB102_1251
.LBB102_995:
	s_or_b64 exec, exec, s[12:13]
	v_cmp_gt_u32_e64 s[10:11], 24, v5
	s_and_saveexec_b64 s[12:13], s[10:11]
	s_cbranch_execnz .LBB102_1252
.LBB102_996:
	s_or_b64 exec, exec, s[12:13]
	s_and_saveexec_b64 s[10:11], s[18:19]
	s_cbranch_execnz .LBB102_1253
.LBB102_997:
	s_or_b64 exec, exec, s[10:11]
	v_cmp_gt_u32_e64 s[10:11], 8, v5
	s_and_saveexec_b64 s[12:13], s[10:11]
	s_cbranch_execz .LBB102_999
.LBB102_998:
	v_lshlrev_b32_e32 v17, 2, v0
	v_mov_b32_e32 v18, 0
	ds_read_b32 v17, v17 offset:3840
	ds_read_b32 v18, v18 offset:3900
	s_waitcnt lgkmcnt(0)
	v_fmac_f32_e32 v16, v17, v18
.LBB102_999:
	s_or_b64 exec, exec, s[12:13]
.LBB102_1000:
	s_or_b64 exec, exec, s[0:1]
	s_and_saveexec_b64 s[0:1], s[56:57]
	s_cbranch_execz .LBB102_1002
; %bb.1001:
	v_mov_b32_e32 v17, 0
	ds_read_b32 v17, v17 offset:1820
	s_waitcnt lgkmcnt(0)
	v_mul_f32_e32 v16, v16, v17
	v_xor_b32_e32 v17, 0x80000000, v16
	ds_write_b32 v15, v17
.LBB102_1002:
	s_or_b64 exec, exec, s[0:1]
	s_waitcnt lgkmcnt(0)
	s_barrier
	s_and_saveexec_b64 s[0:1], s[58:59]
	v_readlane_b32 s56, v27, 2
	v_readlane_b32 s57, v27, 3
	s_cbranch_execz .LBB102_1004
; %bb.1003:
	v_lshlrev_b32_e32 v17, 2, v13
	ds_read_b32 v17, v17 offset:1792
	ds_read_b32 v18, v15
	s_waitcnt lgkmcnt(0)
	v_fma_f32 v16, -v17, v18, v16
.LBB102_1004:
	s_or_b64 exec, exec, s[0:1]
	s_barrier
	s_and_saveexec_b64 s[0:1], s[60:61]
	s_cbranch_execz .LBB102_1006
; %bb.1005:
	v_mov_b32_e32 v17, 0
	ds_read_b32 v17, v17 offset:1560
	s_waitcnt lgkmcnt(0)
	v_mul_f32_e32 v16, v16, v17
	v_xor_b32_e32 v17, 0x80000000, v16
	ds_write_b32 v15, v17
.LBB102_1006:
	s_or_b64 exec, exec, s[0:1]
	s_waitcnt lgkmcnt(0)
	s_barrier
	s_and_saveexec_b64 s[0:1], s[62:63]
	s_cbranch_execz .LBB102_1008
; %bb.1007:
	v_lshlrev_b32_e32 v17, 2, v13
	ds_read_b32 v17, v17 offset:1536
	ds_read_b32 v18, v15
	s_waitcnt lgkmcnt(0)
	v_fma_f32 v16, -v17, v18, v16
.LBB102_1008:
	s_or_b64 exec, exec, s[0:1]
	s_barrier
	s_and_saveexec_b64 s[0:1], s[64:65]
	s_cbranch_execz .LBB102_1010
; %bb.1009:
	v_mov_b32_e32 v17, 0
	ds_read_b32 v17, v17 offset:1300
	s_waitcnt lgkmcnt(0)
	v_mul_f32_e32 v16, v16, v17
	v_xor_b32_e32 v17, 0x80000000, v16
	ds_write_b32 v15, v17
.LBB102_1010:
	s_or_b64 exec, exec, s[0:1]
	s_waitcnt lgkmcnt(0)
	s_barrier
	s_and_saveexec_b64 s[0:1], s[68:69]
	s_cbranch_execz .LBB102_1012
; %bb.1011:
	v_lshlrev_b32_e32 v17, 2, v13
	ds_read_b32 v17, v17 offset:1280
	ds_read_b32 v18, v15
	s_waitcnt lgkmcnt(0)
	v_fma_f32 v16, -v17, v18, v16
.LBB102_1012:
	s_or_b64 exec, exec, s[0:1]
	s_barrier
	s_and_saveexec_b64 s[0:1], s[70:71]
	s_cbranch_execz .LBB102_1014
; %bb.1013:
	v_mov_b32_e32 v17, 0
	ds_read_b32 v17, v17 offset:1040
	s_waitcnt lgkmcnt(0)
	v_mul_f32_e32 v16, v16, v17
	v_xor_b32_e32 v17, 0x80000000, v16
	ds_write_b32 v15, v17
.LBB102_1014:
	s_or_b64 exec, exec, s[0:1]
	s_waitcnt lgkmcnt(0)
	s_barrier
	s_and_saveexec_b64 s[0:1], s[72:73]
	s_cbranch_execz .LBB102_1016
; %bb.1015:
	v_lshlrev_b32_e32 v17, 2, v13
	ds_read_b32 v17, v17 offset:1024
	ds_read_b32 v18, v15
	s_waitcnt lgkmcnt(0)
	v_fma_f32 v16, -v17, v18, v16
.LBB102_1016:
	s_or_b64 exec, exec, s[0:1]
	s_barrier
	s_and_saveexec_b64 s[0:1], s[74:75]
	s_cbranch_execz .LBB102_1018
; %bb.1017:
	v_mov_b32_e32 v17, 0
	ds_read_b32 v17, v17 offset:780
	s_waitcnt lgkmcnt(0)
	v_mul_f32_e32 v16, v16, v17
	v_xor_b32_e32 v17, 0x80000000, v16
	ds_write_b32 v15, v17
.LBB102_1018:
	s_or_b64 exec, exec, s[0:1]
	s_waitcnt lgkmcnt(0)
	s_barrier
	s_and_saveexec_b64 s[0:1], s[76:77]
	s_cbranch_execz .LBB102_1020
; %bb.1019:
	v_lshlrev_b32_e32 v17, 2, v13
	ds_read_b32 v17, v17 offset:768
	ds_read_b32 v18, v15
	s_waitcnt lgkmcnt(0)
	v_fma_f32 v16, -v17, v18, v16
.LBB102_1020:
	s_or_b64 exec, exec, s[0:1]
	s_barrier
	s_and_saveexec_b64 s[0:1], s[78:79]
	s_cbranch_execz .LBB102_1022
; %bb.1021:
	v_mov_b32_e32 v17, 0
	ds_read_b32 v17, v17 offset:520
	s_waitcnt lgkmcnt(0)
	v_mul_f32_e32 v16, v16, v17
	v_xor_b32_e32 v17, 0x80000000, v16
	ds_write_b32 v15, v17
.LBB102_1022:
	s_or_b64 exec, exec, s[0:1]
	s_waitcnt lgkmcnt(0)
	s_barrier
	s_and_saveexec_b64 s[0:1], s[80:81]
	s_cbranch_execz .LBB102_1024
; %bb.1023:
	v_lshlrev_b32_e32 v17, 2, v13
	ds_read_b32 v17, v17 offset:512
	ds_read_b32 v18, v15
	s_waitcnt lgkmcnt(0)
	v_fma_f32 v16, -v17, v18, v16
.LBB102_1024:
	s_or_b64 exec, exec, s[0:1]
	s_barrier
	s_and_saveexec_b64 s[0:1], s[82:83]
	s_cbranch_execz .LBB102_1026
; %bb.1025:
	v_mov_b32_e32 v17, 0
	ds_read_b32 v17, v17 offset:260
	s_waitcnt lgkmcnt(0)
	v_mul_f32_e32 v16, v16, v17
	v_xor_b32_e32 v17, 0x80000000, v16
	ds_write_b32 v15, v17
.LBB102_1026:
	s_or_b64 exec, exec, s[0:1]
	s_waitcnt lgkmcnt(0)
	s_barrier
	s_and_saveexec_b64 s[0:1], s[66:67]
	s_cbranch_execz .LBB102_1028
; %bb.1027:
	v_mov_b32_e32 v17, 0
	ds_read_b32 v17, v17 offset:256
	ds_read_b32 v18, v15
	s_waitcnt lgkmcnt(0)
	v_fma_f32 v16, -v17, v18, v16
.LBB102_1028:
	s_or_b64 exec, exec, s[0:1]
	s_barrier
	s_and_saveexec_b64 s[0:1], s[66:67]
	s_cbranch_execz .LBB102_1030
; %bb.1029:
	v_mov_b32_e32 v17, 0
	ds_read_b32 v17, v17
	s_waitcnt lgkmcnt(0)
	v_mul_f32_e32 v16, v16, v17
	v_xor_b32_e32 v17, 0x80000000, v16
	ds_write_b32 v15, v17
.LBB102_1030:
	s_or_b64 exec, exec, s[0:1]
	s_waitcnt lgkmcnt(0)
	s_barrier
	s_barrier
	s_and_saveexec_b64 s[0:1], s[8:9]
; %bb.1031:
	v_lshlrev_b32_e32 v13, 2, v13
	v_lshl_or_b32 v13, v14, 8, v13
	ds_write_b32 v13, v16 offset:2048
; %bb.1032:
	s_or_b64 exec, exec, s[0:1]
	s_waitcnt lgkmcnt(0)
	s_barrier
	s_barrier
	s_and_saveexec_b64 s[0:1], s[84:85]
	s_cbranch_execz .LBB102_1034
; %bb.1033:
	v_lshlrev_b32_e32 v13, 8, v0
	ds_read_b32 v14, v13 offset:2048
	s_movk_i32 s8, 0xff04
	v_mad_i32_i24 v15, v0, s8, v13
	s_waitcnt lgkmcnt(0)
	ds_write_b32 v15, v14 offset:32
	ds_read_b32 v14, v13 offset:2052
	s_waitcnt lgkmcnt(0)
	ds_write_b32 v15, v14 offset:288
	ds_read_b32 v14, v13 offset:2056
	;; [unrolled: 3-line block ×7, first 2 shown]
	s_waitcnt lgkmcnt(0)
	ds_write_b32 v15, v13 offset:1824
.LBB102_1034:
	s_or_b64 exec, exec, s[0:1]
	s_waitcnt lgkmcnt(0)
	s_barrier
	s_and_saveexec_b64 s[0:1], vcc
	s_cbranch_execz .LBB102_1036
; %bb.1035:
	v_mov_b32_e32 v15, 0
	ds_read_b64 v[13:14], v15 offset:1816
	ds_read_b32 v15, v15 offset:1560
	s_movk_i32 s8, 0x400
	s_waitcnt lgkmcnt(0)
	v_mul_f32_e32 v14, v15, v14
	v_mul_f32_e32 v13, v13, v14
	v_add_u32_e64 v14, s8, 0
	ds_write2_b32 v14, v13, v13 offset0:135 offset1:198
.LBB102_1036:
	s_or_b64 exec, exec, s[0:1]
	v_mov_b32_e32 v13, 0
	s_waitcnt lgkmcnt(0)
	s_barrier
	buffer_wbinvl1_vol
	s_and_saveexec_b64 s[0:1], s[2:3]
	s_cbranch_execz .LBB102_1040
; %bb.1037:
	v_lshlrev_b32_e32 v13, 8, v3
	v_lshlrev_b32_e32 v14, 2, v1
	ds_read_b32 v15, v14 offset:1552
	ds_read_b32 v13, v13 offset:1560
	v_mov_b32_e32 v14, 0
	v_cmp_gt_u32_e64 s[8:9], 2, v5
	s_waitcnt lgkmcnt(0)
	v_fma_f32 v13, v15, v13, 0
	s_and_saveexec_b64 s[10:11], s[8:9]
	s_cbranch_execz .LBB102_1039
; %bb.1038:
	v_lshlrev_b32_e32 v15, 2, v0
	ds_read_b32 v15, v15 offset:1808
	ds_read_b32 v14, v14 offset:1820
	s_waitcnt lgkmcnt(0)
	v_fmac_f32_e32 v13, v15, v14
.LBB102_1039:
	s_or_b64 exec, exec, s[10:11]
.LBB102_1040:
	s_or_b64 exec, exec, s[0:1]
	s_and_saveexec_b64 s[0:1], s[38:39]
	s_cbranch_execz .LBB102_1042
; %bb.1041:
	v_mov_b32_e32 v14, 0
	ds_read_b32 v14, v14 offset:1300
	s_waitcnt lgkmcnt(0)
	v_mul_f32_e32 v13, v13, v14
	v_xor_b32_e32 v14, 0x80000000, v13
	ds_write_b32 v4, v14
.LBB102_1042:
	s_or_b64 exec, exec, s[0:1]
	s_waitcnt lgkmcnt(0)
	s_barrier
	s_and_saveexec_b64 s[0:1], s[36:37]
	s_cbranch_execz .LBB102_1044
; %bb.1043:
	v_mov_b32_e32 v14, 0
	ds_read_b32 v14, v14 offset:1296
	ds_read_b32 v15, v4
	s_waitcnt lgkmcnt(0)
	v_fma_f32 v13, -v14, v15, v13
.LBB102_1044:
	s_or_b64 exec, exec, s[0:1]
	s_barrier
	s_and_saveexec_b64 s[0:1], s[36:37]
	s_cbranch_execz .LBB102_1046
; %bb.1045:
	v_mov_b32_e32 v14, 0
	ds_read_b32 v14, v14 offset:1040
	s_waitcnt lgkmcnt(0)
	v_mul_f32_e32 v13, v13, v14
	v_xor_b32_e32 v14, 0x80000000, v13
	ds_write_b32 v4, v14
.LBB102_1046:
	s_or_b64 exec, exec, s[0:1]
	s_waitcnt lgkmcnt(0)
	s_barrier
	s_barrier
	s_and_saveexec_b64 s[0:1], s[2:3]
; %bb.1047:
	v_lshlrev_b32_e32 v14, 2, v1
	v_lshl_or_b32 v14, v3, 8, v14
	ds_write_b32 v14, v13 offset:1552
; %bb.1048:
	s_or_b64 exec, exec, s[0:1]
	s_waitcnt lgkmcnt(0)
	s_barrier
	s_barrier
	s_and_saveexec_b64 s[0:1], s[40:41]
	s_cbranch_execz .LBB102_1050
; %bb.1049:
	v_lshlrev_b32_e32 v13, 2, v0
	s_movk_i32 s8, 0xfc
	v_mad_u32_u24 v14, v0, s8, v13
	ds_read_b32 v15, v14 offset:1552
	s_waitcnt lgkmcnt(0)
	ds_write_b32 v13, v15 offset:1048
	ds_read_b32 v14, v14 offset:1556
	s_waitcnt lgkmcnt(0)
	ds_write_b32 v13, v14 offset:1304
.LBB102_1050:
	s_or_b64 exec, exec, s[0:1]
	s_waitcnt lgkmcnt(0)
	s_barrier
	s_and_saveexec_b64 s[0:1], vcc
	s_cbranch_execz .LBB102_1052
; %bb.1051:
	v_mov_b32_e32 v15, 0
	ds_read_b64 v[13:14], v15 offset:1296
	ds_read_b32 v15, v15 offset:1040
	s_movk_i32 s8, 0x400
	s_waitcnt lgkmcnt(0)
	v_mul_f32_e32 v14, v15, v14
	v_mul_f32_e32 v13, v13, v14
	v_add_u32_e64 v14, s8, 0
	ds_write2_b32 v14, v13, v13 offset0:5 offset1:68
.LBB102_1052:
	s_or_b64 exec, exec, s[0:1]
	v_mov_b32_e32 v13, 0
	s_waitcnt lgkmcnt(0)
	s_barrier
	buffer_wbinvl1_vol
	s_and_saveexec_b64 s[0:1], s[18:19]
	s_cbranch_execz .LBB102_1058
; %bb.1053:
	v_lshlrev_b32_e32 v15, 2, v6
	v_lshlrev_b32_e32 v14, 8, v11
	ds_read_b32 v13, v15 offset:1024
	ds_read_b32 v16, v14 offset:1040
	v_cmp_gt_u32_e64 s[8:9], 12, v5
	s_waitcnt lgkmcnt(0)
	v_fma_f32 v13, v13, v16, 0
	s_and_saveexec_b64 s[10:11], s[8:9]
	s_cbranch_execnz .LBB102_1254
; %bb.1054:
	s_or_b64 exec, exec, s[10:11]
	v_cmp_gt_u32_e64 s[8:9], 8, v5
	s_and_saveexec_b64 s[10:11], s[8:9]
	s_cbranch_execnz .LBB102_1255
.LBB102_1055:
	s_or_b64 exec, exec, s[10:11]
	v_cmp_gt_u32_e64 s[8:9], 4, v5
	s_and_saveexec_b64 s[10:11], s[8:9]
	s_cbranch_execz .LBB102_1057
.LBB102_1056:
	v_lshlrev_b32_e32 v14, 2, v0
	v_mov_b32_e32 v15, 0
	ds_read_b32 v14, v14 offset:1792
	ds_read_b32 v15, v15 offset:1820
	s_waitcnt lgkmcnt(0)
	v_fmac_f32_e32 v13, v14, v15
.LBB102_1057:
	s_or_b64 exec, exec, s[10:11]
.LBB102_1058:
	s_or_b64 exec, exec, s[0:1]
	s_and_saveexec_b64 s[0:1], s[44:45]
	s_cbranch_execz .LBB102_1060
; %bb.1059:
	v_mov_b32_e32 v14, 0
	ds_read_b32 v14, v14 offset:780
	s_waitcnt lgkmcnt(0)
	v_mul_f32_e32 v13, v13, v14
	v_xor_b32_e32 v14, 0x80000000, v13
	ds_write_b32 v12, v14
.LBB102_1060:
	s_or_b64 exec, exec, s[0:1]
	s_waitcnt lgkmcnt(0)
	s_barrier
	s_and_saveexec_b64 s[0:1], s[46:47]
	v_readlane_b32 s44, v27, 1
	v_readlane_b32 s45, v27, 0
	s_cbranch_execz .LBB102_1062
; %bb.1061:
	v_lshlrev_b32_e32 v14, 2, v6
	ds_read_b32 v14, v14 offset:768
	ds_read_b32 v15, v12
	s_waitcnt lgkmcnt(0)
	v_fma_f32 v13, -v14, v15, v13
.LBB102_1062:
	s_or_b64 exec, exec, s[0:1]
	s_barrier
	s_and_saveexec_b64 s[0:1], s[48:49]
	s_cbranch_execz .LBB102_1064
; %bb.1063:
	v_mov_b32_e32 v14, 0
	ds_read_b32 v14, v14 offset:520
	s_waitcnt lgkmcnt(0)
	v_mul_f32_e32 v13, v13, v14
	v_xor_b32_e32 v14, 0x80000000, v13
	ds_write_b32 v12, v14
.LBB102_1064:
	s_or_b64 exec, exec, s[0:1]
	s_waitcnt lgkmcnt(0)
	s_barrier
	s_and_saveexec_b64 s[0:1], s[50:51]
	s_cbranch_execz .LBB102_1066
; %bb.1065:
	v_lshlrev_b32_e32 v14, 2, v6
	ds_read_b32 v14, v14 offset:512
	ds_read_b32 v15, v12
	s_waitcnt lgkmcnt(0)
	v_fma_f32 v13, -v14, v15, v13
.LBB102_1066:
	s_or_b64 exec, exec, s[0:1]
	s_barrier
	s_and_saveexec_b64 s[0:1], s[52:53]
	s_cbranch_execz .LBB102_1068
; %bb.1067:
	v_mov_b32_e32 v14, 0
	ds_read_b32 v14, v14 offset:260
	s_waitcnt lgkmcnt(0)
	v_mul_f32_e32 v13, v13, v14
	v_xor_b32_e32 v14, 0x80000000, v13
	ds_write_b32 v12, v14
.LBB102_1068:
	s_or_b64 exec, exec, s[0:1]
	s_waitcnt lgkmcnt(0)
	s_barrier
	s_and_saveexec_b64 s[0:1], s[42:43]
	s_cbranch_execz .LBB102_1070
; %bb.1069:
	v_mov_b32_e32 v14, 0
	ds_read_b32 v14, v14 offset:256
	ds_read_b32 v15, v12
	s_waitcnt lgkmcnt(0)
	v_fma_f32 v13, -v14, v15, v13
.LBB102_1070:
	s_or_b64 exec, exec, s[0:1]
	s_barrier
	s_and_saveexec_b64 s[0:1], s[42:43]
	s_cbranch_execz .LBB102_1072
; %bb.1071:
	v_mov_b32_e32 v14, 0
	ds_read_b32 v14, v14
	s_waitcnt lgkmcnt(0)
	v_mul_f32_e32 v13, v13, v14
	v_xor_b32_e32 v14, 0x80000000, v13
	ds_write_b32 v12, v14
.LBB102_1072:
	s_or_b64 exec, exec, s[0:1]
	s_waitcnt lgkmcnt(0)
	s_barrier
	s_barrier
	s_and_saveexec_b64 s[0:1], s[18:19]
; %bb.1073:
	v_lshlrev_b32_e32 v6, 2, v6
	v_lshl_or_b32 v6, v11, 8, v6
	ds_write_b32 v6, v13 offset:1024
; %bb.1074:
	s_or_b64 exec, exec, s[0:1]
	s_waitcnt lgkmcnt(0)
	s_barrier
	s_barrier
	s_and_saveexec_b64 s[0:1], s[54:55]
	s_cbranch_execz .LBB102_1076
; %bb.1075:
	v_lshlrev_b32_e32 v6, 8, v0
	ds_read_b32 v11, v6 offset:1024
	s_movk_i32 s8, 0xff04
	v_mad_i32_i24 v12, v0, s8, v6
	s_waitcnt lgkmcnt(0)
	ds_write_b32 v12, v11 offset:16
	ds_read_b32 v11, v6 offset:1028
	s_waitcnt lgkmcnt(0)
	ds_write_b32 v12, v11 offset:272
	ds_read_b32 v11, v6 offset:1032
	;; [unrolled: 3-line block ×3, first 2 shown]
	s_waitcnt lgkmcnt(0)
	ds_write_b32 v12, v6 offset:784
.LBB102_1076:
	s_or_b64 exec, exec, s[0:1]
	s_waitcnt lgkmcnt(0)
	s_barrier
	s_and_saveexec_b64 s[0:1], vcc
	s_cbranch_execz .LBB102_1078
; %bb.1077:
	v_mov_b32_e32 v6, 0
	ds_read_b64 v[11:12], v6 offset:776
	ds_read_b32 v13, v6 offset:520
	s_waitcnt lgkmcnt(0)
	v_mul_f32_e32 v12, v13, v12
	v_mul_f32_e32 v11, v11, v12
	ds_write2_b32 v6, v11, v11 offset0:131 offset1:194
.LBB102_1078:
	s_or_b64 exec, exec, s[0:1]
	v_mov_b32_e32 v6, 0
	s_waitcnt lgkmcnt(0)
	s_barrier
	buffer_wbinvl1_vol
	s_and_saveexec_b64 s[0:1], s[2:3]
	s_cbranch_execz .LBB102_1082
; %bb.1079:
	v_lshlrev_b32_e32 v6, 8, v3
	v_lshlrev_b32_e32 v11, 2, v1
	ds_read_b32 v12, v11 offset:512
	ds_read_b32 v6, v6 offset:520
	v_mov_b32_e32 v11, 0
	v_cmp_gt_u32_e64 s[8:9], 2, v5
	s_waitcnt lgkmcnt(0)
	v_fma_f32 v6, v12, v6, 0
	s_and_saveexec_b64 s[10:11], s[8:9]
	s_cbranch_execz .LBB102_1081
; %bb.1080:
	v_lshlrev_b32_e32 v5, 2, v0
	ds_read_b32 v5, v5 offset:768
	ds_read_b32 v11, v11 offset:780
	s_waitcnt lgkmcnt(0)
	v_fmac_f32_e32 v6, v5, v11
.LBB102_1081:
	s_or_b64 exec, exec, s[10:11]
.LBB102_1082:
	s_or_b64 exec, exec, s[0:1]
	s_and_saveexec_b64 s[0:1], s[38:39]
	s_cbranch_execz .LBB102_1084
; %bb.1083:
	v_mov_b32_e32 v5, 0
	ds_read_b32 v5, v5 offset:260
	s_waitcnt lgkmcnt(0)
	v_mul_f32_e32 v6, v6, v5
	v_xor_b32_e32 v5, 0x80000000, v6
	ds_write_b32 v4, v5
.LBB102_1084:
	s_or_b64 exec, exec, s[0:1]
	s_waitcnt lgkmcnt(0)
	s_barrier
	s_and_saveexec_b64 s[0:1], s[36:37]
	s_cbranch_execz .LBB102_1086
; %bb.1085:
	v_mov_b32_e32 v5, 0
	ds_read_b32 v5, v5 offset:256
	ds_read_b32 v11, v4
	s_waitcnt lgkmcnt(0)
	v_fma_f32 v6, -v5, v11, v6
.LBB102_1086:
	s_or_b64 exec, exec, s[0:1]
	s_barrier
	s_and_saveexec_b64 s[0:1], s[36:37]
	s_cbranch_execz .LBB102_1088
; %bb.1087:
	v_mov_b32_e32 v5, 0
	ds_read_b32 v5, v5
	s_waitcnt lgkmcnt(0)
	v_mul_f32_e32 v6, v6, v5
	v_xor_b32_e32 v5, 0x80000000, v6
	ds_write_b32 v4, v5
.LBB102_1088:
	s_or_b64 exec, exec, s[0:1]
	s_waitcnt lgkmcnt(0)
	s_barrier
	s_barrier
	s_and_saveexec_b64 s[0:1], s[2:3]
; %bb.1089:
	v_lshlrev_b32_e32 v1, 2, v1
	v_lshl_or_b32 v1, v3, 8, v1
	ds_write_b32 v1, v6 offset:512
; %bb.1090:
	s_or_b64 exec, exec, s[0:1]
	s_waitcnt lgkmcnt(0)
	s_barrier
	s_barrier
	s_and_saveexec_b64 s[0:1], s[40:41]
	s_cbranch_execz .LBB102_1092
; %bb.1091:
	v_lshlrev_b32_e32 v1, 2, v0
	s_movk_i32 s2, 0xfc
	v_mad_u32_u24 v3, v0, s2, v1
	ds_read_b32 v4, v3 offset:512
	s_waitcnt lgkmcnt(0)
	ds_write_b32 v1, v4 offset:8
	ds_read_b32 v3, v3 offset:516
	s_waitcnt lgkmcnt(0)
	ds_write_b32 v1, v3 offset:264
.LBB102_1092:
	s_or_b64 exec, exec, s[0:1]
	s_waitcnt lgkmcnt(0)
	s_barrier
	s_and_saveexec_b64 s[0:1], vcc
	s_cbranch_execz .LBB102_1094
; %bb.1093:
	v_mov_b32_e32 v1, 0
	ds_read_b64 v[3:4], v1 offset:256
	ds_read_b32 v5, v1
	s_waitcnt lgkmcnt(0)
	v_mul_f32_e32 v4, v5, v4
	v_mul_f32_e32 v3, v3, v4
	ds_write2_b32 v1, v3, v3 offset0:1 offset1:64
.LBB102_1094:
	s_or_b64 exec, exec, s[0:1]
.LBB102_1095:
	s_lshl_b64 s[0:1], s[24:25], 2
	s_add_u32 s20, s34, s0
	v_cmp_le_i32_e32 vcc, s86, v0
	s_addc_u32 s21, s35, s1
	s_and_b64 s[14:15], vcc, s[22:23]
	v_cmp_eq_u32_e64 s[2:3], 0, v2
	s_xor_b64 s[0:1], s[14:15], -1
	s_and_b64 s[8:9], s[2:3], s[0:1]
	v_mov_b32_e32 v12, 0
	v_add_u32_e32 v3, s33, v0
	s_waitcnt lgkmcnt(0)
	s_barrier
	s_and_saveexec_b64 s[0:1], s[8:9]
	s_cbranch_execz .LBB102_1097
; %bb.1096:
	v_ashrrev_i32_e32 v1, 31, v3
	v_mul_lo_u32 v6, s27, v3
	v_mad_u64_u32 v[4:5], s[8:9], s26, v3, 0
	v_mul_lo_u32 v1, s26, v1
	v_add3_u32 v5, v5, v1, v6
	v_lshlrev_b64 v[4:5], 2, v[4:5]
	v_mov_b32_e32 v1, s21
	v_add_co_u32_e32 v4, vcc, s20, v4
	v_addc_co_u32_e32 v5, vcc, v1, v5, vcc
	flat_load_dword v1, v[4:5]
	s_waitcnt vmcnt(0) lgkmcnt(0)
	v_mul_f32_e64 v12, v1, -s45
.LBB102_1097:
	s_or_b64 exec, exec, s[0:1]
	s_load_dwordx2 s[0:1], s[4:5], 0x50
	s_and_b32 s4, 0xffff, s89
	v_mad_u32_u24 v11, v2, s4, v0
	s_cmp_lt_i32 s6, 1
	v_cmp_eq_u32_e64 s[4:5], 0, v11
	s_cbranch_scc1 .LBB102_1123
; %bb.1098:
	v_mad_u64_u32 v[4:5], s[8:9], s30, v3, 0
	s_mov_b32 s24, 0
	v_cmp_gt_u32_e64 s[12:13], 64, v11
	v_mov_b32_e32 v1, v5
	v_mad_u64_u32 v[5:6], s[8:9], s31, v3, v[1:2]
	s_lshl_b64 s[8:9], s[28:29], 2
	s_waitcnt lgkmcnt(0)
	s_add_u32 s16, s0, s8
	s_addc_u32 s17, s1, s9
	v_cmp_gt_i32_e64 s[8:9], s7, v3
	v_lshlrev_b64 v[3:4], 2, v[4:5]
	v_mov_b32_e32 v6, 0x5000
	v_mov_b32_e32 v5, s88
	v_add_co_u32_e32 v14, vcc, s87, v3
	v_lshl_add_u32 v1, v11, 2, v6
	v_lshl_or_b32 v13, v2, 2, v6
	s_add_i32 s25, s6, -1
	v_addc_co_u32_e32 v15, vcc, v5, v4, vcc
	v_mov_b32_e32 v16, -1
	v_mov_b32_e32 v4, 0
	s_branch .LBB102_1101
.LBB102_1099:                           ;   in Loop: Header=BB102_1101 Depth=1
	ds_read_b32 v5, v13 offset:192
	s_waitcnt vmcnt(0) lgkmcnt(0)
	v_fmac_f32_e32 v12, v3, v5
.LBB102_1100:                           ;   in Loop: Header=BB102_1101 Depth=1
	s_or_b64 exec, exec, s[18:19]
	s_add_i32 s24, s24, 1
	s_cmp_eq_u32 s24, s6
	s_cbranch_scc1 .LBB102_1123
.LBB102_1101:                           ; =>This Loop Header: Depth=1
                                        ;     Child Loop BB102_1103 Depth 2
	v_cmp_gt_i32_e32 vcc, s24, v16
	s_and_b64 s[18:19], s[4:5], vcc
	s_and_saveexec_b64 s[10:11], s[18:19]
	s_cbranch_execz .LBB102_1104
; %bb.1102:                             ;   in Loop: Header=BB102_1101 Depth=1
	global_load_dword v16, v4, s[16:17]
	s_waitcnt vmcnt(0)
	v_cmp_le_i32_e32 vcc, s24, v16
	s_cbranch_vccnz .LBB102_1104
.LBB102_1103:                           ;   Parent Loop BB102_1101 Depth=1
                                        ; =>  This Inner Loop Header: Depth=2
	buffer_wbinvl1_vol
	global_load_dword v16, v4, s[16:17]
	s_waitcnt vmcnt(0)
	v_cmp_gt_i32_e32 vcc, s24, v16
	s_cbranch_vccnz .LBB102_1103
.LBB102_1104:                           ;   in Loop: Header=BB102_1101 Depth=1
	s_or_b64 exec, exec, s[10:11]
	s_lshl_b32 s30, s24, 6
	buffer_wbinvl1_vol
	s_barrier
	s_and_saveexec_b64 s[10:11], s[12:13]
	s_cbranch_execz .LBB102_1108
; %bb.1105:                             ;   in Loop: Header=BB102_1101 Depth=1
	v_or_b32_e32 v5, s30, v11
	v_cmp_gt_i32_e32 vcc, s7, v5
	v_mov_b32_e32 v3, 0
	s_and_saveexec_b64 s[18:19], vcc
	s_cbranch_execz .LBB102_1107
; %bb.1106:                             ;   in Loop: Header=BB102_1101 Depth=1
	v_mad_u64_u32 v[17:18], s[34:35], s26, v5, 0
	v_mov_b32_e32 v3, v18
	v_mad_u64_u32 v[5:6], s[34:35], s27, v5, v[3:4]
	v_mov_b32_e32 v3, s21
	v_mov_b32_e32 v18, v5
	v_lshlrev_b64 v[5:6], 2, v[17:18]
	v_add_co_u32_e32 v5, vcc, s20, v5
	v_addc_co_u32_e32 v6, vcc, v3, v6, vcc
	flat_load_dword v3, v[5:6]
.LBB102_1107:                           ;   in Loop: Header=BB102_1101 Depth=1
	s_or_b64 exec, exec, s[18:19]
	s_waitcnt vmcnt(0) lgkmcnt(0)
	ds_write_b32 v1, v3
.LBB102_1108:                           ;   in Loop: Header=BB102_1101 Depth=1
	s_or_b64 exec, exec, s[10:11]
	v_add_u32_e32 v3, s30, v2
	v_lshlrev_b64 v[5:6], 2, v[3:4]
	s_cmp_lg_u32 s24, s25
	v_add_co_u32_e32 v5, vcc, v14, v5
	s_cselect_b64 s[10:11], -1, 0
	v_addc_co_u32_e32 v6, vcc, v15, v6, vcc
	v_cmp_gt_i32_e32 vcc, s7, v3
	v_cndmask_b32_e64 v17, 0, 1, s[10:11]
	s_and_b64 s[30:31], vcc, s[8:9]
	v_cmp_ne_u32_e64 s[10:11], 1, v17
	s_waitcnt lgkmcnt(0)
	s_barrier
	s_and_saveexec_b64 s[18:19], s[30:31]
	s_cbranch_execz .LBB102_1112
; %bb.1109:                             ;   in Loop: Header=BB102_1101 Depth=1
	s_and_b64 vcc, exec, s[10:11]
	v_mov_b32_e32 v17, v8
	s_cbranch_vccnz .LBB102_1111
; %bb.1110:                             ;   in Loop: Header=BB102_1101 Depth=1
	flat_load_dword v17, v[5:6]
.LBB102_1111:                           ;   in Loop: Header=BB102_1101 Depth=1
	ds_read_b32 v18, v13
	s_waitcnt vmcnt(0) lgkmcnt(0)
	v_fmac_f32_e32 v12, v17, v18
.LBB102_1112:                           ;   in Loop: Header=BB102_1101 Depth=1
	s_or_b64 exec, exec, s[18:19]
	v_add_u32_e32 v17, 16, v3
	v_cmp_gt_i32_e32 vcc, s7, v17
	s_and_b64 s[30:31], vcc, s[8:9]
	s_and_saveexec_b64 s[18:19], s[30:31]
	s_cbranch_execz .LBB102_1116
; %bb.1113:                             ;   in Loop: Header=BB102_1101 Depth=1
	s_and_b64 vcc, exec, s[10:11]
	v_mov_b32_e32 v17, v7
	s_cbranch_vccnz .LBB102_1115
; %bb.1114:                             ;   in Loop: Header=BB102_1101 Depth=1
	flat_load_dword v17, v[5:6] offset:64
.LBB102_1115:                           ;   in Loop: Header=BB102_1101 Depth=1
	ds_read_b32 v18, v13 offset:64
	s_waitcnt vmcnt(0) lgkmcnt(0)
	v_fmac_f32_e32 v12, v17, v18
.LBB102_1116:                           ;   in Loop: Header=BB102_1101 Depth=1
	s_or_b64 exec, exec, s[18:19]
	v_add_u32_e32 v17, 32, v3
	v_cmp_gt_i32_e32 vcc, s7, v17
	s_and_b64 s[30:31], vcc, s[8:9]
	s_and_saveexec_b64 s[18:19], s[30:31]
	s_cbranch_execz .LBB102_1120
; %bb.1117:                             ;   in Loop: Header=BB102_1101 Depth=1
	s_and_b64 vcc, exec, s[10:11]
	v_mov_b32_e32 v17, v10
	s_cbranch_vccnz .LBB102_1119
; %bb.1118:                             ;   in Loop: Header=BB102_1101 Depth=1
	flat_load_dword v17, v[5:6] offset:128
.LBB102_1119:                           ;   in Loop: Header=BB102_1101 Depth=1
	ds_read_b32 v18, v13 offset:128
	s_waitcnt vmcnt(0) lgkmcnt(0)
	v_fmac_f32_e32 v12, v17, v18
.LBB102_1120:                           ;   in Loop: Header=BB102_1101 Depth=1
	s_or_b64 exec, exec, s[18:19]
	v_add_u32_e32 v3, 48, v3
	v_cmp_gt_i32_e32 vcc, s7, v3
	s_and_b64 s[30:31], vcc, s[8:9]
	s_and_saveexec_b64 s[18:19], s[30:31]
	s_cbranch_execz .LBB102_1100
; %bb.1121:                             ;   in Loop: Header=BB102_1101 Depth=1
	s_and_b64 vcc, exec, s[10:11]
	v_mov_b32_e32 v3, v9
	s_cbranch_vccnz .LBB102_1099
; %bb.1122:                             ;   in Loop: Header=BB102_1101 Depth=1
	flat_load_dword v3, v[5:6] offset:192
	s_branch .LBB102_1099
.LBB102_1123:
	v_lshl_add_u32 v1, v2, 6, v0
	s_xor_b64 s[4:5], s[22:23], -1
	v_lshlrev_b32_e32 v1, 2, v1
	ds_write_b32 v1, v12 offset:16384
	s_waitcnt lgkmcnt(0)
	s_barrier
	s_and_saveexec_b64 s[6:7], s[2:3]
	s_cbranch_execz .LBB102_1125
; %bb.1124:
	v_lshlrev_b32_e32 v15, 2, v0
	ds_read2st64_b32 v[3:4], v15 offset0:65 offset1:66
	ds_read2st64_b32 v[5:6], v15 offset0:67 offset1:68
	;; [unrolled: 1-line block ×5, first 2 shown]
	s_waitcnt lgkmcnt(4)
	v_add_f32_e32 v3, v12, v3
	v_add_f32_e32 v3, v3, v4
	s_waitcnt lgkmcnt(3)
	v_add_f32_e32 v3, v3, v5
	v_add_f32_e32 v3, v3, v6
	;; [unrolled: 3-line block ×4, first 2 shown]
	ds_read2st64_b32 v[3:4], v15 offset0:75 offset1:76
	ds_read2st64_b32 v[5:6], v15 offset0:77 offset1:78
	ds_read_b32 v8, v15 offset:20224
	s_waitcnt lgkmcnt(3)
	v_add_f32_e32 v7, v7, v13
	v_add_f32_e32 v7, v7, v14
	s_waitcnt lgkmcnt(2)
	v_add_f32_e32 v3, v7, v3
	v_add_f32_e32 v3, v3, v4
	;; [unrolled: 3-line block ×3, first 2 shown]
	s_waitcnt lgkmcnt(0)
	v_add_f32_e32 v3, v3, v8
	v_cndmask_b32_e64 v12, -v3, 0, s[14:15]
.LBB102_1125:
	s_or_b64 exec, exec, s[6:7]
	s_and_b64 vcc, exec, s[56:57]
	s_cbranch_vccnz .LBB102_1138
; %bb.1126:
	v_mov_b32_e32 v3, 0x5000
	v_lshl_or_b32 v4, v2, 2, v3
	s_and_saveexec_b64 s[6:7], s[2:3]
; %bb.1127:
	v_lshl_add_u32 v3, v0, 2, v4
	ds_write_b32 v3, v12
; %bb.1128:
	s_or_b64 exec, exec, s[6:7]
	v_cmp_le_u32_e32 vcc, v2, v0
	v_mov_b32_e32 v3, 0
	s_waitcnt lgkmcnt(0)
	s_barrier
	s_and_saveexec_b64 s[6:7], vcc
	s_cbranch_execz .LBB102_1130
; %bb.1129:
	ds_read_b32 v3, v1
	ds_read_b32 v5, v4
	s_waitcnt lgkmcnt(0)
	v_fma_f32 v3, v3, v5, 0
.LBB102_1130:
	s_or_b64 exec, exec, s[6:7]
	v_add_u32_e32 v5, 16, v2
	v_cmp_ge_u32_e32 vcc, v0, v5
	s_and_saveexec_b64 s[6:7], vcc
	s_cbranch_execz .LBB102_1132
; %bb.1131:
	ds_read_b32 v5, v1 offset:4096
	ds_read_b32 v6, v4 offset:64
	s_waitcnt lgkmcnt(0)
	v_fmac_f32_e32 v3, v5, v6
.LBB102_1132:
	s_or_b64 exec, exec, s[6:7]
	v_add_u32_e32 v5, 32, v2
	v_cmp_ge_u32_e32 vcc, v0, v5
	s_and_saveexec_b64 s[6:7], vcc
	s_cbranch_execz .LBB102_1134
; %bb.1133:
	ds_read_b32 v5, v1 offset:8192
	ds_read_b32 v6, v4 offset:128
	s_waitcnt lgkmcnt(0)
	v_fmac_f32_e32 v3, v5, v6
.LBB102_1134:
	s_or_b64 exec, exec, s[6:7]
	v_add_u32_e32 v2, 48, v2
	v_add_u32_e32 v5, 0x4000, v1
	v_cmp_ge_u32_e32 vcc, v0, v2
	s_and_saveexec_b64 s[6:7], vcc
	s_cbranch_execz .LBB102_1136
; %bb.1135:
	ds_read_b32 v1, v1 offset:12288
	ds_read_b32 v2, v4 offset:192
	s_waitcnt lgkmcnt(0)
	v_fmac_f32_e32 v3, v1, v2
.LBB102_1136:
	s_or_b64 exec, exec, s[6:7]
	s_mov_b64 s[8:9], 0
	s_mov_b64 s[6:7], 0
	ds_write_b32 v5, v3
	s_waitcnt lgkmcnt(0)
	s_barrier
                                        ; implicit-def: $vgpr4
                                        ; implicit-def: $vgpr1_vgpr2
	s_and_saveexec_b64 s[10:11], s[2:3]
	s_cbranch_execz .LBB102_1195
; %bb.1137:
	v_lshlrev_b32_e32 v10, 2, v0
	ds_read2st64_b32 v[1:2], v10 offset0:65 offset1:66
	ds_read2st64_b32 v[4:5], v10 offset0:67 offset1:68
	;; [unrolled: 1-line block ×4, first 2 shown]
	s_mov_b64 s[6:7], exec
	s_waitcnt lgkmcnt(3)
	v_add_f32_e32 v1, v3, v1
	v_add_f32_e32 v1, v2, v1
	s_waitcnt lgkmcnt(2)
	v_add_f32_e32 v1, v4, v1
	v_add_f32_e32 v1, v5, v1
	ds_read2st64_b32 v[2:3], v10 offset0:73 offset1:74
	s_waitcnt lgkmcnt(2)
	v_add_f32_e32 v1, v6, v1
	v_add_f32_e32 v1, v7, v1
	s_waitcnt lgkmcnt(1)
	v_add_f32_e32 v1, v8, v1
	v_add_f32_e32 v1, v9, v1
	ds_read2st64_b32 v[4:5], v10 offset0:75 offset1:76
	ds_read2st64_b32 v[6:7], v10 offset0:77 offset1:78
	ds_read_b32 v8, v10 offset:20224
	v_add_u32_e32 v10, s33, v11
	s_waitcnt lgkmcnt(3)
	v_add_f32_e32 v9, v2, v1
	v_mad_u64_u32 v[1:2], s[12:13], s26, v10, 0
	v_add_f32_e32 v3, v3, v9
	s_waitcnt lgkmcnt(2)
	v_add_f32_e32 v3, v4, v3
	v_add_f32_e32 v4, v5, v3
	v_mad_u64_u32 v[2:3], s[12:13], s27, v10, v[2:3]
	s_waitcnt lgkmcnt(1)
	v_add_f32_e32 v3, v6, v4
	v_add_f32_e32 v3, v7, v3
	s_waitcnt lgkmcnt(0)
	v_add_f32_e32 v4, v8, v3
	s_or_b64 exec, exec, s[10:11]
	s_and_b64 vcc, exec, s[8:9]
	s_cbranch_vccnz .LBB102_1139
	s_branch .LBB102_1196
.LBB102_1138:
	s_mov_b64 s[6:7], 0
                                        ; implicit-def: $vgpr4
                                        ; implicit-def: $vgpr1_vgpr2
	s_cbranch_execz .LBB102_1196
.LBB102_1139:
	v_mul_u32_u24_e32 v1, 0x104, v0
	v_lshlrev_b32_e32 v2, 8, v0
	v_sub_u32_e32 v2, v1, v2
	s_mov_b32 s10, 0
	v_mov_b32_e32 v3, 0
	v_mov_b32_e32 v4, v0
	s_branch .LBB102_1141
.LBB102_1140:                           ;   in Loop: Header=BB102_1141 Depth=1
	s_or_b64 exec, exec, s[8:9]
	s_add_i32 s10, s10, 4
	v_add_u32_e32 v2, 0x400, v2
	s_cmp_lg_u32 s10, 64
	v_add_u32_e32 v4, -4, v4
	s_barrier
	s_cbranch_scc0 .LBB102_1157
.LBB102_1141:                           ; =>This Inner Loop Header: Depth=1
	v_cmp_eq_u32_e32 vcc, 0, v4
	s_and_b64 s[12:13], s[2:3], vcc
	s_and_saveexec_b64 s[8:9], s[12:13]
	s_cbranch_execz .LBB102_1143
; %bb.1142:                             ;   in Loop: Header=BB102_1141 Depth=1
	ds_read_b32 v5, v1
	s_waitcnt lgkmcnt(0)
	v_mul_f32_e32 v12, v12, v5
	ds_write_b32 v3, v12 offset:20736
.LBB102_1143:                           ;   in Loop: Header=BB102_1141 Depth=1
	s_or_b64 exec, exec, s[8:9]
	v_cmp_lt_u32_e32 vcc, s10, v0
	s_and_b64 s[12:13], s[2:3], vcc
	s_waitcnt lgkmcnt(0)
	s_barrier
	s_and_saveexec_b64 s[8:9], s[12:13]
	s_cbranch_execz .LBB102_1145
; %bb.1144:                             ;   in Loop: Header=BB102_1141 Depth=1
	ds_read_b32 v5, v2
	ds_read_b32 v6, v3 offset:20736
	s_waitcnt lgkmcnt(0)
	v_fmac_f32_e32 v12, v5, v6
.LBB102_1145:                           ;   in Loop: Header=BB102_1141 Depth=1
	s_or_b64 exec, exec, s[8:9]
	s_or_b32 s11, s10, 1
	v_cmp_eq_u32_e32 vcc, s11, v0
	s_and_b64 s[12:13], s[2:3], vcc
	s_barrier
	s_and_saveexec_b64 s[8:9], s[12:13]
	s_cbranch_execz .LBB102_1147
; %bb.1146:                             ;   in Loop: Header=BB102_1141 Depth=1
	ds_read_b32 v5, v1
	s_waitcnt lgkmcnt(0)
	v_mul_f32_e32 v12, v12, v5
	ds_write_b32 v3, v12 offset:20736
.LBB102_1147:                           ;   in Loop: Header=BB102_1141 Depth=1
	s_or_b64 exec, exec, s[8:9]
	v_cmp_lt_u32_e32 vcc, s11, v0
	s_and_b64 s[12:13], s[2:3], vcc
	s_waitcnt lgkmcnt(0)
	s_barrier
	s_and_saveexec_b64 s[8:9], s[12:13]
	s_cbranch_execz .LBB102_1149
; %bb.1148:                             ;   in Loop: Header=BB102_1141 Depth=1
	ds_read_b32 v5, v2 offset:256
	ds_read_b32 v6, v3 offset:20736
	s_waitcnt lgkmcnt(0)
	v_fmac_f32_e32 v12, v5, v6
.LBB102_1149:                           ;   in Loop: Header=BB102_1141 Depth=1
	s_or_b64 exec, exec, s[8:9]
	s_or_b32 s11, s10, 2
	v_cmp_eq_u32_e32 vcc, s11, v0
	s_and_b64 s[12:13], s[2:3], vcc
	s_barrier
	s_and_saveexec_b64 s[8:9], s[12:13]
	s_cbranch_execz .LBB102_1151
; %bb.1150:                             ;   in Loop: Header=BB102_1141 Depth=1
	ds_read_b32 v5, v1
	s_waitcnt lgkmcnt(0)
	v_mul_f32_e32 v12, v12, v5
	ds_write_b32 v3, v12 offset:20736
.LBB102_1151:                           ;   in Loop: Header=BB102_1141 Depth=1
	s_or_b64 exec, exec, s[8:9]
	v_cmp_lt_u32_e32 vcc, s11, v0
	s_and_b64 s[12:13], s[2:3], vcc
	s_waitcnt lgkmcnt(0)
	s_barrier
	s_and_saveexec_b64 s[8:9], s[12:13]
	s_cbranch_execz .LBB102_1153
; %bb.1152:                             ;   in Loop: Header=BB102_1141 Depth=1
	ds_read_b32 v5, v2 offset:512
	ds_read_b32 v6, v3 offset:20736
	s_waitcnt lgkmcnt(0)
	v_fmac_f32_e32 v12, v5, v6
.LBB102_1153:                           ;   in Loop: Header=BB102_1141 Depth=1
	s_or_b64 exec, exec, s[8:9]
	s_or_b32 s11, s10, 3
	v_cmp_eq_u32_e32 vcc, s11, v0
	s_and_b64 s[12:13], s[2:3], vcc
	s_barrier
	s_and_saveexec_b64 s[8:9], s[12:13]
	s_cbranch_execz .LBB102_1155
; %bb.1154:                             ;   in Loop: Header=BB102_1141 Depth=1
	ds_read_b32 v5, v1
	s_waitcnt lgkmcnt(0)
	v_mul_f32_e32 v12, v12, v5
	ds_write_b32 v3, v12 offset:20736
.LBB102_1155:                           ;   in Loop: Header=BB102_1141 Depth=1
	s_or_b64 exec, exec, s[8:9]
	v_cmp_lt_u32_e32 vcc, s11, v0
	s_and_b64 s[12:13], s[2:3], vcc
	s_waitcnt lgkmcnt(0)
	s_barrier
	s_and_saveexec_b64 s[8:9], s[12:13]
	s_cbranch_execz .LBB102_1140
; %bb.1156:                             ;   in Loop: Header=BB102_1141 Depth=1
	ds_read_b32 v5, v2 offset:768
	ds_read_b32 v6, v3 offset:20736
	s_waitcnt lgkmcnt(0)
	v_fmac_f32_e32 v12, v5, v6
	s_branch .LBB102_1140
.LBB102_1157:
	s_and_b64 vcc, exec, s[4:5]
	s_cbranch_vccz .LBB102_1197
; %bb.1158:
	s_and_b64 s[4:5], s[2:3], exec
	s_cbranch_execz .LBB102_1198
	s_branch .LBB102_1199
.LBB102_1159:
	v_cmp_ne_u32_e32 vcc, v0, v2
	s_and_saveexec_b64 s[12:13], vcc
	s_xor_b64 s[12:13], exec, s[12:13]
; %bb.1160:
	v_or_b32_e32 v1, v2, v0
	v_cmp_gt_u32_e32 vcc, 64, v1
	s_and_b64 s[10:11], vcc, exec
                                        ; implicit-def: $vgpr5_vgpr6
; %bb.1161:
	s_or_saveexec_b64 s[12:13], s[12:13]
	v_mov_b32_e32 v1, 0
	s_xor_b64 exec, exec, s[12:13]
	s_cbranch_execz .LBB102_1163
; %bb.1162:
	v_lshlrev_b64 v[5:6], 2, v[5:6]
	v_mov_b32_e32 v1, s88
	v_add_co_u32_e32 v5, vcc, s87, v5
	v_addc_co_u32_e32 v6, vcc, v1, v6, vcc
	flat_load_dword v1, v[5:6]
	s_or_b64 s[10:11], s[10:11], exec
	s_waitcnt vmcnt(0) lgkmcnt(0)
	v_div_scale_f32 v5, s[14:15], v1, v1, 1.0
	v_div_scale_f32 v6, vcc, 1.0, v1, 1.0
	v_rcp_f32_e32 v12, v5
	v_fma_f32 v13, -v5, v12, 1.0
	v_fmac_f32_e32 v12, v13, v12
	v_mul_f32_e32 v13, v6, v12
	v_fma_f32 v14, -v5, v13, v6
	v_fmac_f32_e32 v13, v14, v12
	v_fma_f32 v5, -v5, v13, v6
	v_div_fmas_f32 v5, v5, v12, v13
	v_div_fixup_f32 v1, v5, v1, 1.0
.LBB102_1163:
	s_or_b64 exec, exec, s[12:13]
	s_and_b64 s[10:11], s[10:11], exec
                                        ; implicit-def: $vgpr5_vgpr6
	s_andn2_saveexec_b64 s[8:9], s[8:9]
	s_cbranch_execz .LBB102_14
.LBB102_1164:
	v_lshlrev_b64 v[5:6], 2, v[5:6]
	v_mov_b32_e32 v1, s88
	v_add_co_u32_e32 v5, vcc, s87, v5
	v_addc_co_u32_e32 v6, vcc, v1, v6, vcc
	flat_load_dword v1, v[5:6]
	s_or_b64 s[10:11], s[10:11], exec
	s_waitcnt vmcnt(0) lgkmcnt(0)
	v_xor_b32_e32 v1, 0x80000000, v1
	s_or_b64 exec, exec, s[8:9]
	s_and_saveexec_b64 s[8:9], s[10:11]
	s_cbranch_execnz .LBB102_15
	s_branch .LBB102_16
.LBB102_1165:
	v_cmp_ne_u32_e32 vcc, v0, v1
	s_and_saveexec_b64 s[10:11], vcc
	s_xor_b64 s[10:11], exec, s[10:11]
; %bb.1166:
	v_or_b32_e32 v5, v1, v0
	v_cmp_gt_u32_e32 vcc, 64, v5
	s_and_b64 s[8:9], vcc, exec
                                        ; implicit-def: $vgpr5_vgpr6
; %bb.1167:
	s_or_saveexec_b64 s[10:11], s[10:11]
	v_mov_b32_e32 v12, 0
	s_xor_b64 exec, exec, s[10:11]
	s_cbranch_execz .LBB102_1169
; %bb.1168:
	v_lshlrev_b64 v[5:6], 2, v[5:6]
	v_mov_b32_e32 v12, s88
	v_add_co_u32_e32 v5, vcc, s87, v5
	v_addc_co_u32_e32 v6, vcc, v12, v6, vcc
	flat_load_dword v5, v[5:6]
	s_or_b64 s[8:9], s[8:9], exec
	s_waitcnt vmcnt(0) lgkmcnt(0)
	v_div_scale_f32 v6, s[12:13], v5, v5, 1.0
	v_div_scale_f32 v12, vcc, 1.0, v5, 1.0
	v_rcp_f32_e32 v13, v6
	v_fma_f32 v14, -v6, v13, 1.0
	v_fmac_f32_e32 v13, v14, v13
	v_mul_f32_e32 v14, v12, v13
	v_fma_f32 v15, -v6, v14, v12
	v_fmac_f32_e32 v14, v15, v13
	v_fma_f32 v6, -v6, v14, v12
	v_div_fmas_f32 v6, v6, v13, v14
	v_div_fixup_f32 v12, v6, v5, 1.0
.LBB102_1169:
	s_or_b64 exec, exec, s[10:11]
	s_and_b64 s[8:9], s[8:9], exec
                                        ; implicit-def: $vgpr5_vgpr6
	s_andn2_saveexec_b64 s[2:3], s[2:3]
	s_cbranch_execz .LBB102_18
.LBB102_1170:
	v_lshlrev_b64 v[5:6], 2, v[5:6]
	v_mov_b32_e32 v12, s88
	v_add_co_u32_e32 v5, vcc, s87, v5
	v_addc_co_u32_e32 v6, vcc, v12, v6, vcc
	flat_load_dword v5, v[5:6]
	s_or_b64 s[8:9], s[8:9], exec
	s_waitcnt vmcnt(0) lgkmcnt(0)
	v_xor_b32_e32 v12, 0x80000000, v5
	s_or_b64 exec, exec, s[2:3]
	s_and_saveexec_b64 s[2:3], s[8:9]
	s_cbranch_execnz .LBB102_19
	s_branch .LBB102_20
.LBB102_1171:
	v_cmp_ne_u32_e32 vcc, v0, v1
	s_and_saveexec_b64 s[10:11], vcc
	s_xor_b64 s[10:11], exec, s[10:11]
; %bb.1172:
	v_or_b32_e32 v5, v1, v0
	v_cmp_gt_u32_e32 vcc, 64, v5
	s_and_b64 s[8:9], vcc, exec
                                        ; implicit-def: $vgpr5_vgpr6
; %bb.1173:
	s_or_saveexec_b64 s[10:11], s[10:11]
	v_mov_b32_e32 v12, 0
	s_xor_b64 exec, exec, s[10:11]
	s_cbranch_execz .LBB102_1175
; %bb.1174:
	v_lshlrev_b64 v[5:6], 2, v[5:6]
	v_mov_b32_e32 v12, s88
	v_add_co_u32_e32 v5, vcc, s87, v5
	v_addc_co_u32_e32 v6, vcc, v12, v6, vcc
	flat_load_dword v5, v[5:6]
	s_or_b64 s[8:9], s[8:9], exec
	s_waitcnt vmcnt(0) lgkmcnt(0)
	v_div_scale_f32 v6, s[12:13], v5, v5, 1.0
	v_div_scale_f32 v12, vcc, 1.0, v5, 1.0
	v_rcp_f32_e32 v13, v6
	v_fma_f32 v14, -v6, v13, 1.0
	v_fmac_f32_e32 v13, v14, v13
	v_mul_f32_e32 v14, v12, v13
	v_fma_f32 v15, -v6, v14, v12
	v_fmac_f32_e32 v14, v15, v13
	v_fma_f32 v6, -v6, v14, v12
	v_div_fmas_f32 v6, v6, v13, v14
	v_div_fixup_f32 v12, v6, v5, 1.0
.LBB102_1175:
	s_or_b64 exec, exec, s[10:11]
	s_and_b64 s[8:9], s[8:9], exec
                                        ; implicit-def: $vgpr5_vgpr6
	s_andn2_saveexec_b64 s[2:3], s[2:3]
	s_cbranch_execz .LBB102_22
.LBB102_1176:
	v_lshlrev_b64 v[5:6], 2, v[5:6]
	v_mov_b32_e32 v12, s88
	v_add_co_u32_e32 v5, vcc, s87, v5
	v_addc_co_u32_e32 v6, vcc, v12, v6, vcc
	flat_load_dword v5, v[5:6]
	s_or_b64 s[8:9], s[8:9], exec
	s_waitcnt vmcnt(0) lgkmcnt(0)
	v_xor_b32_e32 v12, 0x80000000, v5
	s_or_b64 exec, exec, s[2:3]
	s_and_saveexec_b64 s[2:3], s[8:9]
	s_cbranch_execnz .LBB102_23
	s_branch .LBB102_24
.LBB102_1177:
	v_cmp_ne_u32_e32 vcc, v0, v2
	s_xor_b64 s[12:13], s[2:3], -1
	s_or_b64 s[14:15], s[12:13], vcc
	s_mov_b64 s[12:13], 0
	s_and_saveexec_b64 s[16:17], s[14:15]
	s_xor_b64 s[14:15], exec, s[16:17]
; %bb.1178:
	v_or_b32_e32 v1, v2, v0
	v_cmp_gt_u32_e32 vcc, 64, v1
	s_and_b64 s[12:13], vcc, exec
                                        ; implicit-def: $vgpr5_vgpr6
; %bb.1179:
	s_or_saveexec_b64 s[14:15], s[14:15]
	v_mov_b32_e32 v1, 0
	s_xor_b64 exec, exec, s[14:15]
	s_cbranch_execz .LBB102_1181
; %bb.1180:
	v_lshlrev_b64 v[5:6], 2, v[5:6]
	v_mov_b32_e32 v1, s88
	v_add_co_u32_e32 v5, vcc, s87, v5
	v_addc_co_u32_e32 v6, vcc, v1, v6, vcc
	flat_load_dword v1, v[5:6]
	s_or_b64 s[12:13], s[12:13], exec
	s_waitcnt vmcnt(0) lgkmcnt(0)
	v_div_scale_f32 v5, s[16:17], v1, v1, 1.0
	v_div_scale_f32 v6, vcc, 1.0, v1, 1.0
	v_rcp_f32_e32 v12, v5
	v_fma_f32 v13, -v5, v12, 1.0
	v_fmac_f32_e32 v12, v13, v12
	v_mul_f32_e32 v13, v6, v12
	v_fma_f32 v14, -v5, v13, v6
	v_fmac_f32_e32 v13, v14, v12
	v_fma_f32 v5, -v5, v13, v6
	v_div_fmas_f32 v5, v5, v12, v13
	v_div_fixup_f32 v1, v5, v1, 1.0
.LBB102_1181:
	s_or_b64 exec, exec, s[14:15]
	s_and_b64 s[12:13], s[12:13], exec
                                        ; implicit-def: $vgpr5_vgpr6
	s_andn2_saveexec_b64 s[8:9], s[8:9]
	s_cbranch_execz .LBB102_36
.LBB102_1182:
	v_lshlrev_b64 v[5:6], 2, v[5:6]
	v_mov_b32_e32 v1, s88
	v_add_co_u32_e32 v5, vcc, s87, v5
	v_addc_co_u32_e32 v6, vcc, v1, v6, vcc
	flat_load_dword v1, v[5:6]
	s_or_b64 s[12:13], s[12:13], exec
	s_waitcnt vmcnt(0) lgkmcnt(0)
	v_xor_b32_e32 v1, 0x80000000, v1
	s_or_b64 exec, exec, s[8:9]
	s_and_saveexec_b64 s[8:9], s[12:13]
	s_cbranch_execnz .LBB102_37
	s_branch .LBB102_38
.LBB102_1183:
	v_cmp_ne_u32_e32 vcc, v0, v1
	s_xor_b64 s[12:13], s[2:3], -1
	s_or_b64 s[14:15], s[12:13], vcc
	s_mov_b64 s[12:13], 0
	s_and_saveexec_b64 s[16:17], s[14:15]
	s_xor_b64 s[14:15], exec, s[16:17]
; %bb.1184:
	v_or_b32_e32 v5, v1, v0
	v_cmp_gt_u32_e32 vcc, 64, v5
	s_and_b64 s[12:13], vcc, exec
                                        ; implicit-def: $vgpr5_vgpr6
; %bb.1185:
	s_or_saveexec_b64 s[14:15], s[14:15]
	v_mov_b32_e32 v12, 0
	s_xor_b64 exec, exec, s[14:15]
	s_cbranch_execz .LBB102_1187
; %bb.1186:
	v_lshlrev_b64 v[5:6], 2, v[5:6]
	v_mov_b32_e32 v12, s88
	v_add_co_u32_e32 v5, vcc, s87, v5
	v_addc_co_u32_e32 v6, vcc, v12, v6, vcc
	flat_load_dword v5, v[5:6]
	s_or_b64 s[12:13], s[12:13], exec
	s_waitcnt vmcnt(0) lgkmcnt(0)
	v_div_scale_f32 v6, s[16:17], v5, v5, 1.0
	v_div_scale_f32 v12, vcc, 1.0, v5, 1.0
	v_rcp_f32_e32 v13, v6
	v_fma_f32 v14, -v6, v13, 1.0
	v_fmac_f32_e32 v13, v14, v13
	v_mul_f32_e32 v14, v12, v13
	v_fma_f32 v15, -v6, v14, v12
	v_fmac_f32_e32 v14, v15, v13
	v_fma_f32 v6, -v6, v14, v12
	v_div_fmas_f32 v6, v6, v13, v14
	v_div_fixup_f32 v12, v6, v5, 1.0
.LBB102_1187:
	s_or_b64 exec, exec, s[14:15]
	s_and_b64 s[12:13], s[12:13], exec
                                        ; implicit-def: $vgpr5_vgpr6
	s_andn2_saveexec_b64 s[8:9], s[8:9]
	s_cbranch_execz .LBB102_40
.LBB102_1188:
	v_lshlrev_b64 v[5:6], 2, v[5:6]
	v_mov_b32_e32 v12, s88
	v_add_co_u32_e32 v5, vcc, s87, v5
	v_addc_co_u32_e32 v6, vcc, v12, v6, vcc
	flat_load_dword v5, v[5:6]
	s_or_b64 s[12:13], s[12:13], exec
	s_waitcnt vmcnt(0) lgkmcnt(0)
	v_xor_b32_e32 v12, 0x80000000, v5
	s_or_b64 exec, exec, s[8:9]
	s_and_saveexec_b64 s[8:9], s[12:13]
	s_cbranch_execnz .LBB102_41
	s_branch .LBB102_42
.LBB102_1189:
	v_cmp_ne_u32_e32 vcc, v0, v1
	s_xor_b64 s[12:13], s[2:3], -1
	s_or_b64 s[14:15], s[12:13], vcc
	s_mov_b64 s[12:13], 0
	s_and_saveexec_b64 s[16:17], s[14:15]
	s_xor_b64 s[14:15], exec, s[16:17]
; %bb.1190:
	v_or_b32_e32 v5, v1, v0
	v_cmp_gt_u32_e32 vcc, 64, v5
	s_and_b64 s[12:13], vcc, exec
                                        ; implicit-def: $vgpr5_vgpr6
; %bb.1191:
	s_or_saveexec_b64 s[14:15], s[14:15]
	v_mov_b32_e32 v12, 0
	s_xor_b64 exec, exec, s[14:15]
	s_cbranch_execz .LBB102_1193
; %bb.1192:
	v_lshlrev_b64 v[5:6], 2, v[5:6]
	v_mov_b32_e32 v12, s88
	v_add_co_u32_e32 v5, vcc, s87, v5
	v_addc_co_u32_e32 v6, vcc, v12, v6, vcc
	flat_load_dword v5, v[5:6]
	s_or_b64 s[12:13], s[12:13], exec
	s_waitcnt vmcnt(0) lgkmcnt(0)
	v_div_scale_f32 v6, s[16:17], v5, v5, 1.0
	v_div_scale_f32 v12, vcc, 1.0, v5, 1.0
	v_rcp_f32_e32 v13, v6
	v_fma_f32 v14, -v6, v13, 1.0
	v_fmac_f32_e32 v13, v14, v13
	v_mul_f32_e32 v14, v12, v13
	v_fma_f32 v15, -v6, v14, v12
	v_fmac_f32_e32 v14, v15, v13
	v_fma_f32 v6, -v6, v14, v12
	v_div_fmas_f32 v6, v6, v13, v14
	v_div_fixup_f32 v12, v6, v5, 1.0
.LBB102_1193:
	s_or_b64 exec, exec, s[14:15]
	s_and_b64 s[12:13], s[12:13], exec
                                        ; implicit-def: $vgpr5_vgpr6
	s_andn2_saveexec_b64 s[8:9], s[8:9]
	s_cbranch_execz .LBB102_44
.LBB102_1194:
	v_lshlrev_b64 v[5:6], 2, v[5:6]
	v_mov_b32_e32 v12, s88
	v_add_co_u32_e32 v5, vcc, s87, v5
	v_addc_co_u32_e32 v6, vcc, v12, v6, vcc
	flat_load_dword v5, v[5:6]
	s_or_b64 s[12:13], s[12:13], exec
	s_waitcnt vmcnt(0) lgkmcnt(0)
	v_xor_b32_e32 v12, 0x80000000, v5
	s_or_b64 exec, exec, s[8:9]
	s_and_saveexec_b64 s[8:9], s[12:13]
	s_cbranch_execnz .LBB102_45
	s_branch .LBB102_46
.LBB102_1195:
	s_or_b64 exec, exec, s[10:11]
	s_and_b64 vcc, exec, s[8:9]
	s_cbranch_vccnz .LBB102_1139
.LBB102_1196:
	v_mov_b32_e32 v12, v4
	s_and_saveexec_b64 s[2:3], s[6:7]
	s_cbranch_execnz .LBB102_1202
	s_branch .LBB102_1203
.LBB102_1197:
	s_mov_b64 s[4:5], 0
.LBB102_1198:
	v_cmp_gt_i32_e32 vcc, s86, v0
	s_and_b64 s[2:3], s[2:3], vcc
	s_andn2_b64 s[4:5], s[4:5], exec
	s_and_b64 s[2:3], s[2:3], exec
	s_or_b64 s[4:5], s[4:5], s[2:3]
.LBB102_1199:
                                        ; implicit-def: $vgpr1_vgpr2
	s_and_saveexec_b64 s[2:3], s[4:5]
	s_cbranch_execz .LBB102_1201
; %bb.1200:
	v_mov_b32_e32 v0, s44
	v_add_co_u32_e32 v1, vcc, s33, v11
	v_addc_co_u32_e32 v0, vcc, 0, v0, vcc
	v_mul_lo_u32 v0, v0, s26
	v_mul_lo_u32 v3, v1, s27
	v_mad_u64_u32 v[1:2], s[4:5], v1, s26, 0
	s_or_b64 s[6:7], s[6:7], exec
	v_add3_u32 v2, v2, v3, v0
.LBB102_1201:
	s_or_b64 exec, exec, s[2:3]
	s_and_saveexec_b64 s[2:3], s[6:7]
	s_cbranch_execz .LBB102_1203
.LBB102_1202:
	v_lshlrev_b64 v[0:1], 2, v[1:2]
	v_mov_b32_e32 v2, s21
	v_add_co_u32_e32 v0, vcc, s20, v0
	v_addc_co_u32_e32 v1, vcc, v2, v1, vcc
	flat_store_dword v[0:1], v12
.LBB102_1203:
	s_or_b64 exec, exec, s[2:3]
	v_cmp_eq_u32_e32 vcc, 0, v11
	s_waitcnt vmcnt(0) lgkmcnt(0)
	buffer_wbinvl1_vol
	s_barrier
	s_and_saveexec_b64 s[2:3], vcc
	s_cbranch_execz .LBB102_1205
; %bb.1204:
	s_lshl_b64 s[4:5], s[28:29], 2
	s_add_u32 s0, s0, s4
	s_addc_u32 s1, s1, s5
	v_mov_b32_e32 v0, 0
	global_load_dword v1, v0, s[0:1]
	s_waitcnt vmcnt(0)
	v_add_u32_e32 v1, 1, v1
	global_store_dword v0, v1, s[0:1]
.LBB102_1205:
	s_or_b64 exec, exec, s[2:3]
	s_waitcnt vmcnt(0)
	buffer_wbinvl1_vol
	s_endpgm
.LBB102_1206:
	ds_read_b32 v16, v15 offset:15840
	ds_read_b32 v17, v14 offset:15604
	s_waitcnt lgkmcnt(0)
	v_fmac_f32_e32 v13, v16, v17
	s_or_b64 exec, exec, s[14:15]
	v_cmp_gt_u32_e64 s[10:11], 8, v5
	s_and_saveexec_b64 s[14:15], s[10:11]
	s_cbranch_execz .LBB102_79
.LBB102_1207:
	ds_read_b32 v15, v15 offset:16096
	ds_read_b32 v14, v14 offset:15608
	s_waitcnt lgkmcnt(0)
	v_fmac_f32_e32 v13, v15, v14
	s_or_b64 exec, exec, s[14:15]
	v_cmp_gt_u32_e64 s[10:11], 4, v5
	s_and_saveexec_b64 s[14:15], s[10:11]
	s_cbranch_execnz .LBB102_80
	s_branch .LBB102_81
.LBB102_1208:
	ds_read_b32 v19, v18 offset:14784
	ds_read_b32 v20, v17 offset:14564
	s_waitcnt lgkmcnt(0)
	v_fmac_f32_e32 v16, v19, v20
	s_or_b64 exec, exec, s[16:17]
	v_cmp_gt_u32_e64 s[14:15], 48, v5
	s_and_saveexec_b64 s[16:17], s[14:15]
	s_cbranch_execz .LBB102_121
.LBB102_1209:
	ds_read_b32 v19, v18 offset:15040
	ds_read_b32 v20, v17 offset:14568
	s_waitcnt lgkmcnt(0)
	v_fmac_f32_e32 v16, v19, v20
	s_or_b64 exec, exec, s[16:17]
	v_cmp_gt_u32_e64 s[14:15], 40, v5
	s_and_saveexec_b64 s[16:17], s[14:15]
	s_cbranch_execz .LBB102_122
.LBB102_1210:
	ds_read_b32 v19, v18 offset:15296
	ds_read_b32 v20, v17 offset:14572
	s_waitcnt lgkmcnt(0)
	v_fmac_f32_e32 v16, v19, v20
	s_or_b64 exec, exec, s[16:17]
	v_cmp_gt_u32_e64 s[14:15], 32, v5
	s_and_saveexec_b64 s[16:17], s[14:15]
	s_cbranch_execz .LBB102_123
.LBB102_1211:
	ds_read_b32 v19, v18 offset:15552
	ds_read_b32 v20, v17 offset:14576
	s_waitcnt lgkmcnt(0)
	v_fmac_f32_e32 v16, v19, v20
	s_or_b64 exec, exec, s[16:17]
	v_cmp_gt_u32_e64 s[14:15], 24, v5
	s_and_saveexec_b64 s[16:17], s[14:15]
	s_cbranch_execz .LBB102_124
.LBB102_1212:
	ds_read_b32 v19, v18 offset:15808
	ds_read_b32 v20, v17 offset:14580
	s_waitcnt lgkmcnt(0)
	v_fmac_f32_e32 v16, v19, v20
	s_or_b64 exec, exec, s[16:17]
	s_and_saveexec_b64 s[14:15], s[18:19]
	s_cbranch_execz .LBB102_125
.LBB102_1213:
	ds_read_b32 v18, v18 offset:16064
	ds_read_b32 v17, v17 offset:14584
	s_waitcnt lgkmcnt(0)
	v_fmac_f32_e32 v16, v18, v17
	s_or_b64 exec, exec, s[14:15]
	v_cmp_gt_u32_e64 s[14:15], 8, v5
	s_and_saveexec_b64 s[16:17], s[14:15]
	s_cbranch_execnz .LBB102_126
	s_branch .LBB102_127
.LBB102_1214:
	ds_read_b32 v19, v18 offset:13760
	ds_read_b32 v20, v17 offset:13524
	s_waitcnt lgkmcnt(0)
	v_fmac_f32_e32 v16, v19, v20
	s_or_b64 exec, exec, s[14:15]
	v_cmp_gt_u32_e64 s[10:11], 8, v5
	s_and_saveexec_b64 s[14:15], s[10:11]
	s_cbranch_execz .LBB102_183
.LBB102_1215:
	ds_read_b32 v18, v18 offset:14016
	ds_read_b32 v17, v17 offset:13528
	s_waitcnt lgkmcnt(0)
	v_fmac_f32_e32 v16, v18, v17
	s_or_b64 exec, exec, s[14:15]
	v_cmp_gt_u32_e64 s[10:11], 4, v5
	s_and_saveexec_b64 s[14:15], s[10:11]
	s_cbranch_execnz .LBB102_184
	s_branch .LBB102_185
.LBB102_1216:
	ds_read_b32 v22, v21 offset:15232
	ds_read_b32 v23, v20 offset:12524
	s_waitcnt lgkmcnt(0)
	v_fmac_f32_e32 v19, v22, v23
	s_or_b64 exec, exec, s[20:21]
	s_and_saveexec_b64 s[16:17], s[8:9]
	s_cbranch_execz .LBB102_245
.LBB102_1217:
	ds_read_b32 v22, v21 offset:15488
	ds_read_b32 v23, v20 offset:12528
	s_waitcnt lgkmcnt(0)
	v_fmac_f32_e32 v19, v22, v23
	s_or_b64 exec, exec, s[16:17]
	v_cmp_gt_u32_e64 s[16:17], 48, v5
	s_and_saveexec_b64 s[20:21], s[16:17]
	s_cbranch_execz .LBB102_246
.LBB102_1218:
	ds_read_b32 v22, v21 offset:15744
	ds_read_b32 v23, v20 offset:12532
	s_waitcnt lgkmcnt(0)
	v_fmac_f32_e32 v19, v22, v23
	s_or_b64 exec, exec, s[20:21]
	v_cmp_gt_u32_e64 s[16:17], 32, v5
	s_and_saveexec_b64 s[20:21], s[16:17]
	s_cbranch_execz .LBB102_247
.LBB102_1219:
	ds_read_b32 v21, v21 offset:16000
	ds_read_b32 v20, v20 offset:12536
	s_waitcnt lgkmcnt(0)
	v_fmac_f32_e32 v19, v21, v20
	s_or_b64 exec, exec, s[20:21]
	v_cmp_gt_u32_e64 s[16:17], 16, v5
	s_and_saveexec_b64 s[20:21], s[16:17]
	s_cbranch_execnz .LBB102_248
	s_branch .LBB102_249
.LBB102_1220:
	ds_read_b32 v22, v21 offset:11680
	ds_read_b32 v23, v20 offset:11444
	s_waitcnt lgkmcnt(0)
	v_fmac_f32_e32 v19, v22, v23
	s_or_b64 exec, exec, s[20:21]
	v_cmp_gt_u32_e64 s[14:15], 8, v5
	s_and_saveexec_b64 s[20:21], s[14:15]
	s_cbranch_execz .LBB102_337
.LBB102_1221:
	ds_read_b32 v21, v21 offset:11936
	ds_read_b32 v20, v20 offset:11448
	s_waitcnt lgkmcnt(0)
	v_fmac_f32_e32 v19, v21, v20
	s_or_b64 exec, exec, s[20:21]
	v_cmp_gt_u32_e64 s[14:15], 4, v5
	s_and_saveexec_b64 s[20:21], s[14:15]
	s_cbranch_execnz .LBB102_338
	s_branch .LBB102_339
.LBB102_1222:
	ds_read_b32 v22, v21 offset:10624
	ds_read_b32 v23, v20 offset:10404
	s_waitcnt lgkmcnt(0)
	v_fmac_f32_e32 v19, v22, v23
	s_or_b64 exec, exec, s[20:21]
	v_cmp_gt_u32_e64 s[14:15], 48, v5
	s_and_saveexec_b64 s[20:21], s[14:15]
	s_cbranch_execz .LBB102_379
.LBB102_1223:
	ds_read_b32 v22, v21 offset:10880
	ds_read_b32 v23, v20 offset:10408
	s_waitcnt lgkmcnt(0)
	v_fmac_f32_e32 v19, v22, v23
	s_or_b64 exec, exec, s[20:21]
	v_cmp_gt_u32_e64 s[14:15], 40, v5
	s_and_saveexec_b64 s[20:21], s[14:15]
	s_cbranch_execz .LBB102_380
.LBB102_1224:
	ds_read_b32 v22, v21 offset:11136
	ds_read_b32 v23, v20 offset:10412
	s_waitcnt lgkmcnt(0)
	v_fmac_f32_e32 v19, v22, v23
	s_or_b64 exec, exec, s[20:21]
	v_cmp_gt_u32_e64 s[14:15], 32, v5
	s_and_saveexec_b64 s[20:21], s[14:15]
	s_cbranch_execz .LBB102_381
.LBB102_1225:
	ds_read_b32 v22, v21 offset:11392
	ds_read_b32 v23, v20 offset:10416
	s_waitcnt lgkmcnt(0)
	v_fmac_f32_e32 v19, v22, v23
	s_or_b64 exec, exec, s[20:21]
	v_cmp_gt_u32_e64 s[14:15], 24, v5
	s_and_saveexec_b64 s[20:21], s[14:15]
	s_cbranch_execz .LBB102_382
.LBB102_1226:
	ds_read_b32 v22, v21 offset:11648
	ds_read_b32 v23, v20 offset:10420
	s_waitcnt lgkmcnt(0)
	v_fmac_f32_e32 v19, v22, v23
	s_or_b64 exec, exec, s[20:21]
	s_and_saveexec_b64 s[14:15], s[18:19]
	s_cbranch_execz .LBB102_383
.LBB102_1227:
	ds_read_b32 v21, v21 offset:11904
	ds_read_b32 v20, v20 offset:10424
	s_waitcnt lgkmcnt(0)
	v_fmac_f32_e32 v19, v21, v20
	s_or_b64 exec, exec, s[14:15]
	v_cmp_gt_u32_e64 s[14:15], 8, v5
	s_and_saveexec_b64 s[20:21], s[14:15]
	s_cbranch_execnz .LBB102_384
	s_branch .LBB102_385
.LBB102_1228:
	ds_read_b32 v22, v21 offset:9600
	ds_read_b32 v23, v20 offset:9364
	s_waitcnt lgkmcnt(0)
	v_fmac_f32_e32 v19, v22, v23
	s_or_b64 exec, exec, s[20:21]
	v_cmp_gt_u32_e64 s[14:15], 8, v5
	s_and_saveexec_b64 s[20:21], s[14:15]
	s_cbranch_execz .LBB102_441
.LBB102_1229:
	ds_read_b32 v21, v21 offset:9856
	ds_read_b32 v20, v20 offset:9368
	s_waitcnt lgkmcnt(0)
	v_fmac_f32_e32 v19, v21, v20
	s_or_b64 exec, exec, s[20:21]
	v_cmp_gt_u32_e64 s[14:15], 4, v5
	s_and_saveexec_b64 s[20:21], s[14:15]
	s_cbranch_execnz .LBB102_442
	s_branch .LBB102_443
.LBB102_1230:
	ds_read_b32 v25, v24 offset:15616
	ds_read_b32 v26, v23 offset:8436
	s_waitcnt lgkmcnt(0)
	v_fmac_f32_e32 v21, v25, v26
	s_or_b64 exec, exec, s[94:95]
	s_and_saveexec_b64 s[20:21], s[8:9]
	s_cbranch_execz .LBB102_539
.LBB102_1231:
	ds_read_b32 v24, v24 offset:15872
	ds_read_b32 v23, v23 offset:8440
	s_waitcnt lgkmcnt(0)
	v_fmac_f32_e32 v21, v24, v23
	s_or_b64 exec, exec, s[20:21]
	v_cmp_gt_u32_e64 s[20:21], 32, v5
	s_and_saveexec_b64 s[94:95], s[20:21]
	s_cbranch_execnz .LBB102_540
	s_branch .LBB102_541
.LBB102_1232:
	ds_read_b32 v22, v21 offset:7520
	ds_read_b32 v23, v20 offset:7284
	s_waitcnt lgkmcnt(0)
	v_fmac_f32_e32 v19, v22, v23
	s_or_b64 exec, exec, s[16:17]
	v_cmp_gt_u32_e64 s[12:13], 8, v5
	s_and_saveexec_b64 s[16:17], s[12:13]
	s_cbranch_execz .LBB102_693
.LBB102_1233:
	ds_read_b32 v21, v21 offset:7776
	ds_read_b32 v20, v20 offset:7288
	s_waitcnt lgkmcnt(0)
	v_fmac_f32_e32 v19, v21, v20
	s_or_b64 exec, exec, s[16:17]
	v_cmp_gt_u32_e64 s[12:13], 4, v5
	s_and_saveexec_b64 s[16:17], s[12:13]
	s_cbranch_execnz .LBB102_694
	s_branch .LBB102_695
.LBB102_1234:
	ds_read_b32 v22, v21 offset:6464
	ds_read_b32 v23, v20 offset:6244
	s_waitcnt lgkmcnt(0)
	v_fmac_f32_e32 v19, v22, v23
	s_or_b64 exec, exec, s[16:17]
	v_cmp_gt_u32_e64 s[12:13], 48, v5
	s_and_saveexec_b64 s[16:17], s[12:13]
	s_cbranch_execz .LBB102_735
.LBB102_1235:
	ds_read_b32 v22, v21 offset:6720
	ds_read_b32 v23, v20 offset:6248
	s_waitcnt lgkmcnt(0)
	v_fmac_f32_e32 v19, v22, v23
	s_or_b64 exec, exec, s[16:17]
	v_cmp_gt_u32_e64 s[12:13], 40, v5
	s_and_saveexec_b64 s[16:17], s[12:13]
	s_cbranch_execz .LBB102_736
.LBB102_1236:
	ds_read_b32 v22, v21 offset:6976
	ds_read_b32 v23, v20 offset:6252
	s_waitcnt lgkmcnt(0)
	v_fmac_f32_e32 v19, v22, v23
	s_or_b64 exec, exec, s[16:17]
	v_cmp_gt_u32_e64 s[12:13], 32, v5
	s_and_saveexec_b64 s[16:17], s[12:13]
	s_cbranch_execz .LBB102_737
.LBB102_1237:
	ds_read_b32 v22, v21 offset:7232
	ds_read_b32 v23, v20 offset:6256
	s_waitcnt lgkmcnt(0)
	v_fmac_f32_e32 v19, v22, v23
	s_or_b64 exec, exec, s[16:17]
	v_cmp_gt_u32_e64 s[12:13], 24, v5
	s_and_saveexec_b64 s[16:17], s[12:13]
	s_cbranch_execz .LBB102_738
.LBB102_1238:
	ds_read_b32 v22, v21 offset:7488
	ds_read_b32 v23, v20 offset:6260
	s_waitcnt lgkmcnt(0)
	v_fmac_f32_e32 v19, v22, v23
	s_or_b64 exec, exec, s[16:17]
	s_and_saveexec_b64 s[12:13], s[18:19]
	s_cbranch_execz .LBB102_739
.LBB102_1239:
	ds_read_b32 v21, v21 offset:7744
	ds_read_b32 v20, v20 offset:6264
	s_waitcnt lgkmcnt(0)
	v_fmac_f32_e32 v19, v21, v20
	s_or_b64 exec, exec, s[12:13]
	v_cmp_gt_u32_e64 s[12:13], 8, v5
	s_and_saveexec_b64 s[16:17], s[12:13]
	s_cbranch_execnz .LBB102_740
	s_branch .LBB102_741
.LBB102_1240:
	ds_read_b32 v22, v21 offset:5440
	ds_read_b32 v23, v20 offset:5204
	s_waitcnt lgkmcnt(0)
	v_fmac_f32_e32 v19, v22, v23
	s_or_b64 exec, exec, s[16:17]
	v_cmp_gt_u32_e64 s[12:13], 8, v5
	s_and_saveexec_b64 s[16:17], s[12:13]
	s_cbranch_execz .LBB102_797
.LBB102_1241:
	ds_read_b32 v21, v21 offset:5696
	ds_read_b32 v20, v20 offset:5208
	s_waitcnt lgkmcnt(0)
	v_fmac_f32_e32 v19, v21, v20
	s_or_b64 exec, exec, s[16:17]
	v_cmp_gt_u32_e64 s[12:13], 4, v5
	s_and_saveexec_b64 s[16:17], s[12:13]
	s_cbranch_execnz .LBB102_798
	s_branch .LBB102_799
.LBB102_1242:
	ds_read_b32 v22, v21 offset:6912
	ds_read_b32 v23, v20 offset:4204
	s_waitcnt lgkmcnt(0)
	v_fmac_f32_e32 v19, v22, v23
	s_or_b64 exec, exec, s[16:17]
	s_and_saveexec_b64 s[12:13], s[8:9]
	s_cbranch_execz .LBB102_859
.LBB102_1243:
	ds_read_b32 v22, v21 offset:7168
	ds_read_b32 v23, v20 offset:4208
	s_waitcnt lgkmcnt(0)
	v_fmac_f32_e32 v19, v22, v23
	s_or_b64 exec, exec, s[12:13]
	v_cmp_gt_u32_e64 s[12:13], 48, v5
	s_and_saveexec_b64 s[16:17], s[12:13]
	s_cbranch_execz .LBB102_860
.LBB102_1244:
	ds_read_b32 v22, v21 offset:7424
	ds_read_b32 v23, v20 offset:4212
	s_waitcnt lgkmcnt(0)
	v_fmac_f32_e32 v19, v22, v23
	s_or_b64 exec, exec, s[16:17]
	v_cmp_gt_u32_e64 s[12:13], 32, v5
	s_and_saveexec_b64 s[16:17], s[12:13]
	s_cbranch_execz .LBB102_861
.LBB102_1245:
	ds_read_b32 v21, v21 offset:7680
	ds_read_b32 v20, v20 offset:4216
	s_waitcnt lgkmcnt(0)
	v_fmac_f32_e32 v19, v21, v20
	s_or_b64 exec, exec, s[16:17]
	v_cmp_gt_u32_e64 s[12:13], 16, v5
	s_and_saveexec_b64 s[16:17], s[12:13]
	s_cbranch_execnz .LBB102_862
	s_branch .LBB102_863
.LBB102_1246:
	ds_read_b32 v19, v18 offset:3360
	ds_read_b32 v20, v17 offset:3124
	s_waitcnt lgkmcnt(0)
	v_fmac_f32_e32 v16, v19, v20
	s_or_b64 exec, exec, s[12:13]
	v_cmp_gt_u32_e64 s[10:11], 8, v5
	s_and_saveexec_b64 s[12:13], s[10:11]
	s_cbranch_execz .LBB102_951
.LBB102_1247:
	ds_read_b32 v18, v18 offset:3616
	ds_read_b32 v17, v17 offset:3128
	s_waitcnt lgkmcnt(0)
	v_fmac_f32_e32 v16, v18, v17
	s_or_b64 exec, exec, s[12:13]
	v_cmp_gt_u32_e64 s[10:11], 4, v5
	s_and_saveexec_b64 s[12:13], s[10:11]
	s_cbranch_execnz .LBB102_952
	s_branch .LBB102_953
.LBB102_1248:
	ds_read_b32 v19, v18 offset:2304
	ds_read_b32 v20, v17 offset:2084
	s_waitcnt lgkmcnt(0)
	v_fmac_f32_e32 v16, v19, v20
	s_or_b64 exec, exec, s[12:13]
	v_cmp_gt_u32_e64 s[10:11], 48, v5
	s_and_saveexec_b64 s[12:13], s[10:11]
	s_cbranch_execz .LBB102_993
.LBB102_1249:
	ds_read_b32 v19, v18 offset:2560
	ds_read_b32 v20, v17 offset:2088
	s_waitcnt lgkmcnt(0)
	v_fmac_f32_e32 v16, v19, v20
	s_or_b64 exec, exec, s[12:13]
	v_cmp_gt_u32_e64 s[10:11], 40, v5
	s_and_saveexec_b64 s[12:13], s[10:11]
	s_cbranch_execz .LBB102_994
.LBB102_1250:
	ds_read_b32 v19, v18 offset:2816
	ds_read_b32 v20, v17 offset:2092
	s_waitcnt lgkmcnt(0)
	v_fmac_f32_e32 v16, v19, v20
	s_or_b64 exec, exec, s[12:13]
	v_cmp_gt_u32_e64 s[10:11], 32, v5
	s_and_saveexec_b64 s[12:13], s[10:11]
	s_cbranch_execz .LBB102_995
.LBB102_1251:
	ds_read_b32 v19, v18 offset:3072
	ds_read_b32 v20, v17 offset:2096
	s_waitcnt lgkmcnt(0)
	v_fmac_f32_e32 v16, v19, v20
	s_or_b64 exec, exec, s[12:13]
	v_cmp_gt_u32_e64 s[10:11], 24, v5
	s_and_saveexec_b64 s[12:13], s[10:11]
	s_cbranch_execz .LBB102_996
.LBB102_1252:
	ds_read_b32 v19, v18 offset:3328
	ds_read_b32 v20, v17 offset:2100
	s_waitcnt lgkmcnt(0)
	v_fmac_f32_e32 v16, v19, v20
	s_or_b64 exec, exec, s[12:13]
	s_and_saveexec_b64 s[10:11], s[18:19]
	s_cbranch_execz .LBB102_997
.LBB102_1253:
	ds_read_b32 v18, v18 offset:3584
	ds_read_b32 v17, v17 offset:2104
	s_waitcnt lgkmcnt(0)
	v_fmac_f32_e32 v16, v18, v17
	s_or_b64 exec, exec, s[10:11]
	v_cmp_gt_u32_e64 s[10:11], 8, v5
	s_and_saveexec_b64 s[12:13], s[10:11]
	s_cbranch_execnz .LBB102_998
	s_branch .LBB102_999
.LBB102_1254:
	ds_read_b32 v16, v15 offset:1280
	ds_read_b32 v17, v14 offset:1044
	s_waitcnt lgkmcnt(0)
	v_fmac_f32_e32 v13, v16, v17
	s_or_b64 exec, exec, s[10:11]
	v_cmp_gt_u32_e64 s[8:9], 8, v5
	s_and_saveexec_b64 s[10:11], s[8:9]
	s_cbranch_execz .LBB102_1055
.LBB102_1255:
	ds_read_b32 v15, v15 offset:1536
	ds_read_b32 v14, v14 offset:1048
	s_waitcnt lgkmcnt(0)
	v_fmac_f32_e32 v13, v15, v14
	s_or_b64 exec, exec, s[10:11]
	v_cmp_gt_u32_e64 s[8:9], 4, v5
	s_and_saveexec_b64 s[10:11], s[8:9]
	s_cbranch_execnz .LBB102_1056
	s_branch .LBB102_1057
	.section	.rodata,"a",@progbits
	.p2align	6, 0x0
	.amdhsa_kernel _ZL19rocblas_trsv_deviceILi64ELi16ELb0ELb1ELb1ELb0EfPKfPKS1_PKPfEviT7_lllT6_T8_lllPii
		.amdhsa_group_segment_fixed_size 20740
		.amdhsa_private_segment_fixed_size 0
		.amdhsa_kernarg_size 352
		.amdhsa_user_sgpr_count 6
		.amdhsa_user_sgpr_private_segment_buffer 1
		.amdhsa_user_sgpr_dispatch_ptr 0
		.amdhsa_user_sgpr_queue_ptr 0
		.amdhsa_user_sgpr_kernarg_segment_ptr 1
		.amdhsa_user_sgpr_dispatch_id 0
		.amdhsa_user_sgpr_flat_scratch_init 0
		.amdhsa_user_sgpr_private_segment_size 0
		.amdhsa_uses_dynamic_stack 0
		.amdhsa_system_sgpr_private_segment_wavefront_offset 0
		.amdhsa_system_sgpr_workgroup_id_x 1
		.amdhsa_system_sgpr_workgroup_id_y 0
		.amdhsa_system_sgpr_workgroup_id_z 1
		.amdhsa_system_sgpr_workgroup_info 0
		.amdhsa_system_vgpr_workitem_id 1
		.amdhsa_next_free_vgpr 29
		.amdhsa_next_free_sgpr 96
		.amdhsa_reserve_vcc 1
		.amdhsa_reserve_flat_scratch 0
		.amdhsa_float_round_mode_32 0
		.amdhsa_float_round_mode_16_64 0
		.amdhsa_float_denorm_mode_32 3
		.amdhsa_float_denorm_mode_16_64 3
		.amdhsa_dx10_clamp 1
		.amdhsa_ieee_mode 1
		.amdhsa_fp16_overflow 0
		.amdhsa_exception_fp_ieee_invalid_op 0
		.amdhsa_exception_fp_denorm_src 0
		.amdhsa_exception_fp_ieee_div_zero 0
		.amdhsa_exception_fp_ieee_overflow 0
		.amdhsa_exception_fp_ieee_underflow 0
		.amdhsa_exception_fp_ieee_inexact 0
		.amdhsa_exception_int_div_zero 0
	.end_amdhsa_kernel
	.section	.text._ZL19rocblas_trsv_deviceILi64ELi16ELb0ELb1ELb1ELb0EfPKfPKS1_PKPfEviT7_lllT6_T8_lllPii,"axG",@progbits,_ZL19rocblas_trsv_deviceILi64ELi16ELb0ELb1ELb1ELb0EfPKfPKS1_PKPfEviT7_lllT6_T8_lllPii,comdat
.Lfunc_end102:
	.size	_ZL19rocblas_trsv_deviceILi64ELi16ELb0ELb1ELb1ELb0EfPKfPKS1_PKPfEviT7_lllT6_T8_lllPii, .Lfunc_end102-_ZL19rocblas_trsv_deviceILi64ELi16ELb0ELb1ELb1ELb0EfPKfPKS1_PKPfEviT7_lllT6_T8_lllPii
                                        ; -- End function
	.set _ZL19rocblas_trsv_deviceILi64ELi16ELb0ELb1ELb1ELb0EfPKfPKS1_PKPfEviT7_lllT6_T8_lllPii.num_vgpr, 28
	.set _ZL19rocblas_trsv_deviceILi64ELi16ELb0ELb1ELb1ELb0EfPKfPKS1_PKPfEviT7_lllT6_T8_lllPii.num_agpr, 0
	.set _ZL19rocblas_trsv_deviceILi64ELi16ELb0ELb1ELb1ELb0EfPKfPKS1_PKPfEviT7_lllT6_T8_lllPii.numbered_sgpr, 96
	.set _ZL19rocblas_trsv_deviceILi64ELi16ELb0ELb1ELb1ELb0EfPKfPKS1_PKPfEviT7_lllT6_T8_lllPii.num_named_barrier, 0
	.set _ZL19rocblas_trsv_deviceILi64ELi16ELb0ELb1ELb1ELb0EfPKfPKS1_PKPfEviT7_lllT6_T8_lllPii.private_seg_size, 0
	.set _ZL19rocblas_trsv_deviceILi64ELi16ELb0ELb1ELb1ELb0EfPKfPKS1_PKPfEviT7_lllT6_T8_lllPii.uses_vcc, 1
	.set _ZL19rocblas_trsv_deviceILi64ELi16ELb0ELb1ELb1ELb0EfPKfPKS1_PKPfEviT7_lllT6_T8_lllPii.uses_flat_scratch, 0
	.set _ZL19rocblas_trsv_deviceILi64ELi16ELb0ELb1ELb1ELb0EfPKfPKS1_PKPfEviT7_lllT6_T8_lllPii.has_dyn_sized_stack, 0
	.set _ZL19rocblas_trsv_deviceILi64ELi16ELb0ELb1ELb1ELb0EfPKfPKS1_PKPfEviT7_lllT6_T8_lllPii.has_recursion, 0
	.set _ZL19rocblas_trsv_deviceILi64ELi16ELb0ELb1ELb1ELb0EfPKfPKS1_PKPfEviT7_lllT6_T8_lllPii.has_indirect_call, 0
	.section	.AMDGPU.csdata,"",@progbits
; Kernel info:
; codeLenInByte = 40680
; TotalNumSgprs: 100
; NumVgprs: 28
; ScratchSize: 0
; MemoryBound: 0
; FloatMode: 240
; IeeeMode: 1
; LDSByteSize: 20740 bytes/workgroup (compile time only)
; SGPRBlocks: 12
; VGPRBlocks: 7
; NumSGPRsForWavesPerEU: 100
; NumVGPRsForWavesPerEU: 29
; Occupancy: 8
; WaveLimiterHint : 1
; COMPUTE_PGM_RSRC2:SCRATCH_EN: 0
; COMPUTE_PGM_RSRC2:USER_SGPR: 6
; COMPUTE_PGM_RSRC2:TRAP_HANDLER: 0
; COMPUTE_PGM_RSRC2:TGID_X_EN: 1
; COMPUTE_PGM_RSRC2:TGID_Y_EN: 0
; COMPUTE_PGM_RSRC2:TGID_Z_EN: 1
; COMPUTE_PGM_RSRC2:TIDIG_COMP_CNT: 1
	.section	.text._ZL19rocblas_trsv_deviceILi64ELi16ELb1ELb0ELb0ELb1EfPKfPKS1_PKPfEviT7_lllT6_T8_lllPii,"axG",@progbits,_ZL19rocblas_trsv_deviceILi64ELi16ELb1ELb0ELb0ELb1EfPKfPKS1_PKPfEviT7_lllT6_T8_lllPii,comdat
	.globl	_ZL19rocblas_trsv_deviceILi64ELi16ELb1ELb0ELb0ELb1EfPKfPKS1_PKPfEviT7_lllT6_T8_lllPii ; -- Begin function _ZL19rocblas_trsv_deviceILi64ELi16ELb1ELb0ELb0ELb1EfPKfPKS1_PKPfEviT7_lllT6_T8_lllPii
	.p2align	8
	.type	_ZL19rocblas_trsv_deviceILi64ELi16ELb1ELb0ELb0ELb1EfPKfPKS1_PKPfEviT7_lllT6_T8_lllPii,@function
_ZL19rocblas_trsv_deviceILi64ELi16ELb1ELb0ELb0ELb1EfPKfPKS1_PKPfEviT7_lllT6_T8_lllPii: ; @_ZL19rocblas_trsv_deviceILi64ELi16ELb1ELb0ELb0ELb1EfPKfPKS1_PKPfEviT7_lllT6_T8_lllPii
; %bb.0:
	s_load_dwordx4 s[0:3], s[4:5], 0x8
	s_mov_b32 s24, s7
	s_mov_b32 s25, 0
	s_lshl_b64 s[8:9], s[24:25], 3
	s_waitcnt lgkmcnt(0)
	s_add_u32 s0, s0, s8
	s_addc_u32 s1, s1, s9
	s_load_dwordx2 s[10:11], s[0:1], 0x0
	s_load_dword s33, s[4:5], 0x0
	s_load_dwordx8 s[16:23], s[4:5], 0x28
	s_load_dwordx2 s[26:27], s[4:5], 0x18
	s_lshl_b64 s[0:1], s[2:3], 2
	s_waitcnt lgkmcnt(0)
	s_add_u32 s90, s10, s0
	s_addc_u32 s91, s11, s1
	s_add_u32 s0, s18, s8
	s_addc_u32 s1, s19, s9
	s_load_dwordx2 s[28:29], s[0:1], 0x0
	s_load_dword s41, s[16:17], 0x0
	s_load_dword s40, s[4:5], 0x6c
	s_cmp_eq_u32 s6, 0
	s_cbranch_scc1 .LBB103_10
; %bb.1:
	s_lshl_b32 s2, s6, 6
	v_add_u32_e32 v2, s2, v1
	v_subrev_u32_e32 v4, 64, v2
	v_ashrrev_i32_e32 v2, 31, v4
	v_mul_lo_u32 v7, s26, v2
	v_mul_lo_u32 v8, s27, v4
	v_mad_u64_u32 v[2:3], s[0:1], s26, v4, 0
	v_add_u32_e32 v5, s2, v0
	v_ashrrev_i32_e32 v6, 31, v5
	v_add3_u32 v3, v3, v7, v8
	v_lshlrev_b64 v[2:3], 2, v[2:3]
	v_mov_b32_e32 v7, s91
	v_add_co_u32_e64 v8, s[0:1], s90, v2
	v_addc_co_u32_e64 v7, s[0:1], v7, v3, s[0:1]
	v_lshlrev_b64 v[2:3], 2, v[5:6]
	v_cmp_gt_i32_e32 vcc, s33, v5
	v_add_co_u32_e64 v2, s[0:1], v8, v2
	v_addc_co_u32_e64 v3, s[0:1], v7, v3, s[0:1]
	v_cmp_gt_i32_e64 s[0:1], s33, v4
	s_and_b64 s[2:3], vcc, s[0:1]
	v_mov_b32_e32 v8, 0
	v_mov_b32_e32 v7, 0
	s_waitcnt lgkmcnt(0)
	s_barrier
	s_and_saveexec_b64 s[0:1], s[2:3]
	s_cbranch_execz .LBB103_3
; %bb.2:
	flat_load_dword v7, v[2:3]
.LBB103_3:
	s_or_b64 exec, exec, s[0:1]
	v_add_u32_e32 v5, 16, v4
	v_cmp_gt_i32_e64 s[0:1], s33, v5
	s_and_b64 s[0:1], vcc, s[0:1]
	s_waitcnt vmcnt(0) lgkmcnt(0)
	s_barrier
	s_and_saveexec_b64 s[2:3], s[0:1]
	s_cbranch_execz .LBB103_5
; %bb.4:
	s_lshl_b64 s[0:1], s[26:27], 6
	v_mov_b32_e32 v6, s1
	v_add_co_u32_e64 v5, s[0:1], s0, v2
	v_addc_co_u32_e64 v6, s[0:1], v3, v6, s[0:1]
	flat_load_dword v8, v[5:6]
.LBB103_5:
	s_or_b64 exec, exec, s[2:3]
	v_add_u32_e32 v5, 32, v4
	v_cmp_gt_i32_e64 s[0:1], s33, v5
	s_and_b64 s[0:1], vcc, s[0:1]
	v_mov_b32_e32 v9, 0
	v_mov_b32_e32 v10, 0
	s_waitcnt vmcnt(0) lgkmcnt(0)
	s_barrier
	s_and_saveexec_b64 s[2:3], s[0:1]
	s_cbranch_execz .LBB103_7
; %bb.6:
	s_lshl_b64 s[0:1], s[26:27], 7
	v_mov_b32_e32 v6, s1
	v_add_co_u32_e64 v5, s[0:1], s0, v2
	v_addc_co_u32_e64 v6, s[0:1], v3, v6, s[0:1]
	flat_load_dword v10, v[5:6]
.LBB103_7:
	s_or_b64 exec, exec, s[2:3]
	v_add_u32_e32 v4, 48, v4
	v_cmp_gt_i32_e64 s[0:1], s33, v4
	s_and_b64 s[2:3], vcc, s[0:1]
	s_waitcnt vmcnt(0) lgkmcnt(0)
	s_barrier
	s_and_saveexec_b64 s[0:1], s[2:3]
	s_cbranch_execz .LBB103_9
; %bb.8:
	v_mov_b32_e32 v4, 0xc0
	v_mad_u64_u32 v[2:3], s[2:3], s26, v4, v[2:3]
	s_mul_i32 s2, s27, 0xc0
	v_add_u32_e32 v3, s2, v3
	flat_load_dword v9, v[2:3]
.LBB103_9:
	s_or_b64 exec, exec, s[0:1]
	s_branch .LBB103_11
.LBB103_10:
                                        ; implicit-def: $vgpr9
                                        ; implicit-def: $vgpr10
                                        ; implicit-def: $vgpr8
                                        ; implicit-def: $vgpr7
.LBB103_11:
	s_ashr_i32 s0, s33, 31
	s_lshr_b32 s0, s0, 26
	s_add_i32 s0, s33, s0
	s_andn2_b32 s0, s0, 63
	s_sub_i32 s7, s33, s0
	s_add_i32 s0, s33, -1
	s_ashr_i32 s1, s0, 31
	s_lshr_b32 s1, s1, 26
	s_add_i32 s0, s0, s1
	s_ashr_i32 s0, s0, 6
	s_cmp_eq_u32 s0, s6
	s_cselect_b64 s[0:1], -1, 0
	s_cmp_lg_u32 s7, 0
	s_cselect_b64 s[2:3], -1, 0
	s_and_b64 s[18:19], s[2:3], s[0:1]
	s_mov_b64 s[2:3], -1
	s_and_b64 vcc, exec, s[18:19]
	v_cmp_le_u32_e64 s[0:1], v0, v1
	v_lshlrev_b32_e32 v6, 2, v0
	s_cbranch_vccnz .LBB103_27
; %bb.12:
	s_add_u32 s2, s26, 1
	s_addc_u32 s3, s27, 0
	s_lshl_b32 s8, s6, 6
	s_ashr_i32 s9, s8, 31
	s_mul_hi_u32 s10, s2, s8
	s_mul_i32 s9, s2, s9
	s_add_i32 s9, s10, s9
	s_mul_i32 s3, s3, s8
	s_add_i32 s3, s9, s3
	s_mul_i32 s2, s2, s8
	s_lshl_b64 s[2:3], s[2:3], 2
	s_add_u32 s2, s90, s2
	s_addc_u32 s3, s91, s3
	v_lshlrev_b32_e32 v4, 2, v0
	v_mov_b32_e32 v3, s3
	v_add_co_u32_e32 v2, vcc, s2, v4
	v_mov_b32_e32 v5, 0
	v_addc_co_u32_e32 v3, vcc, 0, v3, vcc
	s_mov_b64 s[2:3], 0
	s_and_saveexec_b64 s[8:9], s[0:1]
	s_xor_b64 s[0:1], exec, s[8:9]
	s_cbranch_execnz .LBB103_1087
; %bb.13:
	s_andn2_saveexec_b64 s[0:1], s[0:1]
	s_cbranch_execnz .LBB103_1088
.LBB103_14:
	s_or_b64 exec, exec, s[0:1]
	s_and_saveexec_b64 s[0:1], s[2:3]
.LBB103_15:
	v_lshl_add_u32 v11, v1, 8, v4
	ds_write_b32 v11, v5
.LBB103_16:
	s_or_b64 exec, exec, s[0:1]
	v_add_u32_e32 v5, 16, v1
	v_cmp_le_u32_e32 vcc, v0, v5
	s_mov_b64 s[0:1], 0
	s_and_saveexec_b64 s[2:3], vcc
	s_xor_b64 s[2:3], exec, s[2:3]
	s_cbranch_execnz .LBB103_1089
; %bb.17:
	s_or_saveexec_b64 s[2:3], s[2:3]
	v_mov_b32_e32 v11, 0
	s_xor_b64 exec, exec, s[2:3]
	s_cbranch_execnz .LBB103_1090
.LBB103_18:
	s_or_b64 exec, exec, s[2:3]
	s_and_saveexec_b64 s[2:3], s[0:1]
.LBB103_19:
	v_lshl_add_u32 v5, v5, 8, v4
	ds_write_b32 v5, v11
.LBB103_20:
	s_or_b64 exec, exec, s[2:3]
	v_add_u32_e32 v5, 32, v1
	v_cmp_le_u32_e32 vcc, v0, v5
	s_mov_b64 s[0:1], 0
	s_and_saveexec_b64 s[2:3], vcc
	s_xor_b64 s[2:3], exec, s[2:3]
	s_cbranch_execnz .LBB103_1091
; %bb.21:
	s_or_saveexec_b64 s[2:3], s[2:3]
	v_mov_b32_e32 v11, 0
	s_xor_b64 exec, exec, s[2:3]
	s_cbranch_execnz .LBB103_1092
.LBB103_22:
	s_or_b64 exec, exec, s[2:3]
	s_and_saveexec_b64 s[2:3], s[0:1]
.LBB103_23:
	v_lshl_add_u32 v4, v5, 8, v4
	ds_write_b32 v4, v11
.LBB103_24:
	s_or_b64 exec, exec, s[2:3]
	v_add_u32_e32 v4, 48, v1
	v_cmp_le_u32_e32 vcc, v0, v4
	s_mov_b64 s[0:1], -1
	s_mov_b64 s[2:3], 0
	s_mov_b64 s[8:9], 0
	s_and_saveexec_b64 s[10:11], vcc
	s_xor_b64 s[10:11], exec, s[10:11]
; %bb.25:
	v_or_b32_e32 v5, v4, v0
	v_cmp_gt_u32_e32 vcc, 64, v5
	s_and_b64 s[8:9], vcc, exec
	s_xor_b64 s[0:1], exec, -1
; %bb.26:
	s_or_b64 exec, exec, s[10:11]
	v_lshl_add_u32 v5, v4, 6, v0
	s_and_b64 vcc, exec, s[2:3]
	s_cbranch_vccnz .LBB103_28
	s_branch .LBB103_43
.LBB103_27:
	s_mov_b64 s[0:1], 0
	s_mov_b64 s[8:9], 0
                                        ; implicit-def: $vgpr5
                                        ; implicit-def: $vgpr2_vgpr3
                                        ; implicit-def: $vgpr4
	s_and_b64 vcc, exec, s[2:3]
	s_cbranch_vccz .LBB103_43
.LBB103_28:
	s_add_u32 s0, s26, 1
	s_addc_u32 s1, s27, 0
	s_lshl_b32 s2, s6, 6
	s_ashr_i32 s3, s2, 31
	s_mul_hi_u32 s10, s0, s2
	s_mul_i32 s3, s0, s3
	s_add_i32 s3, s10, s3
	s_mul_i32 s1, s1, s2
	s_add_i32 s1, s3, s1
	s_mul_i32 s0, s0, s2
	s_lshl_b64 s[0:1], s[0:1], 2
	s_add_u32 s0, s90, s0
	s_addc_u32 s1, s91, s1
	v_lshlrev_b32_e32 v4, 2, v0
	v_mov_b32_e32 v3, s1
	v_add_co_u32_e64 v2, s[0:1], s0, v4
	v_addc_co_u32_e64 v3, s[0:1], 0, v3, s[0:1]
	v_max_i32_e32 v11, v1, v0
	v_cmp_le_u32_e64 s[0:1], v0, v1
	v_cmp_le_i32_e64 s[2:3], s7, v11
	v_cmp_gt_i32_e32 vcc, s7, v0
	v_mov_b32_e32 v5, 0
	s_or_b64 s[0:1], s[2:3], s[0:1]
	s_mov_b64 s[2:3], 0
	s_and_saveexec_b64 s[10:11], s[0:1]
	s_xor_b64 s[10:11], exec, s[10:11]
	s_cbranch_execnz .LBB103_1093
; %bb.29:
	s_andn2_saveexec_b64 s[10:11], s[10:11]
	s_cbranch_execnz .LBB103_1094
.LBB103_30:
	s_or_b64 exec, exec, s[10:11]
	s_and_saveexec_b64 s[0:1], s[2:3]
.LBB103_31:
	v_lshl_add_u32 v11, v1, 8, v4
	ds_write_b32 v11, v5
.LBB103_32:
	s_or_b64 exec, exec, s[0:1]
	v_add_u32_e32 v5, 16, v1
	v_cmp_gt_u32_e64 s[0:1], v0, v5
	v_cmp_gt_i32_e64 s[2:3], s7, v5
	s_and_b64 s[0:1], s[0:1], s[2:3]
	s_and_b64 s[0:1], s[0:1], vcc
	s_xor_b64 s[0:1], s[0:1], -1
	s_mov_b64 s[2:3], 0
	s_and_saveexec_b64 s[10:11], s[0:1]
	s_xor_b64 s[10:11], exec, s[10:11]
	s_cbranch_execnz .LBB103_1095
; %bb.33:
	s_or_saveexec_b64 s[10:11], s[10:11]
	v_mov_b32_e32 v11, 0
	s_xor_b64 exec, exec, s[10:11]
	s_cbranch_execnz .LBB103_1096
.LBB103_34:
	s_or_b64 exec, exec, s[10:11]
	s_and_saveexec_b64 s[0:1], s[2:3]
.LBB103_35:
	v_lshl_add_u32 v5, v5, 8, v4
	ds_write_b32 v5, v11
.LBB103_36:
	s_or_b64 exec, exec, s[0:1]
	v_add_u32_e32 v5, 32, v1
	v_cmp_gt_u32_e64 s[0:1], v0, v5
	v_cmp_gt_i32_e64 s[2:3], s7, v5
	s_and_b64 s[0:1], s[0:1], s[2:3]
	s_and_b64 s[0:1], s[0:1], vcc
	s_xor_b64 s[0:1], s[0:1], -1
	s_mov_b64 s[2:3], 0
	s_and_saveexec_b64 s[10:11], s[0:1]
	s_xor_b64 s[10:11], exec, s[10:11]
	s_cbranch_execnz .LBB103_1097
; %bb.37:
	s_or_saveexec_b64 s[10:11], s[10:11]
	v_mov_b32_e32 v11, 0
	s_xor_b64 exec, exec, s[10:11]
	s_cbranch_execnz .LBB103_1098
.LBB103_38:
	s_or_b64 exec, exec, s[10:11]
	s_and_saveexec_b64 s[0:1], s[2:3]
.LBB103_39:
	v_lshl_add_u32 v4, v5, 8, v4
	ds_write_b32 v4, v11
.LBB103_40:
	s_or_b64 exec, exec, s[0:1]
	v_add_u32_e32 v4, 48, v1
	v_cmp_gt_u32_e64 s[0:1], v0, v4
	v_cmp_gt_i32_e64 s[2:3], s7, v4
	s_and_b64 s[0:1], s[0:1], s[2:3]
	s_and_b64 s[2:3], s[0:1], vcc
	s_mov_b64 s[0:1], -1
	s_xor_b64 s[10:11], s[2:3], -1
	s_and_saveexec_b64 s[2:3], s[10:11]
; %bb.41:
	v_or_b32_e32 v5, v4, v0
	v_cmp_gt_u32_e32 vcc, 64, v5
	s_andn2_b64 s[0:1], s[8:9], exec
	s_and_b64 s[8:9], vcc, exec
	s_or_b64 s[8:9], s[0:1], s[8:9]
	s_xor_b64 s[0:1], exec, -1
; %bb.42:
	s_or_b64 exec, exec, s[2:3]
	v_lshl_add_u32 v5, v4, 6, v0
.LBB103_43:
	v_mov_b32_e32 v11, 0
	s_and_saveexec_b64 s[2:3], s[0:1]
	s_cbranch_execnz .LBB103_1065
; %bb.44:
	s_or_b64 exec, exec, s[2:3]
	s_and_saveexec_b64 s[0:1], s[8:9]
.LBB103_45:
	v_lshlrev_b32_e32 v2, 2, v5
	ds_write_b32 v2, v11
.LBB103_46:
	s_or_b64 exec, exec, s[0:1]
	s_cmp_lt_i32 s6, 5
	s_cselect_b64 s[0:1], -1, 0
	s_or_b64 s[30:31], s[0:1], s[18:19]
	s_and_b64 vcc, exec, s[30:31]
	s_waitcnt vmcnt(0) lgkmcnt(0)
	s_barrier
	s_cbranch_vccnz .LBB103_1022
; %bb.47:
	v_or_b32_e32 v2, v0, v1
	v_cmp_eq_u32_e32 vcc, 0, v2
	s_and_saveexec_b64 s[0:1], vcc
; %bb.48:
	v_mov_b32_e32 v2, 1.0
	v_mov_b32_e32 v3, 0
	ds_write2_b32 v3, v2, v2 offset1:65
; %bb.49:
	s_or_b64 exec, exec, s[0:1]
	v_lshl_add_u32 v4, v1, 6, v0
	v_and_b32_e32 v12, 1, v0
	v_lshrrev_b32_e32 v5, 1, v4
	v_lshlrev_b32_e32 v2, 2, v12
	v_cmp_lt_u32_e64 s[2:3], 3, v4
	v_cmp_gt_u32_e64 s[0:1], 4, v4
	v_lshl_or_b32 v2, v5, 8, v2
	v_mov_b32_e32 v11, 0
	s_waitcnt lgkmcnt(0)
	s_barrier
	s_and_saveexec_b64 s[10:11], s[0:1]
	s_cbranch_execz .LBB103_53
; %bb.50:
	v_mul_u32_u24_e32 v3, 0x104, v5
	ds_read_b32 v13, v2 offset:8
	ds_read_b32 v3, v3
	v_mov_b32_e32 v11, 0
	v_cmp_gt_u32_e64 s[8:9], 2, v4
	s_waitcnt lgkmcnt(0)
	v_fma_f32 v3, v13, v3, 0
	s_and_saveexec_b64 s[12:13], s[8:9]
	s_cbranch_execz .LBB103_52
; %bb.51:
	v_lshlrev_b32_e32 v13, 2, v0
	ds_read_b32 v13, v13 offset:264
	ds_read_b32 v11, v11 offset:4
	s_waitcnt lgkmcnt(0)
	v_fmac_f32_e32 v3, v13, v11
.LBB103_52:
	s_or_b64 exec, exec, s[12:13]
	v_xor_b32_e32 v11, 0x80000000, v3
.LBB103_53:
	s_or_b64 exec, exec, s[10:11]
	v_mov_b32_e32 v3, 0x4000
	v_cmp_eq_u32_e64 s[8:9], 0, v12
	s_xor_b64 s[10:11], s[2:3], -1
	v_lshl_add_u32 v3, v5, 2, v3
	s_and_b64 s[36:37], s[8:9], s[10:11]
	s_and_saveexec_b64 s[2:3], s[36:37]
; %bb.54:
	ds_write_b32 v3, v11
; %bb.55:
	s_or_b64 exec, exec, s[2:3]
	v_cmp_ne_u32_e64 s[2:3], 0, v12
	s_and_b64 s[34:35], s[2:3], s[10:11]
	s_waitcnt lgkmcnt(0)
	s_barrier
	s_and_saveexec_b64 s[2:3], s[34:35]
	s_cbranch_execz .LBB103_57
; %bb.56:
	v_mov_b32_e32 v12, 0
	ds_read_b32 v12, v12 offset:524
	ds_read_b32 v13, v3
	s_waitcnt lgkmcnt(0)
	v_fmac_f32_e32 v11, v12, v13
.LBB103_57:
	s_or_b64 exec, exec, s[2:3]
	s_barrier
	s_and_saveexec_b64 s[2:3], s[34:35]
; %bb.58:
	ds_write_b32 v3, v11
; %bb.59:
	s_or_b64 exec, exec, s[2:3]
	s_waitcnt lgkmcnt(0)
	s_barrier
	s_barrier
	s_and_saveexec_b64 s[2:3], s[0:1]
; %bb.60:
	v_xor_b32_e32 v11, 0x80000000, v11
	ds_write_b32 v2, v11 offset:8
; %bb.61:
	s_or_b64 exec, exec, s[2:3]
	s_waitcnt lgkmcnt(0)
	s_barrier
	s_barrier
	s_and_saveexec_b64 s[2:3], vcc
; %bb.62:
	v_mov_b32_e32 v11, 1.0
	v_mov_b32_e32 v12, 0
	ds_write2_b32 v12, v11, v11 offset0:130 offset1:195
; %bb.63:
	s_or_b64 exec, exec, s[2:3]
	v_and_b32_e32 v14, 3, v0
	v_lshrrev_b32_e32 v15, 2, v4
	v_lshlrev_b32_e32 v12, 2, v14
	v_cmp_lt_u32_e64 s[8:9], 15, v4
	v_cmp_gt_u32_e64 s[2:3], 16, v4
	v_lshl_or_b32 v11, v15, 8, v12
	v_mov_b32_e32 v16, 0
	s_waitcnt lgkmcnt(0)
	s_barrier
	s_and_saveexec_b64 s[12:13], s[2:3]
	s_cbranch_execz .LBB103_69
; %bb.64:
	v_mul_u32_u24_e32 v16, 0x104, v15
	ds_read_b32 v13, v11 offset:16
	ds_read_b32 v17, v16
	v_cmp_gt_u32_e64 s[10:11], 12, v4
	s_waitcnt lgkmcnt(0)
	v_fma_f32 v13, v13, v17, 0
	s_and_saveexec_b64 s[14:15], s[10:11]
	s_cbranch_execnz .LBB103_1110
; %bb.65:
	s_or_b64 exec, exec, s[14:15]
	v_cmp_gt_u32_e64 s[10:11], 8, v4
	s_and_saveexec_b64 s[14:15], s[10:11]
	s_cbranch_execnz .LBB103_1111
.LBB103_66:
	s_or_b64 exec, exec, s[14:15]
	v_cmp_gt_u32_e64 s[10:11], 4, v4
	s_and_saveexec_b64 s[14:15], s[10:11]
	s_cbranch_execz .LBB103_68
.LBB103_67:
	v_lshlrev_b32_e32 v16, 2, v0
	v_mov_b32_e32 v17, 0
	ds_read_b32 v16, v16 offset:784
	ds_read_b32 v17, v17 offset:12
	s_waitcnt lgkmcnt(0)
	v_fmac_f32_e32 v13, v16, v17
.LBB103_68:
	s_or_b64 exec, exec, s[14:15]
	v_xor_b32_e32 v16, 0x80000000, v13
.LBB103_69:
                                        ; implicit-def: $vgpr34 : SGPR spill to VGPR lane
	v_writelane_b32 v34, s41, 0
	s_or_b64 exec, exec, s[12:13]
	v_mov_b32_e32 v13, 0x4000
	v_cmp_eq_u32_e64 s[10:11], 0, v14
	s_xor_b64 s[12:13], s[8:9], -1
	v_lshl_add_u32 v13, v15, 2, v13
	s_and_b64 s[40:41], s[10:11], s[12:13]
	s_and_saveexec_b64 s[8:9], s[40:41]
; %bb.70:
	ds_write_b32 v13, v16
; %bb.71:
	s_or_b64 exec, exec, s[8:9]
	v_cmp_ne_u32_e64 s[8:9], 0, v14
	s_and_b64 s[42:43], s[8:9], s[12:13]
	s_waitcnt lgkmcnt(0)
	s_barrier
	s_and_saveexec_b64 s[8:9], s[42:43]
	s_cbranch_execz .LBB103_73
; %bb.72:
	ds_read_b32 v17, v12 offset:1040
	ds_read_b32 v18, v13
	s_waitcnt lgkmcnt(0)
	v_fmac_f32_e32 v16, v17, v18
.LBB103_73:
	s_or_b64 exec, exec, s[8:9]
	v_cmp_eq_u32_e64 s[8:9], 1, v14
	s_and_b64 s[44:45], s[8:9], s[12:13]
	s_barrier
	s_and_saveexec_b64 s[8:9], s[44:45]
; %bb.74:
	ds_write_b32 v13, v16
; %bb.75:
	s_or_b64 exec, exec, s[8:9]
	v_cmp_lt_u32_e64 s[8:9], 1, v14
	s_and_b64 s[46:47], s[8:9], s[12:13]
	s_waitcnt lgkmcnt(0)
	s_barrier
	s_and_saveexec_b64 s[8:9], s[46:47]
	s_cbranch_execz .LBB103_77
; %bb.76:
	ds_read_b32 v17, v12 offset:1296
	ds_read_b32 v18, v13
	s_waitcnt lgkmcnt(0)
	v_fmac_f32_e32 v16, v17, v18
.LBB103_77:
	s_or_b64 exec, exec, s[8:9]
	v_cmp_eq_u32_e64 s[8:9], 2, v14
	s_and_b64 s[48:49], s[8:9], s[12:13]
	s_barrier
	s_and_saveexec_b64 s[8:9], s[48:49]
; %bb.78:
	ds_write_b32 v13, v16
; %bb.79:
	s_or_b64 exec, exec, s[8:9]
	v_cmp_eq_u32_e64 s[8:9], 3, v14
	s_and_b64 s[38:39], s[8:9], s[12:13]
	s_waitcnt lgkmcnt(0)
	s_barrier
	s_and_saveexec_b64 s[8:9], s[38:39]
	s_cbranch_execz .LBB103_81
; %bb.80:
	v_mov_b32_e32 v17, 0
	ds_read_b32 v17, v17 offset:1564
	ds_read_b32 v18, v13
	s_waitcnt lgkmcnt(0)
	v_fmac_f32_e32 v16, v17, v18
.LBB103_81:
	s_or_b64 exec, exec, s[8:9]
	s_barrier
	s_and_saveexec_b64 s[8:9], s[38:39]
; %bb.82:
	ds_write_b32 v13, v16
; %bb.83:
	s_or_b64 exec, exec, s[8:9]
	s_waitcnt lgkmcnt(0)
	s_barrier
	s_barrier
	s_and_saveexec_b64 s[8:9], s[2:3]
; %bb.84:
	v_xor_b32_e32 v16, 0x80000000, v16
	ds_write_b32 v11, v16 offset:16
; %bb.85:
	s_or_b64 exec, exec, s[8:9]
	s_waitcnt lgkmcnt(0)
	s_barrier
	s_barrier
	s_and_saveexec_b64 s[8:9], vcc
; %bb.86:
	s_movk_i32 s10, 0x400
	v_mov_b32_e32 v16, 1.0
	v_add_u32_e64 v17, s10, 0
	ds_write2_b32 v17, v16, v16 offset0:4 offset1:69
; %bb.87:
	s_or_b64 exec, exec, s[8:9]
	v_mov_b32_e32 v16, 0
	s_waitcnt lgkmcnt(0)
	s_barrier
	s_and_saveexec_b64 s[10:11], s[0:1]
	s_cbranch_execz .LBB103_91
; %bb.88:
	v_mul_u32_u24_e32 v16, 0x104, v5
	ds_read_b32 v18, v2 offset:1048
	ds_read_b32 v16, v16 offset:1040
	v_mov_b32_e32 v17, 0
	v_cmp_gt_u32_e64 s[8:9], 2, v4
	s_waitcnt lgkmcnt(0)
	v_fma_f32 v16, v18, v16, 0
	s_and_saveexec_b64 s[12:13], s[8:9]
	s_cbranch_execz .LBB103_90
; %bb.89:
	v_lshlrev_b32_e32 v18, 2, v0
	ds_read_b32 v18, v18 offset:1304
	ds_read_b32 v17, v17 offset:1044
	s_waitcnt lgkmcnt(0)
	v_fmac_f32_e32 v16, v18, v17
.LBB103_90:
	s_or_b64 exec, exec, s[12:13]
	v_xor_b32_e32 v16, 0x80000000, v16
.LBB103_91:
	s_or_b64 exec, exec, s[10:11]
	s_and_saveexec_b64 s[8:9], s[36:37]
; %bb.92:
	ds_write_b32 v3, v16
; %bb.93:
	s_or_b64 exec, exec, s[8:9]
	s_waitcnt lgkmcnt(0)
	s_barrier
	s_and_saveexec_b64 s[8:9], s[34:35]
	s_cbranch_execz .LBB103_95
; %bb.94:
	v_mov_b32_e32 v17, 0
	ds_read_b32 v17, v17 offset:1564
	ds_read_b32 v18, v3
	s_waitcnt lgkmcnt(0)
	v_fmac_f32_e32 v16, v17, v18
.LBB103_95:
	s_or_b64 exec, exec, s[8:9]
	s_barrier
	s_and_saveexec_b64 s[8:9], s[34:35]
; %bb.96:
	ds_write_b32 v3, v16
; %bb.97:
	s_or_b64 exec, exec, s[8:9]
	s_waitcnt lgkmcnt(0)
	s_barrier
	s_barrier
	s_and_saveexec_b64 s[8:9], s[0:1]
; %bb.98:
	v_xor_b32_e32 v16, 0x80000000, v16
	ds_write_b32 v2, v16 offset:1048
; %bb.99:
	s_or_b64 exec, exec, s[8:9]
	s_waitcnt lgkmcnt(0)
	s_barrier
	s_barrier
	s_and_saveexec_b64 s[8:9], vcc
; %bb.100:
	s_movk_i32 s10, 0x400
	v_mov_b32_e32 v16, 1.0
	v_add_u32_e64 v17, s10, 0
	ds_write2_b32 v17, v16, v16 offset0:134 offset1:199
; %bb.101:
	s_or_b64 exec, exec, s[8:9]
	v_and_b32_e32 v19, 7, v0
	v_lshrrev_b32_e32 v20, 3, v4
	v_lshlrev_b32_e32 v17, 2, v19
	v_cmp_lt_u32_e64 s[8:9], 63, v4
	v_cmp_gt_u32_e64 s[14:15], 64, v4
	v_lshl_or_b32 v16, v20, 8, v17
	v_mov_b32_e32 v21, 0
	s_waitcnt lgkmcnt(0)
	s_barrier
	s_and_saveexec_b64 s[12:13], s[14:15]
	s_cbranch_execz .LBB103_111
; %bb.102:
	v_mul_u32_u24_e32 v21, 0x104, v20
	ds_read_b32 v18, v16 offset:32
	ds_read_b32 v22, v21
	v_cmp_gt_u32_e64 s[10:11], 56, v4
	s_waitcnt lgkmcnt(0)
	v_fma_f32 v18, v18, v22, 0
	s_and_saveexec_b64 s[16:17], s[10:11]
	s_cbranch_execnz .LBB103_1112
; %bb.103:
	s_or_b64 exec, exec, s[16:17]
	v_cmp_gt_u32_e64 s[10:11], 48, v4
	s_and_saveexec_b64 s[16:17], s[10:11]
	s_cbranch_execnz .LBB103_1113
.LBB103_104:
	s_or_b64 exec, exec, s[16:17]
	v_cmp_gt_u32_e64 s[10:11], 40, v4
	s_and_saveexec_b64 s[16:17], s[10:11]
	s_cbranch_execnz .LBB103_1114
.LBB103_105:
	s_or_b64 exec, exec, s[16:17]
	v_cmp_gt_u32_e64 s[10:11], 32, v4
	s_and_saveexec_b64 s[16:17], s[10:11]
	s_cbranch_execnz .LBB103_1115
.LBB103_106:
	s_or_b64 exec, exec, s[16:17]
	v_cmp_gt_u32_e64 s[10:11], 24, v4
	s_and_saveexec_b64 s[16:17], s[10:11]
	s_cbranch_execnz .LBB103_1116
.LBB103_107:
	s_or_b64 exec, exec, s[16:17]
	v_cmp_gt_u32_e64 s[10:11], 16, v4
	s_and_saveexec_b64 s[16:17], s[10:11]
	s_cbranch_execnz .LBB103_1117
.LBB103_108:
	s_or_b64 exec, exec, s[16:17]
	v_cmp_gt_u32_e64 s[10:11], 8, v4
	s_and_saveexec_b64 s[16:17], s[10:11]
	s_cbranch_execz .LBB103_110
.LBB103_109:
	v_lshlrev_b32_e32 v21, 2, v0
	v_mov_b32_e32 v22, 0
	ds_read_b32 v21, v21 offset:1824
	ds_read_b32 v22, v22 offset:28
	s_waitcnt lgkmcnt(0)
	v_fmac_f32_e32 v18, v21, v22
.LBB103_110:
	s_or_b64 exec, exec, s[16:17]
	v_xor_b32_e32 v21, 0x80000000, v18
.LBB103_111:
	s_or_b64 exec, exec, s[12:13]
	v_mov_b32_e32 v18, 0x4000
	v_cmp_eq_u32_e64 s[10:11], 0, v19
	s_xor_b64 s[12:13], s[8:9], -1
	v_lshl_add_u32 v18, v20, 2, v18
	s_and_b64 s[50:51], s[10:11], s[12:13]
	s_and_saveexec_b64 s[8:9], s[50:51]
; %bb.112:
	ds_write_b32 v18, v21
; %bb.113:
	s_or_b64 exec, exec, s[8:9]
	v_cmp_ne_u32_e64 s[8:9], 0, v19
	s_and_b64 s[52:53], s[8:9], s[12:13]
	s_waitcnt lgkmcnt(0)
	s_barrier
	s_and_saveexec_b64 s[8:9], s[52:53]
	s_cbranch_execz .LBB103_115
; %bb.114:
	ds_read_b32 v22, v17 offset:2080
	ds_read_b32 v23, v18
	s_waitcnt lgkmcnt(0)
	v_fmac_f32_e32 v21, v22, v23
.LBB103_115:
	s_or_b64 exec, exec, s[8:9]
	v_cmp_eq_u32_e64 s[8:9], 1, v19
	s_and_b64 s[54:55], s[8:9], s[12:13]
	s_barrier
	s_and_saveexec_b64 s[8:9], s[54:55]
; %bb.116:
	ds_write_b32 v18, v21
; %bb.117:
	s_or_b64 exec, exec, s[8:9]
	v_cmp_lt_u32_e64 s[8:9], 1, v19
	s_and_b64 s[56:57], s[8:9], s[12:13]
	s_waitcnt lgkmcnt(0)
	s_barrier
	s_and_saveexec_b64 s[8:9], s[56:57]
	s_cbranch_execz .LBB103_119
; %bb.118:
	ds_read_b32 v22, v17 offset:2336
	ds_read_b32 v23, v18
	s_waitcnt lgkmcnt(0)
	v_fmac_f32_e32 v21, v22, v23
.LBB103_119:
	s_or_b64 exec, exec, s[8:9]
	v_cmp_eq_u32_e64 s[8:9], 2, v19
	s_and_b64 s[60:61], s[8:9], s[12:13]
	s_barrier
	s_and_saveexec_b64 s[8:9], s[60:61]
; %bb.120:
	ds_write_b32 v18, v21
; %bb.121:
	s_or_b64 exec, exec, s[8:9]
	v_cmp_lt_u32_e64 s[8:9], 2, v19
	;; [unrolled: 21-line block ×5, first 2 shown]
	s_and_b64 s[74:75], s[8:9], s[12:13]
	s_waitcnt lgkmcnt(0)
	s_barrier
	s_and_saveexec_b64 s[8:9], s[74:75]
	s_cbranch_execz .LBB103_135
; %bb.134:
	ds_read_b32 v22, v17 offset:3360
	ds_read_b32 v23, v18
	s_waitcnt lgkmcnt(0)
	v_fmac_f32_e32 v21, v22, v23
.LBB103_135:
	s_or_b64 exec, exec, s[8:9]
	v_cmp_eq_u32_e64 s[8:9], 6, v19
	s_and_b64 s[76:77], s[8:9], s[12:13]
	s_barrier
	s_and_saveexec_b64 s[8:9], s[76:77]
; %bb.136:
	ds_write_b32 v18, v21
; %bb.137:
	s_or_b64 exec, exec, s[8:9]
	v_cmp_eq_u32_e64 s[8:9], 7, v19
	s_and_b64 s[58:59], s[8:9], s[12:13]
	s_waitcnt lgkmcnt(0)
	s_barrier
	s_and_saveexec_b64 s[8:9], s[58:59]
	s_cbranch_execz .LBB103_139
; %bb.138:
	v_mov_b32_e32 v22, 0
	ds_read_b32 v22, v22 offset:3644
	ds_read_b32 v23, v18
	s_waitcnt lgkmcnt(0)
	v_fmac_f32_e32 v21, v22, v23
.LBB103_139:
	s_or_b64 exec, exec, s[8:9]
	s_barrier
	s_and_saveexec_b64 s[8:9], s[58:59]
; %bb.140:
	ds_write_b32 v18, v21
; %bb.141:
	s_or_b64 exec, exec, s[8:9]
	s_waitcnt lgkmcnt(0)
	s_barrier
	s_barrier
	s_and_saveexec_b64 s[8:9], s[14:15]
; %bb.142:
	v_xor_b32_e32 v21, 0x80000000, v21
	ds_write_b32 v16, v21 offset:32
; %bb.143:
	s_or_b64 exec, exec, s[8:9]
	s_waitcnt lgkmcnt(0)
	s_barrier
	s_barrier
	s_and_saveexec_b64 s[8:9], vcc
; %bb.144:
	s_movk_i32 s10, 0x800
	v_mov_b32_e32 v21, 1.0
	v_add_u32_e64 v22, s10, 0
	ds_write2_b32 v22, v21, v21 offset0:8 offset1:73
; %bb.145:
	s_or_b64 exec, exec, s[8:9]
	v_mov_b32_e32 v21, 0
	s_waitcnt lgkmcnt(0)
	s_barrier
	s_and_saveexec_b64 s[10:11], s[0:1]
	s_cbranch_execz .LBB103_149
; %bb.146:
	v_mul_u32_u24_e32 v21, 0x104, v5
	ds_read_b32 v23, v2 offset:2088
	ds_read_b32 v21, v21 offset:2080
	v_mov_b32_e32 v22, 0
	v_cmp_gt_u32_e64 s[8:9], 2, v4
	s_waitcnt lgkmcnt(0)
	v_fma_f32 v21, v23, v21, 0
	s_and_saveexec_b64 s[12:13], s[8:9]
	s_cbranch_execz .LBB103_148
; %bb.147:
	v_lshlrev_b32_e32 v23, 2, v0
	ds_read_b32 v23, v23 offset:2344
	ds_read_b32 v22, v22 offset:2084
	s_waitcnt lgkmcnt(0)
	v_fmac_f32_e32 v21, v23, v22
.LBB103_148:
	s_or_b64 exec, exec, s[12:13]
	v_xor_b32_e32 v21, 0x80000000, v21
.LBB103_149:
	s_or_b64 exec, exec, s[10:11]
	s_and_saveexec_b64 s[8:9], s[36:37]
; %bb.150:
	ds_write_b32 v3, v21
; %bb.151:
	s_or_b64 exec, exec, s[8:9]
	s_waitcnt lgkmcnt(0)
	s_barrier
	s_and_saveexec_b64 s[8:9], s[34:35]
	s_cbranch_execz .LBB103_153
; %bb.152:
	v_mov_b32_e32 v22, 0
	ds_read_b32 v22, v22 offset:2604
	ds_read_b32 v23, v3
	s_waitcnt lgkmcnt(0)
	v_fmac_f32_e32 v21, v22, v23
.LBB103_153:
	s_or_b64 exec, exec, s[8:9]
	s_barrier
	s_and_saveexec_b64 s[8:9], s[34:35]
; %bb.154:
	ds_write_b32 v3, v21
; %bb.155:
	s_or_b64 exec, exec, s[8:9]
	s_waitcnt lgkmcnt(0)
	s_barrier
	s_barrier
	s_and_saveexec_b64 s[8:9], s[0:1]
; %bb.156:
	v_xor_b32_e32 v21, 0x80000000, v21
	ds_write_b32 v2, v21 offset:2088
; %bb.157:
	s_or_b64 exec, exec, s[8:9]
	s_waitcnt lgkmcnt(0)
	s_barrier
	s_barrier
	s_and_saveexec_b64 s[8:9], vcc
; %bb.158:
	s_movk_i32 s10, 0x800
	v_mov_b32_e32 v21, 1.0
	v_add_u32_e64 v22, s10, 0
	ds_write2_b32 v22, v21, v21 offset0:138 offset1:203
; %bb.159:
	s_or_b64 exec, exec, s[8:9]
	v_mov_b32_e32 v21, 0
	s_waitcnt lgkmcnt(0)
	s_barrier
	s_and_saveexec_b64 s[10:11], s[2:3]
	s_cbranch_execz .LBB103_165
; %bb.160:
	v_mul_u32_u24_e32 v22, 0x104, v15
	ds_read_b32 v21, v11 offset:2096
	ds_read_b32 v23, v22 offset:2080
	v_cmp_gt_u32_e64 s[8:9], 12, v4
	s_waitcnt lgkmcnt(0)
	v_fma_f32 v21, v21, v23, 0
	s_and_saveexec_b64 s[12:13], s[8:9]
	s_cbranch_execnz .LBB103_1118
; %bb.161:
	s_or_b64 exec, exec, s[12:13]
	v_cmp_gt_u32_e64 s[8:9], 8, v4
	s_and_saveexec_b64 s[12:13], s[8:9]
	s_cbranch_execnz .LBB103_1119
.LBB103_162:
	s_or_b64 exec, exec, s[12:13]
	v_cmp_gt_u32_e64 s[8:9], 4, v4
	s_and_saveexec_b64 s[12:13], s[8:9]
	s_cbranch_execz .LBB103_164
.LBB103_163:
	v_lshlrev_b32_e32 v22, 2, v0
	v_mov_b32_e32 v23, 0
	ds_read_b32 v22, v22 offset:2864
	ds_read_b32 v23, v23 offset:2092
	s_waitcnt lgkmcnt(0)
	v_fmac_f32_e32 v21, v22, v23
.LBB103_164:
	s_or_b64 exec, exec, s[12:13]
	v_xor_b32_e32 v21, 0x80000000, v21
.LBB103_165:
	s_or_b64 exec, exec, s[10:11]
	s_and_saveexec_b64 s[8:9], s[40:41]
; %bb.166:
	ds_write_b32 v13, v21
; %bb.167:
	s_or_b64 exec, exec, s[8:9]
	s_waitcnt lgkmcnt(0)
	s_barrier
	s_and_saveexec_b64 s[8:9], s[42:43]
	s_cbranch_execz .LBB103_169
; %bb.168:
	ds_read_b32 v22, v12 offset:3120
	ds_read_b32 v23, v13
	s_waitcnt lgkmcnt(0)
	v_fmac_f32_e32 v21, v22, v23
.LBB103_169:
	s_or_b64 exec, exec, s[8:9]
	s_barrier
	s_and_saveexec_b64 s[8:9], s[44:45]
; %bb.170:
	ds_write_b32 v13, v21
; %bb.171:
	s_or_b64 exec, exec, s[8:9]
	s_waitcnt lgkmcnt(0)
	s_barrier
	s_and_saveexec_b64 s[8:9], s[46:47]
	s_cbranch_execz .LBB103_173
; %bb.172:
	ds_read_b32 v22, v12 offset:3376
	ds_read_b32 v23, v13
	s_waitcnt lgkmcnt(0)
	v_fmac_f32_e32 v21, v22, v23
.LBB103_173:
	s_or_b64 exec, exec, s[8:9]
	s_barrier
	s_and_saveexec_b64 s[8:9], s[48:49]
; %bb.174:
	ds_write_b32 v13, v21
; %bb.175:
	s_or_b64 exec, exec, s[8:9]
	s_waitcnt lgkmcnt(0)
	s_barrier
	s_and_saveexec_b64 s[8:9], s[38:39]
	s_cbranch_execz .LBB103_177
; %bb.176:
	v_mov_b32_e32 v22, 0
	ds_read_b32 v22, v22 offset:3644
	ds_read_b32 v23, v13
	s_waitcnt lgkmcnt(0)
	v_fmac_f32_e32 v21, v22, v23
.LBB103_177:
	s_or_b64 exec, exec, s[8:9]
	s_barrier
	s_and_saveexec_b64 s[8:9], s[38:39]
; %bb.178:
	ds_write_b32 v13, v21
; %bb.179:
	s_or_b64 exec, exec, s[8:9]
	s_waitcnt lgkmcnt(0)
	s_barrier
	s_barrier
	s_and_saveexec_b64 s[8:9], s[2:3]
; %bb.180:
	v_xor_b32_e32 v21, 0x80000000, v21
	ds_write_b32 v11, v21 offset:2096
; %bb.181:
	s_or_b64 exec, exec, s[8:9]
	s_waitcnt lgkmcnt(0)
	s_barrier
	s_barrier
	s_and_saveexec_b64 s[8:9], vcc
; %bb.182:
	s_movk_i32 s10, 0xc00
	v_mov_b32_e32 v21, 1.0
	v_add_u32_e64 v22, s10, 0
	ds_write2_b32 v22, v21, v21 offset0:12 offset1:77
; %bb.183:
	s_or_b64 exec, exec, s[8:9]
	v_mov_b32_e32 v21, 0
	s_waitcnt lgkmcnt(0)
	s_barrier
	s_and_saveexec_b64 s[10:11], s[0:1]
	s_cbranch_execz .LBB103_187
; %bb.184:
	v_mul_u32_u24_e32 v21, 0x104, v5
	ds_read_b32 v23, v2 offset:3128
	ds_read_b32 v21, v21 offset:3120
	v_mov_b32_e32 v22, 0
	v_cmp_gt_u32_e64 s[8:9], 2, v4
	s_waitcnt lgkmcnt(0)
	v_fma_f32 v21, v23, v21, 0
	s_and_saveexec_b64 s[12:13], s[8:9]
	s_cbranch_execz .LBB103_186
; %bb.185:
	v_lshlrev_b32_e32 v23, 2, v0
	ds_read_b32 v23, v23 offset:3384
	ds_read_b32 v22, v22 offset:3124
	s_waitcnt lgkmcnt(0)
	v_fmac_f32_e32 v21, v23, v22
.LBB103_186:
	s_or_b64 exec, exec, s[12:13]
	v_xor_b32_e32 v21, 0x80000000, v21
.LBB103_187:
	s_or_b64 exec, exec, s[10:11]
	s_and_saveexec_b64 s[8:9], s[36:37]
; %bb.188:
	ds_write_b32 v3, v21
; %bb.189:
	s_or_b64 exec, exec, s[8:9]
	s_waitcnt lgkmcnt(0)
	s_barrier
	s_and_saveexec_b64 s[8:9], s[34:35]
	s_cbranch_execz .LBB103_191
; %bb.190:
	v_mov_b32_e32 v22, 0
	ds_read_b32 v22, v22 offset:3644
	ds_read_b32 v23, v3
	s_waitcnt lgkmcnt(0)
	v_fmac_f32_e32 v21, v22, v23
.LBB103_191:
	s_or_b64 exec, exec, s[8:9]
	s_barrier
	s_and_saveexec_b64 s[8:9], s[34:35]
; %bb.192:
	ds_write_b32 v3, v21
; %bb.193:
	s_or_b64 exec, exec, s[8:9]
	s_waitcnt lgkmcnt(0)
	s_barrier
	s_barrier
	s_and_saveexec_b64 s[8:9], s[0:1]
; %bb.194:
	v_xor_b32_e32 v21, 0x80000000, v21
	ds_write_b32 v2, v21 offset:3128
; %bb.195:
	s_or_b64 exec, exec, s[8:9]
	s_waitcnt lgkmcnt(0)
	s_barrier
	s_barrier
	s_and_saveexec_b64 s[8:9], vcc
; %bb.196:
	s_movk_i32 s10, 0xc00
	v_mov_b32_e32 v21, 1.0
	v_add_u32_e64 v22, s10, 0
	ds_write2_b32 v22, v21, v21 offset0:142 offset1:207
; %bb.197:
	s_or_b64 exec, exec, s[8:9]
	v_lshrrev_b32_e32 v25, 4, v4
	v_and_b32_e32 v22, 15, v0
	s_movk_i32 s8, 0xff
	v_lshlrev_b32_e32 v24, 6, v25
	v_cmp_lt_u32_e64 s[10:11], s8, v4
	s_movk_i32 s8, 0x100
	v_or_b32_e32 v21, v24, v22
	v_cmp_gt_u32_e64 s[8:9], s8, v4
	v_lshlrev_b32_e32 v21, 2, v21
	v_mov_b32_e32 v26, 0
	s_waitcnt lgkmcnt(0)
	s_barrier
	s_and_saveexec_b64 s[16:17], s[8:9]
	s_cbranch_execz .LBB103_225
; %bb.198:
	v_mul_u32_u24_e32 v26, 0x104, v25
	ds_read_b32 v23, v21 offset:64
	ds_read_b32 v27, v26
	s_movk_i32 s12, 0xf0
	v_cmp_gt_u32_e64 s[12:13], s12, v4
	s_waitcnt lgkmcnt(0)
	v_fma_f32 v23, v23, v27, 0
	s_and_saveexec_b64 s[78:79], s[12:13]
	s_cbranch_execz .LBB103_200
; %bb.199:
	v_lshlrev_b32_e32 v27, 2, v25
	v_sub_u32_e32 v27, v26, v27
	v_lshl_add_u32 v27, v22, 2, v27
	ds_read_b32 v27, v27 offset:320
	ds_read_b32 v28, v26 offset:4
	s_waitcnt lgkmcnt(0)
	v_fmac_f32_e32 v23, v27, v28
.LBB103_200:
	s_or_b64 exec, exec, s[78:79]
	s_movk_i32 s12, 0xe0
	v_cmp_gt_u32_e64 s[12:13], s12, v4
	s_and_saveexec_b64 s[78:79], s[12:13]
	s_cbranch_execz .LBB103_202
; %bb.201:
	v_lshlrev_b32_e32 v27, 2, v25
	v_sub_u32_e32 v27, v26, v27
	v_lshl_add_u32 v27, v22, 2, v27
	ds_read_b32 v27, v27 offset:576
	ds_read_b32 v28, v26 offset:8
	s_waitcnt lgkmcnt(0)
	v_fmac_f32_e32 v23, v27, v28
.LBB103_202:
	s_or_b64 exec, exec, s[78:79]
	s_movk_i32 s12, 0xd0
	v_cmp_gt_u32_e64 s[12:13], s12, v4
	;; [unrolled: 14-line block ×7, first 2 shown]
	s_and_saveexec_b64 s[78:79], s[12:13]
	s_cbranch_execz .LBB103_214
; %bb.213:
	ds_read_b32 v27, v21 offset:2112
	ds_read_b32 v28, v26 offset:32
	s_waitcnt lgkmcnt(0)
	v_fmac_f32_e32 v23, v27, v28
.LBB103_214:
	s_or_b64 exec, exec, s[78:79]
	s_movk_i32 s12, 0x70
	v_cmp_gt_u32_e64 s[12:13], s12, v4
	s_and_saveexec_b64 s[78:79], s[12:13]
	s_cbranch_execz .LBB103_216
; %bb.215:
	v_lshlrev_b32_e32 v27, 2, v25
	v_sub_u32_e32 v27, v26, v27
	v_lshl_add_u32 v27, v22, 2, v27
	ds_read_b32 v27, v27 offset:2368
	ds_read_b32 v28, v26 offset:36
	s_waitcnt lgkmcnt(0)
	v_fmac_f32_e32 v23, v27, v28
.LBB103_216:
	s_or_b64 exec, exec, s[78:79]
	s_movk_i32 s12, 0x60
	v_cmp_gt_u32_e64 s[12:13], s12, v4
	s_and_saveexec_b64 s[78:79], s[12:13]
	s_cbranch_execz .LBB103_218
; %bb.217:
	v_lshlrev_b32_e32 v27, 2, v22
	v_lshl_add_u32 v27, v24, 2, v27
	ds_read_b32 v27, v27 offset:2624
	ds_read_b32 v28, v26 offset:40
	s_waitcnt lgkmcnt(0)
	v_fmac_f32_e32 v23, v27, v28
.LBB103_218:
	s_or_b64 exec, exec, s[78:79]
	s_movk_i32 s12, 0x50
	v_cmp_gt_u32_e64 s[12:13], s12, v4
	s_and_saveexec_b64 s[78:79], s[12:13]
	s_cbranch_execnz .LBB103_1120
; %bb.219:
	s_or_b64 exec, exec, s[78:79]
	v_cmp_gt_u32_e64 s[12:13], 64, v4
	s_and_saveexec_b64 s[78:79], s[12:13]
	s_cbranch_execnz .LBB103_1121
.LBB103_220:
	s_or_b64 exec, exec, s[78:79]
	v_cmp_gt_u32_e64 s[12:13], 48, v4
	s_and_saveexec_b64 s[78:79], s[12:13]
	s_cbranch_execnz .LBB103_1122
.LBB103_221:
	s_or_b64 exec, exec, s[78:79]
	v_cmp_gt_u32_e64 s[12:13], 32, v4
	s_and_saveexec_b64 s[78:79], s[12:13]
	s_cbranch_execnz .LBB103_1123
.LBB103_222:
	s_or_b64 exec, exec, s[78:79]
	v_cmp_gt_u32_e64 s[12:13], 16, v4
	s_and_saveexec_b64 s[78:79], s[12:13]
	s_cbranch_execz .LBB103_224
.LBB103_223:
	v_lshlrev_b32_e32 v26, 2, v0
	v_mov_b32_e32 v27, 0
	ds_read_b32 v26, v26 offset:3904
	ds_read_b32 v27, v27 offset:60
	s_waitcnt lgkmcnt(0)
	v_fmac_f32_e32 v23, v26, v27
.LBB103_224:
	s_or_b64 exec, exec, s[78:79]
	v_xor_b32_e32 v26, 0x80000000, v23
.LBB103_225:
	s_or_b64 exec, exec, s[16:17]
	v_mov_b32_e32 v23, 0x4000
	v_lshl_add_u32 v23, v25, 2, v23
	v_cmp_eq_u32_e64 s[12:13], 0, v22
	s_xor_b64 s[16:17], s[10:11], -1
	s_and_b64 s[12:13], s[12:13], s[16:17]
	s_mov_b64 s[10:11], exec
	v_writelane_b32 v34, s12, 1
	v_writelane_b32 v34, s13, 2
	s_and_b64 s[12:13], s[10:11], s[12:13]
	s_mov_b64 exec, s[12:13]
; %bb.226:
	ds_write_b32 v23, v26
; %bb.227:
	s_or_b64 exec, exec, s[10:11]
	v_cmp_ne_u32_e64 s[10:11], 0, v22
	s_waitcnt lgkmcnt(0)
	s_barrier
	s_and_b64 s[12:13], s[10:11], s[16:17]
	s_mov_b64 s[10:11], exec
	v_writelane_b32 v34, s12, 3
	v_writelane_b32 v34, s13, 4
	s_and_b64 s[12:13], s[10:11], s[12:13]
	s_mov_b64 exec, s[12:13]
	s_cbranch_execz .LBB103_229
; %bb.228:
	v_lshlrev_b32_e32 v27, 2, v22
	ds_read_b32 v27, v27 offset:4160
	ds_read_b32 v28, v23
	s_waitcnt lgkmcnt(0)
	v_fmac_f32_e32 v26, v27, v28
.LBB103_229:
	s_or_b64 exec, exec, s[10:11]
	v_cmp_eq_u32_e64 s[10:11], 1, v22
	s_barrier
	s_and_b64 s[12:13], s[10:11], s[16:17]
	s_mov_b64 s[10:11], exec
	v_writelane_b32 v34, s12, 5
	v_writelane_b32 v34, s13, 6
	s_and_b64 s[12:13], s[10:11], s[12:13]
	s_mov_b64 exec, s[12:13]
; %bb.230:
	ds_write_b32 v23, v26
; %bb.231:
	s_or_b64 exec, exec, s[10:11]
	v_cmp_lt_u32_e64 s[10:11], 1, v22
	s_waitcnt lgkmcnt(0)
	s_barrier
	s_and_b64 s[12:13], s[10:11], s[16:17]
	s_mov_b64 s[10:11], exec
	v_writelane_b32 v34, s12, 7
	v_writelane_b32 v34, s13, 8
	s_and_b64 s[12:13], s[10:11], s[12:13]
	s_mov_b64 exec, s[12:13]
	s_cbranch_execz .LBB103_233
; %bb.232:
	v_lshlrev_b32_e32 v27, 2, v22
	ds_read_b32 v27, v27 offset:4416
	ds_read_b32 v28, v23
	s_waitcnt lgkmcnt(0)
	v_fmac_f32_e32 v26, v27, v28
.LBB103_233:
	s_or_b64 exec, exec, s[10:11]
	v_cmp_eq_u32_e64 s[10:11], 2, v22
	s_barrier
	s_and_b64 s[12:13], s[10:11], s[16:17]
	s_mov_b64 s[10:11], exec
	v_writelane_b32 v34, s12, 9
	v_writelane_b32 v34, s13, 10
	s_and_b64 s[12:13], s[10:11], s[12:13]
	s_mov_b64 exec, s[12:13]
; %bb.234:
	ds_write_b32 v23, v26
; %bb.235:
	s_or_b64 exec, exec, s[10:11]
	v_cmp_lt_u32_e64 s[10:11], 2, v22
	;; [unrolled: 30-line block ×11, first 2 shown]
	s_waitcnt lgkmcnt(0)
	s_barrier
	s_and_b64 s[12:13], s[10:11], s[16:17]
	s_mov_b64 s[10:11], exec
	v_writelane_b32 v34, s12, 47
	v_writelane_b32 v34, s13, 48
	s_and_b64 s[12:13], s[10:11], s[12:13]
	s_mov_b64 exec, s[12:13]
	s_cbranch_execz .LBB103_273
; %bb.272:
	v_lshlrev_b32_e32 v27, 2, v22
	ds_read_b32 v27, v27 offset:6976
	ds_read_b32 v28, v23
	s_waitcnt lgkmcnt(0)
	v_fmac_f32_e32 v26, v27, v28
.LBB103_273:
	s_or_b64 exec, exec, s[10:11]
	v_cmp_eq_u32_e64 s[10:11], 12, v22
	s_and_b64 s[92:93], s[10:11], s[16:17]
	s_barrier
	s_and_saveexec_b64 s[10:11], s[92:93]
; %bb.274:
	ds_write_b32 v23, v26
; %bb.275:
	s_or_b64 exec, exec, s[10:11]
	v_cmp_lt_u32_e64 s[10:11], 12, v22
	s_and_b64 s[94:95], s[10:11], s[16:17]
	s_waitcnt lgkmcnt(0)
	s_barrier
	s_and_saveexec_b64 s[10:11], s[94:95]
	s_cbranch_execz .LBB103_277
; %bb.276:
	v_lshlrev_b32_e32 v27, 2, v22
	ds_read_b32 v27, v27 offset:7232
	ds_read_b32 v28, v23
	s_waitcnt lgkmcnt(0)
	v_fmac_f32_e32 v26, v27, v28
.LBB103_277:
	s_or_b64 exec, exec, s[10:11]
	v_cmp_eq_u32_e64 s[10:11], 13, v22
	s_and_b64 s[78:79], s[10:11], s[16:17]
	s_barrier
	s_and_saveexec_b64 s[10:11], s[78:79]
; %bb.278:
	ds_write_b32 v23, v26
; %bb.279:
	s_or_b64 exec, exec, s[10:11]
	v_cmp_lt_u32_e64 s[10:11], 13, v22
	s_and_b64 s[80:81], s[10:11], s[16:17]
	s_waitcnt lgkmcnt(0)
	s_barrier
	s_and_saveexec_b64 s[10:11], s[80:81]
	s_cbranch_execz .LBB103_281
; %bb.280:
	v_lshlrev_b32_e32 v27, 2, v22
	ds_read_b32 v27, v27 offset:7488
	ds_read_b32 v28, v23
	s_waitcnt lgkmcnt(0)
	v_fmac_f32_e32 v26, v27, v28
.LBB103_281:
	s_or_b64 exec, exec, s[10:11]
	v_cmp_eq_u32_e64 s[10:11], 14, v22
	s_and_b64 s[84:85], s[10:11], s[16:17]
	s_barrier
	s_and_saveexec_b64 s[10:11], s[84:85]
; %bb.282:
	ds_write_b32 v23, v26
; %bb.283:
	s_or_b64 exec, exec, s[10:11]
	v_cmp_eq_u32_e64 s[10:11], 15, v22
	s_and_b64 s[82:83], s[10:11], s[16:17]
	s_waitcnt lgkmcnt(0)
	s_barrier
	s_and_saveexec_b64 s[10:11], s[82:83]
	s_cbranch_execz .LBB103_285
; %bb.284:
	v_mov_b32_e32 v27, 0
	ds_read_b32 v27, v27 offset:7804
	ds_read_b32 v28, v23
	s_waitcnt lgkmcnt(0)
	v_fmac_f32_e32 v26, v27, v28
.LBB103_285:
	s_or_b64 exec, exec, s[10:11]
	s_barrier
	s_and_saveexec_b64 s[10:11], s[82:83]
; %bb.286:
	ds_write_b32 v23, v26
; %bb.287:
	s_or_b64 exec, exec, s[10:11]
	s_waitcnt lgkmcnt(0)
	s_barrier
	s_barrier
	s_and_saveexec_b64 s[10:11], s[8:9]
; %bb.288:
	v_xor_b32_e32 v26, 0x80000000, v26
	ds_write_b32 v21, v26 offset:64
; %bb.289:
	s_or_b64 exec, exec, s[10:11]
	s_waitcnt lgkmcnt(0)
	s_barrier
	s_barrier
	s_and_saveexec_b64 s[10:11], vcc
; %bb.290:
	s_movk_i32 s12, 0x1000
	v_mov_b32_e32 v26, 1.0
	v_add_u32_e64 v27, s12, 0
	ds_write2_b32 v27, v26, v26 offset0:16 offset1:81
; %bb.291:
	s_or_b64 exec, exec, s[10:11]
	v_mov_b32_e32 v26, 0
	s_waitcnt lgkmcnt(0)
	s_barrier
	s_and_saveexec_b64 s[12:13], s[0:1]
	s_cbranch_execz .LBB103_295
; %bb.292:
	v_mul_u32_u24_e32 v26, 0x104, v5
	ds_read_b32 v28, v2 offset:4168
	ds_read_b32 v26, v26 offset:4160
	v_mov_b32_e32 v27, 0
	v_cmp_gt_u32_e64 s[10:11], 2, v4
	s_waitcnt lgkmcnt(0)
	v_fma_f32 v26, v28, v26, 0
	s_and_saveexec_b64 s[16:17], s[10:11]
	s_cbranch_execz .LBB103_294
; %bb.293:
	v_lshlrev_b32_e32 v28, 2, v0
	ds_read_b32 v28, v28 offset:4424
	ds_read_b32 v27, v27 offset:4164
	s_waitcnt lgkmcnt(0)
	v_fmac_f32_e32 v26, v28, v27
.LBB103_294:
	s_or_b64 exec, exec, s[16:17]
	v_xor_b32_e32 v26, 0x80000000, v26
.LBB103_295:
	s_or_b64 exec, exec, s[12:13]
	s_and_saveexec_b64 s[10:11], s[36:37]
; %bb.296:
	ds_write_b32 v3, v26
; %bb.297:
	s_or_b64 exec, exec, s[10:11]
	s_waitcnt lgkmcnt(0)
	s_barrier
	s_and_saveexec_b64 s[10:11], s[34:35]
	s_cbranch_execz .LBB103_299
; %bb.298:
	v_mov_b32_e32 v27, 0
	ds_read_b32 v27, v27 offset:4684
	ds_read_b32 v28, v3
	s_waitcnt lgkmcnt(0)
	v_fmac_f32_e32 v26, v27, v28
.LBB103_299:
	s_or_b64 exec, exec, s[10:11]
	s_barrier
	s_and_saveexec_b64 s[10:11], s[34:35]
; %bb.300:
	ds_write_b32 v3, v26
; %bb.301:
	s_or_b64 exec, exec, s[10:11]
	s_waitcnt lgkmcnt(0)
	s_barrier
	s_barrier
	s_and_saveexec_b64 s[10:11], s[0:1]
; %bb.302:
	v_xor_b32_e32 v26, 0x80000000, v26
	ds_write_b32 v2, v26 offset:4168
; %bb.303:
	s_or_b64 exec, exec, s[10:11]
	s_waitcnt lgkmcnt(0)
	s_barrier
	s_barrier
	s_and_saveexec_b64 s[10:11], vcc
; %bb.304:
	s_movk_i32 s12, 0x1000
	v_mov_b32_e32 v26, 1.0
	v_add_u32_e64 v27, s12, 0
	ds_write2_b32 v27, v26, v26 offset0:146 offset1:211
; %bb.305:
	s_or_b64 exec, exec, s[10:11]
	v_mov_b32_e32 v26, 0
	s_waitcnt lgkmcnt(0)
	s_barrier
	s_and_saveexec_b64 s[12:13], s[2:3]
	s_cbranch_execz .LBB103_311
; %bb.306:
	v_mul_u32_u24_e32 v27, 0x104, v15
	ds_read_b32 v26, v11 offset:4176
	ds_read_b32 v28, v27 offset:4160
	v_cmp_gt_u32_e64 s[10:11], 12, v4
	s_waitcnt lgkmcnt(0)
	v_fma_f32 v26, v26, v28, 0
	s_and_saveexec_b64 s[16:17], s[10:11]
	s_cbranch_execnz .LBB103_1124
; %bb.307:
	s_or_b64 exec, exec, s[16:17]
	v_cmp_gt_u32_e64 s[10:11], 8, v4
	s_and_saveexec_b64 s[16:17], s[10:11]
	s_cbranch_execnz .LBB103_1125
.LBB103_308:
	s_or_b64 exec, exec, s[16:17]
	v_cmp_gt_u32_e64 s[10:11], 4, v4
	s_and_saveexec_b64 s[16:17], s[10:11]
	s_cbranch_execz .LBB103_310
.LBB103_309:
	v_lshlrev_b32_e32 v27, 2, v0
	v_mov_b32_e32 v28, 0
	ds_read_b32 v27, v27 offset:4944
	ds_read_b32 v28, v28 offset:4172
	s_waitcnt lgkmcnt(0)
	v_fmac_f32_e32 v26, v27, v28
.LBB103_310:
	s_or_b64 exec, exec, s[16:17]
	v_xor_b32_e32 v26, 0x80000000, v26
.LBB103_311:
	s_or_b64 exec, exec, s[12:13]
	s_and_saveexec_b64 s[10:11], s[40:41]
; %bb.312:
	ds_write_b32 v13, v26
; %bb.313:
	s_or_b64 exec, exec, s[10:11]
	s_waitcnt lgkmcnt(0)
	s_barrier
	s_and_saveexec_b64 s[10:11], s[42:43]
	s_cbranch_execz .LBB103_315
; %bb.314:
	ds_read_b32 v27, v12 offset:5200
	ds_read_b32 v28, v13
	s_waitcnt lgkmcnt(0)
	v_fmac_f32_e32 v26, v27, v28
.LBB103_315:
	s_or_b64 exec, exec, s[10:11]
	s_barrier
	s_and_saveexec_b64 s[10:11], s[44:45]
; %bb.316:
	ds_write_b32 v13, v26
; %bb.317:
	s_or_b64 exec, exec, s[10:11]
	s_waitcnt lgkmcnt(0)
	s_barrier
	s_and_saveexec_b64 s[10:11], s[46:47]
	s_cbranch_execz .LBB103_319
; %bb.318:
	ds_read_b32 v27, v12 offset:5456
	ds_read_b32 v28, v13
	s_waitcnt lgkmcnt(0)
	v_fmac_f32_e32 v26, v27, v28
.LBB103_319:
	s_or_b64 exec, exec, s[10:11]
	s_barrier
	s_and_saveexec_b64 s[10:11], s[48:49]
; %bb.320:
	ds_write_b32 v13, v26
; %bb.321:
	s_or_b64 exec, exec, s[10:11]
	s_waitcnt lgkmcnt(0)
	s_barrier
	s_and_saveexec_b64 s[10:11], s[38:39]
	s_cbranch_execz .LBB103_323
; %bb.322:
	v_mov_b32_e32 v27, 0
	ds_read_b32 v27, v27 offset:5724
	ds_read_b32 v28, v13
	s_waitcnt lgkmcnt(0)
	v_fmac_f32_e32 v26, v27, v28
.LBB103_323:
	s_or_b64 exec, exec, s[10:11]
	s_barrier
	s_and_saveexec_b64 s[10:11], s[38:39]
; %bb.324:
	ds_write_b32 v13, v26
; %bb.325:
	s_or_b64 exec, exec, s[10:11]
	s_waitcnt lgkmcnt(0)
	s_barrier
	s_barrier
	s_and_saveexec_b64 s[10:11], s[2:3]
; %bb.326:
	v_xor_b32_e32 v26, 0x80000000, v26
	ds_write_b32 v11, v26 offset:4176
; %bb.327:
	s_or_b64 exec, exec, s[10:11]
	s_waitcnt lgkmcnt(0)
	s_barrier
	s_barrier
	s_and_saveexec_b64 s[10:11], vcc
; %bb.328:
	s_movk_i32 s12, 0x1400
	v_mov_b32_e32 v26, 1.0
	v_add_u32_e64 v27, s12, 0
	ds_write2_b32 v27, v26, v26 offset0:20 offset1:85
; %bb.329:
	s_or_b64 exec, exec, s[10:11]
	v_mov_b32_e32 v26, 0
	s_waitcnt lgkmcnt(0)
	s_barrier
	s_and_saveexec_b64 s[12:13], s[0:1]
	s_cbranch_execz .LBB103_333
; %bb.330:
	v_mul_u32_u24_e32 v26, 0x104, v5
	ds_read_b32 v28, v2 offset:5208
	ds_read_b32 v26, v26 offset:5200
	v_mov_b32_e32 v27, 0
	v_cmp_gt_u32_e64 s[10:11], 2, v4
	s_waitcnt lgkmcnt(0)
	v_fma_f32 v26, v28, v26, 0
	s_and_saveexec_b64 s[16:17], s[10:11]
	s_cbranch_execz .LBB103_332
; %bb.331:
	v_lshlrev_b32_e32 v28, 2, v0
	ds_read_b32 v28, v28 offset:5464
	ds_read_b32 v27, v27 offset:5204
	s_waitcnt lgkmcnt(0)
	v_fmac_f32_e32 v26, v28, v27
.LBB103_332:
	s_or_b64 exec, exec, s[16:17]
	v_xor_b32_e32 v26, 0x80000000, v26
.LBB103_333:
	s_or_b64 exec, exec, s[12:13]
	s_and_saveexec_b64 s[10:11], s[36:37]
; %bb.334:
	ds_write_b32 v3, v26
; %bb.335:
	s_or_b64 exec, exec, s[10:11]
	s_waitcnt lgkmcnt(0)
	s_barrier
	s_and_saveexec_b64 s[10:11], s[34:35]
	s_cbranch_execz .LBB103_337
; %bb.336:
	v_mov_b32_e32 v27, 0
	ds_read_b32 v27, v27 offset:5724
	ds_read_b32 v28, v3
	s_waitcnt lgkmcnt(0)
	v_fmac_f32_e32 v26, v27, v28
.LBB103_337:
	s_or_b64 exec, exec, s[10:11]
	s_barrier
	s_and_saveexec_b64 s[10:11], s[34:35]
; %bb.338:
	ds_write_b32 v3, v26
; %bb.339:
	s_or_b64 exec, exec, s[10:11]
	s_waitcnt lgkmcnt(0)
	s_barrier
	s_barrier
	s_and_saveexec_b64 s[10:11], s[0:1]
; %bb.340:
	v_xor_b32_e32 v26, 0x80000000, v26
	ds_write_b32 v2, v26 offset:5208
; %bb.341:
	s_or_b64 exec, exec, s[10:11]
	s_waitcnt lgkmcnt(0)
	s_barrier
	s_barrier
	s_and_saveexec_b64 s[10:11], vcc
; %bb.342:
	s_movk_i32 s12, 0x1400
	v_mov_b32_e32 v26, 1.0
	v_add_u32_e64 v27, s12, 0
	ds_write2_b32 v27, v26, v26 offset0:150 offset1:215
; %bb.343:
	s_or_b64 exec, exec, s[10:11]
	v_mov_b32_e32 v26, 0
	s_waitcnt lgkmcnt(0)
	s_barrier
	s_and_saveexec_b64 s[12:13], s[14:15]
	s_cbranch_execz .LBB103_353
; %bb.344:
	v_mul_u32_u24_e32 v27, 0x104, v20
	ds_read_b32 v26, v16 offset:4192
	ds_read_b32 v28, v27 offset:4160
	v_cmp_gt_u32_e64 s[10:11], 56, v4
	s_waitcnt lgkmcnt(0)
	v_fma_f32 v26, v26, v28, 0
	s_and_saveexec_b64 s[16:17], s[10:11]
	s_cbranch_execnz .LBB103_1126
; %bb.345:
	s_or_b64 exec, exec, s[16:17]
	v_cmp_gt_u32_e64 s[10:11], 48, v4
	s_and_saveexec_b64 s[16:17], s[10:11]
	s_cbranch_execnz .LBB103_1127
.LBB103_346:
	s_or_b64 exec, exec, s[16:17]
	v_cmp_gt_u32_e64 s[10:11], 40, v4
	s_and_saveexec_b64 s[16:17], s[10:11]
	s_cbranch_execnz .LBB103_1128
.LBB103_347:
	s_or_b64 exec, exec, s[16:17]
	v_cmp_gt_u32_e64 s[10:11], 32, v4
	s_and_saveexec_b64 s[16:17], s[10:11]
	s_cbranch_execnz .LBB103_1129
.LBB103_348:
	s_or_b64 exec, exec, s[16:17]
	v_cmp_gt_u32_e64 s[10:11], 24, v4
	s_and_saveexec_b64 s[16:17], s[10:11]
	s_cbranch_execnz .LBB103_1130
.LBB103_349:
	s_or_b64 exec, exec, s[16:17]
	v_cmp_gt_u32_e64 s[10:11], 16, v4
	s_and_saveexec_b64 s[16:17], s[10:11]
	s_cbranch_execnz .LBB103_1131
.LBB103_350:
	s_or_b64 exec, exec, s[16:17]
	v_cmp_gt_u32_e64 s[10:11], 8, v4
	s_and_saveexec_b64 s[16:17], s[10:11]
	s_cbranch_execz .LBB103_352
.LBB103_351:
	v_lshlrev_b32_e32 v27, 2, v0
	v_mov_b32_e32 v28, 0
	ds_read_b32 v27, v27 offset:5984
	ds_read_b32 v28, v28 offset:4188
	s_waitcnt lgkmcnt(0)
	v_fmac_f32_e32 v26, v27, v28
.LBB103_352:
	s_or_b64 exec, exec, s[16:17]
	v_xor_b32_e32 v26, 0x80000000, v26
.LBB103_353:
	s_or_b64 exec, exec, s[12:13]
	s_and_saveexec_b64 s[10:11], s[50:51]
; %bb.354:
	ds_write_b32 v18, v26
; %bb.355:
	s_or_b64 exec, exec, s[10:11]
	s_waitcnt lgkmcnt(0)
	s_barrier
	s_and_saveexec_b64 s[10:11], s[52:53]
	s_cbranch_execz .LBB103_357
; %bb.356:
	ds_read_b32 v27, v17 offset:6240
	ds_read_b32 v28, v18
	s_waitcnt lgkmcnt(0)
	v_fmac_f32_e32 v26, v27, v28
.LBB103_357:
	s_or_b64 exec, exec, s[10:11]
	s_barrier
	s_and_saveexec_b64 s[10:11], s[54:55]
; %bb.358:
	ds_write_b32 v18, v26
; %bb.359:
	s_or_b64 exec, exec, s[10:11]
	s_waitcnt lgkmcnt(0)
	s_barrier
	s_and_saveexec_b64 s[10:11], s[56:57]
	s_cbranch_execz .LBB103_361
; %bb.360:
	ds_read_b32 v27, v17 offset:6496
	ds_read_b32 v28, v18
	s_waitcnt lgkmcnt(0)
	v_fmac_f32_e32 v26, v27, v28
.LBB103_361:
	s_or_b64 exec, exec, s[10:11]
	s_barrier
	;; [unrolled: 17-line block ×6, first 2 shown]
	s_and_saveexec_b64 s[10:11], s[76:77]
; %bb.378:
	ds_write_b32 v18, v26
; %bb.379:
	s_or_b64 exec, exec, s[10:11]
	s_waitcnt lgkmcnt(0)
	s_barrier
	s_and_saveexec_b64 s[10:11], s[58:59]
	s_cbranch_execz .LBB103_381
; %bb.380:
	v_mov_b32_e32 v27, 0
	ds_read_b32 v27, v27 offset:7804
	ds_read_b32 v28, v18
	s_waitcnt lgkmcnt(0)
	v_fmac_f32_e32 v26, v27, v28
.LBB103_381:
	s_or_b64 exec, exec, s[10:11]
	s_barrier
	s_and_saveexec_b64 s[10:11], s[58:59]
; %bb.382:
	ds_write_b32 v18, v26
; %bb.383:
	s_or_b64 exec, exec, s[10:11]
	s_waitcnt lgkmcnt(0)
	s_barrier
	s_barrier
	s_and_saveexec_b64 s[10:11], s[14:15]
; %bb.384:
	v_xor_b32_e32 v26, 0x80000000, v26
	ds_write_b32 v16, v26 offset:4192
; %bb.385:
	s_or_b64 exec, exec, s[10:11]
	s_waitcnt lgkmcnt(0)
	s_barrier
	s_barrier
	s_and_saveexec_b64 s[10:11], vcc
; %bb.386:
	s_movk_i32 s12, 0x1800
	v_mov_b32_e32 v26, 1.0
	v_add_u32_e64 v27, s12, 0
	ds_write2_b32 v27, v26, v26 offset0:24 offset1:89
; %bb.387:
	s_or_b64 exec, exec, s[10:11]
	v_mov_b32_e32 v26, 0
	s_waitcnt lgkmcnt(0)
	s_barrier
	s_and_saveexec_b64 s[12:13], s[0:1]
	s_cbranch_execz .LBB103_391
; %bb.388:
	v_mul_u32_u24_e32 v26, 0x104, v5
	ds_read_b32 v28, v2 offset:6248
	ds_read_b32 v26, v26 offset:6240
	v_mov_b32_e32 v27, 0
	v_cmp_gt_u32_e64 s[10:11], 2, v4
	s_waitcnt lgkmcnt(0)
	v_fma_f32 v26, v28, v26, 0
	s_and_saveexec_b64 s[16:17], s[10:11]
	s_cbranch_execz .LBB103_390
; %bb.389:
	v_lshlrev_b32_e32 v28, 2, v0
	ds_read_b32 v28, v28 offset:6504
	ds_read_b32 v27, v27 offset:6244
	s_waitcnt lgkmcnt(0)
	v_fmac_f32_e32 v26, v28, v27
.LBB103_390:
	s_or_b64 exec, exec, s[16:17]
	v_xor_b32_e32 v26, 0x80000000, v26
.LBB103_391:
	s_or_b64 exec, exec, s[12:13]
	s_and_saveexec_b64 s[10:11], s[36:37]
; %bb.392:
	ds_write_b32 v3, v26
; %bb.393:
	s_or_b64 exec, exec, s[10:11]
	s_waitcnt lgkmcnt(0)
	s_barrier
	s_and_saveexec_b64 s[10:11], s[34:35]
	s_cbranch_execz .LBB103_395
; %bb.394:
	v_mov_b32_e32 v27, 0
	ds_read_b32 v27, v27 offset:6764
	ds_read_b32 v28, v3
	s_waitcnt lgkmcnt(0)
	v_fmac_f32_e32 v26, v27, v28
.LBB103_395:
	s_or_b64 exec, exec, s[10:11]
	s_barrier
	s_and_saveexec_b64 s[10:11], s[34:35]
; %bb.396:
	ds_write_b32 v3, v26
; %bb.397:
	s_or_b64 exec, exec, s[10:11]
	s_waitcnt lgkmcnt(0)
	s_barrier
	s_barrier
	s_and_saveexec_b64 s[10:11], s[0:1]
; %bb.398:
	v_xor_b32_e32 v26, 0x80000000, v26
	ds_write_b32 v2, v26 offset:6248
; %bb.399:
	s_or_b64 exec, exec, s[10:11]
	s_waitcnt lgkmcnt(0)
	s_barrier
	s_barrier
	s_and_saveexec_b64 s[10:11], vcc
; %bb.400:
	s_movk_i32 s12, 0x1800
	v_mov_b32_e32 v26, 1.0
	v_add_u32_e64 v27, s12, 0
	ds_write2_b32 v27, v26, v26 offset0:154 offset1:219
; %bb.401:
	s_or_b64 exec, exec, s[10:11]
	v_mov_b32_e32 v26, 0
	s_waitcnt lgkmcnt(0)
	s_barrier
	s_and_saveexec_b64 s[12:13], s[2:3]
	s_cbranch_execz .LBB103_407
; %bb.402:
	v_mul_u32_u24_e32 v27, 0x104, v15
	ds_read_b32 v26, v11 offset:6256
	ds_read_b32 v28, v27 offset:6240
	v_cmp_gt_u32_e64 s[10:11], 12, v4
	s_waitcnt lgkmcnt(0)
	v_fma_f32 v26, v26, v28, 0
	s_and_saveexec_b64 s[16:17], s[10:11]
	s_cbranch_execnz .LBB103_1132
; %bb.403:
	s_or_b64 exec, exec, s[16:17]
	v_cmp_gt_u32_e64 s[10:11], 8, v4
	s_and_saveexec_b64 s[16:17], s[10:11]
	s_cbranch_execnz .LBB103_1133
.LBB103_404:
	s_or_b64 exec, exec, s[16:17]
	v_cmp_gt_u32_e64 s[10:11], 4, v4
	s_and_saveexec_b64 s[16:17], s[10:11]
	s_cbranch_execz .LBB103_406
.LBB103_405:
	v_lshlrev_b32_e32 v27, 2, v0
	v_mov_b32_e32 v28, 0
	ds_read_b32 v27, v27 offset:7024
	ds_read_b32 v28, v28 offset:6252
	s_waitcnt lgkmcnt(0)
	v_fmac_f32_e32 v26, v27, v28
.LBB103_406:
	s_or_b64 exec, exec, s[16:17]
	v_xor_b32_e32 v26, 0x80000000, v26
.LBB103_407:
	s_or_b64 exec, exec, s[12:13]
	s_and_saveexec_b64 s[10:11], s[40:41]
; %bb.408:
	ds_write_b32 v13, v26
; %bb.409:
	s_or_b64 exec, exec, s[10:11]
	s_waitcnt lgkmcnt(0)
	s_barrier
	s_and_saveexec_b64 s[10:11], s[42:43]
	s_cbranch_execz .LBB103_411
; %bb.410:
	ds_read_b32 v27, v12 offset:7280
	ds_read_b32 v28, v13
	s_waitcnt lgkmcnt(0)
	v_fmac_f32_e32 v26, v27, v28
.LBB103_411:
	s_or_b64 exec, exec, s[10:11]
	s_barrier
	s_and_saveexec_b64 s[10:11], s[44:45]
; %bb.412:
	ds_write_b32 v13, v26
; %bb.413:
	s_or_b64 exec, exec, s[10:11]
	s_waitcnt lgkmcnt(0)
	s_barrier
	s_and_saveexec_b64 s[10:11], s[46:47]
	s_cbranch_execz .LBB103_415
; %bb.414:
	ds_read_b32 v27, v12 offset:7536
	ds_read_b32 v28, v13
	s_waitcnt lgkmcnt(0)
	v_fmac_f32_e32 v26, v27, v28
.LBB103_415:
	s_or_b64 exec, exec, s[10:11]
	s_barrier
	s_and_saveexec_b64 s[10:11], s[48:49]
; %bb.416:
	ds_write_b32 v13, v26
; %bb.417:
	s_or_b64 exec, exec, s[10:11]
	s_waitcnt lgkmcnt(0)
	s_barrier
	s_and_saveexec_b64 s[10:11], s[38:39]
	s_cbranch_execz .LBB103_419
; %bb.418:
	v_mov_b32_e32 v27, 0
	ds_read_b32 v27, v27 offset:7804
	ds_read_b32 v28, v13
	s_waitcnt lgkmcnt(0)
	v_fmac_f32_e32 v26, v27, v28
.LBB103_419:
	s_or_b64 exec, exec, s[10:11]
	s_barrier
	s_and_saveexec_b64 s[10:11], s[38:39]
; %bb.420:
	ds_write_b32 v13, v26
; %bb.421:
	s_or_b64 exec, exec, s[10:11]
	s_waitcnt lgkmcnt(0)
	s_barrier
	s_barrier
	s_and_saveexec_b64 s[10:11], s[2:3]
; %bb.422:
	v_xor_b32_e32 v26, 0x80000000, v26
	ds_write_b32 v11, v26 offset:6256
; %bb.423:
	s_or_b64 exec, exec, s[10:11]
	s_waitcnt lgkmcnt(0)
	s_barrier
	s_barrier
	s_and_saveexec_b64 s[10:11], vcc
; %bb.424:
	s_movk_i32 s12, 0x1c00
	v_mov_b32_e32 v26, 1.0
	v_add_u32_e64 v27, s12, 0
	ds_write2_b32 v27, v26, v26 offset0:28 offset1:93
; %bb.425:
	s_or_b64 exec, exec, s[10:11]
	v_mov_b32_e32 v26, 0
	s_waitcnt lgkmcnt(0)
	s_barrier
	s_and_saveexec_b64 s[12:13], s[0:1]
	s_cbranch_execz .LBB103_429
; %bb.426:
	v_mul_u32_u24_e32 v26, 0x104, v5
	ds_read_b32 v28, v2 offset:7288
	ds_read_b32 v26, v26 offset:7280
	v_mov_b32_e32 v27, 0
	v_cmp_gt_u32_e64 s[10:11], 2, v4
	s_waitcnt lgkmcnt(0)
	v_fma_f32 v26, v28, v26, 0
	s_and_saveexec_b64 s[16:17], s[10:11]
	s_cbranch_execz .LBB103_428
; %bb.427:
	v_lshlrev_b32_e32 v28, 2, v0
	ds_read_b32 v28, v28 offset:7544
	ds_read_b32 v27, v27 offset:7284
	s_waitcnt lgkmcnt(0)
	v_fmac_f32_e32 v26, v28, v27
.LBB103_428:
	s_or_b64 exec, exec, s[16:17]
	v_xor_b32_e32 v26, 0x80000000, v26
.LBB103_429:
	s_or_b64 exec, exec, s[12:13]
	s_and_saveexec_b64 s[10:11], s[36:37]
; %bb.430:
	ds_write_b32 v3, v26
; %bb.431:
	s_or_b64 exec, exec, s[10:11]
	s_waitcnt lgkmcnt(0)
	s_barrier
	s_and_saveexec_b64 s[10:11], s[34:35]
	s_cbranch_execz .LBB103_433
; %bb.432:
	v_mov_b32_e32 v27, 0
	ds_read_b32 v27, v27 offset:7804
	ds_read_b32 v28, v3
	s_waitcnt lgkmcnt(0)
	v_fmac_f32_e32 v26, v27, v28
.LBB103_433:
	s_or_b64 exec, exec, s[10:11]
	s_barrier
	s_and_saveexec_b64 s[10:11], s[34:35]
; %bb.434:
	ds_write_b32 v3, v26
; %bb.435:
	s_or_b64 exec, exec, s[10:11]
	s_waitcnt lgkmcnt(0)
	s_barrier
	s_barrier
	s_and_saveexec_b64 s[10:11], s[0:1]
; %bb.436:
	v_xor_b32_e32 v26, 0x80000000, v26
	ds_write_b32 v2, v26 offset:7288
; %bb.437:
	s_or_b64 exec, exec, s[10:11]
	s_waitcnt lgkmcnt(0)
	s_barrier
	s_barrier
	s_and_saveexec_b64 s[10:11], vcc
; %bb.438:
	s_movk_i32 s12, 0x1c00
	v_mov_b32_e32 v26, 1.0
	v_add_u32_e64 v27, s12, 0
	ds_write2_b32 v27, v26, v26 offset0:158 offset1:223
; %bb.439:
	s_or_b64 exec, exec, s[10:11]
	v_and_b32_e32 v27, 31, v0
	s_movk_i32 s10, 0x3ff
	v_lshrrev_b32_e32 v30, 5, v4
	v_cmp_lt_u32_e64 s[12:13], s10, v4
	s_movk_i32 s10, 0x400
	v_lshlrev_b32_e32 v28, 2, v27
	v_cmp_gt_u32_e64 s[10:11], s10, v4
	v_lshl_or_b32 v26, v30, 8, v28
	v_mov_b32_e32 v29, 0
	s_waitcnt lgkmcnt(0)
	s_barrier
	s_and_saveexec_b64 s[86:87], s[10:11]
	s_cbranch_execz .LBB103_501
; %bb.440:
	v_mul_u32_u24_e32 v31, 0x104, v30
	ds_read_b32 v29, v26 offset:128
	ds_read_b32 v32, v31
	s_movk_i32 s16, 0x3e0
	v_cmp_gt_u32_e64 s[16:17], s16, v4
	s_waitcnt lgkmcnt(0)
	v_fma_f32 v29, v29, v32, 0
	s_and_saveexec_b64 s[88:89], s[16:17]
	s_cbranch_execz .LBB103_442
; %bb.441:
	ds_read_b32 v32, v26 offset:384
	ds_read_b32 v33, v31 offset:4
	s_waitcnt lgkmcnt(0)
	v_fmac_f32_e32 v29, v32, v33
.LBB103_442:
	s_or_b64 exec, exec, s[88:89]
	s_movk_i32 s16, 0x3c0
	v_cmp_gt_u32_e64 s[16:17], s16, v4
	s_and_saveexec_b64 s[88:89], s[16:17]
	s_cbranch_execz .LBB103_444
; %bb.443:
	ds_read_b32 v32, v26 offset:640
	ds_read_b32 v33, v31 offset:8
	s_waitcnt lgkmcnt(0)
	v_fmac_f32_e32 v29, v32, v33
.LBB103_444:
	s_or_b64 exec, exec, s[88:89]
	s_movk_i32 s16, 0x3a0
	v_cmp_gt_u32_e64 s[16:17], s16, v4
	;; [unrolled: 11-line block ×28, first 2 shown]
	s_and_saveexec_b64 s[88:89], s[16:17]
	s_cbranch_execnz .LBB103_1134
; %bb.497:
	s_or_b64 exec, exec, s[88:89]
	v_cmp_gt_u32_e64 s[16:17], 64, v4
	s_and_saveexec_b64 s[88:89], s[16:17]
	s_cbranch_execnz .LBB103_1135
.LBB103_498:
	s_or_b64 exec, exec, s[88:89]
	v_cmp_gt_u32_e64 s[16:17], 32, v4
	s_and_saveexec_b64 s[88:89], s[16:17]
	s_cbranch_execz .LBB103_500
.LBB103_499:
	v_lshlrev_b32_e32 v31, 2, v0
	v_mov_b32_e32 v32, 0
	ds_read_b32 v31, v31 offset:8064
	ds_read_b32 v32, v32 offset:124
	s_waitcnt lgkmcnt(0)
	v_fmac_f32_e32 v29, v31, v32
.LBB103_500:
	s_or_b64 exec, exec, s[88:89]
	v_xor_b32_e32 v29, 0x80000000, v29
.LBB103_501:
	s_or_b64 exec, exec, s[86:87]
	v_mov_b32_e32 v31, 0x4000
	v_cmp_eq_u32_e64 s[16:17], 0, v27
	s_xor_b64 s[86:87], s[12:13], -1
	v_lshl_or_b32 v30, v30, 2, v31
	s_and_b64 s[16:17], s[16:17], s[86:87]
	s_and_saveexec_b64 s[12:13], s[16:17]
; %bb.502:
	ds_write_b32 v30, v29
; %bb.503:
	s_or_b64 exec, exec, s[12:13]
	v_cmp_ne_u32_e64 s[12:13], 0, v27
	s_and_b64 s[16:17], s[12:13], s[86:87]
	s_waitcnt lgkmcnt(0)
	s_barrier
	s_and_saveexec_b64 s[12:13], s[16:17]
	s_cbranch_execz .LBB103_505
; %bb.504:
	ds_read_b32 v31, v28 offset:8320
	ds_read_b32 v32, v30
	s_waitcnt lgkmcnt(0)
	v_fmac_f32_e32 v29, v31, v32
.LBB103_505:
	s_or_b64 exec, exec, s[12:13]
	v_cmp_eq_u32_e64 s[12:13], 1, v27
	s_and_b64 s[16:17], s[12:13], s[86:87]
	s_barrier
	s_and_saveexec_b64 s[12:13], s[16:17]
; %bb.506:
	ds_write_b32 v30, v29
; %bb.507:
	s_or_b64 exec, exec, s[12:13]
	v_cmp_lt_u32_e64 s[12:13], 1, v27
	s_and_b64 s[16:17], s[12:13], s[86:87]
	s_waitcnt lgkmcnt(0)
	s_barrier
	s_and_saveexec_b64 s[12:13], s[16:17]
	s_cbranch_execz .LBB103_509
; %bb.508:
	ds_read_b32 v31, v28 offset:8576
	ds_read_b32 v32, v30
	s_waitcnt lgkmcnt(0)
	v_fmac_f32_e32 v29, v31, v32
.LBB103_509:
	s_or_b64 exec, exec, s[12:13]
	v_cmp_eq_u32_e64 s[12:13], 2, v27
	s_and_b64 s[16:17], s[12:13], s[86:87]
	s_barrier
	s_and_saveexec_b64 s[12:13], s[16:17]
; %bb.510:
	ds_write_b32 v30, v29
; %bb.511:
	s_or_b64 exec, exec, s[12:13]
	v_cmp_lt_u32_e64 s[12:13], 2, v27
	;; [unrolled: 21-line block ×29, first 2 shown]
	s_and_b64 s[16:17], s[12:13], s[86:87]
	s_waitcnt lgkmcnt(0)
	s_barrier
	s_and_saveexec_b64 s[12:13], s[16:17]
	s_cbranch_execz .LBB103_621
; %bb.620:
	ds_read_b32 v28, v28 offset:15744
	ds_read_b32 v31, v30
	s_waitcnt lgkmcnt(0)
	v_fmac_f32_e32 v29, v28, v31
.LBB103_621:
	s_or_b64 exec, exec, s[12:13]
	v_cmp_eq_u32_e64 s[12:13], 30, v27
	s_and_b64 s[16:17], s[12:13], s[86:87]
	s_barrier
	s_and_saveexec_b64 s[12:13], s[16:17]
; %bb.622:
	ds_write_b32 v30, v29
; %bb.623:
	s_or_b64 exec, exec, s[12:13]
	v_cmp_eq_u32_e64 s[12:13], 31, v27
	s_and_b64 s[12:13], s[12:13], s[86:87]
	s_waitcnt lgkmcnt(0)
	s_barrier
	s_and_saveexec_b64 s[16:17], s[12:13]
	s_cbranch_execz .LBB103_625
; %bb.624:
	v_mov_b32_e32 v27, 0
	ds_read_b32 v27, v27 offset:16124
	ds_read_b32 v28, v30
	s_waitcnt lgkmcnt(0)
	v_fmac_f32_e32 v29, v27, v28
.LBB103_625:
	s_or_b64 exec, exec, s[16:17]
	s_barrier
	s_and_saveexec_b64 s[16:17], s[12:13]
; %bb.626:
	ds_write_b32 v30, v29
; %bb.627:
	s_or_b64 exec, exec, s[16:17]
	s_waitcnt lgkmcnt(0)
	s_barrier
	s_barrier
	s_and_saveexec_b64 s[12:13], s[10:11]
; %bb.628:
	v_xor_b32_e32 v27, 0x80000000, v29
	ds_write_b32 v26, v27 offset:128
; %bb.629:
	s_or_b64 exec, exec, s[12:13]
	s_waitcnt lgkmcnt(0)
	s_barrier
	s_barrier
	s_and_saveexec_b64 s[10:11], vcc
; %bb.630:
	s_movk_i32 s12, 0x2000
	v_mov_b32_e32 v26, 1.0
	v_add_u32_e64 v27, s12, 0
	ds_write2_b32 v27, v26, v26 offset0:32 offset1:97
; %bb.631:
	s_or_b64 exec, exec, s[10:11]
	v_mov_b32_e32 v26, 0
	s_waitcnt lgkmcnt(0)
	s_barrier
	s_and_saveexec_b64 s[12:13], s[0:1]
	s_cbranch_execz .LBB103_635
; %bb.632:
	v_mul_u32_u24_e32 v26, 0x104, v5
	ds_read_b32 v28, v2 offset:8328
	ds_read_b32 v26, v26 offset:8320
	v_mov_b32_e32 v27, 0
	v_cmp_gt_u32_e64 s[10:11], 2, v4
	s_waitcnt lgkmcnt(0)
	v_fma_f32 v26, v28, v26, 0
	s_and_saveexec_b64 s[16:17], s[10:11]
	s_cbranch_execz .LBB103_634
; %bb.633:
	v_lshlrev_b32_e32 v28, 2, v0
	ds_read_b32 v28, v28 offset:8584
	ds_read_b32 v27, v27 offset:8324
	s_waitcnt lgkmcnt(0)
	v_fmac_f32_e32 v26, v28, v27
.LBB103_634:
	s_or_b64 exec, exec, s[16:17]
	v_xor_b32_e32 v26, 0x80000000, v26
.LBB103_635:
	s_or_b64 exec, exec, s[12:13]
	s_and_saveexec_b64 s[10:11], s[36:37]
; %bb.636:
	ds_write_b32 v3, v26
; %bb.637:
	s_or_b64 exec, exec, s[10:11]
	s_waitcnt lgkmcnt(0)
	s_barrier
	s_and_saveexec_b64 s[10:11], s[34:35]
	s_cbranch_execz .LBB103_639
; %bb.638:
	v_mov_b32_e32 v27, 0
	ds_read_b32 v27, v27 offset:8844
	ds_read_b32 v28, v3
	s_waitcnt lgkmcnt(0)
	v_fmac_f32_e32 v26, v27, v28
.LBB103_639:
	s_or_b64 exec, exec, s[10:11]
	s_barrier
	s_and_saveexec_b64 s[10:11], s[34:35]
; %bb.640:
	ds_write_b32 v3, v26
; %bb.641:
	s_or_b64 exec, exec, s[10:11]
	s_waitcnt lgkmcnt(0)
	s_barrier
	s_barrier
	s_and_saveexec_b64 s[10:11], s[0:1]
; %bb.642:
	v_xor_b32_e32 v26, 0x80000000, v26
	ds_write_b32 v2, v26 offset:8328
; %bb.643:
	s_or_b64 exec, exec, s[10:11]
	s_waitcnt lgkmcnt(0)
	s_barrier
	s_barrier
	s_and_saveexec_b64 s[10:11], vcc
; %bb.644:
	s_movk_i32 s12, 0x2000
	v_mov_b32_e32 v26, 1.0
	v_add_u32_e64 v27, s12, 0
	ds_write2_b32 v27, v26, v26 offset0:162 offset1:227
; %bb.645:
	s_or_b64 exec, exec, s[10:11]
	v_mov_b32_e32 v26, 0
	s_waitcnt lgkmcnt(0)
	s_barrier
	s_and_saveexec_b64 s[12:13], s[2:3]
	s_cbranch_execz .LBB103_651
; %bb.646:
	v_mul_u32_u24_e32 v27, 0x104, v15
	ds_read_b32 v26, v11 offset:8336
	ds_read_b32 v28, v27 offset:8320
	v_cmp_gt_u32_e64 s[10:11], 12, v4
	s_waitcnt lgkmcnt(0)
	v_fma_f32 v26, v26, v28, 0
	s_and_saveexec_b64 s[16:17], s[10:11]
	s_cbranch_execnz .LBB103_1136
; %bb.647:
	s_or_b64 exec, exec, s[16:17]
	v_cmp_gt_u32_e64 s[10:11], 8, v4
	s_and_saveexec_b64 s[16:17], s[10:11]
	s_cbranch_execnz .LBB103_1137
.LBB103_648:
	s_or_b64 exec, exec, s[16:17]
	v_cmp_gt_u32_e64 s[10:11], 4, v4
	s_and_saveexec_b64 s[16:17], s[10:11]
	s_cbranch_execz .LBB103_650
.LBB103_649:
	v_lshlrev_b32_e32 v27, 2, v0
	v_mov_b32_e32 v28, 0
	ds_read_b32 v27, v27 offset:9104
	ds_read_b32 v28, v28 offset:8332
	s_waitcnt lgkmcnt(0)
	v_fmac_f32_e32 v26, v27, v28
.LBB103_650:
	s_or_b64 exec, exec, s[16:17]
	v_xor_b32_e32 v26, 0x80000000, v26
.LBB103_651:
	s_or_b64 exec, exec, s[12:13]
	s_and_saveexec_b64 s[10:11], s[40:41]
; %bb.652:
	ds_write_b32 v13, v26
; %bb.653:
	s_or_b64 exec, exec, s[10:11]
	s_waitcnt lgkmcnt(0)
	s_barrier
	s_and_saveexec_b64 s[10:11], s[42:43]
	s_cbranch_execz .LBB103_655
; %bb.654:
	ds_read_b32 v27, v12 offset:9360
	ds_read_b32 v28, v13
	s_waitcnt lgkmcnt(0)
	v_fmac_f32_e32 v26, v27, v28
.LBB103_655:
	s_or_b64 exec, exec, s[10:11]
	s_barrier
	s_and_saveexec_b64 s[10:11], s[44:45]
; %bb.656:
	ds_write_b32 v13, v26
; %bb.657:
	s_or_b64 exec, exec, s[10:11]
	s_waitcnt lgkmcnt(0)
	s_barrier
	s_and_saveexec_b64 s[10:11], s[46:47]
	s_cbranch_execz .LBB103_659
; %bb.658:
	ds_read_b32 v27, v12 offset:9616
	ds_read_b32 v28, v13
	s_waitcnt lgkmcnt(0)
	v_fmac_f32_e32 v26, v27, v28
.LBB103_659:
	s_or_b64 exec, exec, s[10:11]
	s_barrier
	s_and_saveexec_b64 s[10:11], s[48:49]
; %bb.660:
	ds_write_b32 v13, v26
; %bb.661:
	s_or_b64 exec, exec, s[10:11]
	s_waitcnt lgkmcnt(0)
	s_barrier
	s_and_saveexec_b64 s[10:11], s[38:39]
	s_cbranch_execz .LBB103_663
; %bb.662:
	v_mov_b32_e32 v27, 0
	ds_read_b32 v27, v27 offset:9884
	ds_read_b32 v28, v13
	s_waitcnt lgkmcnt(0)
	v_fmac_f32_e32 v26, v27, v28
.LBB103_663:
	s_or_b64 exec, exec, s[10:11]
	s_barrier
	s_and_saveexec_b64 s[10:11], s[38:39]
; %bb.664:
	ds_write_b32 v13, v26
; %bb.665:
	s_or_b64 exec, exec, s[10:11]
	s_waitcnt lgkmcnt(0)
	s_barrier
	s_barrier
	s_and_saveexec_b64 s[10:11], s[2:3]
; %bb.666:
	v_xor_b32_e32 v26, 0x80000000, v26
	ds_write_b32 v11, v26 offset:8336
; %bb.667:
	s_or_b64 exec, exec, s[10:11]
	s_waitcnt lgkmcnt(0)
	s_barrier
	s_barrier
	s_and_saveexec_b64 s[10:11], vcc
; %bb.668:
	s_movk_i32 s12, 0x2400
	v_mov_b32_e32 v26, 1.0
	v_add_u32_e64 v27, s12, 0
	ds_write2_b32 v27, v26, v26 offset0:36 offset1:101
; %bb.669:
	s_or_b64 exec, exec, s[10:11]
	v_mov_b32_e32 v26, 0
	s_waitcnt lgkmcnt(0)
	s_barrier
	s_and_saveexec_b64 s[12:13], s[0:1]
	s_cbranch_execz .LBB103_673
; %bb.670:
	v_mul_u32_u24_e32 v26, 0x104, v5
	ds_read_b32 v28, v2 offset:9368
	ds_read_b32 v26, v26 offset:9360
	v_mov_b32_e32 v27, 0
	v_cmp_gt_u32_e64 s[10:11], 2, v4
	s_waitcnt lgkmcnt(0)
	v_fma_f32 v26, v28, v26, 0
	s_and_saveexec_b64 s[16:17], s[10:11]
	s_cbranch_execz .LBB103_672
; %bb.671:
	v_lshlrev_b32_e32 v28, 2, v0
	ds_read_b32 v28, v28 offset:9624
	ds_read_b32 v27, v27 offset:9364
	s_waitcnt lgkmcnt(0)
	v_fmac_f32_e32 v26, v28, v27
.LBB103_672:
	s_or_b64 exec, exec, s[16:17]
	v_xor_b32_e32 v26, 0x80000000, v26
.LBB103_673:
	s_or_b64 exec, exec, s[12:13]
	s_and_saveexec_b64 s[10:11], s[36:37]
; %bb.674:
	ds_write_b32 v3, v26
; %bb.675:
	s_or_b64 exec, exec, s[10:11]
	s_waitcnt lgkmcnt(0)
	s_barrier
	s_and_saveexec_b64 s[10:11], s[34:35]
	s_cbranch_execz .LBB103_677
; %bb.676:
	v_mov_b32_e32 v27, 0
	ds_read_b32 v27, v27 offset:9884
	ds_read_b32 v28, v3
	s_waitcnt lgkmcnt(0)
	v_fmac_f32_e32 v26, v27, v28
.LBB103_677:
	s_or_b64 exec, exec, s[10:11]
	s_barrier
	s_and_saveexec_b64 s[10:11], s[34:35]
; %bb.678:
	ds_write_b32 v3, v26
; %bb.679:
	s_or_b64 exec, exec, s[10:11]
	s_waitcnt lgkmcnt(0)
	s_barrier
	s_barrier
	s_and_saveexec_b64 s[10:11], s[0:1]
; %bb.680:
	v_xor_b32_e32 v26, 0x80000000, v26
	ds_write_b32 v2, v26 offset:9368
; %bb.681:
	s_or_b64 exec, exec, s[10:11]
	s_waitcnt lgkmcnt(0)
	s_barrier
	s_barrier
	s_and_saveexec_b64 s[10:11], vcc
; %bb.682:
	s_movk_i32 s12, 0x2400
	v_mov_b32_e32 v26, 1.0
	v_add_u32_e64 v27, s12, 0
	ds_write2_b32 v27, v26, v26 offset0:166 offset1:231
; %bb.683:
	s_or_b64 exec, exec, s[10:11]
	v_mov_b32_e32 v26, 0
	s_waitcnt lgkmcnt(0)
	s_barrier
	s_and_saveexec_b64 s[12:13], s[14:15]
	s_cbranch_execz .LBB103_693
; %bb.684:
	v_mul_u32_u24_e32 v27, 0x104, v20
	ds_read_b32 v26, v16 offset:8352
	ds_read_b32 v28, v27 offset:8320
	v_cmp_gt_u32_e64 s[10:11], 56, v4
	s_waitcnt lgkmcnt(0)
	v_fma_f32 v26, v26, v28, 0
	s_and_saveexec_b64 s[16:17], s[10:11]
	s_cbranch_execnz .LBB103_1138
; %bb.685:
	s_or_b64 exec, exec, s[16:17]
	v_cmp_gt_u32_e64 s[10:11], 48, v4
	s_and_saveexec_b64 s[16:17], s[10:11]
	s_cbranch_execnz .LBB103_1139
.LBB103_686:
	s_or_b64 exec, exec, s[16:17]
	v_cmp_gt_u32_e64 s[10:11], 40, v4
	s_and_saveexec_b64 s[16:17], s[10:11]
	s_cbranch_execnz .LBB103_1140
.LBB103_687:
	s_or_b64 exec, exec, s[16:17]
	v_cmp_gt_u32_e64 s[10:11], 32, v4
	s_and_saveexec_b64 s[16:17], s[10:11]
	s_cbranch_execnz .LBB103_1141
.LBB103_688:
	s_or_b64 exec, exec, s[16:17]
	v_cmp_gt_u32_e64 s[10:11], 24, v4
	s_and_saveexec_b64 s[16:17], s[10:11]
	s_cbranch_execnz .LBB103_1142
.LBB103_689:
	s_or_b64 exec, exec, s[16:17]
	v_cmp_gt_u32_e64 s[10:11], 16, v4
	s_and_saveexec_b64 s[16:17], s[10:11]
	s_cbranch_execnz .LBB103_1143
.LBB103_690:
	s_or_b64 exec, exec, s[16:17]
	v_cmp_gt_u32_e64 s[10:11], 8, v4
	s_and_saveexec_b64 s[16:17], s[10:11]
	s_cbranch_execz .LBB103_692
.LBB103_691:
	v_lshlrev_b32_e32 v27, 2, v0
	v_mov_b32_e32 v28, 0
	ds_read_b32 v27, v27 offset:10144
	ds_read_b32 v28, v28 offset:8348
	s_waitcnt lgkmcnt(0)
	v_fmac_f32_e32 v26, v27, v28
.LBB103_692:
	s_or_b64 exec, exec, s[16:17]
	v_xor_b32_e32 v26, 0x80000000, v26
.LBB103_693:
	s_or_b64 exec, exec, s[12:13]
	s_and_saveexec_b64 s[10:11], s[50:51]
; %bb.694:
	ds_write_b32 v18, v26
; %bb.695:
	s_or_b64 exec, exec, s[10:11]
	s_waitcnt lgkmcnt(0)
	s_barrier
	s_and_saveexec_b64 s[10:11], s[52:53]
	s_cbranch_execz .LBB103_697
; %bb.696:
	ds_read_b32 v27, v17 offset:10400
	ds_read_b32 v28, v18
	s_waitcnt lgkmcnt(0)
	v_fmac_f32_e32 v26, v27, v28
.LBB103_697:
	s_or_b64 exec, exec, s[10:11]
	s_barrier
	s_and_saveexec_b64 s[10:11], s[54:55]
; %bb.698:
	ds_write_b32 v18, v26
; %bb.699:
	s_or_b64 exec, exec, s[10:11]
	s_waitcnt lgkmcnt(0)
	s_barrier
	s_and_saveexec_b64 s[10:11], s[56:57]
	s_cbranch_execz .LBB103_701
; %bb.700:
	ds_read_b32 v27, v17 offset:10656
	ds_read_b32 v28, v18
	s_waitcnt lgkmcnt(0)
	v_fmac_f32_e32 v26, v27, v28
.LBB103_701:
	s_or_b64 exec, exec, s[10:11]
	s_barrier
	;; [unrolled: 17-line block ×6, first 2 shown]
	s_and_saveexec_b64 s[10:11], s[76:77]
; %bb.718:
	ds_write_b32 v18, v26
; %bb.719:
	s_or_b64 exec, exec, s[10:11]
	s_waitcnt lgkmcnt(0)
	s_barrier
	s_and_saveexec_b64 s[10:11], s[58:59]
	s_cbranch_execz .LBB103_721
; %bb.720:
	v_mov_b32_e32 v27, 0
	ds_read_b32 v27, v27 offset:11964
	ds_read_b32 v28, v18
	s_waitcnt lgkmcnt(0)
	v_fmac_f32_e32 v26, v27, v28
.LBB103_721:
	s_or_b64 exec, exec, s[10:11]
	s_barrier
	s_and_saveexec_b64 s[10:11], s[58:59]
; %bb.722:
	ds_write_b32 v18, v26
; %bb.723:
	s_or_b64 exec, exec, s[10:11]
	s_waitcnt lgkmcnt(0)
	s_barrier
	s_barrier
	s_and_saveexec_b64 s[10:11], s[14:15]
; %bb.724:
	v_xor_b32_e32 v26, 0x80000000, v26
	ds_write_b32 v16, v26 offset:8352
; %bb.725:
	s_or_b64 exec, exec, s[10:11]
	s_waitcnt lgkmcnt(0)
	s_barrier
	s_barrier
	s_and_saveexec_b64 s[10:11], vcc
; %bb.726:
	s_movk_i32 s12, 0x2800
	v_mov_b32_e32 v26, 1.0
	v_add_u32_e64 v27, s12, 0
	ds_write2_b32 v27, v26, v26 offset0:40 offset1:105
; %bb.727:
	s_or_b64 exec, exec, s[10:11]
	v_mov_b32_e32 v26, 0
	s_waitcnt lgkmcnt(0)
	s_barrier
	s_and_saveexec_b64 s[12:13], s[0:1]
	s_cbranch_execz .LBB103_731
; %bb.728:
	v_mul_u32_u24_e32 v26, 0x104, v5
	ds_read_b32 v28, v2 offset:10408
	ds_read_b32 v26, v26 offset:10400
	v_mov_b32_e32 v27, 0
	v_cmp_gt_u32_e64 s[10:11], 2, v4
	s_waitcnt lgkmcnt(0)
	v_fma_f32 v26, v28, v26, 0
	s_and_saveexec_b64 s[16:17], s[10:11]
	s_cbranch_execz .LBB103_730
; %bb.729:
	v_lshlrev_b32_e32 v28, 2, v0
	ds_read_b32 v28, v28 offset:10664
	ds_read_b32 v27, v27 offset:10404
	s_waitcnt lgkmcnt(0)
	v_fmac_f32_e32 v26, v28, v27
.LBB103_730:
	s_or_b64 exec, exec, s[16:17]
	v_xor_b32_e32 v26, 0x80000000, v26
.LBB103_731:
	s_or_b64 exec, exec, s[12:13]
	s_and_saveexec_b64 s[10:11], s[36:37]
; %bb.732:
	ds_write_b32 v3, v26
; %bb.733:
	s_or_b64 exec, exec, s[10:11]
	s_waitcnt lgkmcnt(0)
	s_barrier
	s_and_saveexec_b64 s[10:11], s[34:35]
	s_cbranch_execz .LBB103_735
; %bb.734:
	v_mov_b32_e32 v27, 0
	ds_read_b32 v27, v27 offset:10924
	ds_read_b32 v28, v3
	s_waitcnt lgkmcnt(0)
	v_fmac_f32_e32 v26, v27, v28
.LBB103_735:
	s_or_b64 exec, exec, s[10:11]
	s_barrier
	s_and_saveexec_b64 s[10:11], s[34:35]
; %bb.736:
	ds_write_b32 v3, v26
; %bb.737:
	s_or_b64 exec, exec, s[10:11]
	s_waitcnt lgkmcnt(0)
	s_barrier
	s_barrier
	s_and_saveexec_b64 s[10:11], s[0:1]
; %bb.738:
	v_xor_b32_e32 v26, 0x80000000, v26
	ds_write_b32 v2, v26 offset:10408
; %bb.739:
	s_or_b64 exec, exec, s[10:11]
	s_waitcnt lgkmcnt(0)
	s_barrier
	s_barrier
	s_and_saveexec_b64 s[10:11], vcc
; %bb.740:
	s_movk_i32 s12, 0x2800
	v_mov_b32_e32 v26, 1.0
	v_add_u32_e64 v27, s12, 0
	ds_write2_b32 v27, v26, v26 offset0:170 offset1:235
; %bb.741:
	s_or_b64 exec, exec, s[10:11]
	v_mov_b32_e32 v26, 0
	s_waitcnt lgkmcnt(0)
	s_barrier
	s_and_saveexec_b64 s[12:13], s[2:3]
	s_cbranch_execz .LBB103_747
; %bb.742:
	v_mul_u32_u24_e32 v27, 0x104, v15
	ds_read_b32 v26, v11 offset:10416
	ds_read_b32 v28, v27 offset:10400
	v_cmp_gt_u32_e64 s[10:11], 12, v4
	s_waitcnt lgkmcnt(0)
	v_fma_f32 v26, v26, v28, 0
	s_and_saveexec_b64 s[16:17], s[10:11]
	s_cbranch_execnz .LBB103_1144
; %bb.743:
	s_or_b64 exec, exec, s[16:17]
	v_cmp_gt_u32_e64 s[10:11], 8, v4
	s_and_saveexec_b64 s[16:17], s[10:11]
	s_cbranch_execnz .LBB103_1145
.LBB103_744:
	s_or_b64 exec, exec, s[16:17]
	v_cmp_gt_u32_e64 s[10:11], 4, v4
	s_and_saveexec_b64 s[16:17], s[10:11]
	s_cbranch_execz .LBB103_746
.LBB103_745:
	v_lshlrev_b32_e32 v27, 2, v0
	v_mov_b32_e32 v28, 0
	ds_read_b32 v27, v27 offset:11184
	ds_read_b32 v28, v28 offset:10412
	s_waitcnt lgkmcnt(0)
	v_fmac_f32_e32 v26, v27, v28
.LBB103_746:
	s_or_b64 exec, exec, s[16:17]
	v_xor_b32_e32 v26, 0x80000000, v26
.LBB103_747:
	s_or_b64 exec, exec, s[12:13]
	s_and_saveexec_b64 s[10:11], s[40:41]
; %bb.748:
	ds_write_b32 v13, v26
; %bb.749:
	s_or_b64 exec, exec, s[10:11]
	s_waitcnt lgkmcnt(0)
	s_barrier
	s_and_saveexec_b64 s[10:11], s[42:43]
	s_cbranch_execz .LBB103_751
; %bb.750:
	ds_read_b32 v27, v12 offset:11440
	ds_read_b32 v28, v13
	s_waitcnt lgkmcnt(0)
	v_fmac_f32_e32 v26, v27, v28
.LBB103_751:
	s_or_b64 exec, exec, s[10:11]
	s_barrier
	s_and_saveexec_b64 s[10:11], s[44:45]
; %bb.752:
	ds_write_b32 v13, v26
; %bb.753:
	s_or_b64 exec, exec, s[10:11]
	s_waitcnt lgkmcnt(0)
	s_barrier
	s_and_saveexec_b64 s[10:11], s[46:47]
	s_cbranch_execz .LBB103_755
; %bb.754:
	ds_read_b32 v27, v12 offset:11696
	ds_read_b32 v28, v13
	s_waitcnt lgkmcnt(0)
	v_fmac_f32_e32 v26, v27, v28
.LBB103_755:
	s_or_b64 exec, exec, s[10:11]
	s_barrier
	s_and_saveexec_b64 s[10:11], s[48:49]
; %bb.756:
	ds_write_b32 v13, v26
; %bb.757:
	s_or_b64 exec, exec, s[10:11]
	s_waitcnt lgkmcnt(0)
	s_barrier
	s_and_saveexec_b64 s[10:11], s[38:39]
	s_cbranch_execz .LBB103_759
; %bb.758:
	v_mov_b32_e32 v27, 0
	ds_read_b32 v27, v27 offset:11964
	ds_read_b32 v28, v13
	s_waitcnt lgkmcnt(0)
	v_fmac_f32_e32 v26, v27, v28
.LBB103_759:
	s_or_b64 exec, exec, s[10:11]
	s_barrier
	s_and_saveexec_b64 s[10:11], s[38:39]
; %bb.760:
	ds_write_b32 v13, v26
; %bb.761:
	s_or_b64 exec, exec, s[10:11]
	s_waitcnt lgkmcnt(0)
	s_barrier
	s_barrier
	s_and_saveexec_b64 s[10:11], s[2:3]
; %bb.762:
	v_xor_b32_e32 v26, 0x80000000, v26
	ds_write_b32 v11, v26 offset:10416
; %bb.763:
	s_or_b64 exec, exec, s[10:11]
	s_waitcnt lgkmcnt(0)
	s_barrier
	s_barrier
	s_and_saveexec_b64 s[10:11], vcc
; %bb.764:
	s_movk_i32 s12, 0x2c00
	v_mov_b32_e32 v26, 1.0
	v_add_u32_e64 v27, s12, 0
	ds_write2_b32 v27, v26, v26 offset0:44 offset1:109
; %bb.765:
	s_or_b64 exec, exec, s[10:11]
	v_mov_b32_e32 v26, 0
	s_waitcnt lgkmcnt(0)
	s_barrier
	s_and_saveexec_b64 s[12:13], s[0:1]
	s_cbranch_execz .LBB103_769
; %bb.766:
	v_mul_u32_u24_e32 v26, 0x104, v5
	ds_read_b32 v28, v2 offset:11448
	ds_read_b32 v26, v26 offset:11440
	v_mov_b32_e32 v27, 0
	v_cmp_gt_u32_e64 s[10:11], 2, v4
	s_waitcnt lgkmcnt(0)
	v_fma_f32 v26, v28, v26, 0
	s_and_saveexec_b64 s[16:17], s[10:11]
	s_cbranch_execz .LBB103_768
; %bb.767:
	v_lshlrev_b32_e32 v28, 2, v0
	ds_read_b32 v28, v28 offset:11704
	ds_read_b32 v27, v27 offset:11444
	s_waitcnt lgkmcnt(0)
	v_fmac_f32_e32 v26, v28, v27
.LBB103_768:
	s_or_b64 exec, exec, s[16:17]
	v_xor_b32_e32 v26, 0x80000000, v26
.LBB103_769:
	s_or_b64 exec, exec, s[12:13]
	s_and_saveexec_b64 s[10:11], s[36:37]
; %bb.770:
	ds_write_b32 v3, v26
; %bb.771:
	s_or_b64 exec, exec, s[10:11]
	s_waitcnt lgkmcnt(0)
	s_barrier
	s_and_saveexec_b64 s[10:11], s[34:35]
	s_cbranch_execz .LBB103_773
; %bb.772:
	v_mov_b32_e32 v27, 0
	ds_read_b32 v27, v27 offset:11964
	ds_read_b32 v28, v3
	s_waitcnt lgkmcnt(0)
	v_fmac_f32_e32 v26, v27, v28
.LBB103_773:
	s_or_b64 exec, exec, s[10:11]
	s_barrier
	s_and_saveexec_b64 s[10:11], s[34:35]
; %bb.774:
	ds_write_b32 v3, v26
; %bb.775:
	s_or_b64 exec, exec, s[10:11]
	s_waitcnt lgkmcnt(0)
	s_barrier
	s_barrier
	s_and_saveexec_b64 s[10:11], s[0:1]
; %bb.776:
	v_xor_b32_e32 v26, 0x80000000, v26
	ds_write_b32 v2, v26 offset:11448
; %bb.777:
	s_or_b64 exec, exec, s[10:11]
	s_waitcnt lgkmcnt(0)
	s_barrier
	s_barrier
	s_and_saveexec_b64 s[10:11], vcc
; %bb.778:
	s_movk_i32 s12, 0x2c00
	v_mov_b32_e32 v26, 1.0
	v_add_u32_e64 v27, s12, 0
	ds_write2_b32 v27, v26, v26 offset0:174 offset1:239
; %bb.779:
	s_or_b64 exec, exec, s[10:11]
	v_mov_b32_e32 v26, 0
	s_waitcnt lgkmcnt(0)
	s_barrier
	s_and_saveexec_b64 s[12:13], s[8:9]
	s_cbranch_execz .LBB103_807
; %bb.780:
	v_mul_u32_u24_e32 v27, 0x104, v25
	ds_read_b32 v26, v21 offset:8384
	ds_read_b32 v28, v27 offset:8320
	s_movk_i32 s10, 0xf0
	v_cmp_gt_u32_e64 s[10:11], s10, v4
	s_waitcnt lgkmcnt(0)
	v_fma_f32 v26, v26, v28, 0
	s_and_saveexec_b64 s[16:17], s[10:11]
	s_cbranch_execz .LBB103_782
; %bb.781:
	v_lshlrev_b32_e32 v28, 2, v25
	v_sub_u32_e32 v28, v27, v28
	v_lshl_add_u32 v28, v22, 2, v28
	ds_read_b32 v28, v28 offset:8640
	ds_read_b32 v29, v27 offset:8324
	s_waitcnt lgkmcnt(0)
	v_fmac_f32_e32 v26, v28, v29
.LBB103_782:
	s_or_b64 exec, exec, s[16:17]
	s_movk_i32 s10, 0xe0
	v_cmp_gt_u32_e64 s[10:11], s10, v4
	s_and_saveexec_b64 s[16:17], s[10:11]
	s_cbranch_execz .LBB103_784
; %bb.783:
	v_lshlrev_b32_e32 v28, 2, v25
	v_sub_u32_e32 v28, v27, v28
	v_lshl_add_u32 v28, v22, 2, v28
	ds_read_b32 v28, v28 offset:8896
	ds_read_b32 v29, v27 offset:8328
	s_waitcnt lgkmcnt(0)
	v_fmac_f32_e32 v26, v28, v29
.LBB103_784:
	s_or_b64 exec, exec, s[16:17]
	s_movk_i32 s10, 0xd0
	v_cmp_gt_u32_e64 s[10:11], s10, v4
	s_and_saveexec_b64 s[16:17], s[10:11]
	s_cbranch_execz .LBB103_786
; %bb.785:
	v_lshlrev_b32_e32 v28, 2, v25
	v_sub_u32_e32 v28, v27, v28
	v_lshl_add_u32 v28, v22, 2, v28
	ds_read_b32 v28, v28 offset:9152
	ds_read_b32 v29, v27 offset:8332
	s_waitcnt lgkmcnt(0)
	v_fmac_f32_e32 v26, v28, v29
.LBB103_786:
	s_or_b64 exec, exec, s[16:17]
	s_movk_i32 s10, 0xc0
	v_cmp_gt_u32_e64 s[10:11], s10, v4
	s_and_saveexec_b64 s[16:17], s[10:11]
	s_cbranch_execz .LBB103_788
; %bb.787:
	v_lshlrev_b32_e32 v28, 2, v25
	v_sub_u32_e32 v28, v27, v28
	v_lshl_add_u32 v28, v22, 2, v28
	ds_read_b32 v28, v28 offset:9408
	ds_read_b32 v29, v27 offset:8336
	s_waitcnt lgkmcnt(0)
	v_fmac_f32_e32 v26, v28, v29
.LBB103_788:
	s_or_b64 exec, exec, s[16:17]
	s_movk_i32 s10, 0xb0
	v_cmp_gt_u32_e64 s[10:11], s10, v4
	s_and_saveexec_b64 s[16:17], s[10:11]
	s_cbranch_execz .LBB103_790
; %bb.789:
	v_lshlrev_b32_e32 v28, 2, v25
	v_sub_u32_e32 v28, v27, v28
	v_lshl_add_u32 v28, v22, 2, v28
	ds_read_b32 v28, v28 offset:9664
	ds_read_b32 v29, v27 offset:8340
	s_waitcnt lgkmcnt(0)
	v_fmac_f32_e32 v26, v28, v29
.LBB103_790:
	s_or_b64 exec, exec, s[16:17]
	s_movk_i32 s10, 0xa0
	v_cmp_gt_u32_e64 s[10:11], s10, v4
	s_and_saveexec_b64 s[16:17], s[10:11]
	s_cbranch_execz .LBB103_792
; %bb.791:
	v_lshlrev_b32_e32 v28, 2, v25
	v_sub_u32_e32 v28, v27, v28
	v_lshl_add_u32 v28, v22, 2, v28
	ds_read_b32 v28, v28 offset:9920
	ds_read_b32 v29, v27 offset:8344
	s_waitcnt lgkmcnt(0)
	v_fmac_f32_e32 v26, v28, v29
.LBB103_792:
	s_or_b64 exec, exec, s[16:17]
	s_movk_i32 s10, 0x90
	v_cmp_gt_u32_e64 s[10:11], s10, v4
	s_and_saveexec_b64 s[16:17], s[10:11]
	s_cbranch_execz .LBB103_794
; %bb.793:
	v_lshlrev_b32_e32 v25, 2, v25
	v_sub_u32_e32 v25, v27, v25
	v_lshl_add_u32 v25, v22, 2, v25
	ds_read_b32 v25, v25 offset:10176
	ds_read_b32 v28, v27 offset:8348
	s_waitcnt lgkmcnt(0)
	v_fmac_f32_e32 v26, v25, v28
.LBB103_794:
	s_or_b64 exec, exec, s[16:17]
	s_movk_i32 s10, 0x80
	v_cmp_gt_u32_e64 s[10:11], s10, v4
	s_and_saveexec_b64 s[16:17], s[10:11]
	s_cbranch_execz .LBB103_796
; %bb.795:
	ds_read_b32 v25, v21 offset:10432
	ds_read_b32 v28, v27 offset:8352
	s_waitcnt lgkmcnt(0)
	v_fmac_f32_e32 v26, v25, v28
.LBB103_796:
	s_or_b64 exec, exec, s[16:17]
	s_movk_i32 s10, 0x70
	v_cmp_gt_u32_e64 s[10:11], s10, v4
	s_and_saveexec_b64 s[16:17], s[10:11]
	s_cbranch_execz .LBB103_798
; %bb.797:
	v_lshlrev_b32_e32 v25, 2, v22
	v_lshl_add_u32 v25, v24, 2, v25
	ds_read_b32 v25, v25 offset:10688
	ds_read_b32 v28, v27 offset:8356
	s_waitcnt lgkmcnt(0)
	v_fmac_f32_e32 v26, v25, v28
.LBB103_798:
	s_or_b64 exec, exec, s[16:17]
	s_movk_i32 s10, 0x60
	v_cmp_gt_u32_e64 s[10:11], s10, v4
	s_and_saveexec_b64 s[16:17], s[10:11]
	s_cbranch_execz .LBB103_800
; %bb.799:
	v_lshlrev_b32_e32 v25, 2, v22
	v_lshl_add_u32 v25, v24, 2, v25
	ds_read_b32 v25, v25 offset:10944
	ds_read_b32 v28, v27 offset:8360
	s_waitcnt lgkmcnt(0)
	v_fmac_f32_e32 v26, v25, v28
.LBB103_800:
	s_or_b64 exec, exec, s[16:17]
	s_movk_i32 s10, 0x50
	v_cmp_gt_u32_e64 s[10:11], s10, v4
	s_and_saveexec_b64 s[16:17], s[10:11]
	s_cbranch_execnz .LBB103_1146
; %bb.801:
	s_or_b64 exec, exec, s[16:17]
	v_cmp_gt_u32_e64 s[10:11], 64, v4
	s_and_saveexec_b64 s[16:17], s[10:11]
	s_cbranch_execnz .LBB103_1147
.LBB103_802:
	s_or_b64 exec, exec, s[16:17]
	v_cmp_gt_u32_e64 s[10:11], 48, v4
	s_and_saveexec_b64 s[16:17], s[10:11]
	s_cbranch_execnz .LBB103_1148
.LBB103_803:
	s_or_b64 exec, exec, s[16:17]
	v_cmp_gt_u32_e64 s[10:11], 32, v4
	s_and_saveexec_b64 s[16:17], s[10:11]
	s_cbranch_execnz .LBB103_1149
.LBB103_804:
	s_or_b64 exec, exec, s[16:17]
	v_cmp_gt_u32_e64 s[10:11], 16, v4
	s_and_saveexec_b64 s[16:17], s[10:11]
	s_cbranch_execz .LBB103_806
.LBB103_805:
	v_lshlrev_b32_e32 v24, 2, v0
	v_mov_b32_e32 v25, 0
	ds_read_b32 v24, v24 offset:12224
	ds_read_b32 v25, v25 offset:8380
	s_waitcnt lgkmcnt(0)
	v_fmac_f32_e32 v26, v24, v25
.LBB103_806:
	s_or_b64 exec, exec, s[16:17]
	v_xor_b32_e32 v26, 0x80000000, v26
.LBB103_807:
	s_or_b64 exec, exec, s[12:13]
	s_mov_b64 s[10:11], exec
	v_readlane_b32 s12, v34, 1
	v_readlane_b32 s13, v34, 2
	s_and_b64 s[12:13], s[10:11], s[12:13]
	s_mov_b64 exec, s[12:13]
; %bb.808:
	ds_write_b32 v23, v26
; %bb.809:
	s_or_b64 exec, exec, s[10:11]
	s_waitcnt lgkmcnt(0)
	s_barrier
	s_mov_b64 s[10:11], exec
	v_readlane_b32 s12, v34, 3
	v_readlane_b32 s13, v34, 4
	s_and_b64 s[12:13], s[10:11], s[12:13]
	s_mov_b64 exec, s[12:13]
	s_cbranch_execz .LBB103_811
; %bb.810:
	v_lshlrev_b32_e32 v24, 2, v22
	ds_read_b32 v24, v24 offset:12480
	ds_read_b32 v25, v23
	s_waitcnt lgkmcnt(0)
	v_fmac_f32_e32 v26, v24, v25
.LBB103_811:
	s_or_b64 exec, exec, s[10:11]
	s_barrier
	s_mov_b64 s[10:11], exec
	v_readlane_b32 s12, v34, 5
	v_readlane_b32 s13, v34, 6
	s_and_b64 s[12:13], s[10:11], s[12:13]
	s_mov_b64 exec, s[12:13]
; %bb.812:
	ds_write_b32 v23, v26
; %bb.813:
	s_or_b64 exec, exec, s[10:11]
	s_waitcnt lgkmcnt(0)
	s_barrier
	s_mov_b64 s[10:11], exec
	v_readlane_b32 s12, v34, 7
	v_readlane_b32 s13, v34, 8
	s_and_b64 s[12:13], s[10:11], s[12:13]
	s_mov_b64 exec, s[12:13]
	s_cbranch_execz .LBB103_815
; %bb.814:
	v_lshlrev_b32_e32 v24, 2, v22
	ds_read_b32 v24, v24 offset:12736
	ds_read_b32 v25, v23
	s_waitcnt lgkmcnt(0)
	v_fmac_f32_e32 v26, v24, v25
.LBB103_815:
	s_or_b64 exec, exec, s[10:11]
	s_barrier
	;; [unrolled: 26-line block ×12, first 2 shown]
	s_and_saveexec_b64 s[10:11], s[92:93]
; %bb.856:
	ds_write_b32 v23, v26
; %bb.857:
	s_or_b64 exec, exec, s[10:11]
	s_waitcnt lgkmcnt(0)
	s_barrier
	s_and_saveexec_b64 s[10:11], s[94:95]
	s_cbranch_execz .LBB103_859
; %bb.858:
	v_lshlrev_b32_e32 v24, 2, v22
	ds_read_b32 v24, v24 offset:15552
	ds_read_b32 v25, v23
	s_waitcnt lgkmcnt(0)
	v_fmac_f32_e32 v26, v24, v25
.LBB103_859:
	s_or_b64 exec, exec, s[10:11]
	s_barrier
	s_and_saveexec_b64 s[10:11], s[78:79]
; %bb.860:
	ds_write_b32 v23, v26
; %bb.861:
	s_or_b64 exec, exec, s[10:11]
	s_waitcnt lgkmcnt(0)
	s_barrier
	s_and_saveexec_b64 s[10:11], s[80:81]
	s_cbranch_execz .LBB103_863
; %bb.862:
	v_lshlrev_b32_e32 v22, 2, v22
	ds_read_b32 v22, v22 offset:15808
	ds_read_b32 v24, v23
	s_waitcnt lgkmcnt(0)
	v_fmac_f32_e32 v26, v22, v24
.LBB103_863:
	s_or_b64 exec, exec, s[10:11]
	s_barrier
	s_and_saveexec_b64 s[10:11], s[84:85]
; %bb.864:
	ds_write_b32 v23, v26
; %bb.865:
	s_or_b64 exec, exec, s[10:11]
	s_waitcnt lgkmcnt(0)
	s_barrier
	s_and_saveexec_b64 s[10:11], s[82:83]
	s_cbranch_execz .LBB103_867
; %bb.866:
	v_mov_b32_e32 v22, 0
	ds_read_b32 v22, v22 offset:16124
	ds_read_b32 v24, v23
	s_waitcnt lgkmcnt(0)
	v_fmac_f32_e32 v26, v22, v24
.LBB103_867:
	s_or_b64 exec, exec, s[10:11]
	s_barrier
	s_and_saveexec_b64 s[10:11], s[82:83]
; %bb.868:
	ds_write_b32 v23, v26
; %bb.869:
	s_or_b64 exec, exec, s[10:11]
	s_waitcnt lgkmcnt(0)
	s_barrier
	s_barrier
	s_and_saveexec_b64 s[10:11], s[8:9]
; %bb.870:
	v_xor_b32_e32 v22, 0x80000000, v26
	ds_write_b32 v21, v22 offset:8384
; %bb.871:
	s_or_b64 exec, exec, s[10:11]
	s_waitcnt lgkmcnt(0)
	s_barrier
	s_barrier
	s_and_saveexec_b64 s[8:9], vcc
; %bb.872:
	s_movk_i32 s10, 0x3000
	v_mov_b32_e32 v21, 1.0
	v_add_u32_e64 v22, s10, 0
	ds_write2_b32 v22, v21, v21 offset0:48 offset1:113
; %bb.873:
	s_or_b64 exec, exec, s[8:9]
	v_mov_b32_e32 v21, 0
	s_waitcnt lgkmcnt(0)
	s_barrier
	s_and_saveexec_b64 s[10:11], s[0:1]
	s_cbranch_execz .LBB103_877
; %bb.874:
	v_mul_u32_u24_e32 v21, 0x104, v5
	ds_read_b32 v23, v2 offset:12488
	ds_read_b32 v21, v21 offset:12480
	v_mov_b32_e32 v22, 0
	v_cmp_gt_u32_e64 s[8:9], 2, v4
	s_waitcnt lgkmcnt(0)
	v_fma_f32 v21, v23, v21, 0
	s_and_saveexec_b64 s[12:13], s[8:9]
	s_cbranch_execz .LBB103_876
; %bb.875:
	v_lshlrev_b32_e32 v23, 2, v0
	ds_read_b32 v23, v23 offset:12744
	ds_read_b32 v22, v22 offset:12484
	s_waitcnt lgkmcnt(0)
	v_fmac_f32_e32 v21, v23, v22
.LBB103_876:
	s_or_b64 exec, exec, s[12:13]
	v_xor_b32_e32 v21, 0x80000000, v21
.LBB103_877:
	s_or_b64 exec, exec, s[10:11]
	s_and_saveexec_b64 s[8:9], s[36:37]
; %bb.878:
	ds_write_b32 v3, v21
; %bb.879:
	s_or_b64 exec, exec, s[8:9]
	s_waitcnt lgkmcnt(0)
	s_barrier
	s_and_saveexec_b64 s[8:9], s[34:35]
	s_cbranch_execz .LBB103_881
; %bb.880:
	v_mov_b32_e32 v22, 0
	ds_read_b32 v22, v22 offset:13004
	ds_read_b32 v23, v3
	s_waitcnt lgkmcnt(0)
	v_fmac_f32_e32 v21, v22, v23
.LBB103_881:
	s_or_b64 exec, exec, s[8:9]
	s_barrier
	s_and_saveexec_b64 s[8:9], s[34:35]
; %bb.882:
	ds_write_b32 v3, v21
; %bb.883:
	s_or_b64 exec, exec, s[8:9]
	s_waitcnt lgkmcnt(0)
	s_barrier
	s_barrier
	s_and_saveexec_b64 s[8:9], s[0:1]
; %bb.884:
	v_xor_b32_e32 v21, 0x80000000, v21
	ds_write_b32 v2, v21 offset:12488
; %bb.885:
	s_or_b64 exec, exec, s[8:9]
	s_waitcnt lgkmcnt(0)
	s_barrier
	s_barrier
	s_and_saveexec_b64 s[8:9], vcc
; %bb.886:
	s_movk_i32 s10, 0x3000
	v_mov_b32_e32 v21, 1.0
	v_add_u32_e64 v22, s10, 0
	ds_write2_b32 v22, v21, v21 offset0:178 offset1:243
; %bb.887:
	s_or_b64 exec, exec, s[8:9]
	v_mov_b32_e32 v21, 0
	s_waitcnt lgkmcnt(0)
	s_barrier
	s_and_saveexec_b64 s[10:11], s[2:3]
	s_cbranch_execz .LBB103_893
; %bb.888:
	v_mul_u32_u24_e32 v22, 0x104, v15
	ds_read_b32 v21, v11 offset:12496
	ds_read_b32 v23, v22 offset:12480
	v_cmp_gt_u32_e64 s[8:9], 12, v4
	s_waitcnt lgkmcnt(0)
	v_fma_f32 v21, v21, v23, 0
	s_and_saveexec_b64 s[12:13], s[8:9]
	s_cbranch_execnz .LBB103_1150
; %bb.889:
	s_or_b64 exec, exec, s[12:13]
	v_cmp_gt_u32_e64 s[8:9], 8, v4
	s_and_saveexec_b64 s[12:13], s[8:9]
	s_cbranch_execnz .LBB103_1151
.LBB103_890:
	s_or_b64 exec, exec, s[12:13]
	v_cmp_gt_u32_e64 s[8:9], 4, v4
	s_and_saveexec_b64 s[12:13], s[8:9]
	s_cbranch_execz .LBB103_892
.LBB103_891:
	v_lshlrev_b32_e32 v22, 2, v0
	v_mov_b32_e32 v23, 0
	ds_read_b32 v22, v22 offset:13264
	ds_read_b32 v23, v23 offset:12492
	s_waitcnt lgkmcnt(0)
	v_fmac_f32_e32 v21, v22, v23
.LBB103_892:
	s_or_b64 exec, exec, s[12:13]
	v_xor_b32_e32 v21, 0x80000000, v21
.LBB103_893:
	s_or_b64 exec, exec, s[10:11]
	s_and_saveexec_b64 s[8:9], s[40:41]
; %bb.894:
	ds_write_b32 v13, v21
; %bb.895:
	s_or_b64 exec, exec, s[8:9]
	s_waitcnt lgkmcnt(0)
	s_barrier
	s_and_saveexec_b64 s[8:9], s[42:43]
	s_cbranch_execz .LBB103_897
; %bb.896:
	ds_read_b32 v22, v12 offset:13520
	ds_read_b32 v23, v13
	s_waitcnt lgkmcnt(0)
	v_fmac_f32_e32 v21, v22, v23
.LBB103_897:
	s_or_b64 exec, exec, s[8:9]
	s_barrier
	s_and_saveexec_b64 s[8:9], s[44:45]
; %bb.898:
	ds_write_b32 v13, v21
; %bb.899:
	s_or_b64 exec, exec, s[8:9]
	s_waitcnt lgkmcnt(0)
	s_barrier
	s_and_saveexec_b64 s[8:9], s[46:47]
	s_cbranch_execz .LBB103_901
; %bb.900:
	ds_read_b32 v22, v12 offset:13776
	ds_read_b32 v23, v13
	s_waitcnt lgkmcnt(0)
	v_fmac_f32_e32 v21, v22, v23
.LBB103_901:
	s_or_b64 exec, exec, s[8:9]
	s_barrier
	s_and_saveexec_b64 s[8:9], s[48:49]
; %bb.902:
	ds_write_b32 v13, v21
; %bb.903:
	s_or_b64 exec, exec, s[8:9]
	s_waitcnt lgkmcnt(0)
	s_barrier
	s_and_saveexec_b64 s[8:9], s[38:39]
	s_cbranch_execz .LBB103_905
; %bb.904:
	v_mov_b32_e32 v22, 0
	ds_read_b32 v22, v22 offset:14044
	ds_read_b32 v23, v13
	s_waitcnt lgkmcnt(0)
	v_fmac_f32_e32 v21, v22, v23
.LBB103_905:
	s_or_b64 exec, exec, s[8:9]
	s_barrier
	s_and_saveexec_b64 s[8:9], s[38:39]
; %bb.906:
	ds_write_b32 v13, v21
; %bb.907:
	s_or_b64 exec, exec, s[8:9]
	s_waitcnt lgkmcnt(0)
	s_barrier
	s_barrier
	s_and_saveexec_b64 s[8:9], s[2:3]
; %bb.908:
	v_xor_b32_e32 v21, 0x80000000, v21
	ds_write_b32 v11, v21 offset:12496
; %bb.909:
	s_or_b64 exec, exec, s[8:9]
	s_waitcnt lgkmcnt(0)
	s_barrier
	s_barrier
	s_and_saveexec_b64 s[8:9], vcc
; %bb.910:
	s_movk_i32 s10, 0x3400
	v_mov_b32_e32 v21, 1.0
	v_add_u32_e64 v22, s10, 0
	ds_write2_b32 v22, v21, v21 offset0:52 offset1:117
; %bb.911:
	s_or_b64 exec, exec, s[8:9]
	v_mov_b32_e32 v21, 0
	s_waitcnt lgkmcnt(0)
	s_barrier
	s_and_saveexec_b64 s[10:11], s[0:1]
	s_cbranch_execz .LBB103_915
; %bb.912:
	v_mul_u32_u24_e32 v21, 0x104, v5
	ds_read_b32 v23, v2 offset:13528
	ds_read_b32 v21, v21 offset:13520
	v_mov_b32_e32 v22, 0
	v_cmp_gt_u32_e64 s[8:9], 2, v4
	s_waitcnt lgkmcnt(0)
	v_fma_f32 v21, v23, v21, 0
	s_and_saveexec_b64 s[12:13], s[8:9]
	s_cbranch_execz .LBB103_914
; %bb.913:
	v_lshlrev_b32_e32 v23, 2, v0
	ds_read_b32 v23, v23 offset:13784
	ds_read_b32 v22, v22 offset:13524
	s_waitcnt lgkmcnt(0)
	v_fmac_f32_e32 v21, v23, v22
.LBB103_914:
	s_or_b64 exec, exec, s[12:13]
	v_xor_b32_e32 v21, 0x80000000, v21
.LBB103_915:
	s_or_b64 exec, exec, s[10:11]
	s_and_saveexec_b64 s[8:9], s[36:37]
; %bb.916:
	ds_write_b32 v3, v21
; %bb.917:
	s_or_b64 exec, exec, s[8:9]
	s_waitcnt lgkmcnt(0)
	s_barrier
	s_and_saveexec_b64 s[8:9], s[34:35]
	s_cbranch_execz .LBB103_919
; %bb.918:
	v_mov_b32_e32 v22, 0
	ds_read_b32 v22, v22 offset:14044
	ds_read_b32 v23, v3
	s_waitcnt lgkmcnt(0)
	v_fmac_f32_e32 v21, v22, v23
.LBB103_919:
	s_or_b64 exec, exec, s[8:9]
	s_barrier
	s_and_saveexec_b64 s[8:9], s[34:35]
; %bb.920:
	ds_write_b32 v3, v21
; %bb.921:
	s_or_b64 exec, exec, s[8:9]
	s_waitcnt lgkmcnt(0)
	s_barrier
	s_barrier
	s_and_saveexec_b64 s[8:9], s[0:1]
; %bb.922:
	v_xor_b32_e32 v21, 0x80000000, v21
	ds_write_b32 v2, v21 offset:13528
; %bb.923:
	s_or_b64 exec, exec, s[8:9]
	s_waitcnt lgkmcnt(0)
	s_barrier
	s_barrier
	s_and_saveexec_b64 s[8:9], vcc
; %bb.924:
	s_movk_i32 s10, 0x3400
	v_mov_b32_e32 v21, 1.0
	v_add_u32_e64 v22, s10, 0
	ds_write2_b32 v22, v21, v21 offset0:182 offset1:247
; %bb.925:
	s_or_b64 exec, exec, s[8:9]
	v_mov_b32_e32 v21, 0
	s_waitcnt lgkmcnt(0)
	s_barrier
	s_and_saveexec_b64 s[10:11], s[14:15]
	s_cbranch_execz .LBB103_935
; %bb.926:
	v_mul_u32_u24_e32 v22, 0x104, v20
	ds_read_b32 v21, v16 offset:12512
	ds_read_b32 v23, v22 offset:12480
	v_cmp_gt_u32_e64 s[8:9], 56, v4
	s_waitcnt lgkmcnt(0)
	v_fma_f32 v21, v21, v23, 0
	s_and_saveexec_b64 s[12:13], s[8:9]
	s_cbranch_execnz .LBB103_1152
; %bb.927:
	s_or_b64 exec, exec, s[12:13]
	v_cmp_gt_u32_e64 s[8:9], 48, v4
	s_and_saveexec_b64 s[12:13], s[8:9]
	s_cbranch_execnz .LBB103_1153
.LBB103_928:
	s_or_b64 exec, exec, s[12:13]
	v_cmp_gt_u32_e64 s[8:9], 40, v4
	s_and_saveexec_b64 s[12:13], s[8:9]
	s_cbranch_execnz .LBB103_1154
.LBB103_929:
	s_or_b64 exec, exec, s[12:13]
	v_cmp_gt_u32_e64 s[8:9], 32, v4
	s_and_saveexec_b64 s[12:13], s[8:9]
	s_cbranch_execnz .LBB103_1155
.LBB103_930:
	s_or_b64 exec, exec, s[12:13]
	v_cmp_gt_u32_e64 s[8:9], 24, v4
	s_and_saveexec_b64 s[12:13], s[8:9]
	s_cbranch_execnz .LBB103_1156
.LBB103_931:
	s_or_b64 exec, exec, s[12:13]
	v_cmp_gt_u32_e64 s[8:9], 16, v4
	s_and_saveexec_b64 s[12:13], s[8:9]
	s_cbranch_execnz .LBB103_1157
.LBB103_932:
	s_or_b64 exec, exec, s[12:13]
	v_cmp_gt_u32_e64 s[8:9], 8, v4
	s_and_saveexec_b64 s[12:13], s[8:9]
	s_cbranch_execz .LBB103_934
.LBB103_933:
	v_lshlrev_b32_e32 v19, 2, v0
	v_mov_b32_e32 v20, 0
	ds_read_b32 v19, v19 offset:14304
	ds_read_b32 v20, v20 offset:12508
	s_waitcnt lgkmcnt(0)
	v_fmac_f32_e32 v21, v19, v20
.LBB103_934:
	s_or_b64 exec, exec, s[12:13]
	v_xor_b32_e32 v21, 0x80000000, v21
.LBB103_935:
	s_or_b64 exec, exec, s[10:11]
	s_and_saveexec_b64 s[8:9], s[50:51]
; %bb.936:
	ds_write_b32 v18, v21
; %bb.937:
	s_or_b64 exec, exec, s[8:9]
	s_waitcnt lgkmcnt(0)
	s_barrier
	s_and_saveexec_b64 s[8:9], s[52:53]
	s_cbranch_execz .LBB103_939
; %bb.938:
	ds_read_b32 v19, v17 offset:14560
	ds_read_b32 v20, v18
	s_waitcnt lgkmcnt(0)
	v_fmac_f32_e32 v21, v19, v20
.LBB103_939:
	s_or_b64 exec, exec, s[8:9]
	s_barrier
	s_and_saveexec_b64 s[8:9], s[54:55]
; %bb.940:
	ds_write_b32 v18, v21
; %bb.941:
	s_or_b64 exec, exec, s[8:9]
	s_waitcnt lgkmcnt(0)
	s_barrier
	s_and_saveexec_b64 s[8:9], s[56:57]
	s_cbranch_execz .LBB103_943
; %bb.942:
	ds_read_b32 v19, v17 offset:14816
	ds_read_b32 v20, v18
	s_waitcnt lgkmcnt(0)
	v_fmac_f32_e32 v21, v19, v20
.LBB103_943:
	s_or_b64 exec, exec, s[8:9]
	s_barrier
	;; [unrolled: 17-line block ×6, first 2 shown]
	s_and_saveexec_b64 s[8:9], s[76:77]
; %bb.960:
	ds_write_b32 v18, v21
; %bb.961:
	s_or_b64 exec, exec, s[8:9]
	s_waitcnt lgkmcnt(0)
	s_barrier
	s_and_saveexec_b64 s[8:9], s[58:59]
	s_cbranch_execz .LBB103_963
; %bb.962:
	v_mov_b32_e32 v17, 0
	ds_read_b32 v17, v17 offset:16124
	ds_read_b32 v19, v18
	s_waitcnt lgkmcnt(0)
	v_fmac_f32_e32 v21, v17, v19
.LBB103_963:
	s_or_b64 exec, exec, s[8:9]
	s_barrier
	s_and_saveexec_b64 s[8:9], s[58:59]
; %bb.964:
	ds_write_b32 v18, v21
; %bb.965:
	s_or_b64 exec, exec, s[8:9]
	s_waitcnt lgkmcnt(0)
	s_barrier
	s_barrier
	s_and_saveexec_b64 s[8:9], s[14:15]
; %bb.966:
	v_xor_b32_e32 v17, 0x80000000, v21
	ds_write_b32 v16, v17 offset:12512
; %bb.967:
	s_or_b64 exec, exec, s[8:9]
	s_waitcnt lgkmcnt(0)
	s_barrier
	s_barrier
	s_and_saveexec_b64 s[8:9], vcc
; %bb.968:
	s_movk_i32 s10, 0x3800
	v_mov_b32_e32 v16, 1.0
	v_add_u32_e64 v17, s10, 0
	ds_write2_b32 v17, v16, v16 offset0:56 offset1:121
; %bb.969:
	s_or_b64 exec, exec, s[8:9]
	v_mov_b32_e32 v16, 0
	s_waitcnt lgkmcnt(0)
	s_barrier
	s_and_saveexec_b64 s[10:11], s[0:1]
	s_cbranch_execz .LBB103_973
; %bb.970:
	v_mul_u32_u24_e32 v16, 0x104, v5
	ds_read_b32 v18, v2 offset:14568
	ds_read_b32 v16, v16 offset:14560
	v_mov_b32_e32 v17, 0
	v_cmp_gt_u32_e64 s[8:9], 2, v4
	s_waitcnt lgkmcnt(0)
	v_fma_f32 v16, v18, v16, 0
	s_and_saveexec_b64 s[12:13], s[8:9]
	s_cbranch_execz .LBB103_972
; %bb.971:
	v_lshlrev_b32_e32 v18, 2, v0
	ds_read_b32 v18, v18 offset:14824
	ds_read_b32 v17, v17 offset:14564
	s_waitcnt lgkmcnt(0)
	v_fmac_f32_e32 v16, v18, v17
.LBB103_972:
	s_or_b64 exec, exec, s[12:13]
	v_xor_b32_e32 v16, 0x80000000, v16
.LBB103_973:
	s_or_b64 exec, exec, s[10:11]
	s_and_saveexec_b64 s[8:9], s[36:37]
; %bb.974:
	ds_write_b32 v3, v16
; %bb.975:
	s_or_b64 exec, exec, s[8:9]
	s_waitcnt lgkmcnt(0)
	s_barrier
	s_and_saveexec_b64 s[8:9], s[34:35]
	s_cbranch_execz .LBB103_977
; %bb.976:
	v_mov_b32_e32 v17, 0
	ds_read_b32 v17, v17 offset:15084
	ds_read_b32 v18, v3
	s_waitcnt lgkmcnt(0)
	v_fmac_f32_e32 v16, v17, v18
.LBB103_977:
	s_or_b64 exec, exec, s[8:9]
	s_barrier
	s_and_saveexec_b64 s[8:9], s[34:35]
; %bb.978:
	ds_write_b32 v3, v16
; %bb.979:
	s_or_b64 exec, exec, s[8:9]
	s_waitcnt lgkmcnt(0)
	s_barrier
	s_barrier
	s_and_saveexec_b64 s[8:9], s[0:1]
; %bb.980:
	v_xor_b32_e32 v16, 0x80000000, v16
	ds_write_b32 v2, v16 offset:14568
; %bb.981:
	s_or_b64 exec, exec, s[8:9]
	s_waitcnt lgkmcnt(0)
	s_barrier
	s_barrier
	s_and_saveexec_b64 s[8:9], vcc
; %bb.982:
	s_movk_i32 s10, 0x3800
	v_mov_b32_e32 v16, 1.0
	v_add_u32_e64 v17, s10, 0
	ds_write2_b32 v17, v16, v16 offset0:186 offset1:251
; %bb.983:
	s_or_b64 exec, exec, s[8:9]
	v_mov_b32_e32 v16, 0
	s_waitcnt lgkmcnt(0)
	s_barrier
	s_and_saveexec_b64 s[10:11], s[2:3]
	s_cbranch_execz .LBB103_989
; %bb.984:
	v_mul_u32_u24_e32 v17, 0x104, v15
	ds_read_b32 v16, v11 offset:14576
	ds_read_b32 v18, v17 offset:14560
	v_cmp_gt_u32_e64 s[8:9], 12, v4
	s_waitcnt lgkmcnt(0)
	v_fma_f32 v16, v16, v18, 0
	s_and_saveexec_b64 s[12:13], s[8:9]
	s_cbranch_execnz .LBB103_1158
; %bb.985:
	s_or_b64 exec, exec, s[12:13]
	v_cmp_gt_u32_e64 s[8:9], 8, v4
	s_and_saveexec_b64 s[12:13], s[8:9]
	s_cbranch_execnz .LBB103_1159
.LBB103_986:
	s_or_b64 exec, exec, s[12:13]
	v_cmp_gt_u32_e64 s[8:9], 4, v4
	s_and_saveexec_b64 s[12:13], s[8:9]
	s_cbranch_execz .LBB103_988
.LBB103_987:
	v_lshlrev_b32_e32 v14, 2, v0
	v_mov_b32_e32 v15, 0
	ds_read_b32 v14, v14 offset:15344
	ds_read_b32 v15, v15 offset:14572
	s_waitcnt lgkmcnt(0)
	v_fmac_f32_e32 v16, v14, v15
.LBB103_988:
	s_or_b64 exec, exec, s[12:13]
	v_xor_b32_e32 v16, 0x80000000, v16
.LBB103_989:
	s_or_b64 exec, exec, s[10:11]
	s_and_saveexec_b64 s[8:9], s[40:41]
; %bb.990:
	ds_write_b32 v13, v16
; %bb.991:
	s_or_b64 exec, exec, s[8:9]
	s_waitcnt lgkmcnt(0)
	s_barrier
	s_and_saveexec_b64 s[8:9], s[42:43]
	s_load_dword s40, s[4:5], 0x6c
	v_readlane_b32 s41, v34, 0
	s_cbranch_execz .LBB103_993
; %bb.992:
	ds_read_b32 v14, v12 offset:15600
	ds_read_b32 v15, v13
	s_waitcnt lgkmcnt(0)
	v_fmac_f32_e32 v16, v14, v15
.LBB103_993:
	s_or_b64 exec, exec, s[8:9]
	s_waitcnt lgkmcnt(0)
	s_barrier
	s_and_saveexec_b64 s[8:9], s[44:45]
; %bb.994:
	ds_write_b32 v13, v16
; %bb.995:
	s_or_b64 exec, exec, s[8:9]
	s_waitcnt lgkmcnt(0)
	s_barrier
	s_and_saveexec_b64 s[8:9], s[46:47]
	s_cbranch_execz .LBB103_997
; %bb.996:
	ds_read_b32 v12, v12 offset:15856
	ds_read_b32 v14, v13
	s_waitcnt lgkmcnt(0)
	v_fmac_f32_e32 v16, v12, v14
.LBB103_997:
	s_or_b64 exec, exec, s[8:9]
	s_barrier
	s_and_saveexec_b64 s[8:9], s[48:49]
; %bb.998:
	ds_write_b32 v13, v16
; %bb.999:
	s_or_b64 exec, exec, s[8:9]
	s_waitcnt lgkmcnt(0)
	s_barrier
	s_and_saveexec_b64 s[8:9], s[38:39]
	s_cbranch_execz .LBB103_1001
; %bb.1000:
	v_mov_b32_e32 v12, 0
	ds_read_b32 v12, v12 offset:16124
	ds_read_b32 v14, v13
	s_waitcnt lgkmcnt(0)
	v_fmac_f32_e32 v16, v12, v14
.LBB103_1001:
	s_or_b64 exec, exec, s[8:9]
	s_barrier
	s_and_saveexec_b64 s[8:9], s[38:39]
; %bb.1002:
	ds_write_b32 v13, v16
; %bb.1003:
	s_or_b64 exec, exec, s[8:9]
	s_waitcnt lgkmcnt(0)
	s_barrier
	s_barrier
	s_and_saveexec_b64 s[8:9], s[2:3]
; %bb.1004:
	v_xor_b32_e32 v12, 0x80000000, v16
	ds_write_b32 v11, v12 offset:14576
; %bb.1005:
	s_or_b64 exec, exec, s[8:9]
	s_waitcnt lgkmcnt(0)
	s_barrier
	s_barrier
	s_and_saveexec_b64 s[2:3], vcc
; %bb.1006:
	s_movk_i32 s8, 0x3c00
	v_mov_b32_e32 v11, 1.0
	v_add_u32_e64 v12, s8, 0
	ds_write2_b32 v12, v11, v11 offset0:60 offset1:125
; %bb.1007:
	s_or_b64 exec, exec, s[2:3]
	v_mov_b32_e32 v11, 0
	s_waitcnt lgkmcnt(0)
	s_barrier
	s_and_saveexec_b64 s[8:9], s[0:1]
	s_cbranch_execz .LBB103_1011
; %bb.1008:
	v_mul_u32_u24_e32 v5, 0x104, v5
	ds_read_b32 v12, v2 offset:15608
	ds_read_b32 v5, v5 offset:15600
	v_mov_b32_e32 v11, 0
	v_cmp_gt_u32_e64 s[2:3], 2, v4
	s_waitcnt lgkmcnt(0)
	v_fma_f32 v5, v12, v5, 0
	s_and_saveexec_b64 s[10:11], s[2:3]
	s_cbranch_execz .LBB103_1010
; %bb.1009:
	v_lshlrev_b32_e32 v4, 2, v0
	ds_read_b32 v4, v4 offset:15864
	ds_read_b32 v11, v11 offset:15604
	s_waitcnt lgkmcnt(0)
	v_fmac_f32_e32 v5, v4, v11
.LBB103_1010:
	s_or_b64 exec, exec, s[10:11]
	v_xor_b32_e32 v11, 0x80000000, v5
.LBB103_1011:
	s_or_b64 exec, exec, s[8:9]
	s_and_saveexec_b64 s[2:3], s[36:37]
; %bb.1012:
	ds_write_b32 v3, v11
; %bb.1013:
	s_or_b64 exec, exec, s[2:3]
	s_waitcnt lgkmcnt(0)
	s_barrier
	s_and_saveexec_b64 s[2:3], s[34:35]
	s_cbranch_execz .LBB103_1015
; %bb.1014:
	v_mov_b32_e32 v4, 0
	ds_read_b32 v4, v4 offset:16124
	ds_read_b32 v5, v3
	s_waitcnt lgkmcnt(0)
	v_fmac_f32_e32 v11, v4, v5
.LBB103_1015:
	s_or_b64 exec, exec, s[2:3]
	s_barrier
	s_and_saveexec_b64 s[2:3], s[34:35]
; %bb.1016:
	ds_write_b32 v3, v11
; %bb.1017:
	s_or_b64 exec, exec, s[2:3]
	s_waitcnt lgkmcnt(0)
	s_barrier
	s_barrier
	s_and_saveexec_b64 s[2:3], s[0:1]
; %bb.1018:
	v_xor_b32_e32 v3, 0x80000000, v11
	ds_write_b32 v2, v3 offset:15608
; %bb.1019:
	s_or_b64 exec, exec, s[2:3]
	s_waitcnt lgkmcnt(0)
	s_barrier
	s_barrier
	s_and_saveexec_b64 s[0:1], vcc
; %bb.1020:
	s_movk_i32 s2, 0x3c00
	v_mov_b32_e32 v2, 1.0
	v_add_u32_e64 v3, s2, 0
	ds_write2_b32 v3, v2, v2 offset0:190 offset1:255
; %bb.1021:
	s_or_b64 exec, exec, s[0:1]
.LBB103_1022:
	s_lshl_b64 s[0:1], s[20:21], 2
	s_add_u32 s36, s28, s0
	v_cmp_le_i32_e32 vcc, s7, v0
	s_addc_u32 s37, s29, s1
	s_and_b64 s[14:15], vcc, s[18:19]
	v_cmp_eq_u32_e64 s[0:1], 0, v1
	s_xor_b64 s[2:3], s[14:15], -1
	s_and_b64 s[8:9], s[0:1], s[2:3]
	v_mov_b32_e32 v12, 0
	v_lshl_add_u32 v2, s6, 6, v0
	s_waitcnt lgkmcnt(0)
	s_barrier
	s_and_saveexec_b64 s[2:3], s[8:9]
	s_cbranch_execz .LBB103_1024
; %bb.1023:
	v_ashrrev_i32_e32 v5, 31, v2
	v_mul_lo_u32 v11, s23, v2
	v_mad_u64_u32 v[3:4], s[8:9], s22, v2, 0
	v_mul_lo_u32 v5, s22, v5
	v_add3_u32 v4, v4, v5, v11
	v_lshlrev_b64 v[3:4], 2, v[3:4]
	v_mov_b32_e32 v5, s37
	v_add_co_u32_e32 v3, vcc, s36, v3
	v_addc_co_u32_e32 v4, vcc, v5, v4, vcc
	flat_load_dword v3, v[3:4]
	s_waitcnt vmcnt(0) lgkmcnt(0)
	v_mul_f32_e64 v12, v3, -s41
.LBB103_1024:
	s_or_b64 exec, exec, s[2:3]
	s_load_dwordx2 s[12:13], s[4:5], 0x50
	s_and_b32 s2, 0xffff, s40
	v_mad_u32_u24 v11, v1, s2, v0
	s_cmp_lt_i32 s6, 1
	v_cmp_eq_u32_e64 s[2:3], 0, v11
	s_cbranch_scc1 .LBB103_1050
; %bb.1025:
	v_mov_b32_e32 v3, 0
	v_mov_b32_e32 v4, 0x5000
	v_lshl_add_u32 v13, v11, 2, v4
	v_lshl_or_b32 v14, v1, 2, v4
	v_lshlrev_b64 v[4:5], 2, v[2:3]
	s_lshl_b64 s[4:5], s[24:25], 2
	s_waitcnt lgkmcnt(0)
	s_add_u32 s16, s12, s4
	v_cmp_gt_i32_e64 s[10:11], s33, v2
	v_mov_b32_e32 v15, s91
	v_add_co_u32_e32 v2, vcc, s90, v4
	s_mul_i32 s8, s27, 0xc0
	s_mul_hi_u32 s9, s26, 0xc0
	s_mov_b32 s38, 0
	s_addc_u32 s17, s13, s5
	v_cmp_gt_u32_e64 s[4:5], 64, v11
	s_add_i32 s39, s6, -1
	v_addc_co_u32_e32 v15, vcc, v15, v5, vcc
	s_lshl_b64 s[20:21], s[26:27], 6
	s_lshl_b64 s[28:29], s[26:27], 7
	s_add_i32 s40, s9, s8
	s_mul_i32 s41, s26, 0xc0
	v_mov_b32_e32 v16, -1
	s_branch .LBB103_1028
.LBB103_1026:                           ;   in Loop: Header=BB103_1028 Depth=1
	ds_read_b32 v4, v14 offset:192
	s_waitcnt vmcnt(0) lgkmcnt(0)
	v_fmac_f32_e32 v12, v17, v4
.LBB103_1027:                           ;   in Loop: Header=BB103_1028 Depth=1
	s_or_b64 exec, exec, s[34:35]
	s_add_i32 s38, s38, 1
	s_cmp_eq_u32 s38, s6
	s_cbranch_scc1 .LBB103_1050
.LBB103_1028:                           ; =>This Loop Header: Depth=1
                                        ;     Child Loop BB103_1030 Depth 2
	v_cmp_gt_i32_e32 vcc, s38, v16
	s_and_b64 s[34:35], s[2:3], vcc
	s_and_saveexec_b64 s[8:9], s[34:35]
	s_cbranch_execz .LBB103_1031
; %bb.1029:                             ;   in Loop: Header=BB103_1028 Depth=1
	global_load_dword v16, v3, s[16:17]
	s_waitcnt vmcnt(0)
	v_cmp_le_i32_e32 vcc, s38, v16
	s_cbranch_vccnz .LBB103_1031
.LBB103_1030:                           ;   Parent Loop BB103_1028 Depth=1
                                        ; =>  This Inner Loop Header: Depth=2
	buffer_wbinvl1_vol
	global_load_dword v16, v3, s[16:17]
	s_waitcnt vmcnt(0)
	v_cmp_gt_i32_e32 vcc, s38, v16
	s_cbranch_vccnz .LBB103_1030
.LBB103_1031:                           ;   in Loop: Header=BB103_1028 Depth=1
	s_or_b64 exec, exec, s[8:9]
	s_lshl_b32 s42, s38, 6
	buffer_wbinvl1_vol
	s_barrier
	s_and_saveexec_b64 s[8:9], s[4:5]
	s_cbranch_execz .LBB103_1035
; %bb.1032:                             ;   in Loop: Header=BB103_1028 Depth=1
	v_or_b32_e32 v5, s42, v11
	v_cmp_gt_i32_e32 vcc, s33, v5
	v_mov_b32_e32 v4, 0
	s_and_saveexec_b64 s[34:35], vcc
	s_cbranch_execz .LBB103_1034
; %bb.1033:                             ;   in Loop: Header=BB103_1028 Depth=1
	v_mad_u64_u32 v[17:18], s[44:45], s22, v5, 0
	v_mov_b32_e32 v19, s37
	v_mov_b32_e32 v4, v18
	v_mad_u64_u32 v[4:5], s[44:45], s23, v5, v[4:5]
	v_mov_b32_e32 v18, v4
	v_lshlrev_b64 v[4:5], 2, v[17:18]
	v_add_co_u32_e32 v4, vcc, s36, v4
	v_addc_co_u32_e32 v5, vcc, v19, v5, vcc
	flat_load_dword v4, v[4:5]
.LBB103_1034:                           ;   in Loop: Header=BB103_1028 Depth=1
	s_or_b64 exec, exec, s[34:35]
	s_waitcnt vmcnt(0) lgkmcnt(0)
	ds_write_b32 v13, v4
.LBB103_1035:                           ;   in Loop: Header=BB103_1028 Depth=1
	s_or_b64 exec, exec, s[8:9]
	v_add_u32_e32 v17, s42, v1
	v_mad_u64_u32 v[4:5], s[8:9], s26, v17, 0
	s_cmp_lg_u32 s38, s39
	s_waitcnt lgkmcnt(0)
	v_mad_u64_u32 v[18:19], s[8:9], s27, v17, v[5:6]
	s_cselect_b64 s[8:9], -1, 0
	s_barrier
	v_mov_b32_e32 v5, v18
	v_lshlrev_b64 v[4:5], 2, v[4:5]
	v_cndmask_b32_e64 v18, 0, 1, s[8:9]
	v_add_co_u32_e32 v4, vcc, v2, v4
	v_addc_co_u32_e32 v5, vcc, v15, v5, vcc
	v_cmp_gt_i32_e32 vcc, s33, v17
	s_and_b64 s[42:43], s[10:11], vcc
	v_cmp_ne_u32_e64 s[8:9], 1, v18
	s_and_saveexec_b64 s[34:35], s[42:43]
	s_cbranch_execz .LBB103_1039
; %bb.1036:                             ;   in Loop: Header=BB103_1028 Depth=1
	s_and_b64 vcc, exec, s[8:9]
	v_mov_b32_e32 v18, v7
	s_cbranch_vccnz .LBB103_1038
; %bb.1037:                             ;   in Loop: Header=BB103_1028 Depth=1
	flat_load_dword v18, v[4:5]
.LBB103_1038:                           ;   in Loop: Header=BB103_1028 Depth=1
	ds_read_b32 v19, v14
	s_waitcnt vmcnt(0) lgkmcnt(0)
	v_fmac_f32_e32 v12, v18, v19
.LBB103_1039:                           ;   in Loop: Header=BB103_1028 Depth=1
	s_or_b64 exec, exec, s[34:35]
	v_add_u32_e32 v18, 16, v17
	v_cmp_gt_i32_e32 vcc, s33, v18
	s_and_b64 s[42:43], s[10:11], vcc
	s_and_saveexec_b64 s[34:35], s[42:43]
	s_cbranch_execz .LBB103_1043
; %bb.1040:                             ;   in Loop: Header=BB103_1028 Depth=1
	s_and_b64 vcc, exec, s[8:9]
	v_mov_b32_e32 v18, v8
	s_cbranch_vccnz .LBB103_1042
; %bb.1041:                             ;   in Loop: Header=BB103_1028 Depth=1
	v_mov_b32_e32 v19, s21
	v_add_co_u32_e32 v18, vcc, s20, v4
	v_addc_co_u32_e32 v19, vcc, v5, v19, vcc
	flat_load_dword v18, v[18:19]
.LBB103_1042:                           ;   in Loop: Header=BB103_1028 Depth=1
	ds_read_b32 v19, v14 offset:64
	s_waitcnt vmcnt(0) lgkmcnt(0)
	v_fmac_f32_e32 v12, v18, v19
.LBB103_1043:                           ;   in Loop: Header=BB103_1028 Depth=1
	s_or_b64 exec, exec, s[34:35]
	v_add_u32_e32 v18, 32, v17
	v_cmp_gt_i32_e32 vcc, s33, v18
	s_and_b64 s[42:43], s[10:11], vcc
	s_and_saveexec_b64 s[34:35], s[42:43]
	s_cbranch_execz .LBB103_1047
; %bb.1044:                             ;   in Loop: Header=BB103_1028 Depth=1
	s_and_b64 vcc, exec, s[8:9]
	v_mov_b32_e32 v18, v10
	s_cbranch_vccnz .LBB103_1046
; %bb.1045:                             ;   in Loop: Header=BB103_1028 Depth=1
	v_mov_b32_e32 v19, s29
	v_add_co_u32_e32 v18, vcc, s28, v4
	v_addc_co_u32_e32 v19, vcc, v5, v19, vcc
	flat_load_dword v18, v[18:19]
.LBB103_1046:                           ;   in Loop: Header=BB103_1028 Depth=1
	ds_read_b32 v19, v14 offset:128
	s_waitcnt vmcnt(0) lgkmcnt(0)
	v_fmac_f32_e32 v12, v18, v19
.LBB103_1047:                           ;   in Loop: Header=BB103_1028 Depth=1
	s_or_b64 exec, exec, s[34:35]
	v_add_u32_e32 v17, 48, v17
	v_cmp_gt_i32_e32 vcc, s33, v17
	s_and_b64 s[42:43], s[10:11], vcc
	s_and_saveexec_b64 s[34:35], s[42:43]
	s_cbranch_execz .LBB103_1027
; %bb.1048:                             ;   in Loop: Header=BB103_1028 Depth=1
	s_and_b64 vcc, exec, s[8:9]
	v_mov_b32_e32 v17, v9
	s_cbranch_vccnz .LBB103_1026
; %bb.1049:                             ;   in Loop: Header=BB103_1028 Depth=1
	v_mov_b32_e32 v17, s40
	v_add_co_u32_e32 v4, vcc, s41, v4
	v_addc_co_u32_e32 v5, vcc, v5, v17, vcc
	flat_load_dword v17, v[4:5]
	s_branch .LBB103_1026
.LBB103_1050:
	v_lshl_add_u32 v2, v1, 6, v0
	s_xor_b64 s[2:3], s[18:19], -1
	s_xor_b64 s[4:5], s[30:31], -1
	v_lshlrev_b32_e32 v2, 2, v2
	ds_write_b32 v2, v12 offset:16384
	s_waitcnt lgkmcnt(0)
	s_barrier
	s_and_saveexec_b64 s[8:9], s[0:1]
	s_cbranch_execz .LBB103_1052
; %bb.1051:
	v_lshlrev_b32_e32 v5, 2, v0
	ds_read2st64_b32 v[3:4], v5 offset0:65 offset1:66
	ds_read2st64_b32 v[7:8], v5 offset0:67 offset1:68
	;; [unrolled: 1-line block ×5, first 2 shown]
	s_waitcnt lgkmcnt(4)
	v_add_f32_e32 v3, v12, v3
	v_add_f32_e32 v3, v3, v4
	s_waitcnt lgkmcnt(3)
	v_add_f32_e32 v3, v3, v7
	v_add_f32_e32 v3, v3, v8
	;; [unrolled: 3-line block ×4, first 2 shown]
	ds_read2st64_b32 v[3:4], v5 offset0:75 offset1:76
	ds_read2st64_b32 v[7:8], v5 offset0:77 offset1:78
	ds_read_b32 v5, v5 offset:20224
	s_waitcnt lgkmcnt(3)
	v_add_f32_e32 v9, v9, v15
	v_add_f32_e32 v9, v9, v16
	s_waitcnt lgkmcnt(2)
	v_add_f32_e32 v3, v9, v3
	v_add_f32_e32 v3, v3, v4
	;; [unrolled: 3-line block ×3, first 2 shown]
	s_waitcnt lgkmcnt(0)
	v_add_f32_e32 v3, v3, v5
	v_cndmask_b32_e64 v12, -v3, 0, s[14:15]
.LBB103_1052:
	s_or_b64 exec, exec, s[8:9]
	s_andn2_b64 vcc, exec, s[4:5]
	s_cbranch_vccnz .LBB103_1066
; %bb.1053:
	v_mov_b32_e32 v3, 0x5000
	v_lshl_or_b32 v4, v1, 2, v3
	s_and_saveexec_b64 s[4:5], s[0:1]
; %bb.1054:
	v_lshl_add_u32 v3, v0, 2, v4
	ds_write_b32 v3, v12
; %bb.1055:
	s_or_b64 exec, exec, s[4:5]
	v_cmp_ge_u32_e32 vcc, v0, v1
	v_mov_b32_e32 v3, 0
	s_waitcnt lgkmcnt(0)
	s_barrier
	s_and_saveexec_b64 s[4:5], vcc
	s_cbranch_execz .LBB103_1057
; %bb.1056:
	ds_read_b32 v3, v2
	ds_read_b32 v5, v4
	s_waitcnt lgkmcnt(0)
	v_fma_f32 v3, v3, v5, 0
.LBB103_1057:
	s_or_b64 exec, exec, s[4:5]
	v_add_u32_e32 v5, 16, v1
	v_cmp_ge_u32_e32 vcc, v0, v5
	s_and_saveexec_b64 s[4:5], vcc
	s_cbranch_execz .LBB103_1059
; %bb.1058:
	ds_read_b32 v5, v2 offset:4096
	ds_read_b32 v7, v4 offset:64
	s_waitcnt lgkmcnt(0)
	v_fmac_f32_e32 v3, v5, v7
.LBB103_1059:
	s_or_b64 exec, exec, s[4:5]
	v_add_u32_e32 v5, 32, v1
	v_cmp_ge_u32_e32 vcc, v0, v5
	s_and_saveexec_b64 s[4:5], vcc
	s_cbranch_execz .LBB103_1061
; %bb.1060:
	ds_read_b32 v5, v2 offset:8192
	ds_read_b32 v7, v4 offset:128
	s_waitcnt lgkmcnt(0)
	v_fmac_f32_e32 v3, v5, v7
.LBB103_1061:
	s_or_b64 exec, exec, s[4:5]
	v_add_u32_e32 v1, 48, v1
	v_add_u32_e32 v5, 0x4000, v2
	v_cmp_ge_u32_e32 vcc, v0, v1
	s_and_saveexec_b64 s[4:5], vcc
	s_cbranch_execz .LBB103_1063
; %bb.1062:
	ds_read_b32 v1, v2 offset:12288
	ds_read_b32 v2, v4 offset:192
	s_waitcnt lgkmcnt(0)
	v_fmac_f32_e32 v3, v1, v2
.LBB103_1063:
	s_or_b64 exec, exec, s[4:5]
	s_mov_b64 s[8:9], 0
	s_mov_b64 s[4:5], 0
	ds_write_b32 v5, v3
	s_waitcnt lgkmcnt(0)
	s_barrier
                                        ; implicit-def: $vgpr4
                                        ; implicit-def: $vgpr1_vgpr2
	s_and_saveexec_b64 s[10:11], s[0:1]
	s_cbranch_execz .LBB103_1099
; %bb.1064:
	v_lshlrev_b32_e32 v13, 2, v0
	ds_read2st64_b32 v[1:2], v13 offset0:65 offset1:66
	ds_read2st64_b32 v[4:5], v13 offset0:67 offset1:68
	;; [unrolled: 1-line block ×4, first 2 shown]
	s_mov_b64 s[4:5], exec
	s_waitcnt lgkmcnt(3)
	v_add_f32_e32 v1, v3, v1
	v_add_f32_e32 v1, v2, v1
	s_waitcnt lgkmcnt(2)
	v_add_f32_e32 v1, v4, v1
	v_add_f32_e32 v1, v5, v1
	ds_read2st64_b32 v[2:3], v13 offset0:73 offset1:74
	s_waitcnt lgkmcnt(2)
	v_add_f32_e32 v1, v7, v1
	v_add_f32_e32 v1, v8, v1
	s_waitcnt lgkmcnt(1)
	v_add_f32_e32 v1, v9, v1
	v_add_f32_e32 v1, v10, v1
	ds_read2st64_b32 v[4:5], v13 offset0:75 offset1:76
	ds_read2st64_b32 v[7:8], v13 offset0:77 offset1:78
	ds_read_b32 v9, v13 offset:20224
	v_lshl_add_u32 v13, s6, 6, v11
	s_waitcnt lgkmcnt(3)
	v_add_f32_e32 v10, v2, v1
	v_mad_u64_u32 v[1:2], s[14:15], s22, v13, 0
	v_add_f32_e32 v3, v3, v10
	s_waitcnt lgkmcnt(2)
	v_add_f32_e32 v3, v4, v3
	v_add_f32_e32 v4, v5, v3
	v_mad_u64_u32 v[2:3], s[14:15], s23, v13, v[2:3]
	s_waitcnt lgkmcnt(1)
	v_add_f32_e32 v3, v7, v4
	v_add_f32_e32 v3, v8, v3
	s_waitcnt lgkmcnt(0)
	v_add_f32_e32 v4, v9, v3
	s_or_b64 exec, exec, s[10:11]
	s_and_b64 vcc, exec, s[8:9]
	s_cbranch_vccnz .LBB103_1067
	s_branch .LBB103_1100
.LBB103_1065:
	v_mad_u64_u32 v[11:12], s[0:1], s26, v4, 0
	s_or_b64 s[8:9], s[8:9], exec
	v_mad_u64_u32 v[12:13], s[0:1], s27, v4, v[12:13]
	v_lshlrev_b64 v[11:12], 2, v[11:12]
	v_add_co_u32_e32 v2, vcc, v2, v11
	v_addc_co_u32_e32 v3, vcc, v3, v12, vcc
	flat_load_dword v2, v[2:3]
	s_waitcnt vmcnt(0) lgkmcnt(0)
	v_xor_b32_e32 v11, 0x80000000, v2
	s_or_b64 exec, exec, s[2:3]
	s_and_saveexec_b64 s[0:1], s[8:9]
	s_cbranch_execnz .LBB103_45
	s_branch .LBB103_46
.LBB103_1066:
	s_mov_b64 s[4:5], 0
                                        ; implicit-def: $vgpr4
                                        ; implicit-def: $vgpr1_vgpr2
	s_cbranch_execz .LBB103_1100
.LBB103_1067:
	s_mov_b32 s10, 0
	v_mov_b32_e32 v1, 0
	v_mov_b32_e32 v2, v0
	s_branch .LBB103_1069
.LBB103_1068:                           ;   in Loop: Header=BB103_1069 Depth=1
	s_or_b64 exec, exec, s[8:9]
	s_add_i32 s10, s10, 4
	v_add_u32_e32 v6, 0x400, v6
	s_cmp_lg_u32 s10, 64
	v_add_u32_e32 v2, -4, v2
	s_barrier
	s_cbranch_scc0 .LBB103_1085
.LBB103_1069:                           ; =>This Inner Loop Header: Depth=1
	v_cmp_eq_u32_e32 vcc, 0, v2
	s_and_b64 s[14:15], s[0:1], vcc
	s_and_saveexec_b64 s[8:9], s[14:15]
; %bb.1070:                             ;   in Loop: Header=BB103_1069 Depth=1
	ds_write_b32 v1, v12 offset:20736
; %bb.1071:                             ;   in Loop: Header=BB103_1069 Depth=1
	s_or_b64 exec, exec, s[8:9]
	v_cmp_lt_u32_e32 vcc, s10, v0
	s_and_b64 s[14:15], s[0:1], vcc
	s_waitcnt lgkmcnt(0)
	s_barrier
	s_and_saveexec_b64 s[8:9], s[14:15]
	s_cbranch_execz .LBB103_1073
; %bb.1072:                             ;   in Loop: Header=BB103_1069 Depth=1
	ds_read_b32 v3, v6
	ds_read_b32 v4, v1 offset:20736
	s_waitcnt lgkmcnt(0)
	v_fmac_f32_e32 v12, v3, v4
.LBB103_1073:                           ;   in Loop: Header=BB103_1069 Depth=1
	s_or_b64 exec, exec, s[8:9]
	s_or_b32 s11, s10, 1
	v_cmp_eq_u32_e32 vcc, s11, v0
	s_and_b64 s[14:15], s[0:1], vcc
	s_barrier
	s_and_saveexec_b64 s[8:9], s[14:15]
; %bb.1074:                             ;   in Loop: Header=BB103_1069 Depth=1
	ds_write_b32 v1, v12 offset:20736
; %bb.1075:                             ;   in Loop: Header=BB103_1069 Depth=1
	s_or_b64 exec, exec, s[8:9]
	v_cmp_lt_u32_e32 vcc, s11, v0
	s_and_b64 s[14:15], s[0:1], vcc
	s_waitcnt lgkmcnt(0)
	s_barrier
	s_and_saveexec_b64 s[8:9], s[14:15]
	s_cbranch_execz .LBB103_1077
; %bb.1076:                             ;   in Loop: Header=BB103_1069 Depth=1
	ds_read_b32 v3, v6 offset:256
	ds_read_b32 v4, v1 offset:20736
	s_waitcnt lgkmcnt(0)
	v_fmac_f32_e32 v12, v3, v4
.LBB103_1077:                           ;   in Loop: Header=BB103_1069 Depth=1
	s_or_b64 exec, exec, s[8:9]
	s_or_b32 s11, s10, 2
	v_cmp_eq_u32_e32 vcc, s11, v0
	s_and_b64 s[14:15], s[0:1], vcc
	s_barrier
	s_and_saveexec_b64 s[8:9], s[14:15]
; %bb.1078:                             ;   in Loop: Header=BB103_1069 Depth=1
	ds_write_b32 v1, v12 offset:20736
; %bb.1079:                             ;   in Loop: Header=BB103_1069 Depth=1
	s_or_b64 exec, exec, s[8:9]
	v_cmp_lt_u32_e32 vcc, s11, v0
	s_and_b64 s[14:15], s[0:1], vcc
	s_waitcnt lgkmcnt(0)
	s_barrier
	s_and_saveexec_b64 s[8:9], s[14:15]
	s_cbranch_execz .LBB103_1081
; %bb.1080:                             ;   in Loop: Header=BB103_1069 Depth=1
	ds_read_b32 v3, v6 offset:512
	ds_read_b32 v4, v1 offset:20736
	s_waitcnt lgkmcnt(0)
	v_fmac_f32_e32 v12, v3, v4
.LBB103_1081:                           ;   in Loop: Header=BB103_1069 Depth=1
	s_or_b64 exec, exec, s[8:9]
	s_or_b32 s11, s10, 3
	v_cmp_eq_u32_e32 vcc, s11, v0
	s_and_b64 s[14:15], s[0:1], vcc
	s_barrier
	s_and_saveexec_b64 s[8:9], s[14:15]
; %bb.1082:                             ;   in Loop: Header=BB103_1069 Depth=1
	ds_write_b32 v1, v12 offset:20736
; %bb.1083:                             ;   in Loop: Header=BB103_1069 Depth=1
	s_or_b64 exec, exec, s[8:9]
	v_cmp_lt_u32_e32 vcc, s11, v0
	s_and_b64 s[14:15], s[0:1], vcc
	s_waitcnt lgkmcnt(0)
	s_barrier
	s_and_saveexec_b64 s[8:9], s[14:15]
	s_cbranch_execz .LBB103_1068
; %bb.1084:                             ;   in Loop: Header=BB103_1069 Depth=1
	ds_read_b32 v3, v6 offset:768
	ds_read_b32 v4, v1 offset:20736
	s_waitcnt lgkmcnt(0)
	v_fmac_f32_e32 v12, v3, v4
	s_branch .LBB103_1068
.LBB103_1085:
	s_and_b64 vcc, exec, s[2:3]
	s_cbranch_vccz .LBB103_1101
; %bb.1086:
	s_and_b64 s[2:3], s[0:1], exec
	s_cbranch_execz .LBB103_1102
	s_branch .LBB103_1103
.LBB103_1087:
	v_or_b32_e32 v11, v1, v0
	v_cmp_gt_u32_e32 vcc, 64, v11
	s_and_b64 s[2:3], vcc, exec
	s_andn2_saveexec_b64 s[0:1], s[0:1]
	s_cbranch_execz .LBB103_14
.LBB103_1088:
	v_mad_u64_u32 v[11:12], s[8:9], s26, v1, 0
	s_or_b64 s[2:3], s[2:3], exec
	v_mov_b32_e32 v5, v12
	v_mad_u64_u32 v[12:13], s[8:9], s27, v1, v[5:6]
	v_lshlrev_b64 v[11:12], 2, v[11:12]
	v_add_co_u32_e32 v11, vcc, v2, v11
	v_addc_co_u32_e32 v12, vcc, v3, v12, vcc
	flat_load_dword v5, v[11:12]
	s_waitcnt vmcnt(0) lgkmcnt(0)
	v_xor_b32_e32 v5, 0x80000000, v5
	s_or_b64 exec, exec, s[0:1]
	s_and_saveexec_b64 s[0:1], s[2:3]
	s_cbranch_execnz .LBB103_15
	s_branch .LBB103_16
.LBB103_1089:
	v_or_b32_e32 v11, v5, v0
	v_cmp_gt_u32_e32 vcc, 64, v11
	s_and_b64 s[0:1], vcc, exec
	s_or_saveexec_b64 s[2:3], s[2:3]
	v_mov_b32_e32 v11, 0
	s_xor_b64 exec, exec, s[2:3]
	s_cbranch_execz .LBB103_18
.LBB103_1090:
	v_mad_u64_u32 v[11:12], s[8:9], s26, v5, 0
	s_or_b64 s[0:1], s[0:1], exec
	v_mad_u64_u32 v[12:13], s[8:9], s27, v5, v[12:13]
	v_lshlrev_b64 v[11:12], 2, v[11:12]
	v_add_co_u32_e32 v11, vcc, v2, v11
	v_addc_co_u32_e32 v12, vcc, v3, v12, vcc
	flat_load_dword v11, v[11:12]
	s_waitcnt vmcnt(0) lgkmcnt(0)
	v_xor_b32_e32 v11, 0x80000000, v11
	s_or_b64 exec, exec, s[2:3]
	s_and_saveexec_b64 s[2:3], s[0:1]
	s_cbranch_execnz .LBB103_19
	s_branch .LBB103_20
.LBB103_1091:
	v_or_b32_e32 v11, v5, v0
	v_cmp_gt_u32_e32 vcc, 64, v11
	s_and_b64 s[0:1], vcc, exec
	s_or_saveexec_b64 s[2:3], s[2:3]
	v_mov_b32_e32 v11, 0
	s_xor_b64 exec, exec, s[2:3]
	s_cbranch_execz .LBB103_22
.LBB103_1092:
	v_mad_u64_u32 v[11:12], s[8:9], s26, v5, 0
	s_or_b64 s[0:1], s[0:1], exec
	v_mad_u64_u32 v[12:13], s[8:9], s27, v5, v[12:13]
	v_lshlrev_b64 v[11:12], 2, v[11:12]
	v_add_co_u32_e32 v11, vcc, v2, v11
	v_addc_co_u32_e32 v12, vcc, v3, v12, vcc
	flat_load_dword v11, v[11:12]
	s_waitcnt vmcnt(0) lgkmcnt(0)
	v_xor_b32_e32 v11, 0x80000000, v11
	s_or_b64 exec, exec, s[2:3]
	s_and_saveexec_b64 s[2:3], s[0:1]
	s_cbranch_execnz .LBB103_23
	s_branch .LBB103_24
.LBB103_1093:
	v_or_b32_e32 v11, v1, v0
	v_cmp_gt_u32_e64 s[0:1], 64, v11
	s_and_b64 s[2:3], s[0:1], exec
	s_andn2_saveexec_b64 s[10:11], s[10:11]
	s_cbranch_execz .LBB103_30
.LBB103_1094:
	v_mad_u64_u32 v[11:12], s[0:1], s26, v1, 0
	s_or_b64 s[2:3], s[2:3], exec
	v_mov_b32_e32 v5, v12
	v_mad_u64_u32 v[12:13], s[0:1], s27, v1, v[5:6]
	v_lshlrev_b64 v[11:12], 2, v[11:12]
	v_add_co_u32_e64 v11, s[0:1], v2, v11
	v_addc_co_u32_e64 v12, s[0:1], v3, v12, s[0:1]
	flat_load_dword v5, v[11:12]
	s_waitcnt vmcnt(0) lgkmcnt(0)
	v_xor_b32_e32 v5, 0x80000000, v5
	s_or_b64 exec, exec, s[10:11]
	s_and_saveexec_b64 s[0:1], s[2:3]
	s_cbranch_execnz .LBB103_31
	s_branch .LBB103_32
.LBB103_1095:
	v_or_b32_e32 v11, v5, v0
	v_cmp_gt_u32_e64 s[0:1], 64, v11
	s_and_b64 s[2:3], s[0:1], exec
	s_or_saveexec_b64 s[10:11], s[10:11]
	v_mov_b32_e32 v11, 0
	s_xor_b64 exec, exec, s[10:11]
	s_cbranch_execz .LBB103_34
.LBB103_1096:
	v_mad_u64_u32 v[11:12], s[0:1], s26, v5, 0
	s_or_b64 s[2:3], s[2:3], exec
	v_mad_u64_u32 v[12:13], s[0:1], s27, v5, v[12:13]
	v_lshlrev_b64 v[11:12], 2, v[11:12]
	v_add_co_u32_e64 v11, s[0:1], v2, v11
	v_addc_co_u32_e64 v12, s[0:1], v3, v12, s[0:1]
	flat_load_dword v11, v[11:12]
	s_waitcnt vmcnt(0) lgkmcnt(0)
	v_xor_b32_e32 v11, 0x80000000, v11
	s_or_b64 exec, exec, s[10:11]
	s_and_saveexec_b64 s[0:1], s[2:3]
	s_cbranch_execnz .LBB103_35
	s_branch .LBB103_36
.LBB103_1097:
	v_or_b32_e32 v11, v5, v0
	v_cmp_gt_u32_e64 s[0:1], 64, v11
	s_and_b64 s[2:3], s[0:1], exec
	s_or_saveexec_b64 s[10:11], s[10:11]
	v_mov_b32_e32 v11, 0
	s_xor_b64 exec, exec, s[10:11]
	s_cbranch_execz .LBB103_38
.LBB103_1098:
	v_mad_u64_u32 v[11:12], s[0:1], s26, v5, 0
	s_or_b64 s[2:3], s[2:3], exec
	v_mad_u64_u32 v[12:13], s[0:1], s27, v5, v[12:13]
	v_lshlrev_b64 v[11:12], 2, v[11:12]
	v_add_co_u32_e64 v11, s[0:1], v2, v11
	v_addc_co_u32_e64 v12, s[0:1], v3, v12, s[0:1]
	flat_load_dword v11, v[11:12]
	s_waitcnt vmcnt(0) lgkmcnt(0)
	v_xor_b32_e32 v11, 0x80000000, v11
	s_or_b64 exec, exec, s[10:11]
	s_and_saveexec_b64 s[0:1], s[2:3]
	s_cbranch_execnz .LBB103_39
	s_branch .LBB103_40
.LBB103_1099:
	s_or_b64 exec, exec, s[10:11]
	s_and_b64 vcc, exec, s[8:9]
	s_cbranch_vccnz .LBB103_1067
.LBB103_1100:
	v_mov_b32_e32 v12, v4
	s_and_saveexec_b64 s[0:1], s[4:5]
	s_cbranch_execnz .LBB103_1106
	s_branch .LBB103_1107
.LBB103_1101:
	s_mov_b64 s[2:3], 0
.LBB103_1102:
	v_cmp_gt_i32_e32 vcc, s7, v0
	s_and_b64 s[0:1], s[0:1], vcc
	s_andn2_b64 s[2:3], s[2:3], exec
	s_and_b64 s[0:1], s[0:1], exec
	s_or_b64 s[2:3], s[2:3], s[0:1]
.LBB103_1103:
                                        ; implicit-def: $vgpr1_vgpr2
	s_and_saveexec_b64 s[0:1], s[2:3]
	s_cbranch_execz .LBB103_1105
; %bb.1104:
	s_lshl_b32 s2, s6, 6
	s_ashr_i32 s3, s2, 31
	v_mov_b32_e32 v0, s3
	v_add_co_u32_e32 v1, vcc, s2, v11
	v_addc_co_u32_e32 v0, vcc, 0, v0, vcc
	v_mul_lo_u32 v0, v0, s22
	v_mul_lo_u32 v3, v1, s23
	v_mad_u64_u32 v[1:2], s[2:3], v1, s22, 0
	s_or_b64 s[4:5], s[4:5], exec
	v_add3_u32 v2, v2, v3, v0
.LBB103_1105:
	s_or_b64 exec, exec, s[0:1]
	s_and_saveexec_b64 s[0:1], s[4:5]
	s_cbranch_execz .LBB103_1107
.LBB103_1106:
	v_lshlrev_b64 v[0:1], 2, v[1:2]
	v_mov_b32_e32 v2, s37
	v_add_co_u32_e32 v0, vcc, s36, v0
	v_addc_co_u32_e32 v1, vcc, v2, v1, vcc
	flat_store_dword v[0:1], v12
.LBB103_1107:
	s_or_b64 exec, exec, s[0:1]
	v_cmp_eq_u32_e32 vcc, 0, v11
	s_waitcnt vmcnt(0) lgkmcnt(0)
	buffer_wbinvl1_vol
	s_barrier
	s_and_saveexec_b64 s[0:1], vcc
	s_cbranch_execz .LBB103_1109
; %bb.1108:
	s_lshl_b64 s[2:3], s[24:25], 2
	s_add_u32 s2, s12, s2
	s_addc_u32 s3, s13, s3
	v_mov_b32_e32 v0, 0
	global_load_dword v1, v0, s[2:3]
	s_waitcnt vmcnt(0)
	v_add_u32_e32 v1, 1, v1
	global_store_dword v0, v1, s[2:3]
.LBB103_1109:
	s_or_b64 exec, exec, s[0:1]
	s_waitcnt vmcnt(0)
	buffer_wbinvl1_vol
	s_endpgm
.LBB103_1110:
	v_lshlrev_b32_e32 v17, 2, v15
	v_sub_u32_e32 v17, v16, v17
	v_lshl_add_u32 v17, v14, 2, v17
	ds_read_b32 v17, v17 offset:272
	ds_read_b32 v18, v16 offset:4
	s_waitcnt lgkmcnt(0)
	v_fmac_f32_e32 v13, v17, v18
	s_or_b64 exec, exec, s[14:15]
	v_cmp_gt_u32_e64 s[10:11], 8, v4
	s_and_saveexec_b64 s[14:15], s[10:11]
	s_cbranch_execz .LBB103_66
.LBB103_1111:
	ds_read_b32 v17, v11 offset:528
	ds_read_b32 v16, v16 offset:8
	s_waitcnt lgkmcnt(0)
	v_fmac_f32_e32 v13, v17, v16
	s_or_b64 exec, exec, s[14:15]
	v_cmp_gt_u32_e64 s[10:11], 4, v4
	s_and_saveexec_b64 s[14:15], s[10:11]
	s_cbranch_execnz .LBB103_67
	s_branch .LBB103_68
.LBB103_1112:
	v_lshlrev_b32_e32 v22, 2, v20
	v_sub_u32_e32 v22, v21, v22
	v_lshl_add_u32 v22, v19, 2, v22
	ds_read_b32 v22, v22 offset:288
	ds_read_b32 v23, v21 offset:4
	s_waitcnt lgkmcnt(0)
	v_fmac_f32_e32 v18, v22, v23
	s_or_b64 exec, exec, s[16:17]
	v_cmp_gt_u32_e64 s[10:11], 48, v4
	s_and_saveexec_b64 s[16:17], s[10:11]
	s_cbranch_execz .LBB103_104
.LBB103_1113:
	v_lshlrev_b32_e32 v22, 2, v20
	v_sub_u32_e32 v22, v21, v22
	v_lshl_add_u32 v22, v19, 2, v22
	ds_read_b32 v22, v22 offset:544
	ds_read_b32 v23, v21 offset:8
	s_waitcnt lgkmcnt(0)
	v_fmac_f32_e32 v18, v22, v23
	s_or_b64 exec, exec, s[16:17]
	v_cmp_gt_u32_e64 s[10:11], 40, v4
	s_and_saveexec_b64 s[16:17], s[10:11]
	s_cbranch_execz .LBB103_105
.LBB103_1114:
	v_lshlrev_b32_e32 v22, 2, v20
	v_sub_u32_e32 v22, v21, v22
	v_lshl_add_u32 v22, v19, 2, v22
	ds_read_b32 v22, v22 offset:800
	ds_read_b32 v23, v21 offset:12
	s_waitcnt lgkmcnt(0)
	v_fmac_f32_e32 v18, v22, v23
	s_or_b64 exec, exec, s[16:17]
	v_cmp_gt_u32_e64 s[10:11], 32, v4
	s_and_saveexec_b64 s[16:17], s[10:11]
	s_cbranch_execz .LBB103_106
.LBB103_1115:
	ds_read_b32 v22, v16 offset:1056
	ds_read_b32 v23, v21 offset:16
	s_waitcnt lgkmcnt(0)
	v_fmac_f32_e32 v18, v22, v23
	s_or_b64 exec, exec, s[16:17]
	v_cmp_gt_u32_e64 s[10:11], 24, v4
	s_and_saveexec_b64 s[16:17], s[10:11]
	s_cbranch_execz .LBB103_107
.LBB103_1116:
	v_lshlrev_b32_e32 v22, 2, v20
	v_sub_u32_e32 v22, v21, v22
	v_lshl_add_u32 v22, v19, 2, v22
	ds_read_b32 v22, v22 offset:1312
	ds_read_b32 v23, v21 offset:20
	s_waitcnt lgkmcnt(0)
	v_fmac_f32_e32 v18, v22, v23
	s_or_b64 exec, exec, s[16:17]
	v_cmp_gt_u32_e64 s[10:11], 16, v4
	s_and_saveexec_b64 s[16:17], s[10:11]
	s_cbranch_execz .LBB103_108
.LBB103_1117:
	ds_read_b32 v22, v16 offset:1568
	ds_read_b32 v21, v21 offset:24
	s_waitcnt lgkmcnt(0)
	v_fmac_f32_e32 v18, v22, v21
	s_or_b64 exec, exec, s[16:17]
	v_cmp_gt_u32_e64 s[10:11], 8, v4
	s_and_saveexec_b64 s[16:17], s[10:11]
	s_cbranch_execnz .LBB103_109
	s_branch .LBB103_110
.LBB103_1118:
	v_lshlrev_b32_e32 v23, 2, v15
	v_sub_u32_e32 v23, v22, v23
	v_lshl_add_u32 v23, v14, 2, v23
	ds_read_b32 v23, v23 offset:2352
	ds_read_b32 v24, v22 offset:2084
	s_waitcnt lgkmcnt(0)
	v_fmac_f32_e32 v21, v23, v24
	s_or_b64 exec, exec, s[12:13]
	v_cmp_gt_u32_e64 s[8:9], 8, v4
	s_and_saveexec_b64 s[12:13], s[8:9]
	s_cbranch_execz .LBB103_162
.LBB103_1119:
	ds_read_b32 v23, v11 offset:2608
	ds_read_b32 v22, v22 offset:2088
	s_waitcnt lgkmcnt(0)
	v_fmac_f32_e32 v21, v23, v22
	s_or_b64 exec, exec, s[12:13]
	v_cmp_gt_u32_e64 s[8:9], 4, v4
	s_and_saveexec_b64 s[12:13], s[8:9]
	s_cbranch_execnz .LBB103_163
	s_branch .LBB103_164
.LBB103_1120:
	v_lshlrev_b32_e32 v27, 2, v22
	v_lshl_add_u32 v27, v24, 2, v27
	ds_read_b32 v27, v27 offset:2880
	ds_read_b32 v28, v26 offset:44
	s_waitcnt lgkmcnt(0)
	v_fmac_f32_e32 v23, v27, v28
	s_or_b64 exec, exec, s[78:79]
	v_cmp_gt_u32_e64 s[12:13], 64, v4
	s_and_saveexec_b64 s[78:79], s[12:13]
	s_cbranch_execz .LBB103_220
.LBB103_1121:
	ds_read_b32 v27, v21 offset:3136
	ds_read_b32 v28, v26 offset:48
	s_waitcnt lgkmcnt(0)
	v_fmac_f32_e32 v23, v27, v28
	s_or_b64 exec, exec, s[78:79]
	v_cmp_gt_u32_e64 s[12:13], 48, v4
	s_and_saveexec_b64 s[78:79], s[12:13]
	s_cbranch_execz .LBB103_221
.LBB103_1122:
	v_lshlrev_b32_e32 v27, 2, v22
	v_lshl_add_u32 v27, v24, 2, v27
	ds_read_b32 v27, v27 offset:3392
	ds_read_b32 v28, v26 offset:52
	s_waitcnt lgkmcnt(0)
	v_fmac_f32_e32 v23, v27, v28
	s_or_b64 exec, exec, s[78:79]
	v_cmp_gt_u32_e64 s[12:13], 32, v4
	s_and_saveexec_b64 s[78:79], s[12:13]
	s_cbranch_execz .LBB103_222
.LBB103_1123:
	ds_read_b32 v27, v21 offset:3648
	ds_read_b32 v26, v26 offset:56
	s_waitcnt lgkmcnt(0)
	v_fmac_f32_e32 v23, v27, v26
	s_or_b64 exec, exec, s[78:79]
	v_cmp_gt_u32_e64 s[12:13], 16, v4
	s_and_saveexec_b64 s[78:79], s[12:13]
	s_cbranch_execnz .LBB103_223
	s_branch .LBB103_224
.LBB103_1124:
	v_lshlrev_b32_e32 v28, 2, v15
	v_sub_u32_e32 v28, v27, v28
	v_lshl_add_u32 v28, v14, 2, v28
	ds_read_b32 v28, v28 offset:4432
	ds_read_b32 v29, v27 offset:4164
	s_waitcnt lgkmcnt(0)
	v_fmac_f32_e32 v26, v28, v29
	s_or_b64 exec, exec, s[16:17]
	v_cmp_gt_u32_e64 s[10:11], 8, v4
	s_and_saveexec_b64 s[16:17], s[10:11]
	s_cbranch_execz .LBB103_308
.LBB103_1125:
	ds_read_b32 v28, v11 offset:4688
	ds_read_b32 v27, v27 offset:4168
	s_waitcnt lgkmcnt(0)
	v_fmac_f32_e32 v26, v28, v27
	s_or_b64 exec, exec, s[16:17]
	v_cmp_gt_u32_e64 s[10:11], 4, v4
	s_and_saveexec_b64 s[16:17], s[10:11]
	s_cbranch_execnz .LBB103_309
	s_branch .LBB103_310
.LBB103_1126:
	v_lshlrev_b32_e32 v28, 2, v20
	v_sub_u32_e32 v28, v27, v28
	v_lshl_add_u32 v28, v19, 2, v28
	ds_read_b32 v28, v28 offset:4448
	ds_read_b32 v29, v27 offset:4164
	s_waitcnt lgkmcnt(0)
	v_fmac_f32_e32 v26, v28, v29
	s_or_b64 exec, exec, s[16:17]
	v_cmp_gt_u32_e64 s[10:11], 48, v4
	s_and_saveexec_b64 s[16:17], s[10:11]
	s_cbranch_execz .LBB103_346
.LBB103_1127:
	v_lshlrev_b32_e32 v28, 2, v20
	v_sub_u32_e32 v28, v27, v28
	v_lshl_add_u32 v28, v19, 2, v28
	ds_read_b32 v28, v28 offset:4704
	ds_read_b32 v29, v27 offset:4168
	s_waitcnt lgkmcnt(0)
	v_fmac_f32_e32 v26, v28, v29
	s_or_b64 exec, exec, s[16:17]
	v_cmp_gt_u32_e64 s[10:11], 40, v4
	s_and_saveexec_b64 s[16:17], s[10:11]
	s_cbranch_execz .LBB103_347
.LBB103_1128:
	v_lshlrev_b32_e32 v28, 2, v20
	v_sub_u32_e32 v28, v27, v28
	v_lshl_add_u32 v28, v19, 2, v28
	ds_read_b32 v28, v28 offset:4960
	ds_read_b32 v29, v27 offset:4172
	s_waitcnt lgkmcnt(0)
	v_fmac_f32_e32 v26, v28, v29
	s_or_b64 exec, exec, s[16:17]
	v_cmp_gt_u32_e64 s[10:11], 32, v4
	s_and_saveexec_b64 s[16:17], s[10:11]
	s_cbranch_execz .LBB103_348
.LBB103_1129:
	ds_read_b32 v28, v16 offset:5216
	ds_read_b32 v29, v27 offset:4176
	s_waitcnt lgkmcnt(0)
	v_fmac_f32_e32 v26, v28, v29
	s_or_b64 exec, exec, s[16:17]
	v_cmp_gt_u32_e64 s[10:11], 24, v4
	s_and_saveexec_b64 s[16:17], s[10:11]
	s_cbranch_execz .LBB103_349
.LBB103_1130:
	v_lshlrev_b32_e32 v28, 2, v20
	v_sub_u32_e32 v28, v27, v28
	v_lshl_add_u32 v28, v19, 2, v28
	ds_read_b32 v28, v28 offset:5472
	ds_read_b32 v29, v27 offset:4180
	s_waitcnt lgkmcnt(0)
	v_fmac_f32_e32 v26, v28, v29
	s_or_b64 exec, exec, s[16:17]
	v_cmp_gt_u32_e64 s[10:11], 16, v4
	s_and_saveexec_b64 s[16:17], s[10:11]
	s_cbranch_execz .LBB103_350
.LBB103_1131:
	ds_read_b32 v28, v16 offset:5728
	ds_read_b32 v27, v27 offset:4184
	s_waitcnt lgkmcnt(0)
	v_fmac_f32_e32 v26, v28, v27
	s_or_b64 exec, exec, s[16:17]
	v_cmp_gt_u32_e64 s[10:11], 8, v4
	s_and_saveexec_b64 s[16:17], s[10:11]
	s_cbranch_execnz .LBB103_351
	s_branch .LBB103_352
.LBB103_1132:
	v_lshlrev_b32_e32 v28, 2, v15
	v_sub_u32_e32 v28, v27, v28
	v_lshl_add_u32 v28, v14, 2, v28
	ds_read_b32 v28, v28 offset:6512
	ds_read_b32 v29, v27 offset:6244
	s_waitcnt lgkmcnt(0)
	v_fmac_f32_e32 v26, v28, v29
	s_or_b64 exec, exec, s[16:17]
	v_cmp_gt_u32_e64 s[10:11], 8, v4
	s_and_saveexec_b64 s[16:17], s[10:11]
	s_cbranch_execz .LBB103_404
.LBB103_1133:
	ds_read_b32 v28, v11 offset:6768
	ds_read_b32 v27, v27 offset:6248
	s_waitcnt lgkmcnt(0)
	v_fmac_f32_e32 v26, v28, v27
	s_or_b64 exec, exec, s[16:17]
	v_cmp_gt_u32_e64 s[10:11], 4, v4
	s_and_saveexec_b64 s[16:17], s[10:11]
	s_cbranch_execnz .LBB103_405
	s_branch .LBB103_406
.LBB103_1134:
	ds_read_b32 v32, v26 offset:7552
	ds_read_b32 v33, v31 offset:116
	s_waitcnt lgkmcnt(0)
	v_fmac_f32_e32 v29, v32, v33
	s_or_b64 exec, exec, s[88:89]
	v_cmp_gt_u32_e64 s[16:17], 64, v4
	s_and_saveexec_b64 s[88:89], s[16:17]
	s_cbranch_execz .LBB103_498
.LBB103_1135:
	ds_read_b32 v32, v26 offset:7808
	ds_read_b32 v31, v31 offset:120
	s_waitcnt lgkmcnt(0)
	v_fmac_f32_e32 v29, v32, v31
	s_or_b64 exec, exec, s[88:89]
	v_cmp_gt_u32_e64 s[16:17], 32, v4
	s_and_saveexec_b64 s[88:89], s[16:17]
	s_cbranch_execnz .LBB103_499
	s_branch .LBB103_500
.LBB103_1136:
	v_lshlrev_b32_e32 v28, 2, v15
	v_sub_u32_e32 v28, v27, v28
	v_lshl_add_u32 v28, v14, 2, v28
	ds_read_b32 v28, v28 offset:8592
	ds_read_b32 v29, v27 offset:8324
	s_waitcnt lgkmcnt(0)
	v_fmac_f32_e32 v26, v28, v29
	s_or_b64 exec, exec, s[16:17]
	v_cmp_gt_u32_e64 s[10:11], 8, v4
	s_and_saveexec_b64 s[16:17], s[10:11]
	s_cbranch_execz .LBB103_648
.LBB103_1137:
	ds_read_b32 v28, v11 offset:8848
	ds_read_b32 v27, v27 offset:8328
	s_waitcnt lgkmcnt(0)
	v_fmac_f32_e32 v26, v28, v27
	s_or_b64 exec, exec, s[16:17]
	v_cmp_gt_u32_e64 s[10:11], 4, v4
	s_and_saveexec_b64 s[16:17], s[10:11]
	s_cbranch_execnz .LBB103_649
	s_branch .LBB103_650
.LBB103_1138:
	v_lshlrev_b32_e32 v28, 2, v20
	v_sub_u32_e32 v28, v27, v28
	v_lshl_add_u32 v28, v19, 2, v28
	ds_read_b32 v28, v28 offset:8608
	ds_read_b32 v29, v27 offset:8324
	s_waitcnt lgkmcnt(0)
	v_fmac_f32_e32 v26, v28, v29
	s_or_b64 exec, exec, s[16:17]
	v_cmp_gt_u32_e64 s[10:11], 48, v4
	s_and_saveexec_b64 s[16:17], s[10:11]
	s_cbranch_execz .LBB103_686
.LBB103_1139:
	v_lshlrev_b32_e32 v28, 2, v20
	v_sub_u32_e32 v28, v27, v28
	v_lshl_add_u32 v28, v19, 2, v28
	ds_read_b32 v28, v28 offset:8864
	ds_read_b32 v29, v27 offset:8328
	s_waitcnt lgkmcnt(0)
	v_fmac_f32_e32 v26, v28, v29
	s_or_b64 exec, exec, s[16:17]
	v_cmp_gt_u32_e64 s[10:11], 40, v4
	s_and_saveexec_b64 s[16:17], s[10:11]
	s_cbranch_execz .LBB103_687
.LBB103_1140:
	v_lshlrev_b32_e32 v28, 2, v20
	v_sub_u32_e32 v28, v27, v28
	v_lshl_add_u32 v28, v19, 2, v28
	ds_read_b32 v28, v28 offset:9120
	ds_read_b32 v29, v27 offset:8332
	s_waitcnt lgkmcnt(0)
	v_fmac_f32_e32 v26, v28, v29
	s_or_b64 exec, exec, s[16:17]
	v_cmp_gt_u32_e64 s[10:11], 32, v4
	s_and_saveexec_b64 s[16:17], s[10:11]
	s_cbranch_execz .LBB103_688
.LBB103_1141:
	ds_read_b32 v28, v16 offset:9376
	ds_read_b32 v29, v27 offset:8336
	s_waitcnt lgkmcnt(0)
	v_fmac_f32_e32 v26, v28, v29
	s_or_b64 exec, exec, s[16:17]
	v_cmp_gt_u32_e64 s[10:11], 24, v4
	s_and_saveexec_b64 s[16:17], s[10:11]
	s_cbranch_execz .LBB103_689
.LBB103_1142:
	v_lshlrev_b32_e32 v28, 2, v20
	v_sub_u32_e32 v28, v27, v28
	v_lshl_add_u32 v28, v19, 2, v28
	ds_read_b32 v28, v28 offset:9632
	ds_read_b32 v29, v27 offset:8340
	s_waitcnt lgkmcnt(0)
	v_fmac_f32_e32 v26, v28, v29
	s_or_b64 exec, exec, s[16:17]
	v_cmp_gt_u32_e64 s[10:11], 16, v4
	s_and_saveexec_b64 s[16:17], s[10:11]
	s_cbranch_execz .LBB103_690
.LBB103_1143:
	ds_read_b32 v28, v16 offset:9888
	ds_read_b32 v27, v27 offset:8344
	s_waitcnt lgkmcnt(0)
	v_fmac_f32_e32 v26, v28, v27
	s_or_b64 exec, exec, s[16:17]
	v_cmp_gt_u32_e64 s[10:11], 8, v4
	s_and_saveexec_b64 s[16:17], s[10:11]
	s_cbranch_execnz .LBB103_691
	s_branch .LBB103_692
.LBB103_1144:
	v_lshlrev_b32_e32 v28, 2, v15
	v_sub_u32_e32 v28, v27, v28
	v_lshl_add_u32 v28, v14, 2, v28
	ds_read_b32 v28, v28 offset:10672
	ds_read_b32 v29, v27 offset:10404
	s_waitcnt lgkmcnt(0)
	v_fmac_f32_e32 v26, v28, v29
	s_or_b64 exec, exec, s[16:17]
	v_cmp_gt_u32_e64 s[10:11], 8, v4
	s_and_saveexec_b64 s[16:17], s[10:11]
	s_cbranch_execz .LBB103_744
.LBB103_1145:
	ds_read_b32 v28, v11 offset:10928
	ds_read_b32 v27, v27 offset:10408
	s_waitcnt lgkmcnt(0)
	v_fmac_f32_e32 v26, v28, v27
	s_or_b64 exec, exec, s[16:17]
	v_cmp_gt_u32_e64 s[10:11], 4, v4
	s_and_saveexec_b64 s[16:17], s[10:11]
	s_cbranch_execnz .LBB103_745
	s_branch .LBB103_746
.LBB103_1146:
	v_lshlrev_b32_e32 v25, 2, v22
	v_lshl_add_u32 v25, v24, 2, v25
	ds_read_b32 v25, v25 offset:11200
	ds_read_b32 v28, v27 offset:8364
	s_waitcnt lgkmcnt(0)
	v_fmac_f32_e32 v26, v25, v28
	s_or_b64 exec, exec, s[16:17]
	v_cmp_gt_u32_e64 s[10:11], 64, v4
	s_and_saveexec_b64 s[16:17], s[10:11]
	s_cbranch_execz .LBB103_802
.LBB103_1147:
	ds_read_b32 v25, v21 offset:11456
	ds_read_b32 v28, v27 offset:8368
	s_waitcnt lgkmcnt(0)
	v_fmac_f32_e32 v26, v25, v28
	s_or_b64 exec, exec, s[16:17]
	v_cmp_gt_u32_e64 s[10:11], 48, v4
	s_and_saveexec_b64 s[16:17], s[10:11]
	s_cbranch_execz .LBB103_803
.LBB103_1148:
	v_lshlrev_b32_e32 v25, 2, v22
	v_lshl_add_u32 v24, v24, 2, v25
	ds_read_b32 v24, v24 offset:11712
	ds_read_b32 v25, v27 offset:8372
	s_waitcnt lgkmcnt(0)
	v_fmac_f32_e32 v26, v24, v25
	s_or_b64 exec, exec, s[16:17]
	v_cmp_gt_u32_e64 s[10:11], 32, v4
	s_and_saveexec_b64 s[16:17], s[10:11]
	s_cbranch_execz .LBB103_804
.LBB103_1149:
	ds_read_b32 v24, v21 offset:11968
	ds_read_b32 v25, v27 offset:8376
	s_waitcnt lgkmcnt(0)
	v_fmac_f32_e32 v26, v24, v25
	s_or_b64 exec, exec, s[16:17]
	v_cmp_gt_u32_e64 s[10:11], 16, v4
	s_and_saveexec_b64 s[16:17], s[10:11]
	s_cbranch_execnz .LBB103_805
	s_branch .LBB103_806
.LBB103_1150:
	v_lshlrev_b32_e32 v23, 2, v15
	v_sub_u32_e32 v23, v22, v23
	v_lshl_add_u32 v23, v14, 2, v23
	ds_read_b32 v23, v23 offset:12752
	ds_read_b32 v24, v22 offset:12484
	s_waitcnt lgkmcnt(0)
	v_fmac_f32_e32 v21, v23, v24
	s_or_b64 exec, exec, s[12:13]
	v_cmp_gt_u32_e64 s[8:9], 8, v4
	s_and_saveexec_b64 s[12:13], s[8:9]
	s_cbranch_execz .LBB103_890
.LBB103_1151:
	ds_read_b32 v23, v11 offset:13008
	ds_read_b32 v22, v22 offset:12488
	s_waitcnt lgkmcnt(0)
	v_fmac_f32_e32 v21, v23, v22
	s_or_b64 exec, exec, s[12:13]
	v_cmp_gt_u32_e64 s[8:9], 4, v4
	s_and_saveexec_b64 s[12:13], s[8:9]
	s_cbranch_execnz .LBB103_891
	s_branch .LBB103_892
.LBB103_1152:
	v_lshlrev_b32_e32 v23, 2, v20
	v_sub_u32_e32 v23, v22, v23
	v_lshl_add_u32 v23, v19, 2, v23
	ds_read_b32 v23, v23 offset:12768
	ds_read_b32 v24, v22 offset:12484
	s_waitcnt lgkmcnt(0)
	v_fmac_f32_e32 v21, v23, v24
	s_or_b64 exec, exec, s[12:13]
	v_cmp_gt_u32_e64 s[8:9], 48, v4
	s_and_saveexec_b64 s[12:13], s[8:9]
	s_cbranch_execz .LBB103_928
.LBB103_1153:
	v_lshlrev_b32_e32 v23, 2, v20
	v_sub_u32_e32 v23, v22, v23
	v_lshl_add_u32 v23, v19, 2, v23
	ds_read_b32 v23, v23 offset:13024
	ds_read_b32 v24, v22 offset:12488
	s_waitcnt lgkmcnt(0)
	v_fmac_f32_e32 v21, v23, v24
	s_or_b64 exec, exec, s[12:13]
	v_cmp_gt_u32_e64 s[8:9], 40, v4
	s_and_saveexec_b64 s[12:13], s[8:9]
	s_cbranch_execz .LBB103_929
.LBB103_1154:
	v_lshlrev_b32_e32 v23, 2, v20
	v_sub_u32_e32 v23, v22, v23
	v_lshl_add_u32 v23, v19, 2, v23
	ds_read_b32 v23, v23 offset:13280
	ds_read_b32 v24, v22 offset:12492
	s_waitcnt lgkmcnt(0)
	v_fmac_f32_e32 v21, v23, v24
	s_or_b64 exec, exec, s[12:13]
	v_cmp_gt_u32_e64 s[8:9], 32, v4
	s_and_saveexec_b64 s[12:13], s[8:9]
	s_cbranch_execz .LBB103_930
.LBB103_1155:
	ds_read_b32 v23, v16 offset:13536
	ds_read_b32 v24, v22 offset:12496
	s_waitcnt lgkmcnt(0)
	v_fmac_f32_e32 v21, v23, v24
	s_or_b64 exec, exec, s[12:13]
	v_cmp_gt_u32_e64 s[8:9], 24, v4
	s_and_saveexec_b64 s[12:13], s[8:9]
	s_cbranch_execz .LBB103_931
.LBB103_1156:
	v_lshlrev_b32_e32 v20, 2, v20
	v_sub_u32_e32 v20, v22, v20
	v_lshl_add_u32 v19, v19, 2, v20
	ds_read_b32 v19, v19 offset:13792
	ds_read_b32 v20, v22 offset:12500
	s_waitcnt lgkmcnt(0)
	v_fmac_f32_e32 v21, v19, v20
	s_or_b64 exec, exec, s[12:13]
	v_cmp_gt_u32_e64 s[8:9], 16, v4
	s_and_saveexec_b64 s[12:13], s[8:9]
	s_cbranch_execz .LBB103_932
.LBB103_1157:
	ds_read_b32 v19, v16 offset:14048
	ds_read_b32 v20, v22 offset:12504
	s_waitcnt lgkmcnt(0)
	v_fmac_f32_e32 v21, v19, v20
	s_or_b64 exec, exec, s[12:13]
	v_cmp_gt_u32_e64 s[8:9], 8, v4
	s_and_saveexec_b64 s[12:13], s[8:9]
	s_cbranch_execnz .LBB103_933
	s_branch .LBB103_934
.LBB103_1158:
	v_lshlrev_b32_e32 v15, 2, v15
	v_sub_u32_e32 v15, v17, v15
	v_lshl_add_u32 v14, v14, 2, v15
	ds_read_b32 v14, v14 offset:14832
	ds_read_b32 v15, v17 offset:14564
	s_waitcnt lgkmcnt(0)
	v_fmac_f32_e32 v16, v14, v15
	s_or_b64 exec, exec, s[12:13]
	v_cmp_gt_u32_e64 s[8:9], 8, v4
	s_and_saveexec_b64 s[12:13], s[8:9]
	s_cbranch_execz .LBB103_986
.LBB103_1159:
	ds_read_b32 v14, v11 offset:15088
	ds_read_b32 v15, v17 offset:14568
	s_waitcnt lgkmcnt(0)
	v_fmac_f32_e32 v16, v14, v15
	s_or_b64 exec, exec, s[12:13]
	v_cmp_gt_u32_e64 s[8:9], 4, v4
	s_and_saveexec_b64 s[12:13], s[8:9]
	s_cbranch_execnz .LBB103_987
	s_branch .LBB103_988
	.section	.rodata,"a",@progbits
	.p2align	6, 0x0
	.amdhsa_kernel _ZL19rocblas_trsv_deviceILi64ELi16ELb1ELb0ELb0ELb1EfPKfPKS1_PKPfEviT7_lllT6_T8_lllPii
		.amdhsa_group_segment_fixed_size 20740
		.amdhsa_private_segment_fixed_size 0
		.amdhsa_kernarg_size 352
		.amdhsa_user_sgpr_count 6
		.amdhsa_user_sgpr_private_segment_buffer 1
		.amdhsa_user_sgpr_dispatch_ptr 0
		.amdhsa_user_sgpr_queue_ptr 0
		.amdhsa_user_sgpr_kernarg_segment_ptr 1
		.amdhsa_user_sgpr_dispatch_id 0
		.amdhsa_user_sgpr_flat_scratch_init 0
		.amdhsa_user_sgpr_private_segment_size 0
		.amdhsa_uses_dynamic_stack 0
		.amdhsa_system_sgpr_private_segment_wavefront_offset 0
		.amdhsa_system_sgpr_workgroup_id_x 1
		.amdhsa_system_sgpr_workgroup_id_y 0
		.amdhsa_system_sgpr_workgroup_id_z 1
		.amdhsa_system_sgpr_workgroup_info 0
		.amdhsa_system_vgpr_workitem_id 1
		.amdhsa_next_free_vgpr 35
		.amdhsa_next_free_sgpr 96
		.amdhsa_reserve_vcc 1
		.amdhsa_reserve_flat_scratch 0
		.amdhsa_float_round_mode_32 0
		.amdhsa_float_round_mode_16_64 0
		.amdhsa_float_denorm_mode_32 3
		.amdhsa_float_denorm_mode_16_64 3
		.amdhsa_dx10_clamp 1
		.amdhsa_ieee_mode 1
		.amdhsa_fp16_overflow 0
		.amdhsa_exception_fp_ieee_invalid_op 0
		.amdhsa_exception_fp_denorm_src 0
		.amdhsa_exception_fp_ieee_div_zero 0
		.amdhsa_exception_fp_ieee_overflow 0
		.amdhsa_exception_fp_ieee_underflow 0
		.amdhsa_exception_fp_ieee_inexact 0
		.amdhsa_exception_int_div_zero 0
	.end_amdhsa_kernel
	.section	.text._ZL19rocblas_trsv_deviceILi64ELi16ELb1ELb0ELb0ELb1EfPKfPKS1_PKPfEviT7_lllT6_T8_lllPii,"axG",@progbits,_ZL19rocblas_trsv_deviceILi64ELi16ELb1ELb0ELb0ELb1EfPKfPKS1_PKPfEviT7_lllT6_T8_lllPii,comdat
.Lfunc_end103:
	.size	_ZL19rocblas_trsv_deviceILi64ELi16ELb1ELb0ELb0ELb1EfPKfPKS1_PKPfEviT7_lllT6_T8_lllPii, .Lfunc_end103-_ZL19rocblas_trsv_deviceILi64ELi16ELb1ELb0ELb0ELb1EfPKfPKS1_PKPfEviT7_lllT6_T8_lllPii
                                        ; -- End function
	.set _ZL19rocblas_trsv_deviceILi64ELi16ELb1ELb0ELb0ELb1EfPKfPKS1_PKPfEviT7_lllT6_T8_lllPii.num_vgpr, 35
	.set _ZL19rocblas_trsv_deviceILi64ELi16ELb1ELb0ELb0ELb1EfPKfPKS1_PKPfEviT7_lllT6_T8_lllPii.num_agpr, 0
	.set _ZL19rocblas_trsv_deviceILi64ELi16ELb1ELb0ELb0ELb1EfPKfPKS1_PKPfEviT7_lllT6_T8_lllPii.numbered_sgpr, 96
	.set _ZL19rocblas_trsv_deviceILi64ELi16ELb1ELb0ELb0ELb1EfPKfPKS1_PKPfEviT7_lllT6_T8_lllPii.num_named_barrier, 0
	.set _ZL19rocblas_trsv_deviceILi64ELi16ELb1ELb0ELb0ELb1EfPKfPKS1_PKPfEviT7_lllT6_T8_lllPii.private_seg_size, 0
	.set _ZL19rocblas_trsv_deviceILi64ELi16ELb1ELb0ELb0ELb1EfPKfPKS1_PKPfEviT7_lllT6_T8_lllPii.uses_vcc, 1
	.set _ZL19rocblas_trsv_deviceILi64ELi16ELb1ELb0ELb0ELb1EfPKfPKS1_PKPfEviT7_lllT6_T8_lllPii.uses_flat_scratch, 0
	.set _ZL19rocblas_trsv_deviceILi64ELi16ELb1ELb0ELb0ELb1EfPKfPKS1_PKPfEviT7_lllT6_T8_lllPii.has_dyn_sized_stack, 0
	.set _ZL19rocblas_trsv_deviceILi64ELi16ELb1ELb0ELb0ELb1EfPKfPKS1_PKPfEviT7_lllT6_T8_lllPii.has_recursion, 0
	.set _ZL19rocblas_trsv_deviceILi64ELi16ELb1ELb0ELb0ELb1EfPKfPKS1_PKPfEviT7_lllT6_T8_lllPii.has_indirect_call, 0
	.section	.AMDGPU.csdata,"",@progbits
; Kernel info:
; codeLenInByte = 28668
; TotalNumSgprs: 100
; NumVgprs: 35
; ScratchSize: 0
; MemoryBound: 0
; FloatMode: 240
; IeeeMode: 1
; LDSByteSize: 20740 bytes/workgroup (compile time only)
; SGPRBlocks: 12
; VGPRBlocks: 8
; NumSGPRsForWavesPerEU: 100
; NumVGPRsForWavesPerEU: 35
; Occupancy: 7
; WaveLimiterHint : 1
; COMPUTE_PGM_RSRC2:SCRATCH_EN: 0
; COMPUTE_PGM_RSRC2:USER_SGPR: 6
; COMPUTE_PGM_RSRC2:TRAP_HANDLER: 0
; COMPUTE_PGM_RSRC2:TGID_X_EN: 1
; COMPUTE_PGM_RSRC2:TGID_Y_EN: 0
; COMPUTE_PGM_RSRC2:TGID_Z_EN: 1
; COMPUTE_PGM_RSRC2:TIDIG_COMP_CNT: 1
	.section	.text._ZL19rocblas_trsv_deviceILi64ELi16ELb1ELb1ELb0ELb1EfPKfPKS1_PKPfEviT7_lllT6_T8_lllPii,"axG",@progbits,_ZL19rocblas_trsv_deviceILi64ELi16ELb1ELb1ELb0ELb1EfPKfPKS1_PKPfEviT7_lllT6_T8_lllPii,comdat
	.globl	_ZL19rocblas_trsv_deviceILi64ELi16ELb1ELb1ELb0ELb1EfPKfPKS1_PKPfEviT7_lllT6_T8_lllPii ; -- Begin function _ZL19rocblas_trsv_deviceILi64ELi16ELb1ELb1ELb0ELb1EfPKfPKS1_PKPfEviT7_lllT6_T8_lllPii
	.p2align	8
	.type	_ZL19rocblas_trsv_deviceILi64ELi16ELb1ELb1ELb0ELb1EfPKfPKS1_PKPfEviT7_lllT6_T8_lllPii,@function
_ZL19rocblas_trsv_deviceILi64ELi16ELb1ELb1ELb0ELb1EfPKfPKS1_PKPfEviT7_lllT6_T8_lllPii: ; @_ZL19rocblas_trsv_deviceILi64ELi16ELb1ELb1ELb0ELb1EfPKfPKS1_PKPfEviT7_lllT6_T8_lllPii
; %bb.0:
	s_load_dwordx4 s[0:3], s[4:5], 0x8
	s_mov_b32 s28, s7
	s_mov_b32 s29, 0
	s_lshl_b64 s[8:9], s[28:29], 3
	s_waitcnt lgkmcnt(0)
	s_add_u32 s0, s0, s8
	s_addc_u32 s1, s1, s9
	s_load_dwordx2 s[10:11], s[0:1], 0x0
	s_load_dword s30, s[4:5], 0x0
	s_load_dwordx8 s[20:27], s[4:5], 0x28
	s_load_dwordx2 s[34:35], s[4:5], 0x18
	s_lshl_b64 s[0:1], s[2:3], 2
	s_waitcnt lgkmcnt(0)
	s_add_u32 s91, s10, s0
	s_addc_u32 s92, s11, s1
	s_add_u32 s0, s22, s8
	s_load_dword s7, s[4:5], 0x60
	s_addc_u32 s1, s23, s9
	s_load_dwordx2 s[36:37], s[0:1], 0x0
	s_load_dword s16, s[20:21], 0x0
	s_load_dword s93, s[4:5], 0x6c
	s_waitcnt lgkmcnt(0)
	s_add_i32 s7, s7, -1
	s_sub_i32 s33, s7, s6
	s_cmp_eq_u32 s6, 0
	s_cbranch_scc1 .LBB104_10
; %bb.1:
	s_lshl_b32 s2, s33, 6
	v_add_u32_e32 v6, s2, v0
	v_ashrrev_i32_e32 v2, 31, v6
	v_mul_lo_u32 v7, s34, v2
	v_mul_lo_u32 v8, s35, v6
	v_mad_u64_u32 v[4:5], s[0:1], s34, v6, 0
	v_add3_u32 v2, v1, s2, 64
	v_ashrrev_i32_e32 v3, 31, v2
	v_add3_u32 v5, v5, v7, v8
	v_lshlrev_b64 v[4:5], 2, v[4:5]
	v_cmp_gt_i32_e32 vcc, s30, v6
	v_mov_b32_e32 v6, s92
	v_add_co_u32_e64 v7, s[0:1], s91, v4
	v_lshlrev_b64 v[3:4], 2, v[2:3]
	v_addc_co_u32_e64 v5, s[0:1], v6, v5, s[0:1]
	v_add_co_u32_e64 v3, s[0:1], v7, v3
	v_addc_co_u32_e64 v4, s[0:1], v5, v4, s[0:1]
	v_cmp_gt_i32_e64 s[0:1], s30, v2
	s_and_b64 s[2:3], s[0:1], vcc
	v_mov_b32_e32 v6, 0
	v_mov_b32_e32 v7, 0
	s_barrier
	s_and_saveexec_b64 s[0:1], s[2:3]
	s_cbranch_execz .LBB104_3
; %bb.2:
	flat_load_dword v7, v[3:4]
.LBB104_3:
	s_or_b64 exec, exec, s[0:1]
	v_add_u32_e32 v5, 16, v2
	v_cmp_gt_i32_e64 s[0:1], s30, v5
	s_and_b64 s[2:3], s[0:1], vcc
	s_waitcnt vmcnt(0) lgkmcnt(0)
	s_barrier
	s_and_saveexec_b64 s[0:1], s[2:3]
	s_cbranch_execz .LBB104_5
; %bb.4:
	flat_load_dword v6, v[3:4] offset:64
.LBB104_5:
	s_or_b64 exec, exec, s[0:1]
	v_add_u32_e32 v5, 32, v2
	v_cmp_gt_i32_e64 s[0:1], s30, v5
	s_and_b64 s[2:3], s[0:1], vcc
	v_mov_b32_e32 v8, 0
	v_mov_b32_e32 v9, 0
	s_waitcnt vmcnt(0) lgkmcnt(0)
	s_barrier
	s_and_saveexec_b64 s[0:1], s[2:3]
	s_cbranch_execz .LBB104_7
; %bb.6:
	flat_load_dword v9, v[3:4] offset:128
.LBB104_7:
	s_or_b64 exec, exec, s[0:1]
	v_add_u32_e32 v2, 48, v2
	v_cmp_gt_i32_e64 s[0:1], s30, v2
	s_and_b64 s[2:3], s[0:1], vcc
	s_waitcnt vmcnt(0) lgkmcnt(0)
	s_barrier
	s_and_saveexec_b64 s[0:1], s[2:3]
	s_cbranch_execz .LBB104_9
; %bb.8:
	flat_load_dword v8, v[3:4] offset:192
.LBB104_9:
	s_or_b64 exec, exec, s[0:1]
	s_branch .LBB104_11
.LBB104_10:
                                        ; implicit-def: $vgpr8
                                        ; implicit-def: $vgpr9
                                        ; implicit-def: $vgpr6
                                        ; implicit-def: $vgpr7
.LBB104_11:
	s_ashr_i32 s31, s30, 31
	s_lshr_b32 s0, s31, 26
	s_add_i32 s0, s30, s0
	s_andn2_b32 s0, s0, 63
	s_sub_i32 s90, s30, s0
	s_add_i32 s0, s30, -1
	s_ashr_i32 s1, s0, 31
	s_lshr_b32 s1, s1, 26
	s_add_i32 s0, s0, s1
	s_ashr_i32 s0, s0, 6
	s_cmp_eq_u32 s0, s33
	s_cselect_b64 s[0:1], -1, 0
	s_cmp_lg_u32 s90, 0
	s_cselect_b64 s[2:3], -1, 0
	s_and_b64 s[22:23], s[2:3], s[0:1]
	s_cmp_lt_i32 s6, 5
	s_cselect_b64 s[2:3], -1, 0
	s_mov_b64 s[12:13], -1
	s_or_b64 s[0:1], s[2:3], s[22:23]
	v_lshlrev_b32_e32 v4, 6, v0
	s_and_b64 vcc, exec, s[22:23]
	v_cmp_le_u32_e64 s[8:9], v0, v1
	s_cbranch_vccnz .LBB104_27
; %bb.12:
	s_add_u32 s10, s34, 1
	s_addc_u32 s11, s35, 0
	s_lshl_b32 s12, s33, 6
	s_ashr_i32 s13, s12, 31
	s_mul_hi_u32 s14, s10, s12
	s_mul_i32 s13, s10, s13
	s_add_i32 s13, s14, s13
	s_mul_i32 s11, s11, s12
	s_add_i32 s11, s13, s11
	s_mul_i32 s10, s10, s12
	s_lshl_b64 s[10:11], s[10:11], 2
	s_add_u32 s10, s91, s10
	s_addc_u32 s11, s92, s11
	v_lshlrev_b32_e32 v2, 2, v0
	v_mov_b32_e32 v3, s11
	v_add_co_u32_e32 v2, vcc, s10, v2
	v_mov_b32_e32 v5, 0
	v_addc_co_u32_e32 v3, vcc, 0, v3, vcc
	s_mov_b64 s[10:11], 0
	s_and_saveexec_b64 s[12:13], s[8:9]
	s_xor_b64 s[8:9], exec, s[12:13]
	s_cbranch_execnz .LBB104_1154
; %bb.13:
	s_andn2_saveexec_b64 s[8:9], s[8:9]
	s_cbranch_execnz .LBB104_1155
.LBB104_14:
	s_or_b64 exec, exec, s[8:9]
	s_and_saveexec_b64 s[8:9], s[10:11]
.LBB104_15:
	v_add_u32_e32 v10, v1, v4
	v_lshl_add_u32 v11, v1, 6, v0
	v_cndmask_b32_e64 v10, v11, v10, s[2:3]
	v_lshlrev_b32_e32 v10, 2, v10
	ds_write_b32 v10, v5
.LBB104_16:
	s_or_b64 exec, exec, s[8:9]
	v_add_u32_e32 v5, 16, v1
	v_cmp_le_u32_e32 vcc, v0, v5
	s_mov_b64 s[2:3], 0
	s_and_saveexec_b64 s[8:9], vcc
	s_xor_b64 s[8:9], exec, s[8:9]
	s_cbranch_execnz .LBB104_1156
; %bb.17:
	s_or_saveexec_b64 s[8:9], s[8:9]
	v_mov_b32_e32 v10, 0
	s_xor_b64 exec, exec, s[8:9]
	s_cbranch_execnz .LBB104_1157
.LBB104_18:
	s_or_b64 exec, exec, s[8:9]
	s_and_saveexec_b64 s[8:9], s[2:3]
.LBB104_19:
	v_add_u32_e32 v11, v5, v4
	v_lshl_add_u32 v5, v5, 6, v0
	v_cndmask_b32_e64 v5, v5, v11, s[0:1]
	v_lshlrev_b32_e32 v5, 2, v5
	ds_write_b32 v5, v10
.LBB104_20:
	s_or_b64 exec, exec, s[8:9]
	v_add_u32_e32 v5, 32, v1
	v_cmp_le_u32_e32 vcc, v0, v5
	s_mov_b64 s[2:3], 0
	s_and_saveexec_b64 s[8:9], vcc
	s_xor_b64 s[8:9], exec, s[8:9]
	s_cbranch_execnz .LBB104_1158
; %bb.21:
	s_or_saveexec_b64 s[8:9], s[8:9]
	v_mov_b32_e32 v10, 0
	s_xor_b64 exec, exec, s[8:9]
	s_cbranch_execnz .LBB104_1159
.LBB104_22:
	s_or_b64 exec, exec, s[8:9]
	s_and_saveexec_b64 s[8:9], s[2:3]
.LBB104_23:
	v_add_u32_e32 v11, v5, v4
	v_lshl_add_u32 v5, v5, 6, v0
	v_cndmask_b32_e64 v5, v5, v11, s[0:1]
	v_lshlrev_b32_e32 v5, 2, v5
	ds_write_b32 v5, v10
.LBB104_24:
	s_or_b64 exec, exec, s[8:9]
	v_add_u32_e32 v5, 48, v1
	v_add_u32_e32 v10, v5, v4
	v_lshl_add_u32 v11, v5, 6, v0
	v_cmp_le_u32_e32 vcc, v0, v5
	s_mov_b64 s[2:3], -1
	s_mov_b64 s[12:13], 0
	s_mov_b64 s[10:11], 0
	s_and_saveexec_b64 s[8:9], vcc
	s_xor_b64 s[8:9], exec, s[8:9]
; %bb.25:
	v_or_b32_e32 v12, v5, v0
	v_cmp_gt_u32_e32 vcc, 64, v12
	s_and_b64 s[10:11], vcc, exec
	s_xor_b64 s[2:3], exec, -1
; %bb.26:
	s_or_b64 exec, exec, s[8:9]
	v_cndmask_b32_e64 v10, v11, v10, s[0:1]
	s_and_b64 vcc, exec, s[12:13]
	s_cbranch_vccnz .LBB104_28
	s_branch .LBB104_43
.LBB104_27:
	s_mov_b64 s[2:3], 0
	s_mov_b64 s[10:11], 0
                                        ; implicit-def: $vgpr10
                                        ; implicit-def: $vgpr2_vgpr3
                                        ; implicit-def: $vgpr5
	s_and_b64 vcc, exec, s[12:13]
	s_cbranch_vccz .LBB104_43
.LBB104_28:
	s_add_u32 s2, s34, 1
	s_addc_u32 s3, s35, 0
	s_lshl_b32 s8, s33, 6
	s_ashr_i32 s9, s8, 31
	s_mul_hi_u32 s12, s2, s8
	s_mul_i32 s9, s2, s9
	s_add_i32 s9, s12, s9
	s_mul_i32 s3, s3, s8
	s_add_i32 s3, s9, s3
	s_mul_i32 s2, s2, s8
	s_lshl_b64 s[2:3], s[2:3], 2
	s_add_u32 s2, s91, s2
	s_addc_u32 s3, s92, s3
	v_lshlrev_b32_e32 v2, 2, v0
	v_mov_b32_e32 v3, s3
	v_add_co_u32_e64 v2, s[2:3], s2, v2
	v_addc_co_u32_e64 v3, s[2:3], 0, v3, s[2:3]
	v_max_i32_e32 v10, v1, v0
	v_cmp_le_u32_e64 s[2:3], v0, v1
	v_cmp_le_i32_e64 s[8:9], s90, v10
	v_cmp_gt_i32_e32 vcc, s90, v0
	v_mov_b32_e32 v5, 0
	s_or_b64 s[2:3], s[8:9], s[2:3]
	s_mov_b64 s[8:9], 0
	s_and_saveexec_b64 s[12:13], s[2:3]
	s_xor_b64 s[12:13], exec, s[12:13]
	s_cbranch_execnz .LBB104_1160
; %bb.29:
	s_andn2_saveexec_b64 s[12:13], s[12:13]
	s_cbranch_execnz .LBB104_1161
.LBB104_30:
	s_or_b64 exec, exec, s[12:13]
	s_and_saveexec_b64 s[2:3], s[8:9]
.LBB104_31:
	v_lshlrev_b32_e32 v10, 2, v4
	v_lshl_add_u32 v10, v1, 2, v10
	ds_write_b32 v10, v5
.LBB104_32:
	s_or_b64 exec, exec, s[2:3]
	v_add_u32_e32 v5, 16, v1
	v_cmp_gt_u32_e64 s[2:3], v0, v5
	v_cmp_gt_i32_e64 s[8:9], s90, v5
	s_and_b64 s[2:3], s[2:3], s[8:9]
	s_and_b64 s[2:3], s[2:3], vcc
	s_xor_b64 s[2:3], s[2:3], -1
	s_mov_b64 s[8:9], 0
	s_and_saveexec_b64 s[12:13], s[2:3]
	s_xor_b64 s[12:13], exec, s[12:13]
	s_cbranch_execnz .LBB104_1162
; %bb.33:
	s_or_saveexec_b64 s[12:13], s[12:13]
	v_mov_b32_e32 v10, 0
	s_xor_b64 exec, exec, s[12:13]
	s_cbranch_execnz .LBB104_1163
.LBB104_34:
	s_or_b64 exec, exec, s[12:13]
	s_and_saveexec_b64 s[2:3], s[8:9]
.LBB104_35:
	v_add_u32_e32 v11, v5, v4
	v_lshl_add_u32 v5, v5, 6, v0
	v_cndmask_b32_e64 v5, v5, v11, s[0:1]
	v_lshlrev_b32_e32 v5, 2, v5
	ds_write_b32 v5, v10
.LBB104_36:
	s_or_b64 exec, exec, s[2:3]
	v_add_u32_e32 v5, 32, v1
	v_cmp_gt_u32_e64 s[2:3], v0, v5
	v_cmp_gt_i32_e64 s[8:9], s90, v5
	s_and_b64 s[2:3], s[2:3], s[8:9]
	s_and_b64 s[2:3], s[2:3], vcc
	s_xor_b64 s[2:3], s[2:3], -1
	s_mov_b64 s[8:9], 0
	s_and_saveexec_b64 s[12:13], s[2:3]
	s_xor_b64 s[12:13], exec, s[12:13]
	s_cbranch_execnz .LBB104_1164
; %bb.37:
	s_or_saveexec_b64 s[12:13], s[12:13]
	v_mov_b32_e32 v10, 0
	s_xor_b64 exec, exec, s[12:13]
	s_cbranch_execnz .LBB104_1165
.LBB104_38:
	s_or_b64 exec, exec, s[12:13]
	s_and_saveexec_b64 s[2:3], s[8:9]
.LBB104_39:
	v_add_u32_e32 v11, v5, v4
	v_lshl_add_u32 v5, v5, 6, v0
	v_cndmask_b32_e64 v5, v5, v11, s[0:1]
	v_lshlrev_b32_e32 v5, 2, v5
	ds_write_b32 v5, v10
.LBB104_40:
	s_or_b64 exec, exec, s[2:3]
	v_add_u32_e32 v5, 48, v1
	v_cmp_gt_u32_e64 s[2:3], v0, v5
	v_cmp_gt_i32_e64 s[8:9], s90, v5
	s_and_b64 s[2:3], s[2:3], s[8:9]
	s_and_b64 s[8:9], s[2:3], vcc
	v_add_u32_e32 v4, v5, v4
	v_lshl_add_u32 v10, v5, 6, v0
	s_mov_b64 s[2:3], -1
	s_xor_b64 s[12:13], s[8:9], -1
	s_and_saveexec_b64 s[8:9], s[12:13]
; %bb.41:
	v_or_b32_e32 v11, v5, v0
	v_cmp_gt_u32_e32 vcc, 64, v11
	s_andn2_b64 s[2:3], s[10:11], exec
	s_and_b64 s[10:11], vcc, exec
	s_or_b64 s[10:11], s[2:3], s[10:11]
	s_xor_b64 s[2:3], exec, -1
; %bb.42:
	s_or_b64 exec, exec, s[8:9]
	v_cndmask_b32_e64 v10, v10, v4, s[0:1]
.LBB104_43:
	v_mov_b32_e32 v4, 0
	s_and_saveexec_b64 s[8:9], s[2:3]
	s_cbranch_execnz .LBB104_1127
; %bb.44:
	s_or_b64 exec, exec, s[8:9]
	s_xor_b64 s[0:1], s[0:1], -1
	s_and_saveexec_b64 s[2:3], s[10:11]
.LBB104_45:
	v_lshlrev_b32_e32 v2, 2, v10
	ds_write_b32 v2, v4
.LBB104_46:
	s_or_b64 exec, exec, s[2:3]
	v_cndmask_b32_e64 v2, 0, 1, s[0:1]
	v_cmp_ne_u32_e64 s[40:41], 1, v2
	s_andn2_b64 vcc, exec, s[0:1]
	s_waitcnt vmcnt(0) lgkmcnt(0)
	s_barrier
	s_cbranch_vccnz .LBB104_1084
; %bb.47:
	v_or_b32_e32 v2, v0, v1
	v_cmp_eq_u32_e32 vcc, 0, v2
	s_and_saveexec_b64 s[0:1], vcc
	s_cbranch_execz .LBB104_49
; %bb.48:
	v_mov_b32_e32 v4, 0
	ds_read_b32 v2, v4 offset:4
	v_mov_b32_e32 v3, 1.0
	ds_write_b32 v4, v3
	s_waitcnt lgkmcnt(1)
	ds_write_b64 v4, v[2:3] offset:256
.LBB104_49:
	s_or_b64 exec, exec, s[0:1]
	v_lshl_add_u32 v4, v1, 6, v0
	v_and_b32_e32 v11, 1, v0
	v_lshrrev_b32_e32 v5, 1, v4
	v_lshlrev_b32_e32 v2, 2, v11
	v_cmp_lt_u32_e64 s[8:9], 3, v4
	v_cmp_gt_u32_e64 s[2:3], 4, v4
	v_lshl_or_b32 v2, v5, 8, v2
	v_mov_b32_e32 v10, 0
	s_waitcnt lgkmcnt(0)
	s_barrier
	s_and_saveexec_b64 s[0:1], s[2:3]
	s_cbranch_execz .LBB104_53
; %bb.50:
	v_mul_u32_u24_e32 v3, 0x104, v5
	ds_read_b32 v12, v2 offset:8
	ds_read_b32 v3, v3
	v_mov_b32_e32 v10, 0
	v_cmp_gt_u32_e64 s[10:11], 2, v4
	s_waitcnt lgkmcnt(0)
	v_fma_f32 v3, v12, v3, 0
	s_and_saveexec_b64 s[12:13], s[10:11]
	s_cbranch_execz .LBB104_52
; %bb.51:
	v_lshlrev_b32_e32 v12, 2, v0
	ds_read_b32 v12, v12 offset:264
	ds_read_b32 v10, v10 offset:4
	s_waitcnt lgkmcnt(0)
	v_fmac_f32_e32 v3, v12, v10
.LBB104_52:
	s_or_b64 exec, exec, s[12:13]
	v_xor_b32_e32 v10, 0x80000000, v3
.LBB104_53:
                                        ; implicit-def: $vgpr33 : SGPR spill to VGPR lane
	v_writelane_b32 v33, s40, 0
	v_writelane_b32 v33, s41, 1
	;; [unrolled: 1-line block ×3, first 2 shown]
	s_or_b64 exec, exec, s[0:1]
	v_mov_b32_e32 v3, 0x4000
	v_cmp_eq_u32_e64 s[10:11], 0, v11
	s_xor_b64 s[0:1], s[8:9], -1
	v_lshl_add_u32 v3, v5, 2, v3
	s_and_b64 s[40:41], s[10:11], s[0:1]
	s_and_saveexec_b64 s[8:9], s[40:41]
; %bb.54:
	ds_write_b32 v3, v10
; %bb.55:
	s_or_b64 exec, exec, s[8:9]
	v_cmp_ne_u32_e64 s[8:9], 0, v11
	s_and_b64 s[38:39], s[8:9], s[0:1]
	s_waitcnt lgkmcnt(0)
	s_barrier
	s_and_saveexec_b64 s[0:1], s[38:39]
	s_cbranch_execz .LBB104_57
; %bb.56:
	v_mov_b32_e32 v11, 0
	ds_read_b32 v11, v11 offset:524
	ds_read_b32 v12, v3
	s_waitcnt lgkmcnt(0)
	v_fmac_f32_e32 v10, v11, v12
.LBB104_57:
	s_or_b64 exec, exec, s[0:1]
	s_barrier
	s_and_saveexec_b64 s[0:1], s[38:39]
; %bb.58:
	ds_write_b32 v3, v10
; %bb.59:
	s_or_b64 exec, exec, s[0:1]
	s_waitcnt lgkmcnt(0)
	s_barrier
	s_barrier
	s_and_saveexec_b64 s[0:1], s[2:3]
; %bb.60:
	v_xor_b32_e32 v10, 0x80000000, v10
	ds_write_b32 v2, v10 offset:8
; %bb.61:
	s_or_b64 exec, exec, s[0:1]
	v_cmp_eq_u32_e64 s[12:13], 0, v1
	v_cmp_gt_u32_e64 s[8:9], 2, v0
	s_and_b64 s[42:43], s[12:13], s[8:9]
	s_waitcnt lgkmcnt(0)
	s_barrier
	s_barrier
	s_and_saveexec_b64 s[0:1], s[42:43]
	s_cbranch_execz .LBB104_63
; %bb.62:
	v_lshlrev_b32_e32 v10, 2, v0
	s_movk_i32 s8, 0xfc
	v_mad_u32_u24 v11, v0, s8, v10
	ds_read_b32 v12, v11 offset:8
	s_waitcnt lgkmcnt(0)
	ds_write_b32 v10, v12 offset:512
	ds_read_b32 v11, v11 offset:12
	s_waitcnt lgkmcnt(0)
	ds_write_b32 v10, v11 offset:768
.LBB104_63:
	s_or_b64 exec, exec, s[0:1]
	s_waitcnt lgkmcnt(0)
	s_barrier
	s_and_saveexec_b64 s[0:1], vcc
	s_cbranch_execz .LBB104_65
; %bb.64:
	v_mov_b32_e32 v12, 0
	ds_read_b32 v10, v12 offset:524
	v_mov_b32_e32 v11, 1.0
	ds_write_b32 v12, v11 offset:520
	s_waitcnt lgkmcnt(1)
	ds_write_b64 v12, v[10:11] offset:776
.LBB104_65:
	s_or_b64 exec, exec, s[0:1]
	v_and_b32_e32 v13, 3, v0
	v_lshrrev_b32_e32 v14, 2, v4
	v_lshlrev_b32_e32 v11, 2, v13
	v_cmp_lt_u32_e64 s[8:9], 15, v4
	v_cmp_gt_u32_e64 s[18:19], 16, v4
	v_lshl_or_b32 v10, v14, 8, v11
	v_mov_b32_e32 v15, 0
	s_waitcnt lgkmcnt(0)
	s_barrier
	s_and_saveexec_b64 s[0:1], s[18:19]
	s_cbranch_execz .LBB104_71
; %bb.66:
	v_mul_u32_u24_e32 v15, 0x104, v14
	ds_read_b32 v12, v10 offset:16
	ds_read_b32 v16, v15
	v_cmp_gt_u32_e64 s[10:11], 12, v4
	s_waitcnt lgkmcnt(0)
	v_fma_f32 v12, v12, v16, 0
	s_and_saveexec_b64 s[14:15], s[10:11]
	s_cbranch_execnz .LBB104_1170
; %bb.67:
	s_or_b64 exec, exec, s[14:15]
	v_cmp_gt_u32_e64 s[10:11], 8, v4
	s_and_saveexec_b64 s[14:15], s[10:11]
	s_cbranch_execnz .LBB104_1171
.LBB104_68:
	s_or_b64 exec, exec, s[14:15]
	v_cmp_gt_u32_e64 s[10:11], 4, v4
	s_and_saveexec_b64 s[14:15], s[10:11]
	s_cbranch_execz .LBB104_70
.LBB104_69:
	v_lshlrev_b32_e32 v15, 2, v0
	v_mov_b32_e32 v16, 0
	ds_read_b32 v15, v15 offset:784
	ds_read_b32 v16, v16 offset:12
	s_waitcnt lgkmcnt(0)
	v_fmac_f32_e32 v12, v15, v16
.LBB104_70:
	s_or_b64 exec, exec, s[14:15]
	v_xor_b32_e32 v15, 0x80000000, v12
.LBB104_71:
	s_or_b64 exec, exec, s[0:1]
	v_mov_b32_e32 v12, 0x4000
	v_cmp_eq_u32_e64 s[10:11], 0, v13
	s_xor_b64 s[0:1], s[8:9], -1
	v_lshl_add_u32 v12, v14, 2, v12
	s_and_b64 s[46:47], s[10:11], s[0:1]
	s_and_saveexec_b64 s[8:9], s[46:47]
; %bb.72:
	ds_write_b32 v12, v15
; %bb.73:
	s_or_b64 exec, exec, s[8:9]
	v_cmp_ne_u32_e64 s[8:9], 0, v13
	s_and_b64 s[48:49], s[8:9], s[0:1]
	s_waitcnt lgkmcnt(0)
	s_barrier
	s_and_saveexec_b64 s[8:9], s[48:49]
	s_cbranch_execz .LBB104_75
; %bb.74:
	ds_read_b32 v16, v11 offset:1040
	ds_read_b32 v17, v12
	s_waitcnt lgkmcnt(0)
	v_fmac_f32_e32 v15, v16, v17
.LBB104_75:
	s_or_b64 exec, exec, s[8:9]
	v_cmp_eq_u32_e64 s[8:9], 1, v13
	s_and_b64 s[50:51], s[8:9], s[0:1]
	s_barrier
	s_and_saveexec_b64 s[8:9], s[50:51]
; %bb.76:
	ds_write_b32 v12, v15
; %bb.77:
	s_or_b64 exec, exec, s[8:9]
	v_cmp_lt_u32_e64 s[8:9], 1, v13
	s_and_b64 s[52:53], s[8:9], s[0:1]
	s_waitcnt lgkmcnt(0)
	s_barrier
	s_and_saveexec_b64 s[8:9], s[52:53]
	s_cbranch_execz .LBB104_79
; %bb.78:
	ds_read_b32 v16, v11 offset:1296
	ds_read_b32 v17, v12
	s_waitcnt lgkmcnt(0)
	v_fmac_f32_e32 v15, v16, v17
.LBB104_79:
	s_or_b64 exec, exec, s[8:9]
	v_cmp_eq_u32_e64 s[8:9], 2, v13
	s_and_b64 s[54:55], s[8:9], s[0:1]
	s_barrier
	s_and_saveexec_b64 s[8:9], s[54:55]
; %bb.80:
	ds_write_b32 v12, v15
; %bb.81:
	s_or_b64 exec, exec, s[8:9]
	v_cmp_eq_u32_e64 s[8:9], 3, v13
	s_and_b64 s[44:45], s[8:9], s[0:1]
	s_waitcnt lgkmcnt(0)
	s_barrier
	s_and_saveexec_b64 s[0:1], s[44:45]
	s_cbranch_execz .LBB104_83
; %bb.82:
	v_mov_b32_e32 v16, 0
	ds_read_b32 v16, v16 offset:1564
	ds_read_b32 v17, v12
	s_waitcnt lgkmcnt(0)
	v_fmac_f32_e32 v15, v16, v17
.LBB104_83:
	s_or_b64 exec, exec, s[0:1]
	s_barrier
	s_and_saveexec_b64 s[0:1], s[44:45]
; %bb.84:
	ds_write_b32 v12, v15
; %bb.85:
	s_or_b64 exec, exec, s[0:1]
	s_waitcnt lgkmcnt(0)
	s_barrier
	s_barrier
	s_and_saveexec_b64 s[0:1], s[18:19]
; %bb.86:
	v_xor_b32_e32 v15, 0x80000000, v15
	ds_write_b32 v10, v15 offset:16
; %bb.87:
	s_or_b64 exec, exec, s[0:1]
	v_cmp_gt_u32_e64 s[8:9], 4, v0
	s_and_b64 s[56:57], s[12:13], s[8:9]
	s_waitcnt lgkmcnt(0)
	s_barrier
	s_barrier
	s_and_saveexec_b64 s[0:1], s[56:57]
	s_cbranch_execz .LBB104_89
; %bb.88:
	v_lshlrev_b32_e32 v15, 8, v0
	ds_read_b32 v16, v15 offset:16
	s_movk_i32 s8, 0xff04
	v_mad_i32_i24 v17, v0, s8, v15
	s_waitcnt lgkmcnt(0)
	ds_write_b32 v17, v16 offset:1024
	ds_read_b32 v16, v15 offset:20
	s_waitcnt lgkmcnt(0)
	ds_write_b32 v17, v16 offset:1280
	ds_read_b32 v16, v15 offset:24
	;; [unrolled: 3-line block ×3, first 2 shown]
	s_waitcnt lgkmcnt(0)
	ds_write_b32 v17, v15 offset:1792
.LBB104_89:
	s_or_b64 exec, exec, s[0:1]
	s_waitcnt lgkmcnt(0)
	s_barrier
	s_and_saveexec_b64 s[0:1], vcc
	s_cbranch_execz .LBB104_91
; %bb.90:
	v_mov_b32_e32 v17, 0
	ds_read_b32 v15, v17 offset:1044
	v_mov_b32_e32 v16, 1.0
	ds_write_b32 v17, v16 offset:1040
	s_waitcnt lgkmcnt(1)
	ds_write_b64 v17, v[15:16] offset:1296
.LBB104_91:
	s_or_b64 exec, exec, s[0:1]
	v_mov_b32_e32 v15, 0
	s_waitcnt lgkmcnt(0)
	s_barrier
	s_and_saveexec_b64 s[0:1], s[2:3]
	s_cbranch_execz .LBB104_95
; %bb.92:
	v_mul_u32_u24_e32 v15, 0x104, v5
	ds_read_b32 v17, v2 offset:1048
	ds_read_b32 v15, v15 offset:1040
	v_mov_b32_e32 v16, 0
	v_cmp_gt_u32_e64 s[8:9], 2, v4
	s_waitcnt lgkmcnt(0)
	v_fma_f32 v15, v17, v15, 0
	s_and_saveexec_b64 s[10:11], s[8:9]
	s_cbranch_execz .LBB104_94
; %bb.93:
	v_lshlrev_b32_e32 v17, 2, v0
	ds_read_b32 v17, v17 offset:1304
	ds_read_b32 v16, v16 offset:1044
	s_waitcnt lgkmcnt(0)
	v_fmac_f32_e32 v15, v17, v16
.LBB104_94:
	s_or_b64 exec, exec, s[10:11]
	v_xor_b32_e32 v15, 0x80000000, v15
.LBB104_95:
	s_or_b64 exec, exec, s[0:1]
	s_and_saveexec_b64 s[0:1], s[40:41]
; %bb.96:
	ds_write_b32 v3, v15
; %bb.97:
	s_or_b64 exec, exec, s[0:1]
	s_waitcnt lgkmcnt(0)
	s_barrier
	s_and_saveexec_b64 s[0:1], s[38:39]
	s_cbranch_execz .LBB104_99
; %bb.98:
	v_mov_b32_e32 v16, 0
	ds_read_b32 v16, v16 offset:1564
	ds_read_b32 v17, v3
	s_waitcnt lgkmcnt(0)
	v_fmac_f32_e32 v15, v16, v17
.LBB104_99:
	s_or_b64 exec, exec, s[0:1]
	s_barrier
	s_and_saveexec_b64 s[0:1], s[38:39]
; %bb.100:
	ds_write_b32 v3, v15
; %bb.101:
	s_or_b64 exec, exec, s[0:1]
	s_waitcnt lgkmcnt(0)
	s_barrier
	s_barrier
	s_and_saveexec_b64 s[0:1], s[2:3]
; %bb.102:
	v_xor_b32_e32 v15, 0x80000000, v15
	ds_write_b32 v2, v15 offset:1048
; %bb.103:
	s_or_b64 exec, exec, s[0:1]
	s_waitcnt lgkmcnt(0)
	s_barrier
	s_barrier
	s_and_saveexec_b64 s[0:1], s[42:43]
	s_cbranch_execz .LBB104_105
; %bb.104:
	v_lshlrev_b32_e32 v15, 2, v0
	s_movk_i32 s8, 0xfc
	v_mad_u32_u24 v16, v0, s8, v15
	ds_read_b32 v17, v16 offset:1048
	s_waitcnt lgkmcnt(0)
	ds_write_b32 v15, v17 offset:1552
	ds_read_b32 v16, v16 offset:1052
	s_waitcnt lgkmcnt(0)
	ds_write_b32 v15, v16 offset:1808
.LBB104_105:
	s_or_b64 exec, exec, s[0:1]
	s_waitcnt lgkmcnt(0)
	s_barrier
	s_and_saveexec_b64 s[0:1], vcc
	s_cbranch_execz .LBB104_107
; %bb.106:
	v_mov_b32_e32 v17, 0
	ds_read_b32 v15, v17 offset:1564
	v_mov_b32_e32 v16, 1.0
	ds_write_b32 v17, v16 offset:1560
	s_waitcnt lgkmcnt(1)
	ds_write_b64 v17, v[15:16] offset:1816
.LBB104_107:
	s_or_b64 exec, exec, s[0:1]
	v_and_b32_e32 v18, 7, v0
	v_lshrrev_b32_e32 v19, 3, v4
	v_lshlrev_b32_e32 v16, 2, v18
	v_cmp_lt_u32_e64 s[10:11], 63, v4
	v_cmp_gt_u32_e64 s[8:9], 64, v4
	v_lshl_or_b32 v15, v19, 8, v16
	v_mov_b32_e32 v20, 0
	s_waitcnt lgkmcnt(0)
	s_barrier
	s_and_saveexec_b64 s[0:1], s[8:9]
	s_cbranch_execz .LBB104_117
; %bb.108:
	v_mul_u32_u24_e32 v20, 0x104, v19
	ds_read_b32 v17, v15 offset:32
	ds_read_b32 v21, v20
	v_cmp_gt_u32_e64 s[14:15], 56, v4
	s_waitcnt lgkmcnt(0)
	v_fma_f32 v17, v17, v21, 0
	s_and_saveexec_b64 s[16:17], s[14:15]
	s_cbranch_execnz .LBB104_1172
; %bb.109:
	s_or_b64 exec, exec, s[16:17]
	v_cmp_gt_u32_e64 s[14:15], 48, v4
	s_and_saveexec_b64 s[16:17], s[14:15]
	s_cbranch_execnz .LBB104_1173
.LBB104_110:
	s_or_b64 exec, exec, s[16:17]
	v_cmp_gt_u32_e64 s[14:15], 40, v4
	s_and_saveexec_b64 s[16:17], s[14:15]
	s_cbranch_execnz .LBB104_1174
.LBB104_111:
	s_or_b64 exec, exec, s[16:17]
	v_cmp_gt_u32_e64 s[14:15], 32, v4
	s_and_saveexec_b64 s[16:17], s[14:15]
	s_cbranch_execnz .LBB104_1175
.LBB104_112:
	s_or_b64 exec, exec, s[16:17]
	v_cmp_gt_u32_e64 s[14:15], 24, v4
	s_and_saveexec_b64 s[16:17], s[14:15]
	s_cbranch_execnz .LBB104_1176
.LBB104_113:
	s_or_b64 exec, exec, s[16:17]
	v_cmp_gt_u32_e64 s[14:15], 16, v4
	s_and_saveexec_b64 s[16:17], s[14:15]
	s_cbranch_execnz .LBB104_1177
.LBB104_114:
	s_or_b64 exec, exec, s[16:17]
	v_cmp_gt_u32_e64 s[14:15], 8, v4
	s_and_saveexec_b64 s[16:17], s[14:15]
	s_cbranch_execz .LBB104_116
.LBB104_115:
	v_lshlrev_b32_e32 v20, 2, v0
	v_mov_b32_e32 v21, 0
	ds_read_b32 v20, v20 offset:1824
	ds_read_b32 v21, v21 offset:28
	s_waitcnt lgkmcnt(0)
	v_fmac_f32_e32 v17, v20, v21
.LBB104_116:
	s_or_b64 exec, exec, s[16:17]
	v_xor_b32_e32 v20, 0x80000000, v17
.LBB104_117:
	s_or_b64 exec, exec, s[0:1]
	v_mov_b32_e32 v17, 0x4000
	v_cmp_eq_u32_e64 s[14:15], 0, v18
	s_xor_b64 s[0:1], s[10:11], -1
	v_lshl_add_u32 v17, v19, 2, v17
	s_and_b64 s[58:59], s[14:15], s[0:1]
	s_and_saveexec_b64 s[10:11], s[58:59]
; %bb.118:
	ds_write_b32 v17, v20
; %bb.119:
	s_or_b64 exec, exec, s[10:11]
	v_cmp_ne_u32_e64 s[10:11], 0, v18
	s_and_b64 s[60:61], s[10:11], s[0:1]
	s_waitcnt lgkmcnt(0)
	s_barrier
	s_and_saveexec_b64 s[10:11], s[60:61]
	s_cbranch_execz .LBB104_121
; %bb.120:
	ds_read_b32 v21, v16 offset:2080
	ds_read_b32 v22, v17
	s_waitcnt lgkmcnt(0)
	v_fmac_f32_e32 v20, v21, v22
.LBB104_121:
	s_or_b64 exec, exec, s[10:11]
	v_cmp_eq_u32_e64 s[10:11], 1, v18
	s_and_b64 s[62:63], s[10:11], s[0:1]
	s_barrier
	s_and_saveexec_b64 s[10:11], s[62:63]
; %bb.122:
	ds_write_b32 v17, v20
; %bb.123:
	s_or_b64 exec, exec, s[10:11]
	v_cmp_lt_u32_e64 s[10:11], 1, v18
	s_and_b64 s[64:65], s[10:11], s[0:1]
	s_waitcnt lgkmcnt(0)
	s_barrier
	s_and_saveexec_b64 s[10:11], s[64:65]
	s_cbranch_execz .LBB104_125
; %bb.124:
	ds_read_b32 v21, v16 offset:2336
	ds_read_b32 v22, v17
	s_waitcnt lgkmcnt(0)
	v_fmac_f32_e32 v20, v21, v22
.LBB104_125:
	s_or_b64 exec, exec, s[10:11]
	v_cmp_eq_u32_e64 s[10:11], 2, v18
	s_and_b64 s[68:69], s[10:11], s[0:1]
	s_barrier
	s_and_saveexec_b64 s[10:11], s[68:69]
; %bb.126:
	ds_write_b32 v17, v20
; %bb.127:
	s_or_b64 exec, exec, s[10:11]
	v_cmp_lt_u32_e64 s[10:11], 2, v18
	;; [unrolled: 21-line block ×5, first 2 shown]
	s_and_b64 s[82:83], s[10:11], s[0:1]
	s_waitcnt lgkmcnt(0)
	s_barrier
	s_and_saveexec_b64 s[10:11], s[82:83]
	s_cbranch_execz .LBB104_141
; %bb.140:
	ds_read_b32 v21, v16 offset:3360
	ds_read_b32 v22, v17
	s_waitcnt lgkmcnt(0)
	v_fmac_f32_e32 v20, v21, v22
.LBB104_141:
	s_or_b64 exec, exec, s[10:11]
	v_cmp_eq_u32_e64 s[10:11], 6, v18
	s_and_b64 s[84:85], s[10:11], s[0:1]
	s_barrier
	s_and_saveexec_b64 s[10:11], s[84:85]
; %bb.142:
	ds_write_b32 v17, v20
; %bb.143:
	s_or_b64 exec, exec, s[10:11]
	v_cmp_eq_u32_e64 s[10:11], 7, v18
	s_and_b64 s[66:67], s[10:11], s[0:1]
	s_waitcnt lgkmcnt(0)
	s_barrier
	s_and_saveexec_b64 s[0:1], s[66:67]
	s_cbranch_execz .LBB104_145
; %bb.144:
	v_mov_b32_e32 v21, 0
	ds_read_b32 v21, v21 offset:3644
	ds_read_b32 v22, v17
	s_waitcnt lgkmcnt(0)
	v_fmac_f32_e32 v20, v21, v22
.LBB104_145:
	s_or_b64 exec, exec, s[0:1]
	s_barrier
	s_and_saveexec_b64 s[0:1], s[66:67]
; %bb.146:
	ds_write_b32 v17, v20
; %bb.147:
	s_or_b64 exec, exec, s[0:1]
	s_waitcnt lgkmcnt(0)
	s_barrier
	s_barrier
	s_and_saveexec_b64 s[0:1], s[8:9]
; %bb.148:
	v_xor_b32_e32 v20, 0x80000000, v20
	ds_write_b32 v15, v20 offset:32
; %bb.149:
	s_or_b64 exec, exec, s[0:1]
	v_cmp_gt_u32_e64 s[10:11], 8, v0
	s_and_b64 s[86:87], s[12:13], s[10:11]
	s_waitcnt lgkmcnt(0)
	s_barrier
	s_barrier
	s_and_saveexec_b64 s[0:1], s[86:87]
	s_cbranch_execz .LBB104_151
; %bb.150:
	v_lshlrev_b32_e32 v20, 8, v0
	ds_read_b32 v21, v20 offset:32
	s_movk_i32 s10, 0xff04
	v_mad_i32_i24 v22, v0, s10, v20
	s_waitcnt lgkmcnt(0)
	ds_write_b32 v22, v21 offset:2048
	ds_read_b32 v21, v20 offset:36
	s_waitcnt lgkmcnt(0)
	ds_write_b32 v22, v21 offset:2304
	ds_read_b32 v21, v20 offset:40
	;; [unrolled: 3-line block ×7, first 2 shown]
	s_waitcnt lgkmcnt(0)
	ds_write_b32 v22, v20 offset:3840
.LBB104_151:
	s_or_b64 exec, exec, s[0:1]
	s_waitcnt lgkmcnt(0)
	s_barrier
	s_and_saveexec_b64 s[0:1], vcc
	s_cbranch_execz .LBB104_153
; %bb.152:
	v_mov_b32_e32 v22, 0
	ds_read_b32 v20, v22 offset:2084
	v_mov_b32_e32 v21, 1.0
	ds_write_b32 v22, v21 offset:2080
	s_waitcnt lgkmcnt(1)
	ds_write_b64 v22, v[20:21] offset:2336
.LBB104_153:
	s_or_b64 exec, exec, s[0:1]
	v_mov_b32_e32 v20, 0
	s_waitcnt lgkmcnt(0)
	s_barrier
	s_and_saveexec_b64 s[0:1], s[2:3]
	s_cbranch_execz .LBB104_157
; %bb.154:
	v_mul_u32_u24_e32 v20, 0x104, v5
	ds_read_b32 v22, v2 offset:2088
	ds_read_b32 v20, v20 offset:2080
	v_mov_b32_e32 v21, 0
	v_cmp_gt_u32_e64 s[10:11], 2, v4
	s_waitcnt lgkmcnt(0)
	v_fma_f32 v20, v22, v20, 0
	s_and_saveexec_b64 s[14:15], s[10:11]
	s_cbranch_execz .LBB104_156
; %bb.155:
	v_lshlrev_b32_e32 v22, 2, v0
	ds_read_b32 v22, v22 offset:2344
	ds_read_b32 v21, v21 offset:2084
	s_waitcnt lgkmcnt(0)
	v_fmac_f32_e32 v20, v22, v21
.LBB104_156:
	s_or_b64 exec, exec, s[14:15]
	v_xor_b32_e32 v20, 0x80000000, v20
.LBB104_157:
	s_or_b64 exec, exec, s[0:1]
	s_and_saveexec_b64 s[0:1], s[40:41]
; %bb.158:
	ds_write_b32 v3, v20
; %bb.159:
	s_or_b64 exec, exec, s[0:1]
	s_waitcnt lgkmcnt(0)
	s_barrier
	s_and_saveexec_b64 s[0:1], s[38:39]
	s_cbranch_execz .LBB104_161
; %bb.160:
	v_mov_b32_e32 v21, 0
	ds_read_b32 v21, v21 offset:2604
	ds_read_b32 v22, v3
	s_waitcnt lgkmcnt(0)
	v_fmac_f32_e32 v20, v21, v22
.LBB104_161:
	s_or_b64 exec, exec, s[0:1]
	s_barrier
	s_and_saveexec_b64 s[0:1], s[38:39]
; %bb.162:
	ds_write_b32 v3, v20
; %bb.163:
	s_or_b64 exec, exec, s[0:1]
	s_waitcnt lgkmcnt(0)
	s_barrier
	s_barrier
	s_and_saveexec_b64 s[0:1], s[2:3]
; %bb.164:
	v_xor_b32_e32 v20, 0x80000000, v20
	ds_write_b32 v2, v20 offset:2088
; %bb.165:
	s_or_b64 exec, exec, s[0:1]
	s_waitcnt lgkmcnt(0)
	s_barrier
	s_barrier
	s_and_saveexec_b64 s[0:1], s[42:43]
	s_cbranch_execz .LBB104_167
; %bb.166:
	v_lshlrev_b32_e32 v20, 2, v0
	s_movk_i32 s10, 0xfc
	v_mad_u32_u24 v21, v0, s10, v20
	ds_read_b32 v22, v21 offset:2088
	s_waitcnt lgkmcnt(0)
	ds_write_b32 v20, v22 offset:2592
	ds_read_b32 v21, v21 offset:2092
	s_waitcnt lgkmcnt(0)
	ds_write_b32 v20, v21 offset:2848
.LBB104_167:
	s_or_b64 exec, exec, s[0:1]
	s_waitcnt lgkmcnt(0)
	s_barrier
	s_and_saveexec_b64 s[0:1], vcc
	s_cbranch_execz .LBB104_169
; %bb.168:
	v_mov_b32_e32 v22, 0
	ds_read_b32 v20, v22 offset:2604
	v_mov_b32_e32 v21, 1.0
	ds_write_b32 v22, v21 offset:2600
	s_waitcnt lgkmcnt(1)
	ds_write_b64 v22, v[20:21] offset:2856
.LBB104_169:
	s_or_b64 exec, exec, s[0:1]
	v_mov_b32_e32 v20, 0
	s_waitcnt lgkmcnt(0)
	s_barrier
	s_and_saveexec_b64 s[0:1], s[18:19]
	s_cbranch_execz .LBB104_175
; %bb.170:
	v_mul_u32_u24_e32 v21, 0x104, v14
	ds_read_b32 v20, v10 offset:2096
	ds_read_b32 v22, v21 offset:2080
	v_cmp_gt_u32_e64 s[10:11], 12, v4
	s_waitcnt lgkmcnt(0)
	v_fma_f32 v20, v20, v22, 0
	s_and_saveexec_b64 s[14:15], s[10:11]
	s_cbranch_execnz .LBB104_1178
; %bb.171:
	s_or_b64 exec, exec, s[14:15]
	v_cmp_gt_u32_e64 s[10:11], 8, v4
	s_and_saveexec_b64 s[14:15], s[10:11]
	s_cbranch_execnz .LBB104_1179
.LBB104_172:
	s_or_b64 exec, exec, s[14:15]
	v_cmp_gt_u32_e64 s[10:11], 4, v4
	s_and_saveexec_b64 s[14:15], s[10:11]
	s_cbranch_execz .LBB104_174
.LBB104_173:
	v_lshlrev_b32_e32 v21, 2, v0
	v_mov_b32_e32 v22, 0
	ds_read_b32 v21, v21 offset:2864
	ds_read_b32 v22, v22 offset:2092
	s_waitcnt lgkmcnt(0)
	v_fmac_f32_e32 v20, v21, v22
.LBB104_174:
	s_or_b64 exec, exec, s[14:15]
	v_xor_b32_e32 v20, 0x80000000, v20
.LBB104_175:
	s_or_b64 exec, exec, s[0:1]
	s_and_saveexec_b64 s[0:1], s[46:47]
; %bb.176:
	ds_write_b32 v12, v20
; %bb.177:
	s_or_b64 exec, exec, s[0:1]
	s_waitcnt lgkmcnt(0)
	s_barrier
	s_and_saveexec_b64 s[0:1], s[48:49]
	s_cbranch_execz .LBB104_179
; %bb.178:
	ds_read_b32 v21, v11 offset:3120
	ds_read_b32 v22, v12
	s_waitcnt lgkmcnt(0)
	v_fmac_f32_e32 v20, v21, v22
.LBB104_179:
	s_or_b64 exec, exec, s[0:1]
	s_barrier
	s_and_saveexec_b64 s[0:1], s[50:51]
; %bb.180:
	ds_write_b32 v12, v20
; %bb.181:
	s_or_b64 exec, exec, s[0:1]
	s_waitcnt lgkmcnt(0)
	s_barrier
	s_and_saveexec_b64 s[0:1], s[52:53]
	s_cbranch_execz .LBB104_183
; %bb.182:
	ds_read_b32 v21, v11 offset:3376
	ds_read_b32 v22, v12
	s_waitcnt lgkmcnt(0)
	v_fmac_f32_e32 v20, v21, v22
.LBB104_183:
	s_or_b64 exec, exec, s[0:1]
	s_barrier
	s_and_saveexec_b64 s[0:1], s[54:55]
; %bb.184:
	ds_write_b32 v12, v20
; %bb.185:
	s_or_b64 exec, exec, s[0:1]
	s_waitcnt lgkmcnt(0)
	s_barrier
	s_and_saveexec_b64 s[0:1], s[44:45]
	s_cbranch_execz .LBB104_187
; %bb.186:
	v_mov_b32_e32 v21, 0
	ds_read_b32 v21, v21 offset:3644
	ds_read_b32 v22, v12
	s_waitcnt lgkmcnt(0)
	v_fmac_f32_e32 v20, v21, v22
.LBB104_187:
	s_or_b64 exec, exec, s[0:1]
	s_barrier
	s_and_saveexec_b64 s[0:1], s[44:45]
; %bb.188:
	ds_write_b32 v12, v20
; %bb.189:
	s_or_b64 exec, exec, s[0:1]
	s_waitcnt lgkmcnt(0)
	s_barrier
	s_barrier
	s_and_saveexec_b64 s[0:1], s[18:19]
; %bb.190:
	v_xor_b32_e32 v20, 0x80000000, v20
	ds_write_b32 v10, v20 offset:2096
; %bb.191:
	s_or_b64 exec, exec, s[0:1]
	s_waitcnt lgkmcnt(0)
	s_barrier
	s_barrier
	s_and_saveexec_b64 s[0:1], s[56:57]
	s_cbranch_execz .LBB104_193
; %bb.192:
	v_lshlrev_b32_e32 v20, 8, v0
	ds_read_b32 v21, v20 offset:2096
	s_movk_i32 s10, 0xff04
	v_mad_i32_i24 v22, v0, s10, v20
	s_waitcnt lgkmcnt(0)
	ds_write_b32 v22, v21 offset:3104
	ds_read_b32 v21, v20 offset:2100
	s_waitcnt lgkmcnt(0)
	ds_write_b32 v22, v21 offset:3360
	ds_read_b32 v21, v20 offset:2104
	;; [unrolled: 3-line block ×3, first 2 shown]
	s_waitcnt lgkmcnt(0)
	ds_write_b32 v22, v20 offset:3872
.LBB104_193:
	s_or_b64 exec, exec, s[0:1]
	s_waitcnt lgkmcnt(0)
	s_barrier
	s_and_saveexec_b64 s[0:1], vcc
	s_cbranch_execz .LBB104_195
; %bb.194:
	v_mov_b32_e32 v22, 0
	ds_read_b32 v20, v22 offset:3124
	v_mov_b32_e32 v21, 1.0
	ds_write_b32 v22, v21 offset:3120
	s_waitcnt lgkmcnt(1)
	ds_write_b64 v22, v[20:21] offset:3376
.LBB104_195:
	s_or_b64 exec, exec, s[0:1]
	v_mov_b32_e32 v20, 0
	s_waitcnt lgkmcnt(0)
	s_barrier
	s_and_saveexec_b64 s[0:1], s[2:3]
	s_cbranch_execz .LBB104_199
; %bb.196:
	v_mul_u32_u24_e32 v20, 0x104, v5
	ds_read_b32 v22, v2 offset:3128
	ds_read_b32 v20, v20 offset:3120
	v_mov_b32_e32 v21, 0
	v_cmp_gt_u32_e64 s[10:11], 2, v4
	s_waitcnt lgkmcnt(0)
	v_fma_f32 v20, v22, v20, 0
	s_and_saveexec_b64 s[14:15], s[10:11]
	s_cbranch_execz .LBB104_198
; %bb.197:
	v_lshlrev_b32_e32 v22, 2, v0
	ds_read_b32 v22, v22 offset:3384
	ds_read_b32 v21, v21 offset:3124
	s_waitcnt lgkmcnt(0)
	v_fmac_f32_e32 v20, v22, v21
.LBB104_198:
	s_or_b64 exec, exec, s[14:15]
	v_xor_b32_e32 v20, 0x80000000, v20
.LBB104_199:
	s_or_b64 exec, exec, s[0:1]
	s_and_saveexec_b64 s[0:1], s[40:41]
; %bb.200:
	ds_write_b32 v3, v20
; %bb.201:
	s_or_b64 exec, exec, s[0:1]
	s_waitcnt lgkmcnt(0)
	s_barrier
	s_and_saveexec_b64 s[0:1], s[38:39]
	s_cbranch_execz .LBB104_203
; %bb.202:
	v_mov_b32_e32 v21, 0
	ds_read_b32 v21, v21 offset:3644
	ds_read_b32 v22, v3
	s_waitcnt lgkmcnt(0)
	v_fmac_f32_e32 v20, v21, v22
.LBB104_203:
	s_or_b64 exec, exec, s[0:1]
	s_barrier
	s_and_saveexec_b64 s[0:1], s[38:39]
; %bb.204:
	ds_write_b32 v3, v20
; %bb.205:
	s_or_b64 exec, exec, s[0:1]
	s_waitcnt lgkmcnt(0)
	s_barrier
	s_barrier
	s_and_saveexec_b64 s[0:1], s[2:3]
; %bb.206:
	v_xor_b32_e32 v20, 0x80000000, v20
	ds_write_b32 v2, v20 offset:3128
; %bb.207:
	s_or_b64 exec, exec, s[0:1]
	s_waitcnt lgkmcnt(0)
	s_barrier
	s_barrier
	s_and_saveexec_b64 s[0:1], s[42:43]
	s_cbranch_execz .LBB104_209
; %bb.208:
	v_lshlrev_b32_e32 v20, 2, v0
	s_movk_i32 s10, 0xfc
	v_mad_u32_u24 v21, v0, s10, v20
	ds_read_b32 v22, v21 offset:3128
	s_waitcnt lgkmcnt(0)
	ds_write_b32 v20, v22 offset:3632
	ds_read_b32 v21, v21 offset:3132
	s_waitcnt lgkmcnt(0)
	ds_write_b32 v20, v21 offset:3888
.LBB104_209:
	s_or_b64 exec, exec, s[0:1]
	s_waitcnt lgkmcnt(0)
	s_barrier
	s_and_saveexec_b64 s[0:1], vcc
	s_cbranch_execz .LBB104_211
; %bb.210:
	v_mov_b32_e32 v22, 0
	ds_read_b32 v20, v22 offset:3644
	v_mov_b32_e32 v21, 1.0
	ds_write_b32 v22, v21 offset:3640
	s_waitcnt lgkmcnt(1)
	ds_write_b64 v22, v[20:21] offset:3896
.LBB104_211:
	s_or_b64 exec, exec, s[0:1]
	v_lshrrev_b32_e32 v24, 4, v4
	v_and_b32_e32 v21, 15, v0
	s_movk_i32 s0, 0xff
	v_lshlrev_b32_e32 v23, 6, v24
	v_cmp_lt_u32_e64 s[14:15], s0, v4
	s_movk_i32 s0, 0x100
	v_or_b32_e32 v20, v23, v21
	v_cmp_gt_u32_e64 s[10:11], s0, v4
	v_lshlrev_b32_e32 v20, 2, v20
	v_mov_b32_e32 v25, 0
	s_waitcnt lgkmcnt(0)
	s_barrier
	s_and_saveexec_b64 s[0:1], s[10:11]
	s_cbranch_execz .LBB104_239
; %bb.212:
	v_mul_u32_u24_e32 v25, 0x104, v24
	ds_read_b32 v22, v20 offset:64
	ds_read_b32 v26, v25
	s_movk_i32 s16, 0xf0
	v_cmp_gt_u32_e64 s[16:17], s16, v4
	s_waitcnt lgkmcnt(0)
	v_fma_f32 v22, v22, v26, 0
	s_and_saveexec_b64 s[20:21], s[16:17]
	s_cbranch_execz .LBB104_214
; %bb.213:
	v_lshlrev_b32_e32 v26, 2, v24
	v_sub_u32_e32 v26, v25, v26
	v_lshl_add_u32 v26, v21, 2, v26
	ds_read_b32 v26, v26 offset:320
	ds_read_b32 v27, v25 offset:4
	s_waitcnt lgkmcnt(0)
	v_fmac_f32_e32 v22, v26, v27
.LBB104_214:
	s_or_b64 exec, exec, s[20:21]
	s_movk_i32 s16, 0xe0
	v_cmp_gt_u32_e64 s[16:17], s16, v4
	s_and_saveexec_b64 s[20:21], s[16:17]
	s_cbranch_execz .LBB104_216
; %bb.215:
	v_lshlrev_b32_e32 v26, 2, v24
	v_sub_u32_e32 v26, v25, v26
	v_lshl_add_u32 v26, v21, 2, v26
	ds_read_b32 v26, v26 offset:576
	ds_read_b32 v27, v25 offset:8
	s_waitcnt lgkmcnt(0)
	v_fmac_f32_e32 v22, v26, v27
.LBB104_216:
	s_or_b64 exec, exec, s[20:21]
	s_movk_i32 s16, 0xd0
	v_cmp_gt_u32_e64 s[16:17], s16, v4
	;; [unrolled: 14-line block ×7, first 2 shown]
	s_and_saveexec_b64 s[20:21], s[16:17]
	s_cbranch_execz .LBB104_228
; %bb.227:
	ds_read_b32 v26, v20 offset:2112
	ds_read_b32 v27, v25 offset:32
	s_waitcnt lgkmcnt(0)
	v_fmac_f32_e32 v22, v26, v27
.LBB104_228:
	s_or_b64 exec, exec, s[20:21]
	s_movk_i32 s16, 0x70
	v_cmp_gt_u32_e64 s[16:17], s16, v4
	s_and_saveexec_b64 s[20:21], s[16:17]
	s_cbranch_execz .LBB104_230
; %bb.229:
	v_lshlrev_b32_e32 v26, 2, v24
	v_sub_u32_e32 v26, v25, v26
	v_lshl_add_u32 v26, v21, 2, v26
	ds_read_b32 v26, v26 offset:2368
	ds_read_b32 v27, v25 offset:36
	s_waitcnt lgkmcnt(0)
	v_fmac_f32_e32 v22, v26, v27
.LBB104_230:
	s_or_b64 exec, exec, s[20:21]
	s_movk_i32 s16, 0x60
	v_cmp_gt_u32_e64 s[16:17], s16, v4
	s_and_saveexec_b64 s[20:21], s[16:17]
	s_cbranch_execz .LBB104_232
; %bb.231:
	v_lshlrev_b32_e32 v26, 2, v21
	v_lshl_add_u32 v26, v23, 2, v26
	ds_read_b32 v26, v26 offset:2624
	ds_read_b32 v27, v25 offset:40
	s_waitcnt lgkmcnt(0)
	v_fmac_f32_e32 v22, v26, v27
.LBB104_232:
	s_or_b64 exec, exec, s[20:21]
	s_movk_i32 s16, 0x50
	v_cmp_gt_u32_e64 s[16:17], s16, v4
	s_and_saveexec_b64 s[20:21], s[16:17]
	s_cbranch_execnz .LBB104_1180
; %bb.233:
	s_or_b64 exec, exec, s[20:21]
	v_cmp_gt_u32_e64 s[16:17], 64, v4
	s_and_saveexec_b64 s[20:21], s[16:17]
	s_cbranch_execnz .LBB104_1181
.LBB104_234:
	s_or_b64 exec, exec, s[20:21]
	v_cmp_gt_u32_e64 s[16:17], 48, v4
	s_and_saveexec_b64 s[20:21], s[16:17]
	s_cbranch_execnz .LBB104_1182
.LBB104_235:
	s_or_b64 exec, exec, s[20:21]
	v_cmp_gt_u32_e64 s[16:17], 32, v4
	s_and_saveexec_b64 s[20:21], s[16:17]
	s_cbranch_execnz .LBB104_1183
.LBB104_236:
	s_or_b64 exec, exec, s[20:21]
	v_cmp_gt_u32_e64 s[16:17], 16, v4
	s_and_saveexec_b64 s[20:21], s[16:17]
	s_cbranch_execz .LBB104_238
.LBB104_237:
	v_lshlrev_b32_e32 v25, 2, v0
	v_mov_b32_e32 v26, 0
	ds_read_b32 v25, v25 offset:3904
	ds_read_b32 v26, v26 offset:60
	s_waitcnt lgkmcnt(0)
	v_fmac_f32_e32 v22, v25, v26
.LBB104_238:
	s_or_b64 exec, exec, s[20:21]
	v_xor_b32_e32 v25, 0x80000000, v22
.LBB104_239:
	s_or_b64 exec, exec, s[0:1]
	v_mov_b32_e32 v22, 0x4000
	v_lshl_add_u32 v22, v24, 2, v22
	v_cmp_eq_u32_e64 s[16:17], 0, v21
	s_xor_b64 s[20:21], s[14:15], -1
	s_and_b64 s[14:15], s[16:17], s[20:21]
	s_mov_b64 s[0:1], exec
	v_writelane_b32 v33, s14, 3
	v_writelane_b32 v33, s15, 4
	s_and_b64 s[14:15], s[0:1], s[14:15]
	s_mov_b64 exec, s[14:15]
; %bb.240:
	ds_write_b32 v22, v25
; %bb.241:
	s_or_b64 exec, exec, s[0:1]
	v_cmp_ne_u32_e64 s[14:15], 0, v21
	s_waitcnt lgkmcnt(0)
	s_barrier
	s_and_b64 s[14:15], s[14:15], s[20:21]
	s_mov_b64 s[0:1], exec
	v_writelane_b32 v33, s14, 5
	v_writelane_b32 v33, s15, 6
	s_and_b64 s[14:15], s[0:1], s[14:15]
	s_mov_b64 exec, s[14:15]
	s_cbranch_execz .LBB104_243
; %bb.242:
	v_lshlrev_b32_e32 v26, 2, v21
	ds_read_b32 v26, v26 offset:4160
	ds_read_b32 v27, v22
	s_waitcnt lgkmcnt(0)
	v_fmac_f32_e32 v25, v26, v27
.LBB104_243:
	s_or_b64 exec, exec, s[0:1]
	v_cmp_eq_u32_e64 s[14:15], 1, v21
	s_barrier
	s_and_b64 s[14:15], s[14:15], s[20:21]
	s_mov_b64 s[0:1], exec
	v_writelane_b32 v33, s14, 7
	v_writelane_b32 v33, s15, 8
	s_and_b64 s[14:15], s[0:1], s[14:15]
	s_mov_b64 exec, s[14:15]
; %bb.244:
	ds_write_b32 v22, v25
; %bb.245:
	s_or_b64 exec, exec, s[0:1]
	v_cmp_lt_u32_e64 s[14:15], 1, v21
	s_waitcnt lgkmcnt(0)
	s_barrier
	s_and_b64 s[14:15], s[14:15], s[20:21]
	s_mov_b64 s[0:1], exec
	v_writelane_b32 v33, s14, 9
	v_writelane_b32 v33, s15, 10
	s_and_b64 s[14:15], s[0:1], s[14:15]
	s_mov_b64 exec, s[14:15]
	s_cbranch_execz .LBB104_247
; %bb.246:
	v_lshlrev_b32_e32 v26, 2, v21
	ds_read_b32 v26, v26 offset:4416
	ds_read_b32 v27, v22
	s_waitcnt lgkmcnt(0)
	v_fmac_f32_e32 v25, v26, v27
.LBB104_247:
	s_or_b64 exec, exec, s[0:1]
	v_cmp_eq_u32_e64 s[14:15], 2, v21
	s_barrier
	s_and_b64 s[14:15], s[14:15], s[20:21]
	s_mov_b64 s[0:1], exec
	v_writelane_b32 v33, s14, 11
	v_writelane_b32 v33, s15, 12
	s_and_b64 s[14:15], s[0:1], s[14:15]
	s_mov_b64 exec, s[14:15]
; %bb.248:
	ds_write_b32 v22, v25
; %bb.249:
	s_or_b64 exec, exec, s[0:1]
	v_cmp_lt_u32_e64 s[14:15], 2, v21
	;; [unrolled: 30-line block ×13, first 2 shown]
	s_waitcnt lgkmcnt(0)
	s_barrier
	s_and_b64 s[14:15], s[14:15], s[20:21]
	s_mov_b64 s[0:1], exec
	v_writelane_b32 v33, s14, 57
	v_writelane_b32 v33, s15, 58
	s_and_b64 s[14:15], s[0:1], s[14:15]
	s_mov_b64 exec, s[14:15]
	s_cbranch_execz .LBB104_295
; %bb.294:
	v_lshlrev_b32_e32 v26, 2, v21
	ds_read_b32 v26, v26 offset:7488
	ds_read_b32 v27, v22
	s_waitcnt lgkmcnt(0)
	v_fmac_f32_e32 v25, v26, v27
.LBB104_295:
	s_or_b64 exec, exec, s[0:1]
	v_cmp_eq_u32_e64 s[14:15], 14, v21
	s_barrier
	s_and_b64 s[14:15], s[14:15], s[20:21]
	s_mov_b64 s[0:1], exec
	v_writelane_b32 v33, s14, 59
	v_writelane_b32 v33, s15, 60
	s_and_b64 s[14:15], s[0:1], s[14:15]
	s_mov_b64 exec, s[14:15]
; %bb.296:
	ds_write_b32 v22, v25
; %bb.297:
	s_or_b64 exec, exec, s[0:1]
	v_cmp_eq_u32_e64 s[14:15], 15, v21
	s_and_b64 s[88:89], s[14:15], s[20:21]
	s_waitcnt lgkmcnt(0)
	s_barrier
	s_and_saveexec_b64 s[0:1], s[88:89]
	s_cbranch_execz .LBB104_299
; %bb.298:
	v_mov_b32_e32 v26, 0
	ds_read_b32 v26, v26 offset:7804
	ds_read_b32 v27, v22
	s_waitcnt lgkmcnt(0)
	v_fmac_f32_e32 v25, v26, v27
.LBB104_299:
	s_or_b64 exec, exec, s[0:1]
	s_barrier
	s_and_saveexec_b64 s[0:1], s[88:89]
; %bb.300:
	ds_write_b32 v22, v25
; %bb.301:
	s_or_b64 exec, exec, s[0:1]
	s_waitcnt lgkmcnt(0)
	s_barrier
	s_barrier
	s_and_saveexec_b64 s[0:1], s[10:11]
; %bb.302:
	v_xor_b32_e32 v25, 0x80000000, v25
	ds_write_b32 v20, v25 offset:64
; %bb.303:
	s_or_b64 exec, exec, s[0:1]
	v_cmp_gt_u32_e64 s[14:15], 16, v0
	s_waitcnt lgkmcnt(0)
	s_barrier
	s_barrier
	s_and_b64 s[0:1], s[12:13], s[14:15]
	s_mov_b64 s[14:15], exec
	v_writelane_b32 v33, s0, 61
	v_writelane_b32 v33, s1, 62
	s_and_b64 s[0:1], s[14:15], s[0:1]
	s_mov_b64 exec, s[0:1]
	s_cbranch_execz .LBB104_305
; %bb.304:
	v_lshlrev_b32_e32 v25, 8, v0
	ds_read_b32 v26, v25 offset:64
	s_movk_i32 s0, 0xff04
	v_mad_i32_i24 v27, v0, s0, v25
	s_waitcnt lgkmcnt(0)
	ds_write_b32 v27, v26 offset:4096
	ds_read_b32 v26, v25 offset:68
	s_waitcnt lgkmcnt(0)
	ds_write_b32 v27, v26 offset:4352
	ds_read_b32 v26, v25 offset:72
	;; [unrolled: 3-line block ×15, first 2 shown]
	s_waitcnt lgkmcnt(0)
	ds_write_b32 v27, v25 offset:7936
.LBB104_305:
	s_or_b64 exec, exec, s[14:15]
	s_waitcnt lgkmcnt(0)
	s_barrier
	s_and_saveexec_b64 s[14:15], vcc
	s_cbranch_execz .LBB104_307
; %bb.306:
	v_mov_b32_e32 v27, 0
	ds_read_b32 v25, v27 offset:4164
	v_mov_b32_e32 v26, 1.0
	ds_write_b32 v27, v26 offset:4160
	s_waitcnt lgkmcnt(1)
	ds_write_b64 v27, v[25:26] offset:4416
.LBB104_307:
	s_or_b64 exec, exec, s[14:15]
	v_mov_b32_e32 v25, 0
	s_waitcnt lgkmcnt(0)
	s_barrier
	s_and_saveexec_b64 s[16:17], s[2:3]
	s_cbranch_execz .LBB104_311
; %bb.308:
	v_mul_u32_u24_e32 v25, 0x104, v5
	ds_read_b32 v27, v2 offset:4168
	ds_read_b32 v25, v25 offset:4160
	v_mov_b32_e32 v26, 0
	v_cmp_gt_u32_e64 s[14:15], 2, v4
	s_waitcnt lgkmcnt(0)
	v_fma_f32 v25, v27, v25, 0
	s_and_saveexec_b64 s[0:1], s[14:15]
	s_cbranch_execz .LBB104_310
; %bb.309:
	v_lshlrev_b32_e32 v27, 2, v0
	ds_read_b32 v27, v27 offset:4424
	ds_read_b32 v26, v26 offset:4164
	s_waitcnt lgkmcnt(0)
	v_fmac_f32_e32 v25, v27, v26
.LBB104_310:
	s_or_b64 exec, exec, s[0:1]
	v_xor_b32_e32 v25, 0x80000000, v25
.LBB104_311:
	s_or_b64 exec, exec, s[16:17]
	s_and_saveexec_b64 s[0:1], s[40:41]
; %bb.312:
	ds_write_b32 v3, v25
; %bb.313:
	s_or_b64 exec, exec, s[0:1]
	s_waitcnt lgkmcnt(0)
	s_barrier
	s_and_saveexec_b64 s[0:1], s[38:39]
	s_cbranch_execz .LBB104_315
; %bb.314:
	v_mov_b32_e32 v26, 0
	ds_read_b32 v26, v26 offset:4684
	ds_read_b32 v27, v3
	s_waitcnt lgkmcnt(0)
	v_fmac_f32_e32 v25, v26, v27
.LBB104_315:
	s_or_b64 exec, exec, s[0:1]
	s_barrier
	s_and_saveexec_b64 s[0:1], s[38:39]
; %bb.316:
	ds_write_b32 v3, v25
; %bb.317:
	s_or_b64 exec, exec, s[0:1]
	s_waitcnt lgkmcnt(0)
	s_barrier
	s_barrier
	s_and_saveexec_b64 s[0:1], s[2:3]
; %bb.318:
	v_xor_b32_e32 v25, 0x80000000, v25
	ds_write_b32 v2, v25 offset:4168
; %bb.319:
	s_or_b64 exec, exec, s[0:1]
	s_waitcnt lgkmcnt(0)
	s_barrier
	s_barrier
	s_and_saveexec_b64 s[0:1], s[42:43]
	s_cbranch_execz .LBB104_321
; %bb.320:
	v_lshlrev_b32_e32 v25, 2, v0
	s_movk_i32 s14, 0xfc
	v_mad_u32_u24 v26, v0, s14, v25
	ds_read_b32 v27, v26 offset:4168
	s_waitcnt lgkmcnt(0)
	ds_write_b32 v25, v27 offset:4672
	ds_read_b32 v26, v26 offset:4172
	s_waitcnt lgkmcnt(0)
	ds_write_b32 v25, v26 offset:4928
.LBB104_321:
	s_or_b64 exec, exec, s[0:1]
	s_waitcnt lgkmcnt(0)
	s_barrier
	s_and_saveexec_b64 s[14:15], vcc
	s_cbranch_execz .LBB104_323
; %bb.322:
	v_mov_b32_e32 v27, 0
	ds_read_b32 v25, v27 offset:4684
	v_mov_b32_e32 v26, 1.0
	ds_write_b32 v27, v26 offset:4680
	s_waitcnt lgkmcnt(1)
	ds_write_b64 v27, v[25:26] offset:4936
.LBB104_323:
	s_or_b64 exec, exec, s[14:15]
	v_mov_b32_e32 v25, 0
	s_waitcnt lgkmcnt(0)
	s_barrier
	s_and_saveexec_b64 s[16:17], s[18:19]
	s_cbranch_execz .LBB104_329
; %bb.324:
	v_mul_u32_u24_e32 v26, 0x104, v14
	ds_read_b32 v25, v10 offset:4176
	ds_read_b32 v27, v26 offset:4160
	v_cmp_gt_u32_e64 s[14:15], 12, v4
	s_waitcnt lgkmcnt(0)
	v_fma_f32 v25, v25, v27, 0
	s_and_saveexec_b64 s[20:21], s[14:15]
	s_cbranch_execnz .LBB104_1184
; %bb.325:
	s_or_b64 exec, exec, s[20:21]
	v_cmp_gt_u32_e64 s[14:15], 8, v4
	s_and_saveexec_b64 s[0:1], s[14:15]
	s_cbranch_execnz .LBB104_1185
.LBB104_326:
	s_or_b64 exec, exec, s[0:1]
	v_cmp_gt_u32_e64 s[14:15], 4, v4
	s_and_saveexec_b64 s[20:21], s[14:15]
	s_cbranch_execz .LBB104_328
.LBB104_327:
	v_lshlrev_b32_e32 v26, 2, v0
	v_mov_b32_e32 v27, 0
	ds_read_b32 v26, v26 offset:4944
	ds_read_b32 v27, v27 offset:4172
	s_waitcnt lgkmcnt(0)
	v_fmac_f32_e32 v25, v26, v27
.LBB104_328:
	s_or_b64 exec, exec, s[20:21]
	v_xor_b32_e32 v25, 0x80000000, v25
.LBB104_329:
	s_or_b64 exec, exec, s[16:17]
	s_and_saveexec_b64 s[0:1], s[46:47]
; %bb.330:
	ds_write_b32 v12, v25
; %bb.331:
	s_or_b64 exec, exec, s[0:1]
	s_waitcnt lgkmcnt(0)
	s_barrier
	s_and_saveexec_b64 s[0:1], s[48:49]
	s_cbranch_execz .LBB104_333
; %bb.332:
	ds_read_b32 v26, v11 offset:5200
	ds_read_b32 v27, v12
	s_waitcnt lgkmcnt(0)
	v_fmac_f32_e32 v25, v26, v27
.LBB104_333:
	s_or_b64 exec, exec, s[0:1]
	s_barrier
	s_and_saveexec_b64 s[0:1], s[50:51]
; %bb.334:
	ds_write_b32 v12, v25
; %bb.335:
	s_or_b64 exec, exec, s[0:1]
	s_waitcnt lgkmcnt(0)
	s_barrier
	s_and_saveexec_b64 s[0:1], s[52:53]
	s_cbranch_execz .LBB104_337
; %bb.336:
	ds_read_b32 v26, v11 offset:5456
	ds_read_b32 v27, v12
	s_waitcnt lgkmcnt(0)
	v_fmac_f32_e32 v25, v26, v27
.LBB104_337:
	s_or_b64 exec, exec, s[0:1]
	s_barrier
	s_and_saveexec_b64 s[0:1], s[54:55]
; %bb.338:
	ds_write_b32 v12, v25
; %bb.339:
	s_or_b64 exec, exec, s[0:1]
	s_waitcnt lgkmcnt(0)
	s_barrier
	s_and_saveexec_b64 s[0:1], s[44:45]
	s_cbranch_execz .LBB104_341
; %bb.340:
	v_mov_b32_e32 v26, 0
	ds_read_b32 v26, v26 offset:5724
	ds_read_b32 v27, v12
	s_waitcnt lgkmcnt(0)
	v_fmac_f32_e32 v25, v26, v27
.LBB104_341:
	s_or_b64 exec, exec, s[0:1]
	s_barrier
	s_and_saveexec_b64 s[0:1], s[44:45]
; %bb.342:
	ds_write_b32 v12, v25
; %bb.343:
	s_or_b64 exec, exec, s[0:1]
	s_waitcnt lgkmcnt(0)
	s_barrier
	s_barrier
	s_and_saveexec_b64 s[0:1], s[18:19]
; %bb.344:
	v_xor_b32_e32 v25, 0x80000000, v25
	ds_write_b32 v10, v25 offset:4176
; %bb.345:
	s_or_b64 exec, exec, s[0:1]
	s_waitcnt lgkmcnt(0)
	s_barrier
	s_barrier
	s_and_saveexec_b64 s[14:15], s[56:57]
	s_cbranch_execz .LBB104_347
; %bb.346:
	v_lshlrev_b32_e32 v25, 8, v0
	ds_read_b32 v26, v25 offset:4176
	s_movk_i32 s0, 0xff04
	v_mad_i32_i24 v27, v0, s0, v25
	s_waitcnt lgkmcnt(0)
	ds_write_b32 v27, v26 offset:5184
	ds_read_b32 v26, v25 offset:4180
	s_waitcnt lgkmcnt(0)
	ds_write_b32 v27, v26 offset:5440
	ds_read_b32 v26, v25 offset:4184
	;; [unrolled: 3-line block ×3, first 2 shown]
	s_waitcnt lgkmcnt(0)
	ds_write_b32 v27, v25 offset:5952
.LBB104_347:
	s_or_b64 exec, exec, s[14:15]
	s_waitcnt lgkmcnt(0)
	s_barrier
	s_and_saveexec_b64 s[14:15], vcc
	s_cbranch_execz .LBB104_349
; %bb.348:
	v_mov_b32_e32 v27, 0
	ds_read_b32 v25, v27 offset:5204
	v_mov_b32_e32 v26, 1.0
	ds_write_b32 v27, v26 offset:5200
	s_waitcnt lgkmcnt(1)
	ds_write_b64 v27, v[25:26] offset:5456
.LBB104_349:
	s_or_b64 exec, exec, s[14:15]
	v_mov_b32_e32 v25, 0
	s_waitcnt lgkmcnt(0)
	s_barrier
	s_and_saveexec_b64 s[16:17], s[2:3]
	s_cbranch_execz .LBB104_353
; %bb.350:
	v_mul_u32_u24_e32 v25, 0x104, v5
	ds_read_b32 v27, v2 offset:5208
	ds_read_b32 v25, v25 offset:5200
	v_mov_b32_e32 v26, 0
	v_cmp_gt_u32_e64 s[14:15], 2, v4
	s_waitcnt lgkmcnt(0)
	v_fma_f32 v25, v27, v25, 0
	s_and_saveexec_b64 s[0:1], s[14:15]
	s_cbranch_execz .LBB104_352
; %bb.351:
	v_lshlrev_b32_e32 v27, 2, v0
	ds_read_b32 v27, v27 offset:5464
	ds_read_b32 v26, v26 offset:5204
	s_waitcnt lgkmcnt(0)
	v_fmac_f32_e32 v25, v27, v26
.LBB104_352:
	s_or_b64 exec, exec, s[0:1]
	v_xor_b32_e32 v25, 0x80000000, v25
.LBB104_353:
	s_or_b64 exec, exec, s[16:17]
	s_and_saveexec_b64 s[0:1], s[40:41]
; %bb.354:
	ds_write_b32 v3, v25
; %bb.355:
	s_or_b64 exec, exec, s[0:1]
	s_waitcnt lgkmcnt(0)
	s_barrier
	s_and_saveexec_b64 s[0:1], s[38:39]
	s_cbranch_execz .LBB104_357
; %bb.356:
	v_mov_b32_e32 v26, 0
	ds_read_b32 v26, v26 offset:5724
	ds_read_b32 v27, v3
	s_waitcnt lgkmcnt(0)
	v_fmac_f32_e32 v25, v26, v27
.LBB104_357:
	s_or_b64 exec, exec, s[0:1]
	s_barrier
	s_and_saveexec_b64 s[0:1], s[38:39]
; %bb.358:
	ds_write_b32 v3, v25
; %bb.359:
	s_or_b64 exec, exec, s[0:1]
	s_waitcnt lgkmcnt(0)
	s_barrier
	s_barrier
	s_and_saveexec_b64 s[0:1], s[2:3]
; %bb.360:
	v_xor_b32_e32 v25, 0x80000000, v25
	ds_write_b32 v2, v25 offset:5208
; %bb.361:
	s_or_b64 exec, exec, s[0:1]
	s_waitcnt lgkmcnt(0)
	s_barrier
	s_barrier
	s_and_saveexec_b64 s[0:1], s[42:43]
	s_cbranch_execz .LBB104_363
; %bb.362:
	v_lshlrev_b32_e32 v25, 2, v0
	s_movk_i32 s14, 0xfc
	v_mad_u32_u24 v26, v0, s14, v25
	ds_read_b32 v27, v26 offset:5208
	s_waitcnt lgkmcnt(0)
	ds_write_b32 v25, v27 offset:5712
	ds_read_b32 v26, v26 offset:5212
	s_waitcnt lgkmcnt(0)
	ds_write_b32 v25, v26 offset:5968
.LBB104_363:
	s_or_b64 exec, exec, s[0:1]
	s_waitcnt lgkmcnt(0)
	s_barrier
	s_and_saveexec_b64 s[14:15], vcc
	s_cbranch_execz .LBB104_365
; %bb.364:
	v_mov_b32_e32 v27, 0
	ds_read_b32 v25, v27 offset:5724
	v_mov_b32_e32 v26, 1.0
	ds_write_b32 v27, v26 offset:5720
	s_waitcnt lgkmcnt(1)
	ds_write_b64 v27, v[25:26] offset:5976
.LBB104_365:
	s_or_b64 exec, exec, s[14:15]
	v_mov_b32_e32 v25, 0
	s_waitcnt lgkmcnt(0)
	s_barrier
	s_and_saveexec_b64 s[16:17], s[8:9]
	s_cbranch_execz .LBB104_375
; %bb.366:
	v_mul_u32_u24_e32 v26, 0x104, v19
	ds_read_b32 v25, v15 offset:4192
	ds_read_b32 v27, v26 offset:4160
	v_cmp_gt_u32_e64 s[14:15], 56, v4
	s_waitcnt lgkmcnt(0)
	v_fma_f32 v25, v25, v27, 0
	s_and_saveexec_b64 s[20:21], s[14:15]
	s_cbranch_execnz .LBB104_1186
; %bb.367:
	s_or_b64 exec, exec, s[20:21]
	v_cmp_gt_u32_e64 s[14:15], 48, v4
	s_and_saveexec_b64 s[20:21], s[14:15]
	s_cbranch_execnz .LBB104_1187
.LBB104_368:
	s_or_b64 exec, exec, s[20:21]
	v_cmp_gt_u32_e64 s[14:15], 40, v4
	s_and_saveexec_b64 s[20:21], s[14:15]
	s_cbranch_execnz .LBB104_1188
.LBB104_369:
	s_or_b64 exec, exec, s[20:21]
	v_cmp_gt_u32_e64 s[14:15], 32, v4
	s_and_saveexec_b64 s[0:1], s[14:15]
	s_cbranch_execnz .LBB104_1189
.LBB104_370:
	s_or_b64 exec, exec, s[0:1]
	v_cmp_gt_u32_e64 s[14:15], 24, v4
	s_and_saveexec_b64 s[20:21], s[14:15]
	s_cbranch_execnz .LBB104_1190
.LBB104_371:
	s_or_b64 exec, exec, s[20:21]
	v_cmp_gt_u32_e64 s[14:15], 16, v4
	s_and_saveexec_b64 s[0:1], s[14:15]
	s_cbranch_execnz .LBB104_1191
.LBB104_372:
	s_or_b64 exec, exec, s[0:1]
	v_cmp_gt_u32_e64 s[14:15], 8, v4
	s_and_saveexec_b64 s[20:21], s[14:15]
	s_cbranch_execz .LBB104_374
.LBB104_373:
	v_lshlrev_b32_e32 v26, 2, v0
	v_mov_b32_e32 v27, 0
	ds_read_b32 v26, v26 offset:5984
	ds_read_b32 v27, v27 offset:4188
	s_waitcnt lgkmcnt(0)
	v_fmac_f32_e32 v25, v26, v27
.LBB104_374:
	s_or_b64 exec, exec, s[20:21]
	v_xor_b32_e32 v25, 0x80000000, v25
.LBB104_375:
	s_or_b64 exec, exec, s[16:17]
	s_and_saveexec_b64 s[0:1], s[58:59]
; %bb.376:
	ds_write_b32 v17, v25
; %bb.377:
	s_or_b64 exec, exec, s[0:1]
	s_waitcnt lgkmcnt(0)
	s_barrier
	s_and_saveexec_b64 s[0:1], s[60:61]
	s_cbranch_execz .LBB104_379
; %bb.378:
	ds_read_b32 v26, v16 offset:6240
	ds_read_b32 v27, v17
	s_waitcnt lgkmcnt(0)
	v_fmac_f32_e32 v25, v26, v27
.LBB104_379:
	s_or_b64 exec, exec, s[0:1]
	s_barrier
	s_and_saveexec_b64 s[0:1], s[62:63]
; %bb.380:
	ds_write_b32 v17, v25
; %bb.381:
	s_or_b64 exec, exec, s[0:1]
	s_waitcnt lgkmcnt(0)
	s_barrier
	s_and_saveexec_b64 s[0:1], s[64:65]
	s_cbranch_execz .LBB104_383
; %bb.382:
	ds_read_b32 v26, v16 offset:6496
	ds_read_b32 v27, v17
	s_waitcnt lgkmcnt(0)
	v_fmac_f32_e32 v25, v26, v27
.LBB104_383:
	s_or_b64 exec, exec, s[0:1]
	s_barrier
	;; [unrolled: 17-line block ×6, first 2 shown]
	s_and_saveexec_b64 s[0:1], s[84:85]
; %bb.400:
	ds_write_b32 v17, v25
; %bb.401:
	s_or_b64 exec, exec, s[0:1]
	s_waitcnt lgkmcnt(0)
	s_barrier
	s_and_saveexec_b64 s[0:1], s[66:67]
	s_cbranch_execz .LBB104_403
; %bb.402:
	v_mov_b32_e32 v26, 0
	ds_read_b32 v26, v26 offset:7804
	ds_read_b32 v27, v17
	s_waitcnt lgkmcnt(0)
	v_fmac_f32_e32 v25, v26, v27
.LBB104_403:
	s_or_b64 exec, exec, s[0:1]
	s_barrier
	s_and_saveexec_b64 s[0:1], s[66:67]
; %bb.404:
	ds_write_b32 v17, v25
; %bb.405:
	s_or_b64 exec, exec, s[0:1]
	s_waitcnt lgkmcnt(0)
	s_barrier
	s_barrier
	s_and_saveexec_b64 s[0:1], s[8:9]
; %bb.406:
	v_xor_b32_e32 v25, 0x80000000, v25
	ds_write_b32 v15, v25 offset:4192
; %bb.407:
	s_or_b64 exec, exec, s[0:1]
	s_waitcnt lgkmcnt(0)
	s_barrier
	s_barrier
	s_and_saveexec_b64 s[14:15], s[86:87]
	s_cbranch_execz .LBB104_409
; %bb.408:
	v_lshlrev_b32_e32 v25, 8, v0
	ds_read_b32 v26, v25 offset:4192
	s_movk_i32 s0, 0xff04
	v_mad_i32_i24 v27, v0, s0, v25
	s_waitcnt lgkmcnt(0)
	ds_write_b32 v27, v26 offset:6208
	ds_read_b32 v26, v25 offset:4196
	s_waitcnt lgkmcnt(0)
	ds_write_b32 v27, v26 offset:6464
	ds_read_b32 v26, v25 offset:4200
	;; [unrolled: 3-line block ×7, first 2 shown]
	s_waitcnt lgkmcnt(0)
	ds_write_b32 v27, v25 offset:8000
.LBB104_409:
	s_or_b64 exec, exec, s[14:15]
	s_waitcnt lgkmcnt(0)
	s_barrier
	s_and_saveexec_b64 s[14:15], vcc
	s_cbranch_execz .LBB104_411
; %bb.410:
	v_mov_b32_e32 v27, 0
	ds_read_b32 v25, v27 offset:6244
	v_mov_b32_e32 v26, 1.0
	ds_write_b32 v27, v26 offset:6240
	s_waitcnt lgkmcnt(1)
	ds_write_b64 v27, v[25:26] offset:6496
.LBB104_411:
	s_or_b64 exec, exec, s[14:15]
	v_mov_b32_e32 v25, 0
	s_waitcnt lgkmcnt(0)
	s_barrier
	s_and_saveexec_b64 s[16:17], s[2:3]
	s_cbranch_execz .LBB104_415
; %bb.412:
	v_mul_u32_u24_e32 v25, 0x104, v5
	ds_read_b32 v27, v2 offset:6248
	ds_read_b32 v25, v25 offset:6240
	v_mov_b32_e32 v26, 0
	v_cmp_gt_u32_e64 s[14:15], 2, v4
	s_waitcnt lgkmcnt(0)
	v_fma_f32 v25, v27, v25, 0
	s_and_saveexec_b64 s[0:1], s[14:15]
	s_cbranch_execz .LBB104_414
; %bb.413:
	v_lshlrev_b32_e32 v27, 2, v0
	ds_read_b32 v27, v27 offset:6504
	ds_read_b32 v26, v26 offset:6244
	s_waitcnt lgkmcnt(0)
	v_fmac_f32_e32 v25, v27, v26
.LBB104_414:
	s_or_b64 exec, exec, s[0:1]
	v_xor_b32_e32 v25, 0x80000000, v25
.LBB104_415:
	s_or_b64 exec, exec, s[16:17]
	s_and_saveexec_b64 s[0:1], s[40:41]
; %bb.416:
	ds_write_b32 v3, v25
; %bb.417:
	s_or_b64 exec, exec, s[0:1]
	s_waitcnt lgkmcnt(0)
	s_barrier
	s_and_saveexec_b64 s[0:1], s[38:39]
	s_cbranch_execz .LBB104_419
; %bb.418:
	v_mov_b32_e32 v26, 0
	ds_read_b32 v26, v26 offset:6764
	ds_read_b32 v27, v3
	s_waitcnt lgkmcnt(0)
	v_fmac_f32_e32 v25, v26, v27
.LBB104_419:
	s_or_b64 exec, exec, s[0:1]
	s_barrier
	s_and_saveexec_b64 s[0:1], s[38:39]
; %bb.420:
	ds_write_b32 v3, v25
; %bb.421:
	s_or_b64 exec, exec, s[0:1]
	s_waitcnt lgkmcnt(0)
	s_barrier
	s_barrier
	s_and_saveexec_b64 s[0:1], s[2:3]
; %bb.422:
	v_xor_b32_e32 v25, 0x80000000, v25
	ds_write_b32 v2, v25 offset:6248
; %bb.423:
	s_or_b64 exec, exec, s[0:1]
	s_waitcnt lgkmcnt(0)
	s_barrier
	s_barrier
	s_and_saveexec_b64 s[0:1], s[42:43]
	s_cbranch_execz .LBB104_425
; %bb.424:
	v_lshlrev_b32_e32 v25, 2, v0
	s_movk_i32 s14, 0xfc
	v_mad_u32_u24 v26, v0, s14, v25
	ds_read_b32 v27, v26 offset:6248
	s_waitcnt lgkmcnt(0)
	ds_write_b32 v25, v27 offset:6752
	ds_read_b32 v26, v26 offset:6252
	s_waitcnt lgkmcnt(0)
	ds_write_b32 v25, v26 offset:7008
.LBB104_425:
	s_or_b64 exec, exec, s[0:1]
	s_waitcnt lgkmcnt(0)
	s_barrier
	s_and_saveexec_b64 s[14:15], vcc
	s_cbranch_execz .LBB104_427
; %bb.426:
	v_mov_b32_e32 v27, 0
	ds_read_b32 v25, v27 offset:6764
	v_mov_b32_e32 v26, 1.0
	ds_write_b32 v27, v26 offset:6760
	s_waitcnt lgkmcnt(1)
	ds_write_b64 v27, v[25:26] offset:7016
.LBB104_427:
	s_or_b64 exec, exec, s[14:15]
	v_mov_b32_e32 v25, 0
	s_waitcnt lgkmcnt(0)
	s_barrier
	s_and_saveexec_b64 s[16:17], s[18:19]
	s_cbranch_execz .LBB104_433
; %bb.428:
	v_mul_u32_u24_e32 v26, 0x104, v14
	ds_read_b32 v25, v10 offset:6256
	ds_read_b32 v27, v26 offset:6240
	v_cmp_gt_u32_e64 s[14:15], 12, v4
	s_waitcnt lgkmcnt(0)
	v_fma_f32 v25, v25, v27, 0
	s_and_saveexec_b64 s[20:21], s[14:15]
	s_cbranch_execnz .LBB104_1192
; %bb.429:
	s_or_b64 exec, exec, s[20:21]
	v_cmp_gt_u32_e64 s[14:15], 8, v4
	s_and_saveexec_b64 s[0:1], s[14:15]
	s_cbranch_execnz .LBB104_1193
.LBB104_430:
	s_or_b64 exec, exec, s[0:1]
	v_cmp_gt_u32_e64 s[14:15], 4, v4
	s_and_saveexec_b64 s[20:21], s[14:15]
	s_cbranch_execz .LBB104_432
.LBB104_431:
	v_lshlrev_b32_e32 v26, 2, v0
	v_mov_b32_e32 v27, 0
	ds_read_b32 v26, v26 offset:7024
	ds_read_b32 v27, v27 offset:6252
	s_waitcnt lgkmcnt(0)
	v_fmac_f32_e32 v25, v26, v27
.LBB104_432:
	s_or_b64 exec, exec, s[20:21]
	v_xor_b32_e32 v25, 0x80000000, v25
.LBB104_433:
	s_or_b64 exec, exec, s[16:17]
	s_and_saveexec_b64 s[0:1], s[46:47]
; %bb.434:
	ds_write_b32 v12, v25
; %bb.435:
	s_or_b64 exec, exec, s[0:1]
	s_waitcnt lgkmcnt(0)
	s_barrier
	s_and_saveexec_b64 s[0:1], s[48:49]
	s_cbranch_execz .LBB104_437
; %bb.436:
	ds_read_b32 v26, v11 offset:7280
	ds_read_b32 v27, v12
	s_waitcnt lgkmcnt(0)
	v_fmac_f32_e32 v25, v26, v27
.LBB104_437:
	s_or_b64 exec, exec, s[0:1]
	s_barrier
	s_and_saveexec_b64 s[0:1], s[50:51]
; %bb.438:
	ds_write_b32 v12, v25
; %bb.439:
	s_or_b64 exec, exec, s[0:1]
	s_waitcnt lgkmcnt(0)
	s_barrier
	s_and_saveexec_b64 s[0:1], s[52:53]
	s_cbranch_execz .LBB104_441
; %bb.440:
	ds_read_b32 v26, v11 offset:7536
	ds_read_b32 v27, v12
	s_waitcnt lgkmcnt(0)
	v_fmac_f32_e32 v25, v26, v27
.LBB104_441:
	s_or_b64 exec, exec, s[0:1]
	s_barrier
	s_and_saveexec_b64 s[0:1], s[54:55]
; %bb.442:
	ds_write_b32 v12, v25
; %bb.443:
	s_or_b64 exec, exec, s[0:1]
	s_waitcnt lgkmcnt(0)
	s_barrier
	s_and_saveexec_b64 s[0:1], s[44:45]
	s_cbranch_execz .LBB104_445
; %bb.444:
	v_mov_b32_e32 v26, 0
	ds_read_b32 v26, v26 offset:7804
	ds_read_b32 v27, v12
	s_waitcnt lgkmcnt(0)
	v_fmac_f32_e32 v25, v26, v27
.LBB104_445:
	s_or_b64 exec, exec, s[0:1]
	s_barrier
	s_and_saveexec_b64 s[0:1], s[44:45]
; %bb.446:
	ds_write_b32 v12, v25
; %bb.447:
	s_or_b64 exec, exec, s[0:1]
	s_waitcnt lgkmcnt(0)
	s_barrier
	s_barrier
	s_and_saveexec_b64 s[0:1], s[18:19]
; %bb.448:
	v_xor_b32_e32 v25, 0x80000000, v25
	ds_write_b32 v10, v25 offset:6256
; %bb.449:
	s_or_b64 exec, exec, s[0:1]
	s_waitcnt lgkmcnt(0)
	s_barrier
	s_barrier
	s_and_saveexec_b64 s[14:15], s[56:57]
	s_cbranch_execz .LBB104_451
; %bb.450:
	v_lshlrev_b32_e32 v25, 8, v0
	ds_read_b32 v26, v25 offset:6256
	s_movk_i32 s0, 0xff04
	v_mad_i32_i24 v27, v0, s0, v25
	s_waitcnt lgkmcnt(0)
	ds_write_b32 v27, v26 offset:7264
	ds_read_b32 v26, v25 offset:6260
	s_waitcnt lgkmcnt(0)
	ds_write_b32 v27, v26 offset:7520
	ds_read_b32 v26, v25 offset:6264
	;; [unrolled: 3-line block ×3, first 2 shown]
	s_waitcnt lgkmcnt(0)
	ds_write_b32 v27, v25 offset:8032
.LBB104_451:
	s_or_b64 exec, exec, s[14:15]
	s_waitcnt lgkmcnt(0)
	s_barrier
	s_and_saveexec_b64 s[14:15], vcc
	s_cbranch_execz .LBB104_453
; %bb.452:
	v_mov_b32_e32 v27, 0
	ds_read_b32 v25, v27 offset:7284
	v_mov_b32_e32 v26, 1.0
	ds_write_b32 v27, v26 offset:7280
	s_waitcnt lgkmcnt(1)
	ds_write_b64 v27, v[25:26] offset:7536
.LBB104_453:
	s_or_b64 exec, exec, s[14:15]
	v_mov_b32_e32 v25, 0
	s_waitcnt lgkmcnt(0)
	s_barrier
	s_and_saveexec_b64 s[16:17], s[2:3]
	s_cbranch_execz .LBB104_457
; %bb.454:
	v_mul_u32_u24_e32 v25, 0x104, v5
	ds_read_b32 v27, v2 offset:7288
	ds_read_b32 v25, v25 offset:7280
	v_mov_b32_e32 v26, 0
	v_cmp_gt_u32_e64 s[14:15], 2, v4
	s_waitcnt lgkmcnt(0)
	v_fma_f32 v25, v27, v25, 0
	s_and_saveexec_b64 s[0:1], s[14:15]
	s_cbranch_execz .LBB104_456
; %bb.455:
	v_lshlrev_b32_e32 v27, 2, v0
	ds_read_b32 v27, v27 offset:7544
	ds_read_b32 v26, v26 offset:7284
	s_waitcnt lgkmcnt(0)
	v_fmac_f32_e32 v25, v27, v26
.LBB104_456:
	s_or_b64 exec, exec, s[0:1]
	v_xor_b32_e32 v25, 0x80000000, v25
.LBB104_457:
	s_or_b64 exec, exec, s[16:17]
	s_and_saveexec_b64 s[0:1], s[40:41]
; %bb.458:
	ds_write_b32 v3, v25
; %bb.459:
	s_or_b64 exec, exec, s[0:1]
	s_waitcnt lgkmcnt(0)
	s_barrier
	s_and_saveexec_b64 s[0:1], s[38:39]
	s_cbranch_execz .LBB104_461
; %bb.460:
	v_mov_b32_e32 v26, 0
	ds_read_b32 v26, v26 offset:7804
	ds_read_b32 v27, v3
	s_waitcnt lgkmcnt(0)
	v_fmac_f32_e32 v25, v26, v27
.LBB104_461:
	s_or_b64 exec, exec, s[0:1]
	s_barrier
	s_and_saveexec_b64 s[0:1], s[38:39]
; %bb.462:
	ds_write_b32 v3, v25
; %bb.463:
	s_or_b64 exec, exec, s[0:1]
	s_waitcnt lgkmcnt(0)
	s_barrier
	s_barrier
	s_and_saveexec_b64 s[0:1], s[2:3]
; %bb.464:
	v_xor_b32_e32 v25, 0x80000000, v25
	ds_write_b32 v2, v25 offset:7288
; %bb.465:
	s_or_b64 exec, exec, s[0:1]
	s_waitcnt lgkmcnt(0)
	s_barrier
	s_barrier
	s_and_saveexec_b64 s[0:1], s[42:43]
	s_cbranch_execz .LBB104_467
; %bb.466:
	v_lshlrev_b32_e32 v25, 2, v0
	s_movk_i32 s14, 0xfc
	v_mad_u32_u24 v26, v0, s14, v25
	ds_read_b32 v27, v26 offset:7288
	s_waitcnt lgkmcnt(0)
	ds_write_b32 v25, v27 offset:7792
	ds_read_b32 v26, v26 offset:7292
	s_waitcnt lgkmcnt(0)
	ds_write_b32 v25, v26 offset:8048
.LBB104_467:
	s_or_b64 exec, exec, s[0:1]
	s_waitcnt lgkmcnt(0)
	s_barrier
	s_and_saveexec_b64 s[14:15], vcc
	s_cbranch_execz .LBB104_469
; %bb.468:
	v_mov_b32_e32 v27, 0
	ds_read_b32 v25, v27 offset:7804
	v_mov_b32_e32 v26, 1.0
	ds_write_b32 v27, v26 offset:7800
	s_waitcnt lgkmcnt(1)
	ds_write_b64 v27, v[25:26] offset:8056
.LBB104_469:
	s_or_b64 exec, exec, s[14:15]
	v_and_b32_e32 v26, 31, v0
	s_movk_i32 s0, 0x3ff
	v_lshrrev_b32_e32 v29, 5, v4
	v_cmp_lt_u32_e64 s[16:17], s0, v4
	s_movk_i32 s0, 0x400
	v_lshlrev_b32_e32 v27, 2, v26
	v_cmp_gt_u32_e64 s[14:15], s0, v4
	v_lshl_or_b32 v25, v29, 8, v27
	v_mov_b32_e32 v28, 0
	s_waitcnt lgkmcnt(0)
	s_barrier
	s_and_saveexec_b64 s[94:95], s[14:15]
	s_cbranch_execz .LBB104_531
; %bb.470:
	v_mul_u32_u24_e32 v30, 0x104, v29
	ds_read_b32 v28, v25 offset:128
	ds_read_b32 v31, v30
	s_movk_i32 s0, 0x3e0
	v_cmp_gt_u32_e64 s[20:21], s0, v4
	s_waitcnt lgkmcnt(0)
	v_fma_f32 v28, v28, v31, 0
	s_and_saveexec_b64 s[0:1], s[20:21]
	s_cbranch_execz .LBB104_472
; %bb.471:
	ds_read_b32 v31, v25 offset:384
	ds_read_b32 v32, v30 offset:4
	s_waitcnt lgkmcnt(0)
	v_fmac_f32_e32 v28, v31, v32
.LBB104_472:
	s_or_b64 exec, exec, s[0:1]
	s_movk_i32 s0, 0x3c0
	v_cmp_gt_u32_e64 s[20:21], s0, v4
	s_and_saveexec_b64 s[0:1], s[20:21]
	s_cbranch_execz .LBB104_474
; %bb.473:
	ds_read_b32 v31, v25 offset:640
	ds_read_b32 v32, v30 offset:8
	s_waitcnt lgkmcnt(0)
	v_fmac_f32_e32 v28, v31, v32
.LBB104_474:
	s_or_b64 exec, exec, s[0:1]
	s_movk_i32 s0, 0x3a0
	v_cmp_gt_u32_e64 s[20:21], s0, v4
	;; [unrolled: 11-line block ×28, first 2 shown]
	s_and_saveexec_b64 s[0:1], s[20:21]
	s_cbranch_execnz .LBB104_1194
; %bb.527:
	s_or_b64 exec, exec, s[0:1]
	v_cmp_gt_u32_e64 s[20:21], 64, v4
	s_and_saveexec_b64 s[0:1], s[20:21]
	s_cbranch_execnz .LBB104_1195
.LBB104_528:
	s_or_b64 exec, exec, s[0:1]
	v_cmp_gt_u32_e64 s[20:21], 32, v4
	s_and_saveexec_b64 s[0:1], s[20:21]
	s_cbranch_execz .LBB104_530
.LBB104_529:
	v_lshlrev_b32_e32 v30, 2, v0
	v_mov_b32_e32 v31, 0
	ds_read_b32 v30, v30 offset:8064
	ds_read_b32 v31, v31 offset:124
	s_waitcnt lgkmcnt(0)
	v_fmac_f32_e32 v28, v30, v31
.LBB104_530:
	s_or_b64 exec, exec, s[0:1]
	v_xor_b32_e32 v28, 0x80000000, v28
.LBB104_531:
	s_or_b64 exec, exec, s[94:95]
	v_mov_b32_e32 v30, 0x4000
	v_cmp_eq_u32_e64 s[20:21], 0, v26
	s_xor_b64 s[94:95], s[16:17], -1
	v_lshl_or_b32 v29, v29, 2, v30
	s_and_b64 s[16:17], s[20:21], s[94:95]
	s_and_saveexec_b64 s[0:1], s[16:17]
; %bb.532:
	ds_write_b32 v29, v28
; %bb.533:
	s_or_b64 exec, exec, s[0:1]
	v_cmp_ne_u32_e64 s[16:17], 0, v26
	s_and_b64 s[16:17], s[16:17], s[94:95]
	s_waitcnt lgkmcnt(0)
	s_barrier
	s_and_saveexec_b64 s[0:1], s[16:17]
	s_cbranch_execz .LBB104_535
; %bb.534:
	ds_read_b32 v30, v27 offset:8320
	ds_read_b32 v31, v29
	s_waitcnt lgkmcnt(0)
	v_fmac_f32_e32 v28, v30, v31
.LBB104_535:
	s_or_b64 exec, exec, s[0:1]
	v_cmp_eq_u32_e64 s[16:17], 1, v26
	s_and_b64 s[16:17], s[16:17], s[94:95]
	s_barrier
	s_and_saveexec_b64 s[0:1], s[16:17]
; %bb.536:
	ds_write_b32 v29, v28
; %bb.537:
	s_or_b64 exec, exec, s[0:1]
	v_cmp_lt_u32_e64 s[16:17], 1, v26
	s_and_b64 s[16:17], s[16:17], s[94:95]
	s_waitcnt lgkmcnt(0)
	s_barrier
	s_and_saveexec_b64 s[0:1], s[16:17]
	s_cbranch_execz .LBB104_539
; %bb.538:
	ds_read_b32 v30, v27 offset:8576
	ds_read_b32 v31, v29
	s_waitcnt lgkmcnt(0)
	v_fmac_f32_e32 v28, v30, v31
.LBB104_539:
	s_or_b64 exec, exec, s[0:1]
	v_cmp_eq_u32_e64 s[16:17], 2, v26
	s_and_b64 s[16:17], s[16:17], s[94:95]
	s_barrier
	s_and_saveexec_b64 s[0:1], s[16:17]
; %bb.540:
	ds_write_b32 v29, v28
; %bb.541:
	s_or_b64 exec, exec, s[0:1]
	v_cmp_lt_u32_e64 s[16:17], 2, v26
	;; [unrolled: 21-line block ×29, first 2 shown]
	s_and_b64 s[16:17], s[16:17], s[94:95]
	s_waitcnt lgkmcnt(0)
	s_barrier
	s_and_saveexec_b64 s[0:1], s[16:17]
	s_cbranch_execz .LBB104_651
; %bb.650:
	ds_read_b32 v27, v27 offset:15744
	ds_read_b32 v30, v29
	s_waitcnt lgkmcnt(0)
	v_fmac_f32_e32 v28, v27, v30
.LBB104_651:
	s_or_b64 exec, exec, s[0:1]
	v_cmp_eq_u32_e64 s[16:17], 30, v26
	s_and_b64 s[16:17], s[16:17], s[94:95]
	s_barrier
	s_and_saveexec_b64 s[0:1], s[16:17]
; %bb.652:
	ds_write_b32 v29, v28
; %bb.653:
	s_or_b64 exec, exec, s[0:1]
	v_cmp_eq_u32_e64 s[16:17], 31, v26
	s_and_b64 s[16:17], s[16:17], s[94:95]
	s_waitcnt lgkmcnt(0)
	s_barrier
	s_and_saveexec_b64 s[0:1], s[16:17]
	s_cbranch_execz .LBB104_655
; %bb.654:
	v_mov_b32_e32 v26, 0
	ds_read_b32 v26, v26 offset:16124
	ds_read_b32 v27, v29
	s_waitcnt lgkmcnt(0)
	v_fmac_f32_e32 v28, v26, v27
.LBB104_655:
	s_or_b64 exec, exec, s[0:1]
	s_barrier
	s_and_saveexec_b64 s[0:1], s[16:17]
; %bb.656:
	ds_write_b32 v29, v28
; %bb.657:
	s_or_b64 exec, exec, s[0:1]
	s_waitcnt lgkmcnt(0)
	s_barrier
	s_barrier
	s_and_saveexec_b64 s[0:1], s[14:15]
; %bb.658:
	v_xor_b32_e32 v26, 0x80000000, v28
	ds_write_b32 v25, v26 offset:128
; %bb.659:
	s_or_b64 exec, exec, s[0:1]
	v_cmp_gt_u32_e64 s[14:15], 32, v0
	s_and_b64 s[0:1], s[12:13], s[14:15]
	s_waitcnt lgkmcnt(0)
	s_barrier
	s_barrier
	s_and_saveexec_b64 s[12:13], s[0:1]
	s_cbranch_execz .LBB104_661
; %bb.660:
	v_lshlrev_b32_e32 v25, 8, v0
	ds_read_b32 v26, v25 offset:128
	s_movk_i32 s0, 0xff04
	v_mad_i32_i24 v27, v0, s0, v25
	s_waitcnt lgkmcnt(0)
	ds_write_b32 v27, v26 offset:8192
	ds_read_b32 v26, v25 offset:132
	s_waitcnt lgkmcnt(0)
	ds_write_b32 v27, v26 offset:8448
	ds_read_b32 v26, v25 offset:136
	;; [unrolled: 3-line block ×31, first 2 shown]
	s_waitcnt lgkmcnt(0)
	ds_write_b32 v27, v25 offset:16128
.LBB104_661:
	s_or_b64 exec, exec, s[12:13]
	s_waitcnt lgkmcnt(0)
	s_barrier
	s_and_saveexec_b64 s[12:13], vcc
	s_cbranch_execz .LBB104_663
; %bb.662:
	v_mov_b32_e32 v27, 0
	ds_read_b32 v25, v27 offset:8324
	v_mov_b32_e32 v26, 1.0
	ds_write_b32 v27, v26 offset:8320
	s_waitcnt lgkmcnt(1)
	ds_write_b64 v27, v[25:26] offset:8576
.LBB104_663:
	s_or_b64 exec, exec, s[12:13]
	v_mov_b32_e32 v25, 0
	s_waitcnt lgkmcnt(0)
	s_barrier
	s_and_saveexec_b64 s[14:15], s[2:3]
	s_cbranch_execz .LBB104_667
; %bb.664:
	v_mul_u32_u24_e32 v25, 0x104, v5
	ds_read_b32 v27, v2 offset:8328
	ds_read_b32 v25, v25 offset:8320
	v_mov_b32_e32 v26, 0
	v_cmp_gt_u32_e64 s[12:13], 2, v4
	s_waitcnt lgkmcnt(0)
	v_fma_f32 v25, v27, v25, 0
	s_and_saveexec_b64 s[0:1], s[12:13]
	s_cbranch_execz .LBB104_666
; %bb.665:
	v_lshlrev_b32_e32 v27, 2, v0
	ds_read_b32 v27, v27 offset:8584
	ds_read_b32 v26, v26 offset:8324
	s_waitcnt lgkmcnt(0)
	v_fmac_f32_e32 v25, v27, v26
.LBB104_666:
	s_or_b64 exec, exec, s[0:1]
	v_xor_b32_e32 v25, 0x80000000, v25
.LBB104_667:
	s_or_b64 exec, exec, s[14:15]
	s_and_saveexec_b64 s[0:1], s[40:41]
; %bb.668:
	ds_write_b32 v3, v25
; %bb.669:
	s_or_b64 exec, exec, s[0:1]
	s_waitcnt lgkmcnt(0)
	s_barrier
	s_and_saveexec_b64 s[0:1], s[38:39]
	s_cbranch_execz .LBB104_671
; %bb.670:
	v_mov_b32_e32 v26, 0
	ds_read_b32 v26, v26 offset:8844
	ds_read_b32 v27, v3
	s_waitcnt lgkmcnt(0)
	v_fmac_f32_e32 v25, v26, v27
.LBB104_671:
	s_or_b64 exec, exec, s[0:1]
	s_barrier
	s_and_saveexec_b64 s[0:1], s[38:39]
; %bb.672:
	ds_write_b32 v3, v25
; %bb.673:
	s_or_b64 exec, exec, s[0:1]
	s_waitcnt lgkmcnt(0)
	s_barrier
	s_barrier
	s_and_saveexec_b64 s[0:1], s[2:3]
; %bb.674:
	v_xor_b32_e32 v25, 0x80000000, v25
	ds_write_b32 v2, v25 offset:8328
; %bb.675:
	s_or_b64 exec, exec, s[0:1]
	s_waitcnt lgkmcnt(0)
	s_barrier
	s_barrier
	s_and_saveexec_b64 s[0:1], s[42:43]
	s_cbranch_execz .LBB104_677
; %bb.676:
	v_lshlrev_b32_e32 v25, 2, v0
	s_movk_i32 s12, 0xfc
	v_mad_u32_u24 v26, v0, s12, v25
	ds_read_b32 v27, v26 offset:8328
	s_waitcnt lgkmcnt(0)
	ds_write_b32 v25, v27 offset:8832
	ds_read_b32 v26, v26 offset:8332
	s_waitcnt lgkmcnt(0)
	ds_write_b32 v25, v26 offset:9088
.LBB104_677:
	s_or_b64 exec, exec, s[0:1]
	s_waitcnt lgkmcnt(0)
	s_barrier
	s_and_saveexec_b64 s[12:13], vcc
	s_cbranch_execz .LBB104_679
; %bb.678:
	v_mov_b32_e32 v27, 0
	ds_read_b32 v25, v27 offset:8844
	v_mov_b32_e32 v26, 1.0
	ds_write_b32 v27, v26 offset:8840
	s_waitcnt lgkmcnt(1)
	ds_write_b64 v27, v[25:26] offset:9096
.LBB104_679:
	s_or_b64 exec, exec, s[12:13]
	v_mov_b32_e32 v25, 0
	s_waitcnt lgkmcnt(0)
	s_barrier
	s_and_saveexec_b64 s[14:15], s[18:19]
	s_cbranch_execz .LBB104_685
; %bb.680:
	v_mul_u32_u24_e32 v26, 0x104, v14
	ds_read_b32 v25, v10 offset:8336
	ds_read_b32 v27, v26 offset:8320
	v_cmp_gt_u32_e64 s[12:13], 12, v4
	s_waitcnt lgkmcnt(0)
	v_fma_f32 v25, v25, v27, 0
	s_and_saveexec_b64 s[16:17], s[12:13]
	s_cbranch_execnz .LBB104_1196
; %bb.681:
	s_or_b64 exec, exec, s[16:17]
	v_cmp_gt_u32_e64 s[12:13], 8, v4
	s_and_saveexec_b64 s[0:1], s[12:13]
	s_cbranch_execnz .LBB104_1197
.LBB104_682:
	s_or_b64 exec, exec, s[0:1]
	v_cmp_gt_u32_e64 s[12:13], 4, v4
	s_and_saveexec_b64 s[0:1], s[12:13]
	s_cbranch_execz .LBB104_684
.LBB104_683:
	v_lshlrev_b32_e32 v26, 2, v0
	v_mov_b32_e32 v27, 0
	ds_read_b32 v26, v26 offset:9104
	ds_read_b32 v27, v27 offset:8332
	s_waitcnt lgkmcnt(0)
	v_fmac_f32_e32 v25, v26, v27
.LBB104_684:
	s_or_b64 exec, exec, s[0:1]
	v_xor_b32_e32 v25, 0x80000000, v25
.LBB104_685:
	s_or_b64 exec, exec, s[14:15]
	s_and_saveexec_b64 s[0:1], s[46:47]
; %bb.686:
	ds_write_b32 v12, v25
; %bb.687:
	s_or_b64 exec, exec, s[0:1]
	s_waitcnt lgkmcnt(0)
	s_barrier
	s_and_saveexec_b64 s[0:1], s[48:49]
	s_cbranch_execz .LBB104_689
; %bb.688:
	ds_read_b32 v26, v11 offset:9360
	ds_read_b32 v27, v12
	s_waitcnt lgkmcnt(0)
	v_fmac_f32_e32 v25, v26, v27
.LBB104_689:
	s_or_b64 exec, exec, s[0:1]
	s_barrier
	s_and_saveexec_b64 s[0:1], s[50:51]
; %bb.690:
	ds_write_b32 v12, v25
; %bb.691:
	s_or_b64 exec, exec, s[0:1]
	s_waitcnt lgkmcnt(0)
	s_barrier
	s_and_saveexec_b64 s[0:1], s[52:53]
	s_cbranch_execz .LBB104_693
; %bb.692:
	ds_read_b32 v26, v11 offset:9616
	ds_read_b32 v27, v12
	s_waitcnt lgkmcnt(0)
	v_fmac_f32_e32 v25, v26, v27
.LBB104_693:
	s_or_b64 exec, exec, s[0:1]
	s_barrier
	s_and_saveexec_b64 s[0:1], s[54:55]
; %bb.694:
	ds_write_b32 v12, v25
; %bb.695:
	s_or_b64 exec, exec, s[0:1]
	s_waitcnt lgkmcnt(0)
	s_barrier
	s_and_saveexec_b64 s[0:1], s[44:45]
	s_cbranch_execz .LBB104_697
; %bb.696:
	v_mov_b32_e32 v26, 0
	ds_read_b32 v26, v26 offset:9884
	ds_read_b32 v27, v12
	s_waitcnt lgkmcnt(0)
	v_fmac_f32_e32 v25, v26, v27
.LBB104_697:
	s_or_b64 exec, exec, s[0:1]
	s_barrier
	s_and_saveexec_b64 s[0:1], s[44:45]
; %bb.698:
	ds_write_b32 v12, v25
; %bb.699:
	s_or_b64 exec, exec, s[0:1]
	s_waitcnt lgkmcnt(0)
	s_barrier
	s_barrier
	s_and_saveexec_b64 s[0:1], s[18:19]
; %bb.700:
	v_xor_b32_e32 v25, 0x80000000, v25
	ds_write_b32 v10, v25 offset:8336
; %bb.701:
	s_or_b64 exec, exec, s[0:1]
	s_waitcnt lgkmcnt(0)
	s_barrier
	s_barrier
	s_and_saveexec_b64 s[12:13], s[56:57]
	s_cbranch_execz .LBB104_703
; %bb.702:
	v_lshlrev_b32_e32 v25, 8, v0
	ds_read_b32 v26, v25 offset:8336
	s_movk_i32 s0, 0xff04
	v_mad_i32_i24 v27, v0, s0, v25
	s_waitcnt lgkmcnt(0)
	ds_write_b32 v27, v26 offset:9344
	ds_read_b32 v26, v25 offset:8340
	s_waitcnt lgkmcnt(0)
	ds_write_b32 v27, v26 offset:9600
	ds_read_b32 v26, v25 offset:8344
	;; [unrolled: 3-line block ×3, first 2 shown]
	s_waitcnt lgkmcnt(0)
	ds_write_b32 v27, v25 offset:10112
.LBB104_703:
	s_or_b64 exec, exec, s[12:13]
	s_waitcnt lgkmcnt(0)
	s_barrier
	s_and_saveexec_b64 s[12:13], vcc
	s_cbranch_execz .LBB104_705
; %bb.704:
	v_mov_b32_e32 v27, 0
	ds_read_b32 v25, v27 offset:9364
	v_mov_b32_e32 v26, 1.0
	ds_write_b32 v27, v26 offset:9360
	s_waitcnt lgkmcnt(1)
	ds_write_b64 v27, v[25:26] offset:9616
.LBB104_705:
	s_or_b64 exec, exec, s[12:13]
	v_mov_b32_e32 v25, 0
	s_waitcnt lgkmcnt(0)
	s_barrier
	s_and_saveexec_b64 s[14:15], s[2:3]
	s_cbranch_execz .LBB104_709
; %bb.706:
	v_mul_u32_u24_e32 v25, 0x104, v5
	ds_read_b32 v27, v2 offset:9368
	ds_read_b32 v25, v25 offset:9360
	v_mov_b32_e32 v26, 0
	v_cmp_gt_u32_e64 s[12:13], 2, v4
	s_waitcnt lgkmcnt(0)
	v_fma_f32 v25, v27, v25, 0
	s_and_saveexec_b64 s[0:1], s[12:13]
	s_cbranch_execz .LBB104_708
; %bb.707:
	v_lshlrev_b32_e32 v27, 2, v0
	ds_read_b32 v27, v27 offset:9624
	ds_read_b32 v26, v26 offset:9364
	s_waitcnt lgkmcnt(0)
	v_fmac_f32_e32 v25, v27, v26
.LBB104_708:
	s_or_b64 exec, exec, s[0:1]
	v_xor_b32_e32 v25, 0x80000000, v25
.LBB104_709:
	s_or_b64 exec, exec, s[14:15]
	s_and_saveexec_b64 s[0:1], s[40:41]
; %bb.710:
	ds_write_b32 v3, v25
; %bb.711:
	s_or_b64 exec, exec, s[0:1]
	s_waitcnt lgkmcnt(0)
	s_barrier
	s_and_saveexec_b64 s[0:1], s[38:39]
	s_cbranch_execz .LBB104_713
; %bb.712:
	v_mov_b32_e32 v26, 0
	ds_read_b32 v26, v26 offset:9884
	ds_read_b32 v27, v3
	s_waitcnt lgkmcnt(0)
	v_fmac_f32_e32 v25, v26, v27
.LBB104_713:
	s_or_b64 exec, exec, s[0:1]
	s_barrier
	s_and_saveexec_b64 s[0:1], s[38:39]
; %bb.714:
	ds_write_b32 v3, v25
; %bb.715:
	s_or_b64 exec, exec, s[0:1]
	s_waitcnt lgkmcnt(0)
	s_barrier
	s_barrier
	s_and_saveexec_b64 s[0:1], s[2:3]
; %bb.716:
	v_xor_b32_e32 v25, 0x80000000, v25
	ds_write_b32 v2, v25 offset:9368
; %bb.717:
	s_or_b64 exec, exec, s[0:1]
	s_waitcnt lgkmcnt(0)
	s_barrier
	s_barrier
	s_and_saveexec_b64 s[0:1], s[42:43]
	s_cbranch_execz .LBB104_719
; %bb.718:
	v_lshlrev_b32_e32 v25, 2, v0
	s_movk_i32 s12, 0xfc
	v_mad_u32_u24 v26, v0, s12, v25
	ds_read_b32 v27, v26 offset:9368
	s_waitcnt lgkmcnt(0)
	ds_write_b32 v25, v27 offset:9872
	ds_read_b32 v26, v26 offset:9372
	s_waitcnt lgkmcnt(0)
	ds_write_b32 v25, v26 offset:10128
.LBB104_719:
	s_or_b64 exec, exec, s[0:1]
	s_waitcnt lgkmcnt(0)
	s_barrier
	s_and_saveexec_b64 s[12:13], vcc
	s_cbranch_execz .LBB104_721
; %bb.720:
	v_mov_b32_e32 v27, 0
	ds_read_b32 v25, v27 offset:9884
	v_mov_b32_e32 v26, 1.0
	ds_write_b32 v27, v26 offset:9880
	s_waitcnt lgkmcnt(1)
	ds_write_b64 v27, v[25:26] offset:10136
.LBB104_721:
	s_or_b64 exec, exec, s[12:13]
	v_mov_b32_e32 v25, 0
	s_waitcnt lgkmcnt(0)
	s_barrier
	s_and_saveexec_b64 s[14:15], s[8:9]
	s_cbranch_execz .LBB104_731
; %bb.722:
	v_mul_u32_u24_e32 v26, 0x104, v19
	ds_read_b32 v25, v15 offset:8352
	ds_read_b32 v27, v26 offset:8320
	v_cmp_gt_u32_e64 s[12:13], 56, v4
	s_waitcnt lgkmcnt(0)
	v_fma_f32 v25, v25, v27, 0
	s_and_saveexec_b64 s[16:17], s[12:13]
	s_cbranch_execnz .LBB104_1198
; %bb.723:
	s_or_b64 exec, exec, s[16:17]
	v_cmp_gt_u32_e64 s[12:13], 48, v4
	s_and_saveexec_b64 s[0:1], s[12:13]
	s_cbranch_execnz .LBB104_1199
.LBB104_724:
	s_or_b64 exec, exec, s[0:1]
	v_cmp_gt_u32_e64 s[12:13], 40, v4
	s_and_saveexec_b64 s[0:1], s[12:13]
	s_cbranch_execnz .LBB104_1200
.LBB104_725:
	s_or_b64 exec, exec, s[0:1]
	v_cmp_gt_u32_e64 s[12:13], 32, v4
	s_and_saveexec_b64 s[0:1], s[12:13]
	s_cbranch_execnz .LBB104_1201
.LBB104_726:
	s_or_b64 exec, exec, s[0:1]
	v_cmp_gt_u32_e64 s[12:13], 24, v4
	s_and_saveexec_b64 s[0:1], s[12:13]
	s_cbranch_execnz .LBB104_1202
.LBB104_727:
	s_or_b64 exec, exec, s[0:1]
	v_cmp_gt_u32_e64 s[12:13], 16, v4
	s_and_saveexec_b64 s[0:1], s[12:13]
	s_cbranch_execnz .LBB104_1203
.LBB104_728:
	s_or_b64 exec, exec, s[0:1]
	v_cmp_gt_u32_e64 s[12:13], 8, v4
	s_and_saveexec_b64 s[0:1], s[12:13]
	s_cbranch_execz .LBB104_730
.LBB104_729:
	v_lshlrev_b32_e32 v26, 2, v0
	v_mov_b32_e32 v27, 0
	ds_read_b32 v26, v26 offset:10144
	ds_read_b32 v27, v27 offset:8348
	s_waitcnt lgkmcnt(0)
	v_fmac_f32_e32 v25, v26, v27
.LBB104_730:
	s_or_b64 exec, exec, s[0:1]
	v_xor_b32_e32 v25, 0x80000000, v25
.LBB104_731:
	s_or_b64 exec, exec, s[14:15]
	s_and_saveexec_b64 s[0:1], s[58:59]
; %bb.732:
	ds_write_b32 v17, v25
; %bb.733:
	s_or_b64 exec, exec, s[0:1]
	s_waitcnt lgkmcnt(0)
	s_barrier
	s_and_saveexec_b64 s[0:1], s[60:61]
	s_cbranch_execz .LBB104_735
; %bb.734:
	ds_read_b32 v26, v16 offset:10400
	ds_read_b32 v27, v17
	s_waitcnt lgkmcnt(0)
	v_fmac_f32_e32 v25, v26, v27
.LBB104_735:
	s_or_b64 exec, exec, s[0:1]
	s_barrier
	s_and_saveexec_b64 s[0:1], s[62:63]
; %bb.736:
	ds_write_b32 v17, v25
; %bb.737:
	s_or_b64 exec, exec, s[0:1]
	s_waitcnt lgkmcnt(0)
	s_barrier
	s_and_saveexec_b64 s[0:1], s[64:65]
	s_cbranch_execz .LBB104_739
; %bb.738:
	ds_read_b32 v26, v16 offset:10656
	ds_read_b32 v27, v17
	s_waitcnt lgkmcnt(0)
	v_fmac_f32_e32 v25, v26, v27
.LBB104_739:
	s_or_b64 exec, exec, s[0:1]
	s_barrier
	;; [unrolled: 17-line block ×6, first 2 shown]
	s_and_saveexec_b64 s[0:1], s[84:85]
; %bb.756:
	ds_write_b32 v17, v25
; %bb.757:
	s_or_b64 exec, exec, s[0:1]
	s_waitcnt lgkmcnt(0)
	s_barrier
	s_and_saveexec_b64 s[0:1], s[66:67]
	s_cbranch_execz .LBB104_759
; %bb.758:
	v_mov_b32_e32 v26, 0
	ds_read_b32 v26, v26 offset:11964
	ds_read_b32 v27, v17
	s_waitcnt lgkmcnt(0)
	v_fmac_f32_e32 v25, v26, v27
.LBB104_759:
	s_or_b64 exec, exec, s[0:1]
	s_barrier
	s_and_saveexec_b64 s[0:1], s[66:67]
; %bb.760:
	ds_write_b32 v17, v25
; %bb.761:
	s_or_b64 exec, exec, s[0:1]
	s_waitcnt lgkmcnt(0)
	s_barrier
	s_barrier
	s_and_saveexec_b64 s[0:1], s[8:9]
; %bb.762:
	v_xor_b32_e32 v25, 0x80000000, v25
	ds_write_b32 v15, v25 offset:8352
; %bb.763:
	s_or_b64 exec, exec, s[0:1]
	s_waitcnt lgkmcnt(0)
	s_barrier
	s_barrier
	s_and_saveexec_b64 s[12:13], s[86:87]
	s_cbranch_execz .LBB104_765
; %bb.764:
	v_lshlrev_b32_e32 v25, 8, v0
	ds_read_b32 v26, v25 offset:8352
	s_movk_i32 s0, 0xff04
	v_mad_i32_i24 v27, v0, s0, v25
	s_waitcnt lgkmcnt(0)
	ds_write_b32 v27, v26 offset:10368
	ds_read_b32 v26, v25 offset:8356
	s_waitcnt lgkmcnt(0)
	ds_write_b32 v27, v26 offset:10624
	ds_read_b32 v26, v25 offset:8360
	;; [unrolled: 3-line block ×7, first 2 shown]
	s_waitcnt lgkmcnt(0)
	ds_write_b32 v27, v25 offset:12160
.LBB104_765:
	s_or_b64 exec, exec, s[12:13]
	s_waitcnt lgkmcnt(0)
	s_barrier
	s_and_saveexec_b64 s[12:13], vcc
	s_cbranch_execz .LBB104_767
; %bb.766:
	v_mov_b32_e32 v27, 0
	ds_read_b32 v25, v27 offset:10404
	v_mov_b32_e32 v26, 1.0
	ds_write_b32 v27, v26 offset:10400
	s_waitcnt lgkmcnt(1)
	ds_write_b64 v27, v[25:26] offset:10656
.LBB104_767:
	s_or_b64 exec, exec, s[12:13]
	v_mov_b32_e32 v25, 0
	s_waitcnt lgkmcnt(0)
	s_barrier
	s_and_saveexec_b64 s[14:15], s[2:3]
	s_cbranch_execz .LBB104_771
; %bb.768:
	v_mul_u32_u24_e32 v25, 0x104, v5
	ds_read_b32 v27, v2 offset:10408
	ds_read_b32 v25, v25 offset:10400
	v_mov_b32_e32 v26, 0
	v_cmp_gt_u32_e64 s[12:13], 2, v4
	s_waitcnt lgkmcnt(0)
	v_fma_f32 v25, v27, v25, 0
	s_and_saveexec_b64 s[0:1], s[12:13]
	s_cbranch_execz .LBB104_770
; %bb.769:
	v_lshlrev_b32_e32 v27, 2, v0
	ds_read_b32 v27, v27 offset:10664
	ds_read_b32 v26, v26 offset:10404
	s_waitcnt lgkmcnt(0)
	v_fmac_f32_e32 v25, v27, v26
.LBB104_770:
	s_or_b64 exec, exec, s[0:1]
	v_xor_b32_e32 v25, 0x80000000, v25
.LBB104_771:
	s_or_b64 exec, exec, s[14:15]
	s_and_saveexec_b64 s[0:1], s[40:41]
; %bb.772:
	ds_write_b32 v3, v25
; %bb.773:
	s_or_b64 exec, exec, s[0:1]
	s_waitcnt lgkmcnt(0)
	s_barrier
	s_and_saveexec_b64 s[0:1], s[38:39]
	s_cbranch_execz .LBB104_775
; %bb.774:
	v_mov_b32_e32 v26, 0
	ds_read_b32 v26, v26 offset:10924
	ds_read_b32 v27, v3
	s_waitcnt lgkmcnt(0)
	v_fmac_f32_e32 v25, v26, v27
.LBB104_775:
	s_or_b64 exec, exec, s[0:1]
	s_barrier
	s_and_saveexec_b64 s[0:1], s[38:39]
; %bb.776:
	ds_write_b32 v3, v25
; %bb.777:
	s_or_b64 exec, exec, s[0:1]
	s_waitcnt lgkmcnt(0)
	s_barrier
	s_barrier
	s_and_saveexec_b64 s[0:1], s[2:3]
; %bb.778:
	v_xor_b32_e32 v25, 0x80000000, v25
	ds_write_b32 v2, v25 offset:10408
; %bb.779:
	s_or_b64 exec, exec, s[0:1]
	s_waitcnt lgkmcnt(0)
	s_barrier
	s_barrier
	s_and_saveexec_b64 s[0:1], s[42:43]
	s_cbranch_execz .LBB104_781
; %bb.780:
	v_lshlrev_b32_e32 v25, 2, v0
	s_movk_i32 s12, 0xfc
	v_mad_u32_u24 v26, v0, s12, v25
	ds_read_b32 v27, v26 offset:10408
	s_waitcnt lgkmcnt(0)
	ds_write_b32 v25, v27 offset:10912
	ds_read_b32 v26, v26 offset:10412
	s_waitcnt lgkmcnt(0)
	ds_write_b32 v25, v26 offset:11168
.LBB104_781:
	s_or_b64 exec, exec, s[0:1]
	s_waitcnt lgkmcnt(0)
	s_barrier
	s_and_saveexec_b64 s[12:13], vcc
	s_cbranch_execz .LBB104_783
; %bb.782:
	v_mov_b32_e32 v27, 0
	ds_read_b32 v25, v27 offset:10924
	v_mov_b32_e32 v26, 1.0
	ds_write_b32 v27, v26 offset:10920
	s_waitcnt lgkmcnt(1)
	ds_write_b64 v27, v[25:26] offset:11176
.LBB104_783:
	s_or_b64 exec, exec, s[12:13]
	v_mov_b32_e32 v25, 0
	s_waitcnt lgkmcnt(0)
	s_barrier
	s_and_saveexec_b64 s[14:15], s[18:19]
	s_cbranch_execz .LBB104_789
; %bb.784:
	v_mul_u32_u24_e32 v26, 0x104, v14
	ds_read_b32 v25, v10 offset:10416
	ds_read_b32 v27, v26 offset:10400
	v_cmp_gt_u32_e64 s[12:13], 12, v4
	s_waitcnt lgkmcnt(0)
	v_fma_f32 v25, v25, v27, 0
	s_and_saveexec_b64 s[16:17], s[12:13]
	s_cbranch_execnz .LBB104_1204
; %bb.785:
	s_or_b64 exec, exec, s[16:17]
	v_cmp_gt_u32_e64 s[12:13], 8, v4
	s_and_saveexec_b64 s[0:1], s[12:13]
	s_cbranch_execnz .LBB104_1205
.LBB104_786:
	s_or_b64 exec, exec, s[0:1]
	v_cmp_gt_u32_e64 s[12:13], 4, v4
	s_and_saveexec_b64 s[0:1], s[12:13]
	s_cbranch_execz .LBB104_788
.LBB104_787:
	v_lshlrev_b32_e32 v26, 2, v0
	v_mov_b32_e32 v27, 0
	ds_read_b32 v26, v26 offset:11184
	ds_read_b32 v27, v27 offset:10412
	s_waitcnt lgkmcnt(0)
	v_fmac_f32_e32 v25, v26, v27
.LBB104_788:
	s_or_b64 exec, exec, s[0:1]
	v_xor_b32_e32 v25, 0x80000000, v25
.LBB104_789:
	s_or_b64 exec, exec, s[14:15]
	s_and_saveexec_b64 s[0:1], s[46:47]
; %bb.790:
	ds_write_b32 v12, v25
; %bb.791:
	s_or_b64 exec, exec, s[0:1]
	s_waitcnt lgkmcnt(0)
	s_barrier
	s_and_saveexec_b64 s[0:1], s[48:49]
	s_cbranch_execz .LBB104_793
; %bb.792:
	ds_read_b32 v26, v11 offset:11440
	ds_read_b32 v27, v12
	s_waitcnt lgkmcnt(0)
	v_fmac_f32_e32 v25, v26, v27
.LBB104_793:
	s_or_b64 exec, exec, s[0:1]
	s_barrier
	s_and_saveexec_b64 s[0:1], s[50:51]
; %bb.794:
	ds_write_b32 v12, v25
; %bb.795:
	s_or_b64 exec, exec, s[0:1]
	s_waitcnt lgkmcnt(0)
	s_barrier
	s_and_saveexec_b64 s[0:1], s[52:53]
	s_cbranch_execz .LBB104_797
; %bb.796:
	ds_read_b32 v26, v11 offset:11696
	ds_read_b32 v27, v12
	s_waitcnt lgkmcnt(0)
	v_fmac_f32_e32 v25, v26, v27
.LBB104_797:
	s_or_b64 exec, exec, s[0:1]
	s_barrier
	s_and_saveexec_b64 s[0:1], s[54:55]
; %bb.798:
	ds_write_b32 v12, v25
; %bb.799:
	s_or_b64 exec, exec, s[0:1]
	s_waitcnt lgkmcnt(0)
	s_barrier
	s_and_saveexec_b64 s[0:1], s[44:45]
	s_cbranch_execz .LBB104_801
; %bb.800:
	v_mov_b32_e32 v26, 0
	ds_read_b32 v26, v26 offset:11964
	ds_read_b32 v27, v12
	s_waitcnt lgkmcnt(0)
	v_fmac_f32_e32 v25, v26, v27
.LBB104_801:
	s_or_b64 exec, exec, s[0:1]
	s_barrier
	s_and_saveexec_b64 s[0:1], s[44:45]
; %bb.802:
	ds_write_b32 v12, v25
; %bb.803:
	s_or_b64 exec, exec, s[0:1]
	s_waitcnt lgkmcnt(0)
	s_barrier
	s_barrier
	s_and_saveexec_b64 s[0:1], s[18:19]
; %bb.804:
	v_xor_b32_e32 v25, 0x80000000, v25
	ds_write_b32 v10, v25 offset:10416
; %bb.805:
	s_or_b64 exec, exec, s[0:1]
	s_waitcnt lgkmcnt(0)
	s_barrier
	s_barrier
	s_and_saveexec_b64 s[12:13], s[56:57]
	s_cbranch_execz .LBB104_807
; %bb.806:
	v_lshlrev_b32_e32 v25, 8, v0
	ds_read_b32 v26, v25 offset:10416
	s_movk_i32 s0, 0xff04
	v_mad_i32_i24 v27, v0, s0, v25
	s_waitcnt lgkmcnt(0)
	ds_write_b32 v27, v26 offset:11424
	ds_read_b32 v26, v25 offset:10420
	s_waitcnt lgkmcnt(0)
	ds_write_b32 v27, v26 offset:11680
	ds_read_b32 v26, v25 offset:10424
	;; [unrolled: 3-line block ×3, first 2 shown]
	s_waitcnt lgkmcnt(0)
	ds_write_b32 v27, v25 offset:12192
.LBB104_807:
	s_or_b64 exec, exec, s[12:13]
	s_waitcnt lgkmcnt(0)
	s_barrier
	s_and_saveexec_b64 s[12:13], vcc
	s_cbranch_execz .LBB104_809
; %bb.808:
	v_mov_b32_e32 v27, 0
	ds_read_b32 v25, v27 offset:11444
	v_mov_b32_e32 v26, 1.0
	ds_write_b32 v27, v26 offset:11440
	s_waitcnt lgkmcnt(1)
	ds_write_b64 v27, v[25:26] offset:11696
.LBB104_809:
	s_or_b64 exec, exec, s[12:13]
	v_mov_b32_e32 v25, 0
	s_waitcnt lgkmcnt(0)
	s_barrier
	s_and_saveexec_b64 s[14:15], s[2:3]
	s_cbranch_execz .LBB104_813
; %bb.810:
	v_mul_u32_u24_e32 v25, 0x104, v5
	ds_read_b32 v27, v2 offset:11448
	ds_read_b32 v25, v25 offset:11440
	v_mov_b32_e32 v26, 0
	v_cmp_gt_u32_e64 s[12:13], 2, v4
	s_waitcnt lgkmcnt(0)
	v_fma_f32 v25, v27, v25, 0
	s_and_saveexec_b64 s[0:1], s[12:13]
	s_cbranch_execz .LBB104_812
; %bb.811:
	v_lshlrev_b32_e32 v27, 2, v0
	ds_read_b32 v27, v27 offset:11704
	ds_read_b32 v26, v26 offset:11444
	s_waitcnt lgkmcnt(0)
	v_fmac_f32_e32 v25, v27, v26
.LBB104_812:
	s_or_b64 exec, exec, s[0:1]
	v_xor_b32_e32 v25, 0x80000000, v25
.LBB104_813:
	s_or_b64 exec, exec, s[14:15]
	s_and_saveexec_b64 s[0:1], s[40:41]
; %bb.814:
	ds_write_b32 v3, v25
; %bb.815:
	s_or_b64 exec, exec, s[0:1]
	s_waitcnt lgkmcnt(0)
	s_barrier
	s_and_saveexec_b64 s[0:1], s[38:39]
	s_cbranch_execz .LBB104_817
; %bb.816:
	v_mov_b32_e32 v26, 0
	ds_read_b32 v26, v26 offset:11964
	ds_read_b32 v27, v3
	s_waitcnt lgkmcnt(0)
	v_fmac_f32_e32 v25, v26, v27
.LBB104_817:
	s_or_b64 exec, exec, s[0:1]
	s_barrier
	s_and_saveexec_b64 s[0:1], s[38:39]
; %bb.818:
	ds_write_b32 v3, v25
; %bb.819:
	s_or_b64 exec, exec, s[0:1]
	s_waitcnt lgkmcnt(0)
	s_barrier
	s_barrier
	s_and_saveexec_b64 s[0:1], s[2:3]
; %bb.820:
	v_xor_b32_e32 v25, 0x80000000, v25
	ds_write_b32 v2, v25 offset:11448
; %bb.821:
	s_or_b64 exec, exec, s[0:1]
	s_waitcnt lgkmcnt(0)
	s_barrier
	s_barrier
	s_and_saveexec_b64 s[0:1], s[42:43]
	s_cbranch_execz .LBB104_823
; %bb.822:
	v_lshlrev_b32_e32 v25, 2, v0
	s_movk_i32 s12, 0xfc
	v_mad_u32_u24 v26, v0, s12, v25
	ds_read_b32 v27, v26 offset:11448
	s_waitcnt lgkmcnt(0)
	ds_write_b32 v25, v27 offset:11952
	ds_read_b32 v26, v26 offset:11452
	s_waitcnt lgkmcnt(0)
	ds_write_b32 v25, v26 offset:12208
.LBB104_823:
	s_or_b64 exec, exec, s[0:1]
	s_waitcnt lgkmcnt(0)
	s_barrier
	s_and_saveexec_b64 s[12:13], vcc
	s_cbranch_execz .LBB104_825
; %bb.824:
	v_mov_b32_e32 v27, 0
	ds_read_b32 v25, v27 offset:11964
	v_mov_b32_e32 v26, 1.0
	ds_write_b32 v27, v26 offset:11960
	s_waitcnt lgkmcnt(1)
	ds_write_b64 v27, v[25:26] offset:12216
.LBB104_825:
	s_or_b64 exec, exec, s[12:13]
	v_mov_b32_e32 v25, 0
	s_waitcnt lgkmcnt(0)
	s_barrier
	s_and_saveexec_b64 s[14:15], s[10:11]
	s_cbranch_execz .LBB104_853
; %bb.826:
	v_mul_u32_u24_e32 v26, 0x104, v24
	ds_read_b32 v25, v20 offset:8384
	ds_read_b32 v27, v26 offset:8320
	s_movk_i32 s0, 0xf0
	v_cmp_gt_u32_e64 s[12:13], s0, v4
	s_waitcnt lgkmcnt(0)
	v_fma_f32 v25, v25, v27, 0
	s_and_saveexec_b64 s[16:17], s[12:13]
	s_cbranch_execz .LBB104_828
; %bb.827:
	v_lshlrev_b32_e32 v27, 2, v24
	v_sub_u32_e32 v27, v26, v27
	v_lshl_add_u32 v27, v21, 2, v27
	ds_read_b32 v27, v27 offset:8640
	ds_read_b32 v28, v26 offset:8324
	s_waitcnt lgkmcnt(0)
	v_fmac_f32_e32 v25, v27, v28
.LBB104_828:
	s_or_b64 exec, exec, s[16:17]
	s_movk_i32 s0, 0xe0
	v_cmp_gt_u32_e64 s[12:13], s0, v4
	s_and_saveexec_b64 s[0:1], s[12:13]
	s_cbranch_execz .LBB104_830
; %bb.829:
	v_lshlrev_b32_e32 v27, 2, v24
	v_sub_u32_e32 v27, v26, v27
	v_lshl_add_u32 v27, v21, 2, v27
	ds_read_b32 v27, v27 offset:8896
	ds_read_b32 v28, v26 offset:8328
	s_waitcnt lgkmcnt(0)
	v_fmac_f32_e32 v25, v27, v28
.LBB104_830:
	s_or_b64 exec, exec, s[0:1]
	s_movk_i32 s0, 0xd0
	v_cmp_gt_u32_e64 s[12:13], s0, v4
	;; [unrolled: 14-line block ×7, first 2 shown]
	s_and_saveexec_b64 s[0:1], s[12:13]
	s_cbranch_execz .LBB104_842
; %bb.841:
	ds_read_b32 v24, v20 offset:10432
	ds_read_b32 v27, v26 offset:8352
	s_waitcnt lgkmcnt(0)
	v_fmac_f32_e32 v25, v24, v27
.LBB104_842:
	s_or_b64 exec, exec, s[0:1]
	s_movk_i32 s0, 0x70
	v_cmp_gt_u32_e64 s[12:13], s0, v4
	s_and_saveexec_b64 s[0:1], s[12:13]
	s_cbranch_execz .LBB104_844
; %bb.843:
	v_lshlrev_b32_e32 v24, 2, v21
	v_lshl_add_u32 v24, v23, 2, v24
	ds_read_b32 v24, v24 offset:10688
	ds_read_b32 v27, v26 offset:8356
	s_waitcnt lgkmcnt(0)
	v_fmac_f32_e32 v25, v24, v27
.LBB104_844:
	s_or_b64 exec, exec, s[0:1]
	s_movk_i32 s0, 0x60
	v_cmp_gt_u32_e64 s[12:13], s0, v4
	s_and_saveexec_b64 s[0:1], s[12:13]
	s_cbranch_execz .LBB104_846
; %bb.845:
	v_lshlrev_b32_e32 v24, 2, v21
	v_lshl_add_u32 v24, v23, 2, v24
	ds_read_b32 v24, v24 offset:10944
	ds_read_b32 v27, v26 offset:8360
	s_waitcnt lgkmcnt(0)
	v_fmac_f32_e32 v25, v24, v27
.LBB104_846:
	s_or_b64 exec, exec, s[0:1]
	s_movk_i32 s0, 0x50
	v_cmp_gt_u32_e64 s[12:13], s0, v4
	s_and_saveexec_b64 s[0:1], s[12:13]
	s_cbranch_execnz .LBB104_1206
; %bb.847:
	s_or_b64 exec, exec, s[0:1]
	v_cmp_gt_u32_e64 s[12:13], 64, v4
	s_and_saveexec_b64 s[0:1], s[12:13]
	s_cbranch_execnz .LBB104_1207
.LBB104_848:
	s_or_b64 exec, exec, s[0:1]
	v_cmp_gt_u32_e64 s[12:13], 48, v4
	s_and_saveexec_b64 s[0:1], s[12:13]
	s_cbranch_execnz .LBB104_1208
.LBB104_849:
	s_or_b64 exec, exec, s[0:1]
	v_cmp_gt_u32_e64 s[12:13], 32, v4
	s_and_saveexec_b64 s[0:1], s[12:13]
	s_cbranch_execnz .LBB104_1209
.LBB104_850:
	s_or_b64 exec, exec, s[0:1]
	v_cmp_gt_u32_e64 s[12:13], 16, v4
	s_and_saveexec_b64 s[0:1], s[12:13]
	s_cbranch_execz .LBB104_852
.LBB104_851:
	v_lshlrev_b32_e32 v23, 2, v0
	v_mov_b32_e32 v24, 0
	ds_read_b32 v23, v23 offset:12224
	ds_read_b32 v24, v24 offset:8380
	s_waitcnt lgkmcnt(0)
	v_fmac_f32_e32 v25, v23, v24
.LBB104_852:
	s_or_b64 exec, exec, s[0:1]
	v_xor_b32_e32 v25, 0x80000000, v25
.LBB104_853:
	s_or_b64 exec, exec, s[14:15]
	s_mov_b64 s[0:1], exec
	v_readlane_b32 s12, v33, 3
	v_readlane_b32 s13, v33, 4
	s_and_b64 s[12:13], s[0:1], s[12:13]
	s_mov_b64 exec, s[12:13]
; %bb.854:
	ds_write_b32 v22, v25
; %bb.855:
	s_or_b64 exec, exec, s[0:1]
	s_waitcnt lgkmcnt(0)
	s_barrier
	s_mov_b64 s[0:1], exec
	v_readlane_b32 s12, v33, 5
	v_readlane_b32 s13, v33, 6
	s_and_b64 s[12:13], s[0:1], s[12:13]
	s_mov_b64 exec, s[12:13]
	s_cbranch_execz .LBB104_857
; %bb.856:
	v_lshlrev_b32_e32 v23, 2, v21
	ds_read_b32 v23, v23 offset:12480
	ds_read_b32 v24, v22
	s_waitcnt lgkmcnt(0)
	v_fmac_f32_e32 v25, v23, v24
.LBB104_857:
	s_or_b64 exec, exec, s[0:1]
	s_barrier
	s_mov_b64 s[0:1], exec
	v_readlane_b32 s12, v33, 7
	v_readlane_b32 s13, v33, 8
	s_and_b64 s[12:13], s[0:1], s[12:13]
	s_mov_b64 exec, s[12:13]
; %bb.858:
	ds_write_b32 v22, v25
; %bb.859:
	s_or_b64 exec, exec, s[0:1]
	s_waitcnt lgkmcnt(0)
	s_barrier
	s_mov_b64 s[0:1], exec
	v_readlane_b32 s12, v33, 9
	v_readlane_b32 s13, v33, 10
	s_and_b64 s[12:13], s[0:1], s[12:13]
	s_mov_b64 exec, s[12:13]
	s_cbranch_execz .LBB104_861
; %bb.860:
	v_lshlrev_b32_e32 v23, 2, v21
	ds_read_b32 v23, v23 offset:12736
	ds_read_b32 v24, v22
	s_waitcnt lgkmcnt(0)
	v_fmac_f32_e32 v25, v23, v24
.LBB104_861:
	s_or_b64 exec, exec, s[0:1]
	s_barrier
	;; [unrolled: 26-line block ×14, first 2 shown]
	s_mov_b64 s[0:1], exec
	v_readlane_b32 s12, v33, 59
	v_readlane_b32 s13, v33, 60
	s_and_b64 s[12:13], s[0:1], s[12:13]
	s_mov_b64 exec, s[12:13]
; %bb.910:
	ds_write_b32 v22, v25
; %bb.911:
	s_or_b64 exec, exec, s[0:1]
	s_waitcnt lgkmcnt(0)
	s_barrier
	s_and_saveexec_b64 s[0:1], s[88:89]
	s_cbranch_execz .LBB104_913
; %bb.912:
	v_mov_b32_e32 v21, 0
	ds_read_b32 v21, v21 offset:16124
	ds_read_b32 v23, v22
	s_waitcnt lgkmcnt(0)
	v_fmac_f32_e32 v25, v21, v23
.LBB104_913:
	s_or_b64 exec, exec, s[0:1]
	s_barrier
	s_and_saveexec_b64 s[0:1], s[88:89]
; %bb.914:
	ds_write_b32 v22, v25
; %bb.915:
	s_or_b64 exec, exec, s[0:1]
	s_waitcnt lgkmcnt(0)
	s_barrier
	s_barrier
	s_and_saveexec_b64 s[0:1], s[10:11]
; %bb.916:
	v_xor_b32_e32 v21, 0x80000000, v25
	ds_write_b32 v20, v21 offset:8384
; %bb.917:
	s_or_b64 exec, exec, s[0:1]
	s_waitcnt lgkmcnt(0)
	s_barrier
	s_barrier
	s_mov_b64 s[0:1], exec
	v_readlane_b32 s10, v33, 61
	v_readlane_b32 s11, v33, 62
	s_and_b64 s[10:11], s[0:1], s[10:11]
	s_mov_b64 exec, s[10:11]
	s_cbranch_execz .LBB104_919
; %bb.918:
	v_lshlrev_b32_e32 v20, 8, v0
	ds_read_b32 v21, v20 offset:8384
	s_movk_i32 s10, 0xff04
	v_mad_i32_i24 v22, v0, s10, v20
	s_waitcnt lgkmcnt(0)
	ds_write_b32 v22, v21 offset:12416
	ds_read_b32 v21, v20 offset:8388
	s_waitcnt lgkmcnt(0)
	ds_write_b32 v22, v21 offset:12672
	ds_read_b32 v21, v20 offset:8392
	;; [unrolled: 3-line block ×15, first 2 shown]
	s_waitcnt lgkmcnt(0)
	ds_write_b32 v22, v20 offset:16256
.LBB104_919:
	s_or_b64 exec, exec, s[0:1]
	s_waitcnt lgkmcnt(0)
	s_barrier
	s_and_saveexec_b64 s[0:1], vcc
	s_cbranch_execz .LBB104_921
; %bb.920:
	v_mov_b32_e32 v22, 0
	ds_read_b32 v20, v22 offset:12484
	v_mov_b32_e32 v21, 1.0
	ds_write_b32 v22, v21 offset:12480
	s_waitcnt lgkmcnt(1)
	ds_write_b64 v22, v[20:21] offset:12736
.LBB104_921:
	s_or_b64 exec, exec, s[0:1]
	v_mov_b32_e32 v20, 0
	s_waitcnt lgkmcnt(0)
	s_barrier
	s_and_saveexec_b64 s[0:1], s[2:3]
	s_cbranch_execz .LBB104_925
; %bb.922:
	v_mul_u32_u24_e32 v20, 0x104, v5
	ds_read_b32 v22, v2 offset:12488
	ds_read_b32 v20, v20 offset:12480
	v_mov_b32_e32 v21, 0
	v_cmp_gt_u32_e64 s[10:11], 2, v4
	s_waitcnt lgkmcnt(0)
	v_fma_f32 v20, v22, v20, 0
	s_and_saveexec_b64 s[12:13], s[10:11]
	s_cbranch_execz .LBB104_924
; %bb.923:
	v_lshlrev_b32_e32 v22, 2, v0
	ds_read_b32 v22, v22 offset:12744
	ds_read_b32 v21, v21 offset:12484
	s_waitcnt lgkmcnt(0)
	v_fmac_f32_e32 v20, v22, v21
.LBB104_924:
	s_or_b64 exec, exec, s[12:13]
	v_xor_b32_e32 v20, 0x80000000, v20
.LBB104_925:
	s_or_b64 exec, exec, s[0:1]
	s_and_saveexec_b64 s[0:1], s[40:41]
; %bb.926:
	ds_write_b32 v3, v20
; %bb.927:
	s_or_b64 exec, exec, s[0:1]
	s_waitcnt lgkmcnt(0)
	s_barrier
	s_and_saveexec_b64 s[0:1], s[38:39]
	s_cbranch_execz .LBB104_929
; %bb.928:
	v_mov_b32_e32 v21, 0
	ds_read_b32 v21, v21 offset:13004
	ds_read_b32 v22, v3
	s_waitcnt lgkmcnt(0)
	v_fmac_f32_e32 v20, v21, v22
.LBB104_929:
	s_or_b64 exec, exec, s[0:1]
	s_barrier
	s_and_saveexec_b64 s[0:1], s[38:39]
; %bb.930:
	ds_write_b32 v3, v20
; %bb.931:
	s_or_b64 exec, exec, s[0:1]
	s_waitcnt lgkmcnt(0)
	s_barrier
	s_barrier
	s_and_saveexec_b64 s[0:1], s[2:3]
; %bb.932:
	v_xor_b32_e32 v20, 0x80000000, v20
	ds_write_b32 v2, v20 offset:12488
; %bb.933:
	s_or_b64 exec, exec, s[0:1]
	s_waitcnt lgkmcnt(0)
	s_barrier
	s_barrier
	s_and_saveexec_b64 s[0:1], s[42:43]
	s_cbranch_execz .LBB104_935
; %bb.934:
	v_lshlrev_b32_e32 v20, 2, v0
	s_movk_i32 s10, 0xfc
	v_mad_u32_u24 v21, v0, s10, v20
	ds_read_b32 v22, v21 offset:12488
	s_waitcnt lgkmcnt(0)
	ds_write_b32 v20, v22 offset:12992
	ds_read_b32 v21, v21 offset:12492
	s_waitcnt lgkmcnt(0)
	ds_write_b32 v20, v21 offset:13248
.LBB104_935:
	s_or_b64 exec, exec, s[0:1]
	s_waitcnt lgkmcnt(0)
	s_barrier
	s_and_saveexec_b64 s[0:1], vcc
	s_cbranch_execz .LBB104_937
; %bb.936:
	v_mov_b32_e32 v22, 0
	ds_read_b32 v20, v22 offset:13004
	v_mov_b32_e32 v21, 1.0
	ds_write_b32 v22, v21 offset:13000
	s_waitcnt lgkmcnt(1)
	ds_write_b64 v22, v[20:21] offset:13256
.LBB104_937:
	s_or_b64 exec, exec, s[0:1]
	v_mov_b32_e32 v20, 0
	s_waitcnt lgkmcnt(0)
	s_barrier
	s_and_saveexec_b64 s[0:1], s[18:19]
	s_cbranch_execz .LBB104_943
; %bb.938:
	v_mul_u32_u24_e32 v21, 0x104, v14
	ds_read_b32 v20, v10 offset:12496
	ds_read_b32 v22, v21 offset:12480
	v_cmp_gt_u32_e64 s[10:11], 12, v4
	s_waitcnt lgkmcnt(0)
	v_fma_f32 v20, v20, v22, 0
	s_and_saveexec_b64 s[12:13], s[10:11]
	s_cbranch_execnz .LBB104_1210
; %bb.939:
	s_or_b64 exec, exec, s[12:13]
	v_cmp_gt_u32_e64 s[10:11], 8, v4
	s_and_saveexec_b64 s[12:13], s[10:11]
	s_cbranch_execnz .LBB104_1211
.LBB104_940:
	s_or_b64 exec, exec, s[12:13]
	v_cmp_gt_u32_e64 s[10:11], 4, v4
	s_and_saveexec_b64 s[12:13], s[10:11]
	s_cbranch_execz .LBB104_942
.LBB104_941:
	v_lshlrev_b32_e32 v21, 2, v0
	v_mov_b32_e32 v22, 0
	ds_read_b32 v21, v21 offset:13264
	ds_read_b32 v22, v22 offset:12492
	s_waitcnt lgkmcnt(0)
	v_fmac_f32_e32 v20, v21, v22
.LBB104_942:
	s_or_b64 exec, exec, s[12:13]
	v_xor_b32_e32 v20, 0x80000000, v20
.LBB104_943:
	s_or_b64 exec, exec, s[0:1]
	s_and_saveexec_b64 s[0:1], s[46:47]
; %bb.944:
	ds_write_b32 v12, v20
; %bb.945:
	s_or_b64 exec, exec, s[0:1]
	s_waitcnt lgkmcnt(0)
	s_barrier
	s_and_saveexec_b64 s[0:1], s[48:49]
	s_cbranch_execz .LBB104_947
; %bb.946:
	ds_read_b32 v21, v11 offset:13520
	ds_read_b32 v22, v12
	s_waitcnt lgkmcnt(0)
	v_fmac_f32_e32 v20, v21, v22
.LBB104_947:
	s_or_b64 exec, exec, s[0:1]
	s_barrier
	s_and_saveexec_b64 s[0:1], s[50:51]
; %bb.948:
	ds_write_b32 v12, v20
; %bb.949:
	s_or_b64 exec, exec, s[0:1]
	s_waitcnt lgkmcnt(0)
	s_barrier
	s_and_saveexec_b64 s[0:1], s[52:53]
	s_cbranch_execz .LBB104_951
; %bb.950:
	ds_read_b32 v21, v11 offset:13776
	ds_read_b32 v22, v12
	s_waitcnt lgkmcnt(0)
	v_fmac_f32_e32 v20, v21, v22
.LBB104_951:
	s_or_b64 exec, exec, s[0:1]
	s_barrier
	s_and_saveexec_b64 s[0:1], s[54:55]
; %bb.952:
	ds_write_b32 v12, v20
; %bb.953:
	s_or_b64 exec, exec, s[0:1]
	s_waitcnt lgkmcnt(0)
	s_barrier
	s_and_saveexec_b64 s[0:1], s[44:45]
	s_cbranch_execz .LBB104_955
; %bb.954:
	v_mov_b32_e32 v21, 0
	ds_read_b32 v21, v21 offset:14044
	ds_read_b32 v22, v12
	s_waitcnt lgkmcnt(0)
	v_fmac_f32_e32 v20, v21, v22
.LBB104_955:
	s_or_b64 exec, exec, s[0:1]
	s_barrier
	s_and_saveexec_b64 s[0:1], s[44:45]
; %bb.956:
	ds_write_b32 v12, v20
; %bb.957:
	s_or_b64 exec, exec, s[0:1]
	s_waitcnt lgkmcnt(0)
	s_barrier
	s_barrier
	s_and_saveexec_b64 s[0:1], s[18:19]
; %bb.958:
	v_xor_b32_e32 v20, 0x80000000, v20
	ds_write_b32 v10, v20 offset:12496
; %bb.959:
	s_or_b64 exec, exec, s[0:1]
	s_waitcnt lgkmcnt(0)
	s_barrier
	s_barrier
	s_and_saveexec_b64 s[0:1], s[56:57]
	s_cbranch_execz .LBB104_961
; %bb.960:
	v_lshlrev_b32_e32 v20, 8, v0
	ds_read_b32 v21, v20 offset:12496
	s_movk_i32 s10, 0xff04
	v_mad_i32_i24 v22, v0, s10, v20
	s_waitcnt lgkmcnt(0)
	ds_write_b32 v22, v21 offset:13504
	ds_read_b32 v21, v20 offset:12500
	s_waitcnt lgkmcnt(0)
	ds_write_b32 v22, v21 offset:13760
	ds_read_b32 v21, v20 offset:12504
	s_waitcnt lgkmcnt(0)
	ds_write_b32 v22, v21 offset:14016
	ds_read_b32 v20, v20 offset:12508
	s_waitcnt lgkmcnt(0)
	ds_write_b32 v22, v20 offset:14272
.LBB104_961:
	s_or_b64 exec, exec, s[0:1]
	s_waitcnt lgkmcnt(0)
	s_barrier
	s_and_saveexec_b64 s[0:1], vcc
	s_cbranch_execz .LBB104_963
; %bb.962:
	v_mov_b32_e32 v22, 0
	ds_read_b32 v20, v22 offset:13524
	v_mov_b32_e32 v21, 1.0
	ds_write_b32 v22, v21 offset:13520
	s_waitcnt lgkmcnt(1)
	ds_write_b64 v22, v[20:21] offset:13776
.LBB104_963:
	s_or_b64 exec, exec, s[0:1]
	v_mov_b32_e32 v20, 0
	s_waitcnt lgkmcnt(0)
	s_barrier
	s_and_saveexec_b64 s[0:1], s[2:3]
	s_cbranch_execz .LBB104_967
; %bb.964:
	v_mul_u32_u24_e32 v20, 0x104, v5
	ds_read_b32 v22, v2 offset:13528
	ds_read_b32 v20, v20 offset:13520
	v_mov_b32_e32 v21, 0
	v_cmp_gt_u32_e64 s[10:11], 2, v4
	s_waitcnt lgkmcnt(0)
	v_fma_f32 v20, v22, v20, 0
	s_and_saveexec_b64 s[12:13], s[10:11]
	s_cbranch_execz .LBB104_966
; %bb.965:
	v_lshlrev_b32_e32 v22, 2, v0
	ds_read_b32 v22, v22 offset:13784
	ds_read_b32 v21, v21 offset:13524
	s_waitcnt lgkmcnt(0)
	v_fmac_f32_e32 v20, v22, v21
.LBB104_966:
	s_or_b64 exec, exec, s[12:13]
	v_xor_b32_e32 v20, 0x80000000, v20
.LBB104_967:
	s_or_b64 exec, exec, s[0:1]
	s_and_saveexec_b64 s[0:1], s[40:41]
; %bb.968:
	ds_write_b32 v3, v20
; %bb.969:
	s_or_b64 exec, exec, s[0:1]
	s_waitcnt lgkmcnt(0)
	s_barrier
	s_and_saveexec_b64 s[0:1], s[38:39]
	s_cbranch_execz .LBB104_971
; %bb.970:
	v_mov_b32_e32 v21, 0
	ds_read_b32 v21, v21 offset:14044
	ds_read_b32 v22, v3
	s_waitcnt lgkmcnt(0)
	v_fmac_f32_e32 v20, v21, v22
.LBB104_971:
	s_or_b64 exec, exec, s[0:1]
	s_barrier
	s_and_saveexec_b64 s[0:1], s[38:39]
; %bb.972:
	ds_write_b32 v3, v20
; %bb.973:
	s_or_b64 exec, exec, s[0:1]
	s_waitcnt lgkmcnt(0)
	s_barrier
	s_barrier
	s_and_saveexec_b64 s[0:1], s[2:3]
; %bb.974:
	v_xor_b32_e32 v20, 0x80000000, v20
	ds_write_b32 v2, v20 offset:13528
; %bb.975:
	s_or_b64 exec, exec, s[0:1]
	s_waitcnt lgkmcnt(0)
	s_barrier
	s_barrier
	s_and_saveexec_b64 s[0:1], s[42:43]
	s_cbranch_execz .LBB104_977
; %bb.976:
	v_lshlrev_b32_e32 v20, 2, v0
	s_movk_i32 s10, 0xfc
	v_mad_u32_u24 v21, v0, s10, v20
	ds_read_b32 v22, v21 offset:13528
	s_waitcnt lgkmcnt(0)
	ds_write_b32 v20, v22 offset:14032
	ds_read_b32 v21, v21 offset:13532
	s_waitcnt lgkmcnt(0)
	ds_write_b32 v20, v21 offset:14288
.LBB104_977:
	s_or_b64 exec, exec, s[0:1]
	s_waitcnt lgkmcnt(0)
	s_barrier
	s_and_saveexec_b64 s[0:1], vcc
	s_cbranch_execz .LBB104_979
; %bb.978:
	v_mov_b32_e32 v22, 0
	ds_read_b32 v20, v22 offset:14044
	v_mov_b32_e32 v21, 1.0
	ds_write_b32 v22, v21 offset:14040
	s_waitcnt lgkmcnt(1)
	ds_write_b64 v22, v[20:21] offset:14296
.LBB104_979:
	s_or_b64 exec, exec, s[0:1]
	v_mov_b32_e32 v20, 0
	s_waitcnt lgkmcnt(0)
	s_barrier
	s_and_saveexec_b64 s[0:1], s[8:9]
	s_cbranch_execz .LBB104_989
; %bb.980:
	v_mul_u32_u24_e32 v21, 0x104, v19
	ds_read_b32 v20, v15 offset:12512
	ds_read_b32 v22, v21 offset:12480
	v_cmp_gt_u32_e64 s[10:11], 56, v4
	s_waitcnt lgkmcnt(0)
	v_fma_f32 v20, v20, v22, 0
	s_and_saveexec_b64 s[12:13], s[10:11]
	s_cbranch_execnz .LBB104_1212
; %bb.981:
	s_or_b64 exec, exec, s[12:13]
	v_cmp_gt_u32_e64 s[10:11], 48, v4
	s_and_saveexec_b64 s[12:13], s[10:11]
	s_cbranch_execnz .LBB104_1213
.LBB104_982:
	s_or_b64 exec, exec, s[12:13]
	v_cmp_gt_u32_e64 s[10:11], 40, v4
	s_and_saveexec_b64 s[12:13], s[10:11]
	s_cbranch_execnz .LBB104_1214
.LBB104_983:
	s_or_b64 exec, exec, s[12:13]
	v_cmp_gt_u32_e64 s[10:11], 32, v4
	s_and_saveexec_b64 s[12:13], s[10:11]
	s_cbranch_execnz .LBB104_1215
.LBB104_984:
	s_or_b64 exec, exec, s[12:13]
	v_cmp_gt_u32_e64 s[10:11], 24, v4
	s_and_saveexec_b64 s[12:13], s[10:11]
	s_cbranch_execnz .LBB104_1216
.LBB104_985:
	s_or_b64 exec, exec, s[12:13]
	v_cmp_gt_u32_e64 s[10:11], 16, v4
	s_and_saveexec_b64 s[12:13], s[10:11]
	s_cbranch_execnz .LBB104_1217
.LBB104_986:
	s_or_b64 exec, exec, s[12:13]
	v_cmp_gt_u32_e64 s[10:11], 8, v4
	s_and_saveexec_b64 s[12:13], s[10:11]
	s_cbranch_execz .LBB104_988
.LBB104_987:
	v_lshlrev_b32_e32 v18, 2, v0
	v_mov_b32_e32 v19, 0
	ds_read_b32 v18, v18 offset:14304
	ds_read_b32 v19, v19 offset:12508
	s_waitcnt lgkmcnt(0)
	v_fmac_f32_e32 v20, v18, v19
.LBB104_988:
	s_or_b64 exec, exec, s[12:13]
	v_xor_b32_e32 v20, 0x80000000, v20
.LBB104_989:
	s_or_b64 exec, exec, s[0:1]
	s_and_saveexec_b64 s[0:1], s[58:59]
; %bb.990:
	ds_write_b32 v17, v20
; %bb.991:
	s_or_b64 exec, exec, s[0:1]
	s_waitcnt lgkmcnt(0)
	s_barrier
	s_and_saveexec_b64 s[0:1], s[60:61]
	s_cbranch_execz .LBB104_993
; %bb.992:
	ds_read_b32 v18, v16 offset:14560
	ds_read_b32 v19, v17
	s_waitcnt lgkmcnt(0)
	v_fmac_f32_e32 v20, v18, v19
.LBB104_993:
	s_or_b64 exec, exec, s[0:1]
	s_barrier
	s_and_saveexec_b64 s[0:1], s[62:63]
; %bb.994:
	ds_write_b32 v17, v20
; %bb.995:
	s_or_b64 exec, exec, s[0:1]
	s_waitcnt lgkmcnt(0)
	s_barrier
	s_and_saveexec_b64 s[0:1], s[64:65]
	s_cbranch_execz .LBB104_997
; %bb.996:
	ds_read_b32 v18, v16 offset:14816
	ds_read_b32 v19, v17
	s_waitcnt lgkmcnt(0)
	v_fmac_f32_e32 v20, v18, v19
.LBB104_997:
	s_or_b64 exec, exec, s[0:1]
	s_barrier
	;; [unrolled: 17-line block ×6, first 2 shown]
	s_and_saveexec_b64 s[0:1], s[84:85]
; %bb.1014:
	ds_write_b32 v17, v20
; %bb.1015:
	s_or_b64 exec, exec, s[0:1]
	s_waitcnt lgkmcnt(0)
	s_barrier
	s_and_saveexec_b64 s[0:1], s[66:67]
	s_cbranch_execz .LBB104_1017
; %bb.1016:
	v_mov_b32_e32 v16, 0
	ds_read_b32 v16, v16 offset:16124
	ds_read_b32 v18, v17
	s_waitcnt lgkmcnt(0)
	v_fmac_f32_e32 v20, v16, v18
.LBB104_1017:
	s_or_b64 exec, exec, s[0:1]
	s_barrier
	s_and_saveexec_b64 s[0:1], s[66:67]
; %bb.1018:
	ds_write_b32 v17, v20
; %bb.1019:
	s_or_b64 exec, exec, s[0:1]
	s_waitcnt lgkmcnt(0)
	s_barrier
	s_barrier
	s_and_saveexec_b64 s[0:1], s[8:9]
; %bb.1020:
	v_xor_b32_e32 v16, 0x80000000, v20
	ds_write_b32 v15, v16 offset:12512
; %bb.1021:
	s_or_b64 exec, exec, s[0:1]
	s_waitcnt lgkmcnt(0)
	s_barrier
	s_barrier
	s_and_saveexec_b64 s[0:1], s[86:87]
	s_cbranch_execz .LBB104_1023
; %bb.1022:
	v_lshlrev_b32_e32 v15, 8, v0
	ds_read_b32 v16, v15 offset:12512
	s_movk_i32 s8, 0xff04
	v_mad_i32_i24 v17, v0, s8, v15
	s_waitcnt lgkmcnt(0)
	ds_write_b32 v17, v16 offset:14528
	ds_read_b32 v16, v15 offset:12516
	s_waitcnt lgkmcnt(0)
	ds_write_b32 v17, v16 offset:14784
	ds_read_b32 v16, v15 offset:12520
	;; [unrolled: 3-line block ×7, first 2 shown]
	s_waitcnt lgkmcnt(0)
	ds_write_b32 v17, v15 offset:16320
.LBB104_1023:
	s_or_b64 exec, exec, s[0:1]
	s_waitcnt lgkmcnt(0)
	s_barrier
	s_and_saveexec_b64 s[0:1], vcc
	s_cbranch_execz .LBB104_1025
; %bb.1024:
	v_mov_b32_e32 v17, 0
	ds_read_b32 v15, v17 offset:14564
	v_mov_b32_e32 v16, 1.0
	ds_write_b32 v17, v16 offset:14560
	s_waitcnt lgkmcnt(1)
	ds_write_b64 v17, v[15:16] offset:14816
.LBB104_1025:
	s_or_b64 exec, exec, s[0:1]
	v_mov_b32_e32 v15, 0
	s_waitcnt lgkmcnt(0)
	s_barrier
	s_and_saveexec_b64 s[0:1], s[2:3]
	s_cbranch_execz .LBB104_1029
; %bb.1026:
	v_mul_u32_u24_e32 v15, 0x104, v5
	ds_read_b32 v17, v2 offset:14568
	ds_read_b32 v15, v15 offset:14560
	v_mov_b32_e32 v16, 0
	v_cmp_gt_u32_e64 s[8:9], 2, v4
	s_waitcnt lgkmcnt(0)
	v_fma_f32 v15, v17, v15, 0
	s_and_saveexec_b64 s[10:11], s[8:9]
	s_cbranch_execz .LBB104_1028
; %bb.1027:
	v_lshlrev_b32_e32 v17, 2, v0
	ds_read_b32 v17, v17 offset:14824
	ds_read_b32 v16, v16 offset:14564
	s_waitcnt lgkmcnt(0)
	v_fmac_f32_e32 v15, v17, v16
.LBB104_1028:
	s_or_b64 exec, exec, s[10:11]
	v_xor_b32_e32 v15, 0x80000000, v15
.LBB104_1029:
	s_or_b64 exec, exec, s[0:1]
	s_and_saveexec_b64 s[0:1], s[40:41]
; %bb.1030:
	ds_write_b32 v3, v15
; %bb.1031:
	s_or_b64 exec, exec, s[0:1]
	s_waitcnt lgkmcnt(0)
	s_barrier
	s_and_saveexec_b64 s[0:1], s[38:39]
	s_cbranch_execz .LBB104_1033
; %bb.1032:
	v_mov_b32_e32 v16, 0
	ds_read_b32 v16, v16 offset:15084
	ds_read_b32 v17, v3
	s_waitcnt lgkmcnt(0)
	v_fmac_f32_e32 v15, v16, v17
.LBB104_1033:
	s_or_b64 exec, exec, s[0:1]
	s_barrier
	s_and_saveexec_b64 s[0:1], s[38:39]
; %bb.1034:
	ds_write_b32 v3, v15
; %bb.1035:
	s_or_b64 exec, exec, s[0:1]
	s_waitcnt lgkmcnt(0)
	s_barrier
	s_barrier
	s_and_saveexec_b64 s[0:1], s[2:3]
; %bb.1036:
	v_xor_b32_e32 v15, 0x80000000, v15
	ds_write_b32 v2, v15 offset:14568
; %bb.1037:
	s_or_b64 exec, exec, s[0:1]
	s_waitcnt lgkmcnt(0)
	s_barrier
	s_barrier
	s_and_saveexec_b64 s[0:1], s[42:43]
	s_cbranch_execz .LBB104_1039
; %bb.1038:
	v_lshlrev_b32_e32 v15, 2, v0
	s_movk_i32 s8, 0xfc
	v_mad_u32_u24 v16, v0, s8, v15
	ds_read_b32 v17, v16 offset:14568
	s_waitcnt lgkmcnt(0)
	ds_write_b32 v15, v17 offset:15072
	ds_read_b32 v16, v16 offset:14572
	s_waitcnt lgkmcnt(0)
	ds_write_b32 v15, v16 offset:15328
.LBB104_1039:
	s_or_b64 exec, exec, s[0:1]
	s_waitcnt lgkmcnt(0)
	s_barrier
	s_and_saveexec_b64 s[0:1], vcc
	s_cbranch_execz .LBB104_1041
; %bb.1040:
	v_mov_b32_e32 v17, 0
	ds_read_b32 v15, v17 offset:15084
	v_mov_b32_e32 v16, 1.0
	ds_write_b32 v17, v16 offset:15080
	s_waitcnt lgkmcnt(1)
	ds_write_b64 v17, v[15:16] offset:15336
.LBB104_1041:
	s_or_b64 exec, exec, s[0:1]
	v_mov_b32_e32 v15, 0
	s_waitcnt lgkmcnt(0)
	s_barrier
	s_and_saveexec_b64 s[0:1], s[18:19]
	s_cbranch_execz .LBB104_1047
; %bb.1042:
	v_mul_u32_u24_e32 v16, 0x104, v14
	ds_read_b32 v15, v10 offset:14576
	ds_read_b32 v17, v16 offset:14560
	v_cmp_gt_u32_e64 s[8:9], 12, v4
	s_waitcnt lgkmcnt(0)
	v_fma_f32 v15, v15, v17, 0
	s_and_saveexec_b64 s[10:11], s[8:9]
	s_cbranch_execnz .LBB104_1218
; %bb.1043:
	s_or_b64 exec, exec, s[10:11]
	v_cmp_gt_u32_e64 s[8:9], 8, v4
	s_and_saveexec_b64 s[10:11], s[8:9]
	s_cbranch_execnz .LBB104_1219
.LBB104_1044:
	s_or_b64 exec, exec, s[10:11]
	v_cmp_gt_u32_e64 s[8:9], 4, v4
	s_and_saveexec_b64 s[10:11], s[8:9]
	s_cbranch_execz .LBB104_1046
.LBB104_1045:
	v_lshlrev_b32_e32 v13, 2, v0
	v_mov_b32_e32 v14, 0
	ds_read_b32 v13, v13 offset:15344
	ds_read_b32 v14, v14 offset:14572
	s_waitcnt lgkmcnt(0)
	v_fmac_f32_e32 v15, v13, v14
.LBB104_1046:
	s_or_b64 exec, exec, s[10:11]
	v_xor_b32_e32 v15, 0x80000000, v15
.LBB104_1047:
	s_or_b64 exec, exec, s[0:1]
	s_and_saveexec_b64 s[0:1], s[46:47]
; %bb.1048:
	ds_write_b32 v12, v15
; %bb.1049:
	s_or_b64 exec, exec, s[0:1]
	s_waitcnt lgkmcnt(0)
	s_barrier
	s_and_saveexec_b64 s[0:1], s[48:49]
	s_cbranch_execz .LBB104_1051
; %bb.1050:
	ds_read_b32 v13, v11 offset:15600
	ds_read_b32 v14, v12
	s_waitcnt lgkmcnt(0)
	v_fmac_f32_e32 v15, v13, v14
.LBB104_1051:
	s_or_b64 exec, exec, s[0:1]
	s_barrier
	s_and_saveexec_b64 s[0:1], s[50:51]
; %bb.1052:
	ds_write_b32 v12, v15
; %bb.1053:
	s_or_b64 exec, exec, s[0:1]
	s_waitcnt lgkmcnt(0)
	s_barrier
	s_and_saveexec_b64 s[0:1], s[52:53]
	s_cbranch_execz .LBB104_1055
; %bb.1054:
	ds_read_b32 v11, v11 offset:15856
	ds_read_b32 v13, v12
	s_waitcnt lgkmcnt(0)
	v_fmac_f32_e32 v15, v11, v13
.LBB104_1055:
	s_or_b64 exec, exec, s[0:1]
	s_barrier
	s_and_saveexec_b64 s[0:1], s[54:55]
; %bb.1056:
	ds_write_b32 v12, v15
; %bb.1057:
	s_or_b64 exec, exec, s[0:1]
	s_waitcnt lgkmcnt(0)
	s_barrier
	s_and_saveexec_b64 s[0:1], s[44:45]
	s_cbranch_execz .LBB104_1059
; %bb.1058:
	v_mov_b32_e32 v11, 0
	ds_read_b32 v11, v11 offset:16124
	ds_read_b32 v13, v12
	s_waitcnt lgkmcnt(0)
	v_fmac_f32_e32 v15, v11, v13
.LBB104_1059:
	s_or_b64 exec, exec, s[0:1]
	s_barrier
	s_and_saveexec_b64 s[0:1], s[44:45]
; %bb.1060:
	ds_write_b32 v12, v15
; %bb.1061:
	s_or_b64 exec, exec, s[0:1]
	s_waitcnt lgkmcnt(0)
	s_barrier
	s_barrier
	s_and_saveexec_b64 s[0:1], s[18:19]
; %bb.1062:
	v_xor_b32_e32 v11, 0x80000000, v15
	ds_write_b32 v10, v11 offset:14576
; %bb.1063:
	s_or_b64 exec, exec, s[0:1]
	s_waitcnt lgkmcnt(0)
	s_barrier
	s_barrier
	s_and_saveexec_b64 s[0:1], s[56:57]
	s_cbranch_execz .LBB104_1065
; %bb.1064:
	v_lshlrev_b32_e32 v10, 8, v0
	ds_read_b32 v11, v10 offset:14576
	s_movk_i32 s8, 0xff04
	v_mad_i32_i24 v12, v0, s8, v10
	s_waitcnt lgkmcnt(0)
	ds_write_b32 v12, v11 offset:15584
	ds_read_b32 v11, v10 offset:14580
	s_waitcnt lgkmcnt(0)
	ds_write_b32 v12, v11 offset:15840
	ds_read_b32 v11, v10 offset:14584
	s_waitcnt lgkmcnt(0)
	ds_write_b32 v12, v11 offset:16096
	ds_read_b32 v10, v10 offset:14588
	s_waitcnt lgkmcnt(0)
	ds_write_b32 v12, v10 offset:16352
.LBB104_1065:
	s_or_b64 exec, exec, s[0:1]
	s_waitcnt lgkmcnt(0)
	s_barrier
	s_and_saveexec_b64 s[0:1], vcc
	s_cbranch_execz .LBB104_1067
; %bb.1066:
	v_mov_b32_e32 v12, 0
	ds_read_b32 v10, v12 offset:15604
	v_mov_b32_e32 v11, 1.0
	ds_write_b32 v12, v11 offset:15600
	s_waitcnt lgkmcnt(1)
	ds_write_b64 v12, v[10:11] offset:15856
.LBB104_1067:
	s_or_b64 exec, exec, s[0:1]
	v_mov_b32_e32 v10, 0
	s_waitcnt lgkmcnt(0)
	s_barrier
	s_and_saveexec_b64 s[0:1], s[2:3]
	s_cbranch_execz .LBB104_1071
; %bb.1068:
	v_mul_u32_u24_e32 v5, 0x104, v5
	ds_read_b32 v11, v2 offset:15608
	ds_read_b32 v5, v5 offset:15600
	v_mov_b32_e32 v10, 0
	v_cmp_gt_u32_e64 s[8:9], 2, v4
	s_waitcnt lgkmcnt(0)
	v_fma_f32 v5, v11, v5, 0
	s_and_saveexec_b64 s[10:11], s[8:9]
	s_cbranch_execz .LBB104_1070
; %bb.1069:
	v_lshlrev_b32_e32 v4, 2, v0
	ds_read_b32 v4, v4 offset:15864
	ds_read_b32 v10, v10 offset:15604
	s_waitcnt lgkmcnt(0)
	v_fmac_f32_e32 v5, v4, v10
.LBB104_1070:
	s_or_b64 exec, exec, s[10:11]
	v_xor_b32_e32 v10, 0x80000000, v5
.LBB104_1071:
	s_or_b64 exec, exec, s[0:1]
	s_and_saveexec_b64 s[0:1], s[40:41]
; %bb.1072:
	ds_write_b32 v3, v10
; %bb.1073:
	s_or_b64 exec, exec, s[0:1]
	s_waitcnt lgkmcnt(0)
	s_barrier
	s_and_saveexec_b64 s[0:1], s[38:39]
	v_readlane_b32 s40, v33, 0
	v_readlane_b32 s16, v33, 2
	;; [unrolled: 1-line block ×3, first 2 shown]
	s_cbranch_execz .LBB104_1075
; %bb.1074:
	v_mov_b32_e32 v4, 0
	ds_read_b32 v4, v4 offset:16124
	ds_read_b32 v5, v3
	s_waitcnt lgkmcnt(0)
	v_fmac_f32_e32 v10, v4, v5
.LBB104_1075:
	s_or_b64 exec, exec, s[0:1]
	s_barrier
	s_and_saveexec_b64 s[0:1], s[38:39]
; %bb.1076:
	ds_write_b32 v3, v10
; %bb.1077:
	s_or_b64 exec, exec, s[0:1]
	s_waitcnt lgkmcnt(0)
	s_barrier
	s_barrier
	s_and_saveexec_b64 s[0:1], s[2:3]
; %bb.1078:
	v_xor_b32_e32 v3, 0x80000000, v10
	ds_write_b32 v2, v3 offset:15608
; %bb.1079:
	s_or_b64 exec, exec, s[0:1]
	s_waitcnt lgkmcnt(0)
	s_barrier
	s_barrier
	s_and_saveexec_b64 s[0:1], s[42:43]
	s_cbranch_execz .LBB104_1081
; %bb.1080:
	v_lshlrev_b32_e32 v2, 2, v0
	s_movk_i32 s2, 0xfc
	v_mad_u32_u24 v3, v0, s2, v2
	ds_read_b32 v4, v3 offset:15608
	s_waitcnt lgkmcnt(0)
	ds_write_b32 v2, v4 offset:16112
	ds_read_b32 v3, v3 offset:15612
	s_waitcnt lgkmcnt(0)
	ds_write_b32 v2, v3 offset:16368
.LBB104_1081:
	s_or_b64 exec, exec, s[0:1]
	s_waitcnt lgkmcnt(0)
	s_barrier
	s_and_saveexec_b64 s[0:1], vcc
	s_cbranch_execz .LBB104_1083
; %bb.1082:
	v_mov_b32_e32 v4, 0
	ds_read_b32 v2, v4 offset:16124
	v_mov_b32_e32 v3, 1.0
	ds_write_b32 v4, v3 offset:16120
	s_waitcnt lgkmcnt(1)
	ds_write_b64 v4, v[2:3] offset:16376
.LBB104_1083:
	s_or_b64 exec, exec, s[0:1]
.LBB104_1084:
	s_lshl_b64 s[0:1], s[24:25], 2
	s_add_u32 s20, s36, s0
	v_cmp_le_i32_e32 vcc, s90, v0
	s_addc_u32 s21, s37, s1
	s_and_b64 s[14:15], vcc, s[22:23]
	v_cmp_eq_u32_e64 s[2:3], 0, v1
	s_xor_b64 s[0:1], s[14:15], -1
	s_and_b64 s[8:9], s[2:3], s[0:1]
	v_mov_b32_e32 v11, 0
	v_lshl_add_u32 v2, s33, 6, v0
	s_waitcnt lgkmcnt(0)
	s_barrier
	s_and_saveexec_b64 s[0:1], s[8:9]
	s_cbranch_execz .LBB104_1086
; %bb.1085:
	v_ashrrev_i32_e32 v5, 31, v2
	v_mul_lo_u32 v10, s27, v2
	v_mad_u64_u32 v[3:4], s[8:9], s26, v2, 0
	v_mul_lo_u32 v5, s26, v5
	v_add3_u32 v4, v4, v5, v10
	v_lshlrev_b64 v[3:4], 2, v[3:4]
	v_mov_b32_e32 v5, s21
	v_add_co_u32_e32 v3, vcc, s20, v3
	v_addc_co_u32_e32 v4, vcc, v5, v4, vcc
	flat_load_dword v3, v[3:4]
	s_waitcnt vmcnt(0) lgkmcnt(0)
	v_mul_f32_e64 v11, v3, -s16
.LBB104_1086:
	s_or_b64 exec, exec, s[0:1]
	s_load_dwordx2 s[0:1], s[4:5], 0x50
	s_and_b32 s4, 0xffff, s93
	v_mad_u32_u24 v10, v1, s4, v0
	s_cmp_lt_i32 s6, 1
	v_cmp_eq_u32_e64 s[4:5], 0, v10
	s_cbranch_scc1 .LBB104_1112
; %bb.1087:
	v_ashrrev_i32_e32 v5, 31, v2
	v_mul_lo_u32 v12, s35, v2
	v_mad_u64_u32 v[3:4], s[8:9], s34, v2, 0
	v_mul_lo_u32 v5, s34, v5
	s_lshl_b64 s[8:9], s[28:29], 2
	s_waitcnt lgkmcnt(0)
	s_add_u32 s16, s0, s8
	s_addc_u32 s17, s1, s9
	v_add3_u32 v4, v4, v5, v12
	v_cmp_gt_i32_e64 s[8:9], s30, v2
	v_lshlrev_b64 v[2:3], 2, v[3:4]
	v_mov_b32_e32 v5, 0x5000
	v_mov_b32_e32 v4, s92
	v_add_co_u32_e32 v14, vcc, s91, v2
	s_mov_b32 s24, 0
	v_cmp_gt_u32_e64 s[12:13], 64, v10
	v_lshl_add_u32 v12, v10, 2, v5
	v_lshl_or_b32 v13, v1, 2, v5
	s_add_i32 s25, s33, 1
	v_addc_co_u32_e32 v15, vcc, v4, v3, vcc
	v_mov_b32_e32 v17, -1
	v_mov_b32_e32 v16, 0
	s_branch .LBB104_1090
.LBB104_1088:                           ;   in Loop: Header=BB104_1090 Depth=1
	ds_read_b32 v2, v13 offset:192
	s_waitcnt vmcnt(0) lgkmcnt(0)
	v_fmac_f32_e32 v11, v4, v2
.LBB104_1089:                           ;   in Loop: Header=BB104_1090 Depth=1
	s_or_b64 exec, exec, s[18:19]
	s_add_i32 s24, s24, 1
	s_cmp_eq_u32 s24, s6
	s_cbranch_scc1 .LBB104_1112
.LBB104_1090:                           ; =>This Loop Header: Depth=1
                                        ;     Child Loop BB104_1092 Depth 2
	v_cmp_gt_i32_e32 vcc, s24, v17
	s_and_b64 s[18:19], s[4:5], vcc
	s_and_saveexec_b64 s[10:11], s[18:19]
	s_cbranch_execz .LBB104_1093
; %bb.1091:                             ;   in Loop: Header=BB104_1090 Depth=1
	global_load_dword v17, v16, s[16:17]
	s_waitcnt vmcnt(0)
	v_cmp_le_i32_e32 vcc, s24, v17
	s_cbranch_vccnz .LBB104_1093
.LBB104_1092:                           ;   Parent Loop BB104_1090 Depth=1
                                        ; =>  This Inner Loop Header: Depth=2
	buffer_wbinvl1_vol
	global_load_dword v17, v16, s[16:17]
	s_waitcnt vmcnt(0)
	v_cmp_gt_i32_e32 vcc, s24, v17
	s_cbranch_vccnz .LBB104_1092
.LBB104_1093:                           ;   in Loop: Header=BB104_1090 Depth=1
	s_or_b64 exec, exec, s[10:11]
	s_sub_i32 s34, s7, s24
	s_lshl_b32 s35, s34, 6
	buffer_wbinvl1_vol
	s_barrier
	s_and_saveexec_b64 s[10:11], s[12:13]
	s_cbranch_execz .LBB104_1097
; %bb.1094:                             ;   in Loop: Header=BB104_1090 Depth=1
	s_ashr_i32 s18, s35, 31
	v_mov_b32_e32 v3, s18
	v_or_b32_e32 v2, s35, v10
	v_cmp_gt_i64_e32 vcc, s[30:31], v[2:3]
	v_mov_b32_e32 v4, 0
	s_and_saveexec_b64 s[18:19], vcc
	s_cbranch_execz .LBB104_1096
; %bb.1095:                             ;   in Loop: Header=BB104_1090 Depth=1
	v_mul_lo_u32 v4, v3, s26
	v_mul_lo_u32 v5, v2, s27
	v_mad_u64_u32 v[2:3], s[36:37], v2, s26, 0
	v_add3_u32 v3, v3, v5, v4
	v_lshlrev_b64 v[2:3], 2, v[2:3]
	v_mov_b32_e32 v4, s21
	v_add_co_u32_e32 v2, vcc, s20, v2
	v_addc_co_u32_e32 v3, vcc, v4, v3, vcc
	flat_load_dword v4, v[2:3]
.LBB104_1096:                           ;   in Loop: Header=BB104_1090 Depth=1
	s_or_b64 exec, exec, s[18:19]
	s_waitcnt vmcnt(0) lgkmcnt(0)
	ds_write_b32 v12, v4
.LBB104_1097:                           ;   in Loop: Header=BB104_1090 Depth=1
	s_or_b64 exec, exec, s[10:11]
	v_add_u32_e32 v4, s35, v1
	v_ashrrev_i32_e32 v5, 31, v4
	v_lshlrev_b64 v[2:3], 2, v[4:5]
	s_cmp_lg_u32 s34, s25
	v_add_co_u32_e32 v2, vcc, v14, v2
	s_cselect_b64 s[10:11], -1, 0
	v_addc_co_u32_e32 v3, vcc, v15, v3, vcc
	v_cmp_gt_i32_e32 vcc, s30, v4
	v_cndmask_b32_e64 v5, 0, 1, s[10:11]
	s_and_b64 s[34:35], vcc, s[8:9]
	v_cmp_ne_u32_e64 s[10:11], 1, v5
	s_waitcnt lgkmcnt(0)
	s_barrier
	s_and_saveexec_b64 s[18:19], s[34:35]
	s_cbranch_execz .LBB104_1101
; %bb.1098:                             ;   in Loop: Header=BB104_1090 Depth=1
	s_and_b64 vcc, exec, s[10:11]
	v_mov_b32_e32 v5, v7
	s_cbranch_vccnz .LBB104_1100
; %bb.1099:                             ;   in Loop: Header=BB104_1090 Depth=1
	flat_load_dword v5, v[2:3]
.LBB104_1100:                           ;   in Loop: Header=BB104_1090 Depth=1
	ds_read_b32 v18, v13
	s_waitcnt vmcnt(0) lgkmcnt(0)
	v_fmac_f32_e32 v11, v5, v18
.LBB104_1101:                           ;   in Loop: Header=BB104_1090 Depth=1
	s_or_b64 exec, exec, s[18:19]
	v_add_u32_e32 v5, 16, v4
	v_cmp_gt_i32_e32 vcc, s30, v5
	s_and_b64 s[34:35], vcc, s[8:9]
	s_and_saveexec_b64 s[18:19], s[34:35]
	s_cbranch_execz .LBB104_1105
; %bb.1102:                             ;   in Loop: Header=BB104_1090 Depth=1
	s_and_b64 vcc, exec, s[10:11]
	v_mov_b32_e32 v5, v6
	s_cbranch_vccnz .LBB104_1104
; %bb.1103:                             ;   in Loop: Header=BB104_1090 Depth=1
	flat_load_dword v5, v[2:3] offset:64
.LBB104_1104:                           ;   in Loop: Header=BB104_1090 Depth=1
	ds_read_b32 v18, v13 offset:64
	s_waitcnt vmcnt(0) lgkmcnt(0)
	v_fmac_f32_e32 v11, v5, v18
.LBB104_1105:                           ;   in Loop: Header=BB104_1090 Depth=1
	s_or_b64 exec, exec, s[18:19]
	v_add_u32_e32 v5, 32, v4
	v_cmp_gt_i32_e32 vcc, s30, v5
	s_and_b64 s[34:35], vcc, s[8:9]
	s_and_saveexec_b64 s[18:19], s[34:35]
	s_cbranch_execz .LBB104_1109
; %bb.1106:                             ;   in Loop: Header=BB104_1090 Depth=1
	s_and_b64 vcc, exec, s[10:11]
	v_mov_b32_e32 v5, v9
	s_cbranch_vccnz .LBB104_1108
; %bb.1107:                             ;   in Loop: Header=BB104_1090 Depth=1
	flat_load_dword v5, v[2:3] offset:128
.LBB104_1108:                           ;   in Loop: Header=BB104_1090 Depth=1
	ds_read_b32 v18, v13 offset:128
	s_waitcnt vmcnt(0) lgkmcnt(0)
	v_fmac_f32_e32 v11, v5, v18
.LBB104_1109:                           ;   in Loop: Header=BB104_1090 Depth=1
	s_or_b64 exec, exec, s[18:19]
	v_add_u32_e32 v4, 48, v4
	v_cmp_gt_i32_e32 vcc, s30, v4
	s_and_b64 s[34:35], vcc, s[8:9]
	s_and_saveexec_b64 s[18:19], s[34:35]
	s_cbranch_execz .LBB104_1089
; %bb.1110:                             ;   in Loop: Header=BB104_1090 Depth=1
	s_and_b64 vcc, exec, s[10:11]
	v_mov_b32_e32 v4, v8
	s_cbranch_vccnz .LBB104_1088
; %bb.1111:                             ;   in Loop: Header=BB104_1090 Depth=1
	flat_load_dword v4, v[2:3] offset:192
	s_branch .LBB104_1088
.LBB104_1112:
	v_lshl_add_u32 v2, v1, 6, v0
	s_xor_b64 s[4:5], s[22:23], -1
	v_lshlrev_b32_e32 v2, 2, v2
	ds_write_b32 v2, v11 offset:16384
	s_waitcnt lgkmcnt(0)
	s_barrier
	s_and_saveexec_b64 s[6:7], s[2:3]
	s_cbranch_execz .LBB104_1114
; %bb.1113:
	v_lshlrev_b32_e32 v9, 2, v0
	ds_read2st64_b32 v[3:4], v9 offset0:65 offset1:66
	ds_read2st64_b32 v[5:6], v9 offset0:67 offset1:68
	ds_read2st64_b32 v[7:8], v9 offset0:69 offset1:70
	ds_read2st64_b32 v[12:13], v9 offset0:71 offset1:72
	ds_read2st64_b32 v[14:15], v9 offset0:73 offset1:74
	s_waitcnt lgkmcnt(4)
	v_add_f32_e32 v3, v11, v3
	v_add_f32_e32 v3, v3, v4
	s_waitcnt lgkmcnt(3)
	v_add_f32_e32 v3, v3, v5
	v_add_f32_e32 v3, v3, v6
	;; [unrolled: 3-line block ×4, first 2 shown]
	ds_read2st64_b32 v[3:4], v9 offset0:75 offset1:76
	ds_read2st64_b32 v[5:6], v9 offset0:77 offset1:78
	ds_read_b32 v8, v9 offset:20224
	s_waitcnt lgkmcnt(3)
	v_add_f32_e32 v7, v7, v14
	v_add_f32_e32 v7, v7, v15
	s_waitcnt lgkmcnt(2)
	v_add_f32_e32 v3, v7, v3
	v_add_f32_e32 v3, v3, v4
	;; [unrolled: 3-line block ×3, first 2 shown]
	s_waitcnt lgkmcnt(0)
	v_add_f32_e32 v3, v3, v8
	v_cndmask_b32_e64 v11, -v3, 0, s[14:15]
.LBB104_1114:
	s_or_b64 exec, exec, s[6:7]
	s_and_b64 vcc, exec, s[40:41]
	s_cbranch_vccnz .LBB104_1128
; %bb.1115:
	v_mov_b32_e32 v3, 0x5000
	v_lshl_or_b32 v4, v1, 2, v3
	s_and_saveexec_b64 s[6:7], s[2:3]
; %bb.1116:
	v_lshl_add_u32 v3, v0, 2, v4
	ds_write_b32 v3, v11
; %bb.1117:
	s_or_b64 exec, exec, s[6:7]
	v_cmp_le_u32_e32 vcc, v0, v1
	v_mov_b32_e32 v3, 0
	s_waitcnt lgkmcnt(0)
	s_barrier
	s_and_saveexec_b64 s[6:7], vcc
	s_cbranch_execz .LBB104_1119
; %bb.1118:
	ds_read_b32 v3, v2
	ds_read_b32 v5, v4
	s_waitcnt lgkmcnt(0)
	v_fma_f32 v3, v3, v5, 0
.LBB104_1119:
	s_or_b64 exec, exec, s[6:7]
	v_add_u32_e32 v5, 16, v1
	v_cmp_le_u32_e32 vcc, v0, v5
	s_and_saveexec_b64 s[6:7], vcc
	s_cbranch_execz .LBB104_1121
; %bb.1120:
	ds_read_b32 v5, v2 offset:4096
	ds_read_b32 v6, v4 offset:64
	s_waitcnt lgkmcnt(0)
	v_fmac_f32_e32 v3, v5, v6
.LBB104_1121:
	s_or_b64 exec, exec, s[6:7]
	v_add_u32_e32 v5, 32, v1
	v_cmp_le_u32_e32 vcc, v0, v5
	s_and_saveexec_b64 s[6:7], vcc
	s_cbranch_execz .LBB104_1123
; %bb.1122:
	ds_read_b32 v5, v2 offset:8192
	ds_read_b32 v6, v4 offset:128
	s_waitcnt lgkmcnt(0)
	v_fmac_f32_e32 v3, v5, v6
.LBB104_1123:
	s_or_b64 exec, exec, s[6:7]
	v_add_u32_e32 v1, 48, v1
	v_add_u32_e32 v5, 0x4000, v2
	v_cmp_le_u32_e32 vcc, v0, v1
	s_and_saveexec_b64 s[6:7], vcc
	s_cbranch_execz .LBB104_1125
; %bb.1124:
	ds_read_b32 v1, v2 offset:12288
	ds_read_b32 v2, v4 offset:192
	s_waitcnt lgkmcnt(0)
	v_fmac_f32_e32 v3, v1, v2
.LBB104_1125:
	s_or_b64 exec, exec, s[6:7]
	s_mov_b64 s[8:9], 0
	s_mov_b64 s[6:7], 0
	ds_write_b32 v5, v3
	s_waitcnt lgkmcnt(0)
	s_barrier
                                        ; implicit-def: $vgpr1
	s_and_saveexec_b64 s[10:11], s[2:3]
	s_cbranch_execz .LBB104_1166
; %bb.1126:
	v_lshlrev_b32_e32 v12, 2, v0
	ds_read2st64_b32 v[1:2], v12 offset0:65 offset1:66
	ds_read2st64_b32 v[4:5], v12 offset0:67 offset1:68
	;; [unrolled: 1-line block ×4, first 2 shown]
	s_mov_b64 s[6:7], exec
	s_waitcnt lgkmcnt(3)
	v_add_f32_e32 v1, v3, v1
	v_add_f32_e32 v1, v2, v1
	s_waitcnt lgkmcnt(2)
	v_add_f32_e32 v1, v4, v1
	v_add_f32_e32 v1, v5, v1
	s_waitcnt lgkmcnt(1)
	v_add_f32_e32 v1, v6, v1
	v_add_f32_e32 v1, v7, v1
	s_waitcnt lgkmcnt(0)
	v_add_f32_e32 v3, v8, v1
	ds_read2st64_b32 v[1:2], v12 offset0:73 offset1:74
	v_add_f32_e32 v7, v9, v3
	ds_read2st64_b32 v[3:4], v12 offset0:75 offset1:76
	ds_read2st64_b32 v[5:6], v12 offset0:77 offset1:78
	ds_read_b32 v8, v12 offset:20224
	s_waitcnt lgkmcnt(3)
	v_add_f32_e32 v1, v1, v7
	v_add_f32_e32 v1, v2, v1
	s_waitcnt lgkmcnt(2)
	v_add_f32_e32 v1, v3, v1
	v_add_f32_e32 v1, v4, v1
	;; [unrolled: 3-line block ×3, first 2 shown]
	s_waitcnt lgkmcnt(0)
	v_add_f32_e32 v1, v8, v1
	s_or_b64 exec, exec, s[10:11]
	s_and_b64 vcc, exec, s[8:9]
	s_cbranch_vccnz .LBB104_1129
	s_branch .LBB104_1167
.LBB104_1127:
	v_mad_u64_u32 v[11:12], s[2:3], s34, v5, 0
	s_or_b64 s[10:11], s[10:11], exec
	v_mov_b32_e32 v4, v12
	v_mad_u64_u32 v[4:5], s[2:3], s35, v5, v[4:5]
	v_mov_b32_e32 v12, v4
	v_lshlrev_b64 v[4:5], 2, v[11:12]
	v_add_co_u32_e32 v2, vcc, v2, v4
	v_addc_co_u32_e32 v3, vcc, v3, v5, vcc
	flat_load_dword v2, v[2:3]
	s_waitcnt vmcnt(0) lgkmcnt(0)
	v_xor_b32_e32 v4, 0x80000000, v2
	s_or_b64 exec, exec, s[8:9]
	s_xor_b64 s[0:1], s[0:1], -1
	s_and_saveexec_b64 s[2:3], s[10:11]
	s_cbranch_execnz .LBB104_45
	s_branch .LBB104_46
.LBB104_1128:
	s_mov_b64 s[6:7], 0
                                        ; implicit-def: $vgpr1
	s_cbranch_execz .LBB104_1167
.LBB104_1129:
	v_mov_b32_e32 v1, 0x3c00
	v_lshl_add_u32 v1, v0, 2, v1
	v_mov_b32_e32 v3, 63
	v_mov_b32_e32 v2, 0
	s_branch .LBB104_1131
.LBB104_1130:                           ;   in Loop: Header=BB104_1131 Depth=1
	s_or_b64 exec, exec, s[8:9]
	v_subrev_co_u32_e32 v3, vcc, 1, v3
	s_andn2_b64 vcc, exec, vcc
	v_add_u32_e32 v1, 0xfffffc00, v1
	s_barrier
	s_cbranch_vccz .LBB104_1147
.LBB104_1131:                           ; =>This Inner Loop Header: Depth=1
	v_cmp_eq_u32_e32 vcc, v0, v3
	s_and_b64 s[10:11], s[2:3], vcc
	s_and_saveexec_b64 s[8:9], s[10:11]
; %bb.1132:                             ;   in Loop: Header=BB104_1131 Depth=1
	ds_write_b32 v2, v11 offset:20736
; %bb.1133:                             ;   in Loop: Header=BB104_1131 Depth=1
	s_or_b64 exec, exec, s[8:9]
	v_cmp_lt_u32_e32 vcc, v0, v3
	s_and_b64 s[10:11], s[2:3], vcc
	s_waitcnt lgkmcnt(0)
	s_barrier
	s_and_saveexec_b64 s[8:9], s[10:11]
	s_cbranch_execz .LBB104_1135
; %bb.1134:                             ;   in Loop: Header=BB104_1131 Depth=1
	ds_read_b32 v4, v1 offset:768
	ds_read_b32 v5, v2 offset:20736
	s_waitcnt lgkmcnt(0)
	v_fmac_f32_e32 v11, v4, v5
.LBB104_1135:                           ;   in Loop: Header=BB104_1131 Depth=1
	s_or_b64 exec, exec, s[8:9]
	v_add_u32_e32 v3, -1, v3
	v_cmp_eq_u32_e32 vcc, v0, v3
	s_and_b64 s[10:11], s[2:3], vcc
	s_barrier
	s_and_saveexec_b64 s[8:9], s[10:11]
; %bb.1136:                             ;   in Loop: Header=BB104_1131 Depth=1
	ds_write_b32 v2, v11 offset:20736
; %bb.1137:                             ;   in Loop: Header=BB104_1131 Depth=1
	s_or_b64 exec, exec, s[8:9]
	v_cmp_lt_u32_e32 vcc, v0, v3
	s_and_b64 s[10:11], s[2:3], vcc
	s_waitcnt lgkmcnt(0)
	s_barrier
	s_and_saveexec_b64 s[8:9], s[10:11]
	s_cbranch_execz .LBB104_1139
; %bb.1138:                             ;   in Loop: Header=BB104_1131 Depth=1
	ds_read_b32 v4, v1 offset:512
	ds_read_b32 v5, v2 offset:20736
	s_waitcnt lgkmcnt(0)
	v_fmac_f32_e32 v11, v4, v5
.LBB104_1139:                           ;   in Loop: Header=BB104_1131 Depth=1
	s_or_b64 exec, exec, s[8:9]
	v_add_u32_e32 v3, -1, v3
	v_cmp_eq_u32_e32 vcc, v0, v3
	s_and_b64 s[10:11], s[2:3], vcc
	s_barrier
	;; [unrolled: 22-line block ×3, first 2 shown]
	s_and_saveexec_b64 s[8:9], s[10:11]
; %bb.1144:                             ;   in Loop: Header=BB104_1131 Depth=1
	ds_write_b32 v2, v11 offset:20736
; %bb.1145:                             ;   in Loop: Header=BB104_1131 Depth=1
	s_or_b64 exec, exec, s[8:9]
	v_cmp_lt_u32_e32 vcc, v0, v3
	s_and_b64 s[10:11], s[2:3], vcc
	s_waitcnt lgkmcnt(0)
	s_barrier
	s_and_saveexec_b64 s[8:9], s[10:11]
	s_cbranch_execz .LBB104_1130
; %bb.1146:                             ;   in Loop: Header=BB104_1131 Depth=1
	ds_read_b32 v4, v1
	ds_read_b32 v5, v2 offset:20736
	s_waitcnt lgkmcnt(0)
	v_fmac_f32_e32 v11, v4, v5
	s_branch .LBB104_1130
.LBB104_1147:
	s_mov_b64 s[8:9], -1
	s_and_b64 vcc, exec, s[4:5]
	s_cbranch_vccnz .LBB104_1168
; %bb.1148:
	s_andn2_b64 vcc, exec, s[8:9]
	s_cbranch_vccz .LBB104_1169
.LBB104_1149:
	s_and_saveexec_b64 s[2:3], s[6:7]
	s_cbranch_execz .LBB104_1151
.LBB104_1150:
	s_lshl_b32 s4, s33, 6
	s_ashr_i32 s5, s4, 31
	v_mov_b32_e32 v0, s5
	v_add_co_u32_e32 v1, vcc, s4, v10
	v_addc_co_u32_e32 v0, vcc, 0, v0, vcc
	v_mul_lo_u32 v2, v0, s26
	v_mul_lo_u32 v3, v1, s27
	v_mad_u64_u32 v[0:1], s[4:5], v1, s26, 0
	v_add3_u32 v1, v1, v3, v2
	v_lshlrev_b64 v[0:1], 2, v[0:1]
	v_mov_b32_e32 v2, s21
	v_add_co_u32_e32 v0, vcc, s20, v0
	v_addc_co_u32_e32 v1, vcc, v2, v1, vcc
	flat_store_dword v[0:1], v11
.LBB104_1151:
	s_or_b64 exec, exec, s[2:3]
	v_cmp_eq_u32_e32 vcc, 0, v10
	s_waitcnt vmcnt(0) lgkmcnt(0)
	buffer_wbinvl1_vol
	s_barrier
	s_and_saveexec_b64 s[2:3], vcc
	s_cbranch_execz .LBB104_1153
; %bb.1152:
	s_lshl_b64 s[4:5], s[28:29], 2
	s_add_u32 s0, s0, s4
	s_addc_u32 s1, s1, s5
	v_mov_b32_e32 v0, 0
	global_load_dword v1, v0, s[0:1]
	s_waitcnt vmcnt(0)
	v_add_u32_e32 v1, 1, v1
	global_store_dword v0, v1, s[0:1]
.LBB104_1153:
	s_or_b64 exec, exec, s[2:3]
	s_waitcnt vmcnt(0)
	buffer_wbinvl1_vol
	s_endpgm
.LBB104_1154:
	v_or_b32_e32 v10, v1, v0
	v_cmp_gt_u32_e32 vcc, 64, v10
	s_and_b64 s[10:11], vcc, exec
	s_andn2_saveexec_b64 s[8:9], s[8:9]
	s_cbranch_execz .LBB104_14
.LBB104_1155:
	v_mad_u64_u32 v[10:11], s[12:13], s34, v1, 0
	s_or_b64 s[10:11], s[10:11], exec
	v_mov_b32_e32 v5, v11
	v_mad_u64_u32 v[11:12], s[12:13], s35, v1, v[5:6]
	v_lshlrev_b64 v[10:11], 2, v[10:11]
	v_add_co_u32_e32 v10, vcc, v2, v10
	v_addc_co_u32_e32 v11, vcc, v3, v11, vcc
	flat_load_dword v5, v[10:11]
	s_waitcnt vmcnt(0) lgkmcnt(0)
	v_xor_b32_e32 v5, 0x80000000, v5
	s_or_b64 exec, exec, s[8:9]
	s_and_saveexec_b64 s[8:9], s[10:11]
	s_cbranch_execnz .LBB104_15
	s_branch .LBB104_16
.LBB104_1156:
	v_or_b32_e32 v10, v5, v0
	v_cmp_gt_u32_e32 vcc, 64, v10
	s_and_b64 s[2:3], vcc, exec
	s_or_saveexec_b64 s[8:9], s[8:9]
	v_mov_b32_e32 v10, 0
	s_xor_b64 exec, exec, s[8:9]
	s_cbranch_execz .LBB104_18
.LBB104_1157:
	v_mad_u64_u32 v[10:11], s[10:11], s34, v5, 0
	s_or_b64 s[2:3], s[2:3], exec
	v_mad_u64_u32 v[11:12], s[10:11], s35, v5, v[11:12]
	v_lshlrev_b64 v[10:11], 2, v[10:11]
	v_add_co_u32_e32 v10, vcc, v2, v10
	v_addc_co_u32_e32 v11, vcc, v3, v11, vcc
	flat_load_dword v10, v[10:11]
	s_waitcnt vmcnt(0) lgkmcnt(0)
	v_xor_b32_e32 v10, 0x80000000, v10
	s_or_b64 exec, exec, s[8:9]
	s_and_saveexec_b64 s[8:9], s[2:3]
	s_cbranch_execnz .LBB104_19
	s_branch .LBB104_20
.LBB104_1158:
	v_or_b32_e32 v10, v5, v0
	v_cmp_gt_u32_e32 vcc, 64, v10
	s_and_b64 s[2:3], vcc, exec
	s_or_saveexec_b64 s[8:9], s[8:9]
	v_mov_b32_e32 v10, 0
	s_xor_b64 exec, exec, s[8:9]
	s_cbranch_execz .LBB104_22
.LBB104_1159:
	v_mad_u64_u32 v[10:11], s[10:11], s34, v5, 0
	s_or_b64 s[2:3], s[2:3], exec
	v_mad_u64_u32 v[11:12], s[10:11], s35, v5, v[11:12]
	v_lshlrev_b64 v[10:11], 2, v[10:11]
	v_add_co_u32_e32 v10, vcc, v2, v10
	v_addc_co_u32_e32 v11, vcc, v3, v11, vcc
	flat_load_dword v10, v[10:11]
	s_waitcnt vmcnt(0) lgkmcnt(0)
	v_xor_b32_e32 v10, 0x80000000, v10
	s_or_b64 exec, exec, s[8:9]
	s_and_saveexec_b64 s[8:9], s[2:3]
	s_cbranch_execnz .LBB104_23
	s_branch .LBB104_24
.LBB104_1160:
	v_or_b32_e32 v10, v1, v0
	v_cmp_gt_u32_e64 s[2:3], 64, v10
	s_and_b64 s[8:9], s[2:3], exec
	s_andn2_saveexec_b64 s[12:13], s[12:13]
	s_cbranch_execz .LBB104_30
.LBB104_1161:
	v_mad_u64_u32 v[10:11], s[2:3], s34, v1, 0
	s_or_b64 s[8:9], s[8:9], exec
	v_mov_b32_e32 v5, v11
	v_mad_u64_u32 v[11:12], s[2:3], s35, v1, v[5:6]
	v_lshlrev_b64 v[10:11], 2, v[10:11]
	v_add_co_u32_e64 v10, s[2:3], v2, v10
	v_addc_co_u32_e64 v11, s[2:3], v3, v11, s[2:3]
	flat_load_dword v5, v[10:11]
	s_waitcnt vmcnt(0) lgkmcnt(0)
	v_xor_b32_e32 v5, 0x80000000, v5
	s_or_b64 exec, exec, s[12:13]
	s_and_saveexec_b64 s[2:3], s[8:9]
	s_cbranch_execnz .LBB104_31
	s_branch .LBB104_32
.LBB104_1162:
	v_or_b32_e32 v10, v5, v0
	v_cmp_gt_u32_e64 s[2:3], 64, v10
	s_and_b64 s[8:9], s[2:3], exec
	s_or_saveexec_b64 s[12:13], s[12:13]
	v_mov_b32_e32 v10, 0
	s_xor_b64 exec, exec, s[12:13]
	s_cbranch_execz .LBB104_34
.LBB104_1163:
	v_mad_u64_u32 v[10:11], s[2:3], s34, v5, 0
	s_or_b64 s[8:9], s[8:9], exec
	v_mad_u64_u32 v[11:12], s[2:3], s35, v5, v[11:12]
	v_lshlrev_b64 v[10:11], 2, v[10:11]
	v_add_co_u32_e64 v10, s[2:3], v2, v10
	v_addc_co_u32_e64 v11, s[2:3], v3, v11, s[2:3]
	flat_load_dword v10, v[10:11]
	s_waitcnt vmcnt(0) lgkmcnt(0)
	v_xor_b32_e32 v10, 0x80000000, v10
	s_or_b64 exec, exec, s[12:13]
	s_and_saveexec_b64 s[2:3], s[8:9]
	s_cbranch_execnz .LBB104_35
	s_branch .LBB104_36
.LBB104_1164:
	v_or_b32_e32 v10, v5, v0
	v_cmp_gt_u32_e64 s[2:3], 64, v10
	s_and_b64 s[8:9], s[2:3], exec
	s_or_saveexec_b64 s[12:13], s[12:13]
	v_mov_b32_e32 v10, 0
	s_xor_b64 exec, exec, s[12:13]
	s_cbranch_execz .LBB104_38
.LBB104_1165:
	v_mad_u64_u32 v[10:11], s[2:3], s34, v5, 0
	s_or_b64 s[8:9], s[8:9], exec
	v_mad_u64_u32 v[11:12], s[2:3], s35, v5, v[11:12]
	v_lshlrev_b64 v[10:11], 2, v[10:11]
	v_add_co_u32_e64 v10, s[2:3], v2, v10
	v_addc_co_u32_e64 v11, s[2:3], v3, v11, s[2:3]
	flat_load_dword v10, v[10:11]
	s_waitcnt vmcnt(0) lgkmcnt(0)
	v_xor_b32_e32 v10, 0x80000000, v10
	s_or_b64 exec, exec, s[12:13]
	s_and_saveexec_b64 s[2:3], s[8:9]
	s_cbranch_execnz .LBB104_39
	s_branch .LBB104_40
.LBB104_1166:
	s_or_b64 exec, exec, s[10:11]
	s_and_b64 vcc, exec, s[8:9]
	s_cbranch_vccnz .LBB104_1129
.LBB104_1167:
	v_mov_b32_e32 v11, v1
	s_and_saveexec_b64 s[2:3], s[6:7]
	s_cbranch_execnz .LBB104_1150
	s_branch .LBB104_1151
.LBB104_1168:
	s_andn2_b64 s[4:5], s[6:7], exec
	s_and_b64 s[6:7], s[2:3], exec
	s_or_b64 s[6:7], s[4:5], s[6:7]
	s_cbranch_execnz .LBB104_1149
.LBB104_1169:
	v_cmp_gt_i32_e32 vcc, s90, v0
	s_and_b64 s[2:3], s[2:3], vcc
	s_andn2_b64 s[4:5], s[6:7], exec
	s_and_b64 s[2:3], s[2:3], exec
	s_or_b64 s[6:7], s[4:5], s[2:3]
	s_and_saveexec_b64 s[2:3], s[6:7]
	s_cbranch_execnz .LBB104_1150
	s_branch .LBB104_1151
.LBB104_1170:
	v_lshlrev_b32_e32 v16, 2, v14
	v_sub_u32_e32 v16, v15, v16
	v_lshl_add_u32 v16, v13, 2, v16
	ds_read_b32 v16, v16 offset:272
	ds_read_b32 v17, v15 offset:4
	s_waitcnt lgkmcnt(0)
	v_fmac_f32_e32 v12, v16, v17
	s_or_b64 exec, exec, s[14:15]
	v_cmp_gt_u32_e64 s[10:11], 8, v4
	s_and_saveexec_b64 s[14:15], s[10:11]
	s_cbranch_execz .LBB104_68
.LBB104_1171:
	ds_read_b32 v16, v10 offset:528
	ds_read_b32 v15, v15 offset:8
	s_waitcnt lgkmcnt(0)
	v_fmac_f32_e32 v12, v16, v15
	s_or_b64 exec, exec, s[14:15]
	v_cmp_gt_u32_e64 s[10:11], 4, v4
	s_and_saveexec_b64 s[14:15], s[10:11]
	s_cbranch_execnz .LBB104_69
	s_branch .LBB104_70
.LBB104_1172:
	v_lshlrev_b32_e32 v21, 2, v19
	v_sub_u32_e32 v21, v20, v21
	v_lshl_add_u32 v21, v18, 2, v21
	ds_read_b32 v21, v21 offset:288
	ds_read_b32 v22, v20 offset:4
	s_waitcnt lgkmcnt(0)
	v_fmac_f32_e32 v17, v21, v22
	s_or_b64 exec, exec, s[16:17]
	v_cmp_gt_u32_e64 s[14:15], 48, v4
	s_and_saveexec_b64 s[16:17], s[14:15]
	s_cbranch_execz .LBB104_110
.LBB104_1173:
	v_lshlrev_b32_e32 v21, 2, v19
	v_sub_u32_e32 v21, v20, v21
	v_lshl_add_u32 v21, v18, 2, v21
	ds_read_b32 v21, v21 offset:544
	ds_read_b32 v22, v20 offset:8
	s_waitcnt lgkmcnt(0)
	v_fmac_f32_e32 v17, v21, v22
	s_or_b64 exec, exec, s[16:17]
	v_cmp_gt_u32_e64 s[14:15], 40, v4
	s_and_saveexec_b64 s[16:17], s[14:15]
	s_cbranch_execz .LBB104_111
.LBB104_1174:
	v_lshlrev_b32_e32 v21, 2, v19
	v_sub_u32_e32 v21, v20, v21
	v_lshl_add_u32 v21, v18, 2, v21
	ds_read_b32 v21, v21 offset:800
	ds_read_b32 v22, v20 offset:12
	s_waitcnt lgkmcnt(0)
	v_fmac_f32_e32 v17, v21, v22
	s_or_b64 exec, exec, s[16:17]
	v_cmp_gt_u32_e64 s[14:15], 32, v4
	s_and_saveexec_b64 s[16:17], s[14:15]
	s_cbranch_execz .LBB104_112
.LBB104_1175:
	ds_read_b32 v21, v15 offset:1056
	ds_read_b32 v22, v20 offset:16
	s_waitcnt lgkmcnt(0)
	v_fmac_f32_e32 v17, v21, v22
	s_or_b64 exec, exec, s[16:17]
	v_cmp_gt_u32_e64 s[14:15], 24, v4
	s_and_saveexec_b64 s[16:17], s[14:15]
	s_cbranch_execz .LBB104_113
.LBB104_1176:
	v_lshlrev_b32_e32 v21, 2, v19
	v_sub_u32_e32 v21, v20, v21
	v_lshl_add_u32 v21, v18, 2, v21
	ds_read_b32 v21, v21 offset:1312
	ds_read_b32 v22, v20 offset:20
	s_waitcnt lgkmcnt(0)
	v_fmac_f32_e32 v17, v21, v22
	s_or_b64 exec, exec, s[16:17]
	v_cmp_gt_u32_e64 s[14:15], 16, v4
	s_and_saveexec_b64 s[16:17], s[14:15]
	s_cbranch_execz .LBB104_114
.LBB104_1177:
	ds_read_b32 v21, v15 offset:1568
	ds_read_b32 v20, v20 offset:24
	s_waitcnt lgkmcnt(0)
	v_fmac_f32_e32 v17, v21, v20
	s_or_b64 exec, exec, s[16:17]
	v_cmp_gt_u32_e64 s[14:15], 8, v4
	s_and_saveexec_b64 s[16:17], s[14:15]
	s_cbranch_execnz .LBB104_115
	s_branch .LBB104_116
.LBB104_1178:
	v_lshlrev_b32_e32 v22, 2, v14
	v_sub_u32_e32 v22, v21, v22
	v_lshl_add_u32 v22, v13, 2, v22
	ds_read_b32 v22, v22 offset:2352
	ds_read_b32 v23, v21 offset:2084
	s_waitcnt lgkmcnt(0)
	v_fmac_f32_e32 v20, v22, v23
	s_or_b64 exec, exec, s[14:15]
	v_cmp_gt_u32_e64 s[10:11], 8, v4
	s_and_saveexec_b64 s[14:15], s[10:11]
	s_cbranch_execz .LBB104_172
.LBB104_1179:
	ds_read_b32 v22, v10 offset:2608
	ds_read_b32 v21, v21 offset:2088
	s_waitcnt lgkmcnt(0)
	v_fmac_f32_e32 v20, v22, v21
	s_or_b64 exec, exec, s[14:15]
	v_cmp_gt_u32_e64 s[10:11], 4, v4
	s_and_saveexec_b64 s[14:15], s[10:11]
	s_cbranch_execnz .LBB104_173
	s_branch .LBB104_174
.LBB104_1180:
	v_lshlrev_b32_e32 v26, 2, v21
	v_lshl_add_u32 v26, v23, 2, v26
	ds_read_b32 v26, v26 offset:2880
	ds_read_b32 v27, v25 offset:44
	s_waitcnt lgkmcnt(0)
	v_fmac_f32_e32 v22, v26, v27
	s_or_b64 exec, exec, s[20:21]
	v_cmp_gt_u32_e64 s[16:17], 64, v4
	s_and_saveexec_b64 s[20:21], s[16:17]
	s_cbranch_execz .LBB104_234
.LBB104_1181:
	ds_read_b32 v26, v20 offset:3136
	ds_read_b32 v27, v25 offset:48
	s_waitcnt lgkmcnt(0)
	v_fmac_f32_e32 v22, v26, v27
	s_or_b64 exec, exec, s[20:21]
	v_cmp_gt_u32_e64 s[16:17], 48, v4
	s_and_saveexec_b64 s[20:21], s[16:17]
	s_cbranch_execz .LBB104_235
.LBB104_1182:
	v_lshlrev_b32_e32 v26, 2, v21
	v_lshl_add_u32 v26, v23, 2, v26
	ds_read_b32 v26, v26 offset:3392
	ds_read_b32 v27, v25 offset:52
	s_waitcnt lgkmcnt(0)
	v_fmac_f32_e32 v22, v26, v27
	s_or_b64 exec, exec, s[20:21]
	v_cmp_gt_u32_e64 s[16:17], 32, v4
	s_and_saveexec_b64 s[20:21], s[16:17]
	s_cbranch_execz .LBB104_236
.LBB104_1183:
	ds_read_b32 v26, v20 offset:3648
	ds_read_b32 v25, v25 offset:56
	s_waitcnt lgkmcnt(0)
	v_fmac_f32_e32 v22, v26, v25
	s_or_b64 exec, exec, s[20:21]
	v_cmp_gt_u32_e64 s[16:17], 16, v4
	s_and_saveexec_b64 s[20:21], s[16:17]
	s_cbranch_execnz .LBB104_237
	s_branch .LBB104_238
.LBB104_1184:
	v_lshlrev_b32_e32 v27, 2, v14
	v_sub_u32_e32 v27, v26, v27
	v_lshl_add_u32 v27, v13, 2, v27
	ds_read_b32 v27, v27 offset:4432
	ds_read_b32 v28, v26 offset:4164
	s_waitcnt lgkmcnt(0)
	v_fmac_f32_e32 v25, v27, v28
	s_or_b64 exec, exec, s[20:21]
	v_cmp_gt_u32_e64 s[14:15], 8, v4
	s_and_saveexec_b64 s[0:1], s[14:15]
	s_cbranch_execz .LBB104_326
.LBB104_1185:
	ds_read_b32 v27, v10 offset:4688
	ds_read_b32 v26, v26 offset:4168
	s_waitcnt lgkmcnt(0)
	v_fmac_f32_e32 v25, v27, v26
	s_or_b64 exec, exec, s[0:1]
	v_cmp_gt_u32_e64 s[14:15], 4, v4
	s_and_saveexec_b64 s[20:21], s[14:15]
	s_cbranch_execnz .LBB104_327
	s_branch .LBB104_328
.LBB104_1186:
	v_lshlrev_b32_e32 v27, 2, v19
	v_sub_u32_e32 v27, v26, v27
	v_lshl_add_u32 v27, v18, 2, v27
	ds_read_b32 v27, v27 offset:4448
	ds_read_b32 v28, v26 offset:4164
	s_waitcnt lgkmcnt(0)
	v_fmac_f32_e32 v25, v27, v28
	s_or_b64 exec, exec, s[20:21]
	v_cmp_gt_u32_e64 s[14:15], 48, v4
	s_and_saveexec_b64 s[20:21], s[14:15]
	s_cbranch_execz .LBB104_368
.LBB104_1187:
	v_lshlrev_b32_e32 v27, 2, v19
	v_sub_u32_e32 v27, v26, v27
	v_lshl_add_u32 v27, v18, 2, v27
	ds_read_b32 v27, v27 offset:4704
	ds_read_b32 v28, v26 offset:4168
	s_waitcnt lgkmcnt(0)
	v_fmac_f32_e32 v25, v27, v28
	s_or_b64 exec, exec, s[20:21]
	v_cmp_gt_u32_e64 s[14:15], 40, v4
	s_and_saveexec_b64 s[20:21], s[14:15]
	s_cbranch_execz .LBB104_369
.LBB104_1188:
	v_lshlrev_b32_e32 v27, 2, v19
	v_sub_u32_e32 v27, v26, v27
	v_lshl_add_u32 v27, v18, 2, v27
	ds_read_b32 v27, v27 offset:4960
	ds_read_b32 v28, v26 offset:4172
	s_waitcnt lgkmcnt(0)
	v_fmac_f32_e32 v25, v27, v28
	s_or_b64 exec, exec, s[20:21]
	v_cmp_gt_u32_e64 s[14:15], 32, v4
	s_and_saveexec_b64 s[0:1], s[14:15]
	s_cbranch_execz .LBB104_370
.LBB104_1189:
	ds_read_b32 v27, v15 offset:5216
	ds_read_b32 v28, v26 offset:4176
	s_waitcnt lgkmcnt(0)
	v_fmac_f32_e32 v25, v27, v28
	s_or_b64 exec, exec, s[0:1]
	v_cmp_gt_u32_e64 s[14:15], 24, v4
	s_and_saveexec_b64 s[20:21], s[14:15]
	s_cbranch_execz .LBB104_371
.LBB104_1190:
	v_lshlrev_b32_e32 v27, 2, v19
	v_sub_u32_e32 v27, v26, v27
	v_lshl_add_u32 v27, v18, 2, v27
	ds_read_b32 v27, v27 offset:5472
	ds_read_b32 v28, v26 offset:4180
	s_waitcnt lgkmcnt(0)
	v_fmac_f32_e32 v25, v27, v28
	s_or_b64 exec, exec, s[20:21]
	v_cmp_gt_u32_e64 s[14:15], 16, v4
	s_and_saveexec_b64 s[0:1], s[14:15]
	s_cbranch_execz .LBB104_372
.LBB104_1191:
	ds_read_b32 v27, v15 offset:5728
	ds_read_b32 v26, v26 offset:4184
	s_waitcnt lgkmcnt(0)
	v_fmac_f32_e32 v25, v27, v26
	s_or_b64 exec, exec, s[0:1]
	v_cmp_gt_u32_e64 s[14:15], 8, v4
	s_and_saveexec_b64 s[20:21], s[14:15]
	s_cbranch_execnz .LBB104_373
	s_branch .LBB104_374
.LBB104_1192:
	v_lshlrev_b32_e32 v27, 2, v14
	v_sub_u32_e32 v27, v26, v27
	v_lshl_add_u32 v27, v13, 2, v27
	ds_read_b32 v27, v27 offset:6512
	ds_read_b32 v28, v26 offset:6244
	s_waitcnt lgkmcnt(0)
	v_fmac_f32_e32 v25, v27, v28
	s_or_b64 exec, exec, s[20:21]
	v_cmp_gt_u32_e64 s[14:15], 8, v4
	s_and_saveexec_b64 s[0:1], s[14:15]
	s_cbranch_execz .LBB104_430
.LBB104_1193:
	ds_read_b32 v27, v10 offset:6768
	ds_read_b32 v26, v26 offset:6248
	s_waitcnt lgkmcnt(0)
	v_fmac_f32_e32 v25, v27, v26
	s_or_b64 exec, exec, s[0:1]
	v_cmp_gt_u32_e64 s[14:15], 4, v4
	s_and_saveexec_b64 s[20:21], s[14:15]
	s_cbranch_execnz .LBB104_431
	s_branch .LBB104_432
.LBB104_1194:
	ds_read_b32 v31, v25 offset:7552
	ds_read_b32 v32, v30 offset:116
	s_waitcnt lgkmcnt(0)
	v_fmac_f32_e32 v28, v31, v32
	s_or_b64 exec, exec, s[0:1]
	v_cmp_gt_u32_e64 s[20:21], 64, v4
	s_and_saveexec_b64 s[0:1], s[20:21]
	s_cbranch_execz .LBB104_528
.LBB104_1195:
	ds_read_b32 v31, v25 offset:7808
	ds_read_b32 v30, v30 offset:120
	s_waitcnt lgkmcnt(0)
	v_fmac_f32_e32 v28, v31, v30
	s_or_b64 exec, exec, s[0:1]
	v_cmp_gt_u32_e64 s[20:21], 32, v4
	s_and_saveexec_b64 s[0:1], s[20:21]
	s_cbranch_execnz .LBB104_529
	s_branch .LBB104_530
.LBB104_1196:
	v_lshlrev_b32_e32 v27, 2, v14
	v_sub_u32_e32 v27, v26, v27
	v_lshl_add_u32 v27, v13, 2, v27
	ds_read_b32 v27, v27 offset:8592
	ds_read_b32 v28, v26 offset:8324
	s_waitcnt lgkmcnt(0)
	v_fmac_f32_e32 v25, v27, v28
	s_or_b64 exec, exec, s[16:17]
	v_cmp_gt_u32_e64 s[12:13], 8, v4
	s_and_saveexec_b64 s[0:1], s[12:13]
	s_cbranch_execz .LBB104_682
.LBB104_1197:
	ds_read_b32 v27, v10 offset:8848
	ds_read_b32 v26, v26 offset:8328
	s_waitcnt lgkmcnt(0)
	v_fmac_f32_e32 v25, v27, v26
	s_or_b64 exec, exec, s[0:1]
	v_cmp_gt_u32_e64 s[12:13], 4, v4
	s_and_saveexec_b64 s[0:1], s[12:13]
	s_cbranch_execnz .LBB104_683
	s_branch .LBB104_684
.LBB104_1198:
	v_lshlrev_b32_e32 v27, 2, v19
	v_sub_u32_e32 v27, v26, v27
	v_lshl_add_u32 v27, v18, 2, v27
	ds_read_b32 v27, v27 offset:8608
	ds_read_b32 v28, v26 offset:8324
	s_waitcnt lgkmcnt(0)
	v_fmac_f32_e32 v25, v27, v28
	s_or_b64 exec, exec, s[16:17]
	v_cmp_gt_u32_e64 s[12:13], 48, v4
	s_and_saveexec_b64 s[0:1], s[12:13]
	s_cbranch_execz .LBB104_724
.LBB104_1199:
	v_lshlrev_b32_e32 v27, 2, v19
	v_sub_u32_e32 v27, v26, v27
	v_lshl_add_u32 v27, v18, 2, v27
	ds_read_b32 v27, v27 offset:8864
	ds_read_b32 v28, v26 offset:8328
	s_waitcnt lgkmcnt(0)
	v_fmac_f32_e32 v25, v27, v28
	s_or_b64 exec, exec, s[0:1]
	v_cmp_gt_u32_e64 s[12:13], 40, v4
	s_and_saveexec_b64 s[0:1], s[12:13]
	s_cbranch_execz .LBB104_725
.LBB104_1200:
	v_lshlrev_b32_e32 v27, 2, v19
	v_sub_u32_e32 v27, v26, v27
	v_lshl_add_u32 v27, v18, 2, v27
	ds_read_b32 v27, v27 offset:9120
	ds_read_b32 v28, v26 offset:8332
	s_waitcnt lgkmcnt(0)
	v_fmac_f32_e32 v25, v27, v28
	s_or_b64 exec, exec, s[0:1]
	v_cmp_gt_u32_e64 s[12:13], 32, v4
	s_and_saveexec_b64 s[0:1], s[12:13]
	s_cbranch_execz .LBB104_726
.LBB104_1201:
	ds_read_b32 v27, v15 offset:9376
	ds_read_b32 v28, v26 offset:8336
	s_waitcnt lgkmcnt(0)
	v_fmac_f32_e32 v25, v27, v28
	s_or_b64 exec, exec, s[0:1]
	v_cmp_gt_u32_e64 s[12:13], 24, v4
	s_and_saveexec_b64 s[0:1], s[12:13]
	s_cbranch_execz .LBB104_727
.LBB104_1202:
	v_lshlrev_b32_e32 v27, 2, v19
	v_sub_u32_e32 v27, v26, v27
	v_lshl_add_u32 v27, v18, 2, v27
	ds_read_b32 v27, v27 offset:9632
	ds_read_b32 v28, v26 offset:8340
	s_waitcnt lgkmcnt(0)
	v_fmac_f32_e32 v25, v27, v28
	s_or_b64 exec, exec, s[0:1]
	v_cmp_gt_u32_e64 s[12:13], 16, v4
	s_and_saveexec_b64 s[0:1], s[12:13]
	s_cbranch_execz .LBB104_728
.LBB104_1203:
	ds_read_b32 v27, v15 offset:9888
	ds_read_b32 v26, v26 offset:8344
	s_waitcnt lgkmcnt(0)
	v_fmac_f32_e32 v25, v27, v26
	s_or_b64 exec, exec, s[0:1]
	v_cmp_gt_u32_e64 s[12:13], 8, v4
	s_and_saveexec_b64 s[0:1], s[12:13]
	s_cbranch_execnz .LBB104_729
	s_branch .LBB104_730
.LBB104_1204:
	v_lshlrev_b32_e32 v27, 2, v14
	v_sub_u32_e32 v27, v26, v27
	v_lshl_add_u32 v27, v13, 2, v27
	ds_read_b32 v27, v27 offset:10672
	ds_read_b32 v28, v26 offset:10404
	s_waitcnt lgkmcnt(0)
	v_fmac_f32_e32 v25, v27, v28
	s_or_b64 exec, exec, s[16:17]
	v_cmp_gt_u32_e64 s[12:13], 8, v4
	s_and_saveexec_b64 s[0:1], s[12:13]
	s_cbranch_execz .LBB104_786
.LBB104_1205:
	ds_read_b32 v27, v10 offset:10928
	ds_read_b32 v26, v26 offset:10408
	s_waitcnt lgkmcnt(0)
	v_fmac_f32_e32 v25, v27, v26
	s_or_b64 exec, exec, s[0:1]
	v_cmp_gt_u32_e64 s[12:13], 4, v4
	s_and_saveexec_b64 s[0:1], s[12:13]
	s_cbranch_execnz .LBB104_787
	s_branch .LBB104_788
.LBB104_1206:
	v_lshlrev_b32_e32 v24, 2, v21
	v_lshl_add_u32 v24, v23, 2, v24
	ds_read_b32 v24, v24 offset:11200
	ds_read_b32 v27, v26 offset:8364
	s_waitcnt lgkmcnt(0)
	v_fmac_f32_e32 v25, v24, v27
	s_or_b64 exec, exec, s[0:1]
	v_cmp_gt_u32_e64 s[12:13], 64, v4
	s_and_saveexec_b64 s[0:1], s[12:13]
	s_cbranch_execz .LBB104_848
.LBB104_1207:
	ds_read_b32 v24, v20 offset:11456
	ds_read_b32 v27, v26 offset:8368
	s_waitcnt lgkmcnt(0)
	v_fmac_f32_e32 v25, v24, v27
	s_or_b64 exec, exec, s[0:1]
	v_cmp_gt_u32_e64 s[12:13], 48, v4
	s_and_saveexec_b64 s[0:1], s[12:13]
	s_cbranch_execz .LBB104_849
.LBB104_1208:
	v_lshlrev_b32_e32 v24, 2, v21
	v_lshl_add_u32 v23, v23, 2, v24
	ds_read_b32 v23, v23 offset:11712
	ds_read_b32 v24, v26 offset:8372
	s_waitcnt lgkmcnt(0)
	v_fmac_f32_e32 v25, v23, v24
	s_or_b64 exec, exec, s[0:1]
	v_cmp_gt_u32_e64 s[12:13], 32, v4
	s_and_saveexec_b64 s[0:1], s[12:13]
	s_cbranch_execz .LBB104_850
.LBB104_1209:
	ds_read_b32 v23, v20 offset:11968
	ds_read_b32 v24, v26 offset:8376
	s_waitcnt lgkmcnt(0)
	v_fmac_f32_e32 v25, v23, v24
	s_or_b64 exec, exec, s[0:1]
	v_cmp_gt_u32_e64 s[12:13], 16, v4
	s_and_saveexec_b64 s[0:1], s[12:13]
	s_cbranch_execnz .LBB104_851
	s_branch .LBB104_852
.LBB104_1210:
	v_lshlrev_b32_e32 v22, 2, v14
	v_sub_u32_e32 v22, v21, v22
	v_lshl_add_u32 v22, v13, 2, v22
	ds_read_b32 v22, v22 offset:12752
	ds_read_b32 v23, v21 offset:12484
	s_waitcnt lgkmcnt(0)
	v_fmac_f32_e32 v20, v22, v23
	s_or_b64 exec, exec, s[12:13]
	v_cmp_gt_u32_e64 s[10:11], 8, v4
	s_and_saveexec_b64 s[12:13], s[10:11]
	s_cbranch_execz .LBB104_940
.LBB104_1211:
	ds_read_b32 v22, v10 offset:13008
	ds_read_b32 v21, v21 offset:12488
	s_waitcnt lgkmcnt(0)
	v_fmac_f32_e32 v20, v22, v21
	s_or_b64 exec, exec, s[12:13]
	v_cmp_gt_u32_e64 s[10:11], 4, v4
	s_and_saveexec_b64 s[12:13], s[10:11]
	s_cbranch_execnz .LBB104_941
	s_branch .LBB104_942
.LBB104_1212:
	v_lshlrev_b32_e32 v22, 2, v19
	v_sub_u32_e32 v22, v21, v22
	v_lshl_add_u32 v22, v18, 2, v22
	ds_read_b32 v22, v22 offset:12768
	ds_read_b32 v23, v21 offset:12484
	s_waitcnt lgkmcnt(0)
	v_fmac_f32_e32 v20, v22, v23
	s_or_b64 exec, exec, s[12:13]
	v_cmp_gt_u32_e64 s[10:11], 48, v4
	s_and_saveexec_b64 s[12:13], s[10:11]
	s_cbranch_execz .LBB104_982
.LBB104_1213:
	v_lshlrev_b32_e32 v22, 2, v19
	v_sub_u32_e32 v22, v21, v22
	v_lshl_add_u32 v22, v18, 2, v22
	ds_read_b32 v22, v22 offset:13024
	ds_read_b32 v23, v21 offset:12488
	s_waitcnt lgkmcnt(0)
	v_fmac_f32_e32 v20, v22, v23
	s_or_b64 exec, exec, s[12:13]
	v_cmp_gt_u32_e64 s[10:11], 40, v4
	s_and_saveexec_b64 s[12:13], s[10:11]
	s_cbranch_execz .LBB104_983
.LBB104_1214:
	v_lshlrev_b32_e32 v22, 2, v19
	v_sub_u32_e32 v22, v21, v22
	v_lshl_add_u32 v22, v18, 2, v22
	ds_read_b32 v22, v22 offset:13280
	ds_read_b32 v23, v21 offset:12492
	s_waitcnt lgkmcnt(0)
	v_fmac_f32_e32 v20, v22, v23
	s_or_b64 exec, exec, s[12:13]
	v_cmp_gt_u32_e64 s[10:11], 32, v4
	s_and_saveexec_b64 s[12:13], s[10:11]
	s_cbranch_execz .LBB104_984
.LBB104_1215:
	ds_read_b32 v22, v15 offset:13536
	ds_read_b32 v23, v21 offset:12496
	s_waitcnt lgkmcnt(0)
	v_fmac_f32_e32 v20, v22, v23
	s_or_b64 exec, exec, s[12:13]
	v_cmp_gt_u32_e64 s[10:11], 24, v4
	s_and_saveexec_b64 s[12:13], s[10:11]
	s_cbranch_execz .LBB104_985
.LBB104_1216:
	v_lshlrev_b32_e32 v19, 2, v19
	v_sub_u32_e32 v19, v21, v19
	v_lshl_add_u32 v18, v18, 2, v19
	ds_read_b32 v18, v18 offset:13792
	ds_read_b32 v19, v21 offset:12500
	s_waitcnt lgkmcnt(0)
	v_fmac_f32_e32 v20, v18, v19
	s_or_b64 exec, exec, s[12:13]
	v_cmp_gt_u32_e64 s[10:11], 16, v4
	s_and_saveexec_b64 s[12:13], s[10:11]
	s_cbranch_execz .LBB104_986
.LBB104_1217:
	ds_read_b32 v18, v15 offset:14048
	ds_read_b32 v19, v21 offset:12504
	s_waitcnt lgkmcnt(0)
	v_fmac_f32_e32 v20, v18, v19
	s_or_b64 exec, exec, s[12:13]
	v_cmp_gt_u32_e64 s[10:11], 8, v4
	s_and_saveexec_b64 s[12:13], s[10:11]
	s_cbranch_execnz .LBB104_987
	s_branch .LBB104_988
.LBB104_1218:
	v_lshlrev_b32_e32 v14, 2, v14
	v_sub_u32_e32 v14, v16, v14
	v_lshl_add_u32 v13, v13, 2, v14
	ds_read_b32 v13, v13 offset:14832
	ds_read_b32 v14, v16 offset:14564
	s_waitcnt lgkmcnt(0)
	v_fmac_f32_e32 v15, v13, v14
	s_or_b64 exec, exec, s[10:11]
	v_cmp_gt_u32_e64 s[8:9], 8, v4
	s_and_saveexec_b64 s[10:11], s[8:9]
	s_cbranch_execz .LBB104_1044
.LBB104_1219:
	ds_read_b32 v13, v10 offset:15088
	ds_read_b32 v14, v16 offset:14568
	s_waitcnt lgkmcnt(0)
	v_fmac_f32_e32 v15, v13, v14
	s_or_b64 exec, exec, s[10:11]
	v_cmp_gt_u32_e64 s[8:9], 4, v4
	s_and_saveexec_b64 s[10:11], s[8:9]
	s_cbranch_execnz .LBB104_1045
	s_branch .LBB104_1046
	.section	.rodata,"a",@progbits
	.p2align	6, 0x0
	.amdhsa_kernel _ZL19rocblas_trsv_deviceILi64ELi16ELb1ELb1ELb0ELb1EfPKfPKS1_PKPfEviT7_lllT6_T8_lllPii
		.amdhsa_group_segment_fixed_size 20740
		.amdhsa_private_segment_fixed_size 0
		.amdhsa_kernarg_size 352
		.amdhsa_user_sgpr_count 6
		.amdhsa_user_sgpr_private_segment_buffer 1
		.amdhsa_user_sgpr_dispatch_ptr 0
		.amdhsa_user_sgpr_queue_ptr 0
		.amdhsa_user_sgpr_kernarg_segment_ptr 1
		.amdhsa_user_sgpr_dispatch_id 0
		.amdhsa_user_sgpr_flat_scratch_init 0
		.amdhsa_user_sgpr_private_segment_size 0
		.amdhsa_uses_dynamic_stack 0
		.amdhsa_system_sgpr_private_segment_wavefront_offset 0
		.amdhsa_system_sgpr_workgroup_id_x 1
		.amdhsa_system_sgpr_workgroup_id_y 0
		.amdhsa_system_sgpr_workgroup_id_z 1
		.amdhsa_system_sgpr_workgroup_info 0
		.amdhsa_system_vgpr_workitem_id 1
		.amdhsa_next_free_vgpr 34
		.amdhsa_next_free_sgpr 96
		.amdhsa_reserve_vcc 1
		.amdhsa_reserve_flat_scratch 0
		.amdhsa_float_round_mode_32 0
		.amdhsa_float_round_mode_16_64 0
		.amdhsa_float_denorm_mode_32 3
		.amdhsa_float_denorm_mode_16_64 3
		.amdhsa_dx10_clamp 1
		.amdhsa_ieee_mode 1
		.amdhsa_fp16_overflow 0
		.amdhsa_exception_fp_ieee_invalid_op 0
		.amdhsa_exception_fp_denorm_src 0
		.amdhsa_exception_fp_ieee_div_zero 0
		.amdhsa_exception_fp_ieee_overflow 0
		.amdhsa_exception_fp_ieee_underflow 0
		.amdhsa_exception_fp_ieee_inexact 0
		.amdhsa_exception_int_div_zero 0
	.end_amdhsa_kernel
	.section	.text._ZL19rocblas_trsv_deviceILi64ELi16ELb1ELb1ELb0ELb1EfPKfPKS1_PKPfEviT7_lllT6_T8_lllPii,"axG",@progbits,_ZL19rocblas_trsv_deviceILi64ELi16ELb1ELb1ELb0ELb1EfPKfPKS1_PKPfEviT7_lllT6_T8_lllPii,comdat
.Lfunc_end104:
	.size	_ZL19rocblas_trsv_deviceILi64ELi16ELb1ELb1ELb0ELb1EfPKfPKS1_PKPfEviT7_lllT6_T8_lllPii, .Lfunc_end104-_ZL19rocblas_trsv_deviceILi64ELi16ELb1ELb1ELb0ELb1EfPKfPKS1_PKPfEviT7_lllT6_T8_lllPii
                                        ; -- End function
	.set _ZL19rocblas_trsv_deviceILi64ELi16ELb1ELb1ELb0ELb1EfPKfPKS1_PKPfEviT7_lllT6_T8_lllPii.num_vgpr, 34
	.set _ZL19rocblas_trsv_deviceILi64ELi16ELb1ELb1ELb0ELb1EfPKfPKS1_PKPfEviT7_lllT6_T8_lllPii.num_agpr, 0
	.set _ZL19rocblas_trsv_deviceILi64ELi16ELb1ELb1ELb0ELb1EfPKfPKS1_PKPfEviT7_lllT6_T8_lllPii.numbered_sgpr, 96
	.set _ZL19rocblas_trsv_deviceILi64ELi16ELb1ELb1ELb0ELb1EfPKfPKS1_PKPfEviT7_lllT6_T8_lllPii.num_named_barrier, 0
	.set _ZL19rocblas_trsv_deviceILi64ELi16ELb1ELb1ELb0ELb1EfPKfPKS1_PKPfEviT7_lllT6_T8_lllPii.private_seg_size, 0
	.set _ZL19rocblas_trsv_deviceILi64ELi16ELb1ELb1ELb0ELb1EfPKfPKS1_PKPfEviT7_lllT6_T8_lllPii.uses_vcc, 1
	.set _ZL19rocblas_trsv_deviceILi64ELi16ELb1ELb1ELb0ELb1EfPKfPKS1_PKPfEviT7_lllT6_T8_lllPii.uses_flat_scratch, 0
	.set _ZL19rocblas_trsv_deviceILi64ELi16ELb1ELb1ELb0ELb1EfPKfPKS1_PKPfEviT7_lllT6_T8_lllPii.has_dyn_sized_stack, 0
	.set _ZL19rocblas_trsv_deviceILi64ELi16ELb1ELb1ELb0ELb1EfPKfPKS1_PKPfEviT7_lllT6_T8_lllPii.has_recursion, 0
	.set _ZL19rocblas_trsv_deviceILi64ELi16ELb1ELb1ELb0ELb1EfPKfPKS1_PKPfEviT7_lllT6_T8_lllPii.has_indirect_call, 0
	.section	.AMDGPU.csdata,"",@progbits
; Kernel info:
; codeLenInByte = 33924
; TotalNumSgprs: 100
; NumVgprs: 34
; ScratchSize: 0
; MemoryBound: 0
; FloatMode: 240
; IeeeMode: 1
; LDSByteSize: 20740 bytes/workgroup (compile time only)
; SGPRBlocks: 12
; VGPRBlocks: 8
; NumSGPRsForWavesPerEU: 100
; NumVGPRsForWavesPerEU: 34
; Occupancy: 7
; WaveLimiterHint : 1
; COMPUTE_PGM_RSRC2:SCRATCH_EN: 0
; COMPUTE_PGM_RSRC2:USER_SGPR: 6
; COMPUTE_PGM_RSRC2:TRAP_HANDLER: 0
; COMPUTE_PGM_RSRC2:TGID_X_EN: 1
; COMPUTE_PGM_RSRC2:TGID_Y_EN: 0
; COMPUTE_PGM_RSRC2:TGID_Z_EN: 1
; COMPUTE_PGM_RSRC2:TIDIG_COMP_CNT: 1
	.section	.text._ZL19rocblas_trsv_deviceILi64ELi16ELb1ELb1ELb1ELb1EfPKfPKS1_PKPfEviT7_lllT6_T8_lllPii,"axG",@progbits,_ZL19rocblas_trsv_deviceILi64ELi16ELb1ELb1ELb1ELb1EfPKfPKS1_PKPfEviT7_lllT6_T8_lllPii,comdat
	.globl	_ZL19rocblas_trsv_deviceILi64ELi16ELb1ELb1ELb1ELb1EfPKfPKS1_PKPfEviT7_lllT6_T8_lllPii ; -- Begin function _ZL19rocblas_trsv_deviceILi64ELi16ELb1ELb1ELb1ELb1EfPKfPKS1_PKPfEviT7_lllT6_T8_lllPii
	.p2align	8
	.type	_ZL19rocblas_trsv_deviceILi64ELi16ELb1ELb1ELb1ELb1EfPKfPKS1_PKPfEviT7_lllT6_T8_lllPii,@function
_ZL19rocblas_trsv_deviceILi64ELi16ELb1ELb1ELb1ELb1EfPKfPKS1_PKPfEviT7_lllT6_T8_lllPii: ; @_ZL19rocblas_trsv_deviceILi64ELi16ELb1ELb1ELb1ELb1EfPKfPKS1_PKPfEviT7_lllT6_T8_lllPii
; %bb.0:
	s_load_dwordx4 s[0:3], s[4:5], 0x8
	s_mov_b32 s28, s7
	s_mov_b32 s29, 0
	s_lshl_b64 s[8:9], s[28:29], 3
	s_waitcnt lgkmcnt(0)
	s_add_u32 s0, s0, s8
	s_addc_u32 s1, s1, s9
	s_load_dwordx2 s[10:11], s[0:1], 0x0
	s_load_dword s30, s[4:5], 0x0
	s_load_dwordx8 s[20:27], s[4:5], 0x28
	s_load_dwordx2 s[34:35], s[4:5], 0x18
	s_lshl_b64 s[0:1], s[2:3], 2
	s_waitcnt lgkmcnt(0)
	s_add_u32 s91, s10, s0
	s_addc_u32 s92, s11, s1
	s_add_u32 s0, s22, s8
	s_load_dword s7, s[4:5], 0x60
	s_addc_u32 s1, s23, s9
	s_load_dwordx2 s[36:37], s[0:1], 0x0
	s_load_dword s16, s[20:21], 0x0
	s_load_dword s93, s[4:5], 0x6c
	s_waitcnt lgkmcnt(0)
	s_add_i32 s7, s7, -1
	s_sub_i32 s33, s7, s6
	s_cmp_eq_u32 s6, 0
	s_cbranch_scc1 .LBB105_10
; %bb.1:
	s_lshl_b32 s2, s33, 6
	v_add_u32_e32 v6, s2, v0
	v_ashrrev_i32_e32 v2, 31, v6
	v_mul_lo_u32 v7, s34, v2
	v_mul_lo_u32 v8, s35, v6
	v_mad_u64_u32 v[4:5], s[0:1], s34, v6, 0
	v_add3_u32 v2, v1, s2, 64
	v_ashrrev_i32_e32 v3, 31, v2
	v_add3_u32 v5, v5, v7, v8
	v_lshlrev_b64 v[4:5], 2, v[4:5]
	v_cmp_gt_i32_e32 vcc, s30, v6
	v_mov_b32_e32 v6, s92
	v_add_co_u32_e64 v7, s[0:1], s91, v4
	v_lshlrev_b64 v[3:4], 2, v[2:3]
	v_addc_co_u32_e64 v5, s[0:1], v6, v5, s[0:1]
	v_add_co_u32_e64 v3, s[0:1], v7, v3
	v_addc_co_u32_e64 v4, s[0:1], v5, v4, s[0:1]
	v_cmp_gt_i32_e64 s[0:1], s30, v2
	s_and_b64 s[2:3], s[0:1], vcc
	v_mov_b32_e32 v6, 0
	v_mov_b32_e32 v7, 0
	s_barrier
	s_and_saveexec_b64 s[0:1], s[2:3]
	s_cbranch_execz .LBB105_3
; %bb.2:
	flat_load_dword v7, v[3:4]
.LBB105_3:
	s_or_b64 exec, exec, s[0:1]
	v_add_u32_e32 v5, 16, v2
	v_cmp_gt_i32_e64 s[0:1], s30, v5
	s_and_b64 s[2:3], s[0:1], vcc
	s_waitcnt vmcnt(0) lgkmcnt(0)
	s_barrier
	s_and_saveexec_b64 s[0:1], s[2:3]
	s_cbranch_execz .LBB105_5
; %bb.4:
	flat_load_dword v6, v[3:4] offset:64
.LBB105_5:
	s_or_b64 exec, exec, s[0:1]
	v_add_u32_e32 v5, 32, v2
	v_cmp_gt_i32_e64 s[0:1], s30, v5
	s_and_b64 s[2:3], s[0:1], vcc
	v_mov_b32_e32 v8, 0
	v_mov_b32_e32 v9, 0
	s_waitcnt vmcnt(0) lgkmcnt(0)
	s_barrier
	s_and_saveexec_b64 s[0:1], s[2:3]
	s_cbranch_execz .LBB105_7
; %bb.6:
	flat_load_dword v9, v[3:4] offset:128
.LBB105_7:
	s_or_b64 exec, exec, s[0:1]
	v_add_u32_e32 v2, 48, v2
	v_cmp_gt_i32_e64 s[0:1], s30, v2
	s_and_b64 s[2:3], s[0:1], vcc
	s_waitcnt vmcnt(0) lgkmcnt(0)
	s_barrier
	s_and_saveexec_b64 s[0:1], s[2:3]
	s_cbranch_execz .LBB105_9
; %bb.8:
	flat_load_dword v8, v[3:4] offset:192
.LBB105_9:
	s_or_b64 exec, exec, s[0:1]
	s_branch .LBB105_11
.LBB105_10:
                                        ; implicit-def: $vgpr8
                                        ; implicit-def: $vgpr9
                                        ; implicit-def: $vgpr6
                                        ; implicit-def: $vgpr7
.LBB105_11:
	s_ashr_i32 s31, s30, 31
	s_lshr_b32 s0, s31, 26
	s_add_i32 s0, s30, s0
	s_andn2_b32 s0, s0, 63
	s_sub_i32 s90, s30, s0
	s_add_i32 s0, s30, -1
	s_ashr_i32 s1, s0, 31
	s_lshr_b32 s1, s1, 26
	s_add_i32 s0, s0, s1
	s_ashr_i32 s0, s0, 6
	s_cmp_eq_u32 s0, s33
	s_cselect_b64 s[0:1], -1, 0
	s_cmp_lg_u32 s90, 0
	s_cselect_b64 s[2:3], -1, 0
	s_and_b64 s[22:23], s[2:3], s[0:1]
	s_cmp_lt_i32 s6, 5
	s_cselect_b64 s[2:3], -1, 0
	s_mov_b64 s[12:13], -1
	s_or_b64 s[0:1], s[2:3], s[22:23]
	v_lshlrev_b32_e32 v4, 6, v0
	s_and_b64 vcc, exec, s[22:23]
	v_cmp_le_u32_e64 s[8:9], v0, v1
	s_cbranch_vccnz .LBB105_27
; %bb.12:
	s_add_u32 s10, s34, 1
	s_addc_u32 s11, s35, 0
	s_lshl_b32 s12, s33, 6
	s_ashr_i32 s13, s12, 31
	s_mul_hi_u32 s14, s10, s12
	s_mul_i32 s13, s10, s13
	s_add_i32 s13, s14, s13
	s_mul_i32 s11, s11, s12
	s_add_i32 s11, s13, s11
	s_mul_i32 s10, s10, s12
	s_lshl_b64 s[10:11], s[10:11], 2
	s_add_u32 s10, s91, s10
	s_addc_u32 s11, s92, s11
	v_lshlrev_b32_e32 v2, 2, v0
	v_mov_b32_e32 v3, s11
	v_add_co_u32_e32 v2, vcc, s10, v2
	v_mov_b32_e32 v5, 0
	v_addc_co_u32_e32 v3, vcc, 0, v3, vcc
	s_mov_b64 s[10:11], 0
	s_and_saveexec_b64 s[12:13], s[8:9]
	s_xor_b64 s[8:9], exec, s[12:13]
	s_cbranch_execnz .LBB105_1154
; %bb.13:
	s_andn2_saveexec_b64 s[8:9], s[8:9]
	s_cbranch_execnz .LBB105_1155
.LBB105_14:
	s_or_b64 exec, exec, s[8:9]
	s_and_saveexec_b64 s[8:9], s[10:11]
.LBB105_15:
	v_add_u32_e32 v10, v1, v4
	v_lshl_add_u32 v11, v1, 6, v0
	v_cndmask_b32_e64 v10, v11, v10, s[2:3]
	v_lshlrev_b32_e32 v10, 2, v10
	ds_write_b32 v10, v5
.LBB105_16:
	s_or_b64 exec, exec, s[8:9]
	v_add_u32_e32 v5, 16, v1
	v_cmp_le_u32_e32 vcc, v0, v5
	s_mov_b64 s[2:3], 0
	s_and_saveexec_b64 s[8:9], vcc
	s_xor_b64 s[8:9], exec, s[8:9]
	s_cbranch_execnz .LBB105_1156
; %bb.17:
	s_or_saveexec_b64 s[8:9], s[8:9]
	v_mov_b32_e32 v10, 0
	s_xor_b64 exec, exec, s[8:9]
	s_cbranch_execnz .LBB105_1157
.LBB105_18:
	s_or_b64 exec, exec, s[8:9]
	s_and_saveexec_b64 s[8:9], s[2:3]
.LBB105_19:
	v_add_u32_e32 v11, v5, v4
	v_lshl_add_u32 v5, v5, 6, v0
	v_cndmask_b32_e64 v5, v5, v11, s[0:1]
	v_lshlrev_b32_e32 v5, 2, v5
	ds_write_b32 v5, v10
.LBB105_20:
	s_or_b64 exec, exec, s[8:9]
	v_add_u32_e32 v5, 32, v1
	v_cmp_le_u32_e32 vcc, v0, v5
	s_mov_b64 s[2:3], 0
	s_and_saveexec_b64 s[8:9], vcc
	s_xor_b64 s[8:9], exec, s[8:9]
	s_cbranch_execnz .LBB105_1158
; %bb.21:
	s_or_saveexec_b64 s[8:9], s[8:9]
	v_mov_b32_e32 v10, 0
	s_xor_b64 exec, exec, s[8:9]
	s_cbranch_execnz .LBB105_1159
.LBB105_22:
	s_or_b64 exec, exec, s[8:9]
	s_and_saveexec_b64 s[8:9], s[2:3]
.LBB105_23:
	v_add_u32_e32 v11, v5, v4
	v_lshl_add_u32 v5, v5, 6, v0
	v_cndmask_b32_e64 v5, v5, v11, s[0:1]
	v_lshlrev_b32_e32 v5, 2, v5
	ds_write_b32 v5, v10
.LBB105_24:
	s_or_b64 exec, exec, s[8:9]
	v_add_u32_e32 v5, 48, v1
	v_add_u32_e32 v10, v5, v4
	v_lshl_add_u32 v11, v5, 6, v0
	v_cmp_le_u32_e32 vcc, v0, v5
	s_mov_b64 s[2:3], -1
	s_mov_b64 s[12:13], 0
	s_mov_b64 s[10:11], 0
	s_and_saveexec_b64 s[8:9], vcc
	s_xor_b64 s[8:9], exec, s[8:9]
; %bb.25:
	v_or_b32_e32 v12, v5, v0
	v_cmp_gt_u32_e32 vcc, 64, v12
	s_and_b64 s[10:11], vcc, exec
	s_xor_b64 s[2:3], exec, -1
; %bb.26:
	s_or_b64 exec, exec, s[8:9]
	v_cndmask_b32_e64 v10, v11, v10, s[0:1]
	s_and_b64 vcc, exec, s[12:13]
	s_cbranch_vccnz .LBB105_28
	s_branch .LBB105_43
.LBB105_27:
	s_mov_b64 s[2:3], 0
	s_mov_b64 s[10:11], 0
                                        ; implicit-def: $vgpr10
                                        ; implicit-def: $vgpr2_vgpr3
                                        ; implicit-def: $vgpr5
	s_and_b64 vcc, exec, s[12:13]
	s_cbranch_vccz .LBB105_43
.LBB105_28:
	s_add_u32 s2, s34, 1
	s_addc_u32 s3, s35, 0
	s_lshl_b32 s8, s33, 6
	s_ashr_i32 s9, s8, 31
	s_mul_hi_u32 s12, s2, s8
	s_mul_i32 s9, s2, s9
	s_add_i32 s9, s12, s9
	s_mul_i32 s3, s3, s8
	s_add_i32 s3, s9, s3
	s_mul_i32 s2, s2, s8
	s_lshl_b64 s[2:3], s[2:3], 2
	s_add_u32 s2, s91, s2
	s_addc_u32 s3, s92, s3
	v_lshlrev_b32_e32 v2, 2, v0
	v_mov_b32_e32 v3, s3
	v_add_co_u32_e64 v2, s[2:3], s2, v2
	v_addc_co_u32_e64 v3, s[2:3], 0, v3, s[2:3]
	v_max_i32_e32 v10, v1, v0
	v_cmp_le_u32_e64 s[2:3], v0, v1
	v_cmp_le_i32_e64 s[8:9], s90, v10
	v_cmp_gt_i32_e32 vcc, s90, v0
	v_mov_b32_e32 v5, 0
	s_or_b64 s[2:3], s[8:9], s[2:3]
	s_mov_b64 s[8:9], 0
	s_and_saveexec_b64 s[12:13], s[2:3]
	s_xor_b64 s[12:13], exec, s[12:13]
	s_cbranch_execnz .LBB105_1160
; %bb.29:
	s_andn2_saveexec_b64 s[12:13], s[12:13]
	s_cbranch_execnz .LBB105_1161
.LBB105_30:
	s_or_b64 exec, exec, s[12:13]
	s_and_saveexec_b64 s[2:3], s[8:9]
.LBB105_31:
	v_lshlrev_b32_e32 v10, 2, v4
	v_lshl_add_u32 v10, v1, 2, v10
	ds_write_b32 v10, v5
.LBB105_32:
	s_or_b64 exec, exec, s[2:3]
	v_add_u32_e32 v5, 16, v1
	v_cmp_gt_u32_e64 s[2:3], v0, v5
	v_cmp_gt_i32_e64 s[8:9], s90, v5
	s_and_b64 s[2:3], s[2:3], s[8:9]
	s_and_b64 s[2:3], s[2:3], vcc
	s_xor_b64 s[2:3], s[2:3], -1
	s_mov_b64 s[8:9], 0
	s_and_saveexec_b64 s[12:13], s[2:3]
	s_xor_b64 s[12:13], exec, s[12:13]
	s_cbranch_execnz .LBB105_1162
; %bb.33:
	s_or_saveexec_b64 s[12:13], s[12:13]
	v_mov_b32_e32 v10, 0
	s_xor_b64 exec, exec, s[12:13]
	s_cbranch_execnz .LBB105_1163
.LBB105_34:
	s_or_b64 exec, exec, s[12:13]
	s_and_saveexec_b64 s[2:3], s[8:9]
.LBB105_35:
	v_add_u32_e32 v11, v5, v4
	v_lshl_add_u32 v5, v5, 6, v0
	v_cndmask_b32_e64 v5, v5, v11, s[0:1]
	v_lshlrev_b32_e32 v5, 2, v5
	ds_write_b32 v5, v10
.LBB105_36:
	s_or_b64 exec, exec, s[2:3]
	v_add_u32_e32 v5, 32, v1
	v_cmp_gt_u32_e64 s[2:3], v0, v5
	v_cmp_gt_i32_e64 s[8:9], s90, v5
	s_and_b64 s[2:3], s[2:3], s[8:9]
	s_and_b64 s[2:3], s[2:3], vcc
	s_xor_b64 s[2:3], s[2:3], -1
	s_mov_b64 s[8:9], 0
	s_and_saveexec_b64 s[12:13], s[2:3]
	s_xor_b64 s[12:13], exec, s[12:13]
	s_cbranch_execnz .LBB105_1164
; %bb.37:
	s_or_saveexec_b64 s[12:13], s[12:13]
	v_mov_b32_e32 v10, 0
	s_xor_b64 exec, exec, s[12:13]
	s_cbranch_execnz .LBB105_1165
.LBB105_38:
	s_or_b64 exec, exec, s[12:13]
	s_and_saveexec_b64 s[2:3], s[8:9]
.LBB105_39:
	v_add_u32_e32 v11, v5, v4
	v_lshl_add_u32 v5, v5, 6, v0
	v_cndmask_b32_e64 v5, v5, v11, s[0:1]
	v_lshlrev_b32_e32 v5, 2, v5
	ds_write_b32 v5, v10
.LBB105_40:
	s_or_b64 exec, exec, s[2:3]
	v_add_u32_e32 v5, 48, v1
	v_cmp_gt_u32_e64 s[2:3], v0, v5
	v_cmp_gt_i32_e64 s[8:9], s90, v5
	s_and_b64 s[2:3], s[2:3], s[8:9]
	s_and_b64 s[8:9], s[2:3], vcc
	v_add_u32_e32 v4, v5, v4
	v_lshl_add_u32 v10, v5, 6, v0
	s_mov_b64 s[2:3], -1
	s_xor_b64 s[12:13], s[8:9], -1
	s_and_saveexec_b64 s[8:9], s[12:13]
; %bb.41:
	v_or_b32_e32 v11, v5, v0
	v_cmp_gt_u32_e32 vcc, 64, v11
	s_andn2_b64 s[2:3], s[10:11], exec
	s_and_b64 s[10:11], vcc, exec
	s_or_b64 s[10:11], s[2:3], s[10:11]
	s_xor_b64 s[2:3], exec, -1
; %bb.42:
	s_or_b64 exec, exec, s[8:9]
	v_cndmask_b32_e64 v10, v10, v4, s[0:1]
.LBB105_43:
	v_mov_b32_e32 v4, 0
	s_and_saveexec_b64 s[8:9], s[2:3]
	s_cbranch_execnz .LBB105_1127
; %bb.44:
	s_or_b64 exec, exec, s[8:9]
	s_xor_b64 s[0:1], s[0:1], -1
	s_and_saveexec_b64 s[2:3], s[10:11]
.LBB105_45:
	v_lshlrev_b32_e32 v2, 2, v10
	ds_write_b32 v2, v4
.LBB105_46:
	s_or_b64 exec, exec, s[2:3]
	v_cndmask_b32_e64 v2, 0, 1, s[0:1]
	v_cmp_ne_u32_e64 s[40:41], 1, v2
	s_andn2_b64 vcc, exec, s[0:1]
	s_waitcnt vmcnt(0) lgkmcnt(0)
	s_barrier
	s_cbranch_vccnz .LBB105_1084
; %bb.47:
	v_or_b32_e32 v2, v0, v1
	v_cmp_eq_u32_e32 vcc, 0, v2
	s_and_saveexec_b64 s[0:1], vcc
	s_cbranch_execz .LBB105_49
; %bb.48:
	v_mov_b32_e32 v4, 0
	ds_read_b32 v2, v4 offset:4
	v_mov_b32_e32 v3, 1.0
	ds_write_b32 v4, v3
	s_waitcnt lgkmcnt(1)
	ds_write_b64 v4, v[2:3] offset:256
.LBB105_49:
	s_or_b64 exec, exec, s[0:1]
	v_lshl_add_u32 v4, v1, 6, v0
	v_and_b32_e32 v11, 1, v0
	v_lshrrev_b32_e32 v5, 1, v4
	v_lshlrev_b32_e32 v2, 2, v11
	v_cmp_lt_u32_e64 s[8:9], 3, v4
	v_cmp_gt_u32_e64 s[2:3], 4, v4
	v_lshl_or_b32 v2, v5, 8, v2
	v_mov_b32_e32 v10, 0
	s_waitcnt lgkmcnt(0)
	s_barrier
	s_and_saveexec_b64 s[0:1], s[2:3]
	s_cbranch_execz .LBB105_53
; %bb.50:
	v_mul_u32_u24_e32 v3, 0x104, v5
	ds_read_b32 v12, v2 offset:8
	ds_read_b32 v3, v3
	v_mov_b32_e32 v10, 0
	v_cmp_gt_u32_e64 s[10:11], 2, v4
	s_waitcnt lgkmcnt(0)
	v_fma_f32 v3, v12, v3, 0
	s_and_saveexec_b64 s[12:13], s[10:11]
	s_cbranch_execz .LBB105_52
; %bb.51:
	v_lshlrev_b32_e32 v12, 2, v0
	ds_read_b32 v12, v12 offset:264
	ds_read_b32 v10, v10 offset:4
	s_waitcnt lgkmcnt(0)
	v_fmac_f32_e32 v3, v12, v10
.LBB105_52:
	s_or_b64 exec, exec, s[12:13]
	v_xor_b32_e32 v10, 0x80000000, v3
.LBB105_53:
                                        ; implicit-def: $vgpr33 : SGPR spill to VGPR lane
	v_writelane_b32 v33, s40, 0
	v_writelane_b32 v33, s41, 1
	;; [unrolled: 1-line block ×3, first 2 shown]
	s_or_b64 exec, exec, s[0:1]
	v_mov_b32_e32 v3, 0x4000
	v_cmp_eq_u32_e64 s[10:11], 0, v11
	s_xor_b64 s[0:1], s[8:9], -1
	v_lshl_add_u32 v3, v5, 2, v3
	s_and_b64 s[40:41], s[10:11], s[0:1]
	s_and_saveexec_b64 s[8:9], s[40:41]
; %bb.54:
	ds_write_b32 v3, v10
; %bb.55:
	s_or_b64 exec, exec, s[8:9]
	v_cmp_ne_u32_e64 s[8:9], 0, v11
	s_and_b64 s[38:39], s[8:9], s[0:1]
	s_waitcnt lgkmcnt(0)
	s_barrier
	s_and_saveexec_b64 s[0:1], s[38:39]
	s_cbranch_execz .LBB105_57
; %bb.56:
	v_mov_b32_e32 v11, 0
	ds_read_b32 v11, v11 offset:524
	ds_read_b32 v12, v3
	s_waitcnt lgkmcnt(0)
	v_fmac_f32_e32 v10, v11, v12
.LBB105_57:
	s_or_b64 exec, exec, s[0:1]
	s_barrier
	s_and_saveexec_b64 s[0:1], s[38:39]
; %bb.58:
	ds_write_b32 v3, v10
; %bb.59:
	s_or_b64 exec, exec, s[0:1]
	s_waitcnt lgkmcnt(0)
	s_barrier
	s_barrier
	s_and_saveexec_b64 s[0:1], s[2:3]
; %bb.60:
	v_xor_b32_e32 v10, 0x80000000, v10
	ds_write_b32 v2, v10 offset:8
; %bb.61:
	s_or_b64 exec, exec, s[0:1]
	v_cmp_eq_u32_e64 s[12:13], 0, v1
	v_cmp_gt_u32_e64 s[8:9], 2, v0
	s_and_b64 s[42:43], s[12:13], s[8:9]
	s_waitcnt lgkmcnt(0)
	s_barrier
	s_barrier
	s_and_saveexec_b64 s[0:1], s[42:43]
	s_cbranch_execz .LBB105_63
; %bb.62:
	v_lshlrev_b32_e32 v10, 2, v0
	s_movk_i32 s8, 0xfc
	v_mad_u32_u24 v11, v0, s8, v10
	ds_read_b32 v12, v11 offset:8
	s_waitcnt lgkmcnt(0)
	ds_write_b32 v10, v12 offset:512
	ds_read_b32 v11, v11 offset:12
	s_waitcnt lgkmcnt(0)
	ds_write_b32 v10, v11 offset:768
.LBB105_63:
	s_or_b64 exec, exec, s[0:1]
	s_waitcnt lgkmcnt(0)
	s_barrier
	s_and_saveexec_b64 s[0:1], vcc
	s_cbranch_execz .LBB105_65
; %bb.64:
	v_mov_b32_e32 v12, 0
	ds_read_b32 v10, v12 offset:524
	v_mov_b32_e32 v11, 1.0
	ds_write_b32 v12, v11 offset:520
	s_waitcnt lgkmcnt(1)
	ds_write_b64 v12, v[10:11] offset:776
.LBB105_65:
	s_or_b64 exec, exec, s[0:1]
	v_and_b32_e32 v13, 3, v0
	v_lshrrev_b32_e32 v14, 2, v4
	v_lshlrev_b32_e32 v11, 2, v13
	v_cmp_lt_u32_e64 s[8:9], 15, v4
	v_cmp_gt_u32_e64 s[18:19], 16, v4
	v_lshl_or_b32 v10, v14, 8, v11
	v_mov_b32_e32 v15, 0
	s_waitcnt lgkmcnt(0)
	s_barrier
	s_and_saveexec_b64 s[0:1], s[18:19]
	s_cbranch_execz .LBB105_71
; %bb.66:
	v_mul_u32_u24_e32 v15, 0x104, v14
	ds_read_b32 v12, v10 offset:16
	ds_read_b32 v16, v15
	v_cmp_gt_u32_e64 s[10:11], 12, v4
	s_waitcnt lgkmcnt(0)
	v_fma_f32 v12, v12, v16, 0
	s_and_saveexec_b64 s[14:15], s[10:11]
	s_cbranch_execnz .LBB105_1170
; %bb.67:
	s_or_b64 exec, exec, s[14:15]
	v_cmp_gt_u32_e64 s[10:11], 8, v4
	s_and_saveexec_b64 s[14:15], s[10:11]
	s_cbranch_execnz .LBB105_1171
.LBB105_68:
	s_or_b64 exec, exec, s[14:15]
	v_cmp_gt_u32_e64 s[10:11], 4, v4
	s_and_saveexec_b64 s[14:15], s[10:11]
	s_cbranch_execz .LBB105_70
.LBB105_69:
	v_lshlrev_b32_e32 v15, 2, v0
	v_mov_b32_e32 v16, 0
	ds_read_b32 v15, v15 offset:784
	ds_read_b32 v16, v16 offset:12
	s_waitcnt lgkmcnt(0)
	v_fmac_f32_e32 v12, v15, v16
.LBB105_70:
	s_or_b64 exec, exec, s[14:15]
	v_xor_b32_e32 v15, 0x80000000, v12
.LBB105_71:
	s_or_b64 exec, exec, s[0:1]
	v_mov_b32_e32 v12, 0x4000
	v_cmp_eq_u32_e64 s[10:11], 0, v13
	s_xor_b64 s[0:1], s[8:9], -1
	v_lshl_add_u32 v12, v14, 2, v12
	s_and_b64 s[46:47], s[10:11], s[0:1]
	s_and_saveexec_b64 s[8:9], s[46:47]
; %bb.72:
	ds_write_b32 v12, v15
; %bb.73:
	s_or_b64 exec, exec, s[8:9]
	v_cmp_ne_u32_e64 s[8:9], 0, v13
	s_and_b64 s[48:49], s[8:9], s[0:1]
	s_waitcnt lgkmcnt(0)
	s_barrier
	s_and_saveexec_b64 s[8:9], s[48:49]
	s_cbranch_execz .LBB105_75
; %bb.74:
	ds_read_b32 v16, v11 offset:1040
	ds_read_b32 v17, v12
	s_waitcnt lgkmcnt(0)
	v_fmac_f32_e32 v15, v16, v17
.LBB105_75:
	s_or_b64 exec, exec, s[8:9]
	v_cmp_eq_u32_e64 s[8:9], 1, v13
	s_and_b64 s[50:51], s[8:9], s[0:1]
	s_barrier
	s_and_saveexec_b64 s[8:9], s[50:51]
; %bb.76:
	ds_write_b32 v12, v15
; %bb.77:
	s_or_b64 exec, exec, s[8:9]
	v_cmp_lt_u32_e64 s[8:9], 1, v13
	s_and_b64 s[52:53], s[8:9], s[0:1]
	s_waitcnt lgkmcnt(0)
	s_barrier
	s_and_saveexec_b64 s[8:9], s[52:53]
	s_cbranch_execz .LBB105_79
; %bb.78:
	ds_read_b32 v16, v11 offset:1296
	ds_read_b32 v17, v12
	s_waitcnt lgkmcnt(0)
	v_fmac_f32_e32 v15, v16, v17
.LBB105_79:
	s_or_b64 exec, exec, s[8:9]
	v_cmp_eq_u32_e64 s[8:9], 2, v13
	s_and_b64 s[54:55], s[8:9], s[0:1]
	s_barrier
	s_and_saveexec_b64 s[8:9], s[54:55]
; %bb.80:
	ds_write_b32 v12, v15
; %bb.81:
	s_or_b64 exec, exec, s[8:9]
	v_cmp_eq_u32_e64 s[8:9], 3, v13
	s_and_b64 s[44:45], s[8:9], s[0:1]
	s_waitcnt lgkmcnt(0)
	s_barrier
	s_and_saveexec_b64 s[0:1], s[44:45]
	s_cbranch_execz .LBB105_83
; %bb.82:
	v_mov_b32_e32 v16, 0
	ds_read_b32 v16, v16 offset:1564
	ds_read_b32 v17, v12
	s_waitcnt lgkmcnt(0)
	v_fmac_f32_e32 v15, v16, v17
.LBB105_83:
	s_or_b64 exec, exec, s[0:1]
	s_barrier
	s_and_saveexec_b64 s[0:1], s[44:45]
; %bb.84:
	ds_write_b32 v12, v15
; %bb.85:
	s_or_b64 exec, exec, s[0:1]
	s_waitcnt lgkmcnt(0)
	s_barrier
	s_barrier
	s_and_saveexec_b64 s[0:1], s[18:19]
; %bb.86:
	v_xor_b32_e32 v15, 0x80000000, v15
	ds_write_b32 v10, v15 offset:16
; %bb.87:
	s_or_b64 exec, exec, s[0:1]
	v_cmp_gt_u32_e64 s[8:9], 4, v0
	s_and_b64 s[56:57], s[12:13], s[8:9]
	s_waitcnt lgkmcnt(0)
	s_barrier
	s_barrier
	s_and_saveexec_b64 s[0:1], s[56:57]
	s_cbranch_execz .LBB105_89
; %bb.88:
	v_lshlrev_b32_e32 v15, 8, v0
	ds_read_b32 v16, v15 offset:16
	s_movk_i32 s8, 0xff04
	v_mad_i32_i24 v17, v0, s8, v15
	s_waitcnt lgkmcnt(0)
	ds_write_b32 v17, v16 offset:1024
	ds_read_b32 v16, v15 offset:20
	s_waitcnt lgkmcnt(0)
	ds_write_b32 v17, v16 offset:1280
	ds_read_b32 v16, v15 offset:24
	;; [unrolled: 3-line block ×3, first 2 shown]
	s_waitcnt lgkmcnt(0)
	ds_write_b32 v17, v15 offset:1792
.LBB105_89:
	s_or_b64 exec, exec, s[0:1]
	s_waitcnt lgkmcnt(0)
	s_barrier
	s_and_saveexec_b64 s[0:1], vcc
	s_cbranch_execz .LBB105_91
; %bb.90:
	v_mov_b32_e32 v17, 0
	ds_read_b32 v15, v17 offset:1044
	v_mov_b32_e32 v16, 1.0
	ds_write_b32 v17, v16 offset:1040
	s_waitcnt lgkmcnt(1)
	ds_write_b64 v17, v[15:16] offset:1296
.LBB105_91:
	s_or_b64 exec, exec, s[0:1]
	v_mov_b32_e32 v15, 0
	s_waitcnt lgkmcnt(0)
	s_barrier
	s_and_saveexec_b64 s[0:1], s[2:3]
	s_cbranch_execz .LBB105_95
; %bb.92:
	v_mul_u32_u24_e32 v15, 0x104, v5
	ds_read_b32 v17, v2 offset:1048
	ds_read_b32 v15, v15 offset:1040
	v_mov_b32_e32 v16, 0
	v_cmp_gt_u32_e64 s[8:9], 2, v4
	s_waitcnt lgkmcnt(0)
	v_fma_f32 v15, v17, v15, 0
	s_and_saveexec_b64 s[10:11], s[8:9]
	s_cbranch_execz .LBB105_94
; %bb.93:
	v_lshlrev_b32_e32 v17, 2, v0
	ds_read_b32 v17, v17 offset:1304
	ds_read_b32 v16, v16 offset:1044
	s_waitcnt lgkmcnt(0)
	v_fmac_f32_e32 v15, v17, v16
.LBB105_94:
	s_or_b64 exec, exec, s[10:11]
	v_xor_b32_e32 v15, 0x80000000, v15
.LBB105_95:
	s_or_b64 exec, exec, s[0:1]
	s_and_saveexec_b64 s[0:1], s[40:41]
; %bb.96:
	ds_write_b32 v3, v15
; %bb.97:
	s_or_b64 exec, exec, s[0:1]
	s_waitcnt lgkmcnt(0)
	s_barrier
	s_and_saveexec_b64 s[0:1], s[38:39]
	s_cbranch_execz .LBB105_99
; %bb.98:
	v_mov_b32_e32 v16, 0
	ds_read_b32 v16, v16 offset:1564
	ds_read_b32 v17, v3
	s_waitcnt lgkmcnt(0)
	v_fmac_f32_e32 v15, v16, v17
.LBB105_99:
	s_or_b64 exec, exec, s[0:1]
	s_barrier
	s_and_saveexec_b64 s[0:1], s[38:39]
; %bb.100:
	ds_write_b32 v3, v15
; %bb.101:
	s_or_b64 exec, exec, s[0:1]
	s_waitcnt lgkmcnt(0)
	s_barrier
	s_barrier
	s_and_saveexec_b64 s[0:1], s[2:3]
; %bb.102:
	v_xor_b32_e32 v15, 0x80000000, v15
	ds_write_b32 v2, v15 offset:1048
; %bb.103:
	s_or_b64 exec, exec, s[0:1]
	s_waitcnt lgkmcnt(0)
	s_barrier
	s_barrier
	s_and_saveexec_b64 s[0:1], s[42:43]
	s_cbranch_execz .LBB105_105
; %bb.104:
	v_lshlrev_b32_e32 v15, 2, v0
	s_movk_i32 s8, 0xfc
	v_mad_u32_u24 v16, v0, s8, v15
	ds_read_b32 v17, v16 offset:1048
	s_waitcnt lgkmcnt(0)
	ds_write_b32 v15, v17 offset:1552
	ds_read_b32 v16, v16 offset:1052
	s_waitcnt lgkmcnt(0)
	ds_write_b32 v15, v16 offset:1808
.LBB105_105:
	s_or_b64 exec, exec, s[0:1]
	s_waitcnt lgkmcnt(0)
	s_barrier
	s_and_saveexec_b64 s[0:1], vcc
	s_cbranch_execz .LBB105_107
; %bb.106:
	v_mov_b32_e32 v17, 0
	ds_read_b32 v15, v17 offset:1564
	v_mov_b32_e32 v16, 1.0
	ds_write_b32 v17, v16 offset:1560
	s_waitcnt lgkmcnt(1)
	ds_write_b64 v17, v[15:16] offset:1816
.LBB105_107:
	s_or_b64 exec, exec, s[0:1]
	v_and_b32_e32 v18, 7, v0
	v_lshrrev_b32_e32 v19, 3, v4
	v_lshlrev_b32_e32 v16, 2, v18
	v_cmp_lt_u32_e64 s[10:11], 63, v4
	v_cmp_gt_u32_e64 s[8:9], 64, v4
	v_lshl_or_b32 v15, v19, 8, v16
	v_mov_b32_e32 v20, 0
	s_waitcnt lgkmcnt(0)
	s_barrier
	s_and_saveexec_b64 s[0:1], s[8:9]
	s_cbranch_execz .LBB105_117
; %bb.108:
	v_mul_u32_u24_e32 v20, 0x104, v19
	ds_read_b32 v17, v15 offset:32
	ds_read_b32 v21, v20
	v_cmp_gt_u32_e64 s[14:15], 56, v4
	s_waitcnt lgkmcnt(0)
	v_fma_f32 v17, v17, v21, 0
	s_and_saveexec_b64 s[16:17], s[14:15]
	s_cbranch_execnz .LBB105_1172
; %bb.109:
	s_or_b64 exec, exec, s[16:17]
	v_cmp_gt_u32_e64 s[14:15], 48, v4
	s_and_saveexec_b64 s[16:17], s[14:15]
	s_cbranch_execnz .LBB105_1173
.LBB105_110:
	s_or_b64 exec, exec, s[16:17]
	v_cmp_gt_u32_e64 s[14:15], 40, v4
	s_and_saveexec_b64 s[16:17], s[14:15]
	s_cbranch_execnz .LBB105_1174
.LBB105_111:
	s_or_b64 exec, exec, s[16:17]
	v_cmp_gt_u32_e64 s[14:15], 32, v4
	s_and_saveexec_b64 s[16:17], s[14:15]
	s_cbranch_execnz .LBB105_1175
.LBB105_112:
	s_or_b64 exec, exec, s[16:17]
	v_cmp_gt_u32_e64 s[14:15], 24, v4
	s_and_saveexec_b64 s[16:17], s[14:15]
	s_cbranch_execnz .LBB105_1176
.LBB105_113:
	s_or_b64 exec, exec, s[16:17]
	v_cmp_gt_u32_e64 s[14:15], 16, v4
	s_and_saveexec_b64 s[16:17], s[14:15]
	s_cbranch_execnz .LBB105_1177
.LBB105_114:
	s_or_b64 exec, exec, s[16:17]
	v_cmp_gt_u32_e64 s[14:15], 8, v4
	s_and_saveexec_b64 s[16:17], s[14:15]
	s_cbranch_execz .LBB105_116
.LBB105_115:
	v_lshlrev_b32_e32 v20, 2, v0
	v_mov_b32_e32 v21, 0
	ds_read_b32 v20, v20 offset:1824
	ds_read_b32 v21, v21 offset:28
	s_waitcnt lgkmcnt(0)
	v_fmac_f32_e32 v17, v20, v21
.LBB105_116:
	s_or_b64 exec, exec, s[16:17]
	v_xor_b32_e32 v20, 0x80000000, v17
.LBB105_117:
	s_or_b64 exec, exec, s[0:1]
	v_mov_b32_e32 v17, 0x4000
	v_cmp_eq_u32_e64 s[14:15], 0, v18
	s_xor_b64 s[0:1], s[10:11], -1
	v_lshl_add_u32 v17, v19, 2, v17
	s_and_b64 s[58:59], s[14:15], s[0:1]
	s_and_saveexec_b64 s[10:11], s[58:59]
; %bb.118:
	ds_write_b32 v17, v20
; %bb.119:
	s_or_b64 exec, exec, s[10:11]
	v_cmp_ne_u32_e64 s[10:11], 0, v18
	s_and_b64 s[60:61], s[10:11], s[0:1]
	s_waitcnt lgkmcnt(0)
	s_barrier
	s_and_saveexec_b64 s[10:11], s[60:61]
	s_cbranch_execz .LBB105_121
; %bb.120:
	ds_read_b32 v21, v16 offset:2080
	ds_read_b32 v22, v17
	s_waitcnt lgkmcnt(0)
	v_fmac_f32_e32 v20, v21, v22
.LBB105_121:
	s_or_b64 exec, exec, s[10:11]
	v_cmp_eq_u32_e64 s[10:11], 1, v18
	s_and_b64 s[62:63], s[10:11], s[0:1]
	s_barrier
	s_and_saveexec_b64 s[10:11], s[62:63]
; %bb.122:
	ds_write_b32 v17, v20
; %bb.123:
	s_or_b64 exec, exec, s[10:11]
	v_cmp_lt_u32_e64 s[10:11], 1, v18
	s_and_b64 s[64:65], s[10:11], s[0:1]
	s_waitcnt lgkmcnt(0)
	s_barrier
	s_and_saveexec_b64 s[10:11], s[64:65]
	s_cbranch_execz .LBB105_125
; %bb.124:
	ds_read_b32 v21, v16 offset:2336
	ds_read_b32 v22, v17
	s_waitcnt lgkmcnt(0)
	v_fmac_f32_e32 v20, v21, v22
.LBB105_125:
	s_or_b64 exec, exec, s[10:11]
	v_cmp_eq_u32_e64 s[10:11], 2, v18
	s_and_b64 s[68:69], s[10:11], s[0:1]
	s_barrier
	s_and_saveexec_b64 s[10:11], s[68:69]
; %bb.126:
	ds_write_b32 v17, v20
; %bb.127:
	s_or_b64 exec, exec, s[10:11]
	v_cmp_lt_u32_e64 s[10:11], 2, v18
	;; [unrolled: 21-line block ×5, first 2 shown]
	s_and_b64 s[82:83], s[10:11], s[0:1]
	s_waitcnt lgkmcnt(0)
	s_barrier
	s_and_saveexec_b64 s[10:11], s[82:83]
	s_cbranch_execz .LBB105_141
; %bb.140:
	ds_read_b32 v21, v16 offset:3360
	ds_read_b32 v22, v17
	s_waitcnt lgkmcnt(0)
	v_fmac_f32_e32 v20, v21, v22
.LBB105_141:
	s_or_b64 exec, exec, s[10:11]
	v_cmp_eq_u32_e64 s[10:11], 6, v18
	s_and_b64 s[84:85], s[10:11], s[0:1]
	s_barrier
	s_and_saveexec_b64 s[10:11], s[84:85]
; %bb.142:
	ds_write_b32 v17, v20
; %bb.143:
	s_or_b64 exec, exec, s[10:11]
	v_cmp_eq_u32_e64 s[10:11], 7, v18
	s_and_b64 s[66:67], s[10:11], s[0:1]
	s_waitcnt lgkmcnt(0)
	s_barrier
	s_and_saveexec_b64 s[0:1], s[66:67]
	s_cbranch_execz .LBB105_145
; %bb.144:
	v_mov_b32_e32 v21, 0
	ds_read_b32 v21, v21 offset:3644
	ds_read_b32 v22, v17
	s_waitcnt lgkmcnt(0)
	v_fmac_f32_e32 v20, v21, v22
.LBB105_145:
	s_or_b64 exec, exec, s[0:1]
	s_barrier
	s_and_saveexec_b64 s[0:1], s[66:67]
; %bb.146:
	ds_write_b32 v17, v20
; %bb.147:
	s_or_b64 exec, exec, s[0:1]
	s_waitcnt lgkmcnt(0)
	s_barrier
	s_barrier
	s_and_saveexec_b64 s[0:1], s[8:9]
; %bb.148:
	v_xor_b32_e32 v20, 0x80000000, v20
	ds_write_b32 v15, v20 offset:32
; %bb.149:
	s_or_b64 exec, exec, s[0:1]
	v_cmp_gt_u32_e64 s[10:11], 8, v0
	s_and_b64 s[86:87], s[12:13], s[10:11]
	s_waitcnt lgkmcnt(0)
	s_barrier
	s_barrier
	s_and_saveexec_b64 s[0:1], s[86:87]
	s_cbranch_execz .LBB105_151
; %bb.150:
	v_lshlrev_b32_e32 v20, 8, v0
	ds_read_b32 v21, v20 offset:32
	s_movk_i32 s10, 0xff04
	v_mad_i32_i24 v22, v0, s10, v20
	s_waitcnt lgkmcnt(0)
	ds_write_b32 v22, v21 offset:2048
	ds_read_b32 v21, v20 offset:36
	s_waitcnt lgkmcnt(0)
	ds_write_b32 v22, v21 offset:2304
	ds_read_b32 v21, v20 offset:40
	;; [unrolled: 3-line block ×7, first 2 shown]
	s_waitcnt lgkmcnt(0)
	ds_write_b32 v22, v20 offset:3840
.LBB105_151:
	s_or_b64 exec, exec, s[0:1]
	s_waitcnt lgkmcnt(0)
	s_barrier
	s_and_saveexec_b64 s[0:1], vcc
	s_cbranch_execz .LBB105_153
; %bb.152:
	v_mov_b32_e32 v22, 0
	ds_read_b32 v20, v22 offset:2084
	v_mov_b32_e32 v21, 1.0
	ds_write_b32 v22, v21 offset:2080
	s_waitcnt lgkmcnt(1)
	ds_write_b64 v22, v[20:21] offset:2336
.LBB105_153:
	s_or_b64 exec, exec, s[0:1]
	v_mov_b32_e32 v20, 0
	s_waitcnt lgkmcnt(0)
	s_barrier
	s_and_saveexec_b64 s[0:1], s[2:3]
	s_cbranch_execz .LBB105_157
; %bb.154:
	v_mul_u32_u24_e32 v20, 0x104, v5
	ds_read_b32 v22, v2 offset:2088
	ds_read_b32 v20, v20 offset:2080
	v_mov_b32_e32 v21, 0
	v_cmp_gt_u32_e64 s[10:11], 2, v4
	s_waitcnt lgkmcnt(0)
	v_fma_f32 v20, v22, v20, 0
	s_and_saveexec_b64 s[14:15], s[10:11]
	s_cbranch_execz .LBB105_156
; %bb.155:
	v_lshlrev_b32_e32 v22, 2, v0
	ds_read_b32 v22, v22 offset:2344
	ds_read_b32 v21, v21 offset:2084
	s_waitcnt lgkmcnt(0)
	v_fmac_f32_e32 v20, v22, v21
.LBB105_156:
	s_or_b64 exec, exec, s[14:15]
	v_xor_b32_e32 v20, 0x80000000, v20
.LBB105_157:
	s_or_b64 exec, exec, s[0:1]
	s_and_saveexec_b64 s[0:1], s[40:41]
; %bb.158:
	ds_write_b32 v3, v20
; %bb.159:
	s_or_b64 exec, exec, s[0:1]
	s_waitcnt lgkmcnt(0)
	s_barrier
	s_and_saveexec_b64 s[0:1], s[38:39]
	s_cbranch_execz .LBB105_161
; %bb.160:
	v_mov_b32_e32 v21, 0
	ds_read_b32 v21, v21 offset:2604
	ds_read_b32 v22, v3
	s_waitcnt lgkmcnt(0)
	v_fmac_f32_e32 v20, v21, v22
.LBB105_161:
	s_or_b64 exec, exec, s[0:1]
	s_barrier
	s_and_saveexec_b64 s[0:1], s[38:39]
; %bb.162:
	ds_write_b32 v3, v20
; %bb.163:
	s_or_b64 exec, exec, s[0:1]
	s_waitcnt lgkmcnt(0)
	s_barrier
	s_barrier
	s_and_saveexec_b64 s[0:1], s[2:3]
; %bb.164:
	v_xor_b32_e32 v20, 0x80000000, v20
	ds_write_b32 v2, v20 offset:2088
; %bb.165:
	s_or_b64 exec, exec, s[0:1]
	s_waitcnt lgkmcnt(0)
	s_barrier
	s_barrier
	s_and_saveexec_b64 s[0:1], s[42:43]
	s_cbranch_execz .LBB105_167
; %bb.166:
	v_lshlrev_b32_e32 v20, 2, v0
	s_movk_i32 s10, 0xfc
	v_mad_u32_u24 v21, v0, s10, v20
	ds_read_b32 v22, v21 offset:2088
	s_waitcnt lgkmcnt(0)
	ds_write_b32 v20, v22 offset:2592
	ds_read_b32 v21, v21 offset:2092
	s_waitcnt lgkmcnt(0)
	ds_write_b32 v20, v21 offset:2848
.LBB105_167:
	s_or_b64 exec, exec, s[0:1]
	s_waitcnt lgkmcnt(0)
	s_barrier
	s_and_saveexec_b64 s[0:1], vcc
	s_cbranch_execz .LBB105_169
; %bb.168:
	v_mov_b32_e32 v22, 0
	ds_read_b32 v20, v22 offset:2604
	v_mov_b32_e32 v21, 1.0
	ds_write_b32 v22, v21 offset:2600
	s_waitcnt lgkmcnt(1)
	ds_write_b64 v22, v[20:21] offset:2856
.LBB105_169:
	s_or_b64 exec, exec, s[0:1]
	v_mov_b32_e32 v20, 0
	s_waitcnt lgkmcnt(0)
	s_barrier
	s_and_saveexec_b64 s[0:1], s[18:19]
	s_cbranch_execz .LBB105_175
; %bb.170:
	v_mul_u32_u24_e32 v21, 0x104, v14
	ds_read_b32 v20, v10 offset:2096
	ds_read_b32 v22, v21 offset:2080
	v_cmp_gt_u32_e64 s[10:11], 12, v4
	s_waitcnt lgkmcnt(0)
	v_fma_f32 v20, v20, v22, 0
	s_and_saveexec_b64 s[14:15], s[10:11]
	s_cbranch_execnz .LBB105_1178
; %bb.171:
	s_or_b64 exec, exec, s[14:15]
	v_cmp_gt_u32_e64 s[10:11], 8, v4
	s_and_saveexec_b64 s[14:15], s[10:11]
	s_cbranch_execnz .LBB105_1179
.LBB105_172:
	s_or_b64 exec, exec, s[14:15]
	v_cmp_gt_u32_e64 s[10:11], 4, v4
	s_and_saveexec_b64 s[14:15], s[10:11]
	s_cbranch_execz .LBB105_174
.LBB105_173:
	v_lshlrev_b32_e32 v21, 2, v0
	v_mov_b32_e32 v22, 0
	ds_read_b32 v21, v21 offset:2864
	ds_read_b32 v22, v22 offset:2092
	s_waitcnt lgkmcnt(0)
	v_fmac_f32_e32 v20, v21, v22
.LBB105_174:
	s_or_b64 exec, exec, s[14:15]
	v_xor_b32_e32 v20, 0x80000000, v20
.LBB105_175:
	s_or_b64 exec, exec, s[0:1]
	s_and_saveexec_b64 s[0:1], s[46:47]
; %bb.176:
	ds_write_b32 v12, v20
; %bb.177:
	s_or_b64 exec, exec, s[0:1]
	s_waitcnt lgkmcnt(0)
	s_barrier
	s_and_saveexec_b64 s[0:1], s[48:49]
	s_cbranch_execz .LBB105_179
; %bb.178:
	ds_read_b32 v21, v11 offset:3120
	ds_read_b32 v22, v12
	s_waitcnt lgkmcnt(0)
	v_fmac_f32_e32 v20, v21, v22
.LBB105_179:
	s_or_b64 exec, exec, s[0:1]
	s_barrier
	s_and_saveexec_b64 s[0:1], s[50:51]
; %bb.180:
	ds_write_b32 v12, v20
; %bb.181:
	s_or_b64 exec, exec, s[0:1]
	s_waitcnt lgkmcnt(0)
	s_barrier
	s_and_saveexec_b64 s[0:1], s[52:53]
	s_cbranch_execz .LBB105_183
; %bb.182:
	ds_read_b32 v21, v11 offset:3376
	ds_read_b32 v22, v12
	s_waitcnt lgkmcnt(0)
	v_fmac_f32_e32 v20, v21, v22
.LBB105_183:
	s_or_b64 exec, exec, s[0:1]
	s_barrier
	s_and_saveexec_b64 s[0:1], s[54:55]
; %bb.184:
	ds_write_b32 v12, v20
; %bb.185:
	s_or_b64 exec, exec, s[0:1]
	s_waitcnt lgkmcnt(0)
	s_barrier
	s_and_saveexec_b64 s[0:1], s[44:45]
	s_cbranch_execz .LBB105_187
; %bb.186:
	v_mov_b32_e32 v21, 0
	ds_read_b32 v21, v21 offset:3644
	ds_read_b32 v22, v12
	s_waitcnt lgkmcnt(0)
	v_fmac_f32_e32 v20, v21, v22
.LBB105_187:
	s_or_b64 exec, exec, s[0:1]
	s_barrier
	s_and_saveexec_b64 s[0:1], s[44:45]
; %bb.188:
	ds_write_b32 v12, v20
; %bb.189:
	s_or_b64 exec, exec, s[0:1]
	s_waitcnt lgkmcnt(0)
	s_barrier
	s_barrier
	s_and_saveexec_b64 s[0:1], s[18:19]
; %bb.190:
	v_xor_b32_e32 v20, 0x80000000, v20
	ds_write_b32 v10, v20 offset:2096
; %bb.191:
	s_or_b64 exec, exec, s[0:1]
	s_waitcnt lgkmcnt(0)
	s_barrier
	s_barrier
	s_and_saveexec_b64 s[0:1], s[56:57]
	s_cbranch_execz .LBB105_193
; %bb.192:
	v_lshlrev_b32_e32 v20, 8, v0
	ds_read_b32 v21, v20 offset:2096
	s_movk_i32 s10, 0xff04
	v_mad_i32_i24 v22, v0, s10, v20
	s_waitcnt lgkmcnt(0)
	ds_write_b32 v22, v21 offset:3104
	ds_read_b32 v21, v20 offset:2100
	s_waitcnt lgkmcnt(0)
	ds_write_b32 v22, v21 offset:3360
	ds_read_b32 v21, v20 offset:2104
	;; [unrolled: 3-line block ×3, first 2 shown]
	s_waitcnt lgkmcnt(0)
	ds_write_b32 v22, v20 offset:3872
.LBB105_193:
	s_or_b64 exec, exec, s[0:1]
	s_waitcnt lgkmcnt(0)
	s_barrier
	s_and_saveexec_b64 s[0:1], vcc
	s_cbranch_execz .LBB105_195
; %bb.194:
	v_mov_b32_e32 v22, 0
	ds_read_b32 v20, v22 offset:3124
	v_mov_b32_e32 v21, 1.0
	ds_write_b32 v22, v21 offset:3120
	s_waitcnt lgkmcnt(1)
	ds_write_b64 v22, v[20:21] offset:3376
.LBB105_195:
	s_or_b64 exec, exec, s[0:1]
	v_mov_b32_e32 v20, 0
	s_waitcnt lgkmcnt(0)
	s_barrier
	s_and_saveexec_b64 s[0:1], s[2:3]
	s_cbranch_execz .LBB105_199
; %bb.196:
	v_mul_u32_u24_e32 v20, 0x104, v5
	ds_read_b32 v22, v2 offset:3128
	ds_read_b32 v20, v20 offset:3120
	v_mov_b32_e32 v21, 0
	v_cmp_gt_u32_e64 s[10:11], 2, v4
	s_waitcnt lgkmcnt(0)
	v_fma_f32 v20, v22, v20, 0
	s_and_saveexec_b64 s[14:15], s[10:11]
	s_cbranch_execz .LBB105_198
; %bb.197:
	v_lshlrev_b32_e32 v22, 2, v0
	ds_read_b32 v22, v22 offset:3384
	ds_read_b32 v21, v21 offset:3124
	s_waitcnt lgkmcnt(0)
	v_fmac_f32_e32 v20, v22, v21
.LBB105_198:
	s_or_b64 exec, exec, s[14:15]
	v_xor_b32_e32 v20, 0x80000000, v20
.LBB105_199:
	s_or_b64 exec, exec, s[0:1]
	s_and_saveexec_b64 s[0:1], s[40:41]
; %bb.200:
	ds_write_b32 v3, v20
; %bb.201:
	s_or_b64 exec, exec, s[0:1]
	s_waitcnt lgkmcnt(0)
	s_barrier
	s_and_saveexec_b64 s[0:1], s[38:39]
	s_cbranch_execz .LBB105_203
; %bb.202:
	v_mov_b32_e32 v21, 0
	ds_read_b32 v21, v21 offset:3644
	ds_read_b32 v22, v3
	s_waitcnt lgkmcnt(0)
	v_fmac_f32_e32 v20, v21, v22
.LBB105_203:
	s_or_b64 exec, exec, s[0:1]
	s_barrier
	s_and_saveexec_b64 s[0:1], s[38:39]
; %bb.204:
	ds_write_b32 v3, v20
; %bb.205:
	s_or_b64 exec, exec, s[0:1]
	s_waitcnt lgkmcnt(0)
	s_barrier
	s_barrier
	s_and_saveexec_b64 s[0:1], s[2:3]
; %bb.206:
	v_xor_b32_e32 v20, 0x80000000, v20
	ds_write_b32 v2, v20 offset:3128
; %bb.207:
	s_or_b64 exec, exec, s[0:1]
	s_waitcnt lgkmcnt(0)
	s_barrier
	s_barrier
	s_and_saveexec_b64 s[0:1], s[42:43]
	s_cbranch_execz .LBB105_209
; %bb.208:
	v_lshlrev_b32_e32 v20, 2, v0
	s_movk_i32 s10, 0xfc
	v_mad_u32_u24 v21, v0, s10, v20
	ds_read_b32 v22, v21 offset:3128
	s_waitcnt lgkmcnt(0)
	ds_write_b32 v20, v22 offset:3632
	ds_read_b32 v21, v21 offset:3132
	s_waitcnt lgkmcnt(0)
	ds_write_b32 v20, v21 offset:3888
.LBB105_209:
	s_or_b64 exec, exec, s[0:1]
	s_waitcnt lgkmcnt(0)
	s_barrier
	s_and_saveexec_b64 s[0:1], vcc
	s_cbranch_execz .LBB105_211
; %bb.210:
	v_mov_b32_e32 v22, 0
	ds_read_b32 v20, v22 offset:3644
	v_mov_b32_e32 v21, 1.0
	ds_write_b32 v22, v21 offset:3640
	s_waitcnt lgkmcnt(1)
	ds_write_b64 v22, v[20:21] offset:3896
.LBB105_211:
	s_or_b64 exec, exec, s[0:1]
	v_lshrrev_b32_e32 v24, 4, v4
	v_and_b32_e32 v21, 15, v0
	s_movk_i32 s0, 0xff
	v_lshlrev_b32_e32 v23, 6, v24
	v_cmp_lt_u32_e64 s[14:15], s0, v4
	s_movk_i32 s0, 0x100
	v_or_b32_e32 v20, v23, v21
	v_cmp_gt_u32_e64 s[10:11], s0, v4
	v_lshlrev_b32_e32 v20, 2, v20
	v_mov_b32_e32 v25, 0
	s_waitcnt lgkmcnt(0)
	s_barrier
	s_and_saveexec_b64 s[0:1], s[10:11]
	s_cbranch_execz .LBB105_239
; %bb.212:
	v_mul_u32_u24_e32 v25, 0x104, v24
	ds_read_b32 v22, v20 offset:64
	ds_read_b32 v26, v25
	s_movk_i32 s16, 0xf0
	v_cmp_gt_u32_e64 s[16:17], s16, v4
	s_waitcnt lgkmcnt(0)
	v_fma_f32 v22, v22, v26, 0
	s_and_saveexec_b64 s[20:21], s[16:17]
	s_cbranch_execz .LBB105_214
; %bb.213:
	v_lshlrev_b32_e32 v26, 2, v24
	v_sub_u32_e32 v26, v25, v26
	v_lshl_add_u32 v26, v21, 2, v26
	ds_read_b32 v26, v26 offset:320
	ds_read_b32 v27, v25 offset:4
	s_waitcnt lgkmcnt(0)
	v_fmac_f32_e32 v22, v26, v27
.LBB105_214:
	s_or_b64 exec, exec, s[20:21]
	s_movk_i32 s16, 0xe0
	v_cmp_gt_u32_e64 s[16:17], s16, v4
	s_and_saveexec_b64 s[20:21], s[16:17]
	s_cbranch_execz .LBB105_216
; %bb.215:
	v_lshlrev_b32_e32 v26, 2, v24
	v_sub_u32_e32 v26, v25, v26
	v_lshl_add_u32 v26, v21, 2, v26
	ds_read_b32 v26, v26 offset:576
	ds_read_b32 v27, v25 offset:8
	s_waitcnt lgkmcnt(0)
	v_fmac_f32_e32 v22, v26, v27
.LBB105_216:
	s_or_b64 exec, exec, s[20:21]
	s_movk_i32 s16, 0xd0
	v_cmp_gt_u32_e64 s[16:17], s16, v4
	;; [unrolled: 14-line block ×7, first 2 shown]
	s_and_saveexec_b64 s[20:21], s[16:17]
	s_cbranch_execz .LBB105_228
; %bb.227:
	ds_read_b32 v26, v20 offset:2112
	ds_read_b32 v27, v25 offset:32
	s_waitcnt lgkmcnt(0)
	v_fmac_f32_e32 v22, v26, v27
.LBB105_228:
	s_or_b64 exec, exec, s[20:21]
	s_movk_i32 s16, 0x70
	v_cmp_gt_u32_e64 s[16:17], s16, v4
	s_and_saveexec_b64 s[20:21], s[16:17]
	s_cbranch_execz .LBB105_230
; %bb.229:
	v_lshlrev_b32_e32 v26, 2, v24
	v_sub_u32_e32 v26, v25, v26
	v_lshl_add_u32 v26, v21, 2, v26
	ds_read_b32 v26, v26 offset:2368
	ds_read_b32 v27, v25 offset:36
	s_waitcnt lgkmcnt(0)
	v_fmac_f32_e32 v22, v26, v27
.LBB105_230:
	s_or_b64 exec, exec, s[20:21]
	s_movk_i32 s16, 0x60
	v_cmp_gt_u32_e64 s[16:17], s16, v4
	s_and_saveexec_b64 s[20:21], s[16:17]
	s_cbranch_execz .LBB105_232
; %bb.231:
	v_lshlrev_b32_e32 v26, 2, v21
	v_lshl_add_u32 v26, v23, 2, v26
	ds_read_b32 v26, v26 offset:2624
	ds_read_b32 v27, v25 offset:40
	s_waitcnt lgkmcnt(0)
	v_fmac_f32_e32 v22, v26, v27
.LBB105_232:
	s_or_b64 exec, exec, s[20:21]
	s_movk_i32 s16, 0x50
	v_cmp_gt_u32_e64 s[16:17], s16, v4
	s_and_saveexec_b64 s[20:21], s[16:17]
	s_cbranch_execnz .LBB105_1180
; %bb.233:
	s_or_b64 exec, exec, s[20:21]
	v_cmp_gt_u32_e64 s[16:17], 64, v4
	s_and_saveexec_b64 s[20:21], s[16:17]
	s_cbranch_execnz .LBB105_1181
.LBB105_234:
	s_or_b64 exec, exec, s[20:21]
	v_cmp_gt_u32_e64 s[16:17], 48, v4
	s_and_saveexec_b64 s[20:21], s[16:17]
	s_cbranch_execnz .LBB105_1182
.LBB105_235:
	s_or_b64 exec, exec, s[20:21]
	v_cmp_gt_u32_e64 s[16:17], 32, v4
	s_and_saveexec_b64 s[20:21], s[16:17]
	s_cbranch_execnz .LBB105_1183
.LBB105_236:
	s_or_b64 exec, exec, s[20:21]
	v_cmp_gt_u32_e64 s[16:17], 16, v4
	s_and_saveexec_b64 s[20:21], s[16:17]
	s_cbranch_execz .LBB105_238
.LBB105_237:
	v_lshlrev_b32_e32 v25, 2, v0
	v_mov_b32_e32 v26, 0
	ds_read_b32 v25, v25 offset:3904
	ds_read_b32 v26, v26 offset:60
	s_waitcnt lgkmcnt(0)
	v_fmac_f32_e32 v22, v25, v26
.LBB105_238:
	s_or_b64 exec, exec, s[20:21]
	v_xor_b32_e32 v25, 0x80000000, v22
.LBB105_239:
	s_or_b64 exec, exec, s[0:1]
	v_mov_b32_e32 v22, 0x4000
	v_lshl_add_u32 v22, v24, 2, v22
	v_cmp_eq_u32_e64 s[16:17], 0, v21
	s_xor_b64 s[20:21], s[14:15], -1
	s_and_b64 s[14:15], s[16:17], s[20:21]
	s_mov_b64 s[0:1], exec
	v_writelane_b32 v33, s14, 3
	v_writelane_b32 v33, s15, 4
	s_and_b64 s[14:15], s[0:1], s[14:15]
	s_mov_b64 exec, s[14:15]
; %bb.240:
	ds_write_b32 v22, v25
; %bb.241:
	s_or_b64 exec, exec, s[0:1]
	v_cmp_ne_u32_e64 s[14:15], 0, v21
	s_waitcnt lgkmcnt(0)
	s_barrier
	s_and_b64 s[14:15], s[14:15], s[20:21]
	s_mov_b64 s[0:1], exec
	v_writelane_b32 v33, s14, 5
	v_writelane_b32 v33, s15, 6
	s_and_b64 s[14:15], s[0:1], s[14:15]
	s_mov_b64 exec, s[14:15]
	s_cbranch_execz .LBB105_243
; %bb.242:
	v_lshlrev_b32_e32 v26, 2, v21
	ds_read_b32 v26, v26 offset:4160
	ds_read_b32 v27, v22
	s_waitcnt lgkmcnt(0)
	v_fmac_f32_e32 v25, v26, v27
.LBB105_243:
	s_or_b64 exec, exec, s[0:1]
	v_cmp_eq_u32_e64 s[14:15], 1, v21
	s_barrier
	s_and_b64 s[14:15], s[14:15], s[20:21]
	s_mov_b64 s[0:1], exec
	v_writelane_b32 v33, s14, 7
	v_writelane_b32 v33, s15, 8
	s_and_b64 s[14:15], s[0:1], s[14:15]
	s_mov_b64 exec, s[14:15]
; %bb.244:
	ds_write_b32 v22, v25
; %bb.245:
	s_or_b64 exec, exec, s[0:1]
	v_cmp_lt_u32_e64 s[14:15], 1, v21
	s_waitcnt lgkmcnt(0)
	s_barrier
	s_and_b64 s[14:15], s[14:15], s[20:21]
	s_mov_b64 s[0:1], exec
	v_writelane_b32 v33, s14, 9
	v_writelane_b32 v33, s15, 10
	s_and_b64 s[14:15], s[0:1], s[14:15]
	s_mov_b64 exec, s[14:15]
	s_cbranch_execz .LBB105_247
; %bb.246:
	v_lshlrev_b32_e32 v26, 2, v21
	ds_read_b32 v26, v26 offset:4416
	ds_read_b32 v27, v22
	s_waitcnt lgkmcnt(0)
	v_fmac_f32_e32 v25, v26, v27
.LBB105_247:
	s_or_b64 exec, exec, s[0:1]
	v_cmp_eq_u32_e64 s[14:15], 2, v21
	s_barrier
	s_and_b64 s[14:15], s[14:15], s[20:21]
	s_mov_b64 s[0:1], exec
	v_writelane_b32 v33, s14, 11
	v_writelane_b32 v33, s15, 12
	s_and_b64 s[14:15], s[0:1], s[14:15]
	s_mov_b64 exec, s[14:15]
; %bb.248:
	ds_write_b32 v22, v25
; %bb.249:
	s_or_b64 exec, exec, s[0:1]
	v_cmp_lt_u32_e64 s[14:15], 2, v21
	s_waitcnt lgkmcnt(0)
	s_barrier
	s_and_b64 s[14:15], s[14:15], s[20:21]
	s_mov_b64 s[0:1], exec
	v_writelane_b32 v33, s14, 13
	v_writelane_b32 v33, s15, 14
	s_and_b64 s[14:15], s[0:1], s[14:15]
	s_mov_b64 exec, s[14:15]
	s_cbranch_execz .LBB105_251
; %bb.250:
	v_lshlrev_b32_e32 v26, 2, v21
	ds_read_b32 v26, v26 offset:4672
	ds_read_b32 v27, v22
	s_waitcnt lgkmcnt(0)
	v_fmac_f32_e32 v25, v26, v27
.LBB105_251:
	s_or_b64 exec, exec, s[0:1]
	v_cmp_eq_u32_e64 s[14:15], 3, v21
	s_barrier
	s_and_b64 s[14:15], s[14:15], s[20:21]
	s_mov_b64 s[0:1], exec
	v_writelane_b32 v33, s14, 15
	v_writelane_b32 v33, s15, 16
	s_and_b64 s[14:15], s[0:1], s[14:15]
	s_mov_b64 exec, s[14:15]
; %bb.252:
	ds_write_b32 v22, v25
; %bb.253:
	s_or_b64 exec, exec, s[0:1]
	v_cmp_lt_u32_e64 s[14:15], 3, v21
	s_waitcnt lgkmcnt(0)
	s_barrier
	s_and_b64 s[14:15], s[14:15], s[20:21]
	s_mov_b64 s[0:1], exec
	v_writelane_b32 v33, s14, 17
	v_writelane_b32 v33, s15, 18
	s_and_b64 s[14:15], s[0:1], s[14:15]
	s_mov_b64 exec, s[14:15]
	s_cbranch_execz .LBB105_255
; %bb.254:
	v_lshlrev_b32_e32 v26, 2, v21
	ds_read_b32 v26, v26 offset:4928
	ds_read_b32 v27, v22
	s_waitcnt lgkmcnt(0)
	v_fmac_f32_e32 v25, v26, v27
.LBB105_255:
	s_or_b64 exec, exec, s[0:1]
	v_cmp_eq_u32_e64 s[14:15], 4, v21
	s_barrier
	s_and_b64 s[14:15], s[14:15], s[20:21]
	s_mov_b64 s[0:1], exec
	v_writelane_b32 v33, s14, 19
	v_writelane_b32 v33, s15, 20
	s_and_b64 s[14:15], s[0:1], s[14:15]
	s_mov_b64 exec, s[14:15]
; %bb.256:
	ds_write_b32 v22, v25
; %bb.257:
	s_or_b64 exec, exec, s[0:1]
	v_cmp_lt_u32_e64 s[14:15], 4, v21
	s_waitcnt lgkmcnt(0)
	s_barrier
	s_and_b64 s[14:15], s[14:15], s[20:21]
	s_mov_b64 s[0:1], exec
	v_writelane_b32 v33, s14, 21
	v_writelane_b32 v33, s15, 22
	s_and_b64 s[14:15], s[0:1], s[14:15]
	s_mov_b64 exec, s[14:15]
	s_cbranch_execz .LBB105_259
; %bb.258:
	v_lshlrev_b32_e32 v26, 2, v21
	ds_read_b32 v26, v26 offset:5184
	ds_read_b32 v27, v22
	s_waitcnt lgkmcnt(0)
	v_fmac_f32_e32 v25, v26, v27
.LBB105_259:
	s_or_b64 exec, exec, s[0:1]
	v_cmp_eq_u32_e64 s[14:15], 5, v21
	s_barrier
	s_and_b64 s[14:15], s[14:15], s[20:21]
	s_mov_b64 s[0:1], exec
	v_writelane_b32 v33, s14, 23
	v_writelane_b32 v33, s15, 24
	s_and_b64 s[14:15], s[0:1], s[14:15]
	s_mov_b64 exec, s[14:15]
; %bb.260:
	ds_write_b32 v22, v25
; %bb.261:
	s_or_b64 exec, exec, s[0:1]
	v_cmp_lt_u32_e64 s[14:15], 5, v21
	s_waitcnt lgkmcnt(0)
	s_barrier
	s_and_b64 s[14:15], s[14:15], s[20:21]
	s_mov_b64 s[0:1], exec
	v_writelane_b32 v33, s14, 25
	v_writelane_b32 v33, s15, 26
	s_and_b64 s[14:15], s[0:1], s[14:15]
	s_mov_b64 exec, s[14:15]
	s_cbranch_execz .LBB105_263
; %bb.262:
	v_lshlrev_b32_e32 v26, 2, v21
	ds_read_b32 v26, v26 offset:5440
	ds_read_b32 v27, v22
	s_waitcnt lgkmcnt(0)
	v_fmac_f32_e32 v25, v26, v27
.LBB105_263:
	s_or_b64 exec, exec, s[0:1]
	v_cmp_eq_u32_e64 s[14:15], 6, v21
	s_barrier
	s_and_b64 s[14:15], s[14:15], s[20:21]
	s_mov_b64 s[0:1], exec
	v_writelane_b32 v33, s14, 27
	v_writelane_b32 v33, s15, 28
	s_and_b64 s[14:15], s[0:1], s[14:15]
	s_mov_b64 exec, s[14:15]
; %bb.264:
	ds_write_b32 v22, v25
; %bb.265:
	s_or_b64 exec, exec, s[0:1]
	v_cmp_lt_u32_e64 s[14:15], 6, v21
	s_waitcnt lgkmcnt(0)
	s_barrier
	s_and_b64 s[14:15], s[14:15], s[20:21]
	s_mov_b64 s[0:1], exec
	v_writelane_b32 v33, s14, 29
	v_writelane_b32 v33, s15, 30
	s_and_b64 s[14:15], s[0:1], s[14:15]
	s_mov_b64 exec, s[14:15]
	s_cbranch_execz .LBB105_267
; %bb.266:
	v_lshlrev_b32_e32 v26, 2, v21
	ds_read_b32 v26, v26 offset:5696
	ds_read_b32 v27, v22
	s_waitcnt lgkmcnt(0)
	v_fmac_f32_e32 v25, v26, v27
.LBB105_267:
	s_or_b64 exec, exec, s[0:1]
	v_cmp_eq_u32_e64 s[14:15], 7, v21
	s_barrier
	s_and_b64 s[14:15], s[14:15], s[20:21]
	s_mov_b64 s[0:1], exec
	v_writelane_b32 v33, s14, 31
	v_writelane_b32 v33, s15, 32
	s_and_b64 s[14:15], s[0:1], s[14:15]
	s_mov_b64 exec, s[14:15]
; %bb.268:
	ds_write_b32 v22, v25
; %bb.269:
	s_or_b64 exec, exec, s[0:1]
	v_cmp_lt_u32_e64 s[14:15], 7, v21
	s_waitcnt lgkmcnt(0)
	s_barrier
	s_and_b64 s[14:15], s[14:15], s[20:21]
	s_mov_b64 s[0:1], exec
	v_writelane_b32 v33, s14, 33
	v_writelane_b32 v33, s15, 34
	s_and_b64 s[14:15], s[0:1], s[14:15]
	s_mov_b64 exec, s[14:15]
	s_cbranch_execz .LBB105_271
; %bb.270:
	v_lshlrev_b32_e32 v26, 2, v21
	ds_read_b32 v26, v26 offset:5952
	ds_read_b32 v27, v22
	s_waitcnt lgkmcnt(0)
	v_fmac_f32_e32 v25, v26, v27
.LBB105_271:
	s_or_b64 exec, exec, s[0:1]
	v_cmp_eq_u32_e64 s[14:15], 8, v21
	s_barrier
	s_and_b64 s[14:15], s[14:15], s[20:21]
	s_mov_b64 s[0:1], exec
	v_writelane_b32 v33, s14, 35
	v_writelane_b32 v33, s15, 36
	s_and_b64 s[14:15], s[0:1], s[14:15]
	s_mov_b64 exec, s[14:15]
; %bb.272:
	ds_write_b32 v22, v25
; %bb.273:
	s_or_b64 exec, exec, s[0:1]
	v_cmp_lt_u32_e64 s[14:15], 8, v21
	s_waitcnt lgkmcnt(0)
	s_barrier
	s_and_b64 s[14:15], s[14:15], s[20:21]
	s_mov_b64 s[0:1], exec
	v_writelane_b32 v33, s14, 37
	v_writelane_b32 v33, s15, 38
	s_and_b64 s[14:15], s[0:1], s[14:15]
	s_mov_b64 exec, s[14:15]
	s_cbranch_execz .LBB105_275
; %bb.274:
	v_lshlrev_b32_e32 v26, 2, v21
	ds_read_b32 v26, v26 offset:6208
	ds_read_b32 v27, v22
	s_waitcnt lgkmcnt(0)
	v_fmac_f32_e32 v25, v26, v27
.LBB105_275:
	s_or_b64 exec, exec, s[0:1]
	v_cmp_eq_u32_e64 s[14:15], 9, v21
	s_barrier
	s_and_b64 s[14:15], s[14:15], s[20:21]
	s_mov_b64 s[0:1], exec
	v_writelane_b32 v33, s14, 39
	v_writelane_b32 v33, s15, 40
	s_and_b64 s[14:15], s[0:1], s[14:15]
	s_mov_b64 exec, s[14:15]
; %bb.276:
	ds_write_b32 v22, v25
; %bb.277:
	s_or_b64 exec, exec, s[0:1]
	v_cmp_lt_u32_e64 s[14:15], 9, v21
	s_waitcnt lgkmcnt(0)
	s_barrier
	s_and_b64 s[14:15], s[14:15], s[20:21]
	s_mov_b64 s[0:1], exec
	v_writelane_b32 v33, s14, 41
	v_writelane_b32 v33, s15, 42
	s_and_b64 s[14:15], s[0:1], s[14:15]
	s_mov_b64 exec, s[14:15]
	s_cbranch_execz .LBB105_279
; %bb.278:
	v_lshlrev_b32_e32 v26, 2, v21
	ds_read_b32 v26, v26 offset:6464
	ds_read_b32 v27, v22
	s_waitcnt lgkmcnt(0)
	v_fmac_f32_e32 v25, v26, v27
.LBB105_279:
	s_or_b64 exec, exec, s[0:1]
	v_cmp_eq_u32_e64 s[14:15], 10, v21
	s_barrier
	s_and_b64 s[14:15], s[14:15], s[20:21]
	s_mov_b64 s[0:1], exec
	v_writelane_b32 v33, s14, 43
	v_writelane_b32 v33, s15, 44
	s_and_b64 s[14:15], s[0:1], s[14:15]
	s_mov_b64 exec, s[14:15]
; %bb.280:
	ds_write_b32 v22, v25
; %bb.281:
	s_or_b64 exec, exec, s[0:1]
	v_cmp_lt_u32_e64 s[14:15], 10, v21
	s_waitcnt lgkmcnt(0)
	s_barrier
	s_and_b64 s[14:15], s[14:15], s[20:21]
	s_mov_b64 s[0:1], exec
	v_writelane_b32 v33, s14, 45
	v_writelane_b32 v33, s15, 46
	s_and_b64 s[14:15], s[0:1], s[14:15]
	s_mov_b64 exec, s[14:15]
	s_cbranch_execz .LBB105_283
; %bb.282:
	v_lshlrev_b32_e32 v26, 2, v21
	ds_read_b32 v26, v26 offset:6720
	ds_read_b32 v27, v22
	s_waitcnt lgkmcnt(0)
	v_fmac_f32_e32 v25, v26, v27
.LBB105_283:
	s_or_b64 exec, exec, s[0:1]
	v_cmp_eq_u32_e64 s[14:15], 11, v21
	s_barrier
	s_and_b64 s[14:15], s[14:15], s[20:21]
	s_mov_b64 s[0:1], exec
	v_writelane_b32 v33, s14, 47
	v_writelane_b32 v33, s15, 48
	s_and_b64 s[14:15], s[0:1], s[14:15]
	s_mov_b64 exec, s[14:15]
; %bb.284:
	ds_write_b32 v22, v25
; %bb.285:
	s_or_b64 exec, exec, s[0:1]
	v_cmp_lt_u32_e64 s[14:15], 11, v21
	s_waitcnt lgkmcnt(0)
	s_barrier
	s_and_b64 s[14:15], s[14:15], s[20:21]
	s_mov_b64 s[0:1], exec
	v_writelane_b32 v33, s14, 49
	v_writelane_b32 v33, s15, 50
	s_and_b64 s[14:15], s[0:1], s[14:15]
	s_mov_b64 exec, s[14:15]
	s_cbranch_execz .LBB105_287
; %bb.286:
	v_lshlrev_b32_e32 v26, 2, v21
	ds_read_b32 v26, v26 offset:6976
	ds_read_b32 v27, v22
	s_waitcnt lgkmcnt(0)
	v_fmac_f32_e32 v25, v26, v27
.LBB105_287:
	s_or_b64 exec, exec, s[0:1]
	v_cmp_eq_u32_e64 s[14:15], 12, v21
	s_barrier
	s_and_b64 s[14:15], s[14:15], s[20:21]
	s_mov_b64 s[0:1], exec
	v_writelane_b32 v33, s14, 51
	v_writelane_b32 v33, s15, 52
	s_and_b64 s[14:15], s[0:1], s[14:15]
	s_mov_b64 exec, s[14:15]
; %bb.288:
	ds_write_b32 v22, v25
; %bb.289:
	s_or_b64 exec, exec, s[0:1]
	v_cmp_lt_u32_e64 s[14:15], 12, v21
	s_waitcnt lgkmcnt(0)
	s_barrier
	s_and_b64 s[14:15], s[14:15], s[20:21]
	s_mov_b64 s[0:1], exec
	v_writelane_b32 v33, s14, 53
	v_writelane_b32 v33, s15, 54
	s_and_b64 s[14:15], s[0:1], s[14:15]
	s_mov_b64 exec, s[14:15]
	s_cbranch_execz .LBB105_291
; %bb.290:
	v_lshlrev_b32_e32 v26, 2, v21
	ds_read_b32 v26, v26 offset:7232
	ds_read_b32 v27, v22
	s_waitcnt lgkmcnt(0)
	v_fmac_f32_e32 v25, v26, v27
.LBB105_291:
	s_or_b64 exec, exec, s[0:1]
	v_cmp_eq_u32_e64 s[14:15], 13, v21
	s_barrier
	s_and_b64 s[14:15], s[14:15], s[20:21]
	s_mov_b64 s[0:1], exec
	v_writelane_b32 v33, s14, 55
	v_writelane_b32 v33, s15, 56
	s_and_b64 s[14:15], s[0:1], s[14:15]
	s_mov_b64 exec, s[14:15]
; %bb.292:
	ds_write_b32 v22, v25
; %bb.293:
	s_or_b64 exec, exec, s[0:1]
	v_cmp_lt_u32_e64 s[14:15], 13, v21
	s_waitcnt lgkmcnt(0)
	s_barrier
	s_and_b64 s[14:15], s[14:15], s[20:21]
	s_mov_b64 s[0:1], exec
	v_writelane_b32 v33, s14, 57
	v_writelane_b32 v33, s15, 58
	s_and_b64 s[14:15], s[0:1], s[14:15]
	s_mov_b64 exec, s[14:15]
	s_cbranch_execz .LBB105_295
; %bb.294:
	v_lshlrev_b32_e32 v26, 2, v21
	ds_read_b32 v26, v26 offset:7488
	ds_read_b32 v27, v22
	s_waitcnt lgkmcnt(0)
	v_fmac_f32_e32 v25, v26, v27
.LBB105_295:
	s_or_b64 exec, exec, s[0:1]
	v_cmp_eq_u32_e64 s[14:15], 14, v21
	s_barrier
	s_and_b64 s[14:15], s[14:15], s[20:21]
	s_mov_b64 s[0:1], exec
	v_writelane_b32 v33, s14, 59
	v_writelane_b32 v33, s15, 60
	s_and_b64 s[14:15], s[0:1], s[14:15]
	s_mov_b64 exec, s[14:15]
; %bb.296:
	ds_write_b32 v22, v25
; %bb.297:
	s_or_b64 exec, exec, s[0:1]
	v_cmp_eq_u32_e64 s[14:15], 15, v21
	s_and_b64 s[88:89], s[14:15], s[20:21]
	s_waitcnt lgkmcnt(0)
	s_barrier
	s_and_saveexec_b64 s[0:1], s[88:89]
	s_cbranch_execz .LBB105_299
; %bb.298:
	v_mov_b32_e32 v26, 0
	ds_read_b32 v26, v26 offset:7804
	ds_read_b32 v27, v22
	s_waitcnt lgkmcnt(0)
	v_fmac_f32_e32 v25, v26, v27
.LBB105_299:
	s_or_b64 exec, exec, s[0:1]
	s_barrier
	s_and_saveexec_b64 s[0:1], s[88:89]
; %bb.300:
	ds_write_b32 v22, v25
; %bb.301:
	s_or_b64 exec, exec, s[0:1]
	s_waitcnt lgkmcnt(0)
	s_barrier
	s_barrier
	s_and_saveexec_b64 s[0:1], s[10:11]
; %bb.302:
	v_xor_b32_e32 v25, 0x80000000, v25
	ds_write_b32 v20, v25 offset:64
; %bb.303:
	s_or_b64 exec, exec, s[0:1]
	v_cmp_gt_u32_e64 s[14:15], 16, v0
	s_waitcnt lgkmcnt(0)
	s_barrier
	s_barrier
	s_and_b64 s[0:1], s[12:13], s[14:15]
	s_mov_b64 s[14:15], exec
	v_writelane_b32 v33, s0, 61
	v_writelane_b32 v33, s1, 62
	s_and_b64 s[0:1], s[14:15], s[0:1]
	s_mov_b64 exec, s[0:1]
	s_cbranch_execz .LBB105_305
; %bb.304:
	v_lshlrev_b32_e32 v25, 8, v0
	ds_read_b32 v26, v25 offset:64
	s_movk_i32 s0, 0xff04
	v_mad_i32_i24 v27, v0, s0, v25
	s_waitcnt lgkmcnt(0)
	ds_write_b32 v27, v26 offset:4096
	ds_read_b32 v26, v25 offset:68
	s_waitcnt lgkmcnt(0)
	ds_write_b32 v27, v26 offset:4352
	ds_read_b32 v26, v25 offset:72
	;; [unrolled: 3-line block ×15, first 2 shown]
	s_waitcnt lgkmcnt(0)
	ds_write_b32 v27, v25 offset:7936
.LBB105_305:
	s_or_b64 exec, exec, s[14:15]
	s_waitcnt lgkmcnt(0)
	s_barrier
	s_and_saveexec_b64 s[14:15], vcc
	s_cbranch_execz .LBB105_307
; %bb.306:
	v_mov_b32_e32 v27, 0
	ds_read_b32 v25, v27 offset:4164
	v_mov_b32_e32 v26, 1.0
	ds_write_b32 v27, v26 offset:4160
	s_waitcnt lgkmcnt(1)
	ds_write_b64 v27, v[25:26] offset:4416
.LBB105_307:
	s_or_b64 exec, exec, s[14:15]
	v_mov_b32_e32 v25, 0
	s_waitcnt lgkmcnt(0)
	s_barrier
	s_and_saveexec_b64 s[16:17], s[2:3]
	s_cbranch_execz .LBB105_311
; %bb.308:
	v_mul_u32_u24_e32 v25, 0x104, v5
	ds_read_b32 v27, v2 offset:4168
	ds_read_b32 v25, v25 offset:4160
	v_mov_b32_e32 v26, 0
	v_cmp_gt_u32_e64 s[14:15], 2, v4
	s_waitcnt lgkmcnt(0)
	v_fma_f32 v25, v27, v25, 0
	s_and_saveexec_b64 s[0:1], s[14:15]
	s_cbranch_execz .LBB105_310
; %bb.309:
	v_lshlrev_b32_e32 v27, 2, v0
	ds_read_b32 v27, v27 offset:4424
	ds_read_b32 v26, v26 offset:4164
	s_waitcnt lgkmcnt(0)
	v_fmac_f32_e32 v25, v27, v26
.LBB105_310:
	s_or_b64 exec, exec, s[0:1]
	v_xor_b32_e32 v25, 0x80000000, v25
.LBB105_311:
	s_or_b64 exec, exec, s[16:17]
	s_and_saveexec_b64 s[0:1], s[40:41]
; %bb.312:
	ds_write_b32 v3, v25
; %bb.313:
	s_or_b64 exec, exec, s[0:1]
	s_waitcnt lgkmcnt(0)
	s_barrier
	s_and_saveexec_b64 s[0:1], s[38:39]
	s_cbranch_execz .LBB105_315
; %bb.314:
	v_mov_b32_e32 v26, 0
	ds_read_b32 v26, v26 offset:4684
	ds_read_b32 v27, v3
	s_waitcnt lgkmcnt(0)
	v_fmac_f32_e32 v25, v26, v27
.LBB105_315:
	s_or_b64 exec, exec, s[0:1]
	s_barrier
	s_and_saveexec_b64 s[0:1], s[38:39]
; %bb.316:
	ds_write_b32 v3, v25
; %bb.317:
	s_or_b64 exec, exec, s[0:1]
	s_waitcnt lgkmcnt(0)
	s_barrier
	s_barrier
	s_and_saveexec_b64 s[0:1], s[2:3]
; %bb.318:
	v_xor_b32_e32 v25, 0x80000000, v25
	ds_write_b32 v2, v25 offset:4168
; %bb.319:
	s_or_b64 exec, exec, s[0:1]
	s_waitcnt lgkmcnt(0)
	s_barrier
	s_barrier
	s_and_saveexec_b64 s[0:1], s[42:43]
	s_cbranch_execz .LBB105_321
; %bb.320:
	v_lshlrev_b32_e32 v25, 2, v0
	s_movk_i32 s14, 0xfc
	v_mad_u32_u24 v26, v0, s14, v25
	ds_read_b32 v27, v26 offset:4168
	s_waitcnt lgkmcnt(0)
	ds_write_b32 v25, v27 offset:4672
	ds_read_b32 v26, v26 offset:4172
	s_waitcnt lgkmcnt(0)
	ds_write_b32 v25, v26 offset:4928
.LBB105_321:
	s_or_b64 exec, exec, s[0:1]
	s_waitcnt lgkmcnt(0)
	s_barrier
	s_and_saveexec_b64 s[14:15], vcc
	s_cbranch_execz .LBB105_323
; %bb.322:
	v_mov_b32_e32 v27, 0
	ds_read_b32 v25, v27 offset:4684
	v_mov_b32_e32 v26, 1.0
	ds_write_b32 v27, v26 offset:4680
	s_waitcnt lgkmcnt(1)
	ds_write_b64 v27, v[25:26] offset:4936
.LBB105_323:
	s_or_b64 exec, exec, s[14:15]
	v_mov_b32_e32 v25, 0
	s_waitcnt lgkmcnt(0)
	s_barrier
	s_and_saveexec_b64 s[16:17], s[18:19]
	s_cbranch_execz .LBB105_329
; %bb.324:
	v_mul_u32_u24_e32 v26, 0x104, v14
	ds_read_b32 v25, v10 offset:4176
	ds_read_b32 v27, v26 offset:4160
	v_cmp_gt_u32_e64 s[14:15], 12, v4
	s_waitcnt lgkmcnt(0)
	v_fma_f32 v25, v25, v27, 0
	s_and_saveexec_b64 s[20:21], s[14:15]
	s_cbranch_execnz .LBB105_1184
; %bb.325:
	s_or_b64 exec, exec, s[20:21]
	v_cmp_gt_u32_e64 s[14:15], 8, v4
	s_and_saveexec_b64 s[0:1], s[14:15]
	s_cbranch_execnz .LBB105_1185
.LBB105_326:
	s_or_b64 exec, exec, s[0:1]
	v_cmp_gt_u32_e64 s[14:15], 4, v4
	s_and_saveexec_b64 s[20:21], s[14:15]
	s_cbranch_execz .LBB105_328
.LBB105_327:
	v_lshlrev_b32_e32 v26, 2, v0
	v_mov_b32_e32 v27, 0
	ds_read_b32 v26, v26 offset:4944
	ds_read_b32 v27, v27 offset:4172
	s_waitcnt lgkmcnt(0)
	v_fmac_f32_e32 v25, v26, v27
.LBB105_328:
	s_or_b64 exec, exec, s[20:21]
	v_xor_b32_e32 v25, 0x80000000, v25
.LBB105_329:
	s_or_b64 exec, exec, s[16:17]
	s_and_saveexec_b64 s[0:1], s[46:47]
; %bb.330:
	ds_write_b32 v12, v25
; %bb.331:
	s_or_b64 exec, exec, s[0:1]
	s_waitcnt lgkmcnt(0)
	s_barrier
	s_and_saveexec_b64 s[0:1], s[48:49]
	s_cbranch_execz .LBB105_333
; %bb.332:
	ds_read_b32 v26, v11 offset:5200
	ds_read_b32 v27, v12
	s_waitcnt lgkmcnt(0)
	v_fmac_f32_e32 v25, v26, v27
.LBB105_333:
	s_or_b64 exec, exec, s[0:1]
	s_barrier
	s_and_saveexec_b64 s[0:1], s[50:51]
; %bb.334:
	ds_write_b32 v12, v25
; %bb.335:
	s_or_b64 exec, exec, s[0:1]
	s_waitcnt lgkmcnt(0)
	s_barrier
	s_and_saveexec_b64 s[0:1], s[52:53]
	s_cbranch_execz .LBB105_337
; %bb.336:
	ds_read_b32 v26, v11 offset:5456
	ds_read_b32 v27, v12
	s_waitcnt lgkmcnt(0)
	v_fmac_f32_e32 v25, v26, v27
.LBB105_337:
	s_or_b64 exec, exec, s[0:1]
	s_barrier
	s_and_saveexec_b64 s[0:1], s[54:55]
; %bb.338:
	ds_write_b32 v12, v25
; %bb.339:
	s_or_b64 exec, exec, s[0:1]
	s_waitcnt lgkmcnt(0)
	s_barrier
	s_and_saveexec_b64 s[0:1], s[44:45]
	s_cbranch_execz .LBB105_341
; %bb.340:
	v_mov_b32_e32 v26, 0
	ds_read_b32 v26, v26 offset:5724
	ds_read_b32 v27, v12
	s_waitcnt lgkmcnt(0)
	v_fmac_f32_e32 v25, v26, v27
.LBB105_341:
	s_or_b64 exec, exec, s[0:1]
	s_barrier
	s_and_saveexec_b64 s[0:1], s[44:45]
; %bb.342:
	ds_write_b32 v12, v25
; %bb.343:
	s_or_b64 exec, exec, s[0:1]
	s_waitcnt lgkmcnt(0)
	s_barrier
	s_barrier
	s_and_saveexec_b64 s[0:1], s[18:19]
; %bb.344:
	v_xor_b32_e32 v25, 0x80000000, v25
	ds_write_b32 v10, v25 offset:4176
; %bb.345:
	s_or_b64 exec, exec, s[0:1]
	s_waitcnt lgkmcnt(0)
	s_barrier
	s_barrier
	s_and_saveexec_b64 s[14:15], s[56:57]
	s_cbranch_execz .LBB105_347
; %bb.346:
	v_lshlrev_b32_e32 v25, 8, v0
	ds_read_b32 v26, v25 offset:4176
	s_movk_i32 s0, 0xff04
	v_mad_i32_i24 v27, v0, s0, v25
	s_waitcnt lgkmcnt(0)
	ds_write_b32 v27, v26 offset:5184
	ds_read_b32 v26, v25 offset:4180
	s_waitcnt lgkmcnt(0)
	ds_write_b32 v27, v26 offset:5440
	ds_read_b32 v26, v25 offset:4184
	;; [unrolled: 3-line block ×3, first 2 shown]
	s_waitcnt lgkmcnt(0)
	ds_write_b32 v27, v25 offset:5952
.LBB105_347:
	s_or_b64 exec, exec, s[14:15]
	s_waitcnt lgkmcnt(0)
	s_barrier
	s_and_saveexec_b64 s[14:15], vcc
	s_cbranch_execz .LBB105_349
; %bb.348:
	v_mov_b32_e32 v27, 0
	ds_read_b32 v25, v27 offset:5204
	v_mov_b32_e32 v26, 1.0
	ds_write_b32 v27, v26 offset:5200
	s_waitcnt lgkmcnt(1)
	ds_write_b64 v27, v[25:26] offset:5456
.LBB105_349:
	s_or_b64 exec, exec, s[14:15]
	v_mov_b32_e32 v25, 0
	s_waitcnt lgkmcnt(0)
	s_barrier
	s_and_saveexec_b64 s[16:17], s[2:3]
	s_cbranch_execz .LBB105_353
; %bb.350:
	v_mul_u32_u24_e32 v25, 0x104, v5
	ds_read_b32 v27, v2 offset:5208
	ds_read_b32 v25, v25 offset:5200
	v_mov_b32_e32 v26, 0
	v_cmp_gt_u32_e64 s[14:15], 2, v4
	s_waitcnt lgkmcnt(0)
	v_fma_f32 v25, v27, v25, 0
	s_and_saveexec_b64 s[0:1], s[14:15]
	s_cbranch_execz .LBB105_352
; %bb.351:
	v_lshlrev_b32_e32 v27, 2, v0
	ds_read_b32 v27, v27 offset:5464
	ds_read_b32 v26, v26 offset:5204
	s_waitcnt lgkmcnt(0)
	v_fmac_f32_e32 v25, v27, v26
.LBB105_352:
	s_or_b64 exec, exec, s[0:1]
	v_xor_b32_e32 v25, 0x80000000, v25
.LBB105_353:
	s_or_b64 exec, exec, s[16:17]
	s_and_saveexec_b64 s[0:1], s[40:41]
; %bb.354:
	ds_write_b32 v3, v25
; %bb.355:
	s_or_b64 exec, exec, s[0:1]
	s_waitcnt lgkmcnt(0)
	s_barrier
	s_and_saveexec_b64 s[0:1], s[38:39]
	s_cbranch_execz .LBB105_357
; %bb.356:
	v_mov_b32_e32 v26, 0
	ds_read_b32 v26, v26 offset:5724
	ds_read_b32 v27, v3
	s_waitcnt lgkmcnt(0)
	v_fmac_f32_e32 v25, v26, v27
.LBB105_357:
	s_or_b64 exec, exec, s[0:1]
	s_barrier
	s_and_saveexec_b64 s[0:1], s[38:39]
; %bb.358:
	ds_write_b32 v3, v25
; %bb.359:
	s_or_b64 exec, exec, s[0:1]
	s_waitcnt lgkmcnt(0)
	s_barrier
	s_barrier
	s_and_saveexec_b64 s[0:1], s[2:3]
; %bb.360:
	v_xor_b32_e32 v25, 0x80000000, v25
	ds_write_b32 v2, v25 offset:5208
; %bb.361:
	s_or_b64 exec, exec, s[0:1]
	s_waitcnt lgkmcnt(0)
	s_barrier
	s_barrier
	s_and_saveexec_b64 s[0:1], s[42:43]
	s_cbranch_execz .LBB105_363
; %bb.362:
	v_lshlrev_b32_e32 v25, 2, v0
	s_movk_i32 s14, 0xfc
	v_mad_u32_u24 v26, v0, s14, v25
	ds_read_b32 v27, v26 offset:5208
	s_waitcnt lgkmcnt(0)
	ds_write_b32 v25, v27 offset:5712
	ds_read_b32 v26, v26 offset:5212
	s_waitcnt lgkmcnt(0)
	ds_write_b32 v25, v26 offset:5968
.LBB105_363:
	s_or_b64 exec, exec, s[0:1]
	s_waitcnt lgkmcnt(0)
	s_barrier
	s_and_saveexec_b64 s[14:15], vcc
	s_cbranch_execz .LBB105_365
; %bb.364:
	v_mov_b32_e32 v27, 0
	ds_read_b32 v25, v27 offset:5724
	v_mov_b32_e32 v26, 1.0
	ds_write_b32 v27, v26 offset:5720
	s_waitcnt lgkmcnt(1)
	ds_write_b64 v27, v[25:26] offset:5976
.LBB105_365:
	s_or_b64 exec, exec, s[14:15]
	v_mov_b32_e32 v25, 0
	s_waitcnt lgkmcnt(0)
	s_barrier
	s_and_saveexec_b64 s[16:17], s[8:9]
	s_cbranch_execz .LBB105_375
; %bb.366:
	v_mul_u32_u24_e32 v26, 0x104, v19
	ds_read_b32 v25, v15 offset:4192
	ds_read_b32 v27, v26 offset:4160
	v_cmp_gt_u32_e64 s[14:15], 56, v4
	s_waitcnt lgkmcnt(0)
	v_fma_f32 v25, v25, v27, 0
	s_and_saveexec_b64 s[20:21], s[14:15]
	s_cbranch_execnz .LBB105_1186
; %bb.367:
	s_or_b64 exec, exec, s[20:21]
	v_cmp_gt_u32_e64 s[14:15], 48, v4
	s_and_saveexec_b64 s[20:21], s[14:15]
	s_cbranch_execnz .LBB105_1187
.LBB105_368:
	s_or_b64 exec, exec, s[20:21]
	v_cmp_gt_u32_e64 s[14:15], 40, v4
	s_and_saveexec_b64 s[20:21], s[14:15]
	s_cbranch_execnz .LBB105_1188
.LBB105_369:
	s_or_b64 exec, exec, s[20:21]
	v_cmp_gt_u32_e64 s[14:15], 32, v4
	s_and_saveexec_b64 s[0:1], s[14:15]
	s_cbranch_execnz .LBB105_1189
.LBB105_370:
	s_or_b64 exec, exec, s[0:1]
	v_cmp_gt_u32_e64 s[14:15], 24, v4
	s_and_saveexec_b64 s[20:21], s[14:15]
	s_cbranch_execnz .LBB105_1190
.LBB105_371:
	s_or_b64 exec, exec, s[20:21]
	v_cmp_gt_u32_e64 s[14:15], 16, v4
	s_and_saveexec_b64 s[0:1], s[14:15]
	s_cbranch_execnz .LBB105_1191
.LBB105_372:
	s_or_b64 exec, exec, s[0:1]
	v_cmp_gt_u32_e64 s[14:15], 8, v4
	s_and_saveexec_b64 s[20:21], s[14:15]
	s_cbranch_execz .LBB105_374
.LBB105_373:
	v_lshlrev_b32_e32 v26, 2, v0
	v_mov_b32_e32 v27, 0
	ds_read_b32 v26, v26 offset:5984
	ds_read_b32 v27, v27 offset:4188
	s_waitcnt lgkmcnt(0)
	v_fmac_f32_e32 v25, v26, v27
.LBB105_374:
	s_or_b64 exec, exec, s[20:21]
	v_xor_b32_e32 v25, 0x80000000, v25
.LBB105_375:
	s_or_b64 exec, exec, s[16:17]
	s_and_saveexec_b64 s[0:1], s[58:59]
; %bb.376:
	ds_write_b32 v17, v25
; %bb.377:
	s_or_b64 exec, exec, s[0:1]
	s_waitcnt lgkmcnt(0)
	s_barrier
	s_and_saveexec_b64 s[0:1], s[60:61]
	s_cbranch_execz .LBB105_379
; %bb.378:
	ds_read_b32 v26, v16 offset:6240
	ds_read_b32 v27, v17
	s_waitcnt lgkmcnt(0)
	v_fmac_f32_e32 v25, v26, v27
.LBB105_379:
	s_or_b64 exec, exec, s[0:1]
	s_barrier
	s_and_saveexec_b64 s[0:1], s[62:63]
; %bb.380:
	ds_write_b32 v17, v25
; %bb.381:
	s_or_b64 exec, exec, s[0:1]
	s_waitcnt lgkmcnt(0)
	s_barrier
	s_and_saveexec_b64 s[0:1], s[64:65]
	s_cbranch_execz .LBB105_383
; %bb.382:
	ds_read_b32 v26, v16 offset:6496
	ds_read_b32 v27, v17
	s_waitcnt lgkmcnt(0)
	v_fmac_f32_e32 v25, v26, v27
.LBB105_383:
	s_or_b64 exec, exec, s[0:1]
	s_barrier
	;; [unrolled: 17-line block ×6, first 2 shown]
	s_and_saveexec_b64 s[0:1], s[84:85]
; %bb.400:
	ds_write_b32 v17, v25
; %bb.401:
	s_or_b64 exec, exec, s[0:1]
	s_waitcnt lgkmcnt(0)
	s_barrier
	s_and_saveexec_b64 s[0:1], s[66:67]
	s_cbranch_execz .LBB105_403
; %bb.402:
	v_mov_b32_e32 v26, 0
	ds_read_b32 v26, v26 offset:7804
	ds_read_b32 v27, v17
	s_waitcnt lgkmcnt(0)
	v_fmac_f32_e32 v25, v26, v27
.LBB105_403:
	s_or_b64 exec, exec, s[0:1]
	s_barrier
	s_and_saveexec_b64 s[0:1], s[66:67]
; %bb.404:
	ds_write_b32 v17, v25
; %bb.405:
	s_or_b64 exec, exec, s[0:1]
	s_waitcnt lgkmcnt(0)
	s_barrier
	s_barrier
	s_and_saveexec_b64 s[0:1], s[8:9]
; %bb.406:
	v_xor_b32_e32 v25, 0x80000000, v25
	ds_write_b32 v15, v25 offset:4192
; %bb.407:
	s_or_b64 exec, exec, s[0:1]
	s_waitcnt lgkmcnt(0)
	s_barrier
	s_barrier
	s_and_saveexec_b64 s[14:15], s[86:87]
	s_cbranch_execz .LBB105_409
; %bb.408:
	v_lshlrev_b32_e32 v25, 8, v0
	ds_read_b32 v26, v25 offset:4192
	s_movk_i32 s0, 0xff04
	v_mad_i32_i24 v27, v0, s0, v25
	s_waitcnt lgkmcnt(0)
	ds_write_b32 v27, v26 offset:6208
	ds_read_b32 v26, v25 offset:4196
	s_waitcnt lgkmcnt(0)
	ds_write_b32 v27, v26 offset:6464
	ds_read_b32 v26, v25 offset:4200
	;; [unrolled: 3-line block ×7, first 2 shown]
	s_waitcnt lgkmcnt(0)
	ds_write_b32 v27, v25 offset:8000
.LBB105_409:
	s_or_b64 exec, exec, s[14:15]
	s_waitcnt lgkmcnt(0)
	s_barrier
	s_and_saveexec_b64 s[14:15], vcc
	s_cbranch_execz .LBB105_411
; %bb.410:
	v_mov_b32_e32 v27, 0
	ds_read_b32 v25, v27 offset:6244
	v_mov_b32_e32 v26, 1.0
	ds_write_b32 v27, v26 offset:6240
	s_waitcnt lgkmcnt(1)
	ds_write_b64 v27, v[25:26] offset:6496
.LBB105_411:
	s_or_b64 exec, exec, s[14:15]
	v_mov_b32_e32 v25, 0
	s_waitcnt lgkmcnt(0)
	s_barrier
	s_and_saveexec_b64 s[16:17], s[2:3]
	s_cbranch_execz .LBB105_415
; %bb.412:
	v_mul_u32_u24_e32 v25, 0x104, v5
	ds_read_b32 v27, v2 offset:6248
	ds_read_b32 v25, v25 offset:6240
	v_mov_b32_e32 v26, 0
	v_cmp_gt_u32_e64 s[14:15], 2, v4
	s_waitcnt lgkmcnt(0)
	v_fma_f32 v25, v27, v25, 0
	s_and_saveexec_b64 s[0:1], s[14:15]
	s_cbranch_execz .LBB105_414
; %bb.413:
	v_lshlrev_b32_e32 v27, 2, v0
	ds_read_b32 v27, v27 offset:6504
	ds_read_b32 v26, v26 offset:6244
	s_waitcnt lgkmcnt(0)
	v_fmac_f32_e32 v25, v27, v26
.LBB105_414:
	s_or_b64 exec, exec, s[0:1]
	v_xor_b32_e32 v25, 0x80000000, v25
.LBB105_415:
	s_or_b64 exec, exec, s[16:17]
	s_and_saveexec_b64 s[0:1], s[40:41]
; %bb.416:
	ds_write_b32 v3, v25
; %bb.417:
	s_or_b64 exec, exec, s[0:1]
	s_waitcnt lgkmcnt(0)
	s_barrier
	s_and_saveexec_b64 s[0:1], s[38:39]
	s_cbranch_execz .LBB105_419
; %bb.418:
	v_mov_b32_e32 v26, 0
	ds_read_b32 v26, v26 offset:6764
	ds_read_b32 v27, v3
	s_waitcnt lgkmcnt(0)
	v_fmac_f32_e32 v25, v26, v27
.LBB105_419:
	s_or_b64 exec, exec, s[0:1]
	s_barrier
	s_and_saveexec_b64 s[0:1], s[38:39]
; %bb.420:
	ds_write_b32 v3, v25
; %bb.421:
	s_or_b64 exec, exec, s[0:1]
	s_waitcnt lgkmcnt(0)
	s_barrier
	s_barrier
	s_and_saveexec_b64 s[0:1], s[2:3]
; %bb.422:
	v_xor_b32_e32 v25, 0x80000000, v25
	ds_write_b32 v2, v25 offset:6248
; %bb.423:
	s_or_b64 exec, exec, s[0:1]
	s_waitcnt lgkmcnt(0)
	s_barrier
	s_barrier
	s_and_saveexec_b64 s[0:1], s[42:43]
	s_cbranch_execz .LBB105_425
; %bb.424:
	v_lshlrev_b32_e32 v25, 2, v0
	s_movk_i32 s14, 0xfc
	v_mad_u32_u24 v26, v0, s14, v25
	ds_read_b32 v27, v26 offset:6248
	s_waitcnt lgkmcnt(0)
	ds_write_b32 v25, v27 offset:6752
	ds_read_b32 v26, v26 offset:6252
	s_waitcnt lgkmcnt(0)
	ds_write_b32 v25, v26 offset:7008
.LBB105_425:
	s_or_b64 exec, exec, s[0:1]
	s_waitcnt lgkmcnt(0)
	s_barrier
	s_and_saveexec_b64 s[14:15], vcc
	s_cbranch_execz .LBB105_427
; %bb.426:
	v_mov_b32_e32 v27, 0
	ds_read_b32 v25, v27 offset:6764
	v_mov_b32_e32 v26, 1.0
	ds_write_b32 v27, v26 offset:6760
	s_waitcnt lgkmcnt(1)
	ds_write_b64 v27, v[25:26] offset:7016
.LBB105_427:
	s_or_b64 exec, exec, s[14:15]
	v_mov_b32_e32 v25, 0
	s_waitcnt lgkmcnt(0)
	s_barrier
	s_and_saveexec_b64 s[16:17], s[18:19]
	s_cbranch_execz .LBB105_433
; %bb.428:
	v_mul_u32_u24_e32 v26, 0x104, v14
	ds_read_b32 v25, v10 offset:6256
	ds_read_b32 v27, v26 offset:6240
	v_cmp_gt_u32_e64 s[14:15], 12, v4
	s_waitcnt lgkmcnt(0)
	v_fma_f32 v25, v25, v27, 0
	s_and_saveexec_b64 s[20:21], s[14:15]
	s_cbranch_execnz .LBB105_1192
; %bb.429:
	s_or_b64 exec, exec, s[20:21]
	v_cmp_gt_u32_e64 s[14:15], 8, v4
	s_and_saveexec_b64 s[0:1], s[14:15]
	s_cbranch_execnz .LBB105_1193
.LBB105_430:
	s_or_b64 exec, exec, s[0:1]
	v_cmp_gt_u32_e64 s[14:15], 4, v4
	s_and_saveexec_b64 s[20:21], s[14:15]
	s_cbranch_execz .LBB105_432
.LBB105_431:
	v_lshlrev_b32_e32 v26, 2, v0
	v_mov_b32_e32 v27, 0
	ds_read_b32 v26, v26 offset:7024
	ds_read_b32 v27, v27 offset:6252
	s_waitcnt lgkmcnt(0)
	v_fmac_f32_e32 v25, v26, v27
.LBB105_432:
	s_or_b64 exec, exec, s[20:21]
	v_xor_b32_e32 v25, 0x80000000, v25
.LBB105_433:
	s_or_b64 exec, exec, s[16:17]
	s_and_saveexec_b64 s[0:1], s[46:47]
; %bb.434:
	ds_write_b32 v12, v25
; %bb.435:
	s_or_b64 exec, exec, s[0:1]
	s_waitcnt lgkmcnt(0)
	s_barrier
	s_and_saveexec_b64 s[0:1], s[48:49]
	s_cbranch_execz .LBB105_437
; %bb.436:
	ds_read_b32 v26, v11 offset:7280
	ds_read_b32 v27, v12
	s_waitcnt lgkmcnt(0)
	v_fmac_f32_e32 v25, v26, v27
.LBB105_437:
	s_or_b64 exec, exec, s[0:1]
	s_barrier
	s_and_saveexec_b64 s[0:1], s[50:51]
; %bb.438:
	ds_write_b32 v12, v25
; %bb.439:
	s_or_b64 exec, exec, s[0:1]
	s_waitcnt lgkmcnt(0)
	s_barrier
	s_and_saveexec_b64 s[0:1], s[52:53]
	s_cbranch_execz .LBB105_441
; %bb.440:
	ds_read_b32 v26, v11 offset:7536
	ds_read_b32 v27, v12
	s_waitcnt lgkmcnt(0)
	v_fmac_f32_e32 v25, v26, v27
.LBB105_441:
	s_or_b64 exec, exec, s[0:1]
	s_barrier
	s_and_saveexec_b64 s[0:1], s[54:55]
; %bb.442:
	ds_write_b32 v12, v25
; %bb.443:
	s_or_b64 exec, exec, s[0:1]
	s_waitcnt lgkmcnt(0)
	s_barrier
	s_and_saveexec_b64 s[0:1], s[44:45]
	s_cbranch_execz .LBB105_445
; %bb.444:
	v_mov_b32_e32 v26, 0
	ds_read_b32 v26, v26 offset:7804
	ds_read_b32 v27, v12
	s_waitcnt lgkmcnt(0)
	v_fmac_f32_e32 v25, v26, v27
.LBB105_445:
	s_or_b64 exec, exec, s[0:1]
	s_barrier
	s_and_saveexec_b64 s[0:1], s[44:45]
; %bb.446:
	ds_write_b32 v12, v25
; %bb.447:
	s_or_b64 exec, exec, s[0:1]
	s_waitcnt lgkmcnt(0)
	s_barrier
	s_barrier
	s_and_saveexec_b64 s[0:1], s[18:19]
; %bb.448:
	v_xor_b32_e32 v25, 0x80000000, v25
	ds_write_b32 v10, v25 offset:6256
; %bb.449:
	s_or_b64 exec, exec, s[0:1]
	s_waitcnt lgkmcnt(0)
	s_barrier
	s_barrier
	s_and_saveexec_b64 s[14:15], s[56:57]
	s_cbranch_execz .LBB105_451
; %bb.450:
	v_lshlrev_b32_e32 v25, 8, v0
	ds_read_b32 v26, v25 offset:6256
	s_movk_i32 s0, 0xff04
	v_mad_i32_i24 v27, v0, s0, v25
	s_waitcnt lgkmcnt(0)
	ds_write_b32 v27, v26 offset:7264
	ds_read_b32 v26, v25 offset:6260
	s_waitcnt lgkmcnt(0)
	ds_write_b32 v27, v26 offset:7520
	ds_read_b32 v26, v25 offset:6264
	;; [unrolled: 3-line block ×3, first 2 shown]
	s_waitcnt lgkmcnt(0)
	ds_write_b32 v27, v25 offset:8032
.LBB105_451:
	s_or_b64 exec, exec, s[14:15]
	s_waitcnt lgkmcnt(0)
	s_barrier
	s_and_saveexec_b64 s[14:15], vcc
	s_cbranch_execz .LBB105_453
; %bb.452:
	v_mov_b32_e32 v27, 0
	ds_read_b32 v25, v27 offset:7284
	v_mov_b32_e32 v26, 1.0
	ds_write_b32 v27, v26 offset:7280
	s_waitcnt lgkmcnt(1)
	ds_write_b64 v27, v[25:26] offset:7536
.LBB105_453:
	s_or_b64 exec, exec, s[14:15]
	v_mov_b32_e32 v25, 0
	s_waitcnt lgkmcnt(0)
	s_barrier
	s_and_saveexec_b64 s[16:17], s[2:3]
	s_cbranch_execz .LBB105_457
; %bb.454:
	v_mul_u32_u24_e32 v25, 0x104, v5
	ds_read_b32 v27, v2 offset:7288
	ds_read_b32 v25, v25 offset:7280
	v_mov_b32_e32 v26, 0
	v_cmp_gt_u32_e64 s[14:15], 2, v4
	s_waitcnt lgkmcnt(0)
	v_fma_f32 v25, v27, v25, 0
	s_and_saveexec_b64 s[0:1], s[14:15]
	s_cbranch_execz .LBB105_456
; %bb.455:
	v_lshlrev_b32_e32 v27, 2, v0
	ds_read_b32 v27, v27 offset:7544
	ds_read_b32 v26, v26 offset:7284
	s_waitcnt lgkmcnt(0)
	v_fmac_f32_e32 v25, v27, v26
.LBB105_456:
	s_or_b64 exec, exec, s[0:1]
	v_xor_b32_e32 v25, 0x80000000, v25
.LBB105_457:
	s_or_b64 exec, exec, s[16:17]
	s_and_saveexec_b64 s[0:1], s[40:41]
; %bb.458:
	ds_write_b32 v3, v25
; %bb.459:
	s_or_b64 exec, exec, s[0:1]
	s_waitcnt lgkmcnt(0)
	s_barrier
	s_and_saveexec_b64 s[0:1], s[38:39]
	s_cbranch_execz .LBB105_461
; %bb.460:
	v_mov_b32_e32 v26, 0
	ds_read_b32 v26, v26 offset:7804
	ds_read_b32 v27, v3
	s_waitcnt lgkmcnt(0)
	v_fmac_f32_e32 v25, v26, v27
.LBB105_461:
	s_or_b64 exec, exec, s[0:1]
	s_barrier
	s_and_saveexec_b64 s[0:1], s[38:39]
; %bb.462:
	ds_write_b32 v3, v25
; %bb.463:
	s_or_b64 exec, exec, s[0:1]
	s_waitcnt lgkmcnt(0)
	s_barrier
	s_barrier
	s_and_saveexec_b64 s[0:1], s[2:3]
; %bb.464:
	v_xor_b32_e32 v25, 0x80000000, v25
	ds_write_b32 v2, v25 offset:7288
; %bb.465:
	s_or_b64 exec, exec, s[0:1]
	s_waitcnt lgkmcnt(0)
	s_barrier
	s_barrier
	s_and_saveexec_b64 s[0:1], s[42:43]
	s_cbranch_execz .LBB105_467
; %bb.466:
	v_lshlrev_b32_e32 v25, 2, v0
	s_movk_i32 s14, 0xfc
	v_mad_u32_u24 v26, v0, s14, v25
	ds_read_b32 v27, v26 offset:7288
	s_waitcnt lgkmcnt(0)
	ds_write_b32 v25, v27 offset:7792
	ds_read_b32 v26, v26 offset:7292
	s_waitcnt lgkmcnt(0)
	ds_write_b32 v25, v26 offset:8048
.LBB105_467:
	s_or_b64 exec, exec, s[0:1]
	s_waitcnt lgkmcnt(0)
	s_barrier
	s_and_saveexec_b64 s[14:15], vcc
	s_cbranch_execz .LBB105_469
; %bb.468:
	v_mov_b32_e32 v27, 0
	ds_read_b32 v25, v27 offset:7804
	v_mov_b32_e32 v26, 1.0
	ds_write_b32 v27, v26 offset:7800
	s_waitcnt lgkmcnt(1)
	ds_write_b64 v27, v[25:26] offset:8056
.LBB105_469:
	s_or_b64 exec, exec, s[14:15]
	v_and_b32_e32 v26, 31, v0
	s_movk_i32 s0, 0x3ff
	v_lshrrev_b32_e32 v29, 5, v4
	v_cmp_lt_u32_e64 s[16:17], s0, v4
	s_movk_i32 s0, 0x400
	v_lshlrev_b32_e32 v27, 2, v26
	v_cmp_gt_u32_e64 s[14:15], s0, v4
	v_lshl_or_b32 v25, v29, 8, v27
	v_mov_b32_e32 v28, 0
	s_waitcnt lgkmcnt(0)
	s_barrier
	s_and_saveexec_b64 s[94:95], s[14:15]
	s_cbranch_execz .LBB105_531
; %bb.470:
	v_mul_u32_u24_e32 v30, 0x104, v29
	ds_read_b32 v28, v25 offset:128
	ds_read_b32 v31, v30
	s_movk_i32 s0, 0x3e0
	v_cmp_gt_u32_e64 s[20:21], s0, v4
	s_waitcnt lgkmcnt(0)
	v_fma_f32 v28, v28, v31, 0
	s_and_saveexec_b64 s[0:1], s[20:21]
	s_cbranch_execz .LBB105_472
; %bb.471:
	ds_read_b32 v31, v25 offset:384
	ds_read_b32 v32, v30 offset:4
	s_waitcnt lgkmcnt(0)
	v_fmac_f32_e32 v28, v31, v32
.LBB105_472:
	s_or_b64 exec, exec, s[0:1]
	s_movk_i32 s0, 0x3c0
	v_cmp_gt_u32_e64 s[20:21], s0, v4
	s_and_saveexec_b64 s[0:1], s[20:21]
	s_cbranch_execz .LBB105_474
; %bb.473:
	ds_read_b32 v31, v25 offset:640
	ds_read_b32 v32, v30 offset:8
	s_waitcnt lgkmcnt(0)
	v_fmac_f32_e32 v28, v31, v32
.LBB105_474:
	s_or_b64 exec, exec, s[0:1]
	s_movk_i32 s0, 0x3a0
	v_cmp_gt_u32_e64 s[20:21], s0, v4
	;; [unrolled: 11-line block ×28, first 2 shown]
	s_and_saveexec_b64 s[0:1], s[20:21]
	s_cbranch_execnz .LBB105_1194
; %bb.527:
	s_or_b64 exec, exec, s[0:1]
	v_cmp_gt_u32_e64 s[20:21], 64, v4
	s_and_saveexec_b64 s[0:1], s[20:21]
	s_cbranch_execnz .LBB105_1195
.LBB105_528:
	s_or_b64 exec, exec, s[0:1]
	v_cmp_gt_u32_e64 s[20:21], 32, v4
	s_and_saveexec_b64 s[0:1], s[20:21]
	s_cbranch_execz .LBB105_530
.LBB105_529:
	v_lshlrev_b32_e32 v30, 2, v0
	v_mov_b32_e32 v31, 0
	ds_read_b32 v30, v30 offset:8064
	ds_read_b32 v31, v31 offset:124
	s_waitcnt lgkmcnt(0)
	v_fmac_f32_e32 v28, v30, v31
.LBB105_530:
	s_or_b64 exec, exec, s[0:1]
	v_xor_b32_e32 v28, 0x80000000, v28
.LBB105_531:
	s_or_b64 exec, exec, s[94:95]
	v_mov_b32_e32 v30, 0x4000
	v_cmp_eq_u32_e64 s[20:21], 0, v26
	s_xor_b64 s[94:95], s[16:17], -1
	v_lshl_or_b32 v29, v29, 2, v30
	s_and_b64 s[16:17], s[20:21], s[94:95]
	s_and_saveexec_b64 s[0:1], s[16:17]
; %bb.532:
	ds_write_b32 v29, v28
; %bb.533:
	s_or_b64 exec, exec, s[0:1]
	v_cmp_ne_u32_e64 s[16:17], 0, v26
	s_and_b64 s[16:17], s[16:17], s[94:95]
	s_waitcnt lgkmcnt(0)
	s_barrier
	s_and_saveexec_b64 s[0:1], s[16:17]
	s_cbranch_execz .LBB105_535
; %bb.534:
	ds_read_b32 v30, v27 offset:8320
	ds_read_b32 v31, v29
	s_waitcnt lgkmcnt(0)
	v_fmac_f32_e32 v28, v30, v31
.LBB105_535:
	s_or_b64 exec, exec, s[0:1]
	v_cmp_eq_u32_e64 s[16:17], 1, v26
	s_and_b64 s[16:17], s[16:17], s[94:95]
	s_barrier
	s_and_saveexec_b64 s[0:1], s[16:17]
; %bb.536:
	ds_write_b32 v29, v28
; %bb.537:
	s_or_b64 exec, exec, s[0:1]
	v_cmp_lt_u32_e64 s[16:17], 1, v26
	s_and_b64 s[16:17], s[16:17], s[94:95]
	s_waitcnt lgkmcnt(0)
	s_barrier
	s_and_saveexec_b64 s[0:1], s[16:17]
	s_cbranch_execz .LBB105_539
; %bb.538:
	ds_read_b32 v30, v27 offset:8576
	ds_read_b32 v31, v29
	s_waitcnt lgkmcnt(0)
	v_fmac_f32_e32 v28, v30, v31
.LBB105_539:
	s_or_b64 exec, exec, s[0:1]
	v_cmp_eq_u32_e64 s[16:17], 2, v26
	s_and_b64 s[16:17], s[16:17], s[94:95]
	s_barrier
	s_and_saveexec_b64 s[0:1], s[16:17]
; %bb.540:
	ds_write_b32 v29, v28
; %bb.541:
	s_or_b64 exec, exec, s[0:1]
	v_cmp_lt_u32_e64 s[16:17], 2, v26
	;; [unrolled: 21-line block ×29, first 2 shown]
	s_and_b64 s[16:17], s[16:17], s[94:95]
	s_waitcnt lgkmcnt(0)
	s_barrier
	s_and_saveexec_b64 s[0:1], s[16:17]
	s_cbranch_execz .LBB105_651
; %bb.650:
	ds_read_b32 v27, v27 offset:15744
	ds_read_b32 v30, v29
	s_waitcnt lgkmcnt(0)
	v_fmac_f32_e32 v28, v27, v30
.LBB105_651:
	s_or_b64 exec, exec, s[0:1]
	v_cmp_eq_u32_e64 s[16:17], 30, v26
	s_and_b64 s[16:17], s[16:17], s[94:95]
	s_barrier
	s_and_saveexec_b64 s[0:1], s[16:17]
; %bb.652:
	ds_write_b32 v29, v28
; %bb.653:
	s_or_b64 exec, exec, s[0:1]
	v_cmp_eq_u32_e64 s[16:17], 31, v26
	s_and_b64 s[16:17], s[16:17], s[94:95]
	s_waitcnt lgkmcnt(0)
	s_barrier
	s_and_saveexec_b64 s[0:1], s[16:17]
	s_cbranch_execz .LBB105_655
; %bb.654:
	v_mov_b32_e32 v26, 0
	ds_read_b32 v26, v26 offset:16124
	ds_read_b32 v27, v29
	s_waitcnt lgkmcnt(0)
	v_fmac_f32_e32 v28, v26, v27
.LBB105_655:
	s_or_b64 exec, exec, s[0:1]
	s_barrier
	s_and_saveexec_b64 s[0:1], s[16:17]
; %bb.656:
	ds_write_b32 v29, v28
; %bb.657:
	s_or_b64 exec, exec, s[0:1]
	s_waitcnt lgkmcnt(0)
	s_barrier
	s_barrier
	s_and_saveexec_b64 s[0:1], s[14:15]
; %bb.658:
	v_xor_b32_e32 v26, 0x80000000, v28
	ds_write_b32 v25, v26 offset:128
; %bb.659:
	s_or_b64 exec, exec, s[0:1]
	v_cmp_gt_u32_e64 s[14:15], 32, v0
	s_and_b64 s[0:1], s[12:13], s[14:15]
	s_waitcnt lgkmcnt(0)
	s_barrier
	s_barrier
	s_and_saveexec_b64 s[12:13], s[0:1]
	s_cbranch_execz .LBB105_661
; %bb.660:
	v_lshlrev_b32_e32 v25, 8, v0
	ds_read_b32 v26, v25 offset:128
	s_movk_i32 s0, 0xff04
	v_mad_i32_i24 v27, v0, s0, v25
	s_waitcnt lgkmcnt(0)
	ds_write_b32 v27, v26 offset:8192
	ds_read_b32 v26, v25 offset:132
	s_waitcnt lgkmcnt(0)
	ds_write_b32 v27, v26 offset:8448
	ds_read_b32 v26, v25 offset:136
	;; [unrolled: 3-line block ×31, first 2 shown]
	s_waitcnt lgkmcnt(0)
	ds_write_b32 v27, v25 offset:16128
.LBB105_661:
	s_or_b64 exec, exec, s[12:13]
	s_waitcnt lgkmcnt(0)
	s_barrier
	s_and_saveexec_b64 s[12:13], vcc
	s_cbranch_execz .LBB105_663
; %bb.662:
	v_mov_b32_e32 v27, 0
	ds_read_b32 v25, v27 offset:8324
	v_mov_b32_e32 v26, 1.0
	ds_write_b32 v27, v26 offset:8320
	s_waitcnt lgkmcnt(1)
	ds_write_b64 v27, v[25:26] offset:8576
.LBB105_663:
	s_or_b64 exec, exec, s[12:13]
	v_mov_b32_e32 v25, 0
	s_waitcnt lgkmcnt(0)
	s_barrier
	s_and_saveexec_b64 s[14:15], s[2:3]
	s_cbranch_execz .LBB105_667
; %bb.664:
	v_mul_u32_u24_e32 v25, 0x104, v5
	ds_read_b32 v27, v2 offset:8328
	ds_read_b32 v25, v25 offset:8320
	v_mov_b32_e32 v26, 0
	v_cmp_gt_u32_e64 s[12:13], 2, v4
	s_waitcnt lgkmcnt(0)
	v_fma_f32 v25, v27, v25, 0
	s_and_saveexec_b64 s[0:1], s[12:13]
	s_cbranch_execz .LBB105_666
; %bb.665:
	v_lshlrev_b32_e32 v27, 2, v0
	ds_read_b32 v27, v27 offset:8584
	ds_read_b32 v26, v26 offset:8324
	s_waitcnt lgkmcnt(0)
	v_fmac_f32_e32 v25, v27, v26
.LBB105_666:
	s_or_b64 exec, exec, s[0:1]
	v_xor_b32_e32 v25, 0x80000000, v25
.LBB105_667:
	s_or_b64 exec, exec, s[14:15]
	s_and_saveexec_b64 s[0:1], s[40:41]
; %bb.668:
	ds_write_b32 v3, v25
; %bb.669:
	s_or_b64 exec, exec, s[0:1]
	s_waitcnt lgkmcnt(0)
	s_barrier
	s_and_saveexec_b64 s[0:1], s[38:39]
	s_cbranch_execz .LBB105_671
; %bb.670:
	v_mov_b32_e32 v26, 0
	ds_read_b32 v26, v26 offset:8844
	ds_read_b32 v27, v3
	s_waitcnt lgkmcnt(0)
	v_fmac_f32_e32 v25, v26, v27
.LBB105_671:
	s_or_b64 exec, exec, s[0:1]
	s_barrier
	s_and_saveexec_b64 s[0:1], s[38:39]
; %bb.672:
	ds_write_b32 v3, v25
; %bb.673:
	s_or_b64 exec, exec, s[0:1]
	s_waitcnt lgkmcnt(0)
	s_barrier
	s_barrier
	s_and_saveexec_b64 s[0:1], s[2:3]
; %bb.674:
	v_xor_b32_e32 v25, 0x80000000, v25
	ds_write_b32 v2, v25 offset:8328
; %bb.675:
	s_or_b64 exec, exec, s[0:1]
	s_waitcnt lgkmcnt(0)
	s_barrier
	s_barrier
	s_and_saveexec_b64 s[0:1], s[42:43]
	s_cbranch_execz .LBB105_677
; %bb.676:
	v_lshlrev_b32_e32 v25, 2, v0
	s_movk_i32 s12, 0xfc
	v_mad_u32_u24 v26, v0, s12, v25
	ds_read_b32 v27, v26 offset:8328
	s_waitcnt lgkmcnt(0)
	ds_write_b32 v25, v27 offset:8832
	ds_read_b32 v26, v26 offset:8332
	s_waitcnt lgkmcnt(0)
	ds_write_b32 v25, v26 offset:9088
.LBB105_677:
	s_or_b64 exec, exec, s[0:1]
	s_waitcnt lgkmcnt(0)
	s_barrier
	s_and_saveexec_b64 s[12:13], vcc
	s_cbranch_execz .LBB105_679
; %bb.678:
	v_mov_b32_e32 v27, 0
	ds_read_b32 v25, v27 offset:8844
	v_mov_b32_e32 v26, 1.0
	ds_write_b32 v27, v26 offset:8840
	s_waitcnt lgkmcnt(1)
	ds_write_b64 v27, v[25:26] offset:9096
.LBB105_679:
	s_or_b64 exec, exec, s[12:13]
	v_mov_b32_e32 v25, 0
	s_waitcnt lgkmcnt(0)
	s_barrier
	s_and_saveexec_b64 s[14:15], s[18:19]
	s_cbranch_execz .LBB105_685
; %bb.680:
	v_mul_u32_u24_e32 v26, 0x104, v14
	ds_read_b32 v25, v10 offset:8336
	ds_read_b32 v27, v26 offset:8320
	v_cmp_gt_u32_e64 s[12:13], 12, v4
	s_waitcnt lgkmcnt(0)
	v_fma_f32 v25, v25, v27, 0
	s_and_saveexec_b64 s[16:17], s[12:13]
	s_cbranch_execnz .LBB105_1196
; %bb.681:
	s_or_b64 exec, exec, s[16:17]
	v_cmp_gt_u32_e64 s[12:13], 8, v4
	s_and_saveexec_b64 s[0:1], s[12:13]
	s_cbranch_execnz .LBB105_1197
.LBB105_682:
	s_or_b64 exec, exec, s[0:1]
	v_cmp_gt_u32_e64 s[12:13], 4, v4
	s_and_saveexec_b64 s[0:1], s[12:13]
	s_cbranch_execz .LBB105_684
.LBB105_683:
	v_lshlrev_b32_e32 v26, 2, v0
	v_mov_b32_e32 v27, 0
	ds_read_b32 v26, v26 offset:9104
	ds_read_b32 v27, v27 offset:8332
	s_waitcnt lgkmcnt(0)
	v_fmac_f32_e32 v25, v26, v27
.LBB105_684:
	s_or_b64 exec, exec, s[0:1]
	v_xor_b32_e32 v25, 0x80000000, v25
.LBB105_685:
	s_or_b64 exec, exec, s[14:15]
	s_and_saveexec_b64 s[0:1], s[46:47]
; %bb.686:
	ds_write_b32 v12, v25
; %bb.687:
	s_or_b64 exec, exec, s[0:1]
	s_waitcnt lgkmcnt(0)
	s_barrier
	s_and_saveexec_b64 s[0:1], s[48:49]
	s_cbranch_execz .LBB105_689
; %bb.688:
	ds_read_b32 v26, v11 offset:9360
	ds_read_b32 v27, v12
	s_waitcnt lgkmcnt(0)
	v_fmac_f32_e32 v25, v26, v27
.LBB105_689:
	s_or_b64 exec, exec, s[0:1]
	s_barrier
	s_and_saveexec_b64 s[0:1], s[50:51]
; %bb.690:
	ds_write_b32 v12, v25
; %bb.691:
	s_or_b64 exec, exec, s[0:1]
	s_waitcnt lgkmcnt(0)
	s_barrier
	s_and_saveexec_b64 s[0:1], s[52:53]
	s_cbranch_execz .LBB105_693
; %bb.692:
	ds_read_b32 v26, v11 offset:9616
	ds_read_b32 v27, v12
	s_waitcnt lgkmcnt(0)
	v_fmac_f32_e32 v25, v26, v27
.LBB105_693:
	s_or_b64 exec, exec, s[0:1]
	s_barrier
	s_and_saveexec_b64 s[0:1], s[54:55]
; %bb.694:
	ds_write_b32 v12, v25
; %bb.695:
	s_or_b64 exec, exec, s[0:1]
	s_waitcnt lgkmcnt(0)
	s_barrier
	s_and_saveexec_b64 s[0:1], s[44:45]
	s_cbranch_execz .LBB105_697
; %bb.696:
	v_mov_b32_e32 v26, 0
	ds_read_b32 v26, v26 offset:9884
	ds_read_b32 v27, v12
	s_waitcnt lgkmcnt(0)
	v_fmac_f32_e32 v25, v26, v27
.LBB105_697:
	s_or_b64 exec, exec, s[0:1]
	s_barrier
	s_and_saveexec_b64 s[0:1], s[44:45]
; %bb.698:
	ds_write_b32 v12, v25
; %bb.699:
	s_or_b64 exec, exec, s[0:1]
	s_waitcnt lgkmcnt(0)
	s_barrier
	s_barrier
	s_and_saveexec_b64 s[0:1], s[18:19]
; %bb.700:
	v_xor_b32_e32 v25, 0x80000000, v25
	ds_write_b32 v10, v25 offset:8336
; %bb.701:
	s_or_b64 exec, exec, s[0:1]
	s_waitcnt lgkmcnt(0)
	s_barrier
	s_barrier
	s_and_saveexec_b64 s[12:13], s[56:57]
	s_cbranch_execz .LBB105_703
; %bb.702:
	v_lshlrev_b32_e32 v25, 8, v0
	ds_read_b32 v26, v25 offset:8336
	s_movk_i32 s0, 0xff04
	v_mad_i32_i24 v27, v0, s0, v25
	s_waitcnt lgkmcnt(0)
	ds_write_b32 v27, v26 offset:9344
	ds_read_b32 v26, v25 offset:8340
	s_waitcnt lgkmcnt(0)
	ds_write_b32 v27, v26 offset:9600
	ds_read_b32 v26, v25 offset:8344
	;; [unrolled: 3-line block ×3, first 2 shown]
	s_waitcnt lgkmcnt(0)
	ds_write_b32 v27, v25 offset:10112
.LBB105_703:
	s_or_b64 exec, exec, s[12:13]
	s_waitcnt lgkmcnt(0)
	s_barrier
	s_and_saveexec_b64 s[12:13], vcc
	s_cbranch_execz .LBB105_705
; %bb.704:
	v_mov_b32_e32 v27, 0
	ds_read_b32 v25, v27 offset:9364
	v_mov_b32_e32 v26, 1.0
	ds_write_b32 v27, v26 offset:9360
	s_waitcnt lgkmcnt(1)
	ds_write_b64 v27, v[25:26] offset:9616
.LBB105_705:
	s_or_b64 exec, exec, s[12:13]
	v_mov_b32_e32 v25, 0
	s_waitcnt lgkmcnt(0)
	s_barrier
	s_and_saveexec_b64 s[14:15], s[2:3]
	s_cbranch_execz .LBB105_709
; %bb.706:
	v_mul_u32_u24_e32 v25, 0x104, v5
	ds_read_b32 v27, v2 offset:9368
	ds_read_b32 v25, v25 offset:9360
	v_mov_b32_e32 v26, 0
	v_cmp_gt_u32_e64 s[12:13], 2, v4
	s_waitcnt lgkmcnt(0)
	v_fma_f32 v25, v27, v25, 0
	s_and_saveexec_b64 s[0:1], s[12:13]
	s_cbranch_execz .LBB105_708
; %bb.707:
	v_lshlrev_b32_e32 v27, 2, v0
	ds_read_b32 v27, v27 offset:9624
	ds_read_b32 v26, v26 offset:9364
	s_waitcnt lgkmcnt(0)
	v_fmac_f32_e32 v25, v27, v26
.LBB105_708:
	s_or_b64 exec, exec, s[0:1]
	v_xor_b32_e32 v25, 0x80000000, v25
.LBB105_709:
	s_or_b64 exec, exec, s[14:15]
	s_and_saveexec_b64 s[0:1], s[40:41]
; %bb.710:
	ds_write_b32 v3, v25
; %bb.711:
	s_or_b64 exec, exec, s[0:1]
	s_waitcnt lgkmcnt(0)
	s_barrier
	s_and_saveexec_b64 s[0:1], s[38:39]
	s_cbranch_execz .LBB105_713
; %bb.712:
	v_mov_b32_e32 v26, 0
	ds_read_b32 v26, v26 offset:9884
	ds_read_b32 v27, v3
	s_waitcnt lgkmcnt(0)
	v_fmac_f32_e32 v25, v26, v27
.LBB105_713:
	s_or_b64 exec, exec, s[0:1]
	s_barrier
	s_and_saveexec_b64 s[0:1], s[38:39]
; %bb.714:
	ds_write_b32 v3, v25
; %bb.715:
	s_or_b64 exec, exec, s[0:1]
	s_waitcnt lgkmcnt(0)
	s_barrier
	s_barrier
	s_and_saveexec_b64 s[0:1], s[2:3]
; %bb.716:
	v_xor_b32_e32 v25, 0x80000000, v25
	ds_write_b32 v2, v25 offset:9368
; %bb.717:
	s_or_b64 exec, exec, s[0:1]
	s_waitcnt lgkmcnt(0)
	s_barrier
	s_barrier
	s_and_saveexec_b64 s[0:1], s[42:43]
	s_cbranch_execz .LBB105_719
; %bb.718:
	v_lshlrev_b32_e32 v25, 2, v0
	s_movk_i32 s12, 0xfc
	v_mad_u32_u24 v26, v0, s12, v25
	ds_read_b32 v27, v26 offset:9368
	s_waitcnt lgkmcnt(0)
	ds_write_b32 v25, v27 offset:9872
	ds_read_b32 v26, v26 offset:9372
	s_waitcnt lgkmcnt(0)
	ds_write_b32 v25, v26 offset:10128
.LBB105_719:
	s_or_b64 exec, exec, s[0:1]
	s_waitcnt lgkmcnt(0)
	s_barrier
	s_and_saveexec_b64 s[12:13], vcc
	s_cbranch_execz .LBB105_721
; %bb.720:
	v_mov_b32_e32 v27, 0
	ds_read_b32 v25, v27 offset:9884
	v_mov_b32_e32 v26, 1.0
	ds_write_b32 v27, v26 offset:9880
	s_waitcnt lgkmcnt(1)
	ds_write_b64 v27, v[25:26] offset:10136
.LBB105_721:
	s_or_b64 exec, exec, s[12:13]
	v_mov_b32_e32 v25, 0
	s_waitcnt lgkmcnt(0)
	s_barrier
	s_and_saveexec_b64 s[14:15], s[8:9]
	s_cbranch_execz .LBB105_731
; %bb.722:
	v_mul_u32_u24_e32 v26, 0x104, v19
	ds_read_b32 v25, v15 offset:8352
	ds_read_b32 v27, v26 offset:8320
	v_cmp_gt_u32_e64 s[12:13], 56, v4
	s_waitcnt lgkmcnt(0)
	v_fma_f32 v25, v25, v27, 0
	s_and_saveexec_b64 s[16:17], s[12:13]
	s_cbranch_execnz .LBB105_1198
; %bb.723:
	s_or_b64 exec, exec, s[16:17]
	v_cmp_gt_u32_e64 s[12:13], 48, v4
	s_and_saveexec_b64 s[0:1], s[12:13]
	s_cbranch_execnz .LBB105_1199
.LBB105_724:
	s_or_b64 exec, exec, s[0:1]
	v_cmp_gt_u32_e64 s[12:13], 40, v4
	s_and_saveexec_b64 s[0:1], s[12:13]
	s_cbranch_execnz .LBB105_1200
.LBB105_725:
	s_or_b64 exec, exec, s[0:1]
	v_cmp_gt_u32_e64 s[12:13], 32, v4
	s_and_saveexec_b64 s[0:1], s[12:13]
	s_cbranch_execnz .LBB105_1201
.LBB105_726:
	s_or_b64 exec, exec, s[0:1]
	v_cmp_gt_u32_e64 s[12:13], 24, v4
	s_and_saveexec_b64 s[0:1], s[12:13]
	s_cbranch_execnz .LBB105_1202
.LBB105_727:
	s_or_b64 exec, exec, s[0:1]
	v_cmp_gt_u32_e64 s[12:13], 16, v4
	s_and_saveexec_b64 s[0:1], s[12:13]
	s_cbranch_execnz .LBB105_1203
.LBB105_728:
	s_or_b64 exec, exec, s[0:1]
	v_cmp_gt_u32_e64 s[12:13], 8, v4
	s_and_saveexec_b64 s[0:1], s[12:13]
	s_cbranch_execz .LBB105_730
.LBB105_729:
	v_lshlrev_b32_e32 v26, 2, v0
	v_mov_b32_e32 v27, 0
	ds_read_b32 v26, v26 offset:10144
	ds_read_b32 v27, v27 offset:8348
	s_waitcnt lgkmcnt(0)
	v_fmac_f32_e32 v25, v26, v27
.LBB105_730:
	s_or_b64 exec, exec, s[0:1]
	v_xor_b32_e32 v25, 0x80000000, v25
.LBB105_731:
	s_or_b64 exec, exec, s[14:15]
	s_and_saveexec_b64 s[0:1], s[58:59]
; %bb.732:
	ds_write_b32 v17, v25
; %bb.733:
	s_or_b64 exec, exec, s[0:1]
	s_waitcnt lgkmcnt(0)
	s_barrier
	s_and_saveexec_b64 s[0:1], s[60:61]
	s_cbranch_execz .LBB105_735
; %bb.734:
	ds_read_b32 v26, v16 offset:10400
	ds_read_b32 v27, v17
	s_waitcnt lgkmcnt(0)
	v_fmac_f32_e32 v25, v26, v27
.LBB105_735:
	s_or_b64 exec, exec, s[0:1]
	s_barrier
	s_and_saveexec_b64 s[0:1], s[62:63]
; %bb.736:
	ds_write_b32 v17, v25
; %bb.737:
	s_or_b64 exec, exec, s[0:1]
	s_waitcnt lgkmcnt(0)
	s_barrier
	s_and_saveexec_b64 s[0:1], s[64:65]
	s_cbranch_execz .LBB105_739
; %bb.738:
	ds_read_b32 v26, v16 offset:10656
	ds_read_b32 v27, v17
	s_waitcnt lgkmcnt(0)
	v_fmac_f32_e32 v25, v26, v27
.LBB105_739:
	s_or_b64 exec, exec, s[0:1]
	s_barrier
	;; [unrolled: 17-line block ×6, first 2 shown]
	s_and_saveexec_b64 s[0:1], s[84:85]
; %bb.756:
	ds_write_b32 v17, v25
; %bb.757:
	s_or_b64 exec, exec, s[0:1]
	s_waitcnt lgkmcnt(0)
	s_barrier
	s_and_saveexec_b64 s[0:1], s[66:67]
	s_cbranch_execz .LBB105_759
; %bb.758:
	v_mov_b32_e32 v26, 0
	ds_read_b32 v26, v26 offset:11964
	ds_read_b32 v27, v17
	s_waitcnt lgkmcnt(0)
	v_fmac_f32_e32 v25, v26, v27
.LBB105_759:
	s_or_b64 exec, exec, s[0:1]
	s_barrier
	s_and_saveexec_b64 s[0:1], s[66:67]
; %bb.760:
	ds_write_b32 v17, v25
; %bb.761:
	s_or_b64 exec, exec, s[0:1]
	s_waitcnt lgkmcnt(0)
	s_barrier
	s_barrier
	s_and_saveexec_b64 s[0:1], s[8:9]
; %bb.762:
	v_xor_b32_e32 v25, 0x80000000, v25
	ds_write_b32 v15, v25 offset:8352
; %bb.763:
	s_or_b64 exec, exec, s[0:1]
	s_waitcnt lgkmcnt(0)
	s_barrier
	s_barrier
	s_and_saveexec_b64 s[12:13], s[86:87]
	s_cbranch_execz .LBB105_765
; %bb.764:
	v_lshlrev_b32_e32 v25, 8, v0
	ds_read_b32 v26, v25 offset:8352
	s_movk_i32 s0, 0xff04
	v_mad_i32_i24 v27, v0, s0, v25
	s_waitcnt lgkmcnt(0)
	ds_write_b32 v27, v26 offset:10368
	ds_read_b32 v26, v25 offset:8356
	s_waitcnt lgkmcnt(0)
	ds_write_b32 v27, v26 offset:10624
	ds_read_b32 v26, v25 offset:8360
	;; [unrolled: 3-line block ×7, first 2 shown]
	s_waitcnt lgkmcnt(0)
	ds_write_b32 v27, v25 offset:12160
.LBB105_765:
	s_or_b64 exec, exec, s[12:13]
	s_waitcnt lgkmcnt(0)
	s_barrier
	s_and_saveexec_b64 s[12:13], vcc
	s_cbranch_execz .LBB105_767
; %bb.766:
	v_mov_b32_e32 v27, 0
	ds_read_b32 v25, v27 offset:10404
	v_mov_b32_e32 v26, 1.0
	ds_write_b32 v27, v26 offset:10400
	s_waitcnt lgkmcnt(1)
	ds_write_b64 v27, v[25:26] offset:10656
.LBB105_767:
	s_or_b64 exec, exec, s[12:13]
	v_mov_b32_e32 v25, 0
	s_waitcnt lgkmcnt(0)
	s_barrier
	s_and_saveexec_b64 s[14:15], s[2:3]
	s_cbranch_execz .LBB105_771
; %bb.768:
	v_mul_u32_u24_e32 v25, 0x104, v5
	ds_read_b32 v27, v2 offset:10408
	ds_read_b32 v25, v25 offset:10400
	v_mov_b32_e32 v26, 0
	v_cmp_gt_u32_e64 s[12:13], 2, v4
	s_waitcnt lgkmcnt(0)
	v_fma_f32 v25, v27, v25, 0
	s_and_saveexec_b64 s[0:1], s[12:13]
	s_cbranch_execz .LBB105_770
; %bb.769:
	v_lshlrev_b32_e32 v27, 2, v0
	ds_read_b32 v27, v27 offset:10664
	ds_read_b32 v26, v26 offset:10404
	s_waitcnt lgkmcnt(0)
	v_fmac_f32_e32 v25, v27, v26
.LBB105_770:
	s_or_b64 exec, exec, s[0:1]
	v_xor_b32_e32 v25, 0x80000000, v25
.LBB105_771:
	s_or_b64 exec, exec, s[14:15]
	s_and_saveexec_b64 s[0:1], s[40:41]
; %bb.772:
	ds_write_b32 v3, v25
; %bb.773:
	s_or_b64 exec, exec, s[0:1]
	s_waitcnt lgkmcnt(0)
	s_barrier
	s_and_saveexec_b64 s[0:1], s[38:39]
	s_cbranch_execz .LBB105_775
; %bb.774:
	v_mov_b32_e32 v26, 0
	ds_read_b32 v26, v26 offset:10924
	ds_read_b32 v27, v3
	s_waitcnt lgkmcnt(0)
	v_fmac_f32_e32 v25, v26, v27
.LBB105_775:
	s_or_b64 exec, exec, s[0:1]
	s_barrier
	s_and_saveexec_b64 s[0:1], s[38:39]
; %bb.776:
	ds_write_b32 v3, v25
; %bb.777:
	s_or_b64 exec, exec, s[0:1]
	s_waitcnt lgkmcnt(0)
	s_barrier
	s_barrier
	s_and_saveexec_b64 s[0:1], s[2:3]
; %bb.778:
	v_xor_b32_e32 v25, 0x80000000, v25
	ds_write_b32 v2, v25 offset:10408
; %bb.779:
	s_or_b64 exec, exec, s[0:1]
	s_waitcnt lgkmcnt(0)
	s_barrier
	s_barrier
	s_and_saveexec_b64 s[0:1], s[42:43]
	s_cbranch_execz .LBB105_781
; %bb.780:
	v_lshlrev_b32_e32 v25, 2, v0
	s_movk_i32 s12, 0xfc
	v_mad_u32_u24 v26, v0, s12, v25
	ds_read_b32 v27, v26 offset:10408
	s_waitcnt lgkmcnt(0)
	ds_write_b32 v25, v27 offset:10912
	ds_read_b32 v26, v26 offset:10412
	s_waitcnt lgkmcnt(0)
	ds_write_b32 v25, v26 offset:11168
.LBB105_781:
	s_or_b64 exec, exec, s[0:1]
	s_waitcnt lgkmcnt(0)
	s_barrier
	s_and_saveexec_b64 s[12:13], vcc
	s_cbranch_execz .LBB105_783
; %bb.782:
	v_mov_b32_e32 v27, 0
	ds_read_b32 v25, v27 offset:10924
	v_mov_b32_e32 v26, 1.0
	ds_write_b32 v27, v26 offset:10920
	s_waitcnt lgkmcnt(1)
	ds_write_b64 v27, v[25:26] offset:11176
.LBB105_783:
	s_or_b64 exec, exec, s[12:13]
	v_mov_b32_e32 v25, 0
	s_waitcnt lgkmcnt(0)
	s_barrier
	s_and_saveexec_b64 s[14:15], s[18:19]
	s_cbranch_execz .LBB105_789
; %bb.784:
	v_mul_u32_u24_e32 v26, 0x104, v14
	ds_read_b32 v25, v10 offset:10416
	ds_read_b32 v27, v26 offset:10400
	v_cmp_gt_u32_e64 s[12:13], 12, v4
	s_waitcnt lgkmcnt(0)
	v_fma_f32 v25, v25, v27, 0
	s_and_saveexec_b64 s[16:17], s[12:13]
	s_cbranch_execnz .LBB105_1204
; %bb.785:
	s_or_b64 exec, exec, s[16:17]
	v_cmp_gt_u32_e64 s[12:13], 8, v4
	s_and_saveexec_b64 s[0:1], s[12:13]
	s_cbranch_execnz .LBB105_1205
.LBB105_786:
	s_or_b64 exec, exec, s[0:1]
	v_cmp_gt_u32_e64 s[12:13], 4, v4
	s_and_saveexec_b64 s[0:1], s[12:13]
	s_cbranch_execz .LBB105_788
.LBB105_787:
	v_lshlrev_b32_e32 v26, 2, v0
	v_mov_b32_e32 v27, 0
	ds_read_b32 v26, v26 offset:11184
	ds_read_b32 v27, v27 offset:10412
	s_waitcnt lgkmcnt(0)
	v_fmac_f32_e32 v25, v26, v27
.LBB105_788:
	s_or_b64 exec, exec, s[0:1]
	v_xor_b32_e32 v25, 0x80000000, v25
.LBB105_789:
	s_or_b64 exec, exec, s[14:15]
	s_and_saveexec_b64 s[0:1], s[46:47]
; %bb.790:
	ds_write_b32 v12, v25
; %bb.791:
	s_or_b64 exec, exec, s[0:1]
	s_waitcnt lgkmcnt(0)
	s_barrier
	s_and_saveexec_b64 s[0:1], s[48:49]
	s_cbranch_execz .LBB105_793
; %bb.792:
	ds_read_b32 v26, v11 offset:11440
	ds_read_b32 v27, v12
	s_waitcnt lgkmcnt(0)
	v_fmac_f32_e32 v25, v26, v27
.LBB105_793:
	s_or_b64 exec, exec, s[0:1]
	s_barrier
	s_and_saveexec_b64 s[0:1], s[50:51]
; %bb.794:
	ds_write_b32 v12, v25
; %bb.795:
	s_or_b64 exec, exec, s[0:1]
	s_waitcnt lgkmcnt(0)
	s_barrier
	s_and_saveexec_b64 s[0:1], s[52:53]
	s_cbranch_execz .LBB105_797
; %bb.796:
	ds_read_b32 v26, v11 offset:11696
	ds_read_b32 v27, v12
	s_waitcnt lgkmcnt(0)
	v_fmac_f32_e32 v25, v26, v27
.LBB105_797:
	s_or_b64 exec, exec, s[0:1]
	s_barrier
	s_and_saveexec_b64 s[0:1], s[54:55]
; %bb.798:
	ds_write_b32 v12, v25
; %bb.799:
	s_or_b64 exec, exec, s[0:1]
	s_waitcnt lgkmcnt(0)
	s_barrier
	s_and_saveexec_b64 s[0:1], s[44:45]
	s_cbranch_execz .LBB105_801
; %bb.800:
	v_mov_b32_e32 v26, 0
	ds_read_b32 v26, v26 offset:11964
	ds_read_b32 v27, v12
	s_waitcnt lgkmcnt(0)
	v_fmac_f32_e32 v25, v26, v27
.LBB105_801:
	s_or_b64 exec, exec, s[0:1]
	s_barrier
	s_and_saveexec_b64 s[0:1], s[44:45]
; %bb.802:
	ds_write_b32 v12, v25
; %bb.803:
	s_or_b64 exec, exec, s[0:1]
	s_waitcnt lgkmcnt(0)
	s_barrier
	s_barrier
	s_and_saveexec_b64 s[0:1], s[18:19]
; %bb.804:
	v_xor_b32_e32 v25, 0x80000000, v25
	ds_write_b32 v10, v25 offset:10416
; %bb.805:
	s_or_b64 exec, exec, s[0:1]
	s_waitcnt lgkmcnt(0)
	s_barrier
	s_barrier
	s_and_saveexec_b64 s[12:13], s[56:57]
	s_cbranch_execz .LBB105_807
; %bb.806:
	v_lshlrev_b32_e32 v25, 8, v0
	ds_read_b32 v26, v25 offset:10416
	s_movk_i32 s0, 0xff04
	v_mad_i32_i24 v27, v0, s0, v25
	s_waitcnt lgkmcnt(0)
	ds_write_b32 v27, v26 offset:11424
	ds_read_b32 v26, v25 offset:10420
	s_waitcnt lgkmcnt(0)
	ds_write_b32 v27, v26 offset:11680
	ds_read_b32 v26, v25 offset:10424
	;; [unrolled: 3-line block ×3, first 2 shown]
	s_waitcnt lgkmcnt(0)
	ds_write_b32 v27, v25 offset:12192
.LBB105_807:
	s_or_b64 exec, exec, s[12:13]
	s_waitcnt lgkmcnt(0)
	s_barrier
	s_and_saveexec_b64 s[12:13], vcc
	s_cbranch_execz .LBB105_809
; %bb.808:
	v_mov_b32_e32 v27, 0
	ds_read_b32 v25, v27 offset:11444
	v_mov_b32_e32 v26, 1.0
	ds_write_b32 v27, v26 offset:11440
	s_waitcnt lgkmcnt(1)
	ds_write_b64 v27, v[25:26] offset:11696
.LBB105_809:
	s_or_b64 exec, exec, s[12:13]
	v_mov_b32_e32 v25, 0
	s_waitcnt lgkmcnt(0)
	s_barrier
	s_and_saveexec_b64 s[14:15], s[2:3]
	s_cbranch_execz .LBB105_813
; %bb.810:
	v_mul_u32_u24_e32 v25, 0x104, v5
	ds_read_b32 v27, v2 offset:11448
	ds_read_b32 v25, v25 offset:11440
	v_mov_b32_e32 v26, 0
	v_cmp_gt_u32_e64 s[12:13], 2, v4
	s_waitcnt lgkmcnt(0)
	v_fma_f32 v25, v27, v25, 0
	s_and_saveexec_b64 s[0:1], s[12:13]
	s_cbranch_execz .LBB105_812
; %bb.811:
	v_lshlrev_b32_e32 v27, 2, v0
	ds_read_b32 v27, v27 offset:11704
	ds_read_b32 v26, v26 offset:11444
	s_waitcnt lgkmcnt(0)
	v_fmac_f32_e32 v25, v27, v26
.LBB105_812:
	s_or_b64 exec, exec, s[0:1]
	v_xor_b32_e32 v25, 0x80000000, v25
.LBB105_813:
	s_or_b64 exec, exec, s[14:15]
	s_and_saveexec_b64 s[0:1], s[40:41]
; %bb.814:
	ds_write_b32 v3, v25
; %bb.815:
	s_or_b64 exec, exec, s[0:1]
	s_waitcnt lgkmcnt(0)
	s_barrier
	s_and_saveexec_b64 s[0:1], s[38:39]
	s_cbranch_execz .LBB105_817
; %bb.816:
	v_mov_b32_e32 v26, 0
	ds_read_b32 v26, v26 offset:11964
	ds_read_b32 v27, v3
	s_waitcnt lgkmcnt(0)
	v_fmac_f32_e32 v25, v26, v27
.LBB105_817:
	s_or_b64 exec, exec, s[0:1]
	s_barrier
	s_and_saveexec_b64 s[0:1], s[38:39]
; %bb.818:
	ds_write_b32 v3, v25
; %bb.819:
	s_or_b64 exec, exec, s[0:1]
	s_waitcnt lgkmcnt(0)
	s_barrier
	s_barrier
	s_and_saveexec_b64 s[0:1], s[2:3]
; %bb.820:
	v_xor_b32_e32 v25, 0x80000000, v25
	ds_write_b32 v2, v25 offset:11448
; %bb.821:
	s_or_b64 exec, exec, s[0:1]
	s_waitcnt lgkmcnt(0)
	s_barrier
	s_barrier
	s_and_saveexec_b64 s[0:1], s[42:43]
	s_cbranch_execz .LBB105_823
; %bb.822:
	v_lshlrev_b32_e32 v25, 2, v0
	s_movk_i32 s12, 0xfc
	v_mad_u32_u24 v26, v0, s12, v25
	ds_read_b32 v27, v26 offset:11448
	s_waitcnt lgkmcnt(0)
	ds_write_b32 v25, v27 offset:11952
	ds_read_b32 v26, v26 offset:11452
	s_waitcnt lgkmcnt(0)
	ds_write_b32 v25, v26 offset:12208
.LBB105_823:
	s_or_b64 exec, exec, s[0:1]
	s_waitcnt lgkmcnt(0)
	s_barrier
	s_and_saveexec_b64 s[12:13], vcc
	s_cbranch_execz .LBB105_825
; %bb.824:
	v_mov_b32_e32 v27, 0
	ds_read_b32 v25, v27 offset:11964
	v_mov_b32_e32 v26, 1.0
	ds_write_b32 v27, v26 offset:11960
	s_waitcnt lgkmcnt(1)
	ds_write_b64 v27, v[25:26] offset:12216
.LBB105_825:
	s_or_b64 exec, exec, s[12:13]
	v_mov_b32_e32 v25, 0
	s_waitcnt lgkmcnt(0)
	s_barrier
	s_and_saveexec_b64 s[14:15], s[10:11]
	s_cbranch_execz .LBB105_853
; %bb.826:
	v_mul_u32_u24_e32 v26, 0x104, v24
	ds_read_b32 v25, v20 offset:8384
	ds_read_b32 v27, v26 offset:8320
	s_movk_i32 s0, 0xf0
	v_cmp_gt_u32_e64 s[12:13], s0, v4
	s_waitcnt lgkmcnt(0)
	v_fma_f32 v25, v25, v27, 0
	s_and_saveexec_b64 s[16:17], s[12:13]
	s_cbranch_execz .LBB105_828
; %bb.827:
	v_lshlrev_b32_e32 v27, 2, v24
	v_sub_u32_e32 v27, v26, v27
	v_lshl_add_u32 v27, v21, 2, v27
	ds_read_b32 v27, v27 offset:8640
	ds_read_b32 v28, v26 offset:8324
	s_waitcnt lgkmcnt(0)
	v_fmac_f32_e32 v25, v27, v28
.LBB105_828:
	s_or_b64 exec, exec, s[16:17]
	s_movk_i32 s0, 0xe0
	v_cmp_gt_u32_e64 s[12:13], s0, v4
	s_and_saveexec_b64 s[0:1], s[12:13]
	s_cbranch_execz .LBB105_830
; %bb.829:
	v_lshlrev_b32_e32 v27, 2, v24
	v_sub_u32_e32 v27, v26, v27
	v_lshl_add_u32 v27, v21, 2, v27
	ds_read_b32 v27, v27 offset:8896
	ds_read_b32 v28, v26 offset:8328
	s_waitcnt lgkmcnt(0)
	v_fmac_f32_e32 v25, v27, v28
.LBB105_830:
	s_or_b64 exec, exec, s[0:1]
	s_movk_i32 s0, 0xd0
	v_cmp_gt_u32_e64 s[12:13], s0, v4
	;; [unrolled: 14-line block ×7, first 2 shown]
	s_and_saveexec_b64 s[0:1], s[12:13]
	s_cbranch_execz .LBB105_842
; %bb.841:
	ds_read_b32 v24, v20 offset:10432
	ds_read_b32 v27, v26 offset:8352
	s_waitcnt lgkmcnt(0)
	v_fmac_f32_e32 v25, v24, v27
.LBB105_842:
	s_or_b64 exec, exec, s[0:1]
	s_movk_i32 s0, 0x70
	v_cmp_gt_u32_e64 s[12:13], s0, v4
	s_and_saveexec_b64 s[0:1], s[12:13]
	s_cbranch_execz .LBB105_844
; %bb.843:
	v_lshlrev_b32_e32 v24, 2, v21
	v_lshl_add_u32 v24, v23, 2, v24
	ds_read_b32 v24, v24 offset:10688
	ds_read_b32 v27, v26 offset:8356
	s_waitcnt lgkmcnt(0)
	v_fmac_f32_e32 v25, v24, v27
.LBB105_844:
	s_or_b64 exec, exec, s[0:1]
	s_movk_i32 s0, 0x60
	v_cmp_gt_u32_e64 s[12:13], s0, v4
	s_and_saveexec_b64 s[0:1], s[12:13]
	s_cbranch_execz .LBB105_846
; %bb.845:
	v_lshlrev_b32_e32 v24, 2, v21
	v_lshl_add_u32 v24, v23, 2, v24
	ds_read_b32 v24, v24 offset:10944
	ds_read_b32 v27, v26 offset:8360
	s_waitcnt lgkmcnt(0)
	v_fmac_f32_e32 v25, v24, v27
.LBB105_846:
	s_or_b64 exec, exec, s[0:1]
	s_movk_i32 s0, 0x50
	v_cmp_gt_u32_e64 s[12:13], s0, v4
	s_and_saveexec_b64 s[0:1], s[12:13]
	s_cbranch_execnz .LBB105_1206
; %bb.847:
	s_or_b64 exec, exec, s[0:1]
	v_cmp_gt_u32_e64 s[12:13], 64, v4
	s_and_saveexec_b64 s[0:1], s[12:13]
	s_cbranch_execnz .LBB105_1207
.LBB105_848:
	s_or_b64 exec, exec, s[0:1]
	v_cmp_gt_u32_e64 s[12:13], 48, v4
	s_and_saveexec_b64 s[0:1], s[12:13]
	s_cbranch_execnz .LBB105_1208
.LBB105_849:
	s_or_b64 exec, exec, s[0:1]
	v_cmp_gt_u32_e64 s[12:13], 32, v4
	s_and_saveexec_b64 s[0:1], s[12:13]
	s_cbranch_execnz .LBB105_1209
.LBB105_850:
	s_or_b64 exec, exec, s[0:1]
	v_cmp_gt_u32_e64 s[12:13], 16, v4
	s_and_saveexec_b64 s[0:1], s[12:13]
	s_cbranch_execz .LBB105_852
.LBB105_851:
	v_lshlrev_b32_e32 v23, 2, v0
	v_mov_b32_e32 v24, 0
	ds_read_b32 v23, v23 offset:12224
	ds_read_b32 v24, v24 offset:8380
	s_waitcnt lgkmcnt(0)
	v_fmac_f32_e32 v25, v23, v24
.LBB105_852:
	s_or_b64 exec, exec, s[0:1]
	v_xor_b32_e32 v25, 0x80000000, v25
.LBB105_853:
	s_or_b64 exec, exec, s[14:15]
	s_mov_b64 s[0:1], exec
	v_readlane_b32 s12, v33, 3
	v_readlane_b32 s13, v33, 4
	s_and_b64 s[12:13], s[0:1], s[12:13]
	s_mov_b64 exec, s[12:13]
; %bb.854:
	ds_write_b32 v22, v25
; %bb.855:
	s_or_b64 exec, exec, s[0:1]
	s_waitcnt lgkmcnt(0)
	s_barrier
	s_mov_b64 s[0:1], exec
	v_readlane_b32 s12, v33, 5
	v_readlane_b32 s13, v33, 6
	s_and_b64 s[12:13], s[0:1], s[12:13]
	s_mov_b64 exec, s[12:13]
	s_cbranch_execz .LBB105_857
; %bb.856:
	v_lshlrev_b32_e32 v23, 2, v21
	ds_read_b32 v23, v23 offset:12480
	ds_read_b32 v24, v22
	s_waitcnt lgkmcnt(0)
	v_fmac_f32_e32 v25, v23, v24
.LBB105_857:
	s_or_b64 exec, exec, s[0:1]
	s_barrier
	s_mov_b64 s[0:1], exec
	v_readlane_b32 s12, v33, 7
	v_readlane_b32 s13, v33, 8
	s_and_b64 s[12:13], s[0:1], s[12:13]
	s_mov_b64 exec, s[12:13]
; %bb.858:
	ds_write_b32 v22, v25
; %bb.859:
	s_or_b64 exec, exec, s[0:1]
	s_waitcnt lgkmcnt(0)
	s_barrier
	s_mov_b64 s[0:1], exec
	v_readlane_b32 s12, v33, 9
	v_readlane_b32 s13, v33, 10
	s_and_b64 s[12:13], s[0:1], s[12:13]
	s_mov_b64 exec, s[12:13]
	s_cbranch_execz .LBB105_861
; %bb.860:
	v_lshlrev_b32_e32 v23, 2, v21
	ds_read_b32 v23, v23 offset:12736
	ds_read_b32 v24, v22
	s_waitcnt lgkmcnt(0)
	v_fmac_f32_e32 v25, v23, v24
.LBB105_861:
	s_or_b64 exec, exec, s[0:1]
	s_barrier
	;; [unrolled: 26-line block ×14, first 2 shown]
	s_mov_b64 s[0:1], exec
	v_readlane_b32 s12, v33, 59
	v_readlane_b32 s13, v33, 60
	s_and_b64 s[12:13], s[0:1], s[12:13]
	s_mov_b64 exec, s[12:13]
; %bb.910:
	ds_write_b32 v22, v25
; %bb.911:
	s_or_b64 exec, exec, s[0:1]
	s_waitcnt lgkmcnt(0)
	s_barrier
	s_and_saveexec_b64 s[0:1], s[88:89]
	s_cbranch_execz .LBB105_913
; %bb.912:
	v_mov_b32_e32 v21, 0
	ds_read_b32 v21, v21 offset:16124
	ds_read_b32 v23, v22
	s_waitcnt lgkmcnt(0)
	v_fmac_f32_e32 v25, v21, v23
.LBB105_913:
	s_or_b64 exec, exec, s[0:1]
	s_barrier
	s_and_saveexec_b64 s[0:1], s[88:89]
; %bb.914:
	ds_write_b32 v22, v25
; %bb.915:
	s_or_b64 exec, exec, s[0:1]
	s_waitcnt lgkmcnt(0)
	s_barrier
	s_barrier
	s_and_saveexec_b64 s[0:1], s[10:11]
; %bb.916:
	v_xor_b32_e32 v21, 0x80000000, v25
	ds_write_b32 v20, v21 offset:8384
; %bb.917:
	s_or_b64 exec, exec, s[0:1]
	s_waitcnt lgkmcnt(0)
	s_barrier
	s_barrier
	s_mov_b64 s[0:1], exec
	v_readlane_b32 s10, v33, 61
	v_readlane_b32 s11, v33, 62
	s_and_b64 s[10:11], s[0:1], s[10:11]
	s_mov_b64 exec, s[10:11]
	s_cbranch_execz .LBB105_919
; %bb.918:
	v_lshlrev_b32_e32 v20, 8, v0
	ds_read_b32 v21, v20 offset:8384
	s_movk_i32 s10, 0xff04
	v_mad_i32_i24 v22, v0, s10, v20
	s_waitcnt lgkmcnt(0)
	ds_write_b32 v22, v21 offset:12416
	ds_read_b32 v21, v20 offset:8388
	s_waitcnt lgkmcnt(0)
	ds_write_b32 v22, v21 offset:12672
	ds_read_b32 v21, v20 offset:8392
	;; [unrolled: 3-line block ×15, first 2 shown]
	s_waitcnt lgkmcnt(0)
	ds_write_b32 v22, v20 offset:16256
.LBB105_919:
	s_or_b64 exec, exec, s[0:1]
	s_waitcnt lgkmcnt(0)
	s_barrier
	s_and_saveexec_b64 s[0:1], vcc
	s_cbranch_execz .LBB105_921
; %bb.920:
	v_mov_b32_e32 v22, 0
	ds_read_b32 v20, v22 offset:12484
	v_mov_b32_e32 v21, 1.0
	ds_write_b32 v22, v21 offset:12480
	s_waitcnt lgkmcnt(1)
	ds_write_b64 v22, v[20:21] offset:12736
.LBB105_921:
	s_or_b64 exec, exec, s[0:1]
	v_mov_b32_e32 v20, 0
	s_waitcnt lgkmcnt(0)
	s_barrier
	s_and_saveexec_b64 s[0:1], s[2:3]
	s_cbranch_execz .LBB105_925
; %bb.922:
	v_mul_u32_u24_e32 v20, 0x104, v5
	ds_read_b32 v22, v2 offset:12488
	ds_read_b32 v20, v20 offset:12480
	v_mov_b32_e32 v21, 0
	v_cmp_gt_u32_e64 s[10:11], 2, v4
	s_waitcnt lgkmcnt(0)
	v_fma_f32 v20, v22, v20, 0
	s_and_saveexec_b64 s[12:13], s[10:11]
	s_cbranch_execz .LBB105_924
; %bb.923:
	v_lshlrev_b32_e32 v22, 2, v0
	ds_read_b32 v22, v22 offset:12744
	ds_read_b32 v21, v21 offset:12484
	s_waitcnt lgkmcnt(0)
	v_fmac_f32_e32 v20, v22, v21
.LBB105_924:
	s_or_b64 exec, exec, s[12:13]
	v_xor_b32_e32 v20, 0x80000000, v20
.LBB105_925:
	s_or_b64 exec, exec, s[0:1]
	s_and_saveexec_b64 s[0:1], s[40:41]
; %bb.926:
	ds_write_b32 v3, v20
; %bb.927:
	s_or_b64 exec, exec, s[0:1]
	s_waitcnt lgkmcnt(0)
	s_barrier
	s_and_saveexec_b64 s[0:1], s[38:39]
	s_cbranch_execz .LBB105_929
; %bb.928:
	v_mov_b32_e32 v21, 0
	ds_read_b32 v21, v21 offset:13004
	ds_read_b32 v22, v3
	s_waitcnt lgkmcnt(0)
	v_fmac_f32_e32 v20, v21, v22
.LBB105_929:
	s_or_b64 exec, exec, s[0:1]
	s_barrier
	s_and_saveexec_b64 s[0:1], s[38:39]
; %bb.930:
	ds_write_b32 v3, v20
; %bb.931:
	s_or_b64 exec, exec, s[0:1]
	s_waitcnt lgkmcnt(0)
	s_barrier
	s_barrier
	s_and_saveexec_b64 s[0:1], s[2:3]
; %bb.932:
	v_xor_b32_e32 v20, 0x80000000, v20
	ds_write_b32 v2, v20 offset:12488
; %bb.933:
	s_or_b64 exec, exec, s[0:1]
	s_waitcnt lgkmcnt(0)
	s_barrier
	s_barrier
	s_and_saveexec_b64 s[0:1], s[42:43]
	s_cbranch_execz .LBB105_935
; %bb.934:
	v_lshlrev_b32_e32 v20, 2, v0
	s_movk_i32 s10, 0xfc
	v_mad_u32_u24 v21, v0, s10, v20
	ds_read_b32 v22, v21 offset:12488
	s_waitcnt lgkmcnt(0)
	ds_write_b32 v20, v22 offset:12992
	ds_read_b32 v21, v21 offset:12492
	s_waitcnt lgkmcnt(0)
	ds_write_b32 v20, v21 offset:13248
.LBB105_935:
	s_or_b64 exec, exec, s[0:1]
	s_waitcnt lgkmcnt(0)
	s_barrier
	s_and_saveexec_b64 s[0:1], vcc
	s_cbranch_execz .LBB105_937
; %bb.936:
	v_mov_b32_e32 v22, 0
	ds_read_b32 v20, v22 offset:13004
	v_mov_b32_e32 v21, 1.0
	ds_write_b32 v22, v21 offset:13000
	s_waitcnt lgkmcnt(1)
	ds_write_b64 v22, v[20:21] offset:13256
.LBB105_937:
	s_or_b64 exec, exec, s[0:1]
	v_mov_b32_e32 v20, 0
	s_waitcnt lgkmcnt(0)
	s_barrier
	s_and_saveexec_b64 s[0:1], s[18:19]
	s_cbranch_execz .LBB105_943
; %bb.938:
	v_mul_u32_u24_e32 v21, 0x104, v14
	ds_read_b32 v20, v10 offset:12496
	ds_read_b32 v22, v21 offset:12480
	v_cmp_gt_u32_e64 s[10:11], 12, v4
	s_waitcnt lgkmcnt(0)
	v_fma_f32 v20, v20, v22, 0
	s_and_saveexec_b64 s[12:13], s[10:11]
	s_cbranch_execnz .LBB105_1210
; %bb.939:
	s_or_b64 exec, exec, s[12:13]
	v_cmp_gt_u32_e64 s[10:11], 8, v4
	s_and_saveexec_b64 s[12:13], s[10:11]
	s_cbranch_execnz .LBB105_1211
.LBB105_940:
	s_or_b64 exec, exec, s[12:13]
	v_cmp_gt_u32_e64 s[10:11], 4, v4
	s_and_saveexec_b64 s[12:13], s[10:11]
	s_cbranch_execz .LBB105_942
.LBB105_941:
	v_lshlrev_b32_e32 v21, 2, v0
	v_mov_b32_e32 v22, 0
	ds_read_b32 v21, v21 offset:13264
	ds_read_b32 v22, v22 offset:12492
	s_waitcnt lgkmcnt(0)
	v_fmac_f32_e32 v20, v21, v22
.LBB105_942:
	s_or_b64 exec, exec, s[12:13]
	v_xor_b32_e32 v20, 0x80000000, v20
.LBB105_943:
	s_or_b64 exec, exec, s[0:1]
	s_and_saveexec_b64 s[0:1], s[46:47]
; %bb.944:
	ds_write_b32 v12, v20
; %bb.945:
	s_or_b64 exec, exec, s[0:1]
	s_waitcnt lgkmcnt(0)
	s_barrier
	s_and_saveexec_b64 s[0:1], s[48:49]
	s_cbranch_execz .LBB105_947
; %bb.946:
	ds_read_b32 v21, v11 offset:13520
	ds_read_b32 v22, v12
	s_waitcnt lgkmcnt(0)
	v_fmac_f32_e32 v20, v21, v22
.LBB105_947:
	s_or_b64 exec, exec, s[0:1]
	s_barrier
	s_and_saveexec_b64 s[0:1], s[50:51]
; %bb.948:
	ds_write_b32 v12, v20
; %bb.949:
	s_or_b64 exec, exec, s[0:1]
	s_waitcnt lgkmcnt(0)
	s_barrier
	s_and_saveexec_b64 s[0:1], s[52:53]
	s_cbranch_execz .LBB105_951
; %bb.950:
	ds_read_b32 v21, v11 offset:13776
	ds_read_b32 v22, v12
	s_waitcnt lgkmcnt(0)
	v_fmac_f32_e32 v20, v21, v22
.LBB105_951:
	s_or_b64 exec, exec, s[0:1]
	s_barrier
	s_and_saveexec_b64 s[0:1], s[54:55]
; %bb.952:
	ds_write_b32 v12, v20
; %bb.953:
	s_or_b64 exec, exec, s[0:1]
	s_waitcnt lgkmcnt(0)
	s_barrier
	s_and_saveexec_b64 s[0:1], s[44:45]
	s_cbranch_execz .LBB105_955
; %bb.954:
	v_mov_b32_e32 v21, 0
	ds_read_b32 v21, v21 offset:14044
	ds_read_b32 v22, v12
	s_waitcnt lgkmcnt(0)
	v_fmac_f32_e32 v20, v21, v22
.LBB105_955:
	s_or_b64 exec, exec, s[0:1]
	s_barrier
	s_and_saveexec_b64 s[0:1], s[44:45]
; %bb.956:
	ds_write_b32 v12, v20
; %bb.957:
	s_or_b64 exec, exec, s[0:1]
	s_waitcnt lgkmcnt(0)
	s_barrier
	s_barrier
	s_and_saveexec_b64 s[0:1], s[18:19]
; %bb.958:
	v_xor_b32_e32 v20, 0x80000000, v20
	ds_write_b32 v10, v20 offset:12496
; %bb.959:
	s_or_b64 exec, exec, s[0:1]
	s_waitcnt lgkmcnt(0)
	s_barrier
	s_barrier
	s_and_saveexec_b64 s[0:1], s[56:57]
	s_cbranch_execz .LBB105_961
; %bb.960:
	v_lshlrev_b32_e32 v20, 8, v0
	ds_read_b32 v21, v20 offset:12496
	s_movk_i32 s10, 0xff04
	v_mad_i32_i24 v22, v0, s10, v20
	s_waitcnt lgkmcnt(0)
	ds_write_b32 v22, v21 offset:13504
	ds_read_b32 v21, v20 offset:12500
	s_waitcnt lgkmcnt(0)
	ds_write_b32 v22, v21 offset:13760
	ds_read_b32 v21, v20 offset:12504
	;; [unrolled: 3-line block ×3, first 2 shown]
	s_waitcnt lgkmcnt(0)
	ds_write_b32 v22, v20 offset:14272
.LBB105_961:
	s_or_b64 exec, exec, s[0:1]
	s_waitcnt lgkmcnt(0)
	s_barrier
	s_and_saveexec_b64 s[0:1], vcc
	s_cbranch_execz .LBB105_963
; %bb.962:
	v_mov_b32_e32 v22, 0
	ds_read_b32 v20, v22 offset:13524
	v_mov_b32_e32 v21, 1.0
	ds_write_b32 v22, v21 offset:13520
	s_waitcnt lgkmcnt(1)
	ds_write_b64 v22, v[20:21] offset:13776
.LBB105_963:
	s_or_b64 exec, exec, s[0:1]
	v_mov_b32_e32 v20, 0
	s_waitcnt lgkmcnt(0)
	s_barrier
	s_and_saveexec_b64 s[0:1], s[2:3]
	s_cbranch_execz .LBB105_967
; %bb.964:
	v_mul_u32_u24_e32 v20, 0x104, v5
	ds_read_b32 v22, v2 offset:13528
	ds_read_b32 v20, v20 offset:13520
	v_mov_b32_e32 v21, 0
	v_cmp_gt_u32_e64 s[10:11], 2, v4
	s_waitcnt lgkmcnt(0)
	v_fma_f32 v20, v22, v20, 0
	s_and_saveexec_b64 s[12:13], s[10:11]
	s_cbranch_execz .LBB105_966
; %bb.965:
	v_lshlrev_b32_e32 v22, 2, v0
	ds_read_b32 v22, v22 offset:13784
	ds_read_b32 v21, v21 offset:13524
	s_waitcnt lgkmcnt(0)
	v_fmac_f32_e32 v20, v22, v21
.LBB105_966:
	s_or_b64 exec, exec, s[12:13]
	v_xor_b32_e32 v20, 0x80000000, v20
.LBB105_967:
	s_or_b64 exec, exec, s[0:1]
	s_and_saveexec_b64 s[0:1], s[40:41]
; %bb.968:
	ds_write_b32 v3, v20
; %bb.969:
	s_or_b64 exec, exec, s[0:1]
	s_waitcnt lgkmcnt(0)
	s_barrier
	s_and_saveexec_b64 s[0:1], s[38:39]
	s_cbranch_execz .LBB105_971
; %bb.970:
	v_mov_b32_e32 v21, 0
	ds_read_b32 v21, v21 offset:14044
	ds_read_b32 v22, v3
	s_waitcnt lgkmcnt(0)
	v_fmac_f32_e32 v20, v21, v22
.LBB105_971:
	s_or_b64 exec, exec, s[0:1]
	s_barrier
	s_and_saveexec_b64 s[0:1], s[38:39]
; %bb.972:
	ds_write_b32 v3, v20
; %bb.973:
	s_or_b64 exec, exec, s[0:1]
	s_waitcnt lgkmcnt(0)
	s_barrier
	s_barrier
	s_and_saveexec_b64 s[0:1], s[2:3]
; %bb.974:
	v_xor_b32_e32 v20, 0x80000000, v20
	ds_write_b32 v2, v20 offset:13528
; %bb.975:
	s_or_b64 exec, exec, s[0:1]
	s_waitcnt lgkmcnt(0)
	s_barrier
	s_barrier
	s_and_saveexec_b64 s[0:1], s[42:43]
	s_cbranch_execz .LBB105_977
; %bb.976:
	v_lshlrev_b32_e32 v20, 2, v0
	s_movk_i32 s10, 0xfc
	v_mad_u32_u24 v21, v0, s10, v20
	ds_read_b32 v22, v21 offset:13528
	s_waitcnt lgkmcnt(0)
	ds_write_b32 v20, v22 offset:14032
	ds_read_b32 v21, v21 offset:13532
	s_waitcnt lgkmcnt(0)
	ds_write_b32 v20, v21 offset:14288
.LBB105_977:
	s_or_b64 exec, exec, s[0:1]
	s_waitcnt lgkmcnt(0)
	s_barrier
	s_and_saveexec_b64 s[0:1], vcc
	s_cbranch_execz .LBB105_979
; %bb.978:
	v_mov_b32_e32 v22, 0
	ds_read_b32 v20, v22 offset:14044
	v_mov_b32_e32 v21, 1.0
	ds_write_b32 v22, v21 offset:14040
	s_waitcnt lgkmcnt(1)
	ds_write_b64 v22, v[20:21] offset:14296
.LBB105_979:
	s_or_b64 exec, exec, s[0:1]
	v_mov_b32_e32 v20, 0
	s_waitcnt lgkmcnt(0)
	s_barrier
	s_and_saveexec_b64 s[0:1], s[8:9]
	s_cbranch_execz .LBB105_989
; %bb.980:
	v_mul_u32_u24_e32 v21, 0x104, v19
	ds_read_b32 v20, v15 offset:12512
	ds_read_b32 v22, v21 offset:12480
	v_cmp_gt_u32_e64 s[10:11], 56, v4
	s_waitcnt lgkmcnt(0)
	v_fma_f32 v20, v20, v22, 0
	s_and_saveexec_b64 s[12:13], s[10:11]
	s_cbranch_execnz .LBB105_1212
; %bb.981:
	s_or_b64 exec, exec, s[12:13]
	v_cmp_gt_u32_e64 s[10:11], 48, v4
	s_and_saveexec_b64 s[12:13], s[10:11]
	s_cbranch_execnz .LBB105_1213
.LBB105_982:
	s_or_b64 exec, exec, s[12:13]
	v_cmp_gt_u32_e64 s[10:11], 40, v4
	s_and_saveexec_b64 s[12:13], s[10:11]
	s_cbranch_execnz .LBB105_1214
.LBB105_983:
	s_or_b64 exec, exec, s[12:13]
	v_cmp_gt_u32_e64 s[10:11], 32, v4
	s_and_saveexec_b64 s[12:13], s[10:11]
	s_cbranch_execnz .LBB105_1215
.LBB105_984:
	s_or_b64 exec, exec, s[12:13]
	v_cmp_gt_u32_e64 s[10:11], 24, v4
	s_and_saveexec_b64 s[12:13], s[10:11]
	s_cbranch_execnz .LBB105_1216
.LBB105_985:
	s_or_b64 exec, exec, s[12:13]
	v_cmp_gt_u32_e64 s[10:11], 16, v4
	s_and_saveexec_b64 s[12:13], s[10:11]
	s_cbranch_execnz .LBB105_1217
.LBB105_986:
	s_or_b64 exec, exec, s[12:13]
	v_cmp_gt_u32_e64 s[10:11], 8, v4
	s_and_saveexec_b64 s[12:13], s[10:11]
	s_cbranch_execz .LBB105_988
.LBB105_987:
	v_lshlrev_b32_e32 v18, 2, v0
	v_mov_b32_e32 v19, 0
	ds_read_b32 v18, v18 offset:14304
	ds_read_b32 v19, v19 offset:12508
	s_waitcnt lgkmcnt(0)
	v_fmac_f32_e32 v20, v18, v19
.LBB105_988:
	s_or_b64 exec, exec, s[12:13]
	v_xor_b32_e32 v20, 0x80000000, v20
.LBB105_989:
	s_or_b64 exec, exec, s[0:1]
	s_and_saveexec_b64 s[0:1], s[58:59]
; %bb.990:
	ds_write_b32 v17, v20
; %bb.991:
	s_or_b64 exec, exec, s[0:1]
	s_waitcnt lgkmcnt(0)
	s_barrier
	s_and_saveexec_b64 s[0:1], s[60:61]
	s_cbranch_execz .LBB105_993
; %bb.992:
	ds_read_b32 v18, v16 offset:14560
	ds_read_b32 v19, v17
	s_waitcnt lgkmcnt(0)
	v_fmac_f32_e32 v20, v18, v19
.LBB105_993:
	s_or_b64 exec, exec, s[0:1]
	s_barrier
	s_and_saveexec_b64 s[0:1], s[62:63]
; %bb.994:
	ds_write_b32 v17, v20
; %bb.995:
	s_or_b64 exec, exec, s[0:1]
	s_waitcnt lgkmcnt(0)
	s_barrier
	s_and_saveexec_b64 s[0:1], s[64:65]
	s_cbranch_execz .LBB105_997
; %bb.996:
	ds_read_b32 v18, v16 offset:14816
	ds_read_b32 v19, v17
	s_waitcnt lgkmcnt(0)
	v_fmac_f32_e32 v20, v18, v19
.LBB105_997:
	s_or_b64 exec, exec, s[0:1]
	s_barrier
	;; [unrolled: 17-line block ×6, first 2 shown]
	s_and_saveexec_b64 s[0:1], s[84:85]
; %bb.1014:
	ds_write_b32 v17, v20
; %bb.1015:
	s_or_b64 exec, exec, s[0:1]
	s_waitcnt lgkmcnt(0)
	s_barrier
	s_and_saveexec_b64 s[0:1], s[66:67]
	s_cbranch_execz .LBB105_1017
; %bb.1016:
	v_mov_b32_e32 v16, 0
	ds_read_b32 v16, v16 offset:16124
	ds_read_b32 v18, v17
	s_waitcnt lgkmcnt(0)
	v_fmac_f32_e32 v20, v16, v18
.LBB105_1017:
	s_or_b64 exec, exec, s[0:1]
	s_barrier
	s_and_saveexec_b64 s[0:1], s[66:67]
; %bb.1018:
	ds_write_b32 v17, v20
; %bb.1019:
	s_or_b64 exec, exec, s[0:1]
	s_waitcnt lgkmcnt(0)
	s_barrier
	s_barrier
	s_and_saveexec_b64 s[0:1], s[8:9]
; %bb.1020:
	v_xor_b32_e32 v16, 0x80000000, v20
	ds_write_b32 v15, v16 offset:12512
; %bb.1021:
	s_or_b64 exec, exec, s[0:1]
	s_waitcnt lgkmcnt(0)
	s_barrier
	s_barrier
	s_and_saveexec_b64 s[0:1], s[86:87]
	s_cbranch_execz .LBB105_1023
; %bb.1022:
	v_lshlrev_b32_e32 v15, 8, v0
	ds_read_b32 v16, v15 offset:12512
	s_movk_i32 s8, 0xff04
	v_mad_i32_i24 v17, v0, s8, v15
	s_waitcnt lgkmcnt(0)
	ds_write_b32 v17, v16 offset:14528
	ds_read_b32 v16, v15 offset:12516
	s_waitcnt lgkmcnt(0)
	ds_write_b32 v17, v16 offset:14784
	ds_read_b32 v16, v15 offset:12520
	;; [unrolled: 3-line block ×7, first 2 shown]
	s_waitcnt lgkmcnt(0)
	ds_write_b32 v17, v15 offset:16320
.LBB105_1023:
	s_or_b64 exec, exec, s[0:1]
	s_waitcnt lgkmcnt(0)
	s_barrier
	s_and_saveexec_b64 s[0:1], vcc
	s_cbranch_execz .LBB105_1025
; %bb.1024:
	v_mov_b32_e32 v17, 0
	ds_read_b32 v15, v17 offset:14564
	v_mov_b32_e32 v16, 1.0
	ds_write_b32 v17, v16 offset:14560
	s_waitcnt lgkmcnt(1)
	ds_write_b64 v17, v[15:16] offset:14816
.LBB105_1025:
	s_or_b64 exec, exec, s[0:1]
	v_mov_b32_e32 v15, 0
	s_waitcnt lgkmcnt(0)
	s_barrier
	s_and_saveexec_b64 s[0:1], s[2:3]
	s_cbranch_execz .LBB105_1029
; %bb.1026:
	v_mul_u32_u24_e32 v15, 0x104, v5
	ds_read_b32 v17, v2 offset:14568
	ds_read_b32 v15, v15 offset:14560
	v_mov_b32_e32 v16, 0
	v_cmp_gt_u32_e64 s[8:9], 2, v4
	s_waitcnt lgkmcnt(0)
	v_fma_f32 v15, v17, v15, 0
	s_and_saveexec_b64 s[10:11], s[8:9]
	s_cbranch_execz .LBB105_1028
; %bb.1027:
	v_lshlrev_b32_e32 v17, 2, v0
	ds_read_b32 v17, v17 offset:14824
	ds_read_b32 v16, v16 offset:14564
	s_waitcnt lgkmcnt(0)
	v_fmac_f32_e32 v15, v17, v16
.LBB105_1028:
	s_or_b64 exec, exec, s[10:11]
	v_xor_b32_e32 v15, 0x80000000, v15
.LBB105_1029:
	s_or_b64 exec, exec, s[0:1]
	s_and_saveexec_b64 s[0:1], s[40:41]
; %bb.1030:
	ds_write_b32 v3, v15
; %bb.1031:
	s_or_b64 exec, exec, s[0:1]
	s_waitcnt lgkmcnt(0)
	s_barrier
	s_and_saveexec_b64 s[0:1], s[38:39]
	s_cbranch_execz .LBB105_1033
; %bb.1032:
	v_mov_b32_e32 v16, 0
	ds_read_b32 v16, v16 offset:15084
	ds_read_b32 v17, v3
	s_waitcnt lgkmcnt(0)
	v_fmac_f32_e32 v15, v16, v17
.LBB105_1033:
	s_or_b64 exec, exec, s[0:1]
	s_barrier
	s_and_saveexec_b64 s[0:1], s[38:39]
; %bb.1034:
	ds_write_b32 v3, v15
; %bb.1035:
	s_or_b64 exec, exec, s[0:1]
	s_waitcnt lgkmcnt(0)
	s_barrier
	s_barrier
	s_and_saveexec_b64 s[0:1], s[2:3]
; %bb.1036:
	v_xor_b32_e32 v15, 0x80000000, v15
	ds_write_b32 v2, v15 offset:14568
; %bb.1037:
	s_or_b64 exec, exec, s[0:1]
	s_waitcnt lgkmcnt(0)
	s_barrier
	s_barrier
	s_and_saveexec_b64 s[0:1], s[42:43]
	s_cbranch_execz .LBB105_1039
; %bb.1038:
	v_lshlrev_b32_e32 v15, 2, v0
	s_movk_i32 s8, 0xfc
	v_mad_u32_u24 v16, v0, s8, v15
	ds_read_b32 v17, v16 offset:14568
	s_waitcnt lgkmcnt(0)
	ds_write_b32 v15, v17 offset:15072
	ds_read_b32 v16, v16 offset:14572
	s_waitcnt lgkmcnt(0)
	ds_write_b32 v15, v16 offset:15328
.LBB105_1039:
	s_or_b64 exec, exec, s[0:1]
	s_waitcnt lgkmcnt(0)
	s_barrier
	s_and_saveexec_b64 s[0:1], vcc
	s_cbranch_execz .LBB105_1041
; %bb.1040:
	v_mov_b32_e32 v17, 0
	ds_read_b32 v15, v17 offset:15084
	v_mov_b32_e32 v16, 1.0
	ds_write_b32 v17, v16 offset:15080
	s_waitcnt lgkmcnt(1)
	ds_write_b64 v17, v[15:16] offset:15336
.LBB105_1041:
	s_or_b64 exec, exec, s[0:1]
	v_mov_b32_e32 v15, 0
	s_waitcnt lgkmcnt(0)
	s_barrier
	s_and_saveexec_b64 s[0:1], s[18:19]
	s_cbranch_execz .LBB105_1047
; %bb.1042:
	v_mul_u32_u24_e32 v16, 0x104, v14
	ds_read_b32 v15, v10 offset:14576
	ds_read_b32 v17, v16 offset:14560
	v_cmp_gt_u32_e64 s[8:9], 12, v4
	s_waitcnt lgkmcnt(0)
	v_fma_f32 v15, v15, v17, 0
	s_and_saveexec_b64 s[10:11], s[8:9]
	s_cbranch_execnz .LBB105_1218
; %bb.1043:
	s_or_b64 exec, exec, s[10:11]
	v_cmp_gt_u32_e64 s[8:9], 8, v4
	s_and_saveexec_b64 s[10:11], s[8:9]
	s_cbranch_execnz .LBB105_1219
.LBB105_1044:
	s_or_b64 exec, exec, s[10:11]
	v_cmp_gt_u32_e64 s[8:9], 4, v4
	s_and_saveexec_b64 s[10:11], s[8:9]
	s_cbranch_execz .LBB105_1046
.LBB105_1045:
	v_lshlrev_b32_e32 v13, 2, v0
	v_mov_b32_e32 v14, 0
	ds_read_b32 v13, v13 offset:15344
	ds_read_b32 v14, v14 offset:14572
	s_waitcnt lgkmcnt(0)
	v_fmac_f32_e32 v15, v13, v14
.LBB105_1046:
	s_or_b64 exec, exec, s[10:11]
	v_xor_b32_e32 v15, 0x80000000, v15
.LBB105_1047:
	s_or_b64 exec, exec, s[0:1]
	s_and_saveexec_b64 s[0:1], s[46:47]
; %bb.1048:
	ds_write_b32 v12, v15
; %bb.1049:
	s_or_b64 exec, exec, s[0:1]
	s_waitcnt lgkmcnt(0)
	s_barrier
	s_and_saveexec_b64 s[0:1], s[48:49]
	s_cbranch_execz .LBB105_1051
; %bb.1050:
	ds_read_b32 v13, v11 offset:15600
	ds_read_b32 v14, v12
	s_waitcnt lgkmcnt(0)
	v_fmac_f32_e32 v15, v13, v14
.LBB105_1051:
	s_or_b64 exec, exec, s[0:1]
	s_barrier
	s_and_saveexec_b64 s[0:1], s[50:51]
; %bb.1052:
	ds_write_b32 v12, v15
; %bb.1053:
	s_or_b64 exec, exec, s[0:1]
	s_waitcnt lgkmcnt(0)
	s_barrier
	s_and_saveexec_b64 s[0:1], s[52:53]
	s_cbranch_execz .LBB105_1055
; %bb.1054:
	ds_read_b32 v11, v11 offset:15856
	ds_read_b32 v13, v12
	s_waitcnt lgkmcnt(0)
	v_fmac_f32_e32 v15, v11, v13
.LBB105_1055:
	s_or_b64 exec, exec, s[0:1]
	s_barrier
	s_and_saveexec_b64 s[0:1], s[54:55]
; %bb.1056:
	ds_write_b32 v12, v15
; %bb.1057:
	s_or_b64 exec, exec, s[0:1]
	s_waitcnt lgkmcnt(0)
	s_barrier
	s_and_saveexec_b64 s[0:1], s[44:45]
	s_cbranch_execz .LBB105_1059
; %bb.1058:
	v_mov_b32_e32 v11, 0
	ds_read_b32 v11, v11 offset:16124
	ds_read_b32 v13, v12
	s_waitcnt lgkmcnt(0)
	v_fmac_f32_e32 v15, v11, v13
.LBB105_1059:
	s_or_b64 exec, exec, s[0:1]
	s_barrier
	s_and_saveexec_b64 s[0:1], s[44:45]
; %bb.1060:
	ds_write_b32 v12, v15
; %bb.1061:
	s_or_b64 exec, exec, s[0:1]
	s_waitcnt lgkmcnt(0)
	s_barrier
	s_barrier
	s_and_saveexec_b64 s[0:1], s[18:19]
; %bb.1062:
	v_xor_b32_e32 v11, 0x80000000, v15
	ds_write_b32 v10, v11 offset:14576
; %bb.1063:
	s_or_b64 exec, exec, s[0:1]
	s_waitcnt lgkmcnt(0)
	s_barrier
	s_barrier
	s_and_saveexec_b64 s[0:1], s[56:57]
	s_cbranch_execz .LBB105_1065
; %bb.1064:
	v_lshlrev_b32_e32 v10, 8, v0
	ds_read_b32 v11, v10 offset:14576
	s_movk_i32 s8, 0xff04
	v_mad_i32_i24 v12, v0, s8, v10
	s_waitcnt lgkmcnt(0)
	ds_write_b32 v12, v11 offset:15584
	ds_read_b32 v11, v10 offset:14580
	s_waitcnt lgkmcnt(0)
	ds_write_b32 v12, v11 offset:15840
	ds_read_b32 v11, v10 offset:14584
	;; [unrolled: 3-line block ×3, first 2 shown]
	s_waitcnt lgkmcnt(0)
	ds_write_b32 v12, v10 offset:16352
.LBB105_1065:
	s_or_b64 exec, exec, s[0:1]
	s_waitcnt lgkmcnt(0)
	s_barrier
	s_and_saveexec_b64 s[0:1], vcc
	s_cbranch_execz .LBB105_1067
; %bb.1066:
	v_mov_b32_e32 v12, 0
	ds_read_b32 v10, v12 offset:15604
	v_mov_b32_e32 v11, 1.0
	ds_write_b32 v12, v11 offset:15600
	s_waitcnt lgkmcnt(1)
	ds_write_b64 v12, v[10:11] offset:15856
.LBB105_1067:
	s_or_b64 exec, exec, s[0:1]
	v_mov_b32_e32 v10, 0
	s_waitcnt lgkmcnt(0)
	s_barrier
	s_and_saveexec_b64 s[0:1], s[2:3]
	s_cbranch_execz .LBB105_1071
; %bb.1068:
	v_mul_u32_u24_e32 v5, 0x104, v5
	ds_read_b32 v11, v2 offset:15608
	ds_read_b32 v5, v5 offset:15600
	v_mov_b32_e32 v10, 0
	v_cmp_gt_u32_e64 s[8:9], 2, v4
	s_waitcnt lgkmcnt(0)
	v_fma_f32 v5, v11, v5, 0
	s_and_saveexec_b64 s[10:11], s[8:9]
	s_cbranch_execz .LBB105_1070
; %bb.1069:
	v_lshlrev_b32_e32 v4, 2, v0
	ds_read_b32 v4, v4 offset:15864
	ds_read_b32 v10, v10 offset:15604
	s_waitcnt lgkmcnt(0)
	v_fmac_f32_e32 v5, v4, v10
.LBB105_1070:
	s_or_b64 exec, exec, s[10:11]
	v_xor_b32_e32 v10, 0x80000000, v5
.LBB105_1071:
	s_or_b64 exec, exec, s[0:1]
	s_and_saveexec_b64 s[0:1], s[40:41]
; %bb.1072:
	ds_write_b32 v3, v10
; %bb.1073:
	s_or_b64 exec, exec, s[0:1]
	s_waitcnt lgkmcnt(0)
	s_barrier
	s_and_saveexec_b64 s[0:1], s[38:39]
	v_readlane_b32 s40, v33, 0
	v_readlane_b32 s16, v33, 2
	;; [unrolled: 1-line block ×3, first 2 shown]
	s_cbranch_execz .LBB105_1075
; %bb.1074:
	v_mov_b32_e32 v4, 0
	ds_read_b32 v4, v4 offset:16124
	ds_read_b32 v5, v3
	s_waitcnt lgkmcnt(0)
	v_fmac_f32_e32 v10, v4, v5
.LBB105_1075:
	s_or_b64 exec, exec, s[0:1]
	s_barrier
	s_and_saveexec_b64 s[0:1], s[38:39]
; %bb.1076:
	ds_write_b32 v3, v10
; %bb.1077:
	s_or_b64 exec, exec, s[0:1]
	s_waitcnt lgkmcnt(0)
	s_barrier
	s_barrier
	s_and_saveexec_b64 s[0:1], s[2:3]
; %bb.1078:
	v_xor_b32_e32 v3, 0x80000000, v10
	ds_write_b32 v2, v3 offset:15608
; %bb.1079:
	s_or_b64 exec, exec, s[0:1]
	s_waitcnt lgkmcnt(0)
	s_barrier
	s_barrier
	s_and_saveexec_b64 s[0:1], s[42:43]
	s_cbranch_execz .LBB105_1081
; %bb.1080:
	v_lshlrev_b32_e32 v2, 2, v0
	s_movk_i32 s2, 0xfc
	v_mad_u32_u24 v3, v0, s2, v2
	ds_read_b32 v4, v3 offset:15608
	s_waitcnt lgkmcnt(0)
	ds_write_b32 v2, v4 offset:16112
	ds_read_b32 v3, v3 offset:15612
	s_waitcnt lgkmcnt(0)
	ds_write_b32 v2, v3 offset:16368
.LBB105_1081:
	s_or_b64 exec, exec, s[0:1]
	s_waitcnt lgkmcnt(0)
	s_barrier
	s_and_saveexec_b64 s[0:1], vcc
	s_cbranch_execz .LBB105_1083
; %bb.1082:
	v_mov_b32_e32 v4, 0
	ds_read_b32 v2, v4 offset:16124
	v_mov_b32_e32 v3, 1.0
	ds_write_b32 v4, v3 offset:16120
	s_waitcnt lgkmcnt(1)
	ds_write_b64 v4, v[2:3] offset:16376
.LBB105_1083:
	s_or_b64 exec, exec, s[0:1]
.LBB105_1084:
	s_lshl_b64 s[0:1], s[24:25], 2
	s_add_u32 s20, s36, s0
	v_cmp_le_i32_e32 vcc, s90, v0
	s_addc_u32 s21, s37, s1
	s_and_b64 s[14:15], vcc, s[22:23]
	v_cmp_eq_u32_e64 s[2:3], 0, v1
	s_xor_b64 s[0:1], s[14:15], -1
	s_and_b64 s[8:9], s[2:3], s[0:1]
	v_mov_b32_e32 v11, 0
	v_lshl_add_u32 v2, s33, 6, v0
	s_waitcnt lgkmcnt(0)
	s_barrier
	s_and_saveexec_b64 s[0:1], s[8:9]
	s_cbranch_execz .LBB105_1086
; %bb.1085:
	v_ashrrev_i32_e32 v5, 31, v2
	v_mul_lo_u32 v10, s27, v2
	v_mad_u64_u32 v[3:4], s[8:9], s26, v2, 0
	v_mul_lo_u32 v5, s26, v5
	v_add3_u32 v4, v4, v5, v10
	v_lshlrev_b64 v[3:4], 2, v[3:4]
	v_mov_b32_e32 v5, s21
	v_add_co_u32_e32 v3, vcc, s20, v3
	v_addc_co_u32_e32 v4, vcc, v5, v4, vcc
	flat_load_dword v3, v[3:4]
	s_waitcnt vmcnt(0) lgkmcnt(0)
	v_mul_f32_e64 v11, v3, -s16
.LBB105_1086:
	s_or_b64 exec, exec, s[0:1]
	s_load_dwordx2 s[0:1], s[4:5], 0x50
	s_and_b32 s4, 0xffff, s93
	v_mad_u32_u24 v10, v1, s4, v0
	s_cmp_lt_i32 s6, 1
	v_cmp_eq_u32_e64 s[4:5], 0, v10
	s_cbranch_scc1 .LBB105_1112
; %bb.1087:
	v_ashrrev_i32_e32 v5, 31, v2
	v_mul_lo_u32 v12, s35, v2
	v_mad_u64_u32 v[3:4], s[8:9], s34, v2, 0
	v_mul_lo_u32 v5, s34, v5
	s_lshl_b64 s[8:9], s[28:29], 2
	s_waitcnt lgkmcnt(0)
	s_add_u32 s16, s0, s8
	s_addc_u32 s17, s1, s9
	v_add3_u32 v4, v4, v5, v12
	v_cmp_gt_i32_e64 s[8:9], s30, v2
	v_lshlrev_b64 v[2:3], 2, v[3:4]
	v_mov_b32_e32 v5, 0x5000
	v_mov_b32_e32 v4, s92
	v_add_co_u32_e32 v14, vcc, s91, v2
	s_mov_b32 s24, 0
	v_cmp_gt_u32_e64 s[12:13], 64, v10
	v_lshl_add_u32 v12, v10, 2, v5
	v_lshl_or_b32 v13, v1, 2, v5
	s_add_i32 s25, s33, 1
	v_addc_co_u32_e32 v15, vcc, v4, v3, vcc
	v_mov_b32_e32 v17, -1
	v_mov_b32_e32 v16, 0
	s_branch .LBB105_1090
.LBB105_1088:                           ;   in Loop: Header=BB105_1090 Depth=1
	ds_read_b32 v2, v13 offset:192
	s_waitcnt vmcnt(0) lgkmcnt(0)
	v_fmac_f32_e32 v11, v4, v2
.LBB105_1089:                           ;   in Loop: Header=BB105_1090 Depth=1
	s_or_b64 exec, exec, s[18:19]
	s_add_i32 s24, s24, 1
	s_cmp_eq_u32 s24, s6
	s_cbranch_scc1 .LBB105_1112
.LBB105_1090:                           ; =>This Loop Header: Depth=1
                                        ;     Child Loop BB105_1092 Depth 2
	v_cmp_gt_i32_e32 vcc, s24, v17
	s_and_b64 s[18:19], s[4:5], vcc
	s_and_saveexec_b64 s[10:11], s[18:19]
	s_cbranch_execz .LBB105_1093
; %bb.1091:                             ;   in Loop: Header=BB105_1090 Depth=1
	global_load_dword v17, v16, s[16:17]
	s_waitcnt vmcnt(0)
	v_cmp_le_i32_e32 vcc, s24, v17
	s_cbranch_vccnz .LBB105_1093
.LBB105_1092:                           ;   Parent Loop BB105_1090 Depth=1
                                        ; =>  This Inner Loop Header: Depth=2
	buffer_wbinvl1_vol
	global_load_dword v17, v16, s[16:17]
	s_waitcnt vmcnt(0)
	v_cmp_gt_i32_e32 vcc, s24, v17
	s_cbranch_vccnz .LBB105_1092
.LBB105_1093:                           ;   in Loop: Header=BB105_1090 Depth=1
	s_or_b64 exec, exec, s[10:11]
	s_sub_i32 s34, s7, s24
	s_lshl_b32 s35, s34, 6
	buffer_wbinvl1_vol
	s_barrier
	s_and_saveexec_b64 s[10:11], s[12:13]
	s_cbranch_execz .LBB105_1097
; %bb.1094:                             ;   in Loop: Header=BB105_1090 Depth=1
	s_ashr_i32 s18, s35, 31
	v_mov_b32_e32 v3, s18
	v_or_b32_e32 v2, s35, v10
	v_cmp_gt_i64_e32 vcc, s[30:31], v[2:3]
	v_mov_b32_e32 v4, 0
	s_and_saveexec_b64 s[18:19], vcc
	s_cbranch_execz .LBB105_1096
; %bb.1095:                             ;   in Loop: Header=BB105_1090 Depth=1
	v_mul_lo_u32 v4, v3, s26
	v_mul_lo_u32 v5, v2, s27
	v_mad_u64_u32 v[2:3], s[36:37], v2, s26, 0
	v_add3_u32 v3, v3, v5, v4
	v_lshlrev_b64 v[2:3], 2, v[2:3]
	v_mov_b32_e32 v4, s21
	v_add_co_u32_e32 v2, vcc, s20, v2
	v_addc_co_u32_e32 v3, vcc, v4, v3, vcc
	flat_load_dword v4, v[2:3]
.LBB105_1096:                           ;   in Loop: Header=BB105_1090 Depth=1
	s_or_b64 exec, exec, s[18:19]
	s_waitcnt vmcnt(0) lgkmcnt(0)
	ds_write_b32 v12, v4
.LBB105_1097:                           ;   in Loop: Header=BB105_1090 Depth=1
	s_or_b64 exec, exec, s[10:11]
	v_add_u32_e32 v4, s35, v1
	v_ashrrev_i32_e32 v5, 31, v4
	v_lshlrev_b64 v[2:3], 2, v[4:5]
	s_cmp_lg_u32 s34, s25
	v_add_co_u32_e32 v2, vcc, v14, v2
	s_cselect_b64 s[10:11], -1, 0
	v_addc_co_u32_e32 v3, vcc, v15, v3, vcc
	v_cmp_gt_i32_e32 vcc, s30, v4
	v_cndmask_b32_e64 v5, 0, 1, s[10:11]
	s_and_b64 s[34:35], vcc, s[8:9]
	v_cmp_ne_u32_e64 s[10:11], 1, v5
	s_waitcnt lgkmcnt(0)
	s_barrier
	s_and_saveexec_b64 s[18:19], s[34:35]
	s_cbranch_execz .LBB105_1101
; %bb.1098:                             ;   in Loop: Header=BB105_1090 Depth=1
	s_and_b64 vcc, exec, s[10:11]
	v_mov_b32_e32 v5, v7
	s_cbranch_vccnz .LBB105_1100
; %bb.1099:                             ;   in Loop: Header=BB105_1090 Depth=1
	flat_load_dword v5, v[2:3]
.LBB105_1100:                           ;   in Loop: Header=BB105_1090 Depth=1
	ds_read_b32 v18, v13
	s_waitcnt vmcnt(0) lgkmcnt(0)
	v_fmac_f32_e32 v11, v5, v18
.LBB105_1101:                           ;   in Loop: Header=BB105_1090 Depth=1
	s_or_b64 exec, exec, s[18:19]
	v_add_u32_e32 v5, 16, v4
	v_cmp_gt_i32_e32 vcc, s30, v5
	s_and_b64 s[34:35], vcc, s[8:9]
	s_and_saveexec_b64 s[18:19], s[34:35]
	s_cbranch_execz .LBB105_1105
; %bb.1102:                             ;   in Loop: Header=BB105_1090 Depth=1
	s_and_b64 vcc, exec, s[10:11]
	v_mov_b32_e32 v5, v6
	s_cbranch_vccnz .LBB105_1104
; %bb.1103:                             ;   in Loop: Header=BB105_1090 Depth=1
	flat_load_dword v5, v[2:3] offset:64
.LBB105_1104:                           ;   in Loop: Header=BB105_1090 Depth=1
	ds_read_b32 v18, v13 offset:64
	s_waitcnt vmcnt(0) lgkmcnt(0)
	v_fmac_f32_e32 v11, v5, v18
.LBB105_1105:                           ;   in Loop: Header=BB105_1090 Depth=1
	s_or_b64 exec, exec, s[18:19]
	v_add_u32_e32 v5, 32, v4
	v_cmp_gt_i32_e32 vcc, s30, v5
	s_and_b64 s[34:35], vcc, s[8:9]
	s_and_saveexec_b64 s[18:19], s[34:35]
	s_cbranch_execz .LBB105_1109
; %bb.1106:                             ;   in Loop: Header=BB105_1090 Depth=1
	s_and_b64 vcc, exec, s[10:11]
	v_mov_b32_e32 v5, v9
	s_cbranch_vccnz .LBB105_1108
; %bb.1107:                             ;   in Loop: Header=BB105_1090 Depth=1
	flat_load_dword v5, v[2:3] offset:128
.LBB105_1108:                           ;   in Loop: Header=BB105_1090 Depth=1
	ds_read_b32 v18, v13 offset:128
	s_waitcnt vmcnt(0) lgkmcnt(0)
	v_fmac_f32_e32 v11, v5, v18
.LBB105_1109:                           ;   in Loop: Header=BB105_1090 Depth=1
	s_or_b64 exec, exec, s[18:19]
	v_add_u32_e32 v4, 48, v4
	v_cmp_gt_i32_e32 vcc, s30, v4
	s_and_b64 s[34:35], vcc, s[8:9]
	s_and_saveexec_b64 s[18:19], s[34:35]
	s_cbranch_execz .LBB105_1089
; %bb.1110:                             ;   in Loop: Header=BB105_1090 Depth=1
	s_and_b64 vcc, exec, s[10:11]
	v_mov_b32_e32 v4, v8
	s_cbranch_vccnz .LBB105_1088
; %bb.1111:                             ;   in Loop: Header=BB105_1090 Depth=1
	flat_load_dword v4, v[2:3] offset:192
	s_branch .LBB105_1088
.LBB105_1112:
	v_lshl_add_u32 v2, v1, 6, v0
	s_xor_b64 s[4:5], s[22:23], -1
	v_lshlrev_b32_e32 v2, 2, v2
	ds_write_b32 v2, v11 offset:16384
	s_waitcnt lgkmcnt(0)
	s_barrier
	s_and_saveexec_b64 s[6:7], s[2:3]
	s_cbranch_execz .LBB105_1114
; %bb.1113:
	v_lshlrev_b32_e32 v9, 2, v0
	ds_read2st64_b32 v[3:4], v9 offset0:65 offset1:66
	ds_read2st64_b32 v[5:6], v9 offset0:67 offset1:68
	;; [unrolled: 1-line block ×5, first 2 shown]
	s_waitcnt lgkmcnt(4)
	v_add_f32_e32 v3, v11, v3
	v_add_f32_e32 v3, v3, v4
	s_waitcnt lgkmcnt(3)
	v_add_f32_e32 v3, v3, v5
	v_add_f32_e32 v3, v3, v6
	;; [unrolled: 3-line block ×4, first 2 shown]
	ds_read2st64_b32 v[3:4], v9 offset0:75 offset1:76
	ds_read2st64_b32 v[5:6], v9 offset0:77 offset1:78
	ds_read_b32 v8, v9 offset:20224
	s_waitcnt lgkmcnt(3)
	v_add_f32_e32 v7, v7, v14
	v_add_f32_e32 v7, v7, v15
	s_waitcnt lgkmcnt(2)
	v_add_f32_e32 v3, v7, v3
	v_add_f32_e32 v3, v3, v4
	;; [unrolled: 3-line block ×3, first 2 shown]
	s_waitcnt lgkmcnt(0)
	v_add_f32_e32 v3, v3, v8
	v_cndmask_b32_e64 v11, -v3, 0, s[14:15]
.LBB105_1114:
	s_or_b64 exec, exec, s[6:7]
	s_and_b64 vcc, exec, s[40:41]
	s_cbranch_vccnz .LBB105_1128
; %bb.1115:
	v_mov_b32_e32 v3, 0x5000
	v_lshl_or_b32 v4, v1, 2, v3
	s_and_saveexec_b64 s[6:7], s[2:3]
; %bb.1116:
	v_lshl_add_u32 v3, v0, 2, v4
	ds_write_b32 v3, v11
; %bb.1117:
	s_or_b64 exec, exec, s[6:7]
	v_cmp_le_u32_e32 vcc, v0, v1
	v_mov_b32_e32 v3, 0
	s_waitcnt lgkmcnt(0)
	s_barrier
	s_and_saveexec_b64 s[6:7], vcc
	s_cbranch_execz .LBB105_1119
; %bb.1118:
	ds_read_b32 v3, v2
	ds_read_b32 v5, v4
	s_waitcnt lgkmcnt(0)
	v_fma_f32 v3, v3, v5, 0
.LBB105_1119:
	s_or_b64 exec, exec, s[6:7]
	v_add_u32_e32 v5, 16, v1
	v_cmp_le_u32_e32 vcc, v0, v5
	s_and_saveexec_b64 s[6:7], vcc
	s_cbranch_execz .LBB105_1121
; %bb.1120:
	ds_read_b32 v5, v2 offset:4096
	ds_read_b32 v6, v4 offset:64
	s_waitcnt lgkmcnt(0)
	v_fmac_f32_e32 v3, v5, v6
.LBB105_1121:
	s_or_b64 exec, exec, s[6:7]
	v_add_u32_e32 v5, 32, v1
	v_cmp_le_u32_e32 vcc, v0, v5
	s_and_saveexec_b64 s[6:7], vcc
	s_cbranch_execz .LBB105_1123
; %bb.1122:
	ds_read_b32 v5, v2 offset:8192
	ds_read_b32 v6, v4 offset:128
	s_waitcnt lgkmcnt(0)
	v_fmac_f32_e32 v3, v5, v6
.LBB105_1123:
	s_or_b64 exec, exec, s[6:7]
	v_add_u32_e32 v1, 48, v1
	v_add_u32_e32 v5, 0x4000, v2
	v_cmp_le_u32_e32 vcc, v0, v1
	s_and_saveexec_b64 s[6:7], vcc
	s_cbranch_execz .LBB105_1125
; %bb.1124:
	ds_read_b32 v1, v2 offset:12288
	ds_read_b32 v2, v4 offset:192
	s_waitcnt lgkmcnt(0)
	v_fmac_f32_e32 v3, v1, v2
.LBB105_1125:
	s_or_b64 exec, exec, s[6:7]
	s_mov_b64 s[8:9], 0
	s_mov_b64 s[6:7], 0
	ds_write_b32 v5, v3
	s_waitcnt lgkmcnt(0)
	s_barrier
                                        ; implicit-def: $vgpr1
	s_and_saveexec_b64 s[10:11], s[2:3]
	s_cbranch_execz .LBB105_1166
; %bb.1126:
	v_lshlrev_b32_e32 v12, 2, v0
	ds_read2st64_b32 v[1:2], v12 offset0:65 offset1:66
	ds_read2st64_b32 v[4:5], v12 offset0:67 offset1:68
	;; [unrolled: 1-line block ×4, first 2 shown]
	s_mov_b64 s[6:7], exec
	s_waitcnt lgkmcnt(3)
	v_add_f32_e32 v1, v3, v1
	v_add_f32_e32 v1, v2, v1
	s_waitcnt lgkmcnt(2)
	v_add_f32_e32 v1, v4, v1
	v_add_f32_e32 v1, v5, v1
	;; [unrolled: 3-line block ×3, first 2 shown]
	s_waitcnt lgkmcnt(0)
	v_add_f32_e32 v3, v8, v1
	ds_read2st64_b32 v[1:2], v12 offset0:73 offset1:74
	v_add_f32_e32 v7, v9, v3
	ds_read2st64_b32 v[3:4], v12 offset0:75 offset1:76
	ds_read2st64_b32 v[5:6], v12 offset0:77 offset1:78
	ds_read_b32 v8, v12 offset:20224
	s_waitcnt lgkmcnt(3)
	v_add_f32_e32 v1, v1, v7
	v_add_f32_e32 v1, v2, v1
	s_waitcnt lgkmcnt(2)
	v_add_f32_e32 v1, v3, v1
	v_add_f32_e32 v1, v4, v1
	;; [unrolled: 3-line block ×3, first 2 shown]
	s_waitcnt lgkmcnt(0)
	v_add_f32_e32 v1, v8, v1
	s_or_b64 exec, exec, s[10:11]
	s_and_b64 vcc, exec, s[8:9]
	s_cbranch_vccnz .LBB105_1129
	s_branch .LBB105_1167
.LBB105_1127:
	v_mad_u64_u32 v[11:12], s[2:3], s34, v5, 0
	s_or_b64 s[10:11], s[10:11], exec
	v_mov_b32_e32 v4, v12
	v_mad_u64_u32 v[4:5], s[2:3], s35, v5, v[4:5]
	v_mov_b32_e32 v12, v4
	v_lshlrev_b64 v[4:5], 2, v[11:12]
	v_add_co_u32_e32 v2, vcc, v2, v4
	v_addc_co_u32_e32 v3, vcc, v3, v5, vcc
	flat_load_dword v2, v[2:3]
	s_waitcnt vmcnt(0) lgkmcnt(0)
	v_xor_b32_e32 v4, 0x80000000, v2
	s_or_b64 exec, exec, s[8:9]
	s_xor_b64 s[0:1], s[0:1], -1
	s_and_saveexec_b64 s[2:3], s[10:11]
	s_cbranch_execnz .LBB105_45
	s_branch .LBB105_46
.LBB105_1128:
	s_mov_b64 s[6:7], 0
                                        ; implicit-def: $vgpr1
	s_cbranch_execz .LBB105_1167
.LBB105_1129:
	v_mov_b32_e32 v1, 0x3c00
	v_lshl_add_u32 v1, v0, 2, v1
	v_mov_b32_e32 v3, 63
	v_mov_b32_e32 v2, 0
	s_branch .LBB105_1131
.LBB105_1130:                           ;   in Loop: Header=BB105_1131 Depth=1
	s_or_b64 exec, exec, s[8:9]
	v_subrev_co_u32_e32 v3, vcc, 1, v3
	s_andn2_b64 vcc, exec, vcc
	v_add_u32_e32 v1, 0xfffffc00, v1
	s_barrier
	s_cbranch_vccz .LBB105_1147
.LBB105_1131:                           ; =>This Inner Loop Header: Depth=1
	v_cmp_eq_u32_e32 vcc, v0, v3
	s_and_b64 s[10:11], s[2:3], vcc
	s_and_saveexec_b64 s[8:9], s[10:11]
; %bb.1132:                             ;   in Loop: Header=BB105_1131 Depth=1
	ds_write_b32 v2, v11 offset:20736
; %bb.1133:                             ;   in Loop: Header=BB105_1131 Depth=1
	s_or_b64 exec, exec, s[8:9]
	v_cmp_lt_u32_e32 vcc, v0, v3
	s_and_b64 s[10:11], s[2:3], vcc
	s_waitcnt lgkmcnt(0)
	s_barrier
	s_and_saveexec_b64 s[8:9], s[10:11]
	s_cbranch_execz .LBB105_1135
; %bb.1134:                             ;   in Loop: Header=BB105_1131 Depth=1
	ds_read_b32 v4, v1 offset:768
	ds_read_b32 v5, v2 offset:20736
	s_waitcnt lgkmcnt(0)
	v_fmac_f32_e32 v11, v4, v5
.LBB105_1135:                           ;   in Loop: Header=BB105_1131 Depth=1
	s_or_b64 exec, exec, s[8:9]
	v_add_u32_e32 v3, -1, v3
	v_cmp_eq_u32_e32 vcc, v0, v3
	s_and_b64 s[10:11], s[2:3], vcc
	s_barrier
	s_and_saveexec_b64 s[8:9], s[10:11]
; %bb.1136:                             ;   in Loop: Header=BB105_1131 Depth=1
	ds_write_b32 v2, v11 offset:20736
; %bb.1137:                             ;   in Loop: Header=BB105_1131 Depth=1
	s_or_b64 exec, exec, s[8:9]
	v_cmp_lt_u32_e32 vcc, v0, v3
	s_and_b64 s[10:11], s[2:3], vcc
	s_waitcnt lgkmcnt(0)
	s_barrier
	s_and_saveexec_b64 s[8:9], s[10:11]
	s_cbranch_execz .LBB105_1139
; %bb.1138:                             ;   in Loop: Header=BB105_1131 Depth=1
	ds_read_b32 v4, v1 offset:512
	ds_read_b32 v5, v2 offset:20736
	s_waitcnt lgkmcnt(0)
	v_fmac_f32_e32 v11, v4, v5
.LBB105_1139:                           ;   in Loop: Header=BB105_1131 Depth=1
	s_or_b64 exec, exec, s[8:9]
	v_add_u32_e32 v3, -1, v3
	v_cmp_eq_u32_e32 vcc, v0, v3
	s_and_b64 s[10:11], s[2:3], vcc
	s_barrier
	;; [unrolled: 22-line block ×3, first 2 shown]
	s_and_saveexec_b64 s[8:9], s[10:11]
; %bb.1144:                             ;   in Loop: Header=BB105_1131 Depth=1
	ds_write_b32 v2, v11 offset:20736
; %bb.1145:                             ;   in Loop: Header=BB105_1131 Depth=1
	s_or_b64 exec, exec, s[8:9]
	v_cmp_lt_u32_e32 vcc, v0, v3
	s_and_b64 s[10:11], s[2:3], vcc
	s_waitcnt lgkmcnt(0)
	s_barrier
	s_and_saveexec_b64 s[8:9], s[10:11]
	s_cbranch_execz .LBB105_1130
; %bb.1146:                             ;   in Loop: Header=BB105_1131 Depth=1
	ds_read_b32 v4, v1
	ds_read_b32 v5, v2 offset:20736
	s_waitcnt lgkmcnt(0)
	v_fmac_f32_e32 v11, v4, v5
	s_branch .LBB105_1130
.LBB105_1147:
	s_mov_b64 s[8:9], -1
	s_and_b64 vcc, exec, s[4:5]
	s_cbranch_vccnz .LBB105_1168
; %bb.1148:
	s_andn2_b64 vcc, exec, s[8:9]
	s_cbranch_vccz .LBB105_1169
.LBB105_1149:
	s_and_saveexec_b64 s[2:3], s[6:7]
	s_cbranch_execz .LBB105_1151
.LBB105_1150:
	s_lshl_b32 s4, s33, 6
	s_ashr_i32 s5, s4, 31
	v_mov_b32_e32 v0, s5
	v_add_co_u32_e32 v1, vcc, s4, v10
	v_addc_co_u32_e32 v0, vcc, 0, v0, vcc
	v_mul_lo_u32 v2, v0, s26
	v_mul_lo_u32 v3, v1, s27
	v_mad_u64_u32 v[0:1], s[4:5], v1, s26, 0
	v_add3_u32 v1, v1, v3, v2
	v_lshlrev_b64 v[0:1], 2, v[0:1]
	v_mov_b32_e32 v2, s21
	v_add_co_u32_e32 v0, vcc, s20, v0
	v_addc_co_u32_e32 v1, vcc, v2, v1, vcc
	flat_store_dword v[0:1], v11
.LBB105_1151:
	s_or_b64 exec, exec, s[2:3]
	v_cmp_eq_u32_e32 vcc, 0, v10
	s_waitcnt vmcnt(0) lgkmcnt(0)
	buffer_wbinvl1_vol
	s_barrier
	s_and_saveexec_b64 s[2:3], vcc
	s_cbranch_execz .LBB105_1153
; %bb.1152:
	s_lshl_b64 s[4:5], s[28:29], 2
	s_add_u32 s0, s0, s4
	s_addc_u32 s1, s1, s5
	v_mov_b32_e32 v0, 0
	global_load_dword v1, v0, s[0:1]
	s_waitcnt vmcnt(0)
	v_add_u32_e32 v1, 1, v1
	global_store_dword v0, v1, s[0:1]
.LBB105_1153:
	s_or_b64 exec, exec, s[2:3]
	s_waitcnt vmcnt(0)
	buffer_wbinvl1_vol
	s_endpgm
.LBB105_1154:
	v_or_b32_e32 v10, v1, v0
	v_cmp_gt_u32_e32 vcc, 64, v10
	s_and_b64 s[10:11], vcc, exec
	s_andn2_saveexec_b64 s[8:9], s[8:9]
	s_cbranch_execz .LBB105_14
.LBB105_1155:
	v_mad_u64_u32 v[10:11], s[12:13], s34, v1, 0
	s_or_b64 s[10:11], s[10:11], exec
	v_mov_b32_e32 v5, v11
	v_mad_u64_u32 v[11:12], s[12:13], s35, v1, v[5:6]
	v_lshlrev_b64 v[10:11], 2, v[10:11]
	v_add_co_u32_e32 v10, vcc, v2, v10
	v_addc_co_u32_e32 v11, vcc, v3, v11, vcc
	flat_load_dword v5, v[10:11]
	s_waitcnt vmcnt(0) lgkmcnt(0)
	v_xor_b32_e32 v5, 0x80000000, v5
	s_or_b64 exec, exec, s[8:9]
	s_and_saveexec_b64 s[8:9], s[10:11]
	s_cbranch_execnz .LBB105_15
	s_branch .LBB105_16
.LBB105_1156:
	v_or_b32_e32 v10, v5, v0
	v_cmp_gt_u32_e32 vcc, 64, v10
	s_and_b64 s[2:3], vcc, exec
	s_or_saveexec_b64 s[8:9], s[8:9]
	v_mov_b32_e32 v10, 0
	s_xor_b64 exec, exec, s[8:9]
	s_cbranch_execz .LBB105_18
.LBB105_1157:
	v_mad_u64_u32 v[10:11], s[10:11], s34, v5, 0
	s_or_b64 s[2:3], s[2:3], exec
	v_mad_u64_u32 v[11:12], s[10:11], s35, v5, v[11:12]
	v_lshlrev_b64 v[10:11], 2, v[10:11]
	v_add_co_u32_e32 v10, vcc, v2, v10
	v_addc_co_u32_e32 v11, vcc, v3, v11, vcc
	flat_load_dword v10, v[10:11]
	s_waitcnt vmcnt(0) lgkmcnt(0)
	v_xor_b32_e32 v10, 0x80000000, v10
	s_or_b64 exec, exec, s[8:9]
	s_and_saveexec_b64 s[8:9], s[2:3]
	s_cbranch_execnz .LBB105_19
	s_branch .LBB105_20
.LBB105_1158:
	v_or_b32_e32 v10, v5, v0
	v_cmp_gt_u32_e32 vcc, 64, v10
	s_and_b64 s[2:3], vcc, exec
	s_or_saveexec_b64 s[8:9], s[8:9]
	v_mov_b32_e32 v10, 0
	s_xor_b64 exec, exec, s[8:9]
	s_cbranch_execz .LBB105_22
.LBB105_1159:
	v_mad_u64_u32 v[10:11], s[10:11], s34, v5, 0
	s_or_b64 s[2:3], s[2:3], exec
	v_mad_u64_u32 v[11:12], s[10:11], s35, v5, v[11:12]
	v_lshlrev_b64 v[10:11], 2, v[10:11]
	v_add_co_u32_e32 v10, vcc, v2, v10
	v_addc_co_u32_e32 v11, vcc, v3, v11, vcc
	flat_load_dword v10, v[10:11]
	s_waitcnt vmcnt(0) lgkmcnt(0)
	v_xor_b32_e32 v10, 0x80000000, v10
	s_or_b64 exec, exec, s[8:9]
	s_and_saveexec_b64 s[8:9], s[2:3]
	s_cbranch_execnz .LBB105_23
	s_branch .LBB105_24
.LBB105_1160:
	v_or_b32_e32 v10, v1, v0
	v_cmp_gt_u32_e64 s[2:3], 64, v10
	s_and_b64 s[8:9], s[2:3], exec
	s_andn2_saveexec_b64 s[12:13], s[12:13]
	s_cbranch_execz .LBB105_30
.LBB105_1161:
	v_mad_u64_u32 v[10:11], s[2:3], s34, v1, 0
	s_or_b64 s[8:9], s[8:9], exec
	v_mov_b32_e32 v5, v11
	v_mad_u64_u32 v[11:12], s[2:3], s35, v1, v[5:6]
	v_lshlrev_b64 v[10:11], 2, v[10:11]
	v_add_co_u32_e64 v10, s[2:3], v2, v10
	v_addc_co_u32_e64 v11, s[2:3], v3, v11, s[2:3]
	flat_load_dword v5, v[10:11]
	s_waitcnt vmcnt(0) lgkmcnt(0)
	v_xor_b32_e32 v5, 0x80000000, v5
	s_or_b64 exec, exec, s[12:13]
	s_and_saveexec_b64 s[2:3], s[8:9]
	s_cbranch_execnz .LBB105_31
	s_branch .LBB105_32
.LBB105_1162:
	v_or_b32_e32 v10, v5, v0
	v_cmp_gt_u32_e64 s[2:3], 64, v10
	s_and_b64 s[8:9], s[2:3], exec
	s_or_saveexec_b64 s[12:13], s[12:13]
	v_mov_b32_e32 v10, 0
	s_xor_b64 exec, exec, s[12:13]
	s_cbranch_execz .LBB105_34
.LBB105_1163:
	v_mad_u64_u32 v[10:11], s[2:3], s34, v5, 0
	s_or_b64 s[8:9], s[8:9], exec
	v_mad_u64_u32 v[11:12], s[2:3], s35, v5, v[11:12]
	v_lshlrev_b64 v[10:11], 2, v[10:11]
	v_add_co_u32_e64 v10, s[2:3], v2, v10
	v_addc_co_u32_e64 v11, s[2:3], v3, v11, s[2:3]
	flat_load_dword v10, v[10:11]
	s_waitcnt vmcnt(0) lgkmcnt(0)
	v_xor_b32_e32 v10, 0x80000000, v10
	s_or_b64 exec, exec, s[12:13]
	s_and_saveexec_b64 s[2:3], s[8:9]
	s_cbranch_execnz .LBB105_35
	s_branch .LBB105_36
.LBB105_1164:
	v_or_b32_e32 v10, v5, v0
	v_cmp_gt_u32_e64 s[2:3], 64, v10
	s_and_b64 s[8:9], s[2:3], exec
	s_or_saveexec_b64 s[12:13], s[12:13]
	v_mov_b32_e32 v10, 0
	s_xor_b64 exec, exec, s[12:13]
	s_cbranch_execz .LBB105_38
.LBB105_1165:
	v_mad_u64_u32 v[10:11], s[2:3], s34, v5, 0
	s_or_b64 s[8:9], s[8:9], exec
	v_mad_u64_u32 v[11:12], s[2:3], s35, v5, v[11:12]
	v_lshlrev_b64 v[10:11], 2, v[10:11]
	v_add_co_u32_e64 v10, s[2:3], v2, v10
	v_addc_co_u32_e64 v11, s[2:3], v3, v11, s[2:3]
	flat_load_dword v10, v[10:11]
	s_waitcnt vmcnt(0) lgkmcnt(0)
	v_xor_b32_e32 v10, 0x80000000, v10
	s_or_b64 exec, exec, s[12:13]
	s_and_saveexec_b64 s[2:3], s[8:9]
	s_cbranch_execnz .LBB105_39
	s_branch .LBB105_40
.LBB105_1166:
	s_or_b64 exec, exec, s[10:11]
	s_and_b64 vcc, exec, s[8:9]
	s_cbranch_vccnz .LBB105_1129
.LBB105_1167:
	v_mov_b32_e32 v11, v1
	s_and_saveexec_b64 s[2:3], s[6:7]
	s_cbranch_execnz .LBB105_1150
	s_branch .LBB105_1151
.LBB105_1168:
	s_andn2_b64 s[4:5], s[6:7], exec
	s_and_b64 s[6:7], s[2:3], exec
	s_or_b64 s[6:7], s[4:5], s[6:7]
	s_cbranch_execnz .LBB105_1149
.LBB105_1169:
	v_cmp_gt_i32_e32 vcc, s90, v0
	s_and_b64 s[2:3], s[2:3], vcc
	s_andn2_b64 s[4:5], s[6:7], exec
	s_and_b64 s[2:3], s[2:3], exec
	s_or_b64 s[6:7], s[4:5], s[2:3]
	s_and_saveexec_b64 s[2:3], s[6:7]
	s_cbranch_execnz .LBB105_1150
	s_branch .LBB105_1151
.LBB105_1170:
	v_lshlrev_b32_e32 v16, 2, v14
	v_sub_u32_e32 v16, v15, v16
	v_lshl_add_u32 v16, v13, 2, v16
	ds_read_b32 v16, v16 offset:272
	ds_read_b32 v17, v15 offset:4
	s_waitcnt lgkmcnt(0)
	v_fmac_f32_e32 v12, v16, v17
	s_or_b64 exec, exec, s[14:15]
	v_cmp_gt_u32_e64 s[10:11], 8, v4
	s_and_saveexec_b64 s[14:15], s[10:11]
	s_cbranch_execz .LBB105_68
.LBB105_1171:
	ds_read_b32 v16, v10 offset:528
	ds_read_b32 v15, v15 offset:8
	s_waitcnt lgkmcnt(0)
	v_fmac_f32_e32 v12, v16, v15
	s_or_b64 exec, exec, s[14:15]
	v_cmp_gt_u32_e64 s[10:11], 4, v4
	s_and_saveexec_b64 s[14:15], s[10:11]
	s_cbranch_execnz .LBB105_69
	s_branch .LBB105_70
.LBB105_1172:
	v_lshlrev_b32_e32 v21, 2, v19
	v_sub_u32_e32 v21, v20, v21
	v_lshl_add_u32 v21, v18, 2, v21
	ds_read_b32 v21, v21 offset:288
	ds_read_b32 v22, v20 offset:4
	s_waitcnt lgkmcnt(0)
	v_fmac_f32_e32 v17, v21, v22
	s_or_b64 exec, exec, s[16:17]
	v_cmp_gt_u32_e64 s[14:15], 48, v4
	s_and_saveexec_b64 s[16:17], s[14:15]
	s_cbranch_execz .LBB105_110
.LBB105_1173:
	v_lshlrev_b32_e32 v21, 2, v19
	v_sub_u32_e32 v21, v20, v21
	v_lshl_add_u32 v21, v18, 2, v21
	ds_read_b32 v21, v21 offset:544
	ds_read_b32 v22, v20 offset:8
	s_waitcnt lgkmcnt(0)
	v_fmac_f32_e32 v17, v21, v22
	s_or_b64 exec, exec, s[16:17]
	v_cmp_gt_u32_e64 s[14:15], 40, v4
	s_and_saveexec_b64 s[16:17], s[14:15]
	s_cbranch_execz .LBB105_111
.LBB105_1174:
	v_lshlrev_b32_e32 v21, 2, v19
	v_sub_u32_e32 v21, v20, v21
	v_lshl_add_u32 v21, v18, 2, v21
	ds_read_b32 v21, v21 offset:800
	ds_read_b32 v22, v20 offset:12
	s_waitcnt lgkmcnt(0)
	v_fmac_f32_e32 v17, v21, v22
	s_or_b64 exec, exec, s[16:17]
	v_cmp_gt_u32_e64 s[14:15], 32, v4
	s_and_saveexec_b64 s[16:17], s[14:15]
	s_cbranch_execz .LBB105_112
.LBB105_1175:
	ds_read_b32 v21, v15 offset:1056
	ds_read_b32 v22, v20 offset:16
	s_waitcnt lgkmcnt(0)
	v_fmac_f32_e32 v17, v21, v22
	s_or_b64 exec, exec, s[16:17]
	v_cmp_gt_u32_e64 s[14:15], 24, v4
	s_and_saveexec_b64 s[16:17], s[14:15]
	s_cbranch_execz .LBB105_113
.LBB105_1176:
	v_lshlrev_b32_e32 v21, 2, v19
	v_sub_u32_e32 v21, v20, v21
	v_lshl_add_u32 v21, v18, 2, v21
	ds_read_b32 v21, v21 offset:1312
	ds_read_b32 v22, v20 offset:20
	s_waitcnt lgkmcnt(0)
	v_fmac_f32_e32 v17, v21, v22
	s_or_b64 exec, exec, s[16:17]
	v_cmp_gt_u32_e64 s[14:15], 16, v4
	s_and_saveexec_b64 s[16:17], s[14:15]
	s_cbranch_execz .LBB105_114
.LBB105_1177:
	ds_read_b32 v21, v15 offset:1568
	ds_read_b32 v20, v20 offset:24
	s_waitcnt lgkmcnt(0)
	v_fmac_f32_e32 v17, v21, v20
	s_or_b64 exec, exec, s[16:17]
	v_cmp_gt_u32_e64 s[14:15], 8, v4
	s_and_saveexec_b64 s[16:17], s[14:15]
	s_cbranch_execnz .LBB105_115
	s_branch .LBB105_116
.LBB105_1178:
	v_lshlrev_b32_e32 v22, 2, v14
	v_sub_u32_e32 v22, v21, v22
	v_lshl_add_u32 v22, v13, 2, v22
	ds_read_b32 v22, v22 offset:2352
	ds_read_b32 v23, v21 offset:2084
	s_waitcnt lgkmcnt(0)
	v_fmac_f32_e32 v20, v22, v23
	s_or_b64 exec, exec, s[14:15]
	v_cmp_gt_u32_e64 s[10:11], 8, v4
	s_and_saveexec_b64 s[14:15], s[10:11]
	s_cbranch_execz .LBB105_172
.LBB105_1179:
	ds_read_b32 v22, v10 offset:2608
	ds_read_b32 v21, v21 offset:2088
	s_waitcnt lgkmcnt(0)
	v_fmac_f32_e32 v20, v22, v21
	s_or_b64 exec, exec, s[14:15]
	v_cmp_gt_u32_e64 s[10:11], 4, v4
	s_and_saveexec_b64 s[14:15], s[10:11]
	s_cbranch_execnz .LBB105_173
	s_branch .LBB105_174
.LBB105_1180:
	v_lshlrev_b32_e32 v26, 2, v21
	v_lshl_add_u32 v26, v23, 2, v26
	ds_read_b32 v26, v26 offset:2880
	ds_read_b32 v27, v25 offset:44
	s_waitcnt lgkmcnt(0)
	v_fmac_f32_e32 v22, v26, v27
	s_or_b64 exec, exec, s[20:21]
	v_cmp_gt_u32_e64 s[16:17], 64, v4
	s_and_saveexec_b64 s[20:21], s[16:17]
	s_cbranch_execz .LBB105_234
.LBB105_1181:
	ds_read_b32 v26, v20 offset:3136
	ds_read_b32 v27, v25 offset:48
	s_waitcnt lgkmcnt(0)
	v_fmac_f32_e32 v22, v26, v27
	s_or_b64 exec, exec, s[20:21]
	v_cmp_gt_u32_e64 s[16:17], 48, v4
	s_and_saveexec_b64 s[20:21], s[16:17]
	s_cbranch_execz .LBB105_235
.LBB105_1182:
	v_lshlrev_b32_e32 v26, 2, v21
	v_lshl_add_u32 v26, v23, 2, v26
	ds_read_b32 v26, v26 offset:3392
	ds_read_b32 v27, v25 offset:52
	s_waitcnt lgkmcnt(0)
	v_fmac_f32_e32 v22, v26, v27
	s_or_b64 exec, exec, s[20:21]
	v_cmp_gt_u32_e64 s[16:17], 32, v4
	s_and_saveexec_b64 s[20:21], s[16:17]
	s_cbranch_execz .LBB105_236
.LBB105_1183:
	ds_read_b32 v26, v20 offset:3648
	ds_read_b32 v25, v25 offset:56
	s_waitcnt lgkmcnt(0)
	v_fmac_f32_e32 v22, v26, v25
	s_or_b64 exec, exec, s[20:21]
	v_cmp_gt_u32_e64 s[16:17], 16, v4
	s_and_saveexec_b64 s[20:21], s[16:17]
	s_cbranch_execnz .LBB105_237
	s_branch .LBB105_238
.LBB105_1184:
	v_lshlrev_b32_e32 v27, 2, v14
	v_sub_u32_e32 v27, v26, v27
	v_lshl_add_u32 v27, v13, 2, v27
	ds_read_b32 v27, v27 offset:4432
	ds_read_b32 v28, v26 offset:4164
	s_waitcnt lgkmcnt(0)
	v_fmac_f32_e32 v25, v27, v28
	s_or_b64 exec, exec, s[20:21]
	v_cmp_gt_u32_e64 s[14:15], 8, v4
	s_and_saveexec_b64 s[0:1], s[14:15]
	s_cbranch_execz .LBB105_326
.LBB105_1185:
	ds_read_b32 v27, v10 offset:4688
	ds_read_b32 v26, v26 offset:4168
	s_waitcnt lgkmcnt(0)
	v_fmac_f32_e32 v25, v27, v26
	s_or_b64 exec, exec, s[0:1]
	v_cmp_gt_u32_e64 s[14:15], 4, v4
	s_and_saveexec_b64 s[20:21], s[14:15]
	s_cbranch_execnz .LBB105_327
	s_branch .LBB105_328
.LBB105_1186:
	v_lshlrev_b32_e32 v27, 2, v19
	v_sub_u32_e32 v27, v26, v27
	v_lshl_add_u32 v27, v18, 2, v27
	ds_read_b32 v27, v27 offset:4448
	ds_read_b32 v28, v26 offset:4164
	s_waitcnt lgkmcnt(0)
	v_fmac_f32_e32 v25, v27, v28
	s_or_b64 exec, exec, s[20:21]
	v_cmp_gt_u32_e64 s[14:15], 48, v4
	s_and_saveexec_b64 s[20:21], s[14:15]
	s_cbranch_execz .LBB105_368
.LBB105_1187:
	v_lshlrev_b32_e32 v27, 2, v19
	v_sub_u32_e32 v27, v26, v27
	v_lshl_add_u32 v27, v18, 2, v27
	ds_read_b32 v27, v27 offset:4704
	ds_read_b32 v28, v26 offset:4168
	s_waitcnt lgkmcnt(0)
	v_fmac_f32_e32 v25, v27, v28
	s_or_b64 exec, exec, s[20:21]
	v_cmp_gt_u32_e64 s[14:15], 40, v4
	s_and_saveexec_b64 s[20:21], s[14:15]
	s_cbranch_execz .LBB105_369
.LBB105_1188:
	v_lshlrev_b32_e32 v27, 2, v19
	v_sub_u32_e32 v27, v26, v27
	v_lshl_add_u32 v27, v18, 2, v27
	ds_read_b32 v27, v27 offset:4960
	ds_read_b32 v28, v26 offset:4172
	s_waitcnt lgkmcnt(0)
	v_fmac_f32_e32 v25, v27, v28
	s_or_b64 exec, exec, s[20:21]
	v_cmp_gt_u32_e64 s[14:15], 32, v4
	s_and_saveexec_b64 s[0:1], s[14:15]
	s_cbranch_execz .LBB105_370
.LBB105_1189:
	ds_read_b32 v27, v15 offset:5216
	ds_read_b32 v28, v26 offset:4176
	s_waitcnt lgkmcnt(0)
	v_fmac_f32_e32 v25, v27, v28
	s_or_b64 exec, exec, s[0:1]
	v_cmp_gt_u32_e64 s[14:15], 24, v4
	s_and_saveexec_b64 s[20:21], s[14:15]
	s_cbranch_execz .LBB105_371
.LBB105_1190:
	v_lshlrev_b32_e32 v27, 2, v19
	v_sub_u32_e32 v27, v26, v27
	v_lshl_add_u32 v27, v18, 2, v27
	ds_read_b32 v27, v27 offset:5472
	ds_read_b32 v28, v26 offset:4180
	s_waitcnt lgkmcnt(0)
	v_fmac_f32_e32 v25, v27, v28
	s_or_b64 exec, exec, s[20:21]
	v_cmp_gt_u32_e64 s[14:15], 16, v4
	s_and_saveexec_b64 s[0:1], s[14:15]
	s_cbranch_execz .LBB105_372
.LBB105_1191:
	ds_read_b32 v27, v15 offset:5728
	ds_read_b32 v26, v26 offset:4184
	s_waitcnt lgkmcnt(0)
	v_fmac_f32_e32 v25, v27, v26
	s_or_b64 exec, exec, s[0:1]
	v_cmp_gt_u32_e64 s[14:15], 8, v4
	s_and_saveexec_b64 s[20:21], s[14:15]
	s_cbranch_execnz .LBB105_373
	s_branch .LBB105_374
.LBB105_1192:
	v_lshlrev_b32_e32 v27, 2, v14
	v_sub_u32_e32 v27, v26, v27
	v_lshl_add_u32 v27, v13, 2, v27
	ds_read_b32 v27, v27 offset:6512
	ds_read_b32 v28, v26 offset:6244
	s_waitcnt lgkmcnt(0)
	v_fmac_f32_e32 v25, v27, v28
	s_or_b64 exec, exec, s[20:21]
	v_cmp_gt_u32_e64 s[14:15], 8, v4
	s_and_saveexec_b64 s[0:1], s[14:15]
	s_cbranch_execz .LBB105_430
.LBB105_1193:
	ds_read_b32 v27, v10 offset:6768
	ds_read_b32 v26, v26 offset:6248
	s_waitcnt lgkmcnt(0)
	v_fmac_f32_e32 v25, v27, v26
	s_or_b64 exec, exec, s[0:1]
	v_cmp_gt_u32_e64 s[14:15], 4, v4
	s_and_saveexec_b64 s[20:21], s[14:15]
	s_cbranch_execnz .LBB105_431
	s_branch .LBB105_432
.LBB105_1194:
	ds_read_b32 v31, v25 offset:7552
	ds_read_b32 v32, v30 offset:116
	s_waitcnt lgkmcnt(0)
	v_fmac_f32_e32 v28, v31, v32
	s_or_b64 exec, exec, s[0:1]
	v_cmp_gt_u32_e64 s[20:21], 64, v4
	s_and_saveexec_b64 s[0:1], s[20:21]
	s_cbranch_execz .LBB105_528
.LBB105_1195:
	ds_read_b32 v31, v25 offset:7808
	ds_read_b32 v30, v30 offset:120
	s_waitcnt lgkmcnt(0)
	v_fmac_f32_e32 v28, v31, v30
	s_or_b64 exec, exec, s[0:1]
	v_cmp_gt_u32_e64 s[20:21], 32, v4
	s_and_saveexec_b64 s[0:1], s[20:21]
	s_cbranch_execnz .LBB105_529
	s_branch .LBB105_530
.LBB105_1196:
	v_lshlrev_b32_e32 v27, 2, v14
	v_sub_u32_e32 v27, v26, v27
	v_lshl_add_u32 v27, v13, 2, v27
	ds_read_b32 v27, v27 offset:8592
	ds_read_b32 v28, v26 offset:8324
	s_waitcnt lgkmcnt(0)
	v_fmac_f32_e32 v25, v27, v28
	s_or_b64 exec, exec, s[16:17]
	v_cmp_gt_u32_e64 s[12:13], 8, v4
	s_and_saveexec_b64 s[0:1], s[12:13]
	s_cbranch_execz .LBB105_682
.LBB105_1197:
	ds_read_b32 v27, v10 offset:8848
	ds_read_b32 v26, v26 offset:8328
	s_waitcnt lgkmcnt(0)
	v_fmac_f32_e32 v25, v27, v26
	s_or_b64 exec, exec, s[0:1]
	v_cmp_gt_u32_e64 s[12:13], 4, v4
	s_and_saveexec_b64 s[0:1], s[12:13]
	s_cbranch_execnz .LBB105_683
	s_branch .LBB105_684
.LBB105_1198:
	v_lshlrev_b32_e32 v27, 2, v19
	v_sub_u32_e32 v27, v26, v27
	v_lshl_add_u32 v27, v18, 2, v27
	ds_read_b32 v27, v27 offset:8608
	ds_read_b32 v28, v26 offset:8324
	s_waitcnt lgkmcnt(0)
	v_fmac_f32_e32 v25, v27, v28
	s_or_b64 exec, exec, s[16:17]
	v_cmp_gt_u32_e64 s[12:13], 48, v4
	s_and_saveexec_b64 s[0:1], s[12:13]
	s_cbranch_execz .LBB105_724
.LBB105_1199:
	v_lshlrev_b32_e32 v27, 2, v19
	v_sub_u32_e32 v27, v26, v27
	v_lshl_add_u32 v27, v18, 2, v27
	ds_read_b32 v27, v27 offset:8864
	ds_read_b32 v28, v26 offset:8328
	s_waitcnt lgkmcnt(0)
	v_fmac_f32_e32 v25, v27, v28
	s_or_b64 exec, exec, s[0:1]
	v_cmp_gt_u32_e64 s[12:13], 40, v4
	s_and_saveexec_b64 s[0:1], s[12:13]
	s_cbranch_execz .LBB105_725
.LBB105_1200:
	v_lshlrev_b32_e32 v27, 2, v19
	v_sub_u32_e32 v27, v26, v27
	v_lshl_add_u32 v27, v18, 2, v27
	ds_read_b32 v27, v27 offset:9120
	ds_read_b32 v28, v26 offset:8332
	s_waitcnt lgkmcnt(0)
	v_fmac_f32_e32 v25, v27, v28
	s_or_b64 exec, exec, s[0:1]
	v_cmp_gt_u32_e64 s[12:13], 32, v4
	s_and_saveexec_b64 s[0:1], s[12:13]
	s_cbranch_execz .LBB105_726
.LBB105_1201:
	ds_read_b32 v27, v15 offset:9376
	ds_read_b32 v28, v26 offset:8336
	s_waitcnt lgkmcnt(0)
	v_fmac_f32_e32 v25, v27, v28
	s_or_b64 exec, exec, s[0:1]
	v_cmp_gt_u32_e64 s[12:13], 24, v4
	s_and_saveexec_b64 s[0:1], s[12:13]
	s_cbranch_execz .LBB105_727
.LBB105_1202:
	v_lshlrev_b32_e32 v27, 2, v19
	v_sub_u32_e32 v27, v26, v27
	v_lshl_add_u32 v27, v18, 2, v27
	ds_read_b32 v27, v27 offset:9632
	ds_read_b32 v28, v26 offset:8340
	s_waitcnt lgkmcnt(0)
	v_fmac_f32_e32 v25, v27, v28
	s_or_b64 exec, exec, s[0:1]
	v_cmp_gt_u32_e64 s[12:13], 16, v4
	s_and_saveexec_b64 s[0:1], s[12:13]
	s_cbranch_execz .LBB105_728
.LBB105_1203:
	ds_read_b32 v27, v15 offset:9888
	ds_read_b32 v26, v26 offset:8344
	s_waitcnt lgkmcnt(0)
	v_fmac_f32_e32 v25, v27, v26
	s_or_b64 exec, exec, s[0:1]
	v_cmp_gt_u32_e64 s[12:13], 8, v4
	s_and_saveexec_b64 s[0:1], s[12:13]
	s_cbranch_execnz .LBB105_729
	s_branch .LBB105_730
.LBB105_1204:
	v_lshlrev_b32_e32 v27, 2, v14
	v_sub_u32_e32 v27, v26, v27
	v_lshl_add_u32 v27, v13, 2, v27
	ds_read_b32 v27, v27 offset:10672
	ds_read_b32 v28, v26 offset:10404
	s_waitcnt lgkmcnt(0)
	v_fmac_f32_e32 v25, v27, v28
	s_or_b64 exec, exec, s[16:17]
	v_cmp_gt_u32_e64 s[12:13], 8, v4
	s_and_saveexec_b64 s[0:1], s[12:13]
	s_cbranch_execz .LBB105_786
.LBB105_1205:
	ds_read_b32 v27, v10 offset:10928
	ds_read_b32 v26, v26 offset:10408
	s_waitcnt lgkmcnt(0)
	v_fmac_f32_e32 v25, v27, v26
	s_or_b64 exec, exec, s[0:1]
	v_cmp_gt_u32_e64 s[12:13], 4, v4
	s_and_saveexec_b64 s[0:1], s[12:13]
	s_cbranch_execnz .LBB105_787
	s_branch .LBB105_788
.LBB105_1206:
	v_lshlrev_b32_e32 v24, 2, v21
	v_lshl_add_u32 v24, v23, 2, v24
	ds_read_b32 v24, v24 offset:11200
	ds_read_b32 v27, v26 offset:8364
	s_waitcnt lgkmcnt(0)
	v_fmac_f32_e32 v25, v24, v27
	s_or_b64 exec, exec, s[0:1]
	v_cmp_gt_u32_e64 s[12:13], 64, v4
	s_and_saveexec_b64 s[0:1], s[12:13]
	s_cbranch_execz .LBB105_848
.LBB105_1207:
	ds_read_b32 v24, v20 offset:11456
	ds_read_b32 v27, v26 offset:8368
	s_waitcnt lgkmcnt(0)
	v_fmac_f32_e32 v25, v24, v27
	s_or_b64 exec, exec, s[0:1]
	v_cmp_gt_u32_e64 s[12:13], 48, v4
	s_and_saveexec_b64 s[0:1], s[12:13]
	s_cbranch_execz .LBB105_849
.LBB105_1208:
	v_lshlrev_b32_e32 v24, 2, v21
	v_lshl_add_u32 v23, v23, 2, v24
	ds_read_b32 v23, v23 offset:11712
	ds_read_b32 v24, v26 offset:8372
	s_waitcnt lgkmcnt(0)
	v_fmac_f32_e32 v25, v23, v24
	s_or_b64 exec, exec, s[0:1]
	v_cmp_gt_u32_e64 s[12:13], 32, v4
	s_and_saveexec_b64 s[0:1], s[12:13]
	s_cbranch_execz .LBB105_850
.LBB105_1209:
	ds_read_b32 v23, v20 offset:11968
	ds_read_b32 v24, v26 offset:8376
	s_waitcnt lgkmcnt(0)
	v_fmac_f32_e32 v25, v23, v24
	s_or_b64 exec, exec, s[0:1]
	v_cmp_gt_u32_e64 s[12:13], 16, v4
	s_and_saveexec_b64 s[0:1], s[12:13]
	s_cbranch_execnz .LBB105_851
	s_branch .LBB105_852
.LBB105_1210:
	v_lshlrev_b32_e32 v22, 2, v14
	v_sub_u32_e32 v22, v21, v22
	v_lshl_add_u32 v22, v13, 2, v22
	ds_read_b32 v22, v22 offset:12752
	ds_read_b32 v23, v21 offset:12484
	s_waitcnt lgkmcnt(0)
	v_fmac_f32_e32 v20, v22, v23
	s_or_b64 exec, exec, s[12:13]
	v_cmp_gt_u32_e64 s[10:11], 8, v4
	s_and_saveexec_b64 s[12:13], s[10:11]
	s_cbranch_execz .LBB105_940
.LBB105_1211:
	ds_read_b32 v22, v10 offset:13008
	ds_read_b32 v21, v21 offset:12488
	s_waitcnt lgkmcnt(0)
	v_fmac_f32_e32 v20, v22, v21
	s_or_b64 exec, exec, s[12:13]
	v_cmp_gt_u32_e64 s[10:11], 4, v4
	s_and_saveexec_b64 s[12:13], s[10:11]
	s_cbranch_execnz .LBB105_941
	s_branch .LBB105_942
.LBB105_1212:
	v_lshlrev_b32_e32 v22, 2, v19
	v_sub_u32_e32 v22, v21, v22
	v_lshl_add_u32 v22, v18, 2, v22
	ds_read_b32 v22, v22 offset:12768
	ds_read_b32 v23, v21 offset:12484
	s_waitcnt lgkmcnt(0)
	v_fmac_f32_e32 v20, v22, v23
	s_or_b64 exec, exec, s[12:13]
	v_cmp_gt_u32_e64 s[10:11], 48, v4
	s_and_saveexec_b64 s[12:13], s[10:11]
	s_cbranch_execz .LBB105_982
.LBB105_1213:
	v_lshlrev_b32_e32 v22, 2, v19
	v_sub_u32_e32 v22, v21, v22
	v_lshl_add_u32 v22, v18, 2, v22
	ds_read_b32 v22, v22 offset:13024
	ds_read_b32 v23, v21 offset:12488
	s_waitcnt lgkmcnt(0)
	v_fmac_f32_e32 v20, v22, v23
	s_or_b64 exec, exec, s[12:13]
	v_cmp_gt_u32_e64 s[10:11], 40, v4
	s_and_saveexec_b64 s[12:13], s[10:11]
	s_cbranch_execz .LBB105_983
.LBB105_1214:
	v_lshlrev_b32_e32 v22, 2, v19
	v_sub_u32_e32 v22, v21, v22
	v_lshl_add_u32 v22, v18, 2, v22
	ds_read_b32 v22, v22 offset:13280
	ds_read_b32 v23, v21 offset:12492
	s_waitcnt lgkmcnt(0)
	v_fmac_f32_e32 v20, v22, v23
	s_or_b64 exec, exec, s[12:13]
	v_cmp_gt_u32_e64 s[10:11], 32, v4
	s_and_saveexec_b64 s[12:13], s[10:11]
	s_cbranch_execz .LBB105_984
.LBB105_1215:
	ds_read_b32 v22, v15 offset:13536
	ds_read_b32 v23, v21 offset:12496
	s_waitcnt lgkmcnt(0)
	v_fmac_f32_e32 v20, v22, v23
	s_or_b64 exec, exec, s[12:13]
	v_cmp_gt_u32_e64 s[10:11], 24, v4
	s_and_saveexec_b64 s[12:13], s[10:11]
	s_cbranch_execz .LBB105_985
.LBB105_1216:
	v_lshlrev_b32_e32 v19, 2, v19
	v_sub_u32_e32 v19, v21, v19
	v_lshl_add_u32 v18, v18, 2, v19
	ds_read_b32 v18, v18 offset:13792
	ds_read_b32 v19, v21 offset:12500
	s_waitcnt lgkmcnt(0)
	v_fmac_f32_e32 v20, v18, v19
	s_or_b64 exec, exec, s[12:13]
	v_cmp_gt_u32_e64 s[10:11], 16, v4
	s_and_saveexec_b64 s[12:13], s[10:11]
	s_cbranch_execz .LBB105_986
.LBB105_1217:
	ds_read_b32 v18, v15 offset:14048
	ds_read_b32 v19, v21 offset:12504
	s_waitcnt lgkmcnt(0)
	v_fmac_f32_e32 v20, v18, v19
	s_or_b64 exec, exec, s[12:13]
	v_cmp_gt_u32_e64 s[10:11], 8, v4
	s_and_saveexec_b64 s[12:13], s[10:11]
	s_cbranch_execnz .LBB105_987
	s_branch .LBB105_988
.LBB105_1218:
	v_lshlrev_b32_e32 v14, 2, v14
	v_sub_u32_e32 v14, v16, v14
	v_lshl_add_u32 v13, v13, 2, v14
	ds_read_b32 v13, v13 offset:14832
	ds_read_b32 v14, v16 offset:14564
	s_waitcnt lgkmcnt(0)
	v_fmac_f32_e32 v15, v13, v14
	s_or_b64 exec, exec, s[10:11]
	v_cmp_gt_u32_e64 s[8:9], 8, v4
	s_and_saveexec_b64 s[10:11], s[8:9]
	s_cbranch_execz .LBB105_1044
.LBB105_1219:
	ds_read_b32 v13, v10 offset:15088
	ds_read_b32 v14, v16 offset:14568
	s_waitcnt lgkmcnt(0)
	v_fmac_f32_e32 v15, v13, v14
	s_or_b64 exec, exec, s[10:11]
	v_cmp_gt_u32_e64 s[8:9], 4, v4
	s_and_saveexec_b64 s[10:11], s[8:9]
	s_cbranch_execnz .LBB105_1045
	s_branch .LBB105_1046
	.section	.rodata,"a",@progbits
	.p2align	6, 0x0
	.amdhsa_kernel _ZL19rocblas_trsv_deviceILi64ELi16ELb1ELb1ELb1ELb1EfPKfPKS1_PKPfEviT7_lllT6_T8_lllPii
		.amdhsa_group_segment_fixed_size 20740
		.amdhsa_private_segment_fixed_size 0
		.amdhsa_kernarg_size 352
		.amdhsa_user_sgpr_count 6
		.amdhsa_user_sgpr_private_segment_buffer 1
		.amdhsa_user_sgpr_dispatch_ptr 0
		.amdhsa_user_sgpr_queue_ptr 0
		.amdhsa_user_sgpr_kernarg_segment_ptr 1
		.amdhsa_user_sgpr_dispatch_id 0
		.amdhsa_user_sgpr_flat_scratch_init 0
		.amdhsa_user_sgpr_private_segment_size 0
		.amdhsa_uses_dynamic_stack 0
		.amdhsa_system_sgpr_private_segment_wavefront_offset 0
		.amdhsa_system_sgpr_workgroup_id_x 1
		.amdhsa_system_sgpr_workgroup_id_y 0
		.amdhsa_system_sgpr_workgroup_id_z 1
		.amdhsa_system_sgpr_workgroup_info 0
		.amdhsa_system_vgpr_workitem_id 1
		.amdhsa_next_free_vgpr 34
		.amdhsa_next_free_sgpr 96
		.amdhsa_reserve_vcc 1
		.amdhsa_reserve_flat_scratch 0
		.amdhsa_float_round_mode_32 0
		.amdhsa_float_round_mode_16_64 0
		.amdhsa_float_denorm_mode_32 3
		.amdhsa_float_denorm_mode_16_64 3
		.amdhsa_dx10_clamp 1
		.amdhsa_ieee_mode 1
		.amdhsa_fp16_overflow 0
		.amdhsa_exception_fp_ieee_invalid_op 0
		.amdhsa_exception_fp_denorm_src 0
		.amdhsa_exception_fp_ieee_div_zero 0
		.amdhsa_exception_fp_ieee_overflow 0
		.amdhsa_exception_fp_ieee_underflow 0
		.amdhsa_exception_fp_ieee_inexact 0
		.amdhsa_exception_int_div_zero 0
	.end_amdhsa_kernel
	.section	.text._ZL19rocblas_trsv_deviceILi64ELi16ELb1ELb1ELb1ELb1EfPKfPKS1_PKPfEviT7_lllT6_T8_lllPii,"axG",@progbits,_ZL19rocblas_trsv_deviceILi64ELi16ELb1ELb1ELb1ELb1EfPKfPKS1_PKPfEviT7_lllT6_T8_lllPii,comdat
.Lfunc_end105:
	.size	_ZL19rocblas_trsv_deviceILi64ELi16ELb1ELb1ELb1ELb1EfPKfPKS1_PKPfEviT7_lllT6_T8_lllPii, .Lfunc_end105-_ZL19rocblas_trsv_deviceILi64ELi16ELb1ELb1ELb1ELb1EfPKfPKS1_PKPfEviT7_lllT6_T8_lllPii
                                        ; -- End function
	.set _ZL19rocblas_trsv_deviceILi64ELi16ELb1ELb1ELb1ELb1EfPKfPKS1_PKPfEviT7_lllT6_T8_lllPii.num_vgpr, 34
	.set _ZL19rocblas_trsv_deviceILi64ELi16ELb1ELb1ELb1ELb1EfPKfPKS1_PKPfEviT7_lllT6_T8_lllPii.num_agpr, 0
	.set _ZL19rocblas_trsv_deviceILi64ELi16ELb1ELb1ELb1ELb1EfPKfPKS1_PKPfEviT7_lllT6_T8_lllPii.numbered_sgpr, 96
	.set _ZL19rocblas_trsv_deviceILi64ELi16ELb1ELb1ELb1ELb1EfPKfPKS1_PKPfEviT7_lllT6_T8_lllPii.num_named_barrier, 0
	.set _ZL19rocblas_trsv_deviceILi64ELi16ELb1ELb1ELb1ELb1EfPKfPKS1_PKPfEviT7_lllT6_T8_lllPii.private_seg_size, 0
	.set _ZL19rocblas_trsv_deviceILi64ELi16ELb1ELb1ELb1ELb1EfPKfPKS1_PKPfEviT7_lllT6_T8_lllPii.uses_vcc, 1
	.set _ZL19rocblas_trsv_deviceILi64ELi16ELb1ELb1ELb1ELb1EfPKfPKS1_PKPfEviT7_lllT6_T8_lllPii.uses_flat_scratch, 0
	.set _ZL19rocblas_trsv_deviceILi64ELi16ELb1ELb1ELb1ELb1EfPKfPKS1_PKPfEviT7_lllT6_T8_lllPii.has_dyn_sized_stack, 0
	.set _ZL19rocblas_trsv_deviceILi64ELi16ELb1ELb1ELb1ELb1EfPKfPKS1_PKPfEviT7_lllT6_T8_lllPii.has_recursion, 0
	.set _ZL19rocblas_trsv_deviceILi64ELi16ELb1ELb1ELb1ELb1EfPKfPKS1_PKPfEviT7_lllT6_T8_lllPii.has_indirect_call, 0
	.section	.AMDGPU.csdata,"",@progbits
; Kernel info:
; codeLenInByte = 33924
; TotalNumSgprs: 100
; NumVgprs: 34
; ScratchSize: 0
; MemoryBound: 0
; FloatMode: 240
; IeeeMode: 1
; LDSByteSize: 20740 bytes/workgroup (compile time only)
; SGPRBlocks: 12
; VGPRBlocks: 8
; NumSGPRsForWavesPerEU: 100
; NumVGPRsForWavesPerEU: 34
; Occupancy: 7
; WaveLimiterHint : 1
; COMPUTE_PGM_RSRC2:SCRATCH_EN: 0
; COMPUTE_PGM_RSRC2:USER_SGPR: 6
; COMPUTE_PGM_RSRC2:TRAP_HANDLER: 0
; COMPUTE_PGM_RSRC2:TGID_X_EN: 1
; COMPUTE_PGM_RSRC2:TGID_Y_EN: 0
; COMPUTE_PGM_RSRC2:TGID_Z_EN: 1
; COMPUTE_PGM_RSRC2:TIDIG_COMP_CNT: 1
	.section	.text._ZL19rocblas_trsv_deviceILi64ELi16ELb1ELb0ELb0ELb0EfPKfPKS1_PKPfEviT7_lllT6_T8_lllPii,"axG",@progbits,_ZL19rocblas_trsv_deviceILi64ELi16ELb1ELb0ELb0ELb0EfPKfPKS1_PKPfEviT7_lllT6_T8_lllPii,comdat
	.globl	_ZL19rocblas_trsv_deviceILi64ELi16ELb1ELb0ELb0ELb0EfPKfPKS1_PKPfEviT7_lllT6_T8_lllPii ; -- Begin function _ZL19rocblas_trsv_deviceILi64ELi16ELb1ELb0ELb0ELb0EfPKfPKS1_PKPfEviT7_lllT6_T8_lllPii
	.p2align	8
	.type	_ZL19rocblas_trsv_deviceILi64ELi16ELb1ELb0ELb0ELb0EfPKfPKS1_PKPfEviT7_lllT6_T8_lllPii,@function
_ZL19rocblas_trsv_deviceILi64ELi16ELb1ELb0ELb0ELb0EfPKfPKS1_PKPfEviT7_lllT6_T8_lllPii: ; @_ZL19rocblas_trsv_deviceILi64ELi16ELb1ELb0ELb0ELb0EfPKfPKS1_PKPfEviT7_lllT6_T8_lllPii
; %bb.0:
	s_load_dwordx4 s[0:3], s[4:5], 0x8
	s_mov_b32 s24, s7
	s_mov_b32 s25, 0
	s_lshl_b64 s[8:9], s[24:25], 3
	v_mov_b32_e32 v2, v1
	s_waitcnt lgkmcnt(0)
	s_add_u32 s0, s0, s8
	s_addc_u32 s1, s1, s9
	s_load_dwordx2 s[10:11], s[0:1], 0x0
	s_load_dword s7, s[4:5], 0x0
	s_load_dwordx8 s[16:23], s[4:5], 0x28
	s_load_dwordx2 s[26:27], s[4:5], 0x18
	s_lshl_b64 s[0:1], s[2:3], 2
	s_waitcnt lgkmcnt(0)
	s_add_u32 s91, s10, s0
	s_addc_u32 s92, s11, s1
	s_add_u32 s0, s18, s8
	s_addc_u32 s1, s19, s9
	s_load_dwordx2 s[28:29], s[0:1], 0x0
	s_load_dword s40, s[16:17], 0x0
	s_load_dword s93, s[4:5], 0x6c
	s_cmp_eq_u32 s6, 0
	s_cbranch_scc1 .LBB106_10
; %bb.1:
	s_lshl_b32 s33, s6, 6
	v_add_u32_e32 v1, s33, v2
	v_subrev_u32_e32 v1, 64, v1
	v_ashrrev_i32_e32 v3, 31, v1
	v_mul_lo_u32 v7, s26, v3
	v_mul_lo_u32 v8, s27, v1
	v_mad_u64_u32 v[3:4], s[0:1], s26, v1, 0
	v_add_u32_e32 v5, s33, v0
	v_ashrrev_i32_e32 v6, 31, v5
	v_add3_u32 v4, v4, v7, v8
	v_lshlrev_b64 v[3:4], 2, v[3:4]
	v_mov_b32_e32 v7, s92
	v_add_co_u32_e64 v8, s[0:1], s91, v3
	v_addc_co_u32_e64 v7, s[0:1], v7, v4, s[0:1]
	v_lshlrev_b64 v[3:4], 2, v[5:6]
	v_cmp_gt_i32_e32 vcc, s7, v5
	v_add_co_u32_e64 v3, s[0:1], v8, v3
	v_addc_co_u32_e64 v4, s[0:1], v7, v4, s[0:1]
	v_cmp_gt_i32_e64 s[0:1], s7, v1
	s_and_b64 s[2:3], vcc, s[0:1]
	v_mov_b32_e32 v8, 0
	v_mov_b32_e32 v7, 0
	s_waitcnt lgkmcnt(0)
	s_barrier
	s_and_saveexec_b64 s[0:1], s[2:3]
	s_cbranch_execz .LBB106_3
; %bb.2:
	flat_load_dword v7, v[3:4]
.LBB106_3:
	s_or_b64 exec, exec, s[0:1]
	v_add_u32_e32 v5, 16, v1
	v_cmp_gt_i32_e64 s[0:1], s7, v5
	s_and_b64 s[0:1], vcc, s[0:1]
	s_waitcnt vmcnt(0) lgkmcnt(0)
	s_barrier
	s_and_saveexec_b64 s[2:3], s[0:1]
	s_cbranch_execz .LBB106_5
; %bb.4:
	s_lshl_b64 s[0:1], s[26:27], 6
	v_mov_b32_e32 v6, s1
	v_add_co_u32_e64 v5, s[0:1], s0, v3
	v_addc_co_u32_e64 v6, s[0:1], v4, v6, s[0:1]
	flat_load_dword v8, v[5:6]
.LBB106_5:
	s_or_b64 exec, exec, s[2:3]
	v_add_u32_e32 v5, 32, v1
	v_cmp_gt_i32_e64 s[0:1], s7, v5
	s_and_b64 s[0:1], vcc, s[0:1]
	v_mov_b32_e32 v9, 0
	v_mov_b32_e32 v10, 0
	s_waitcnt vmcnt(0) lgkmcnt(0)
	s_barrier
	s_and_saveexec_b64 s[2:3], s[0:1]
	s_cbranch_execz .LBB106_7
; %bb.6:
	s_lshl_b64 s[0:1], s[26:27], 7
	v_mov_b32_e32 v6, s1
	v_add_co_u32_e64 v5, s[0:1], s0, v3
	v_addc_co_u32_e64 v6, s[0:1], v4, v6, s[0:1]
	flat_load_dword v10, v[5:6]
.LBB106_7:
	s_or_b64 exec, exec, s[2:3]
	v_add_u32_e32 v1, 48, v1
	v_cmp_gt_i32_e64 s[0:1], s7, v1
	s_and_b64 s[2:3], vcc, s[0:1]
	s_waitcnt vmcnt(0) lgkmcnt(0)
	s_barrier
	s_and_saveexec_b64 s[0:1], s[2:3]
	s_cbranch_execz .LBB106_9
; %bb.8:
	v_mov_b32_e32 v1, 0xc0
	v_mad_u64_u32 v[3:4], s[2:3], s26, v1, v[3:4]
	s_mul_i32 s2, s27, 0xc0
	v_add_u32_e32 v4, s2, v4
	flat_load_dword v9, v[3:4]
.LBB106_9:
	s_or_b64 exec, exec, s[0:1]
	s_branch .LBB106_11
.LBB106_10:
                                        ; implicit-def: $vgpr9
                                        ; implicit-def: $vgpr10
                                        ; implicit-def: $vgpr8
                                        ; implicit-def: $vgpr7
	s_mov_b32 s33, s25
.LBB106_11:
	s_ashr_i32 s0, s7, 31
	s_lshr_b32 s0, s0, 26
	s_add_i32 s0, s7, s0
	s_andn2_b32 s0, s0, 63
	s_sub_i32 s90, s7, s0
	s_add_i32 s0, s7, -1
	s_ashr_i32 s1, s0, 31
	s_lshr_b32 s1, s1, 26
	s_add_i32 s0, s0, s1
	s_ashr_i32 s0, s0, 6
	s_cmp_eq_u32 s0, s6
	s_cselect_b64 s[0:1], -1, 0
	s_cmp_lg_u32 s90, 0
	s_cselect_b64 s[2:3], -1, 0
	s_and_b64 s[18:19], s[2:3], s[0:1]
	s_ashr_i32 s50, s33, 31
	s_add_u32 s8, s26, 1
	v_mov_b32_e32 v1, 0
	v_mov_b32_e32 v3, s33
	v_mad_u64_u32 v[3:4], s[0:1], s8, v3, v[0:1]
	s_addc_u32 s9, s27, 0
	s_mul_i32 s0, s8, s50
	s_mul_i32 s9, s9, s33
	s_add_i32 s0, s0, s9
	s_mov_b64 s[2:3], -1
	v_add_u32_e32 v4, s0, v4
	s_and_b64 vcc, exec, s[18:19]
	v_cmp_le_u32_e64 s[0:1], v0, v2
	s_cbranch_vccnz .LBB106_33
; %bb.12:
	v_mad_u64_u32 v[5:6], s[2:3], s26, v2, v[3:4]
	v_mov_b32_e32 v1, v6
	v_mad_u64_u32 v[11:12], s[2:3], s27, v2, v[1:2]
	s_mov_b64 s[2:3], 0
                                        ; implicit-def: $vgpr1
	v_mov_b32_e32 v6, v11
	s_and_saveexec_b64 s[8:9], s[0:1]
	s_xor_b64 s[0:1], exec, s[8:9]
	s_cbranch_execnz .LBB106_1097
; %bb.13:
	s_andn2_saveexec_b64 s[0:1], s[0:1]
	s_cbranch_execnz .LBB106_1102
.LBB106_14:
	s_or_b64 exec, exec, s[0:1]
	s_and_saveexec_b64 s[0:1], s[2:3]
.LBB106_15:
	v_lshlrev_b32_e32 v5, 2, v0
	v_lshl_add_u32 v5, v2, 8, v5
	ds_write_b32 v5, v1
.LBB106_16:
	s_or_b64 exec, exec, s[0:1]
	v_add_u32_e32 v1, 16, v2
	v_mad_u64_u32 v[5:6], s[0:1], s26, v1, v[3:4]
	v_cmp_le_u32_e32 vcc, v0, v1
	s_mov_b64 s[2:3], 0
	v_mad_u64_u32 v[11:12], s[0:1], s27, v1, v[6:7]
	v_mov_b32_e32 v6, v11
                                        ; implicit-def: $vgpr11
	s_and_saveexec_b64 s[0:1], vcc
	s_xor_b64 s[0:1], exec, s[0:1]
	s_cbranch_execnz .LBB106_1103
; %bb.17:
	s_andn2_saveexec_b64 s[0:1], s[0:1]
	s_cbranch_execnz .LBB106_1108
.LBB106_18:
	s_or_b64 exec, exec, s[0:1]
	s_and_saveexec_b64 s[0:1], s[2:3]
.LBB106_19:
	v_lshlrev_b32_e32 v5, 2, v0
	v_lshl_add_u32 v1, v1, 8, v5
	ds_write_b32 v1, v11
.LBB106_20:
	s_or_b64 exec, exec, s[0:1]
	v_add_u32_e32 v1, 32, v2
	v_mad_u64_u32 v[5:6], s[0:1], s26, v1, v[3:4]
	v_cmp_le_u32_e32 vcc, v0, v1
	s_mov_b64 s[2:3], 0
	v_mad_u64_u32 v[11:12], s[0:1], s27, v1, v[6:7]
	v_mov_b32_e32 v6, v11
                                        ; implicit-def: $vgpr11
	s_and_saveexec_b64 s[0:1], vcc
	s_xor_b64 s[0:1], exec, s[0:1]
	s_cbranch_execnz .LBB106_1109
; %bb.21:
	s_andn2_saveexec_b64 s[0:1], s[0:1]
	s_cbranch_execnz .LBB106_1114
.LBB106_22:
	s_or_b64 exec, exec, s[0:1]
	s_and_saveexec_b64 s[0:1], s[2:3]
.LBB106_23:
	v_lshlrev_b32_e32 v5, 2, v0
	v_lshl_add_u32 v1, v1, 8, v5
	ds_write_b32 v1, v11
.LBB106_24:
	s_or_b64 exec, exec, s[0:1]
	v_add_u32_e32 v1, 48, v2
	v_mad_u64_u32 v[5:6], s[0:1], s26, v1, v[3:4]
	v_cmp_le_u32_e32 vcc, v0, v1
	s_mov_b64 s[8:9], 0
	v_mad_u64_u32 v[11:12], s[0:1], s27, v1, v[6:7]
	v_mov_b32_e32 v6, v11
                                        ; implicit-def: $vgpr11
	s_and_saveexec_b64 s[0:1], vcc
	s_xor_b64 s[0:1], exec, s[0:1]
	s_cbranch_execz .LBB106_30
; %bb.25:
	v_cmp_ne_u32_e32 vcc, v0, v1
	s_mov_b64 s[2:3], 0
	s_and_saveexec_b64 s[8:9], vcc
	s_xor_b64 s[8:9], exec, s[8:9]
; %bb.26:
	v_or_b32_e32 v5, v1, v0
	v_cmp_gt_u32_e32 vcc, 64, v5
	s_and_b64 s[2:3], vcc, exec
                                        ; implicit-def: $vgpr5_vgpr6
; %bb.27:
	s_or_saveexec_b64 s[8:9], s[8:9]
	v_mov_b32_e32 v11, 0
	s_xor_b64 exec, exec, s[8:9]
	s_cbranch_execz .LBB106_29
; %bb.28:
	v_lshlrev_b64 v[5:6], 2, v[5:6]
	v_mov_b32_e32 v1, s92
	v_add_co_u32_e32 v5, vcc, s91, v5
	v_addc_co_u32_e32 v6, vcc, v1, v6, vcc
	flat_load_dword v1, v[5:6]
	s_or_b64 s[2:3], s[2:3], exec
	s_waitcnt vmcnt(0) lgkmcnt(0)
	v_div_scale_f32 v5, s[10:11], v1, v1, 1.0
	v_div_scale_f32 v6, vcc, 1.0, v1, 1.0
	v_rcp_f32_e32 v11, v5
	v_fma_f32 v12, -v5, v11, 1.0
	v_fmac_f32_e32 v11, v12, v11
	v_mul_f32_e32 v12, v6, v11
	v_fma_f32 v13, -v5, v12, v6
	v_fmac_f32_e32 v12, v13, v11
	v_fma_f32 v5, -v5, v12, v6
	v_div_fmas_f32 v5, v5, v11, v12
	v_div_fixup_f32 v11, v5, v1, 1.0
	v_mov_b32_e32 v1, v0
.LBB106_29:
	s_or_b64 exec, exec, s[8:9]
	s_and_b64 s[8:9], s[2:3], exec
                                        ; implicit-def: $vgpr5_vgpr6
.LBB106_30:
	s_andn2_saveexec_b64 s[0:1], s[0:1]
	s_cbranch_execz .LBB106_32
; %bb.31:
	v_lshlrev_b64 v[5:6], 2, v[5:6]
	v_mov_b32_e32 v11, s92
	v_add_co_u32_e32 v5, vcc, s91, v5
	v_addc_co_u32_e32 v6, vcc, v11, v6, vcc
	flat_load_dword v5, v[5:6]
	s_or_b64 s[8:9], s[8:9], exec
	s_waitcnt vmcnt(0) lgkmcnt(0)
	v_xor_b32_e32 v11, 0x80000000, v5
.LBB106_32:
	s_or_b64 exec, exec, s[0:1]
	s_branch .LBB106_55
.LBB106_33:
	s_mov_b64 s[8:9], 0
                                        ; implicit-def: $vgpr11
                                        ; implicit-def: $vgpr1
	s_and_b64 vcc, exec, s[2:3]
	s_cbranch_vccz .LBB106_55
; %bb.34:
	v_mad_u64_u32 v[5:6], s[0:1], s26, v2, v[3:4]
	v_cmp_le_u32_e32 vcc, v0, v2
	v_cmp_gt_i32_e64 s[0:1], s90, v0
	v_mov_b32_e32 v1, v6
	v_mad_u64_u32 v[11:12], s[2:3], s27, v2, v[1:2]
	v_max_i32_e32 v1, v2, v0
	v_cmp_le_i32_e64 s[2:3], s90, v1
	v_mov_b32_e32 v6, v11
	s_or_b64 s[2:3], s[2:3], vcc
	s_mov_b64 s[10:11], 0
                                        ; implicit-def: $vgpr1
	s_and_saveexec_b64 s[12:13], s[2:3]
	s_xor_b64 s[2:3], exec, s[12:13]
	s_cbranch_execnz .LBB106_1115
; %bb.35:
	s_andn2_saveexec_b64 s[2:3], s[2:3]
	s_cbranch_execnz .LBB106_1120
.LBB106_36:
	s_or_b64 exec, exec, s[2:3]
	s_and_saveexec_b64 s[2:3], s[10:11]
.LBB106_37:
	v_lshlrev_b32_e32 v5, 2, v0
	v_lshl_add_u32 v5, v2, 8, v5
	ds_write_b32 v5, v1
.LBB106_38:
	s_or_b64 exec, exec, s[2:3]
	v_add_u32_e32 v1, 16, v2
	v_mad_u64_u32 v[5:6], s[2:3], s26, v1, v[3:4]
	v_cmp_gt_u32_e32 vcc, v0, v1
	s_mov_b64 s[10:11], 0
	v_mad_u64_u32 v[11:12], s[2:3], s27, v1, v[6:7]
	v_cmp_gt_i32_e64 s[2:3], s90, v1
	s_and_b64 s[2:3], vcc, s[2:3]
	s_and_b64 s[2:3], s[0:1], s[2:3]
	v_mov_b32_e32 v6, v11
	s_xor_b64 s[2:3], s[2:3], -1
                                        ; implicit-def: $vgpr11
	s_and_saveexec_b64 s[12:13], s[2:3]
	s_xor_b64 s[2:3], exec, s[12:13]
	s_cbranch_execnz .LBB106_1121
; %bb.39:
	s_andn2_saveexec_b64 s[2:3], s[2:3]
	s_cbranch_execnz .LBB106_1126
.LBB106_40:
	s_or_b64 exec, exec, s[2:3]
	s_and_saveexec_b64 s[2:3], s[10:11]
.LBB106_41:
	v_lshlrev_b32_e32 v5, 2, v0
	v_lshl_add_u32 v1, v1, 8, v5
	ds_write_b32 v1, v11
.LBB106_42:
	s_or_b64 exec, exec, s[2:3]
	v_add_u32_e32 v1, 32, v2
	v_mad_u64_u32 v[5:6], s[2:3], s26, v1, v[3:4]
	v_cmp_gt_u32_e32 vcc, v0, v1
	s_mov_b64 s[10:11], 0
	v_mad_u64_u32 v[11:12], s[2:3], s27, v1, v[6:7]
	v_cmp_gt_i32_e64 s[2:3], s90, v1
	s_and_b64 s[2:3], vcc, s[2:3]
	s_and_b64 s[2:3], s[0:1], s[2:3]
	v_mov_b32_e32 v6, v11
	s_xor_b64 s[2:3], s[2:3], -1
                                        ; implicit-def: $vgpr11
	s_and_saveexec_b64 s[12:13], s[2:3]
	s_xor_b64 s[2:3], exec, s[12:13]
	s_cbranch_execnz .LBB106_1127
; %bb.43:
	s_andn2_saveexec_b64 s[2:3], s[2:3]
	s_cbranch_execnz .LBB106_1132
.LBB106_44:
	s_or_b64 exec, exec, s[2:3]
	s_and_saveexec_b64 s[2:3], s[10:11]
.LBB106_45:
	v_lshlrev_b32_e32 v5, 2, v0
	v_lshl_add_u32 v1, v1, 8, v5
	ds_write_b32 v1, v11
.LBB106_46:
	s_or_b64 exec, exec, s[2:3]
	v_add_u32_e32 v1, 48, v2
	v_mad_u64_u32 v[3:4], s[2:3], s26, v1, v[3:4]
	v_cmp_gt_u32_e32 vcc, v0, v1
                                        ; implicit-def: $vgpr11
	v_mad_u64_u32 v[4:5], s[2:3], s27, v1, v[4:5]
	v_cmp_gt_i32_e64 s[2:3], s90, v1
	s_and_b64 s[2:3], vcc, s[2:3]
	s_and_b64 s[2:3], s[0:1], s[2:3]
	s_xor_b64 s[2:3], s[2:3], -1
	s_and_saveexec_b64 s[10:11], s[2:3]
	s_xor_b64 s[2:3], exec, s[10:11]
	s_cbranch_execz .LBB106_52
; %bb.47:
	v_cmp_ne_u32_e32 vcc, v0, v1
	s_xor_b64 s[0:1], s[0:1], -1
	s_or_b64 s[10:11], s[0:1], vcc
	s_mov_b64 s[0:1], s[8:9]
	s_and_saveexec_b64 s[12:13], s[10:11]
	s_xor_b64 s[10:11], exec, s[12:13]
; %bb.48:
	v_or_b32_e32 v3, v1, v0
	v_cmp_gt_u32_e32 vcc, 64, v3
	s_andn2_b64 s[0:1], s[8:9], exec
	s_and_b64 s[12:13], vcc, exec
	s_or_b64 s[0:1], s[0:1], s[12:13]
                                        ; implicit-def: $vgpr3_vgpr4
; %bb.49:
	s_or_saveexec_b64 s[10:11], s[10:11]
	v_mov_b32_e32 v11, 0
	s_xor_b64 exec, exec, s[10:11]
	s_cbranch_execz .LBB106_51
; %bb.50:
	v_lshlrev_b64 v[3:4], 2, v[3:4]
	v_mov_b32_e32 v1, s92
	v_add_co_u32_e32 v3, vcc, s91, v3
	v_addc_co_u32_e32 v4, vcc, v1, v4, vcc
	flat_load_dword v1, v[3:4]
	s_or_b64 s[0:1], s[0:1], exec
	s_waitcnt vmcnt(0) lgkmcnt(0)
	v_div_scale_f32 v3, s[12:13], v1, v1, 1.0
	v_div_scale_f32 v4, vcc, 1.0, v1, 1.0
	v_rcp_f32_e32 v5, v3
	v_fma_f32 v6, -v3, v5, 1.0
	v_fmac_f32_e32 v5, v6, v5
	v_mul_f32_e32 v6, v4, v5
	v_fma_f32 v11, -v3, v6, v4
	v_fmac_f32_e32 v6, v11, v5
	v_fma_f32 v3, -v3, v6, v4
	v_div_fmas_f32 v3, v3, v5, v6
	v_div_fixup_f32 v11, v3, v1, 1.0
	v_mov_b32_e32 v1, v0
.LBB106_51:
	s_or_b64 exec, exec, s[10:11]
	s_andn2_b64 s[8:9], s[8:9], exec
	s_and_b64 s[0:1], s[0:1], exec
	s_or_b64 s[8:9], s[8:9], s[0:1]
                                        ; implicit-def: $vgpr3_vgpr4
.LBB106_52:
	s_andn2_saveexec_b64 s[0:1], s[2:3]
	s_cbranch_execz .LBB106_54
; %bb.53:
	v_lshlrev_b64 v[3:4], 2, v[3:4]
	v_mov_b32_e32 v5, s92
	v_add_co_u32_e32 v3, vcc, s91, v3
	v_addc_co_u32_e32 v4, vcc, v5, v4, vcc
	flat_load_dword v3, v[3:4]
	s_or_b64 s[8:9], s[8:9], exec
	s_waitcnt vmcnt(0) lgkmcnt(0)
	v_xor_b32_e32 v11, 0x80000000, v3
.LBB106_54:
	s_or_b64 exec, exec, s[0:1]
.LBB106_55:
	s_and_saveexec_b64 s[0:1], s[8:9]
; %bb.56:
	v_lshlrev_b32_e32 v3, 2, v0
	v_lshl_add_u32 v1, v1, 8, v3
	ds_write_b32 v1, v11
; %bb.57:
	s_or_b64 exec, exec, s[0:1]
	s_cmp_lt_i32 s6, 5
	s_cselect_b64 s[0:1], -1, 0
	s_or_b64 s[30:31], s[0:1], s[18:19]
	s_and_b64 vcc, exec, s[30:31]
	s_waitcnt vmcnt(0) lgkmcnt(0)
	s_barrier
	s_cbranch_vccnz .LBB106_1033
; %bb.58:
	v_or_b32_e32 v1, v0, v2
	v_cmp_eq_u32_e32 vcc, 0, v1
	s_and_saveexec_b64 s[0:1], vcc
	s_cbranch_execz .LBB106_60
; %bb.59:
	v_mov_b32_e32 v1, 0
	ds_read_b64 v[3:4], v1
	ds_read_b32 v5, v1 offset:260
	s_waitcnt lgkmcnt(0)
	v_mul_f32_e32 v3, v3, v5
	v_mul_f32_e32 v3, v4, v3
	ds_write_b32 v1, v3 offset:4
.LBB106_60:
	s_or_b64 exec, exec, s[0:1]
	v_lshl_add_u32 v4, v2, 6, v0
	v_and_b32_e32 v11, 1, v0
	v_lshrrev_b32_e32 v5, 1, v4
	v_lshlrev_b32_e32 v1, 2, v11
	v_cmp_lt_u32_e64 s[2:3], 3, v4
	v_cmp_gt_u32_e64 s[0:1], 4, v4
	v_lshl_or_b32 v1, v5, 8, v1
	v_mov_b32_e32 v6, 0
	s_waitcnt lgkmcnt(0)
	s_barrier
	s_and_saveexec_b64 s[10:11], s[0:1]
	s_cbranch_execz .LBB106_64
; %bb.61:
	v_mul_u32_u24_e32 v3, 0x104, v5
	ds_read_b32 v12, v1 offset:8
	ds_read_b32 v3, v3
	v_mov_b32_e32 v6, 0
	v_cmp_gt_u32_e64 s[8:9], 2, v4
	s_waitcnt lgkmcnt(0)
	v_fma_f32 v3, v12, v3, 0
	s_and_saveexec_b64 s[12:13], s[8:9]
	s_cbranch_execz .LBB106_63
; %bb.62:
	v_lshlrev_b32_e32 v12, 2, v0
	ds_read_b32 v12, v12 offset:264
	ds_read_b32 v6, v6 offset:4
	s_waitcnt lgkmcnt(0)
	v_fmac_f32_e32 v3, v12, v6
.LBB106_63:
	s_or_b64 exec, exec, s[12:13]
	v_xor_b32_e32 v6, 0x80000000, v3
.LBB106_64:
	s_or_b64 exec, exec, s[10:11]
	v_mov_b32_e32 v3, 0x4000
	v_cmp_eq_u32_e64 s[8:9], 0, v11
	s_xor_b64 s[10:11], s[2:3], -1
	v_lshl_add_u32 v3, v5, 2, v3
	s_and_b64 s[36:37], s[8:9], s[10:11]
	s_and_saveexec_b64 s[2:3], s[36:37]
	s_cbranch_execz .LBB106_66
; %bb.65:
	v_mov_b32_e32 v12, 0
	ds_read_b32 v12, v12 offset:520
	s_waitcnt lgkmcnt(0)
	v_mul_f32_e32 v6, v6, v12
	ds_write_b32 v3, v6
.LBB106_66:
	s_or_b64 exec, exec, s[2:3]
	v_cmp_ne_u32_e64 s[2:3], 0, v11
	s_and_b64 s[34:35], s[2:3], s[10:11]
	s_waitcnt lgkmcnt(0)
	s_barrier
	s_and_saveexec_b64 s[2:3], s[34:35]
	s_cbranch_execz .LBB106_68
; %bb.67:
	v_mov_b32_e32 v11, 0
	ds_read_b32 v11, v11 offset:524
	ds_read_b32 v12, v3
	s_waitcnt lgkmcnt(0)
	v_fmac_f32_e32 v6, v11, v12
.LBB106_68:
	s_or_b64 exec, exec, s[2:3]
	s_barrier
	s_and_saveexec_b64 s[2:3], s[34:35]
	s_cbranch_execz .LBB106_70
; %bb.69:
	v_mov_b32_e32 v11, 0
	ds_read_b32 v11, v11 offset:780
	s_waitcnt lgkmcnt(0)
	v_mul_f32_e32 v6, v6, v11
	ds_write_b32 v3, v6
.LBB106_70:
	s_or_b64 exec, exec, s[2:3]
	s_waitcnt lgkmcnt(0)
	s_barrier
	s_barrier
	s_and_saveexec_b64 s[2:3], s[0:1]
; %bb.71:
	v_xor_b32_e32 v6, 0x80000000, v6
	ds_write_b32 v1, v6 offset:8
; %bb.72:
	s_or_b64 exec, exec, s[2:3]
	s_waitcnt lgkmcnt(0)
	s_barrier
	s_barrier
	s_and_saveexec_b64 s[2:3], vcc
	s_cbranch_execz .LBB106_74
; %bb.73:
	v_mov_b32_e32 v6, 0
	ds_read_b64 v[11:12], v6 offset:520
	ds_read_b32 v13, v6 offset:780
	s_waitcnt lgkmcnt(0)
	v_mul_f32_e32 v11, v11, v13
	v_mul_f32_e32 v11, v12, v11
	ds_write_b32 v6, v11 offset:524
.LBB106_74:
	s_or_b64 exec, exec, s[2:3]
	v_and_b32_e32 v13, 3, v0
	v_lshrrev_b32_e32 v14, 2, v4
	v_lshlrev_b32_e32 v11, 2, v13
	v_cmp_lt_u32_e64 s[8:9], 15, v4
	v_cmp_gt_u32_e64 s[2:3], 16, v4
	v_lshl_or_b32 v6, v14, 8, v11
	v_mov_b32_e32 v15, 0
	s_waitcnt lgkmcnt(0)
	s_barrier
	s_and_saveexec_b64 s[12:13], s[2:3]
	s_cbranch_execz .LBB106_80
; %bb.75:
	v_mul_u32_u24_e32 v15, 0x104, v14
	ds_read_b32 v12, v6 offset:16
	ds_read_b32 v16, v15
	v_cmp_gt_u32_e64 s[10:11], 12, v4
	s_waitcnt lgkmcnt(0)
	v_fma_f32 v12, v12, v16, 0
	s_and_saveexec_b64 s[14:15], s[10:11]
	s_cbranch_execnz .LBB106_1144
; %bb.76:
	s_or_b64 exec, exec, s[14:15]
	v_cmp_gt_u32_e64 s[10:11], 8, v4
	s_and_saveexec_b64 s[14:15], s[10:11]
	s_cbranch_execnz .LBB106_1145
.LBB106_77:
	s_or_b64 exec, exec, s[14:15]
	v_cmp_gt_u32_e64 s[10:11], 4, v4
	s_and_saveexec_b64 s[14:15], s[10:11]
	s_cbranch_execz .LBB106_79
.LBB106_78:
	v_lshlrev_b32_e32 v15, 2, v0
	v_mov_b32_e32 v16, 0
	ds_read_b32 v15, v15 offset:784
	ds_read_b32 v16, v16 offset:12
	s_waitcnt lgkmcnt(0)
	v_fmac_f32_e32 v12, v15, v16
.LBB106_79:
	s_or_b64 exec, exec, s[14:15]
	v_xor_b32_e32 v15, 0x80000000, v12
.LBB106_80:
                                        ; implicit-def: $vgpr33 : SGPR spill to VGPR lane
	v_writelane_b32 v33, s40, 0
	s_or_b64 exec, exec, s[12:13]
	v_mov_b32_e32 v12, 0x4000
	v_cmp_eq_u32_e64 s[10:11], 0, v13
	s_xor_b64 s[12:13], s[8:9], -1
	v_lshl_add_u32 v12, v14, 2, v12
	s_and_b64 s[40:41], s[10:11], s[12:13]
	s_and_saveexec_b64 s[8:9], s[40:41]
	s_cbranch_execz .LBB106_82
; %bb.81:
	v_mov_b32_e32 v16, 0
	ds_read_b32 v16, v16 offset:1040
	s_waitcnt lgkmcnt(0)
	v_mul_f32_e32 v15, v15, v16
	ds_write_b32 v12, v15
.LBB106_82:
	s_or_b64 exec, exec, s[8:9]
	v_cmp_ne_u32_e64 s[8:9], 0, v13
	s_and_b64 s[42:43], s[8:9], s[12:13]
	s_waitcnt lgkmcnt(0)
	s_barrier
	s_and_saveexec_b64 s[8:9], s[42:43]
	s_cbranch_execz .LBB106_84
; %bb.83:
	ds_read_b32 v16, v11 offset:1040
	ds_read_b32 v17, v12
	s_waitcnt lgkmcnt(0)
	v_fmac_f32_e32 v15, v16, v17
.LBB106_84:
	s_or_b64 exec, exec, s[8:9]
	v_cmp_eq_u32_e64 s[8:9], 1, v13
	s_and_b64 s[44:45], s[8:9], s[12:13]
	s_barrier
	s_and_saveexec_b64 s[8:9], s[44:45]
	s_cbranch_execz .LBB106_86
; %bb.85:
	v_mov_b32_e32 v16, 0
	ds_read_b32 v16, v16 offset:1300
	s_waitcnt lgkmcnt(0)
	v_mul_f32_e32 v15, v15, v16
	ds_write_b32 v12, v15
.LBB106_86:
	s_or_b64 exec, exec, s[8:9]
	v_cmp_lt_u32_e64 s[8:9], 1, v13
	s_and_b64 s[46:47], s[8:9], s[12:13]
	s_waitcnt lgkmcnt(0)
	s_barrier
	s_and_saveexec_b64 s[8:9], s[46:47]
	s_cbranch_execz .LBB106_88
; %bb.87:
	ds_read_b32 v16, v11 offset:1296
	ds_read_b32 v17, v12
	s_waitcnt lgkmcnt(0)
	v_fmac_f32_e32 v15, v16, v17
.LBB106_88:
	s_or_b64 exec, exec, s[8:9]
	v_cmp_eq_u32_e64 s[8:9], 2, v13
	s_and_b64 s[48:49], s[8:9], s[12:13]
	s_barrier
	s_and_saveexec_b64 s[8:9], s[48:49]
	s_cbranch_execz .LBB106_90
; %bb.89:
	v_mov_b32_e32 v16, 0
	ds_read_b32 v16, v16 offset:1560
	s_waitcnt lgkmcnt(0)
	v_mul_f32_e32 v15, v15, v16
	ds_write_b32 v12, v15
.LBB106_90:
	s_or_b64 exec, exec, s[8:9]
	v_cmp_eq_u32_e64 s[8:9], 3, v13
	s_and_b64 s[38:39], s[8:9], s[12:13]
	s_waitcnt lgkmcnt(0)
	s_barrier
	s_and_saveexec_b64 s[8:9], s[38:39]
	s_cbranch_execz .LBB106_92
; %bb.91:
	v_mov_b32_e32 v16, 0
	ds_read_b32 v16, v16 offset:1564
	ds_read_b32 v17, v12
	s_waitcnt lgkmcnt(0)
	v_fmac_f32_e32 v15, v16, v17
.LBB106_92:
	s_or_b64 exec, exec, s[8:9]
	s_barrier
	s_and_saveexec_b64 s[8:9], s[38:39]
	s_cbranch_execz .LBB106_94
; %bb.93:
	v_mov_b32_e32 v16, 0
	ds_read_b32 v16, v16 offset:1820
	s_waitcnt lgkmcnt(0)
	v_mul_f32_e32 v15, v15, v16
	ds_write_b32 v12, v15
.LBB106_94:
	s_or_b64 exec, exec, s[8:9]
	s_waitcnt lgkmcnt(0)
	s_barrier
	s_barrier
	s_and_saveexec_b64 s[8:9], s[2:3]
; %bb.95:
	v_xor_b32_e32 v15, 0x80000000, v15
	ds_write_b32 v6, v15 offset:16
; %bb.96:
	s_or_b64 exec, exec, s[8:9]
	s_waitcnt lgkmcnt(0)
	s_barrier
	s_barrier
	s_and_saveexec_b64 s[8:9], vcc
	s_cbranch_execz .LBB106_98
; %bb.97:
	v_mov_b32_e32 v17, 0
	ds_read_b64 v[15:16], v17 offset:1040
	ds_read_b32 v18, v17 offset:1300
	s_waitcnt lgkmcnt(0)
	v_mul_f32_e32 v15, v15, v18
	v_mul_f32_e32 v15, v16, v15
	ds_write_b32 v17, v15 offset:1044
.LBB106_98:
	s_or_b64 exec, exec, s[8:9]
	v_mov_b32_e32 v15, 0
	s_waitcnt lgkmcnt(0)
	s_barrier
	s_and_saveexec_b64 s[10:11], s[0:1]
	s_cbranch_execz .LBB106_102
; %bb.99:
	v_mul_u32_u24_e32 v15, 0x104, v5
	ds_read_b32 v17, v1 offset:1048
	ds_read_b32 v15, v15 offset:1040
	v_mov_b32_e32 v16, 0
	v_cmp_gt_u32_e64 s[8:9], 2, v4
	s_waitcnt lgkmcnt(0)
	v_fma_f32 v15, v17, v15, 0
	s_and_saveexec_b64 s[12:13], s[8:9]
	s_cbranch_execz .LBB106_101
; %bb.100:
	v_lshlrev_b32_e32 v17, 2, v0
	ds_read_b32 v17, v17 offset:1304
	ds_read_b32 v16, v16 offset:1044
	s_waitcnt lgkmcnt(0)
	v_fmac_f32_e32 v15, v17, v16
.LBB106_101:
	s_or_b64 exec, exec, s[12:13]
	v_xor_b32_e32 v15, 0x80000000, v15
.LBB106_102:
	s_or_b64 exec, exec, s[10:11]
	s_and_saveexec_b64 s[8:9], s[36:37]
	s_cbranch_execz .LBB106_104
; %bb.103:
	v_mov_b32_e32 v16, 0
	ds_read_b32 v16, v16 offset:1560
	s_waitcnt lgkmcnt(0)
	v_mul_f32_e32 v15, v15, v16
	ds_write_b32 v3, v15
.LBB106_104:
	s_or_b64 exec, exec, s[8:9]
	s_waitcnt lgkmcnt(0)
	s_barrier
	s_and_saveexec_b64 s[8:9], s[34:35]
	s_cbranch_execz .LBB106_106
; %bb.105:
	v_mov_b32_e32 v16, 0
	ds_read_b32 v16, v16 offset:1564
	ds_read_b32 v17, v3
	s_waitcnt lgkmcnt(0)
	v_fmac_f32_e32 v15, v16, v17
.LBB106_106:
	s_or_b64 exec, exec, s[8:9]
	s_barrier
	s_and_saveexec_b64 s[8:9], s[34:35]
	s_cbranch_execz .LBB106_108
; %bb.107:
	v_mov_b32_e32 v16, 0
	ds_read_b32 v16, v16 offset:1820
	s_waitcnt lgkmcnt(0)
	v_mul_f32_e32 v15, v15, v16
	ds_write_b32 v3, v15
.LBB106_108:
	s_or_b64 exec, exec, s[8:9]
	s_waitcnt lgkmcnt(0)
	s_barrier
	s_barrier
	s_and_saveexec_b64 s[8:9], s[0:1]
; %bb.109:
	v_xor_b32_e32 v15, 0x80000000, v15
	ds_write_b32 v1, v15 offset:1048
; %bb.110:
	s_or_b64 exec, exec, s[8:9]
	s_waitcnt lgkmcnt(0)
	s_barrier
	s_barrier
	s_and_saveexec_b64 s[8:9], vcc
	s_cbranch_execz .LBB106_112
; %bb.111:
	v_mov_b32_e32 v17, 0
	ds_read_b64 v[15:16], v17 offset:1560
	ds_read_b32 v18, v17 offset:1820
	s_waitcnt lgkmcnt(0)
	v_mul_f32_e32 v15, v15, v18
	v_mul_f32_e32 v15, v16, v15
	ds_write_b32 v17, v15 offset:1564
.LBB106_112:
	s_or_b64 exec, exec, s[8:9]
	v_and_b32_e32 v18, 7, v0
	v_lshrrev_b32_e32 v19, 3, v4
	v_lshlrev_b32_e32 v16, 2, v18
	v_cmp_lt_u32_e64 s[8:9], 63, v4
	v_cmp_gt_u32_e64 s[14:15], 64, v4
	v_lshl_or_b32 v15, v19, 8, v16
	v_mov_b32_e32 v20, 0
	s_waitcnt lgkmcnt(0)
	s_barrier
	s_and_saveexec_b64 s[12:13], s[14:15]
	s_cbranch_execz .LBB106_122
; %bb.113:
	v_mul_u32_u24_e32 v20, 0x104, v19
	ds_read_b32 v17, v15 offset:32
	ds_read_b32 v21, v20
	v_cmp_gt_u32_e64 s[10:11], 56, v4
	s_waitcnt lgkmcnt(0)
	v_fma_f32 v17, v17, v21, 0
	s_and_saveexec_b64 s[16:17], s[10:11]
	s_cbranch_execnz .LBB106_1146
; %bb.114:
	s_or_b64 exec, exec, s[16:17]
	v_cmp_gt_u32_e64 s[10:11], 48, v4
	s_and_saveexec_b64 s[16:17], s[10:11]
	s_cbranch_execnz .LBB106_1147
.LBB106_115:
	s_or_b64 exec, exec, s[16:17]
	v_cmp_gt_u32_e64 s[10:11], 40, v4
	s_and_saveexec_b64 s[16:17], s[10:11]
	s_cbranch_execnz .LBB106_1148
.LBB106_116:
	s_or_b64 exec, exec, s[16:17]
	v_cmp_gt_u32_e64 s[10:11], 32, v4
	s_and_saveexec_b64 s[16:17], s[10:11]
	s_cbranch_execnz .LBB106_1149
.LBB106_117:
	s_or_b64 exec, exec, s[16:17]
	v_cmp_gt_u32_e64 s[10:11], 24, v4
	s_and_saveexec_b64 s[16:17], s[10:11]
	s_cbranch_execnz .LBB106_1150
.LBB106_118:
	s_or_b64 exec, exec, s[16:17]
	v_cmp_gt_u32_e64 s[10:11], 16, v4
	s_and_saveexec_b64 s[16:17], s[10:11]
	s_cbranch_execnz .LBB106_1151
.LBB106_119:
	s_or_b64 exec, exec, s[16:17]
	v_cmp_gt_u32_e64 s[10:11], 8, v4
	s_and_saveexec_b64 s[16:17], s[10:11]
	s_cbranch_execz .LBB106_121
.LBB106_120:
	v_lshlrev_b32_e32 v20, 2, v0
	v_mov_b32_e32 v21, 0
	ds_read_b32 v20, v20 offset:1824
	ds_read_b32 v21, v21 offset:28
	s_waitcnt lgkmcnt(0)
	v_fmac_f32_e32 v17, v20, v21
.LBB106_121:
	s_or_b64 exec, exec, s[16:17]
	v_xor_b32_e32 v20, 0x80000000, v17
.LBB106_122:
	v_writelane_b32 v33, s50, 1
	s_or_b64 exec, exec, s[12:13]
	v_mov_b32_e32 v17, 0x4000
	v_cmp_eq_u32_e64 s[10:11], 0, v18
	s_xor_b64 s[12:13], s[8:9], -1
	v_lshl_add_u32 v17, v19, 2, v17
	s_and_b64 s[50:51], s[10:11], s[12:13]
	s_and_saveexec_b64 s[8:9], s[50:51]
	s_cbranch_execz .LBB106_124
; %bb.123:
	v_mov_b32_e32 v21, 0
	ds_read_b32 v21, v21 offset:2080
	s_waitcnt lgkmcnt(0)
	v_mul_f32_e32 v20, v20, v21
	ds_write_b32 v17, v20
.LBB106_124:
	s_or_b64 exec, exec, s[8:9]
	v_cmp_ne_u32_e64 s[8:9], 0, v18
	s_and_b64 s[52:53], s[8:9], s[12:13]
	s_waitcnt lgkmcnt(0)
	s_barrier
	s_and_saveexec_b64 s[8:9], s[52:53]
	s_cbranch_execz .LBB106_126
; %bb.125:
	ds_read_b32 v21, v16 offset:2080
	ds_read_b32 v22, v17
	s_waitcnt lgkmcnt(0)
	v_fmac_f32_e32 v20, v21, v22
.LBB106_126:
	s_or_b64 exec, exec, s[8:9]
	v_cmp_eq_u32_e64 s[8:9], 1, v18
	s_and_b64 s[54:55], s[8:9], s[12:13]
	s_barrier
	s_and_saveexec_b64 s[8:9], s[54:55]
	s_cbranch_execz .LBB106_128
; %bb.127:
	v_mov_b32_e32 v21, 0
	ds_read_b32 v21, v21 offset:2340
	s_waitcnt lgkmcnt(0)
	v_mul_f32_e32 v20, v20, v21
	ds_write_b32 v17, v20
.LBB106_128:
	s_or_b64 exec, exec, s[8:9]
	v_cmp_lt_u32_e64 s[8:9], 1, v18
	s_and_b64 s[56:57], s[8:9], s[12:13]
	s_waitcnt lgkmcnt(0)
	s_barrier
	s_and_saveexec_b64 s[8:9], s[56:57]
	s_cbranch_execz .LBB106_130
; %bb.129:
	ds_read_b32 v21, v16 offset:2336
	ds_read_b32 v22, v17
	s_waitcnt lgkmcnt(0)
	v_fmac_f32_e32 v20, v21, v22
.LBB106_130:
	s_or_b64 exec, exec, s[8:9]
	v_cmp_eq_u32_e64 s[8:9], 2, v18
	s_and_b64 s[60:61], s[8:9], s[12:13]
	s_barrier
	s_and_saveexec_b64 s[8:9], s[60:61]
	s_cbranch_execz .LBB106_132
; %bb.131:
	v_mov_b32_e32 v21, 0
	ds_read_b32 v21, v21 offset:2600
	s_waitcnt lgkmcnt(0)
	v_mul_f32_e32 v20, v20, v21
	ds_write_b32 v17, v20
.LBB106_132:
	s_or_b64 exec, exec, s[8:9]
	v_cmp_lt_u32_e64 s[8:9], 2, v18
	;; [unrolled: 26-line block ×5, first 2 shown]
	s_and_b64 s[74:75], s[8:9], s[12:13]
	s_waitcnt lgkmcnt(0)
	s_barrier
	s_and_saveexec_b64 s[8:9], s[74:75]
	s_cbranch_execz .LBB106_146
; %bb.145:
	ds_read_b32 v21, v16 offset:3360
	ds_read_b32 v22, v17
	s_waitcnt lgkmcnt(0)
	v_fmac_f32_e32 v20, v21, v22
.LBB106_146:
	s_or_b64 exec, exec, s[8:9]
	v_cmp_eq_u32_e64 s[8:9], 6, v18
	s_and_b64 s[76:77], s[8:9], s[12:13]
	s_barrier
	s_and_saveexec_b64 s[8:9], s[76:77]
	s_cbranch_execz .LBB106_148
; %bb.147:
	v_mov_b32_e32 v21, 0
	ds_read_b32 v21, v21 offset:3640
	s_waitcnt lgkmcnt(0)
	v_mul_f32_e32 v20, v20, v21
	ds_write_b32 v17, v20
.LBB106_148:
	s_or_b64 exec, exec, s[8:9]
	v_cmp_eq_u32_e64 s[8:9], 7, v18
	s_and_b64 s[58:59], s[8:9], s[12:13]
	s_waitcnt lgkmcnt(0)
	s_barrier
	s_and_saveexec_b64 s[8:9], s[58:59]
	s_cbranch_execz .LBB106_150
; %bb.149:
	v_mov_b32_e32 v21, 0
	ds_read_b32 v21, v21 offset:3644
	ds_read_b32 v22, v17
	s_waitcnt lgkmcnt(0)
	v_fmac_f32_e32 v20, v21, v22
.LBB106_150:
	s_or_b64 exec, exec, s[8:9]
	s_barrier
	s_and_saveexec_b64 s[8:9], s[58:59]
	s_cbranch_execz .LBB106_152
; %bb.151:
	v_mov_b32_e32 v21, 0
	ds_read_b32 v21, v21 offset:3900
	s_waitcnt lgkmcnt(0)
	v_mul_f32_e32 v20, v20, v21
	ds_write_b32 v17, v20
.LBB106_152:
	s_or_b64 exec, exec, s[8:9]
	s_waitcnt lgkmcnt(0)
	s_barrier
	s_barrier
	s_and_saveexec_b64 s[8:9], s[14:15]
; %bb.153:
	v_xor_b32_e32 v20, 0x80000000, v20
	ds_write_b32 v15, v20 offset:32
; %bb.154:
	s_or_b64 exec, exec, s[8:9]
	s_waitcnt lgkmcnt(0)
	s_barrier
	s_barrier
	s_and_saveexec_b64 s[8:9], vcc
	s_cbranch_execz .LBB106_156
; %bb.155:
	v_mov_b32_e32 v22, 0
	ds_read_b64 v[20:21], v22 offset:2080
	ds_read_b32 v23, v22 offset:2340
	s_waitcnt lgkmcnt(0)
	v_mul_f32_e32 v20, v20, v23
	v_mul_f32_e32 v20, v21, v20
	ds_write_b32 v22, v20 offset:2084
.LBB106_156:
	s_or_b64 exec, exec, s[8:9]
	v_mov_b32_e32 v20, 0
	s_waitcnt lgkmcnt(0)
	s_barrier
	s_and_saveexec_b64 s[10:11], s[0:1]
	s_cbranch_execz .LBB106_160
; %bb.157:
	v_mul_u32_u24_e32 v20, 0x104, v5
	ds_read_b32 v22, v1 offset:2088
	ds_read_b32 v20, v20 offset:2080
	v_mov_b32_e32 v21, 0
	v_cmp_gt_u32_e64 s[8:9], 2, v4
	s_waitcnt lgkmcnt(0)
	v_fma_f32 v20, v22, v20, 0
	s_and_saveexec_b64 s[12:13], s[8:9]
	s_cbranch_execz .LBB106_159
; %bb.158:
	v_lshlrev_b32_e32 v22, 2, v0
	ds_read_b32 v22, v22 offset:2344
	ds_read_b32 v21, v21 offset:2084
	s_waitcnt lgkmcnt(0)
	v_fmac_f32_e32 v20, v22, v21
.LBB106_159:
	s_or_b64 exec, exec, s[12:13]
	v_xor_b32_e32 v20, 0x80000000, v20
.LBB106_160:
	s_or_b64 exec, exec, s[10:11]
	s_and_saveexec_b64 s[8:9], s[36:37]
	s_cbranch_execz .LBB106_162
; %bb.161:
	v_mov_b32_e32 v21, 0
	ds_read_b32 v21, v21 offset:2600
	s_waitcnt lgkmcnt(0)
	v_mul_f32_e32 v20, v20, v21
	ds_write_b32 v3, v20
.LBB106_162:
	s_or_b64 exec, exec, s[8:9]
	s_waitcnt lgkmcnt(0)
	s_barrier
	s_and_saveexec_b64 s[8:9], s[34:35]
	s_cbranch_execz .LBB106_164
; %bb.163:
	v_mov_b32_e32 v21, 0
	ds_read_b32 v21, v21 offset:2604
	ds_read_b32 v22, v3
	s_waitcnt lgkmcnt(0)
	v_fmac_f32_e32 v20, v21, v22
.LBB106_164:
	s_or_b64 exec, exec, s[8:9]
	s_barrier
	s_and_saveexec_b64 s[8:9], s[34:35]
	s_cbranch_execz .LBB106_166
; %bb.165:
	v_mov_b32_e32 v21, 0
	ds_read_b32 v21, v21 offset:2860
	s_waitcnt lgkmcnt(0)
	v_mul_f32_e32 v20, v20, v21
	ds_write_b32 v3, v20
.LBB106_166:
	s_or_b64 exec, exec, s[8:9]
	s_waitcnt lgkmcnt(0)
	s_barrier
	s_barrier
	s_and_saveexec_b64 s[8:9], s[0:1]
; %bb.167:
	v_xor_b32_e32 v20, 0x80000000, v20
	ds_write_b32 v1, v20 offset:2088
; %bb.168:
	s_or_b64 exec, exec, s[8:9]
	s_waitcnt lgkmcnt(0)
	s_barrier
	s_barrier
	s_and_saveexec_b64 s[8:9], vcc
	s_cbranch_execz .LBB106_170
; %bb.169:
	v_mov_b32_e32 v22, 0
	ds_read_b64 v[20:21], v22 offset:2600
	ds_read_b32 v23, v22 offset:2860
	s_waitcnt lgkmcnt(0)
	v_mul_f32_e32 v20, v20, v23
	v_mul_f32_e32 v20, v21, v20
	ds_write_b32 v22, v20 offset:2604
.LBB106_170:
	s_or_b64 exec, exec, s[8:9]
	v_mov_b32_e32 v20, 0
	s_waitcnt lgkmcnt(0)
	s_barrier
	s_and_saveexec_b64 s[10:11], s[2:3]
	s_cbranch_execz .LBB106_176
; %bb.171:
	v_mul_u32_u24_e32 v21, 0x104, v14
	ds_read_b32 v20, v6 offset:2096
	ds_read_b32 v22, v21 offset:2080
	v_cmp_gt_u32_e64 s[8:9], 12, v4
	s_waitcnt lgkmcnt(0)
	v_fma_f32 v20, v20, v22, 0
	s_and_saveexec_b64 s[12:13], s[8:9]
	s_cbranch_execnz .LBB106_1152
; %bb.172:
	s_or_b64 exec, exec, s[12:13]
	v_cmp_gt_u32_e64 s[8:9], 8, v4
	s_and_saveexec_b64 s[12:13], s[8:9]
	s_cbranch_execnz .LBB106_1153
.LBB106_173:
	s_or_b64 exec, exec, s[12:13]
	v_cmp_gt_u32_e64 s[8:9], 4, v4
	s_and_saveexec_b64 s[12:13], s[8:9]
	s_cbranch_execz .LBB106_175
.LBB106_174:
	v_lshlrev_b32_e32 v21, 2, v0
	v_mov_b32_e32 v22, 0
	ds_read_b32 v21, v21 offset:2864
	ds_read_b32 v22, v22 offset:2092
	s_waitcnt lgkmcnt(0)
	v_fmac_f32_e32 v20, v21, v22
.LBB106_175:
	s_or_b64 exec, exec, s[12:13]
	v_xor_b32_e32 v20, 0x80000000, v20
.LBB106_176:
	s_or_b64 exec, exec, s[10:11]
	s_and_saveexec_b64 s[8:9], s[40:41]
	s_cbranch_execz .LBB106_178
; %bb.177:
	v_mov_b32_e32 v21, 0
	ds_read_b32 v21, v21 offset:3120
	s_waitcnt lgkmcnt(0)
	v_mul_f32_e32 v20, v20, v21
	ds_write_b32 v12, v20
.LBB106_178:
	s_or_b64 exec, exec, s[8:9]
	s_waitcnt lgkmcnt(0)
	s_barrier
	s_and_saveexec_b64 s[8:9], s[42:43]
	s_cbranch_execz .LBB106_180
; %bb.179:
	ds_read_b32 v21, v11 offset:3120
	ds_read_b32 v22, v12
	s_waitcnt lgkmcnt(0)
	v_fmac_f32_e32 v20, v21, v22
.LBB106_180:
	s_or_b64 exec, exec, s[8:9]
	s_barrier
	s_and_saveexec_b64 s[8:9], s[44:45]
	s_cbranch_execz .LBB106_182
; %bb.181:
	v_mov_b32_e32 v21, 0
	ds_read_b32 v21, v21 offset:3380
	s_waitcnt lgkmcnt(0)
	v_mul_f32_e32 v20, v20, v21
	ds_write_b32 v12, v20
.LBB106_182:
	s_or_b64 exec, exec, s[8:9]
	s_waitcnt lgkmcnt(0)
	s_barrier
	s_and_saveexec_b64 s[8:9], s[46:47]
	s_cbranch_execz .LBB106_184
; %bb.183:
	ds_read_b32 v21, v11 offset:3376
	ds_read_b32 v22, v12
	s_waitcnt lgkmcnt(0)
	v_fmac_f32_e32 v20, v21, v22
.LBB106_184:
	s_or_b64 exec, exec, s[8:9]
	s_barrier
	s_and_saveexec_b64 s[8:9], s[48:49]
	s_cbranch_execz .LBB106_186
; %bb.185:
	v_mov_b32_e32 v21, 0
	ds_read_b32 v21, v21 offset:3640
	s_waitcnt lgkmcnt(0)
	v_mul_f32_e32 v20, v20, v21
	ds_write_b32 v12, v20
.LBB106_186:
	s_or_b64 exec, exec, s[8:9]
	s_waitcnt lgkmcnt(0)
	s_barrier
	s_and_saveexec_b64 s[8:9], s[38:39]
	s_cbranch_execz .LBB106_188
; %bb.187:
	v_mov_b32_e32 v21, 0
	ds_read_b32 v21, v21 offset:3644
	ds_read_b32 v22, v12
	s_waitcnt lgkmcnt(0)
	v_fmac_f32_e32 v20, v21, v22
.LBB106_188:
	s_or_b64 exec, exec, s[8:9]
	s_barrier
	s_and_saveexec_b64 s[8:9], s[38:39]
	s_cbranch_execz .LBB106_190
; %bb.189:
	v_mov_b32_e32 v21, 0
	ds_read_b32 v21, v21 offset:3900
	s_waitcnt lgkmcnt(0)
	v_mul_f32_e32 v20, v20, v21
	ds_write_b32 v12, v20
.LBB106_190:
	s_or_b64 exec, exec, s[8:9]
	s_waitcnt lgkmcnt(0)
	s_barrier
	s_barrier
	s_and_saveexec_b64 s[8:9], s[2:3]
; %bb.191:
	v_xor_b32_e32 v20, 0x80000000, v20
	ds_write_b32 v6, v20 offset:2096
; %bb.192:
	s_or_b64 exec, exec, s[8:9]
	s_waitcnt lgkmcnt(0)
	s_barrier
	s_barrier
	s_and_saveexec_b64 s[8:9], vcc
	s_cbranch_execz .LBB106_194
; %bb.193:
	v_mov_b32_e32 v22, 0
	ds_read_b64 v[20:21], v22 offset:3120
	ds_read_b32 v23, v22 offset:3380
	s_waitcnt lgkmcnt(0)
	v_mul_f32_e32 v20, v20, v23
	v_mul_f32_e32 v20, v21, v20
	ds_write_b32 v22, v20 offset:3124
.LBB106_194:
	s_or_b64 exec, exec, s[8:9]
	v_mov_b32_e32 v20, 0
	s_waitcnt lgkmcnt(0)
	s_barrier
	s_and_saveexec_b64 s[10:11], s[0:1]
	s_cbranch_execz .LBB106_198
; %bb.195:
	v_mul_u32_u24_e32 v20, 0x104, v5
	ds_read_b32 v22, v1 offset:3128
	ds_read_b32 v20, v20 offset:3120
	v_mov_b32_e32 v21, 0
	v_cmp_gt_u32_e64 s[8:9], 2, v4
	s_waitcnt lgkmcnt(0)
	v_fma_f32 v20, v22, v20, 0
	s_and_saveexec_b64 s[12:13], s[8:9]
	s_cbranch_execz .LBB106_197
; %bb.196:
	v_lshlrev_b32_e32 v22, 2, v0
	ds_read_b32 v22, v22 offset:3384
	ds_read_b32 v21, v21 offset:3124
	s_waitcnt lgkmcnt(0)
	v_fmac_f32_e32 v20, v22, v21
.LBB106_197:
	s_or_b64 exec, exec, s[12:13]
	v_xor_b32_e32 v20, 0x80000000, v20
.LBB106_198:
	s_or_b64 exec, exec, s[10:11]
	s_and_saveexec_b64 s[8:9], s[36:37]
	s_cbranch_execz .LBB106_200
; %bb.199:
	v_mov_b32_e32 v21, 0
	ds_read_b32 v21, v21 offset:3640
	s_waitcnt lgkmcnt(0)
	v_mul_f32_e32 v20, v20, v21
	ds_write_b32 v3, v20
.LBB106_200:
	s_or_b64 exec, exec, s[8:9]
	s_waitcnt lgkmcnt(0)
	s_barrier
	s_and_saveexec_b64 s[8:9], s[34:35]
	s_cbranch_execz .LBB106_202
; %bb.201:
	v_mov_b32_e32 v21, 0
	ds_read_b32 v21, v21 offset:3644
	ds_read_b32 v22, v3
	s_waitcnt lgkmcnt(0)
	v_fmac_f32_e32 v20, v21, v22
.LBB106_202:
	s_or_b64 exec, exec, s[8:9]
	s_barrier
	s_and_saveexec_b64 s[8:9], s[34:35]
	s_cbranch_execz .LBB106_204
; %bb.203:
	v_mov_b32_e32 v21, 0
	ds_read_b32 v21, v21 offset:3900
	s_waitcnt lgkmcnt(0)
	v_mul_f32_e32 v20, v20, v21
	ds_write_b32 v3, v20
.LBB106_204:
	s_or_b64 exec, exec, s[8:9]
	s_waitcnt lgkmcnt(0)
	s_barrier
	s_barrier
	s_and_saveexec_b64 s[8:9], s[0:1]
; %bb.205:
	v_xor_b32_e32 v20, 0x80000000, v20
	ds_write_b32 v1, v20 offset:3128
; %bb.206:
	s_or_b64 exec, exec, s[8:9]
	s_waitcnt lgkmcnt(0)
	s_barrier
	s_barrier
	s_and_saveexec_b64 s[8:9], vcc
	s_cbranch_execz .LBB106_208
; %bb.207:
	v_mov_b32_e32 v22, 0
	ds_read_b64 v[20:21], v22 offset:3640
	ds_read_b32 v23, v22 offset:3900
	s_waitcnt lgkmcnt(0)
	v_mul_f32_e32 v20, v20, v23
	v_mul_f32_e32 v20, v21, v20
	ds_write_b32 v22, v20 offset:3644
.LBB106_208:
	s_or_b64 exec, exec, s[8:9]
	v_lshrrev_b32_e32 v24, 4, v4
	v_and_b32_e32 v21, 15, v0
	s_movk_i32 s8, 0xff
	v_lshlrev_b32_e32 v23, 6, v24
	v_cmp_lt_u32_e64 s[10:11], s8, v4
	s_movk_i32 s8, 0x100
	v_or_b32_e32 v20, v23, v21
	v_cmp_gt_u32_e64 s[8:9], s8, v4
	v_lshlrev_b32_e32 v20, 2, v20
	v_mov_b32_e32 v25, 0
	s_waitcnt lgkmcnt(0)
	s_barrier
	s_and_saveexec_b64 s[16:17], s[8:9]
	s_cbranch_execz .LBB106_236
; %bb.209:
	v_mul_u32_u24_e32 v25, 0x104, v24
	ds_read_b32 v22, v20 offset:64
	ds_read_b32 v26, v25
	s_movk_i32 s12, 0xf0
	v_cmp_gt_u32_e64 s[12:13], s12, v4
	s_waitcnt lgkmcnt(0)
	v_fma_f32 v22, v22, v26, 0
	s_and_saveexec_b64 s[78:79], s[12:13]
	s_cbranch_execz .LBB106_211
; %bb.210:
	v_lshlrev_b32_e32 v26, 2, v24
	v_sub_u32_e32 v26, v25, v26
	v_lshl_add_u32 v26, v21, 2, v26
	ds_read_b32 v26, v26 offset:320
	ds_read_b32 v27, v25 offset:4
	s_waitcnt lgkmcnt(0)
	v_fmac_f32_e32 v22, v26, v27
.LBB106_211:
	s_or_b64 exec, exec, s[78:79]
	s_movk_i32 s12, 0xe0
	v_cmp_gt_u32_e64 s[12:13], s12, v4
	s_and_saveexec_b64 s[78:79], s[12:13]
	s_cbranch_execz .LBB106_213
; %bb.212:
	v_lshlrev_b32_e32 v26, 2, v24
	v_sub_u32_e32 v26, v25, v26
	v_lshl_add_u32 v26, v21, 2, v26
	ds_read_b32 v26, v26 offset:576
	ds_read_b32 v27, v25 offset:8
	s_waitcnt lgkmcnt(0)
	v_fmac_f32_e32 v22, v26, v27
.LBB106_213:
	s_or_b64 exec, exec, s[78:79]
	s_movk_i32 s12, 0xd0
	v_cmp_gt_u32_e64 s[12:13], s12, v4
	;; [unrolled: 14-line block ×7, first 2 shown]
	s_and_saveexec_b64 s[78:79], s[12:13]
	s_cbranch_execz .LBB106_225
; %bb.224:
	ds_read_b32 v26, v20 offset:2112
	ds_read_b32 v27, v25 offset:32
	s_waitcnt lgkmcnt(0)
	v_fmac_f32_e32 v22, v26, v27
.LBB106_225:
	s_or_b64 exec, exec, s[78:79]
	s_movk_i32 s12, 0x70
	v_cmp_gt_u32_e64 s[12:13], s12, v4
	s_and_saveexec_b64 s[78:79], s[12:13]
	s_cbranch_execz .LBB106_227
; %bb.226:
	v_lshlrev_b32_e32 v26, 2, v24
	v_sub_u32_e32 v26, v25, v26
	v_lshl_add_u32 v26, v21, 2, v26
	ds_read_b32 v26, v26 offset:2368
	ds_read_b32 v27, v25 offset:36
	s_waitcnt lgkmcnt(0)
	v_fmac_f32_e32 v22, v26, v27
.LBB106_227:
	s_or_b64 exec, exec, s[78:79]
	s_movk_i32 s12, 0x60
	v_cmp_gt_u32_e64 s[12:13], s12, v4
	s_and_saveexec_b64 s[78:79], s[12:13]
	s_cbranch_execz .LBB106_229
; %bb.228:
	v_lshlrev_b32_e32 v26, 2, v21
	v_lshl_add_u32 v26, v23, 2, v26
	ds_read_b32 v26, v26 offset:2624
	ds_read_b32 v27, v25 offset:40
	s_waitcnt lgkmcnt(0)
	v_fmac_f32_e32 v22, v26, v27
.LBB106_229:
	s_or_b64 exec, exec, s[78:79]
	s_movk_i32 s12, 0x50
	v_cmp_gt_u32_e64 s[12:13], s12, v4
	s_and_saveexec_b64 s[78:79], s[12:13]
	s_cbranch_execnz .LBB106_1154
; %bb.230:
	s_or_b64 exec, exec, s[78:79]
	v_cmp_gt_u32_e64 s[12:13], 64, v4
	s_and_saveexec_b64 s[78:79], s[12:13]
	s_cbranch_execnz .LBB106_1155
.LBB106_231:
	s_or_b64 exec, exec, s[78:79]
	v_cmp_gt_u32_e64 s[12:13], 48, v4
	s_and_saveexec_b64 s[78:79], s[12:13]
	s_cbranch_execnz .LBB106_1156
.LBB106_232:
	s_or_b64 exec, exec, s[78:79]
	v_cmp_gt_u32_e64 s[12:13], 32, v4
	s_and_saveexec_b64 s[78:79], s[12:13]
	s_cbranch_execnz .LBB106_1157
.LBB106_233:
	s_or_b64 exec, exec, s[78:79]
	v_cmp_gt_u32_e64 s[12:13], 16, v4
	s_and_saveexec_b64 s[78:79], s[12:13]
	s_cbranch_execz .LBB106_235
.LBB106_234:
	v_lshlrev_b32_e32 v25, 2, v0
	v_mov_b32_e32 v26, 0
	ds_read_b32 v25, v25 offset:3904
	ds_read_b32 v26, v26 offset:60
	s_waitcnt lgkmcnt(0)
	v_fmac_f32_e32 v22, v25, v26
.LBB106_235:
	s_or_b64 exec, exec, s[78:79]
	v_xor_b32_e32 v25, 0x80000000, v22
.LBB106_236:
	s_or_b64 exec, exec, s[16:17]
	v_mov_b32_e32 v22, 0x4000
	v_lshl_add_u32 v22, v24, 2, v22
	v_cmp_eq_u32_e64 s[12:13], 0, v21
	s_xor_b64 s[16:17], s[10:11], -1
	s_and_b64 s[12:13], s[12:13], s[16:17]
	s_mov_b64 s[10:11], exec
	v_writelane_b32 v33, s12, 2
	v_writelane_b32 v33, s13, 3
	s_and_b64 s[12:13], s[10:11], s[12:13]
	s_mov_b64 exec, s[12:13]
	s_cbranch_execz .LBB106_238
; %bb.237:
	v_mov_b32_e32 v26, 0
	ds_read_b32 v26, v26 offset:4160
	s_waitcnt lgkmcnt(0)
	v_mul_f32_e32 v25, v25, v26
	ds_write_b32 v22, v25
.LBB106_238:
	s_or_b64 exec, exec, s[10:11]
	v_cmp_ne_u32_e64 s[10:11], 0, v21
	s_waitcnt lgkmcnt(0)
	s_barrier
	s_and_b64 s[12:13], s[10:11], s[16:17]
	s_mov_b64 s[10:11], exec
	v_writelane_b32 v33, s12, 4
	v_writelane_b32 v33, s13, 5
	s_and_b64 s[12:13], s[10:11], s[12:13]
	s_mov_b64 exec, s[12:13]
	s_cbranch_execz .LBB106_240
; %bb.239:
	v_lshlrev_b32_e32 v26, 2, v21
	ds_read_b32 v26, v26 offset:4160
	ds_read_b32 v27, v22
	s_waitcnt lgkmcnt(0)
	v_fmac_f32_e32 v25, v26, v27
.LBB106_240:
	s_or_b64 exec, exec, s[10:11]
	v_cmp_eq_u32_e64 s[10:11], 1, v21
	s_barrier
	s_and_b64 s[12:13], s[10:11], s[16:17]
	s_mov_b64 s[10:11], exec
	v_writelane_b32 v33, s12, 6
	v_writelane_b32 v33, s13, 7
	s_and_b64 s[12:13], s[10:11], s[12:13]
	s_mov_b64 exec, s[12:13]
	s_cbranch_execz .LBB106_242
; %bb.241:
	v_mov_b32_e32 v26, 0
	ds_read_b32 v26, v26 offset:4420
	s_waitcnt lgkmcnt(0)
	v_mul_f32_e32 v25, v25, v26
	ds_write_b32 v22, v25
.LBB106_242:
	s_or_b64 exec, exec, s[10:11]
	v_cmp_lt_u32_e64 s[10:11], 1, v21
	s_waitcnt lgkmcnt(0)
	s_barrier
	s_and_b64 s[12:13], s[10:11], s[16:17]
	s_mov_b64 s[10:11], exec
	v_writelane_b32 v33, s12, 8
	v_writelane_b32 v33, s13, 9
	s_and_b64 s[12:13], s[10:11], s[12:13]
	s_mov_b64 exec, s[12:13]
	s_cbranch_execz .LBB106_244
; %bb.243:
	v_lshlrev_b32_e32 v26, 2, v21
	ds_read_b32 v26, v26 offset:4416
	ds_read_b32 v27, v22
	s_waitcnt lgkmcnt(0)
	v_fmac_f32_e32 v25, v26, v27
.LBB106_244:
	s_or_b64 exec, exec, s[10:11]
	v_cmp_eq_u32_e64 s[10:11], 2, v21
	s_barrier
	s_and_b64 s[12:13], s[10:11], s[16:17]
	s_mov_b64 s[10:11], exec
	v_writelane_b32 v33, s12, 10
	v_writelane_b32 v33, s13, 11
	s_and_b64 s[12:13], s[10:11], s[12:13]
	s_mov_b64 exec, s[12:13]
	s_cbranch_execz .LBB106_246
; %bb.245:
	v_mov_b32_e32 v26, 0
	ds_read_b32 v26, v26 offset:4680
	s_waitcnt lgkmcnt(0)
	v_mul_f32_e32 v25, v25, v26
	ds_write_b32 v22, v25
.LBB106_246:
	s_or_b64 exec, exec, s[10:11]
	v_cmp_lt_u32_e64 s[10:11], 2, v21
	;; [unrolled: 35-line block ×12, first 2 shown]
	s_and_b64 s[94:95], s[10:11], s[16:17]
	s_waitcnt lgkmcnt(0)
	s_barrier
	s_and_saveexec_b64 s[10:11], s[94:95]
	s_cbranch_execz .LBB106_288
; %bb.287:
	v_lshlrev_b32_e32 v26, 2, v21
	ds_read_b32 v26, v26 offset:7232
	ds_read_b32 v27, v22
	s_waitcnt lgkmcnt(0)
	v_fmac_f32_e32 v25, v26, v27
.LBB106_288:
	s_or_b64 exec, exec, s[10:11]
	v_cmp_eq_u32_e64 s[10:11], 13, v21
	s_and_b64 s[78:79], s[10:11], s[16:17]
	s_barrier
	s_and_saveexec_b64 s[10:11], s[78:79]
	s_cbranch_execz .LBB106_290
; %bb.289:
	v_mov_b32_e32 v26, 0
	ds_read_b32 v26, v26 offset:7540
	s_waitcnt lgkmcnt(0)
	v_mul_f32_e32 v25, v25, v26
	ds_write_b32 v22, v25
.LBB106_290:
	s_or_b64 exec, exec, s[10:11]
	v_cmp_lt_u32_e64 s[10:11], 13, v21
	s_and_b64 s[80:81], s[10:11], s[16:17]
	s_waitcnt lgkmcnt(0)
	s_barrier
	s_and_saveexec_b64 s[10:11], s[80:81]
	s_cbranch_execz .LBB106_292
; %bb.291:
	v_lshlrev_b32_e32 v26, 2, v21
	ds_read_b32 v26, v26 offset:7488
	ds_read_b32 v27, v22
	s_waitcnt lgkmcnt(0)
	v_fmac_f32_e32 v25, v26, v27
.LBB106_292:
	s_or_b64 exec, exec, s[10:11]
	v_cmp_eq_u32_e64 s[10:11], 14, v21
	s_and_b64 s[84:85], s[10:11], s[16:17]
	s_barrier
	s_and_saveexec_b64 s[10:11], s[84:85]
	s_cbranch_execz .LBB106_294
; %bb.293:
	v_mov_b32_e32 v26, 0
	ds_read_b32 v26, v26 offset:7800
	s_waitcnt lgkmcnt(0)
	v_mul_f32_e32 v25, v25, v26
	ds_write_b32 v22, v25
.LBB106_294:
	s_or_b64 exec, exec, s[10:11]
	v_cmp_eq_u32_e64 s[10:11], 15, v21
	s_and_b64 s[82:83], s[10:11], s[16:17]
	s_waitcnt lgkmcnt(0)
	s_barrier
	s_and_saveexec_b64 s[10:11], s[82:83]
	s_cbranch_execz .LBB106_296
; %bb.295:
	v_mov_b32_e32 v26, 0
	ds_read_b32 v26, v26 offset:7804
	ds_read_b32 v27, v22
	s_waitcnt lgkmcnt(0)
	v_fmac_f32_e32 v25, v26, v27
.LBB106_296:
	s_or_b64 exec, exec, s[10:11]
	s_barrier
	s_and_saveexec_b64 s[10:11], s[82:83]
	s_cbranch_execz .LBB106_298
; %bb.297:
	v_mov_b32_e32 v26, 0
	ds_read_b32 v26, v26 offset:8060
	s_waitcnt lgkmcnt(0)
	v_mul_f32_e32 v25, v25, v26
	ds_write_b32 v22, v25
.LBB106_298:
	s_or_b64 exec, exec, s[10:11]
	s_waitcnt lgkmcnt(0)
	s_barrier
	s_barrier
	s_and_saveexec_b64 s[10:11], s[8:9]
; %bb.299:
	v_xor_b32_e32 v25, 0x80000000, v25
	ds_write_b32 v20, v25 offset:64
; %bb.300:
	s_or_b64 exec, exec, s[10:11]
	s_waitcnt lgkmcnt(0)
	s_barrier
	s_barrier
	s_and_saveexec_b64 s[10:11], vcc
	s_cbranch_execz .LBB106_302
; %bb.301:
	v_mov_b32_e32 v27, 0
	ds_read_b64 v[25:26], v27 offset:4160
	ds_read_b32 v28, v27 offset:4420
	s_waitcnt lgkmcnt(0)
	v_mul_f32_e32 v25, v25, v28
	v_mul_f32_e32 v25, v26, v25
	ds_write_b32 v27, v25 offset:4164
.LBB106_302:
	s_or_b64 exec, exec, s[10:11]
	v_mov_b32_e32 v25, 0
	s_waitcnt lgkmcnt(0)
	s_barrier
	s_and_saveexec_b64 s[12:13], s[0:1]
	s_cbranch_execz .LBB106_306
; %bb.303:
	v_mul_u32_u24_e32 v25, 0x104, v5
	ds_read_b32 v27, v1 offset:4168
	ds_read_b32 v25, v25 offset:4160
	v_mov_b32_e32 v26, 0
	v_cmp_gt_u32_e64 s[10:11], 2, v4
	s_waitcnt lgkmcnt(0)
	v_fma_f32 v25, v27, v25, 0
	s_and_saveexec_b64 s[16:17], s[10:11]
	s_cbranch_execz .LBB106_305
; %bb.304:
	v_lshlrev_b32_e32 v27, 2, v0
	ds_read_b32 v27, v27 offset:4424
	ds_read_b32 v26, v26 offset:4164
	s_waitcnt lgkmcnt(0)
	v_fmac_f32_e32 v25, v27, v26
.LBB106_305:
	s_or_b64 exec, exec, s[16:17]
	v_xor_b32_e32 v25, 0x80000000, v25
.LBB106_306:
	s_or_b64 exec, exec, s[12:13]
	s_and_saveexec_b64 s[10:11], s[36:37]
	s_cbranch_execz .LBB106_308
; %bb.307:
	v_mov_b32_e32 v26, 0
	ds_read_b32 v26, v26 offset:4680
	s_waitcnt lgkmcnt(0)
	v_mul_f32_e32 v25, v25, v26
	ds_write_b32 v3, v25
.LBB106_308:
	s_or_b64 exec, exec, s[10:11]
	s_waitcnt lgkmcnt(0)
	s_barrier
	s_and_saveexec_b64 s[10:11], s[34:35]
	s_cbranch_execz .LBB106_310
; %bb.309:
	v_mov_b32_e32 v26, 0
	ds_read_b32 v26, v26 offset:4684
	ds_read_b32 v27, v3
	s_waitcnt lgkmcnt(0)
	v_fmac_f32_e32 v25, v26, v27
.LBB106_310:
	s_or_b64 exec, exec, s[10:11]
	s_barrier
	s_and_saveexec_b64 s[10:11], s[34:35]
	s_cbranch_execz .LBB106_312
; %bb.311:
	v_mov_b32_e32 v26, 0
	ds_read_b32 v26, v26 offset:4940
	s_waitcnt lgkmcnt(0)
	v_mul_f32_e32 v25, v25, v26
	ds_write_b32 v3, v25
.LBB106_312:
	s_or_b64 exec, exec, s[10:11]
	s_waitcnt lgkmcnt(0)
	s_barrier
	s_barrier
	s_and_saveexec_b64 s[10:11], s[0:1]
; %bb.313:
	v_xor_b32_e32 v25, 0x80000000, v25
	ds_write_b32 v1, v25 offset:4168
; %bb.314:
	s_or_b64 exec, exec, s[10:11]
	s_waitcnt lgkmcnt(0)
	s_barrier
	s_barrier
	s_and_saveexec_b64 s[10:11], vcc
	s_cbranch_execz .LBB106_316
; %bb.315:
	v_mov_b32_e32 v27, 0
	ds_read_b64 v[25:26], v27 offset:4680
	ds_read_b32 v28, v27 offset:4940
	s_waitcnt lgkmcnt(0)
	v_mul_f32_e32 v25, v25, v28
	v_mul_f32_e32 v25, v26, v25
	ds_write_b32 v27, v25 offset:4684
.LBB106_316:
	s_or_b64 exec, exec, s[10:11]
	v_mov_b32_e32 v25, 0
	s_waitcnt lgkmcnt(0)
	s_barrier
	s_and_saveexec_b64 s[12:13], s[2:3]
	s_cbranch_execz .LBB106_322
; %bb.317:
	v_mul_u32_u24_e32 v26, 0x104, v14
	ds_read_b32 v25, v6 offset:4176
	ds_read_b32 v27, v26 offset:4160
	v_cmp_gt_u32_e64 s[10:11], 12, v4
	s_waitcnt lgkmcnt(0)
	v_fma_f32 v25, v25, v27, 0
	s_and_saveexec_b64 s[16:17], s[10:11]
	s_cbranch_execnz .LBB106_1158
; %bb.318:
	s_or_b64 exec, exec, s[16:17]
	v_cmp_gt_u32_e64 s[10:11], 8, v4
	s_and_saveexec_b64 s[16:17], s[10:11]
	s_cbranch_execnz .LBB106_1159
.LBB106_319:
	s_or_b64 exec, exec, s[16:17]
	v_cmp_gt_u32_e64 s[10:11], 4, v4
	s_and_saveexec_b64 s[16:17], s[10:11]
	s_cbranch_execz .LBB106_321
.LBB106_320:
	v_lshlrev_b32_e32 v26, 2, v0
	v_mov_b32_e32 v27, 0
	ds_read_b32 v26, v26 offset:4944
	ds_read_b32 v27, v27 offset:4172
	s_waitcnt lgkmcnt(0)
	v_fmac_f32_e32 v25, v26, v27
.LBB106_321:
	s_or_b64 exec, exec, s[16:17]
	v_xor_b32_e32 v25, 0x80000000, v25
.LBB106_322:
	s_or_b64 exec, exec, s[12:13]
	s_and_saveexec_b64 s[10:11], s[40:41]
	s_cbranch_execz .LBB106_324
; %bb.323:
	v_mov_b32_e32 v26, 0
	ds_read_b32 v26, v26 offset:5200
	s_waitcnt lgkmcnt(0)
	v_mul_f32_e32 v25, v25, v26
	ds_write_b32 v12, v25
.LBB106_324:
	s_or_b64 exec, exec, s[10:11]
	s_waitcnt lgkmcnt(0)
	s_barrier
	s_and_saveexec_b64 s[10:11], s[42:43]
	s_cbranch_execz .LBB106_326
; %bb.325:
	ds_read_b32 v26, v11 offset:5200
	ds_read_b32 v27, v12
	s_waitcnt lgkmcnt(0)
	v_fmac_f32_e32 v25, v26, v27
.LBB106_326:
	s_or_b64 exec, exec, s[10:11]
	s_barrier
	s_and_saveexec_b64 s[10:11], s[44:45]
	s_cbranch_execz .LBB106_328
; %bb.327:
	v_mov_b32_e32 v26, 0
	ds_read_b32 v26, v26 offset:5460
	s_waitcnt lgkmcnt(0)
	v_mul_f32_e32 v25, v25, v26
	ds_write_b32 v12, v25
.LBB106_328:
	s_or_b64 exec, exec, s[10:11]
	s_waitcnt lgkmcnt(0)
	s_barrier
	s_and_saveexec_b64 s[10:11], s[46:47]
	s_cbranch_execz .LBB106_330
; %bb.329:
	ds_read_b32 v26, v11 offset:5456
	ds_read_b32 v27, v12
	s_waitcnt lgkmcnt(0)
	v_fmac_f32_e32 v25, v26, v27
.LBB106_330:
	s_or_b64 exec, exec, s[10:11]
	s_barrier
	s_and_saveexec_b64 s[10:11], s[48:49]
	s_cbranch_execz .LBB106_332
; %bb.331:
	v_mov_b32_e32 v26, 0
	ds_read_b32 v26, v26 offset:5720
	s_waitcnt lgkmcnt(0)
	v_mul_f32_e32 v25, v25, v26
	ds_write_b32 v12, v25
.LBB106_332:
	s_or_b64 exec, exec, s[10:11]
	s_waitcnt lgkmcnt(0)
	s_barrier
	s_and_saveexec_b64 s[10:11], s[38:39]
	s_cbranch_execz .LBB106_334
; %bb.333:
	v_mov_b32_e32 v26, 0
	ds_read_b32 v26, v26 offset:5724
	ds_read_b32 v27, v12
	s_waitcnt lgkmcnt(0)
	v_fmac_f32_e32 v25, v26, v27
.LBB106_334:
	s_or_b64 exec, exec, s[10:11]
	s_barrier
	s_and_saveexec_b64 s[10:11], s[38:39]
	s_cbranch_execz .LBB106_336
; %bb.335:
	v_mov_b32_e32 v26, 0
	ds_read_b32 v26, v26 offset:5980
	s_waitcnt lgkmcnt(0)
	v_mul_f32_e32 v25, v25, v26
	ds_write_b32 v12, v25
.LBB106_336:
	s_or_b64 exec, exec, s[10:11]
	s_waitcnt lgkmcnt(0)
	s_barrier
	s_barrier
	s_and_saveexec_b64 s[10:11], s[2:3]
; %bb.337:
	v_xor_b32_e32 v25, 0x80000000, v25
	ds_write_b32 v6, v25 offset:4176
; %bb.338:
	s_or_b64 exec, exec, s[10:11]
	s_waitcnt lgkmcnt(0)
	s_barrier
	s_barrier
	s_and_saveexec_b64 s[10:11], vcc
	s_cbranch_execz .LBB106_340
; %bb.339:
	v_mov_b32_e32 v27, 0
	ds_read_b64 v[25:26], v27 offset:5200
	ds_read_b32 v28, v27 offset:5460
	s_waitcnt lgkmcnt(0)
	v_mul_f32_e32 v25, v25, v28
	v_mul_f32_e32 v25, v26, v25
	ds_write_b32 v27, v25 offset:5204
.LBB106_340:
	s_or_b64 exec, exec, s[10:11]
	v_mov_b32_e32 v25, 0
	s_waitcnt lgkmcnt(0)
	s_barrier
	s_and_saveexec_b64 s[12:13], s[0:1]
	s_cbranch_execz .LBB106_344
; %bb.341:
	v_mul_u32_u24_e32 v25, 0x104, v5
	ds_read_b32 v27, v1 offset:5208
	ds_read_b32 v25, v25 offset:5200
	v_mov_b32_e32 v26, 0
	v_cmp_gt_u32_e64 s[10:11], 2, v4
	s_waitcnt lgkmcnt(0)
	v_fma_f32 v25, v27, v25, 0
	s_and_saveexec_b64 s[16:17], s[10:11]
	s_cbranch_execz .LBB106_343
; %bb.342:
	v_lshlrev_b32_e32 v27, 2, v0
	ds_read_b32 v27, v27 offset:5464
	ds_read_b32 v26, v26 offset:5204
	s_waitcnt lgkmcnt(0)
	v_fmac_f32_e32 v25, v27, v26
.LBB106_343:
	s_or_b64 exec, exec, s[16:17]
	v_xor_b32_e32 v25, 0x80000000, v25
.LBB106_344:
	s_or_b64 exec, exec, s[12:13]
	s_and_saveexec_b64 s[10:11], s[36:37]
	s_cbranch_execz .LBB106_346
; %bb.345:
	v_mov_b32_e32 v26, 0
	ds_read_b32 v26, v26 offset:5720
	s_waitcnt lgkmcnt(0)
	v_mul_f32_e32 v25, v25, v26
	ds_write_b32 v3, v25
.LBB106_346:
	s_or_b64 exec, exec, s[10:11]
	s_waitcnt lgkmcnt(0)
	s_barrier
	s_and_saveexec_b64 s[10:11], s[34:35]
	s_cbranch_execz .LBB106_348
; %bb.347:
	v_mov_b32_e32 v26, 0
	ds_read_b32 v26, v26 offset:5724
	ds_read_b32 v27, v3
	s_waitcnt lgkmcnt(0)
	v_fmac_f32_e32 v25, v26, v27
.LBB106_348:
	s_or_b64 exec, exec, s[10:11]
	s_barrier
	s_and_saveexec_b64 s[10:11], s[34:35]
	s_cbranch_execz .LBB106_350
; %bb.349:
	v_mov_b32_e32 v26, 0
	ds_read_b32 v26, v26 offset:5980
	s_waitcnt lgkmcnt(0)
	v_mul_f32_e32 v25, v25, v26
	ds_write_b32 v3, v25
.LBB106_350:
	s_or_b64 exec, exec, s[10:11]
	s_waitcnt lgkmcnt(0)
	s_barrier
	s_barrier
	s_and_saveexec_b64 s[10:11], s[0:1]
; %bb.351:
	v_xor_b32_e32 v25, 0x80000000, v25
	ds_write_b32 v1, v25 offset:5208
; %bb.352:
	s_or_b64 exec, exec, s[10:11]
	s_waitcnt lgkmcnt(0)
	s_barrier
	s_barrier
	s_and_saveexec_b64 s[10:11], vcc
	s_cbranch_execz .LBB106_354
; %bb.353:
	v_mov_b32_e32 v27, 0
	ds_read_b64 v[25:26], v27 offset:5720
	ds_read_b32 v28, v27 offset:5980
	s_waitcnt lgkmcnt(0)
	v_mul_f32_e32 v25, v25, v28
	v_mul_f32_e32 v25, v26, v25
	ds_write_b32 v27, v25 offset:5724
.LBB106_354:
	s_or_b64 exec, exec, s[10:11]
	v_mov_b32_e32 v25, 0
	s_waitcnt lgkmcnt(0)
	s_barrier
	s_and_saveexec_b64 s[12:13], s[14:15]
	s_cbranch_execz .LBB106_364
; %bb.355:
	v_mul_u32_u24_e32 v26, 0x104, v19
	ds_read_b32 v25, v15 offset:4192
	ds_read_b32 v27, v26 offset:4160
	v_cmp_gt_u32_e64 s[10:11], 56, v4
	s_waitcnt lgkmcnt(0)
	v_fma_f32 v25, v25, v27, 0
	s_and_saveexec_b64 s[16:17], s[10:11]
	s_cbranch_execnz .LBB106_1160
; %bb.356:
	s_or_b64 exec, exec, s[16:17]
	v_cmp_gt_u32_e64 s[10:11], 48, v4
	s_and_saveexec_b64 s[16:17], s[10:11]
	s_cbranch_execnz .LBB106_1161
.LBB106_357:
	s_or_b64 exec, exec, s[16:17]
	v_cmp_gt_u32_e64 s[10:11], 40, v4
	s_and_saveexec_b64 s[16:17], s[10:11]
	s_cbranch_execnz .LBB106_1162
.LBB106_358:
	s_or_b64 exec, exec, s[16:17]
	v_cmp_gt_u32_e64 s[10:11], 32, v4
	s_and_saveexec_b64 s[16:17], s[10:11]
	s_cbranch_execnz .LBB106_1163
.LBB106_359:
	s_or_b64 exec, exec, s[16:17]
	v_cmp_gt_u32_e64 s[10:11], 24, v4
	s_and_saveexec_b64 s[16:17], s[10:11]
	s_cbranch_execnz .LBB106_1164
.LBB106_360:
	s_or_b64 exec, exec, s[16:17]
	v_cmp_gt_u32_e64 s[10:11], 16, v4
	s_and_saveexec_b64 s[16:17], s[10:11]
	s_cbranch_execnz .LBB106_1165
.LBB106_361:
	s_or_b64 exec, exec, s[16:17]
	v_cmp_gt_u32_e64 s[10:11], 8, v4
	s_and_saveexec_b64 s[16:17], s[10:11]
	s_cbranch_execz .LBB106_363
.LBB106_362:
	v_lshlrev_b32_e32 v26, 2, v0
	v_mov_b32_e32 v27, 0
	ds_read_b32 v26, v26 offset:5984
	ds_read_b32 v27, v27 offset:4188
	s_waitcnt lgkmcnt(0)
	v_fmac_f32_e32 v25, v26, v27
.LBB106_363:
	s_or_b64 exec, exec, s[16:17]
	v_xor_b32_e32 v25, 0x80000000, v25
.LBB106_364:
	s_or_b64 exec, exec, s[12:13]
	s_and_saveexec_b64 s[10:11], s[50:51]
	s_cbranch_execz .LBB106_366
; %bb.365:
	v_mov_b32_e32 v26, 0
	ds_read_b32 v26, v26 offset:6240
	s_waitcnt lgkmcnt(0)
	v_mul_f32_e32 v25, v25, v26
	ds_write_b32 v17, v25
.LBB106_366:
	s_or_b64 exec, exec, s[10:11]
	s_waitcnt lgkmcnt(0)
	s_barrier
	s_and_saveexec_b64 s[10:11], s[52:53]
	s_cbranch_execz .LBB106_368
; %bb.367:
	ds_read_b32 v26, v16 offset:6240
	ds_read_b32 v27, v17
	s_waitcnt lgkmcnt(0)
	v_fmac_f32_e32 v25, v26, v27
.LBB106_368:
	s_or_b64 exec, exec, s[10:11]
	s_barrier
	s_and_saveexec_b64 s[10:11], s[54:55]
	s_cbranch_execz .LBB106_370
; %bb.369:
	v_mov_b32_e32 v26, 0
	ds_read_b32 v26, v26 offset:6500
	s_waitcnt lgkmcnt(0)
	v_mul_f32_e32 v25, v25, v26
	ds_write_b32 v17, v25
.LBB106_370:
	s_or_b64 exec, exec, s[10:11]
	s_waitcnt lgkmcnt(0)
	s_barrier
	s_and_saveexec_b64 s[10:11], s[56:57]
	s_cbranch_execz .LBB106_372
; %bb.371:
	ds_read_b32 v26, v16 offset:6496
	ds_read_b32 v27, v17
	s_waitcnt lgkmcnt(0)
	v_fmac_f32_e32 v25, v26, v27
.LBB106_372:
	s_or_b64 exec, exec, s[10:11]
	s_barrier
	;; [unrolled: 22-line block ×6, first 2 shown]
	s_and_saveexec_b64 s[10:11], s[76:77]
	s_cbranch_execz .LBB106_390
; %bb.389:
	v_mov_b32_e32 v26, 0
	ds_read_b32 v26, v26 offset:7800
	s_waitcnt lgkmcnt(0)
	v_mul_f32_e32 v25, v25, v26
	ds_write_b32 v17, v25
.LBB106_390:
	s_or_b64 exec, exec, s[10:11]
	s_waitcnt lgkmcnt(0)
	s_barrier
	s_and_saveexec_b64 s[10:11], s[58:59]
	s_cbranch_execz .LBB106_392
; %bb.391:
	v_mov_b32_e32 v26, 0
	ds_read_b32 v26, v26 offset:7804
	ds_read_b32 v27, v17
	s_waitcnt lgkmcnt(0)
	v_fmac_f32_e32 v25, v26, v27
.LBB106_392:
	s_or_b64 exec, exec, s[10:11]
	s_barrier
	s_and_saveexec_b64 s[10:11], s[58:59]
	s_cbranch_execz .LBB106_394
; %bb.393:
	v_mov_b32_e32 v26, 0
	ds_read_b32 v26, v26 offset:8060
	s_waitcnt lgkmcnt(0)
	v_mul_f32_e32 v25, v25, v26
	ds_write_b32 v17, v25
.LBB106_394:
	s_or_b64 exec, exec, s[10:11]
	s_waitcnt lgkmcnt(0)
	s_barrier
	s_barrier
	s_and_saveexec_b64 s[10:11], s[14:15]
; %bb.395:
	v_xor_b32_e32 v25, 0x80000000, v25
	ds_write_b32 v15, v25 offset:4192
; %bb.396:
	s_or_b64 exec, exec, s[10:11]
	s_waitcnt lgkmcnt(0)
	s_barrier
	s_barrier
	s_and_saveexec_b64 s[10:11], vcc
	s_cbranch_execz .LBB106_398
; %bb.397:
	v_mov_b32_e32 v27, 0
	ds_read_b64 v[25:26], v27 offset:6240
	ds_read_b32 v28, v27 offset:6500
	s_waitcnt lgkmcnt(0)
	v_mul_f32_e32 v25, v25, v28
	v_mul_f32_e32 v25, v26, v25
	ds_write_b32 v27, v25 offset:6244
.LBB106_398:
	s_or_b64 exec, exec, s[10:11]
	v_mov_b32_e32 v25, 0
	s_waitcnt lgkmcnt(0)
	s_barrier
	s_and_saveexec_b64 s[12:13], s[0:1]
	s_cbranch_execz .LBB106_402
; %bb.399:
	v_mul_u32_u24_e32 v25, 0x104, v5
	ds_read_b32 v27, v1 offset:6248
	ds_read_b32 v25, v25 offset:6240
	v_mov_b32_e32 v26, 0
	v_cmp_gt_u32_e64 s[10:11], 2, v4
	s_waitcnt lgkmcnt(0)
	v_fma_f32 v25, v27, v25, 0
	s_and_saveexec_b64 s[16:17], s[10:11]
	s_cbranch_execz .LBB106_401
; %bb.400:
	v_lshlrev_b32_e32 v27, 2, v0
	ds_read_b32 v27, v27 offset:6504
	ds_read_b32 v26, v26 offset:6244
	s_waitcnt lgkmcnt(0)
	v_fmac_f32_e32 v25, v27, v26
.LBB106_401:
	s_or_b64 exec, exec, s[16:17]
	v_xor_b32_e32 v25, 0x80000000, v25
.LBB106_402:
	s_or_b64 exec, exec, s[12:13]
	s_and_saveexec_b64 s[10:11], s[36:37]
	s_cbranch_execz .LBB106_404
; %bb.403:
	v_mov_b32_e32 v26, 0
	ds_read_b32 v26, v26 offset:6760
	s_waitcnt lgkmcnt(0)
	v_mul_f32_e32 v25, v25, v26
	ds_write_b32 v3, v25
.LBB106_404:
	s_or_b64 exec, exec, s[10:11]
	s_waitcnt lgkmcnt(0)
	s_barrier
	s_and_saveexec_b64 s[10:11], s[34:35]
	s_cbranch_execz .LBB106_406
; %bb.405:
	v_mov_b32_e32 v26, 0
	ds_read_b32 v26, v26 offset:6764
	ds_read_b32 v27, v3
	s_waitcnt lgkmcnt(0)
	v_fmac_f32_e32 v25, v26, v27
.LBB106_406:
	s_or_b64 exec, exec, s[10:11]
	s_barrier
	s_and_saveexec_b64 s[10:11], s[34:35]
	s_cbranch_execz .LBB106_408
; %bb.407:
	v_mov_b32_e32 v26, 0
	ds_read_b32 v26, v26 offset:7020
	s_waitcnt lgkmcnt(0)
	v_mul_f32_e32 v25, v25, v26
	ds_write_b32 v3, v25
.LBB106_408:
	s_or_b64 exec, exec, s[10:11]
	s_waitcnt lgkmcnt(0)
	s_barrier
	s_barrier
	s_and_saveexec_b64 s[10:11], s[0:1]
; %bb.409:
	v_xor_b32_e32 v25, 0x80000000, v25
	ds_write_b32 v1, v25 offset:6248
; %bb.410:
	s_or_b64 exec, exec, s[10:11]
	s_waitcnt lgkmcnt(0)
	s_barrier
	s_barrier
	s_and_saveexec_b64 s[10:11], vcc
	s_cbranch_execz .LBB106_412
; %bb.411:
	v_mov_b32_e32 v27, 0
	ds_read_b64 v[25:26], v27 offset:6760
	ds_read_b32 v28, v27 offset:7020
	s_waitcnt lgkmcnt(0)
	v_mul_f32_e32 v25, v25, v28
	v_mul_f32_e32 v25, v26, v25
	ds_write_b32 v27, v25 offset:6764
.LBB106_412:
	s_or_b64 exec, exec, s[10:11]
	v_mov_b32_e32 v25, 0
	s_waitcnt lgkmcnt(0)
	s_barrier
	s_and_saveexec_b64 s[12:13], s[2:3]
	s_cbranch_execz .LBB106_418
; %bb.413:
	v_mul_u32_u24_e32 v26, 0x104, v14
	ds_read_b32 v25, v6 offset:6256
	ds_read_b32 v27, v26 offset:6240
	v_cmp_gt_u32_e64 s[10:11], 12, v4
	s_waitcnt lgkmcnt(0)
	v_fma_f32 v25, v25, v27, 0
	s_and_saveexec_b64 s[16:17], s[10:11]
	s_cbranch_execnz .LBB106_1166
; %bb.414:
	s_or_b64 exec, exec, s[16:17]
	v_cmp_gt_u32_e64 s[10:11], 8, v4
	s_and_saveexec_b64 s[16:17], s[10:11]
	s_cbranch_execnz .LBB106_1167
.LBB106_415:
	s_or_b64 exec, exec, s[16:17]
	v_cmp_gt_u32_e64 s[10:11], 4, v4
	s_and_saveexec_b64 s[16:17], s[10:11]
	s_cbranch_execz .LBB106_417
.LBB106_416:
	v_lshlrev_b32_e32 v26, 2, v0
	v_mov_b32_e32 v27, 0
	ds_read_b32 v26, v26 offset:7024
	ds_read_b32 v27, v27 offset:6252
	s_waitcnt lgkmcnt(0)
	v_fmac_f32_e32 v25, v26, v27
.LBB106_417:
	s_or_b64 exec, exec, s[16:17]
	v_xor_b32_e32 v25, 0x80000000, v25
.LBB106_418:
	s_or_b64 exec, exec, s[12:13]
	s_and_saveexec_b64 s[10:11], s[40:41]
	s_cbranch_execz .LBB106_420
; %bb.419:
	v_mov_b32_e32 v26, 0
	ds_read_b32 v26, v26 offset:7280
	s_waitcnt lgkmcnt(0)
	v_mul_f32_e32 v25, v25, v26
	ds_write_b32 v12, v25
.LBB106_420:
	s_or_b64 exec, exec, s[10:11]
	s_waitcnt lgkmcnt(0)
	s_barrier
	s_and_saveexec_b64 s[10:11], s[42:43]
	s_cbranch_execz .LBB106_422
; %bb.421:
	ds_read_b32 v26, v11 offset:7280
	ds_read_b32 v27, v12
	s_waitcnt lgkmcnt(0)
	v_fmac_f32_e32 v25, v26, v27
.LBB106_422:
	s_or_b64 exec, exec, s[10:11]
	s_barrier
	s_and_saveexec_b64 s[10:11], s[44:45]
	s_cbranch_execz .LBB106_424
; %bb.423:
	v_mov_b32_e32 v26, 0
	ds_read_b32 v26, v26 offset:7540
	s_waitcnt lgkmcnt(0)
	v_mul_f32_e32 v25, v25, v26
	ds_write_b32 v12, v25
.LBB106_424:
	s_or_b64 exec, exec, s[10:11]
	s_waitcnt lgkmcnt(0)
	s_barrier
	s_and_saveexec_b64 s[10:11], s[46:47]
	s_cbranch_execz .LBB106_426
; %bb.425:
	ds_read_b32 v26, v11 offset:7536
	ds_read_b32 v27, v12
	s_waitcnt lgkmcnt(0)
	v_fmac_f32_e32 v25, v26, v27
.LBB106_426:
	s_or_b64 exec, exec, s[10:11]
	s_barrier
	s_and_saveexec_b64 s[10:11], s[48:49]
	s_cbranch_execz .LBB106_428
; %bb.427:
	v_mov_b32_e32 v26, 0
	ds_read_b32 v26, v26 offset:7800
	s_waitcnt lgkmcnt(0)
	v_mul_f32_e32 v25, v25, v26
	ds_write_b32 v12, v25
.LBB106_428:
	s_or_b64 exec, exec, s[10:11]
	s_waitcnt lgkmcnt(0)
	s_barrier
	s_and_saveexec_b64 s[10:11], s[38:39]
	s_cbranch_execz .LBB106_430
; %bb.429:
	v_mov_b32_e32 v26, 0
	ds_read_b32 v26, v26 offset:7804
	ds_read_b32 v27, v12
	s_waitcnt lgkmcnt(0)
	v_fmac_f32_e32 v25, v26, v27
.LBB106_430:
	s_or_b64 exec, exec, s[10:11]
	s_barrier
	s_and_saveexec_b64 s[10:11], s[38:39]
	s_cbranch_execz .LBB106_432
; %bb.431:
	v_mov_b32_e32 v26, 0
	ds_read_b32 v26, v26 offset:8060
	s_waitcnt lgkmcnt(0)
	v_mul_f32_e32 v25, v25, v26
	ds_write_b32 v12, v25
.LBB106_432:
	s_or_b64 exec, exec, s[10:11]
	s_waitcnt lgkmcnt(0)
	s_barrier
	s_barrier
	s_and_saveexec_b64 s[10:11], s[2:3]
; %bb.433:
	v_xor_b32_e32 v25, 0x80000000, v25
	ds_write_b32 v6, v25 offset:6256
; %bb.434:
	s_or_b64 exec, exec, s[10:11]
	s_waitcnt lgkmcnt(0)
	s_barrier
	s_barrier
	s_and_saveexec_b64 s[10:11], vcc
	s_cbranch_execz .LBB106_436
; %bb.435:
	v_mov_b32_e32 v27, 0
	ds_read_b64 v[25:26], v27 offset:7280
	ds_read_b32 v28, v27 offset:7540
	s_waitcnt lgkmcnt(0)
	v_mul_f32_e32 v25, v25, v28
	v_mul_f32_e32 v25, v26, v25
	ds_write_b32 v27, v25 offset:7284
.LBB106_436:
	s_or_b64 exec, exec, s[10:11]
	v_mov_b32_e32 v25, 0
	s_waitcnt lgkmcnt(0)
	s_barrier
	s_and_saveexec_b64 s[12:13], s[0:1]
	s_cbranch_execz .LBB106_440
; %bb.437:
	v_mul_u32_u24_e32 v25, 0x104, v5
	ds_read_b32 v27, v1 offset:7288
	ds_read_b32 v25, v25 offset:7280
	v_mov_b32_e32 v26, 0
	v_cmp_gt_u32_e64 s[10:11], 2, v4
	s_waitcnt lgkmcnt(0)
	v_fma_f32 v25, v27, v25, 0
	s_and_saveexec_b64 s[16:17], s[10:11]
	s_cbranch_execz .LBB106_439
; %bb.438:
	v_lshlrev_b32_e32 v27, 2, v0
	ds_read_b32 v27, v27 offset:7544
	ds_read_b32 v26, v26 offset:7284
	s_waitcnt lgkmcnt(0)
	v_fmac_f32_e32 v25, v27, v26
.LBB106_439:
	s_or_b64 exec, exec, s[16:17]
	v_xor_b32_e32 v25, 0x80000000, v25
.LBB106_440:
	s_or_b64 exec, exec, s[12:13]
	s_and_saveexec_b64 s[10:11], s[36:37]
	s_cbranch_execz .LBB106_442
; %bb.441:
	v_mov_b32_e32 v26, 0
	ds_read_b32 v26, v26 offset:7800
	s_waitcnt lgkmcnt(0)
	v_mul_f32_e32 v25, v25, v26
	ds_write_b32 v3, v25
.LBB106_442:
	s_or_b64 exec, exec, s[10:11]
	s_waitcnt lgkmcnt(0)
	s_barrier
	s_and_saveexec_b64 s[10:11], s[34:35]
	s_cbranch_execz .LBB106_444
; %bb.443:
	v_mov_b32_e32 v26, 0
	ds_read_b32 v26, v26 offset:7804
	ds_read_b32 v27, v3
	s_waitcnt lgkmcnt(0)
	v_fmac_f32_e32 v25, v26, v27
.LBB106_444:
	s_or_b64 exec, exec, s[10:11]
	s_barrier
	s_and_saveexec_b64 s[10:11], s[34:35]
	s_cbranch_execz .LBB106_446
; %bb.445:
	v_mov_b32_e32 v26, 0
	ds_read_b32 v26, v26 offset:8060
	s_waitcnt lgkmcnt(0)
	v_mul_f32_e32 v25, v25, v26
	ds_write_b32 v3, v25
.LBB106_446:
	s_or_b64 exec, exec, s[10:11]
	s_waitcnt lgkmcnt(0)
	s_barrier
	s_barrier
	s_and_saveexec_b64 s[10:11], s[0:1]
; %bb.447:
	v_xor_b32_e32 v25, 0x80000000, v25
	ds_write_b32 v1, v25 offset:7288
; %bb.448:
	s_or_b64 exec, exec, s[10:11]
	s_waitcnt lgkmcnt(0)
	s_barrier
	s_barrier
	s_and_saveexec_b64 s[10:11], vcc
	s_cbranch_execz .LBB106_450
; %bb.449:
	v_mov_b32_e32 v27, 0
	ds_read_b64 v[25:26], v27 offset:7800
	ds_read_b32 v28, v27 offset:8060
	s_waitcnt lgkmcnt(0)
	v_mul_f32_e32 v25, v25, v28
	v_mul_f32_e32 v25, v26, v25
	ds_write_b32 v27, v25 offset:7804
.LBB106_450:
	s_or_b64 exec, exec, s[10:11]
	v_and_b32_e32 v26, 31, v0
	s_movk_i32 s10, 0x3ff
	v_lshrrev_b32_e32 v29, 5, v4
	v_cmp_lt_u32_e64 s[12:13], s10, v4
	s_movk_i32 s10, 0x400
	v_lshlrev_b32_e32 v27, 2, v26
	v_cmp_gt_u32_e64 s[10:11], s10, v4
	v_lshl_or_b32 v25, v29, 8, v27
	v_mov_b32_e32 v28, 0
	s_waitcnt lgkmcnt(0)
	s_barrier
	s_and_saveexec_b64 s[86:87], s[10:11]
	s_cbranch_execz .LBB106_512
; %bb.451:
	v_mul_u32_u24_e32 v30, 0x104, v29
	ds_read_b32 v28, v25 offset:128
	ds_read_b32 v31, v30
	s_movk_i32 s16, 0x3e0
	v_cmp_gt_u32_e64 s[16:17], s16, v4
	s_waitcnt lgkmcnt(0)
	v_fma_f32 v28, v28, v31, 0
	s_and_saveexec_b64 s[88:89], s[16:17]
	s_cbranch_execz .LBB106_453
; %bb.452:
	ds_read_b32 v31, v25 offset:384
	ds_read_b32 v32, v30 offset:4
	s_waitcnt lgkmcnt(0)
	v_fmac_f32_e32 v28, v31, v32
.LBB106_453:
	s_or_b64 exec, exec, s[88:89]
	s_movk_i32 s16, 0x3c0
	v_cmp_gt_u32_e64 s[16:17], s16, v4
	s_and_saveexec_b64 s[88:89], s[16:17]
	s_cbranch_execz .LBB106_455
; %bb.454:
	ds_read_b32 v31, v25 offset:640
	ds_read_b32 v32, v30 offset:8
	s_waitcnt lgkmcnt(0)
	v_fmac_f32_e32 v28, v31, v32
.LBB106_455:
	s_or_b64 exec, exec, s[88:89]
	s_movk_i32 s16, 0x3a0
	v_cmp_gt_u32_e64 s[16:17], s16, v4
	s_and_saveexec_b64 s[88:89], s[16:17]
	s_cbranch_execz .LBB106_457
; %bb.456:
	ds_read_b32 v31, v25 offset:896
	ds_read_b32 v32, v30 offset:12
	s_waitcnt lgkmcnt(0)
	v_fmac_f32_e32 v28, v31, v32
.LBB106_457:
	s_or_b64 exec, exec, s[88:89]
	s_movk_i32 s16, 0x380
	v_cmp_gt_u32_e64 s[16:17], s16, v4
	s_and_saveexec_b64 s[88:89], s[16:17]
	s_cbranch_execz .LBB106_459
; %bb.458:
	ds_read_b32 v31, v25 offset:1152
	ds_read_b32 v32, v30 offset:16
	s_waitcnt lgkmcnt(0)
	v_fmac_f32_e32 v28, v31, v32
.LBB106_459:
	s_or_b64 exec, exec, s[88:89]
	s_movk_i32 s16, 0x360
	v_cmp_gt_u32_e64 s[16:17], s16, v4
	s_and_saveexec_b64 s[88:89], s[16:17]
	s_cbranch_execz .LBB106_461
; %bb.460:
	ds_read_b32 v31, v25 offset:1408
	ds_read_b32 v32, v30 offset:20
	s_waitcnt lgkmcnt(0)
	v_fmac_f32_e32 v28, v31, v32
.LBB106_461:
	s_or_b64 exec, exec, s[88:89]
	s_movk_i32 s16, 0x340
	v_cmp_gt_u32_e64 s[16:17], s16, v4
	s_and_saveexec_b64 s[88:89], s[16:17]
	s_cbranch_execz .LBB106_463
; %bb.462:
	ds_read_b32 v31, v25 offset:1664
	ds_read_b32 v32, v30 offset:24
	s_waitcnt lgkmcnt(0)
	v_fmac_f32_e32 v28, v31, v32
.LBB106_463:
	s_or_b64 exec, exec, s[88:89]
	s_movk_i32 s16, 0x320
	v_cmp_gt_u32_e64 s[16:17], s16, v4
	s_and_saveexec_b64 s[88:89], s[16:17]
	s_cbranch_execz .LBB106_465
; %bb.464:
	ds_read_b32 v31, v25 offset:1920
	ds_read_b32 v32, v30 offset:28
	s_waitcnt lgkmcnt(0)
	v_fmac_f32_e32 v28, v31, v32
.LBB106_465:
	s_or_b64 exec, exec, s[88:89]
	s_movk_i32 s16, 0x300
	v_cmp_gt_u32_e64 s[16:17], s16, v4
	s_and_saveexec_b64 s[88:89], s[16:17]
	s_cbranch_execz .LBB106_467
; %bb.466:
	ds_read_b32 v31, v25 offset:2176
	ds_read_b32 v32, v30 offset:32
	s_waitcnt lgkmcnt(0)
	v_fmac_f32_e32 v28, v31, v32
.LBB106_467:
	s_or_b64 exec, exec, s[88:89]
	s_movk_i32 s16, 0x2e0
	v_cmp_gt_u32_e64 s[16:17], s16, v4
	s_and_saveexec_b64 s[88:89], s[16:17]
	s_cbranch_execz .LBB106_469
; %bb.468:
	ds_read_b32 v31, v25 offset:2432
	ds_read_b32 v32, v30 offset:36
	s_waitcnt lgkmcnt(0)
	v_fmac_f32_e32 v28, v31, v32
.LBB106_469:
	s_or_b64 exec, exec, s[88:89]
	s_movk_i32 s16, 0x2c0
	v_cmp_gt_u32_e64 s[16:17], s16, v4
	s_and_saveexec_b64 s[88:89], s[16:17]
	s_cbranch_execz .LBB106_471
; %bb.470:
	ds_read_b32 v31, v25 offset:2688
	ds_read_b32 v32, v30 offset:40
	s_waitcnt lgkmcnt(0)
	v_fmac_f32_e32 v28, v31, v32
.LBB106_471:
	s_or_b64 exec, exec, s[88:89]
	s_movk_i32 s16, 0x2a0
	v_cmp_gt_u32_e64 s[16:17], s16, v4
	s_and_saveexec_b64 s[88:89], s[16:17]
	s_cbranch_execz .LBB106_473
; %bb.472:
	ds_read_b32 v31, v25 offset:2944
	ds_read_b32 v32, v30 offset:44
	s_waitcnt lgkmcnt(0)
	v_fmac_f32_e32 v28, v31, v32
.LBB106_473:
	s_or_b64 exec, exec, s[88:89]
	s_movk_i32 s16, 0x280
	v_cmp_gt_u32_e64 s[16:17], s16, v4
	s_and_saveexec_b64 s[88:89], s[16:17]
	s_cbranch_execz .LBB106_475
; %bb.474:
	ds_read_b32 v31, v25 offset:3200
	ds_read_b32 v32, v30 offset:48
	s_waitcnt lgkmcnt(0)
	v_fmac_f32_e32 v28, v31, v32
.LBB106_475:
	s_or_b64 exec, exec, s[88:89]
	s_movk_i32 s16, 0x260
	v_cmp_gt_u32_e64 s[16:17], s16, v4
	s_and_saveexec_b64 s[88:89], s[16:17]
	s_cbranch_execz .LBB106_477
; %bb.476:
	ds_read_b32 v31, v25 offset:3456
	ds_read_b32 v32, v30 offset:52
	s_waitcnt lgkmcnt(0)
	v_fmac_f32_e32 v28, v31, v32
.LBB106_477:
	s_or_b64 exec, exec, s[88:89]
	s_movk_i32 s16, 0x240
	v_cmp_gt_u32_e64 s[16:17], s16, v4
	s_and_saveexec_b64 s[88:89], s[16:17]
	s_cbranch_execz .LBB106_479
; %bb.478:
	ds_read_b32 v31, v25 offset:3712
	ds_read_b32 v32, v30 offset:56
	s_waitcnt lgkmcnt(0)
	v_fmac_f32_e32 v28, v31, v32
.LBB106_479:
	s_or_b64 exec, exec, s[88:89]
	s_movk_i32 s16, 0x220
	v_cmp_gt_u32_e64 s[16:17], s16, v4
	s_and_saveexec_b64 s[88:89], s[16:17]
	s_cbranch_execz .LBB106_481
; %bb.480:
	ds_read_b32 v31, v25 offset:3968
	ds_read_b32 v32, v30 offset:60
	s_waitcnt lgkmcnt(0)
	v_fmac_f32_e32 v28, v31, v32
.LBB106_481:
	s_or_b64 exec, exec, s[88:89]
	s_movk_i32 s16, 0x200
	v_cmp_gt_u32_e64 s[16:17], s16, v4
	s_and_saveexec_b64 s[88:89], s[16:17]
	s_cbranch_execz .LBB106_483
; %bb.482:
	ds_read_b32 v31, v25 offset:4224
	ds_read_b32 v32, v30 offset:64
	s_waitcnt lgkmcnt(0)
	v_fmac_f32_e32 v28, v31, v32
.LBB106_483:
	s_or_b64 exec, exec, s[88:89]
	s_movk_i32 s16, 0x1e0
	v_cmp_gt_u32_e64 s[16:17], s16, v4
	s_and_saveexec_b64 s[88:89], s[16:17]
	s_cbranch_execz .LBB106_485
; %bb.484:
	ds_read_b32 v31, v25 offset:4480
	ds_read_b32 v32, v30 offset:68
	s_waitcnt lgkmcnt(0)
	v_fmac_f32_e32 v28, v31, v32
.LBB106_485:
	s_or_b64 exec, exec, s[88:89]
	s_movk_i32 s16, 0x1c0
	v_cmp_gt_u32_e64 s[16:17], s16, v4
	s_and_saveexec_b64 s[88:89], s[16:17]
	s_cbranch_execz .LBB106_487
; %bb.486:
	ds_read_b32 v31, v25 offset:4736
	ds_read_b32 v32, v30 offset:72
	s_waitcnt lgkmcnt(0)
	v_fmac_f32_e32 v28, v31, v32
.LBB106_487:
	s_or_b64 exec, exec, s[88:89]
	s_movk_i32 s16, 0x1a0
	v_cmp_gt_u32_e64 s[16:17], s16, v4
	s_and_saveexec_b64 s[88:89], s[16:17]
	s_cbranch_execz .LBB106_489
; %bb.488:
	ds_read_b32 v31, v25 offset:4992
	ds_read_b32 v32, v30 offset:76
	s_waitcnt lgkmcnt(0)
	v_fmac_f32_e32 v28, v31, v32
.LBB106_489:
	s_or_b64 exec, exec, s[88:89]
	s_movk_i32 s16, 0x180
	v_cmp_gt_u32_e64 s[16:17], s16, v4
	s_and_saveexec_b64 s[88:89], s[16:17]
	s_cbranch_execz .LBB106_491
; %bb.490:
	ds_read_b32 v31, v25 offset:5248
	ds_read_b32 v32, v30 offset:80
	s_waitcnt lgkmcnt(0)
	v_fmac_f32_e32 v28, v31, v32
.LBB106_491:
	s_or_b64 exec, exec, s[88:89]
	s_movk_i32 s16, 0x160
	v_cmp_gt_u32_e64 s[16:17], s16, v4
	s_and_saveexec_b64 s[88:89], s[16:17]
	s_cbranch_execz .LBB106_493
; %bb.492:
	ds_read_b32 v31, v25 offset:5504
	ds_read_b32 v32, v30 offset:84
	s_waitcnt lgkmcnt(0)
	v_fmac_f32_e32 v28, v31, v32
.LBB106_493:
	s_or_b64 exec, exec, s[88:89]
	s_movk_i32 s16, 0x140
	v_cmp_gt_u32_e64 s[16:17], s16, v4
	s_and_saveexec_b64 s[88:89], s[16:17]
	s_cbranch_execz .LBB106_495
; %bb.494:
	ds_read_b32 v31, v25 offset:5760
	ds_read_b32 v32, v30 offset:88
	s_waitcnt lgkmcnt(0)
	v_fmac_f32_e32 v28, v31, v32
.LBB106_495:
	s_or_b64 exec, exec, s[88:89]
	s_movk_i32 s16, 0x120
	v_cmp_gt_u32_e64 s[16:17], s16, v4
	s_and_saveexec_b64 s[88:89], s[16:17]
	s_cbranch_execz .LBB106_497
; %bb.496:
	ds_read_b32 v31, v25 offset:6016
	ds_read_b32 v32, v30 offset:92
	s_waitcnt lgkmcnt(0)
	v_fmac_f32_e32 v28, v31, v32
.LBB106_497:
	s_or_b64 exec, exec, s[88:89]
	s_movk_i32 s16, 0x100
	v_cmp_gt_u32_e64 s[16:17], s16, v4
	s_and_saveexec_b64 s[88:89], s[16:17]
	s_cbranch_execz .LBB106_499
; %bb.498:
	ds_read_b32 v31, v25 offset:6272
	ds_read_b32 v32, v30 offset:96
	s_waitcnt lgkmcnt(0)
	v_fmac_f32_e32 v28, v31, v32
.LBB106_499:
	s_or_b64 exec, exec, s[88:89]
	s_movk_i32 s16, 0xe0
	v_cmp_gt_u32_e64 s[16:17], s16, v4
	s_and_saveexec_b64 s[88:89], s[16:17]
	s_cbranch_execz .LBB106_501
; %bb.500:
	ds_read_b32 v31, v25 offset:6528
	ds_read_b32 v32, v30 offset:100
	s_waitcnt lgkmcnt(0)
	v_fmac_f32_e32 v28, v31, v32
.LBB106_501:
	s_or_b64 exec, exec, s[88:89]
	s_movk_i32 s16, 0xc0
	v_cmp_gt_u32_e64 s[16:17], s16, v4
	s_and_saveexec_b64 s[88:89], s[16:17]
	s_cbranch_execz .LBB106_503
; %bb.502:
	ds_read_b32 v31, v25 offset:6784
	ds_read_b32 v32, v30 offset:104
	s_waitcnt lgkmcnt(0)
	v_fmac_f32_e32 v28, v31, v32
.LBB106_503:
	s_or_b64 exec, exec, s[88:89]
	s_movk_i32 s16, 0xa0
	v_cmp_gt_u32_e64 s[16:17], s16, v4
	s_and_saveexec_b64 s[88:89], s[16:17]
	s_cbranch_execz .LBB106_505
; %bb.504:
	ds_read_b32 v31, v25 offset:7040
	ds_read_b32 v32, v30 offset:108
	s_waitcnt lgkmcnt(0)
	v_fmac_f32_e32 v28, v31, v32
.LBB106_505:
	s_or_b64 exec, exec, s[88:89]
	s_movk_i32 s16, 0x80
	v_cmp_gt_u32_e64 s[16:17], s16, v4
	s_and_saveexec_b64 s[88:89], s[16:17]
	s_cbranch_execz .LBB106_507
; %bb.506:
	ds_read_b32 v31, v25 offset:7296
	ds_read_b32 v32, v30 offset:112
	s_waitcnt lgkmcnt(0)
	v_fmac_f32_e32 v28, v31, v32
.LBB106_507:
	s_or_b64 exec, exec, s[88:89]
	s_movk_i32 s16, 0x60
	v_cmp_gt_u32_e64 s[16:17], s16, v4
	s_and_saveexec_b64 s[88:89], s[16:17]
	s_cbranch_execnz .LBB106_1168
; %bb.508:
	s_or_b64 exec, exec, s[88:89]
	v_cmp_gt_u32_e64 s[16:17], 64, v4
	s_and_saveexec_b64 s[88:89], s[16:17]
	s_cbranch_execnz .LBB106_1169
.LBB106_509:
	s_or_b64 exec, exec, s[88:89]
	v_cmp_gt_u32_e64 s[16:17], 32, v4
	s_and_saveexec_b64 s[88:89], s[16:17]
	s_cbranch_execz .LBB106_511
.LBB106_510:
	v_lshlrev_b32_e32 v30, 2, v0
	v_mov_b32_e32 v31, 0
	ds_read_b32 v30, v30 offset:8064
	ds_read_b32 v31, v31 offset:124
	s_waitcnt lgkmcnt(0)
	v_fmac_f32_e32 v28, v30, v31
.LBB106_511:
	s_or_b64 exec, exec, s[88:89]
	v_xor_b32_e32 v28, 0x80000000, v28
.LBB106_512:
	s_or_b64 exec, exec, s[86:87]
	v_mov_b32_e32 v30, 0x4000
	v_cmp_eq_u32_e64 s[16:17], 0, v26
	s_xor_b64 s[86:87], s[12:13], -1
	v_lshl_or_b32 v29, v29, 2, v30
	s_and_b64 s[16:17], s[16:17], s[86:87]
	s_and_saveexec_b64 s[12:13], s[16:17]
	s_cbranch_execz .LBB106_514
; %bb.513:
	v_mov_b32_e32 v30, 0
	ds_read_b32 v30, v30 offset:8320
	s_waitcnt lgkmcnt(0)
	v_mul_f32_e32 v28, v28, v30
	ds_write_b32 v29, v28
.LBB106_514:
	s_or_b64 exec, exec, s[12:13]
	v_cmp_ne_u32_e64 s[12:13], 0, v26
	s_and_b64 s[16:17], s[12:13], s[86:87]
	s_waitcnt lgkmcnt(0)
	s_barrier
	s_and_saveexec_b64 s[12:13], s[16:17]
	s_cbranch_execz .LBB106_516
; %bb.515:
	ds_read_b32 v30, v27 offset:8320
	ds_read_b32 v31, v29
	s_waitcnt lgkmcnt(0)
	v_fmac_f32_e32 v28, v30, v31
.LBB106_516:
	s_or_b64 exec, exec, s[12:13]
	v_cmp_eq_u32_e64 s[12:13], 1, v26
	s_and_b64 s[16:17], s[12:13], s[86:87]
	s_barrier
	s_and_saveexec_b64 s[12:13], s[16:17]
	s_cbranch_execz .LBB106_518
; %bb.517:
	v_mov_b32_e32 v30, 0
	ds_read_b32 v30, v30 offset:8580
	s_waitcnt lgkmcnt(0)
	v_mul_f32_e32 v28, v28, v30
	ds_write_b32 v29, v28
.LBB106_518:
	s_or_b64 exec, exec, s[12:13]
	v_cmp_lt_u32_e64 s[12:13], 1, v26
	s_and_b64 s[16:17], s[12:13], s[86:87]
	s_waitcnt lgkmcnt(0)
	s_barrier
	s_and_saveexec_b64 s[12:13], s[16:17]
	s_cbranch_execz .LBB106_520
; %bb.519:
	ds_read_b32 v30, v27 offset:8576
	ds_read_b32 v31, v29
	s_waitcnt lgkmcnt(0)
	v_fmac_f32_e32 v28, v30, v31
.LBB106_520:
	s_or_b64 exec, exec, s[12:13]
	v_cmp_eq_u32_e64 s[12:13], 2, v26
	s_and_b64 s[16:17], s[12:13], s[86:87]
	s_barrier
	s_and_saveexec_b64 s[12:13], s[16:17]
	s_cbranch_execz .LBB106_522
; %bb.521:
	v_mov_b32_e32 v30, 0
	ds_read_b32 v30, v30 offset:8840
	s_waitcnt lgkmcnt(0)
	v_mul_f32_e32 v28, v28, v30
	ds_write_b32 v29, v28
.LBB106_522:
	s_or_b64 exec, exec, s[12:13]
	v_cmp_lt_u32_e64 s[12:13], 2, v26
	s_and_b64 s[16:17], s[12:13], s[86:87]
	s_waitcnt lgkmcnt(0)
	s_barrier
	s_and_saveexec_b64 s[12:13], s[16:17]
	s_cbranch_execz .LBB106_524
; %bb.523:
	ds_read_b32 v30, v27 offset:8832
	ds_read_b32 v31, v29
	s_waitcnt lgkmcnt(0)
	v_fmac_f32_e32 v28, v30, v31
.LBB106_524:
	s_or_b64 exec, exec, s[12:13]
	v_cmp_eq_u32_e64 s[12:13], 3, v26
	s_and_b64 s[16:17], s[12:13], s[86:87]
	s_barrier
	s_and_saveexec_b64 s[12:13], s[16:17]
	s_cbranch_execz .LBB106_526
; %bb.525:
	v_mov_b32_e32 v30, 0
	ds_read_b32 v30, v30 offset:9100
	s_waitcnt lgkmcnt(0)
	v_mul_f32_e32 v28, v28, v30
	ds_write_b32 v29, v28
.LBB106_526:
	s_or_b64 exec, exec, s[12:13]
	v_cmp_lt_u32_e64 s[12:13], 3, v26
	s_and_b64 s[16:17], s[12:13], s[86:87]
	s_waitcnt lgkmcnt(0)
	s_barrier
	s_and_saveexec_b64 s[12:13], s[16:17]
	s_cbranch_execz .LBB106_528
; %bb.527:
	ds_read_b32 v30, v27 offset:9088
	ds_read_b32 v31, v29
	s_waitcnt lgkmcnt(0)
	v_fmac_f32_e32 v28, v30, v31
.LBB106_528:
	s_or_b64 exec, exec, s[12:13]
	v_cmp_eq_u32_e64 s[12:13], 4, v26
	s_and_b64 s[16:17], s[12:13], s[86:87]
	s_barrier
	s_and_saveexec_b64 s[12:13], s[16:17]
	s_cbranch_execz .LBB106_530
; %bb.529:
	v_mov_b32_e32 v30, 0
	ds_read_b32 v30, v30 offset:9360
	s_waitcnt lgkmcnt(0)
	v_mul_f32_e32 v28, v28, v30
	ds_write_b32 v29, v28
.LBB106_530:
	s_or_b64 exec, exec, s[12:13]
	v_cmp_lt_u32_e64 s[12:13], 4, v26
	s_and_b64 s[16:17], s[12:13], s[86:87]
	s_waitcnt lgkmcnt(0)
	s_barrier
	s_and_saveexec_b64 s[12:13], s[16:17]
	s_cbranch_execz .LBB106_532
; %bb.531:
	ds_read_b32 v30, v27 offset:9344
	ds_read_b32 v31, v29
	s_waitcnt lgkmcnt(0)
	v_fmac_f32_e32 v28, v30, v31
.LBB106_532:
	s_or_b64 exec, exec, s[12:13]
	v_cmp_eq_u32_e64 s[12:13], 5, v26
	s_and_b64 s[16:17], s[12:13], s[86:87]
	s_barrier
	s_and_saveexec_b64 s[12:13], s[16:17]
	s_cbranch_execz .LBB106_534
; %bb.533:
	v_mov_b32_e32 v30, 0
	ds_read_b32 v30, v30 offset:9620
	s_waitcnt lgkmcnt(0)
	v_mul_f32_e32 v28, v28, v30
	ds_write_b32 v29, v28
.LBB106_534:
	s_or_b64 exec, exec, s[12:13]
	v_cmp_lt_u32_e64 s[12:13], 5, v26
	s_and_b64 s[16:17], s[12:13], s[86:87]
	s_waitcnt lgkmcnt(0)
	s_barrier
	s_and_saveexec_b64 s[12:13], s[16:17]
	s_cbranch_execz .LBB106_536
; %bb.535:
	ds_read_b32 v30, v27 offset:9600
	ds_read_b32 v31, v29
	s_waitcnt lgkmcnt(0)
	v_fmac_f32_e32 v28, v30, v31
.LBB106_536:
	s_or_b64 exec, exec, s[12:13]
	v_cmp_eq_u32_e64 s[12:13], 6, v26
	s_and_b64 s[16:17], s[12:13], s[86:87]
	s_barrier
	s_and_saveexec_b64 s[12:13], s[16:17]
	s_cbranch_execz .LBB106_538
; %bb.537:
	v_mov_b32_e32 v30, 0
	ds_read_b32 v30, v30 offset:9880
	s_waitcnt lgkmcnt(0)
	v_mul_f32_e32 v28, v28, v30
	ds_write_b32 v29, v28
.LBB106_538:
	s_or_b64 exec, exec, s[12:13]
	v_cmp_lt_u32_e64 s[12:13], 6, v26
	s_and_b64 s[16:17], s[12:13], s[86:87]
	s_waitcnt lgkmcnt(0)
	s_barrier
	s_and_saveexec_b64 s[12:13], s[16:17]
	s_cbranch_execz .LBB106_540
; %bb.539:
	ds_read_b32 v30, v27 offset:9856
	ds_read_b32 v31, v29
	s_waitcnt lgkmcnt(0)
	v_fmac_f32_e32 v28, v30, v31
.LBB106_540:
	s_or_b64 exec, exec, s[12:13]
	v_cmp_eq_u32_e64 s[12:13], 7, v26
	s_and_b64 s[16:17], s[12:13], s[86:87]
	s_barrier
	s_and_saveexec_b64 s[12:13], s[16:17]
	s_cbranch_execz .LBB106_542
; %bb.541:
	v_mov_b32_e32 v30, 0
	ds_read_b32 v30, v30 offset:10140
	s_waitcnt lgkmcnt(0)
	v_mul_f32_e32 v28, v28, v30
	ds_write_b32 v29, v28
.LBB106_542:
	s_or_b64 exec, exec, s[12:13]
	v_cmp_lt_u32_e64 s[12:13], 7, v26
	s_and_b64 s[16:17], s[12:13], s[86:87]
	s_waitcnt lgkmcnt(0)
	s_barrier
	s_and_saveexec_b64 s[12:13], s[16:17]
	s_cbranch_execz .LBB106_544
; %bb.543:
	ds_read_b32 v30, v27 offset:10112
	ds_read_b32 v31, v29
	s_waitcnt lgkmcnt(0)
	v_fmac_f32_e32 v28, v30, v31
.LBB106_544:
	s_or_b64 exec, exec, s[12:13]
	v_cmp_eq_u32_e64 s[12:13], 8, v26
	s_and_b64 s[16:17], s[12:13], s[86:87]
	s_barrier
	s_and_saveexec_b64 s[12:13], s[16:17]
	s_cbranch_execz .LBB106_546
; %bb.545:
	v_mov_b32_e32 v30, 0
	ds_read_b32 v30, v30 offset:10400
	s_waitcnt lgkmcnt(0)
	v_mul_f32_e32 v28, v28, v30
	ds_write_b32 v29, v28
.LBB106_546:
	s_or_b64 exec, exec, s[12:13]
	v_cmp_lt_u32_e64 s[12:13], 8, v26
	s_and_b64 s[16:17], s[12:13], s[86:87]
	s_waitcnt lgkmcnt(0)
	s_barrier
	s_and_saveexec_b64 s[12:13], s[16:17]
	s_cbranch_execz .LBB106_548
; %bb.547:
	ds_read_b32 v30, v27 offset:10368
	ds_read_b32 v31, v29
	s_waitcnt lgkmcnt(0)
	v_fmac_f32_e32 v28, v30, v31
.LBB106_548:
	s_or_b64 exec, exec, s[12:13]
	v_cmp_eq_u32_e64 s[12:13], 9, v26
	s_and_b64 s[16:17], s[12:13], s[86:87]
	s_barrier
	s_and_saveexec_b64 s[12:13], s[16:17]
	s_cbranch_execz .LBB106_550
; %bb.549:
	v_mov_b32_e32 v30, 0
	ds_read_b32 v30, v30 offset:10660
	s_waitcnt lgkmcnt(0)
	v_mul_f32_e32 v28, v28, v30
	ds_write_b32 v29, v28
.LBB106_550:
	s_or_b64 exec, exec, s[12:13]
	v_cmp_lt_u32_e64 s[12:13], 9, v26
	s_and_b64 s[16:17], s[12:13], s[86:87]
	s_waitcnt lgkmcnt(0)
	s_barrier
	s_and_saveexec_b64 s[12:13], s[16:17]
	s_cbranch_execz .LBB106_552
; %bb.551:
	ds_read_b32 v30, v27 offset:10624
	ds_read_b32 v31, v29
	s_waitcnt lgkmcnt(0)
	v_fmac_f32_e32 v28, v30, v31
.LBB106_552:
	s_or_b64 exec, exec, s[12:13]
	v_cmp_eq_u32_e64 s[12:13], 10, v26
	s_and_b64 s[16:17], s[12:13], s[86:87]
	s_barrier
	s_and_saveexec_b64 s[12:13], s[16:17]
	s_cbranch_execz .LBB106_554
; %bb.553:
	v_mov_b32_e32 v30, 0
	ds_read_b32 v30, v30 offset:10920
	s_waitcnt lgkmcnt(0)
	v_mul_f32_e32 v28, v28, v30
	ds_write_b32 v29, v28
.LBB106_554:
	s_or_b64 exec, exec, s[12:13]
	v_cmp_lt_u32_e64 s[12:13], 10, v26
	s_and_b64 s[16:17], s[12:13], s[86:87]
	s_waitcnt lgkmcnt(0)
	s_barrier
	s_and_saveexec_b64 s[12:13], s[16:17]
	s_cbranch_execz .LBB106_556
; %bb.555:
	ds_read_b32 v30, v27 offset:10880
	ds_read_b32 v31, v29
	s_waitcnt lgkmcnt(0)
	v_fmac_f32_e32 v28, v30, v31
.LBB106_556:
	s_or_b64 exec, exec, s[12:13]
	v_cmp_eq_u32_e64 s[12:13], 11, v26
	s_and_b64 s[16:17], s[12:13], s[86:87]
	s_barrier
	s_and_saveexec_b64 s[12:13], s[16:17]
	s_cbranch_execz .LBB106_558
; %bb.557:
	v_mov_b32_e32 v30, 0
	ds_read_b32 v30, v30 offset:11180
	s_waitcnt lgkmcnt(0)
	v_mul_f32_e32 v28, v28, v30
	ds_write_b32 v29, v28
.LBB106_558:
	s_or_b64 exec, exec, s[12:13]
	v_cmp_lt_u32_e64 s[12:13], 11, v26
	s_and_b64 s[16:17], s[12:13], s[86:87]
	s_waitcnt lgkmcnt(0)
	s_barrier
	s_and_saveexec_b64 s[12:13], s[16:17]
	s_cbranch_execz .LBB106_560
; %bb.559:
	ds_read_b32 v30, v27 offset:11136
	ds_read_b32 v31, v29
	s_waitcnt lgkmcnt(0)
	v_fmac_f32_e32 v28, v30, v31
.LBB106_560:
	s_or_b64 exec, exec, s[12:13]
	v_cmp_eq_u32_e64 s[12:13], 12, v26
	s_and_b64 s[16:17], s[12:13], s[86:87]
	s_barrier
	s_and_saveexec_b64 s[12:13], s[16:17]
	s_cbranch_execz .LBB106_562
; %bb.561:
	v_mov_b32_e32 v30, 0
	ds_read_b32 v30, v30 offset:11440
	s_waitcnt lgkmcnt(0)
	v_mul_f32_e32 v28, v28, v30
	ds_write_b32 v29, v28
.LBB106_562:
	s_or_b64 exec, exec, s[12:13]
	v_cmp_lt_u32_e64 s[12:13], 12, v26
	s_and_b64 s[16:17], s[12:13], s[86:87]
	s_waitcnt lgkmcnt(0)
	s_barrier
	s_and_saveexec_b64 s[12:13], s[16:17]
	s_cbranch_execz .LBB106_564
; %bb.563:
	ds_read_b32 v30, v27 offset:11392
	ds_read_b32 v31, v29
	s_waitcnt lgkmcnt(0)
	v_fmac_f32_e32 v28, v30, v31
.LBB106_564:
	s_or_b64 exec, exec, s[12:13]
	v_cmp_eq_u32_e64 s[12:13], 13, v26
	s_and_b64 s[16:17], s[12:13], s[86:87]
	s_barrier
	s_and_saveexec_b64 s[12:13], s[16:17]
	s_cbranch_execz .LBB106_566
; %bb.565:
	v_mov_b32_e32 v30, 0
	ds_read_b32 v30, v30 offset:11700
	s_waitcnt lgkmcnt(0)
	v_mul_f32_e32 v28, v28, v30
	ds_write_b32 v29, v28
.LBB106_566:
	s_or_b64 exec, exec, s[12:13]
	v_cmp_lt_u32_e64 s[12:13], 13, v26
	s_and_b64 s[16:17], s[12:13], s[86:87]
	s_waitcnt lgkmcnt(0)
	s_barrier
	s_and_saveexec_b64 s[12:13], s[16:17]
	s_cbranch_execz .LBB106_568
; %bb.567:
	ds_read_b32 v30, v27 offset:11648
	ds_read_b32 v31, v29
	s_waitcnt lgkmcnt(0)
	v_fmac_f32_e32 v28, v30, v31
.LBB106_568:
	s_or_b64 exec, exec, s[12:13]
	v_cmp_eq_u32_e64 s[12:13], 14, v26
	s_and_b64 s[16:17], s[12:13], s[86:87]
	s_barrier
	s_and_saveexec_b64 s[12:13], s[16:17]
	s_cbranch_execz .LBB106_570
; %bb.569:
	v_mov_b32_e32 v30, 0
	ds_read_b32 v30, v30 offset:11960
	s_waitcnt lgkmcnt(0)
	v_mul_f32_e32 v28, v28, v30
	ds_write_b32 v29, v28
.LBB106_570:
	s_or_b64 exec, exec, s[12:13]
	v_cmp_lt_u32_e64 s[12:13], 14, v26
	s_and_b64 s[16:17], s[12:13], s[86:87]
	s_waitcnt lgkmcnt(0)
	s_barrier
	s_and_saveexec_b64 s[12:13], s[16:17]
	s_cbranch_execz .LBB106_572
; %bb.571:
	ds_read_b32 v30, v27 offset:11904
	ds_read_b32 v31, v29
	s_waitcnt lgkmcnt(0)
	v_fmac_f32_e32 v28, v30, v31
.LBB106_572:
	s_or_b64 exec, exec, s[12:13]
	v_cmp_eq_u32_e64 s[12:13], 15, v26
	s_and_b64 s[16:17], s[12:13], s[86:87]
	s_barrier
	s_and_saveexec_b64 s[12:13], s[16:17]
	s_cbranch_execz .LBB106_574
; %bb.573:
	v_mov_b32_e32 v30, 0
	ds_read_b32 v30, v30 offset:12220
	s_waitcnt lgkmcnt(0)
	v_mul_f32_e32 v28, v28, v30
	ds_write_b32 v29, v28
.LBB106_574:
	s_or_b64 exec, exec, s[12:13]
	v_cmp_lt_u32_e64 s[12:13], 15, v26
	s_and_b64 s[16:17], s[12:13], s[86:87]
	s_waitcnt lgkmcnt(0)
	s_barrier
	s_and_saveexec_b64 s[12:13], s[16:17]
	s_cbranch_execz .LBB106_576
; %bb.575:
	ds_read_b32 v30, v27 offset:12160
	ds_read_b32 v31, v29
	s_waitcnt lgkmcnt(0)
	v_fmac_f32_e32 v28, v30, v31
.LBB106_576:
	s_or_b64 exec, exec, s[12:13]
	v_cmp_eq_u32_e64 s[12:13], 16, v26
	s_and_b64 s[16:17], s[12:13], s[86:87]
	s_barrier
	s_and_saveexec_b64 s[12:13], s[16:17]
	s_cbranch_execz .LBB106_578
; %bb.577:
	v_mov_b32_e32 v30, 0
	ds_read_b32 v30, v30 offset:12480
	s_waitcnt lgkmcnt(0)
	v_mul_f32_e32 v28, v28, v30
	ds_write_b32 v29, v28
.LBB106_578:
	s_or_b64 exec, exec, s[12:13]
	v_cmp_lt_u32_e64 s[12:13], 16, v26
	s_and_b64 s[16:17], s[12:13], s[86:87]
	s_waitcnt lgkmcnt(0)
	s_barrier
	s_and_saveexec_b64 s[12:13], s[16:17]
	s_cbranch_execz .LBB106_580
; %bb.579:
	ds_read_b32 v30, v27 offset:12416
	ds_read_b32 v31, v29
	s_waitcnt lgkmcnt(0)
	v_fmac_f32_e32 v28, v30, v31
.LBB106_580:
	s_or_b64 exec, exec, s[12:13]
	v_cmp_eq_u32_e64 s[12:13], 17, v26
	s_and_b64 s[16:17], s[12:13], s[86:87]
	s_barrier
	s_and_saveexec_b64 s[12:13], s[16:17]
	s_cbranch_execz .LBB106_582
; %bb.581:
	v_mov_b32_e32 v30, 0
	ds_read_b32 v30, v30 offset:12740
	s_waitcnt lgkmcnt(0)
	v_mul_f32_e32 v28, v28, v30
	ds_write_b32 v29, v28
.LBB106_582:
	s_or_b64 exec, exec, s[12:13]
	v_cmp_lt_u32_e64 s[12:13], 17, v26
	s_and_b64 s[16:17], s[12:13], s[86:87]
	s_waitcnt lgkmcnt(0)
	s_barrier
	s_and_saveexec_b64 s[12:13], s[16:17]
	s_cbranch_execz .LBB106_584
; %bb.583:
	ds_read_b32 v30, v27 offset:12672
	ds_read_b32 v31, v29
	s_waitcnt lgkmcnt(0)
	v_fmac_f32_e32 v28, v30, v31
.LBB106_584:
	s_or_b64 exec, exec, s[12:13]
	v_cmp_eq_u32_e64 s[12:13], 18, v26
	s_and_b64 s[16:17], s[12:13], s[86:87]
	s_barrier
	s_and_saveexec_b64 s[12:13], s[16:17]
	s_cbranch_execz .LBB106_586
; %bb.585:
	v_mov_b32_e32 v30, 0
	ds_read_b32 v30, v30 offset:13000
	s_waitcnt lgkmcnt(0)
	v_mul_f32_e32 v28, v28, v30
	ds_write_b32 v29, v28
.LBB106_586:
	s_or_b64 exec, exec, s[12:13]
	v_cmp_lt_u32_e64 s[12:13], 18, v26
	s_and_b64 s[16:17], s[12:13], s[86:87]
	s_waitcnt lgkmcnt(0)
	s_barrier
	s_and_saveexec_b64 s[12:13], s[16:17]
	s_cbranch_execz .LBB106_588
; %bb.587:
	ds_read_b32 v30, v27 offset:12928
	ds_read_b32 v31, v29
	s_waitcnt lgkmcnt(0)
	v_fmac_f32_e32 v28, v30, v31
.LBB106_588:
	s_or_b64 exec, exec, s[12:13]
	v_cmp_eq_u32_e64 s[12:13], 19, v26
	s_and_b64 s[16:17], s[12:13], s[86:87]
	s_barrier
	s_and_saveexec_b64 s[12:13], s[16:17]
	s_cbranch_execz .LBB106_590
; %bb.589:
	v_mov_b32_e32 v30, 0
	ds_read_b32 v30, v30 offset:13260
	s_waitcnt lgkmcnt(0)
	v_mul_f32_e32 v28, v28, v30
	ds_write_b32 v29, v28
.LBB106_590:
	s_or_b64 exec, exec, s[12:13]
	v_cmp_lt_u32_e64 s[12:13], 19, v26
	s_and_b64 s[16:17], s[12:13], s[86:87]
	s_waitcnt lgkmcnt(0)
	s_barrier
	s_and_saveexec_b64 s[12:13], s[16:17]
	s_cbranch_execz .LBB106_592
; %bb.591:
	ds_read_b32 v30, v27 offset:13184
	ds_read_b32 v31, v29
	s_waitcnt lgkmcnt(0)
	v_fmac_f32_e32 v28, v30, v31
.LBB106_592:
	s_or_b64 exec, exec, s[12:13]
	v_cmp_eq_u32_e64 s[12:13], 20, v26
	s_and_b64 s[16:17], s[12:13], s[86:87]
	s_barrier
	s_and_saveexec_b64 s[12:13], s[16:17]
	s_cbranch_execz .LBB106_594
; %bb.593:
	v_mov_b32_e32 v30, 0
	ds_read_b32 v30, v30 offset:13520
	s_waitcnt lgkmcnt(0)
	v_mul_f32_e32 v28, v28, v30
	ds_write_b32 v29, v28
.LBB106_594:
	s_or_b64 exec, exec, s[12:13]
	v_cmp_lt_u32_e64 s[12:13], 20, v26
	s_and_b64 s[16:17], s[12:13], s[86:87]
	s_waitcnt lgkmcnt(0)
	s_barrier
	s_and_saveexec_b64 s[12:13], s[16:17]
	s_cbranch_execz .LBB106_596
; %bb.595:
	ds_read_b32 v30, v27 offset:13440
	ds_read_b32 v31, v29
	s_waitcnt lgkmcnt(0)
	v_fmac_f32_e32 v28, v30, v31
.LBB106_596:
	s_or_b64 exec, exec, s[12:13]
	v_cmp_eq_u32_e64 s[12:13], 21, v26
	s_and_b64 s[16:17], s[12:13], s[86:87]
	s_barrier
	s_and_saveexec_b64 s[12:13], s[16:17]
	s_cbranch_execz .LBB106_598
; %bb.597:
	v_mov_b32_e32 v30, 0
	ds_read_b32 v30, v30 offset:13780
	s_waitcnt lgkmcnt(0)
	v_mul_f32_e32 v28, v28, v30
	ds_write_b32 v29, v28
.LBB106_598:
	s_or_b64 exec, exec, s[12:13]
	v_cmp_lt_u32_e64 s[12:13], 21, v26
	s_and_b64 s[16:17], s[12:13], s[86:87]
	s_waitcnt lgkmcnt(0)
	s_barrier
	s_and_saveexec_b64 s[12:13], s[16:17]
	s_cbranch_execz .LBB106_600
; %bb.599:
	ds_read_b32 v30, v27 offset:13696
	ds_read_b32 v31, v29
	s_waitcnt lgkmcnt(0)
	v_fmac_f32_e32 v28, v30, v31
.LBB106_600:
	s_or_b64 exec, exec, s[12:13]
	v_cmp_eq_u32_e64 s[12:13], 22, v26
	s_and_b64 s[16:17], s[12:13], s[86:87]
	s_barrier
	s_and_saveexec_b64 s[12:13], s[16:17]
	s_cbranch_execz .LBB106_602
; %bb.601:
	v_mov_b32_e32 v30, 0
	ds_read_b32 v30, v30 offset:14040
	s_waitcnt lgkmcnt(0)
	v_mul_f32_e32 v28, v28, v30
	ds_write_b32 v29, v28
.LBB106_602:
	s_or_b64 exec, exec, s[12:13]
	v_cmp_lt_u32_e64 s[12:13], 22, v26
	s_and_b64 s[16:17], s[12:13], s[86:87]
	s_waitcnt lgkmcnt(0)
	s_barrier
	s_and_saveexec_b64 s[12:13], s[16:17]
	s_cbranch_execz .LBB106_604
; %bb.603:
	ds_read_b32 v30, v27 offset:13952
	ds_read_b32 v31, v29
	s_waitcnt lgkmcnt(0)
	v_fmac_f32_e32 v28, v30, v31
.LBB106_604:
	s_or_b64 exec, exec, s[12:13]
	v_cmp_eq_u32_e64 s[12:13], 23, v26
	s_and_b64 s[16:17], s[12:13], s[86:87]
	s_barrier
	s_and_saveexec_b64 s[12:13], s[16:17]
	s_cbranch_execz .LBB106_606
; %bb.605:
	v_mov_b32_e32 v30, 0
	ds_read_b32 v30, v30 offset:14300
	s_waitcnt lgkmcnt(0)
	v_mul_f32_e32 v28, v28, v30
	ds_write_b32 v29, v28
.LBB106_606:
	s_or_b64 exec, exec, s[12:13]
	v_cmp_lt_u32_e64 s[12:13], 23, v26
	s_and_b64 s[16:17], s[12:13], s[86:87]
	s_waitcnt lgkmcnt(0)
	s_barrier
	s_and_saveexec_b64 s[12:13], s[16:17]
	s_cbranch_execz .LBB106_608
; %bb.607:
	ds_read_b32 v30, v27 offset:14208
	ds_read_b32 v31, v29
	s_waitcnt lgkmcnt(0)
	v_fmac_f32_e32 v28, v30, v31
.LBB106_608:
	s_or_b64 exec, exec, s[12:13]
	v_cmp_eq_u32_e64 s[12:13], 24, v26
	s_and_b64 s[16:17], s[12:13], s[86:87]
	s_barrier
	s_and_saveexec_b64 s[12:13], s[16:17]
	s_cbranch_execz .LBB106_610
; %bb.609:
	v_mov_b32_e32 v30, 0
	ds_read_b32 v30, v30 offset:14560
	s_waitcnt lgkmcnt(0)
	v_mul_f32_e32 v28, v28, v30
	ds_write_b32 v29, v28
.LBB106_610:
	s_or_b64 exec, exec, s[12:13]
	v_cmp_lt_u32_e64 s[12:13], 24, v26
	s_and_b64 s[16:17], s[12:13], s[86:87]
	s_waitcnt lgkmcnt(0)
	s_barrier
	s_and_saveexec_b64 s[12:13], s[16:17]
	s_cbranch_execz .LBB106_612
; %bb.611:
	ds_read_b32 v30, v27 offset:14464
	ds_read_b32 v31, v29
	s_waitcnt lgkmcnt(0)
	v_fmac_f32_e32 v28, v30, v31
.LBB106_612:
	s_or_b64 exec, exec, s[12:13]
	v_cmp_eq_u32_e64 s[12:13], 25, v26
	s_and_b64 s[16:17], s[12:13], s[86:87]
	s_barrier
	s_and_saveexec_b64 s[12:13], s[16:17]
	s_cbranch_execz .LBB106_614
; %bb.613:
	v_mov_b32_e32 v30, 0
	ds_read_b32 v30, v30 offset:14820
	s_waitcnt lgkmcnt(0)
	v_mul_f32_e32 v28, v28, v30
	ds_write_b32 v29, v28
.LBB106_614:
	s_or_b64 exec, exec, s[12:13]
	v_cmp_lt_u32_e64 s[12:13], 25, v26
	s_and_b64 s[16:17], s[12:13], s[86:87]
	s_waitcnt lgkmcnt(0)
	s_barrier
	s_and_saveexec_b64 s[12:13], s[16:17]
	s_cbranch_execz .LBB106_616
; %bb.615:
	ds_read_b32 v30, v27 offset:14720
	ds_read_b32 v31, v29
	s_waitcnt lgkmcnt(0)
	v_fmac_f32_e32 v28, v30, v31
.LBB106_616:
	s_or_b64 exec, exec, s[12:13]
	v_cmp_eq_u32_e64 s[12:13], 26, v26
	s_and_b64 s[16:17], s[12:13], s[86:87]
	s_barrier
	s_and_saveexec_b64 s[12:13], s[16:17]
	s_cbranch_execz .LBB106_618
; %bb.617:
	v_mov_b32_e32 v30, 0
	ds_read_b32 v30, v30 offset:15080
	s_waitcnt lgkmcnt(0)
	v_mul_f32_e32 v28, v28, v30
	ds_write_b32 v29, v28
.LBB106_618:
	s_or_b64 exec, exec, s[12:13]
	v_cmp_lt_u32_e64 s[12:13], 26, v26
	s_and_b64 s[16:17], s[12:13], s[86:87]
	s_waitcnt lgkmcnt(0)
	s_barrier
	s_and_saveexec_b64 s[12:13], s[16:17]
	s_cbranch_execz .LBB106_620
; %bb.619:
	ds_read_b32 v30, v27 offset:14976
	ds_read_b32 v31, v29
	s_waitcnt lgkmcnt(0)
	v_fmac_f32_e32 v28, v30, v31
.LBB106_620:
	s_or_b64 exec, exec, s[12:13]
	v_cmp_eq_u32_e64 s[12:13], 27, v26
	s_and_b64 s[16:17], s[12:13], s[86:87]
	s_barrier
	s_and_saveexec_b64 s[12:13], s[16:17]
	s_cbranch_execz .LBB106_622
; %bb.621:
	v_mov_b32_e32 v30, 0
	ds_read_b32 v30, v30 offset:15340
	s_waitcnt lgkmcnt(0)
	v_mul_f32_e32 v28, v28, v30
	ds_write_b32 v29, v28
.LBB106_622:
	s_or_b64 exec, exec, s[12:13]
	v_cmp_lt_u32_e64 s[12:13], 27, v26
	s_and_b64 s[16:17], s[12:13], s[86:87]
	s_waitcnt lgkmcnt(0)
	s_barrier
	s_and_saveexec_b64 s[12:13], s[16:17]
	s_cbranch_execz .LBB106_624
; %bb.623:
	ds_read_b32 v30, v27 offset:15232
	ds_read_b32 v31, v29
	s_waitcnt lgkmcnt(0)
	v_fmac_f32_e32 v28, v30, v31
.LBB106_624:
	s_or_b64 exec, exec, s[12:13]
	v_cmp_eq_u32_e64 s[12:13], 28, v26
	s_and_b64 s[16:17], s[12:13], s[86:87]
	s_barrier
	s_and_saveexec_b64 s[12:13], s[16:17]
	s_cbranch_execz .LBB106_626
; %bb.625:
	v_mov_b32_e32 v30, 0
	ds_read_b32 v30, v30 offset:15600
	s_waitcnt lgkmcnt(0)
	v_mul_f32_e32 v28, v28, v30
	ds_write_b32 v29, v28
.LBB106_626:
	s_or_b64 exec, exec, s[12:13]
	v_cmp_lt_u32_e64 s[12:13], 28, v26
	s_and_b64 s[16:17], s[12:13], s[86:87]
	s_waitcnt lgkmcnt(0)
	s_barrier
	s_and_saveexec_b64 s[12:13], s[16:17]
	s_cbranch_execz .LBB106_628
; %bb.627:
	ds_read_b32 v30, v27 offset:15488
	ds_read_b32 v31, v29
	s_waitcnt lgkmcnt(0)
	v_fmac_f32_e32 v28, v30, v31
.LBB106_628:
	s_or_b64 exec, exec, s[12:13]
	v_cmp_eq_u32_e64 s[12:13], 29, v26
	s_and_b64 s[16:17], s[12:13], s[86:87]
	s_barrier
	s_and_saveexec_b64 s[12:13], s[16:17]
	s_cbranch_execz .LBB106_630
; %bb.629:
	v_mov_b32_e32 v30, 0
	ds_read_b32 v30, v30 offset:15860
	s_waitcnt lgkmcnt(0)
	v_mul_f32_e32 v28, v28, v30
	ds_write_b32 v29, v28
.LBB106_630:
	s_or_b64 exec, exec, s[12:13]
	v_cmp_lt_u32_e64 s[12:13], 29, v26
	s_and_b64 s[16:17], s[12:13], s[86:87]
	s_waitcnt lgkmcnt(0)
	s_barrier
	s_and_saveexec_b64 s[12:13], s[16:17]
	s_cbranch_execz .LBB106_632
; %bb.631:
	ds_read_b32 v27, v27 offset:15744
	ds_read_b32 v30, v29
	s_waitcnt lgkmcnt(0)
	v_fmac_f32_e32 v28, v27, v30
.LBB106_632:
	s_or_b64 exec, exec, s[12:13]
	v_cmp_eq_u32_e64 s[12:13], 30, v26
	s_and_b64 s[16:17], s[12:13], s[86:87]
	s_barrier
	s_and_saveexec_b64 s[12:13], s[16:17]
	s_cbranch_execz .LBB106_634
; %bb.633:
	v_mov_b32_e32 v27, 0
	ds_read_b32 v27, v27 offset:16120
	s_waitcnt lgkmcnt(0)
	v_mul_f32_e32 v28, v28, v27
	ds_write_b32 v29, v28
.LBB106_634:
	s_or_b64 exec, exec, s[12:13]
	v_cmp_eq_u32_e64 s[12:13], 31, v26
	s_and_b64 s[12:13], s[12:13], s[86:87]
	s_waitcnt lgkmcnt(0)
	s_barrier
	s_and_saveexec_b64 s[16:17], s[12:13]
	s_cbranch_execz .LBB106_636
; %bb.635:
	v_mov_b32_e32 v26, 0
	ds_read_b32 v26, v26 offset:16124
	ds_read_b32 v27, v29
	s_waitcnt lgkmcnt(0)
	v_fmac_f32_e32 v28, v26, v27
.LBB106_636:
	s_or_b64 exec, exec, s[16:17]
	s_barrier
	s_and_saveexec_b64 s[16:17], s[12:13]
	s_cbranch_execz .LBB106_638
; %bb.637:
	v_mov_b32_e32 v26, 0
	ds_read_b32 v26, v26 offset:16380
	s_waitcnt lgkmcnt(0)
	v_mul_f32_e32 v28, v28, v26
	ds_write_b32 v29, v28
.LBB106_638:
	s_or_b64 exec, exec, s[16:17]
	s_waitcnt lgkmcnt(0)
	s_barrier
	s_barrier
	s_and_saveexec_b64 s[12:13], s[10:11]
; %bb.639:
	v_xor_b32_e32 v26, 0x80000000, v28
	ds_write_b32 v25, v26 offset:128
; %bb.640:
	s_or_b64 exec, exec, s[12:13]
	s_waitcnt lgkmcnt(0)
	s_barrier
	s_barrier
	s_and_saveexec_b64 s[10:11], vcc
	s_cbranch_execz .LBB106_642
; %bb.641:
	v_mov_b32_e32 v27, 0
	ds_read_b64 v[25:26], v27 offset:8320
	ds_read_b32 v28, v27 offset:8580
	s_waitcnt lgkmcnt(0)
	v_mul_f32_e32 v25, v25, v28
	v_mul_f32_e32 v25, v26, v25
	ds_write_b32 v27, v25 offset:8324
.LBB106_642:
	s_or_b64 exec, exec, s[10:11]
	v_mov_b32_e32 v25, 0
	s_waitcnt lgkmcnt(0)
	s_barrier
	s_and_saveexec_b64 s[12:13], s[0:1]
	s_cbranch_execz .LBB106_646
; %bb.643:
	v_mul_u32_u24_e32 v25, 0x104, v5
	ds_read_b32 v27, v1 offset:8328
	ds_read_b32 v25, v25 offset:8320
	v_mov_b32_e32 v26, 0
	v_cmp_gt_u32_e64 s[10:11], 2, v4
	s_waitcnt lgkmcnt(0)
	v_fma_f32 v25, v27, v25, 0
	s_and_saveexec_b64 s[16:17], s[10:11]
	s_cbranch_execz .LBB106_645
; %bb.644:
	v_lshlrev_b32_e32 v27, 2, v0
	ds_read_b32 v27, v27 offset:8584
	ds_read_b32 v26, v26 offset:8324
	s_waitcnt lgkmcnt(0)
	v_fmac_f32_e32 v25, v27, v26
.LBB106_645:
	s_or_b64 exec, exec, s[16:17]
	v_xor_b32_e32 v25, 0x80000000, v25
.LBB106_646:
	s_or_b64 exec, exec, s[12:13]
	s_and_saveexec_b64 s[10:11], s[36:37]
	s_cbranch_execz .LBB106_648
; %bb.647:
	v_mov_b32_e32 v26, 0
	ds_read_b32 v26, v26 offset:8840
	s_waitcnt lgkmcnt(0)
	v_mul_f32_e32 v25, v25, v26
	ds_write_b32 v3, v25
.LBB106_648:
	s_or_b64 exec, exec, s[10:11]
	s_waitcnt lgkmcnt(0)
	s_barrier
	s_and_saveexec_b64 s[10:11], s[34:35]
	s_cbranch_execz .LBB106_650
; %bb.649:
	v_mov_b32_e32 v26, 0
	ds_read_b32 v26, v26 offset:8844
	ds_read_b32 v27, v3
	s_waitcnt lgkmcnt(0)
	v_fmac_f32_e32 v25, v26, v27
.LBB106_650:
	s_or_b64 exec, exec, s[10:11]
	s_barrier
	s_and_saveexec_b64 s[10:11], s[34:35]
	s_cbranch_execz .LBB106_652
; %bb.651:
	v_mov_b32_e32 v26, 0
	ds_read_b32 v26, v26 offset:9100
	s_waitcnt lgkmcnt(0)
	v_mul_f32_e32 v25, v25, v26
	ds_write_b32 v3, v25
.LBB106_652:
	s_or_b64 exec, exec, s[10:11]
	s_waitcnt lgkmcnt(0)
	s_barrier
	s_barrier
	s_and_saveexec_b64 s[10:11], s[0:1]
; %bb.653:
	v_xor_b32_e32 v25, 0x80000000, v25
	ds_write_b32 v1, v25 offset:8328
; %bb.654:
	s_or_b64 exec, exec, s[10:11]
	s_waitcnt lgkmcnt(0)
	s_barrier
	s_barrier
	s_and_saveexec_b64 s[10:11], vcc
	s_cbranch_execz .LBB106_656
; %bb.655:
	v_mov_b32_e32 v27, 0
	ds_read_b64 v[25:26], v27 offset:8840
	ds_read_b32 v28, v27 offset:9100
	s_waitcnt lgkmcnt(0)
	v_mul_f32_e32 v25, v25, v28
	v_mul_f32_e32 v25, v26, v25
	ds_write_b32 v27, v25 offset:8844
.LBB106_656:
	s_or_b64 exec, exec, s[10:11]
	v_mov_b32_e32 v25, 0
	s_waitcnt lgkmcnt(0)
	s_barrier
	s_and_saveexec_b64 s[12:13], s[2:3]
	s_cbranch_execz .LBB106_662
; %bb.657:
	v_mul_u32_u24_e32 v26, 0x104, v14
	ds_read_b32 v25, v6 offset:8336
	ds_read_b32 v27, v26 offset:8320
	v_cmp_gt_u32_e64 s[10:11], 12, v4
	s_waitcnt lgkmcnt(0)
	v_fma_f32 v25, v25, v27, 0
	s_and_saveexec_b64 s[16:17], s[10:11]
	s_cbranch_execnz .LBB106_1170
; %bb.658:
	s_or_b64 exec, exec, s[16:17]
	v_cmp_gt_u32_e64 s[10:11], 8, v4
	s_and_saveexec_b64 s[16:17], s[10:11]
	s_cbranch_execnz .LBB106_1171
.LBB106_659:
	s_or_b64 exec, exec, s[16:17]
	v_cmp_gt_u32_e64 s[10:11], 4, v4
	s_and_saveexec_b64 s[16:17], s[10:11]
	s_cbranch_execz .LBB106_661
.LBB106_660:
	v_lshlrev_b32_e32 v26, 2, v0
	v_mov_b32_e32 v27, 0
	ds_read_b32 v26, v26 offset:9104
	ds_read_b32 v27, v27 offset:8332
	s_waitcnt lgkmcnt(0)
	v_fmac_f32_e32 v25, v26, v27
.LBB106_661:
	s_or_b64 exec, exec, s[16:17]
	v_xor_b32_e32 v25, 0x80000000, v25
.LBB106_662:
	s_or_b64 exec, exec, s[12:13]
	s_and_saveexec_b64 s[10:11], s[40:41]
	s_cbranch_execz .LBB106_664
; %bb.663:
	v_mov_b32_e32 v26, 0
	ds_read_b32 v26, v26 offset:9360
	s_waitcnt lgkmcnt(0)
	v_mul_f32_e32 v25, v25, v26
	ds_write_b32 v12, v25
.LBB106_664:
	s_or_b64 exec, exec, s[10:11]
	s_waitcnt lgkmcnt(0)
	s_barrier
	s_and_saveexec_b64 s[10:11], s[42:43]
	s_cbranch_execz .LBB106_666
; %bb.665:
	ds_read_b32 v26, v11 offset:9360
	ds_read_b32 v27, v12
	s_waitcnt lgkmcnt(0)
	v_fmac_f32_e32 v25, v26, v27
.LBB106_666:
	s_or_b64 exec, exec, s[10:11]
	s_barrier
	s_and_saveexec_b64 s[10:11], s[44:45]
	s_cbranch_execz .LBB106_668
; %bb.667:
	v_mov_b32_e32 v26, 0
	ds_read_b32 v26, v26 offset:9620
	s_waitcnt lgkmcnt(0)
	v_mul_f32_e32 v25, v25, v26
	ds_write_b32 v12, v25
.LBB106_668:
	s_or_b64 exec, exec, s[10:11]
	s_waitcnt lgkmcnt(0)
	s_barrier
	s_and_saveexec_b64 s[10:11], s[46:47]
	s_cbranch_execz .LBB106_670
; %bb.669:
	ds_read_b32 v26, v11 offset:9616
	ds_read_b32 v27, v12
	s_waitcnt lgkmcnt(0)
	v_fmac_f32_e32 v25, v26, v27
.LBB106_670:
	s_or_b64 exec, exec, s[10:11]
	s_barrier
	s_and_saveexec_b64 s[10:11], s[48:49]
	s_cbranch_execz .LBB106_672
; %bb.671:
	v_mov_b32_e32 v26, 0
	ds_read_b32 v26, v26 offset:9880
	s_waitcnt lgkmcnt(0)
	v_mul_f32_e32 v25, v25, v26
	ds_write_b32 v12, v25
.LBB106_672:
	s_or_b64 exec, exec, s[10:11]
	s_waitcnt lgkmcnt(0)
	s_barrier
	s_and_saveexec_b64 s[10:11], s[38:39]
	s_cbranch_execz .LBB106_674
; %bb.673:
	v_mov_b32_e32 v26, 0
	ds_read_b32 v26, v26 offset:9884
	ds_read_b32 v27, v12
	s_waitcnt lgkmcnt(0)
	v_fmac_f32_e32 v25, v26, v27
.LBB106_674:
	s_or_b64 exec, exec, s[10:11]
	s_barrier
	s_and_saveexec_b64 s[10:11], s[38:39]
	s_cbranch_execz .LBB106_676
; %bb.675:
	v_mov_b32_e32 v26, 0
	ds_read_b32 v26, v26 offset:10140
	s_waitcnt lgkmcnt(0)
	v_mul_f32_e32 v25, v25, v26
	ds_write_b32 v12, v25
.LBB106_676:
	s_or_b64 exec, exec, s[10:11]
	s_waitcnt lgkmcnt(0)
	s_barrier
	s_barrier
	s_and_saveexec_b64 s[10:11], s[2:3]
; %bb.677:
	v_xor_b32_e32 v25, 0x80000000, v25
	ds_write_b32 v6, v25 offset:8336
; %bb.678:
	s_or_b64 exec, exec, s[10:11]
	s_waitcnt lgkmcnt(0)
	s_barrier
	s_barrier
	s_and_saveexec_b64 s[10:11], vcc
	s_cbranch_execz .LBB106_680
; %bb.679:
	v_mov_b32_e32 v27, 0
	ds_read_b64 v[25:26], v27 offset:9360
	ds_read_b32 v28, v27 offset:9620
	s_waitcnt lgkmcnt(0)
	v_mul_f32_e32 v25, v25, v28
	v_mul_f32_e32 v25, v26, v25
	ds_write_b32 v27, v25 offset:9364
.LBB106_680:
	s_or_b64 exec, exec, s[10:11]
	v_mov_b32_e32 v25, 0
	s_waitcnt lgkmcnt(0)
	s_barrier
	s_and_saveexec_b64 s[12:13], s[0:1]
	s_cbranch_execz .LBB106_684
; %bb.681:
	v_mul_u32_u24_e32 v25, 0x104, v5
	ds_read_b32 v27, v1 offset:9368
	ds_read_b32 v25, v25 offset:9360
	v_mov_b32_e32 v26, 0
	v_cmp_gt_u32_e64 s[10:11], 2, v4
	s_waitcnt lgkmcnt(0)
	v_fma_f32 v25, v27, v25, 0
	s_and_saveexec_b64 s[16:17], s[10:11]
	s_cbranch_execz .LBB106_683
; %bb.682:
	v_lshlrev_b32_e32 v27, 2, v0
	ds_read_b32 v27, v27 offset:9624
	ds_read_b32 v26, v26 offset:9364
	s_waitcnt lgkmcnt(0)
	v_fmac_f32_e32 v25, v27, v26
.LBB106_683:
	s_or_b64 exec, exec, s[16:17]
	v_xor_b32_e32 v25, 0x80000000, v25
.LBB106_684:
	s_or_b64 exec, exec, s[12:13]
	s_and_saveexec_b64 s[10:11], s[36:37]
	s_cbranch_execz .LBB106_686
; %bb.685:
	v_mov_b32_e32 v26, 0
	ds_read_b32 v26, v26 offset:9880
	s_waitcnt lgkmcnt(0)
	v_mul_f32_e32 v25, v25, v26
	ds_write_b32 v3, v25
.LBB106_686:
	s_or_b64 exec, exec, s[10:11]
	s_waitcnt lgkmcnt(0)
	s_barrier
	s_and_saveexec_b64 s[10:11], s[34:35]
	s_cbranch_execz .LBB106_688
; %bb.687:
	v_mov_b32_e32 v26, 0
	ds_read_b32 v26, v26 offset:9884
	ds_read_b32 v27, v3
	s_waitcnt lgkmcnt(0)
	v_fmac_f32_e32 v25, v26, v27
.LBB106_688:
	s_or_b64 exec, exec, s[10:11]
	s_barrier
	s_and_saveexec_b64 s[10:11], s[34:35]
	s_cbranch_execz .LBB106_690
; %bb.689:
	v_mov_b32_e32 v26, 0
	ds_read_b32 v26, v26 offset:10140
	s_waitcnt lgkmcnt(0)
	v_mul_f32_e32 v25, v25, v26
	ds_write_b32 v3, v25
.LBB106_690:
	s_or_b64 exec, exec, s[10:11]
	s_waitcnt lgkmcnt(0)
	s_barrier
	s_barrier
	s_and_saveexec_b64 s[10:11], s[0:1]
; %bb.691:
	v_xor_b32_e32 v25, 0x80000000, v25
	ds_write_b32 v1, v25 offset:9368
; %bb.692:
	s_or_b64 exec, exec, s[10:11]
	s_waitcnt lgkmcnt(0)
	s_barrier
	s_barrier
	s_and_saveexec_b64 s[10:11], vcc
	s_cbranch_execz .LBB106_694
; %bb.693:
	v_mov_b32_e32 v27, 0
	ds_read_b64 v[25:26], v27 offset:9880
	ds_read_b32 v28, v27 offset:10140
	s_waitcnt lgkmcnt(0)
	v_mul_f32_e32 v25, v25, v28
	v_mul_f32_e32 v25, v26, v25
	ds_write_b32 v27, v25 offset:9884
.LBB106_694:
	s_or_b64 exec, exec, s[10:11]
	v_mov_b32_e32 v25, 0
	s_waitcnt lgkmcnt(0)
	s_barrier
	s_and_saveexec_b64 s[12:13], s[14:15]
	s_cbranch_execz .LBB106_704
; %bb.695:
	v_mul_u32_u24_e32 v26, 0x104, v19
	ds_read_b32 v25, v15 offset:8352
	ds_read_b32 v27, v26 offset:8320
	v_cmp_gt_u32_e64 s[10:11], 56, v4
	s_waitcnt lgkmcnt(0)
	v_fma_f32 v25, v25, v27, 0
	s_and_saveexec_b64 s[16:17], s[10:11]
	s_cbranch_execnz .LBB106_1172
; %bb.696:
	s_or_b64 exec, exec, s[16:17]
	v_cmp_gt_u32_e64 s[10:11], 48, v4
	s_and_saveexec_b64 s[16:17], s[10:11]
	s_cbranch_execnz .LBB106_1173
.LBB106_697:
	s_or_b64 exec, exec, s[16:17]
	v_cmp_gt_u32_e64 s[10:11], 40, v4
	s_and_saveexec_b64 s[16:17], s[10:11]
	s_cbranch_execnz .LBB106_1174
.LBB106_698:
	s_or_b64 exec, exec, s[16:17]
	v_cmp_gt_u32_e64 s[10:11], 32, v4
	s_and_saveexec_b64 s[16:17], s[10:11]
	s_cbranch_execnz .LBB106_1175
.LBB106_699:
	s_or_b64 exec, exec, s[16:17]
	v_cmp_gt_u32_e64 s[10:11], 24, v4
	s_and_saveexec_b64 s[16:17], s[10:11]
	s_cbranch_execnz .LBB106_1176
.LBB106_700:
	s_or_b64 exec, exec, s[16:17]
	v_cmp_gt_u32_e64 s[10:11], 16, v4
	s_and_saveexec_b64 s[16:17], s[10:11]
	s_cbranch_execnz .LBB106_1177
.LBB106_701:
	s_or_b64 exec, exec, s[16:17]
	v_cmp_gt_u32_e64 s[10:11], 8, v4
	s_and_saveexec_b64 s[16:17], s[10:11]
	s_cbranch_execz .LBB106_703
.LBB106_702:
	v_lshlrev_b32_e32 v26, 2, v0
	v_mov_b32_e32 v27, 0
	ds_read_b32 v26, v26 offset:10144
	ds_read_b32 v27, v27 offset:8348
	s_waitcnt lgkmcnt(0)
	v_fmac_f32_e32 v25, v26, v27
.LBB106_703:
	s_or_b64 exec, exec, s[16:17]
	v_xor_b32_e32 v25, 0x80000000, v25
.LBB106_704:
	s_or_b64 exec, exec, s[12:13]
	s_and_saveexec_b64 s[10:11], s[50:51]
	s_cbranch_execz .LBB106_706
; %bb.705:
	v_mov_b32_e32 v26, 0
	ds_read_b32 v26, v26 offset:10400
	s_waitcnt lgkmcnt(0)
	v_mul_f32_e32 v25, v25, v26
	ds_write_b32 v17, v25
.LBB106_706:
	s_or_b64 exec, exec, s[10:11]
	s_waitcnt lgkmcnt(0)
	s_barrier
	s_and_saveexec_b64 s[10:11], s[52:53]
	s_cbranch_execz .LBB106_708
; %bb.707:
	ds_read_b32 v26, v16 offset:10400
	ds_read_b32 v27, v17
	s_waitcnt lgkmcnt(0)
	v_fmac_f32_e32 v25, v26, v27
.LBB106_708:
	s_or_b64 exec, exec, s[10:11]
	s_barrier
	s_and_saveexec_b64 s[10:11], s[54:55]
	s_cbranch_execz .LBB106_710
; %bb.709:
	v_mov_b32_e32 v26, 0
	ds_read_b32 v26, v26 offset:10660
	s_waitcnt lgkmcnt(0)
	v_mul_f32_e32 v25, v25, v26
	ds_write_b32 v17, v25
.LBB106_710:
	s_or_b64 exec, exec, s[10:11]
	s_waitcnt lgkmcnt(0)
	s_barrier
	s_and_saveexec_b64 s[10:11], s[56:57]
	s_cbranch_execz .LBB106_712
; %bb.711:
	ds_read_b32 v26, v16 offset:10656
	ds_read_b32 v27, v17
	s_waitcnt lgkmcnt(0)
	v_fmac_f32_e32 v25, v26, v27
.LBB106_712:
	s_or_b64 exec, exec, s[10:11]
	s_barrier
	;; [unrolled: 22-line block ×6, first 2 shown]
	s_and_saveexec_b64 s[10:11], s[76:77]
	s_cbranch_execz .LBB106_730
; %bb.729:
	v_mov_b32_e32 v26, 0
	ds_read_b32 v26, v26 offset:11960
	s_waitcnt lgkmcnt(0)
	v_mul_f32_e32 v25, v25, v26
	ds_write_b32 v17, v25
.LBB106_730:
	s_or_b64 exec, exec, s[10:11]
	s_waitcnt lgkmcnt(0)
	s_barrier
	s_and_saveexec_b64 s[10:11], s[58:59]
	s_cbranch_execz .LBB106_732
; %bb.731:
	v_mov_b32_e32 v26, 0
	ds_read_b32 v26, v26 offset:11964
	ds_read_b32 v27, v17
	s_waitcnt lgkmcnt(0)
	v_fmac_f32_e32 v25, v26, v27
.LBB106_732:
	s_or_b64 exec, exec, s[10:11]
	s_barrier
	s_and_saveexec_b64 s[10:11], s[58:59]
	s_cbranch_execz .LBB106_734
; %bb.733:
	v_mov_b32_e32 v26, 0
	ds_read_b32 v26, v26 offset:12220
	s_waitcnt lgkmcnt(0)
	v_mul_f32_e32 v25, v25, v26
	ds_write_b32 v17, v25
.LBB106_734:
	s_or_b64 exec, exec, s[10:11]
	s_waitcnt lgkmcnt(0)
	s_barrier
	s_barrier
	s_and_saveexec_b64 s[10:11], s[14:15]
; %bb.735:
	v_xor_b32_e32 v25, 0x80000000, v25
	ds_write_b32 v15, v25 offset:8352
; %bb.736:
	s_or_b64 exec, exec, s[10:11]
	s_waitcnt lgkmcnt(0)
	s_barrier
	s_barrier
	s_and_saveexec_b64 s[10:11], vcc
	s_cbranch_execz .LBB106_738
; %bb.737:
	v_mov_b32_e32 v27, 0
	ds_read_b64 v[25:26], v27 offset:10400
	ds_read_b32 v28, v27 offset:10660
	s_waitcnt lgkmcnt(0)
	v_mul_f32_e32 v25, v25, v28
	v_mul_f32_e32 v25, v26, v25
	ds_write_b32 v27, v25 offset:10404
.LBB106_738:
	s_or_b64 exec, exec, s[10:11]
	v_mov_b32_e32 v25, 0
	s_waitcnt lgkmcnt(0)
	s_barrier
	s_and_saveexec_b64 s[12:13], s[0:1]
	s_cbranch_execz .LBB106_742
; %bb.739:
	v_mul_u32_u24_e32 v25, 0x104, v5
	ds_read_b32 v27, v1 offset:10408
	ds_read_b32 v25, v25 offset:10400
	v_mov_b32_e32 v26, 0
	v_cmp_gt_u32_e64 s[10:11], 2, v4
	s_waitcnt lgkmcnt(0)
	v_fma_f32 v25, v27, v25, 0
	s_and_saveexec_b64 s[16:17], s[10:11]
	s_cbranch_execz .LBB106_741
; %bb.740:
	v_lshlrev_b32_e32 v27, 2, v0
	ds_read_b32 v27, v27 offset:10664
	ds_read_b32 v26, v26 offset:10404
	s_waitcnt lgkmcnt(0)
	v_fmac_f32_e32 v25, v27, v26
.LBB106_741:
	s_or_b64 exec, exec, s[16:17]
	v_xor_b32_e32 v25, 0x80000000, v25
.LBB106_742:
	s_or_b64 exec, exec, s[12:13]
	s_and_saveexec_b64 s[10:11], s[36:37]
	s_cbranch_execz .LBB106_744
; %bb.743:
	v_mov_b32_e32 v26, 0
	ds_read_b32 v26, v26 offset:10920
	s_waitcnt lgkmcnt(0)
	v_mul_f32_e32 v25, v25, v26
	ds_write_b32 v3, v25
.LBB106_744:
	s_or_b64 exec, exec, s[10:11]
	s_waitcnt lgkmcnt(0)
	s_barrier
	s_and_saveexec_b64 s[10:11], s[34:35]
	s_cbranch_execz .LBB106_746
; %bb.745:
	v_mov_b32_e32 v26, 0
	ds_read_b32 v26, v26 offset:10924
	ds_read_b32 v27, v3
	s_waitcnt lgkmcnt(0)
	v_fmac_f32_e32 v25, v26, v27
.LBB106_746:
	s_or_b64 exec, exec, s[10:11]
	s_barrier
	s_and_saveexec_b64 s[10:11], s[34:35]
	s_cbranch_execz .LBB106_748
; %bb.747:
	v_mov_b32_e32 v26, 0
	ds_read_b32 v26, v26 offset:11180
	s_waitcnt lgkmcnt(0)
	v_mul_f32_e32 v25, v25, v26
	ds_write_b32 v3, v25
.LBB106_748:
	s_or_b64 exec, exec, s[10:11]
	s_waitcnt lgkmcnt(0)
	s_barrier
	s_barrier
	s_and_saveexec_b64 s[10:11], s[0:1]
; %bb.749:
	v_xor_b32_e32 v25, 0x80000000, v25
	ds_write_b32 v1, v25 offset:10408
; %bb.750:
	s_or_b64 exec, exec, s[10:11]
	s_waitcnt lgkmcnt(0)
	s_barrier
	s_barrier
	s_and_saveexec_b64 s[10:11], vcc
	s_cbranch_execz .LBB106_752
; %bb.751:
	v_mov_b32_e32 v27, 0
	ds_read_b64 v[25:26], v27 offset:10920
	ds_read_b32 v28, v27 offset:11180
	s_waitcnt lgkmcnt(0)
	v_mul_f32_e32 v25, v25, v28
	v_mul_f32_e32 v25, v26, v25
	ds_write_b32 v27, v25 offset:10924
.LBB106_752:
	s_or_b64 exec, exec, s[10:11]
	v_mov_b32_e32 v25, 0
	s_waitcnt lgkmcnt(0)
	s_barrier
	s_and_saveexec_b64 s[12:13], s[2:3]
	s_cbranch_execz .LBB106_758
; %bb.753:
	v_mul_u32_u24_e32 v26, 0x104, v14
	ds_read_b32 v25, v6 offset:10416
	ds_read_b32 v27, v26 offset:10400
	v_cmp_gt_u32_e64 s[10:11], 12, v4
	s_waitcnt lgkmcnt(0)
	v_fma_f32 v25, v25, v27, 0
	s_and_saveexec_b64 s[16:17], s[10:11]
	s_cbranch_execnz .LBB106_1178
; %bb.754:
	s_or_b64 exec, exec, s[16:17]
	v_cmp_gt_u32_e64 s[10:11], 8, v4
	s_and_saveexec_b64 s[16:17], s[10:11]
	s_cbranch_execnz .LBB106_1179
.LBB106_755:
	s_or_b64 exec, exec, s[16:17]
	v_cmp_gt_u32_e64 s[10:11], 4, v4
	s_and_saveexec_b64 s[16:17], s[10:11]
	s_cbranch_execz .LBB106_757
.LBB106_756:
	v_lshlrev_b32_e32 v26, 2, v0
	v_mov_b32_e32 v27, 0
	ds_read_b32 v26, v26 offset:11184
	ds_read_b32 v27, v27 offset:10412
	s_waitcnt lgkmcnt(0)
	v_fmac_f32_e32 v25, v26, v27
.LBB106_757:
	s_or_b64 exec, exec, s[16:17]
	v_xor_b32_e32 v25, 0x80000000, v25
.LBB106_758:
	s_or_b64 exec, exec, s[12:13]
	s_and_saveexec_b64 s[10:11], s[40:41]
	s_cbranch_execz .LBB106_760
; %bb.759:
	v_mov_b32_e32 v26, 0
	ds_read_b32 v26, v26 offset:11440
	s_waitcnt lgkmcnt(0)
	v_mul_f32_e32 v25, v25, v26
	ds_write_b32 v12, v25
.LBB106_760:
	s_or_b64 exec, exec, s[10:11]
	s_waitcnt lgkmcnt(0)
	s_barrier
	s_and_saveexec_b64 s[10:11], s[42:43]
	s_cbranch_execz .LBB106_762
; %bb.761:
	ds_read_b32 v26, v11 offset:11440
	ds_read_b32 v27, v12
	s_waitcnt lgkmcnt(0)
	v_fmac_f32_e32 v25, v26, v27
.LBB106_762:
	s_or_b64 exec, exec, s[10:11]
	s_barrier
	s_and_saveexec_b64 s[10:11], s[44:45]
	s_cbranch_execz .LBB106_764
; %bb.763:
	v_mov_b32_e32 v26, 0
	ds_read_b32 v26, v26 offset:11700
	s_waitcnt lgkmcnt(0)
	v_mul_f32_e32 v25, v25, v26
	ds_write_b32 v12, v25
.LBB106_764:
	s_or_b64 exec, exec, s[10:11]
	s_waitcnt lgkmcnt(0)
	s_barrier
	s_and_saveexec_b64 s[10:11], s[46:47]
	s_cbranch_execz .LBB106_766
; %bb.765:
	ds_read_b32 v26, v11 offset:11696
	ds_read_b32 v27, v12
	s_waitcnt lgkmcnt(0)
	v_fmac_f32_e32 v25, v26, v27
.LBB106_766:
	s_or_b64 exec, exec, s[10:11]
	s_barrier
	s_and_saveexec_b64 s[10:11], s[48:49]
	s_cbranch_execz .LBB106_768
; %bb.767:
	v_mov_b32_e32 v26, 0
	ds_read_b32 v26, v26 offset:11960
	s_waitcnt lgkmcnt(0)
	v_mul_f32_e32 v25, v25, v26
	ds_write_b32 v12, v25
.LBB106_768:
	s_or_b64 exec, exec, s[10:11]
	s_waitcnt lgkmcnt(0)
	s_barrier
	s_and_saveexec_b64 s[10:11], s[38:39]
	s_cbranch_execz .LBB106_770
; %bb.769:
	v_mov_b32_e32 v26, 0
	ds_read_b32 v26, v26 offset:11964
	ds_read_b32 v27, v12
	s_waitcnt lgkmcnt(0)
	v_fmac_f32_e32 v25, v26, v27
.LBB106_770:
	s_or_b64 exec, exec, s[10:11]
	s_barrier
	s_and_saveexec_b64 s[10:11], s[38:39]
	s_cbranch_execz .LBB106_772
; %bb.771:
	v_mov_b32_e32 v26, 0
	ds_read_b32 v26, v26 offset:12220
	s_waitcnt lgkmcnt(0)
	v_mul_f32_e32 v25, v25, v26
	ds_write_b32 v12, v25
.LBB106_772:
	s_or_b64 exec, exec, s[10:11]
	s_waitcnt lgkmcnt(0)
	s_barrier
	s_barrier
	s_and_saveexec_b64 s[10:11], s[2:3]
; %bb.773:
	v_xor_b32_e32 v25, 0x80000000, v25
	ds_write_b32 v6, v25 offset:10416
; %bb.774:
	s_or_b64 exec, exec, s[10:11]
	s_waitcnt lgkmcnt(0)
	s_barrier
	s_barrier
	s_and_saveexec_b64 s[10:11], vcc
	s_cbranch_execz .LBB106_776
; %bb.775:
	v_mov_b32_e32 v27, 0
	ds_read_b64 v[25:26], v27 offset:11440
	ds_read_b32 v28, v27 offset:11700
	s_waitcnt lgkmcnt(0)
	v_mul_f32_e32 v25, v25, v28
	v_mul_f32_e32 v25, v26, v25
	ds_write_b32 v27, v25 offset:11444
.LBB106_776:
	s_or_b64 exec, exec, s[10:11]
	v_mov_b32_e32 v25, 0
	s_waitcnt lgkmcnt(0)
	s_barrier
	s_and_saveexec_b64 s[12:13], s[0:1]
	s_cbranch_execz .LBB106_780
; %bb.777:
	v_mul_u32_u24_e32 v25, 0x104, v5
	ds_read_b32 v27, v1 offset:11448
	ds_read_b32 v25, v25 offset:11440
	v_mov_b32_e32 v26, 0
	v_cmp_gt_u32_e64 s[10:11], 2, v4
	s_waitcnt lgkmcnt(0)
	v_fma_f32 v25, v27, v25, 0
	s_and_saveexec_b64 s[16:17], s[10:11]
	s_cbranch_execz .LBB106_779
; %bb.778:
	v_lshlrev_b32_e32 v27, 2, v0
	ds_read_b32 v27, v27 offset:11704
	ds_read_b32 v26, v26 offset:11444
	s_waitcnt lgkmcnt(0)
	v_fmac_f32_e32 v25, v27, v26
.LBB106_779:
	s_or_b64 exec, exec, s[16:17]
	v_xor_b32_e32 v25, 0x80000000, v25
.LBB106_780:
	s_or_b64 exec, exec, s[12:13]
	s_and_saveexec_b64 s[10:11], s[36:37]
	s_cbranch_execz .LBB106_782
; %bb.781:
	v_mov_b32_e32 v26, 0
	ds_read_b32 v26, v26 offset:11960
	s_waitcnt lgkmcnt(0)
	v_mul_f32_e32 v25, v25, v26
	ds_write_b32 v3, v25
.LBB106_782:
	s_or_b64 exec, exec, s[10:11]
	s_waitcnt lgkmcnt(0)
	s_barrier
	s_and_saveexec_b64 s[10:11], s[34:35]
	s_cbranch_execz .LBB106_784
; %bb.783:
	v_mov_b32_e32 v26, 0
	ds_read_b32 v26, v26 offset:11964
	ds_read_b32 v27, v3
	s_waitcnt lgkmcnt(0)
	v_fmac_f32_e32 v25, v26, v27
.LBB106_784:
	s_or_b64 exec, exec, s[10:11]
	s_barrier
	s_and_saveexec_b64 s[10:11], s[34:35]
	s_cbranch_execz .LBB106_786
; %bb.785:
	v_mov_b32_e32 v26, 0
	ds_read_b32 v26, v26 offset:12220
	s_waitcnt lgkmcnt(0)
	v_mul_f32_e32 v25, v25, v26
	ds_write_b32 v3, v25
.LBB106_786:
	s_or_b64 exec, exec, s[10:11]
	s_waitcnt lgkmcnt(0)
	s_barrier
	s_barrier
	s_and_saveexec_b64 s[10:11], s[0:1]
; %bb.787:
	v_xor_b32_e32 v25, 0x80000000, v25
	ds_write_b32 v1, v25 offset:11448
; %bb.788:
	s_or_b64 exec, exec, s[10:11]
	s_waitcnt lgkmcnt(0)
	s_barrier
	s_barrier
	s_and_saveexec_b64 s[10:11], vcc
	s_cbranch_execz .LBB106_790
; %bb.789:
	v_mov_b32_e32 v27, 0
	ds_read_b64 v[25:26], v27 offset:11960
	ds_read_b32 v28, v27 offset:12220
	s_waitcnt lgkmcnt(0)
	v_mul_f32_e32 v25, v25, v28
	v_mul_f32_e32 v25, v26, v25
	ds_write_b32 v27, v25 offset:11964
.LBB106_790:
	s_or_b64 exec, exec, s[10:11]
	v_mov_b32_e32 v25, 0
	s_waitcnt lgkmcnt(0)
	s_barrier
	s_and_saveexec_b64 s[12:13], s[8:9]
	s_cbranch_execz .LBB106_818
; %bb.791:
	v_mul_u32_u24_e32 v26, 0x104, v24
	ds_read_b32 v25, v20 offset:8384
	ds_read_b32 v27, v26 offset:8320
	s_movk_i32 s10, 0xf0
	v_cmp_gt_u32_e64 s[10:11], s10, v4
	s_waitcnt lgkmcnt(0)
	v_fma_f32 v25, v25, v27, 0
	s_and_saveexec_b64 s[16:17], s[10:11]
	s_cbranch_execz .LBB106_793
; %bb.792:
	v_lshlrev_b32_e32 v27, 2, v24
	v_sub_u32_e32 v27, v26, v27
	v_lshl_add_u32 v27, v21, 2, v27
	ds_read_b32 v27, v27 offset:8640
	ds_read_b32 v28, v26 offset:8324
	s_waitcnt lgkmcnt(0)
	v_fmac_f32_e32 v25, v27, v28
.LBB106_793:
	s_or_b64 exec, exec, s[16:17]
	s_movk_i32 s10, 0xe0
	v_cmp_gt_u32_e64 s[10:11], s10, v4
	s_and_saveexec_b64 s[16:17], s[10:11]
	s_cbranch_execz .LBB106_795
; %bb.794:
	v_lshlrev_b32_e32 v27, 2, v24
	v_sub_u32_e32 v27, v26, v27
	v_lshl_add_u32 v27, v21, 2, v27
	ds_read_b32 v27, v27 offset:8896
	ds_read_b32 v28, v26 offset:8328
	s_waitcnt lgkmcnt(0)
	v_fmac_f32_e32 v25, v27, v28
.LBB106_795:
	s_or_b64 exec, exec, s[16:17]
	s_movk_i32 s10, 0xd0
	v_cmp_gt_u32_e64 s[10:11], s10, v4
	;; [unrolled: 14-line block ×7, first 2 shown]
	s_and_saveexec_b64 s[16:17], s[10:11]
	s_cbranch_execz .LBB106_807
; %bb.806:
	ds_read_b32 v24, v20 offset:10432
	ds_read_b32 v27, v26 offset:8352
	s_waitcnt lgkmcnt(0)
	v_fmac_f32_e32 v25, v24, v27
.LBB106_807:
	s_or_b64 exec, exec, s[16:17]
	s_movk_i32 s10, 0x70
	v_cmp_gt_u32_e64 s[10:11], s10, v4
	s_and_saveexec_b64 s[16:17], s[10:11]
	s_cbranch_execz .LBB106_809
; %bb.808:
	v_lshlrev_b32_e32 v24, 2, v21
	v_lshl_add_u32 v24, v23, 2, v24
	ds_read_b32 v24, v24 offset:10688
	ds_read_b32 v27, v26 offset:8356
	s_waitcnt lgkmcnt(0)
	v_fmac_f32_e32 v25, v24, v27
.LBB106_809:
	s_or_b64 exec, exec, s[16:17]
	s_movk_i32 s10, 0x60
	v_cmp_gt_u32_e64 s[10:11], s10, v4
	s_and_saveexec_b64 s[16:17], s[10:11]
	s_cbranch_execz .LBB106_811
; %bb.810:
	v_lshlrev_b32_e32 v24, 2, v21
	v_lshl_add_u32 v24, v23, 2, v24
	ds_read_b32 v24, v24 offset:10944
	ds_read_b32 v27, v26 offset:8360
	s_waitcnt lgkmcnt(0)
	v_fmac_f32_e32 v25, v24, v27
.LBB106_811:
	s_or_b64 exec, exec, s[16:17]
	s_movk_i32 s10, 0x50
	v_cmp_gt_u32_e64 s[10:11], s10, v4
	s_and_saveexec_b64 s[16:17], s[10:11]
	s_cbranch_execnz .LBB106_1180
; %bb.812:
	s_or_b64 exec, exec, s[16:17]
	v_cmp_gt_u32_e64 s[10:11], 64, v4
	s_and_saveexec_b64 s[16:17], s[10:11]
	s_cbranch_execnz .LBB106_1181
.LBB106_813:
	s_or_b64 exec, exec, s[16:17]
	v_cmp_gt_u32_e64 s[10:11], 48, v4
	s_and_saveexec_b64 s[16:17], s[10:11]
	s_cbranch_execnz .LBB106_1182
.LBB106_814:
	s_or_b64 exec, exec, s[16:17]
	v_cmp_gt_u32_e64 s[10:11], 32, v4
	s_and_saveexec_b64 s[16:17], s[10:11]
	s_cbranch_execnz .LBB106_1183
.LBB106_815:
	s_or_b64 exec, exec, s[16:17]
	v_cmp_gt_u32_e64 s[10:11], 16, v4
	s_and_saveexec_b64 s[16:17], s[10:11]
	s_cbranch_execz .LBB106_817
.LBB106_816:
	v_lshlrev_b32_e32 v23, 2, v0
	v_mov_b32_e32 v24, 0
	ds_read_b32 v23, v23 offset:12224
	ds_read_b32 v24, v24 offset:8380
	s_waitcnt lgkmcnt(0)
	v_fmac_f32_e32 v25, v23, v24
.LBB106_817:
	s_or_b64 exec, exec, s[16:17]
	v_xor_b32_e32 v25, 0x80000000, v25
.LBB106_818:
	s_or_b64 exec, exec, s[12:13]
	s_mov_b64 s[10:11], exec
	v_readlane_b32 s12, v33, 2
	v_readlane_b32 s13, v33, 3
	s_and_b64 s[12:13], s[10:11], s[12:13]
	s_mov_b64 exec, s[12:13]
	s_cbranch_execz .LBB106_820
; %bb.819:
	v_mov_b32_e32 v23, 0
	ds_read_b32 v23, v23 offset:12480
	s_waitcnt lgkmcnt(0)
	v_mul_f32_e32 v25, v25, v23
	ds_write_b32 v22, v25
.LBB106_820:
	s_or_b64 exec, exec, s[10:11]
	s_waitcnt lgkmcnt(0)
	s_barrier
	s_mov_b64 s[10:11], exec
	v_readlane_b32 s12, v33, 4
	v_readlane_b32 s13, v33, 5
	s_and_b64 s[12:13], s[10:11], s[12:13]
	s_mov_b64 exec, s[12:13]
	s_cbranch_execz .LBB106_822
; %bb.821:
	v_lshlrev_b32_e32 v23, 2, v21
	ds_read_b32 v23, v23 offset:12480
	ds_read_b32 v24, v22
	s_waitcnt lgkmcnt(0)
	v_fmac_f32_e32 v25, v23, v24
.LBB106_822:
	s_or_b64 exec, exec, s[10:11]
	s_barrier
	s_mov_b64 s[10:11], exec
	v_readlane_b32 s12, v33, 6
	v_readlane_b32 s13, v33, 7
	s_and_b64 s[12:13], s[10:11], s[12:13]
	s_mov_b64 exec, s[12:13]
	s_cbranch_execz .LBB106_824
; %bb.823:
	v_mov_b32_e32 v23, 0
	ds_read_b32 v23, v23 offset:12740
	s_waitcnt lgkmcnt(0)
	v_mul_f32_e32 v25, v25, v23
	ds_write_b32 v22, v25
.LBB106_824:
	s_or_b64 exec, exec, s[10:11]
	s_waitcnt lgkmcnt(0)
	s_barrier
	s_mov_b64 s[10:11], exec
	v_readlane_b32 s12, v33, 8
	v_readlane_b32 s13, v33, 9
	s_and_b64 s[12:13], s[10:11], s[12:13]
	s_mov_b64 exec, s[12:13]
	s_cbranch_execz .LBB106_826
; %bb.825:
	v_lshlrev_b32_e32 v23, 2, v21
	ds_read_b32 v23, v23 offset:12736
	ds_read_b32 v24, v22
	s_waitcnt lgkmcnt(0)
	v_fmac_f32_e32 v25, v23, v24
.LBB106_826:
	s_or_b64 exec, exec, s[10:11]
	s_barrier
	;; [unrolled: 31-line block ×12, first 2 shown]
	s_mov_b64 s[10:11], exec
	v_readlane_b32 s12, v33, 50
	v_readlane_b32 s13, v33, 51
	s_and_b64 s[12:13], s[10:11], s[12:13]
	s_mov_b64 exec, s[12:13]
	s_cbranch_execz .LBB106_868
; %bb.867:
	v_mov_b32_e32 v23, 0
	ds_read_b32 v23, v23 offset:15600
	s_waitcnt lgkmcnt(0)
	v_mul_f32_e32 v25, v25, v23
	ds_write_b32 v22, v25
.LBB106_868:
	s_or_b64 exec, exec, s[10:11]
	s_waitcnt lgkmcnt(0)
	s_barrier
	s_and_saveexec_b64 s[10:11], s[94:95]
	s_cbranch_execz .LBB106_870
; %bb.869:
	v_lshlrev_b32_e32 v23, 2, v21
	ds_read_b32 v23, v23 offset:15552
	ds_read_b32 v24, v22
	s_waitcnt lgkmcnt(0)
	v_fmac_f32_e32 v25, v23, v24
.LBB106_870:
	s_or_b64 exec, exec, s[10:11]
	s_barrier
	s_and_saveexec_b64 s[10:11], s[78:79]
	s_cbranch_execz .LBB106_872
; %bb.871:
	v_mov_b32_e32 v23, 0
	ds_read_b32 v23, v23 offset:15860
	s_waitcnt lgkmcnt(0)
	v_mul_f32_e32 v25, v25, v23
	ds_write_b32 v22, v25
.LBB106_872:
	s_or_b64 exec, exec, s[10:11]
	s_waitcnt lgkmcnt(0)
	s_barrier
	s_and_saveexec_b64 s[10:11], s[80:81]
	s_cbranch_execz .LBB106_874
; %bb.873:
	v_lshlrev_b32_e32 v21, 2, v21
	ds_read_b32 v21, v21 offset:15808
	ds_read_b32 v23, v22
	s_waitcnt lgkmcnt(0)
	v_fmac_f32_e32 v25, v21, v23
.LBB106_874:
	s_or_b64 exec, exec, s[10:11]
	s_barrier
	s_and_saveexec_b64 s[10:11], s[84:85]
	s_cbranch_execz .LBB106_876
; %bb.875:
	v_mov_b32_e32 v21, 0
	ds_read_b32 v21, v21 offset:16120
	s_waitcnt lgkmcnt(0)
	v_mul_f32_e32 v25, v25, v21
	ds_write_b32 v22, v25
.LBB106_876:
	s_or_b64 exec, exec, s[10:11]
	s_waitcnt lgkmcnt(0)
	s_barrier
	s_and_saveexec_b64 s[10:11], s[82:83]
	s_cbranch_execz .LBB106_878
; %bb.877:
	v_mov_b32_e32 v21, 0
	ds_read_b32 v21, v21 offset:16124
	ds_read_b32 v23, v22
	s_waitcnt lgkmcnt(0)
	v_fmac_f32_e32 v25, v21, v23
.LBB106_878:
	s_or_b64 exec, exec, s[10:11]
	s_barrier
	s_and_saveexec_b64 s[10:11], s[82:83]
	s_cbranch_execz .LBB106_880
; %bb.879:
	v_mov_b32_e32 v21, 0
	ds_read_b32 v21, v21 offset:16380
	s_waitcnt lgkmcnt(0)
	v_mul_f32_e32 v25, v25, v21
	ds_write_b32 v22, v25
.LBB106_880:
	s_or_b64 exec, exec, s[10:11]
	s_waitcnt lgkmcnt(0)
	s_barrier
	s_barrier
	s_and_saveexec_b64 s[10:11], s[8:9]
; %bb.881:
	v_xor_b32_e32 v21, 0x80000000, v25
	ds_write_b32 v20, v21 offset:8384
; %bb.882:
	s_or_b64 exec, exec, s[10:11]
	s_waitcnt lgkmcnt(0)
	s_barrier
	s_barrier
	s_and_saveexec_b64 s[8:9], vcc
	s_cbranch_execz .LBB106_884
; %bb.883:
	v_mov_b32_e32 v22, 0
	ds_read_b64 v[20:21], v22 offset:12480
	ds_read_b32 v23, v22 offset:12740
	s_waitcnt lgkmcnt(0)
	v_mul_f32_e32 v20, v20, v23
	v_mul_f32_e32 v20, v21, v20
	ds_write_b32 v22, v20 offset:12484
.LBB106_884:
	s_or_b64 exec, exec, s[8:9]
	v_mov_b32_e32 v20, 0
	s_waitcnt lgkmcnt(0)
	s_barrier
	s_and_saveexec_b64 s[10:11], s[0:1]
	s_cbranch_execz .LBB106_888
; %bb.885:
	v_mul_u32_u24_e32 v20, 0x104, v5
	ds_read_b32 v22, v1 offset:12488
	ds_read_b32 v20, v20 offset:12480
	v_mov_b32_e32 v21, 0
	v_cmp_gt_u32_e64 s[8:9], 2, v4
	s_waitcnt lgkmcnt(0)
	v_fma_f32 v20, v22, v20, 0
	s_and_saveexec_b64 s[12:13], s[8:9]
	s_cbranch_execz .LBB106_887
; %bb.886:
	v_lshlrev_b32_e32 v22, 2, v0
	ds_read_b32 v22, v22 offset:12744
	ds_read_b32 v21, v21 offset:12484
	s_waitcnt lgkmcnt(0)
	v_fmac_f32_e32 v20, v22, v21
.LBB106_887:
	s_or_b64 exec, exec, s[12:13]
	v_xor_b32_e32 v20, 0x80000000, v20
.LBB106_888:
	s_or_b64 exec, exec, s[10:11]
	s_and_saveexec_b64 s[8:9], s[36:37]
	s_cbranch_execz .LBB106_890
; %bb.889:
	v_mov_b32_e32 v21, 0
	ds_read_b32 v21, v21 offset:13000
	s_waitcnt lgkmcnt(0)
	v_mul_f32_e32 v20, v20, v21
	ds_write_b32 v3, v20
.LBB106_890:
	s_or_b64 exec, exec, s[8:9]
	s_waitcnt lgkmcnt(0)
	s_barrier
	s_and_saveexec_b64 s[8:9], s[34:35]
	s_cbranch_execz .LBB106_892
; %bb.891:
	v_mov_b32_e32 v21, 0
	ds_read_b32 v21, v21 offset:13004
	ds_read_b32 v22, v3
	s_waitcnt lgkmcnt(0)
	v_fmac_f32_e32 v20, v21, v22
.LBB106_892:
	s_or_b64 exec, exec, s[8:9]
	s_barrier
	s_and_saveexec_b64 s[8:9], s[34:35]
	s_cbranch_execz .LBB106_894
; %bb.893:
	v_mov_b32_e32 v21, 0
	ds_read_b32 v21, v21 offset:13260
	s_waitcnt lgkmcnt(0)
	v_mul_f32_e32 v20, v20, v21
	ds_write_b32 v3, v20
.LBB106_894:
	s_or_b64 exec, exec, s[8:9]
	s_waitcnt lgkmcnt(0)
	s_barrier
	s_barrier
	s_and_saveexec_b64 s[8:9], s[0:1]
; %bb.895:
	v_xor_b32_e32 v20, 0x80000000, v20
	ds_write_b32 v1, v20 offset:12488
; %bb.896:
	s_or_b64 exec, exec, s[8:9]
	s_waitcnt lgkmcnt(0)
	s_barrier
	s_barrier
	s_and_saveexec_b64 s[8:9], vcc
	s_cbranch_execz .LBB106_898
; %bb.897:
	v_mov_b32_e32 v22, 0
	ds_read_b64 v[20:21], v22 offset:13000
	ds_read_b32 v23, v22 offset:13260
	s_waitcnt lgkmcnt(0)
	v_mul_f32_e32 v20, v20, v23
	v_mul_f32_e32 v20, v21, v20
	ds_write_b32 v22, v20 offset:13004
.LBB106_898:
	s_or_b64 exec, exec, s[8:9]
	v_mov_b32_e32 v20, 0
	s_waitcnt lgkmcnt(0)
	s_barrier
	s_and_saveexec_b64 s[10:11], s[2:3]
	s_cbranch_execz .LBB106_904
; %bb.899:
	v_mul_u32_u24_e32 v21, 0x104, v14
	ds_read_b32 v20, v6 offset:12496
	ds_read_b32 v22, v21 offset:12480
	v_cmp_gt_u32_e64 s[8:9], 12, v4
	s_waitcnt lgkmcnt(0)
	v_fma_f32 v20, v20, v22, 0
	s_and_saveexec_b64 s[12:13], s[8:9]
	s_cbranch_execnz .LBB106_1184
; %bb.900:
	s_or_b64 exec, exec, s[12:13]
	v_cmp_gt_u32_e64 s[8:9], 8, v4
	s_and_saveexec_b64 s[12:13], s[8:9]
	s_cbranch_execnz .LBB106_1185
.LBB106_901:
	s_or_b64 exec, exec, s[12:13]
	v_cmp_gt_u32_e64 s[8:9], 4, v4
	s_and_saveexec_b64 s[12:13], s[8:9]
	s_cbranch_execz .LBB106_903
.LBB106_902:
	v_lshlrev_b32_e32 v21, 2, v0
	v_mov_b32_e32 v22, 0
	ds_read_b32 v21, v21 offset:13264
	ds_read_b32 v22, v22 offset:12492
	s_waitcnt lgkmcnt(0)
	v_fmac_f32_e32 v20, v21, v22
.LBB106_903:
	s_or_b64 exec, exec, s[12:13]
	v_xor_b32_e32 v20, 0x80000000, v20
.LBB106_904:
	s_or_b64 exec, exec, s[10:11]
	s_and_saveexec_b64 s[8:9], s[40:41]
	s_cbranch_execz .LBB106_906
; %bb.905:
	v_mov_b32_e32 v21, 0
	ds_read_b32 v21, v21 offset:13520
	s_waitcnt lgkmcnt(0)
	v_mul_f32_e32 v20, v20, v21
	ds_write_b32 v12, v20
.LBB106_906:
	s_or_b64 exec, exec, s[8:9]
	s_waitcnt lgkmcnt(0)
	s_barrier
	s_and_saveexec_b64 s[8:9], s[42:43]
	s_cbranch_execz .LBB106_908
; %bb.907:
	ds_read_b32 v21, v11 offset:13520
	ds_read_b32 v22, v12
	s_waitcnt lgkmcnt(0)
	v_fmac_f32_e32 v20, v21, v22
.LBB106_908:
	s_or_b64 exec, exec, s[8:9]
	s_barrier
	s_and_saveexec_b64 s[8:9], s[44:45]
	s_cbranch_execz .LBB106_910
; %bb.909:
	v_mov_b32_e32 v21, 0
	ds_read_b32 v21, v21 offset:13780
	s_waitcnt lgkmcnt(0)
	v_mul_f32_e32 v20, v20, v21
	ds_write_b32 v12, v20
.LBB106_910:
	s_or_b64 exec, exec, s[8:9]
	s_waitcnt lgkmcnt(0)
	s_barrier
	s_and_saveexec_b64 s[8:9], s[46:47]
	s_cbranch_execz .LBB106_912
; %bb.911:
	ds_read_b32 v21, v11 offset:13776
	ds_read_b32 v22, v12
	s_waitcnt lgkmcnt(0)
	v_fmac_f32_e32 v20, v21, v22
.LBB106_912:
	s_or_b64 exec, exec, s[8:9]
	s_barrier
	s_and_saveexec_b64 s[8:9], s[48:49]
	s_cbranch_execz .LBB106_914
; %bb.913:
	v_mov_b32_e32 v21, 0
	ds_read_b32 v21, v21 offset:14040
	s_waitcnt lgkmcnt(0)
	v_mul_f32_e32 v20, v20, v21
	ds_write_b32 v12, v20
.LBB106_914:
	s_or_b64 exec, exec, s[8:9]
	s_waitcnt lgkmcnt(0)
	s_barrier
	s_and_saveexec_b64 s[8:9], s[38:39]
	s_cbranch_execz .LBB106_916
; %bb.915:
	v_mov_b32_e32 v21, 0
	ds_read_b32 v21, v21 offset:14044
	ds_read_b32 v22, v12
	s_waitcnt lgkmcnt(0)
	v_fmac_f32_e32 v20, v21, v22
.LBB106_916:
	s_or_b64 exec, exec, s[8:9]
	s_barrier
	s_and_saveexec_b64 s[8:9], s[38:39]
	s_cbranch_execz .LBB106_918
; %bb.917:
	v_mov_b32_e32 v21, 0
	ds_read_b32 v21, v21 offset:14300
	s_waitcnt lgkmcnt(0)
	v_mul_f32_e32 v20, v20, v21
	ds_write_b32 v12, v20
.LBB106_918:
	s_or_b64 exec, exec, s[8:9]
	s_waitcnt lgkmcnt(0)
	s_barrier
	s_barrier
	s_and_saveexec_b64 s[8:9], s[2:3]
; %bb.919:
	v_xor_b32_e32 v20, 0x80000000, v20
	ds_write_b32 v6, v20 offset:12496
; %bb.920:
	s_or_b64 exec, exec, s[8:9]
	s_waitcnt lgkmcnt(0)
	s_barrier
	s_barrier
	s_and_saveexec_b64 s[8:9], vcc
	s_cbranch_execz .LBB106_922
; %bb.921:
	v_mov_b32_e32 v22, 0
	ds_read_b64 v[20:21], v22 offset:13520
	ds_read_b32 v23, v22 offset:13780
	s_waitcnt lgkmcnt(0)
	v_mul_f32_e32 v20, v20, v23
	v_mul_f32_e32 v20, v21, v20
	ds_write_b32 v22, v20 offset:13524
.LBB106_922:
	s_or_b64 exec, exec, s[8:9]
	v_mov_b32_e32 v20, 0
	s_waitcnt lgkmcnt(0)
	s_barrier
	s_and_saveexec_b64 s[10:11], s[0:1]
	s_cbranch_execz .LBB106_926
; %bb.923:
	v_mul_u32_u24_e32 v20, 0x104, v5
	ds_read_b32 v22, v1 offset:13528
	ds_read_b32 v20, v20 offset:13520
	v_mov_b32_e32 v21, 0
	v_cmp_gt_u32_e64 s[8:9], 2, v4
	s_waitcnt lgkmcnt(0)
	v_fma_f32 v20, v22, v20, 0
	s_and_saveexec_b64 s[12:13], s[8:9]
	s_cbranch_execz .LBB106_925
; %bb.924:
	v_lshlrev_b32_e32 v22, 2, v0
	ds_read_b32 v22, v22 offset:13784
	ds_read_b32 v21, v21 offset:13524
	s_waitcnt lgkmcnt(0)
	v_fmac_f32_e32 v20, v22, v21
.LBB106_925:
	s_or_b64 exec, exec, s[12:13]
	v_xor_b32_e32 v20, 0x80000000, v20
.LBB106_926:
	s_or_b64 exec, exec, s[10:11]
	s_and_saveexec_b64 s[8:9], s[36:37]
	s_cbranch_execz .LBB106_928
; %bb.927:
	v_mov_b32_e32 v21, 0
	ds_read_b32 v21, v21 offset:14040
	s_waitcnt lgkmcnt(0)
	v_mul_f32_e32 v20, v20, v21
	ds_write_b32 v3, v20
.LBB106_928:
	s_or_b64 exec, exec, s[8:9]
	s_waitcnt lgkmcnt(0)
	s_barrier
	s_and_saveexec_b64 s[8:9], s[34:35]
	s_cbranch_execz .LBB106_930
; %bb.929:
	v_mov_b32_e32 v21, 0
	ds_read_b32 v21, v21 offset:14044
	ds_read_b32 v22, v3
	s_waitcnt lgkmcnt(0)
	v_fmac_f32_e32 v20, v21, v22
.LBB106_930:
	s_or_b64 exec, exec, s[8:9]
	s_barrier
	s_and_saveexec_b64 s[8:9], s[34:35]
	s_cbranch_execz .LBB106_932
; %bb.931:
	v_mov_b32_e32 v21, 0
	ds_read_b32 v21, v21 offset:14300
	s_waitcnt lgkmcnt(0)
	v_mul_f32_e32 v20, v20, v21
	ds_write_b32 v3, v20
.LBB106_932:
	s_or_b64 exec, exec, s[8:9]
	s_waitcnt lgkmcnt(0)
	s_barrier
	s_barrier
	s_and_saveexec_b64 s[8:9], s[0:1]
; %bb.933:
	v_xor_b32_e32 v20, 0x80000000, v20
	ds_write_b32 v1, v20 offset:13528
; %bb.934:
	s_or_b64 exec, exec, s[8:9]
	s_waitcnt lgkmcnt(0)
	s_barrier
	s_barrier
	s_and_saveexec_b64 s[8:9], vcc
	s_cbranch_execz .LBB106_936
; %bb.935:
	v_mov_b32_e32 v22, 0
	ds_read_b64 v[20:21], v22 offset:14040
	ds_read_b32 v23, v22 offset:14300
	s_waitcnt lgkmcnt(0)
	v_mul_f32_e32 v20, v20, v23
	v_mul_f32_e32 v20, v21, v20
	ds_write_b32 v22, v20 offset:14044
.LBB106_936:
	s_or_b64 exec, exec, s[8:9]
	v_mov_b32_e32 v20, 0
	s_waitcnt lgkmcnt(0)
	s_barrier
	s_and_saveexec_b64 s[10:11], s[14:15]
	s_cbranch_execz .LBB106_946
; %bb.937:
	v_mul_u32_u24_e32 v21, 0x104, v19
	ds_read_b32 v20, v15 offset:12512
	ds_read_b32 v22, v21 offset:12480
	v_cmp_gt_u32_e64 s[8:9], 56, v4
	s_waitcnt lgkmcnt(0)
	v_fma_f32 v20, v20, v22, 0
	s_and_saveexec_b64 s[12:13], s[8:9]
	s_cbranch_execnz .LBB106_1186
; %bb.938:
	s_or_b64 exec, exec, s[12:13]
	v_cmp_gt_u32_e64 s[8:9], 48, v4
	s_and_saveexec_b64 s[12:13], s[8:9]
	s_cbranch_execnz .LBB106_1187
.LBB106_939:
	s_or_b64 exec, exec, s[12:13]
	v_cmp_gt_u32_e64 s[8:9], 40, v4
	s_and_saveexec_b64 s[12:13], s[8:9]
	s_cbranch_execnz .LBB106_1188
.LBB106_940:
	s_or_b64 exec, exec, s[12:13]
	v_cmp_gt_u32_e64 s[8:9], 32, v4
	s_and_saveexec_b64 s[12:13], s[8:9]
	s_cbranch_execnz .LBB106_1189
.LBB106_941:
	s_or_b64 exec, exec, s[12:13]
	v_cmp_gt_u32_e64 s[8:9], 24, v4
	s_and_saveexec_b64 s[12:13], s[8:9]
	s_cbranch_execnz .LBB106_1190
.LBB106_942:
	s_or_b64 exec, exec, s[12:13]
	v_cmp_gt_u32_e64 s[8:9], 16, v4
	s_and_saveexec_b64 s[12:13], s[8:9]
	s_cbranch_execnz .LBB106_1191
.LBB106_943:
	s_or_b64 exec, exec, s[12:13]
	v_cmp_gt_u32_e64 s[8:9], 8, v4
	s_and_saveexec_b64 s[12:13], s[8:9]
	s_cbranch_execz .LBB106_945
.LBB106_944:
	v_lshlrev_b32_e32 v18, 2, v0
	v_mov_b32_e32 v19, 0
	ds_read_b32 v18, v18 offset:14304
	ds_read_b32 v19, v19 offset:12508
	s_waitcnt lgkmcnt(0)
	v_fmac_f32_e32 v20, v18, v19
.LBB106_945:
	s_or_b64 exec, exec, s[12:13]
	v_xor_b32_e32 v20, 0x80000000, v20
.LBB106_946:
	s_or_b64 exec, exec, s[10:11]
	s_and_saveexec_b64 s[8:9], s[50:51]
	s_cbranch_execz .LBB106_948
; %bb.947:
	v_mov_b32_e32 v18, 0
	ds_read_b32 v18, v18 offset:14560
	s_waitcnt lgkmcnt(0)
	v_mul_f32_e32 v20, v20, v18
	ds_write_b32 v17, v20
.LBB106_948:
	s_or_b64 exec, exec, s[8:9]
	s_waitcnt lgkmcnt(0)
	s_barrier
	s_and_saveexec_b64 s[8:9], s[52:53]
	v_readlane_b32 s50, v33, 1
	s_cbranch_execz .LBB106_950
; %bb.949:
	ds_read_b32 v18, v16 offset:14560
	ds_read_b32 v19, v17
	s_waitcnt lgkmcnt(0)
	v_fmac_f32_e32 v20, v18, v19
.LBB106_950:
	s_or_b64 exec, exec, s[8:9]
	s_barrier
	s_and_saveexec_b64 s[8:9], s[54:55]
	s_cbranch_execz .LBB106_952
; %bb.951:
	v_mov_b32_e32 v18, 0
	ds_read_b32 v18, v18 offset:14820
	s_waitcnt lgkmcnt(0)
	v_mul_f32_e32 v20, v20, v18
	ds_write_b32 v17, v20
.LBB106_952:
	s_or_b64 exec, exec, s[8:9]
	s_waitcnt lgkmcnt(0)
	s_barrier
	s_and_saveexec_b64 s[8:9], s[56:57]
	s_cbranch_execz .LBB106_954
; %bb.953:
	ds_read_b32 v18, v16 offset:14816
	ds_read_b32 v19, v17
	s_waitcnt lgkmcnt(0)
	v_fmac_f32_e32 v20, v18, v19
.LBB106_954:
	s_or_b64 exec, exec, s[8:9]
	s_barrier
	s_and_saveexec_b64 s[8:9], s[60:61]
	s_cbranch_execz .LBB106_956
; %bb.955:
	v_mov_b32_e32 v18, 0
	ds_read_b32 v18, v18 offset:15080
	s_waitcnt lgkmcnt(0)
	v_mul_f32_e32 v20, v20, v18
	ds_write_b32 v17, v20
.LBB106_956:
	s_or_b64 exec, exec, s[8:9]
	s_waitcnt lgkmcnt(0)
	s_barrier
	s_and_saveexec_b64 s[8:9], s[62:63]
	s_cbranch_execz .LBB106_958
; %bb.957:
	ds_read_b32 v18, v16 offset:15072
	ds_read_b32 v19, v17
	s_waitcnt lgkmcnt(0)
	v_fmac_f32_e32 v20, v18, v19
.LBB106_958:
	s_or_b64 exec, exec, s[8:9]
	s_barrier
	s_and_saveexec_b64 s[8:9], s[64:65]
	s_cbranch_execz .LBB106_960
; %bb.959:
	v_mov_b32_e32 v18, 0
	ds_read_b32 v18, v18 offset:15340
	s_waitcnt lgkmcnt(0)
	v_mul_f32_e32 v20, v20, v18
	ds_write_b32 v17, v20
.LBB106_960:
	s_or_b64 exec, exec, s[8:9]
	s_waitcnt lgkmcnt(0)
	s_barrier
	s_and_saveexec_b64 s[8:9], s[66:67]
	s_cbranch_execz .LBB106_962
; %bb.961:
	ds_read_b32 v18, v16 offset:15328
	ds_read_b32 v19, v17
	s_waitcnt lgkmcnt(0)
	v_fmac_f32_e32 v20, v18, v19
.LBB106_962:
	s_or_b64 exec, exec, s[8:9]
	s_barrier
	s_and_saveexec_b64 s[8:9], s[68:69]
	s_cbranch_execz .LBB106_964
; %bb.963:
	v_mov_b32_e32 v18, 0
	ds_read_b32 v18, v18 offset:15600
	s_waitcnt lgkmcnt(0)
	v_mul_f32_e32 v20, v20, v18
	ds_write_b32 v17, v20
.LBB106_964:
	s_or_b64 exec, exec, s[8:9]
	s_waitcnt lgkmcnt(0)
	s_barrier
	s_and_saveexec_b64 s[8:9], s[70:71]
	s_cbranch_execz .LBB106_966
; %bb.965:
	ds_read_b32 v18, v16 offset:15584
	ds_read_b32 v19, v17
	s_waitcnt lgkmcnt(0)
	v_fmac_f32_e32 v20, v18, v19
.LBB106_966:
	s_or_b64 exec, exec, s[8:9]
	s_barrier
	s_and_saveexec_b64 s[8:9], s[72:73]
	s_cbranch_execz .LBB106_968
; %bb.967:
	v_mov_b32_e32 v18, 0
	ds_read_b32 v18, v18 offset:15860
	s_waitcnt lgkmcnt(0)
	v_mul_f32_e32 v20, v20, v18
	ds_write_b32 v17, v20
.LBB106_968:
	s_or_b64 exec, exec, s[8:9]
	s_waitcnt lgkmcnt(0)
	s_barrier
	s_and_saveexec_b64 s[8:9], s[74:75]
	s_cbranch_execz .LBB106_970
; %bb.969:
	ds_read_b32 v16, v16 offset:15840
	ds_read_b32 v18, v17
	s_waitcnt lgkmcnt(0)
	v_fmac_f32_e32 v20, v16, v18
.LBB106_970:
	s_or_b64 exec, exec, s[8:9]
	s_barrier
	s_and_saveexec_b64 s[8:9], s[76:77]
	s_cbranch_execz .LBB106_972
; %bb.971:
	v_mov_b32_e32 v16, 0
	ds_read_b32 v16, v16 offset:16120
	s_waitcnt lgkmcnt(0)
	v_mul_f32_e32 v20, v20, v16
	ds_write_b32 v17, v20
.LBB106_972:
	s_or_b64 exec, exec, s[8:9]
	s_waitcnt lgkmcnt(0)
	s_barrier
	s_and_saveexec_b64 s[8:9], s[58:59]
	s_cbranch_execz .LBB106_974
; %bb.973:
	v_mov_b32_e32 v16, 0
	ds_read_b32 v16, v16 offset:16124
	ds_read_b32 v18, v17
	s_waitcnt lgkmcnt(0)
	v_fmac_f32_e32 v20, v16, v18
.LBB106_974:
	s_or_b64 exec, exec, s[8:9]
	s_barrier
	s_and_saveexec_b64 s[8:9], s[58:59]
	s_cbranch_execz .LBB106_976
; %bb.975:
	v_mov_b32_e32 v16, 0
	ds_read_b32 v16, v16 offset:16380
	s_waitcnt lgkmcnt(0)
	v_mul_f32_e32 v20, v20, v16
	ds_write_b32 v17, v20
.LBB106_976:
	s_or_b64 exec, exec, s[8:9]
	s_waitcnt lgkmcnt(0)
	s_barrier
	s_barrier
	s_and_saveexec_b64 s[8:9], s[14:15]
; %bb.977:
	v_xor_b32_e32 v16, 0x80000000, v20
	ds_write_b32 v15, v16 offset:12512
; %bb.978:
	s_or_b64 exec, exec, s[8:9]
	s_waitcnt lgkmcnt(0)
	s_barrier
	s_barrier
	s_and_saveexec_b64 s[8:9], vcc
	s_cbranch_execz .LBB106_980
; %bb.979:
	v_mov_b32_e32 v17, 0
	ds_read_b64 v[15:16], v17 offset:14560
	ds_read_b32 v18, v17 offset:14820
	s_waitcnt lgkmcnt(0)
	v_mul_f32_e32 v15, v15, v18
	v_mul_f32_e32 v15, v16, v15
	ds_write_b32 v17, v15 offset:14564
.LBB106_980:
	s_or_b64 exec, exec, s[8:9]
	v_mov_b32_e32 v15, 0
	s_waitcnt lgkmcnt(0)
	s_barrier
	s_and_saveexec_b64 s[10:11], s[0:1]
	s_cbranch_execz .LBB106_984
; %bb.981:
	v_mul_u32_u24_e32 v15, 0x104, v5
	ds_read_b32 v17, v1 offset:14568
	ds_read_b32 v15, v15 offset:14560
	v_mov_b32_e32 v16, 0
	v_cmp_gt_u32_e64 s[8:9], 2, v4
	s_waitcnt lgkmcnt(0)
	v_fma_f32 v15, v17, v15, 0
	s_and_saveexec_b64 s[12:13], s[8:9]
	s_cbranch_execz .LBB106_983
; %bb.982:
	v_lshlrev_b32_e32 v17, 2, v0
	ds_read_b32 v17, v17 offset:14824
	ds_read_b32 v16, v16 offset:14564
	s_waitcnt lgkmcnt(0)
	v_fmac_f32_e32 v15, v17, v16
.LBB106_983:
	s_or_b64 exec, exec, s[12:13]
	v_xor_b32_e32 v15, 0x80000000, v15
.LBB106_984:
	s_or_b64 exec, exec, s[10:11]
	s_and_saveexec_b64 s[8:9], s[36:37]
	s_cbranch_execz .LBB106_986
; %bb.985:
	v_mov_b32_e32 v16, 0
	ds_read_b32 v16, v16 offset:15080
	s_waitcnt lgkmcnt(0)
	v_mul_f32_e32 v15, v15, v16
	ds_write_b32 v3, v15
.LBB106_986:
	s_or_b64 exec, exec, s[8:9]
	s_waitcnt lgkmcnt(0)
	s_barrier
	s_and_saveexec_b64 s[8:9], s[34:35]
	s_cbranch_execz .LBB106_988
; %bb.987:
	v_mov_b32_e32 v16, 0
	ds_read_b32 v16, v16 offset:15084
	ds_read_b32 v17, v3
	s_waitcnt lgkmcnt(0)
	v_fmac_f32_e32 v15, v16, v17
.LBB106_988:
	s_or_b64 exec, exec, s[8:9]
	s_barrier
	s_and_saveexec_b64 s[8:9], s[34:35]
	s_cbranch_execz .LBB106_990
; %bb.989:
	v_mov_b32_e32 v16, 0
	ds_read_b32 v16, v16 offset:15340
	s_waitcnt lgkmcnt(0)
	v_mul_f32_e32 v15, v15, v16
	ds_write_b32 v3, v15
.LBB106_990:
	s_or_b64 exec, exec, s[8:9]
	s_waitcnt lgkmcnt(0)
	s_barrier
	s_barrier
	s_and_saveexec_b64 s[8:9], s[0:1]
; %bb.991:
	v_xor_b32_e32 v15, 0x80000000, v15
	ds_write_b32 v1, v15 offset:14568
; %bb.992:
	s_or_b64 exec, exec, s[8:9]
	s_waitcnt lgkmcnt(0)
	s_barrier
	s_barrier
	s_and_saveexec_b64 s[8:9], vcc
	s_cbranch_execz .LBB106_994
; %bb.993:
	v_mov_b32_e32 v17, 0
	ds_read_b64 v[15:16], v17 offset:15080
	ds_read_b32 v18, v17 offset:15340
	s_waitcnt lgkmcnt(0)
	v_mul_f32_e32 v15, v15, v18
	v_mul_f32_e32 v15, v16, v15
	ds_write_b32 v17, v15 offset:15084
.LBB106_994:
	s_or_b64 exec, exec, s[8:9]
	v_mov_b32_e32 v15, 0
	s_waitcnt lgkmcnt(0)
	s_barrier
	s_and_saveexec_b64 s[10:11], s[2:3]
	s_cbranch_execz .LBB106_1000
; %bb.995:
	v_mul_u32_u24_e32 v16, 0x104, v14
	ds_read_b32 v15, v6 offset:14576
	ds_read_b32 v17, v16 offset:14560
	v_cmp_gt_u32_e64 s[8:9], 12, v4
	s_waitcnt lgkmcnt(0)
	v_fma_f32 v15, v15, v17, 0
	s_and_saveexec_b64 s[12:13], s[8:9]
	s_cbranch_execnz .LBB106_1192
; %bb.996:
	s_or_b64 exec, exec, s[12:13]
	v_cmp_gt_u32_e64 s[8:9], 8, v4
	s_and_saveexec_b64 s[12:13], s[8:9]
	s_cbranch_execnz .LBB106_1193
.LBB106_997:
	s_or_b64 exec, exec, s[12:13]
	v_cmp_gt_u32_e64 s[8:9], 4, v4
	s_and_saveexec_b64 s[12:13], s[8:9]
	s_cbranch_execz .LBB106_999
.LBB106_998:
	v_lshlrev_b32_e32 v13, 2, v0
	v_mov_b32_e32 v14, 0
	ds_read_b32 v13, v13 offset:15344
	ds_read_b32 v14, v14 offset:14572
	s_waitcnt lgkmcnt(0)
	v_fmac_f32_e32 v15, v13, v14
.LBB106_999:
	s_or_b64 exec, exec, s[12:13]
	v_xor_b32_e32 v15, 0x80000000, v15
.LBB106_1000:
	s_or_b64 exec, exec, s[10:11]
	s_and_saveexec_b64 s[8:9], s[40:41]
	s_cbranch_execz .LBB106_1002
; %bb.1001:
	v_mov_b32_e32 v13, 0
	ds_read_b32 v13, v13 offset:15600
	s_waitcnt lgkmcnt(0)
	v_mul_f32_e32 v15, v15, v13
	ds_write_b32 v12, v15
.LBB106_1002:
	s_or_b64 exec, exec, s[8:9]
	s_waitcnt lgkmcnt(0)
	s_barrier
	s_and_saveexec_b64 s[8:9], s[42:43]
	v_readlane_b32 s40, v33, 0
	s_cbranch_execz .LBB106_1004
; %bb.1003:
	ds_read_b32 v13, v11 offset:15600
	ds_read_b32 v14, v12
	s_waitcnt lgkmcnt(0)
	v_fmac_f32_e32 v15, v13, v14
.LBB106_1004:
	s_or_b64 exec, exec, s[8:9]
	s_barrier
	s_and_saveexec_b64 s[8:9], s[44:45]
	s_cbranch_execz .LBB106_1006
; %bb.1005:
	v_mov_b32_e32 v13, 0
	ds_read_b32 v13, v13 offset:15860
	s_waitcnt lgkmcnt(0)
	v_mul_f32_e32 v15, v15, v13
	ds_write_b32 v12, v15
.LBB106_1006:
	s_or_b64 exec, exec, s[8:9]
	s_waitcnt lgkmcnt(0)
	s_barrier
	s_and_saveexec_b64 s[8:9], s[46:47]
	s_cbranch_execz .LBB106_1008
; %bb.1007:
	ds_read_b32 v11, v11 offset:15856
	ds_read_b32 v13, v12
	s_waitcnt lgkmcnt(0)
	v_fmac_f32_e32 v15, v11, v13
.LBB106_1008:
	s_or_b64 exec, exec, s[8:9]
	s_barrier
	s_and_saveexec_b64 s[8:9], s[48:49]
	s_cbranch_execz .LBB106_1010
; %bb.1009:
	v_mov_b32_e32 v11, 0
	ds_read_b32 v11, v11 offset:16120
	s_waitcnt lgkmcnt(0)
	v_mul_f32_e32 v15, v15, v11
	ds_write_b32 v12, v15
.LBB106_1010:
	s_or_b64 exec, exec, s[8:9]
	s_waitcnt lgkmcnt(0)
	s_barrier
	s_and_saveexec_b64 s[8:9], s[38:39]
	s_cbranch_execz .LBB106_1012
; %bb.1011:
	v_mov_b32_e32 v11, 0
	ds_read_b32 v11, v11 offset:16124
	ds_read_b32 v13, v12
	s_waitcnt lgkmcnt(0)
	v_fmac_f32_e32 v15, v11, v13
.LBB106_1012:
	s_or_b64 exec, exec, s[8:9]
	s_barrier
	s_and_saveexec_b64 s[8:9], s[38:39]
	s_cbranch_execz .LBB106_1014
; %bb.1013:
	v_mov_b32_e32 v11, 0
	ds_read_b32 v11, v11 offset:16380
	s_waitcnt lgkmcnt(0)
	v_mul_f32_e32 v15, v15, v11
	ds_write_b32 v12, v15
.LBB106_1014:
	s_or_b64 exec, exec, s[8:9]
	s_waitcnt lgkmcnt(0)
	s_barrier
	s_barrier
	s_and_saveexec_b64 s[8:9], s[2:3]
; %bb.1015:
	v_xor_b32_e32 v11, 0x80000000, v15
	ds_write_b32 v6, v11 offset:14576
; %bb.1016:
	s_or_b64 exec, exec, s[8:9]
	s_waitcnt lgkmcnt(0)
	s_barrier
	s_barrier
	s_and_saveexec_b64 s[2:3], vcc
	s_cbranch_execz .LBB106_1018
; %bb.1017:
	v_mov_b32_e32 v6, 0
	ds_read_b64 v[11:12], v6 offset:15600
	ds_read_b32 v13, v6 offset:15860
	s_waitcnt lgkmcnt(0)
	v_mul_f32_e32 v11, v11, v13
	v_mul_f32_e32 v11, v12, v11
	ds_write_b32 v6, v11 offset:15604
.LBB106_1018:
	s_or_b64 exec, exec, s[2:3]
	v_mov_b32_e32 v6, 0
	s_waitcnt lgkmcnt(0)
	s_barrier
	s_and_saveexec_b64 s[8:9], s[0:1]
	s_cbranch_execz .LBB106_1022
; %bb.1019:
	v_mul_u32_u24_e32 v5, 0x104, v5
	ds_read_b32 v11, v1 offset:15608
	ds_read_b32 v5, v5 offset:15600
	v_mov_b32_e32 v6, 0
	v_cmp_gt_u32_e64 s[2:3], 2, v4
	s_waitcnt lgkmcnt(0)
	v_fma_f32 v5, v11, v5, 0
	s_and_saveexec_b64 s[10:11], s[2:3]
	s_cbranch_execz .LBB106_1021
; %bb.1020:
	v_lshlrev_b32_e32 v4, 2, v0
	ds_read_b32 v4, v4 offset:15864
	ds_read_b32 v6, v6 offset:15604
	s_waitcnt lgkmcnt(0)
	v_fmac_f32_e32 v5, v4, v6
.LBB106_1021:
	s_or_b64 exec, exec, s[10:11]
	v_xor_b32_e32 v6, 0x80000000, v5
.LBB106_1022:
	s_or_b64 exec, exec, s[8:9]
	s_and_saveexec_b64 s[2:3], s[36:37]
	s_cbranch_execz .LBB106_1024
; %bb.1023:
	v_mov_b32_e32 v4, 0
	ds_read_b32 v4, v4 offset:16120
	s_waitcnt lgkmcnt(0)
	v_mul_f32_e32 v6, v6, v4
	ds_write_b32 v3, v6
.LBB106_1024:
	s_or_b64 exec, exec, s[2:3]
	s_waitcnt lgkmcnt(0)
	s_barrier
	s_and_saveexec_b64 s[2:3], s[34:35]
	s_cbranch_execz .LBB106_1026
; %bb.1025:
	v_mov_b32_e32 v4, 0
	ds_read_b32 v4, v4 offset:16124
	ds_read_b32 v5, v3
	s_waitcnt lgkmcnt(0)
	v_fmac_f32_e32 v6, v4, v5
.LBB106_1026:
	s_or_b64 exec, exec, s[2:3]
	s_barrier
	s_and_saveexec_b64 s[2:3], s[34:35]
	s_cbranch_execz .LBB106_1028
; %bb.1027:
	v_mov_b32_e32 v4, 0
	ds_read_b32 v4, v4 offset:16380
	s_waitcnt lgkmcnt(0)
	v_mul_f32_e32 v6, v6, v4
	ds_write_b32 v3, v6
.LBB106_1028:
	s_or_b64 exec, exec, s[2:3]
	s_waitcnt lgkmcnt(0)
	s_barrier
	s_barrier
	s_and_saveexec_b64 s[2:3], s[0:1]
; %bb.1029:
	v_xor_b32_e32 v3, 0x80000000, v6
	ds_write_b32 v1, v3 offset:15608
; %bb.1030:
	s_or_b64 exec, exec, s[2:3]
	s_waitcnt lgkmcnt(0)
	s_barrier
	s_barrier
	s_and_saveexec_b64 s[0:1], vcc
	s_cbranch_execz .LBB106_1032
; %bb.1031:
	v_mov_b32_e32 v1, 0
	ds_read_b64 v[3:4], v1 offset:16120
	ds_read_b32 v5, v1 offset:16380
	s_waitcnt lgkmcnt(0)
	v_mul_f32_e32 v3, v3, v5
	v_mul_f32_e32 v3, v4, v3
	ds_write_b32 v1, v3 offset:16124
.LBB106_1032:
	s_or_b64 exec, exec, s[0:1]
.LBB106_1033:
	s_lshl_b64 s[0:1], s[20:21], 2
	s_add_u32 s36, s28, s0
	v_cmp_le_i32_e32 vcc, s90, v0
	s_addc_u32 s37, s29, s1
	s_and_b64 s[14:15], vcc, s[18:19]
	v_cmp_eq_u32_e64 s[0:1], 0, v2
	s_xor_b64 s[2:3], s[14:15], -1
	s_and_b64 s[8:9], s[0:1], s[2:3]
	v_mov_b32_e32 v12, 0
	v_add_u32_e32 v3, s33, v0
	s_waitcnt lgkmcnt(0)
	s_barrier
	s_and_saveexec_b64 s[2:3], s[8:9]
	s_cbranch_execz .LBB106_1035
; %bb.1034:
	v_ashrrev_i32_e32 v1, 31, v3
	v_mul_lo_u32 v6, s23, v3
	v_mad_u64_u32 v[4:5], s[8:9], s22, v3, 0
	v_mul_lo_u32 v1, s22, v1
	v_add3_u32 v5, v5, v1, v6
	v_lshlrev_b64 v[4:5], 2, v[4:5]
	v_mov_b32_e32 v1, s37
	v_add_co_u32_e32 v4, vcc, s36, v4
	v_addc_co_u32_e32 v5, vcc, v1, v5, vcc
	flat_load_dword v1, v[4:5]
	s_waitcnt vmcnt(0) lgkmcnt(0)
	v_mul_f32_e64 v12, v1, -s40
.LBB106_1035:
	s_or_b64 exec, exec, s[2:3]
	s_load_dwordx2 s[12:13], s[4:5], 0x50
	s_and_b32 s2, 0xffff, s93
	v_mad_u32_u24 v11, v2, s2, v0
	s_cmp_lt_i32 s6, 1
	v_cmp_eq_u32_e64 s[2:3], 0, v11
	s_cbranch_scc1 .LBB106_1061
; %bb.1036:
	v_mov_b32_e32 v4, 0
	v_mov_b32_e32 v5, 0x5000
	v_lshl_add_u32 v1, v11, 2, v5
	v_lshl_or_b32 v13, v2, 2, v5
	v_lshlrev_b64 v[5:6], 2, v[3:4]
	s_lshl_b64 s[4:5], s[24:25], 2
	s_waitcnt lgkmcnt(0)
	s_add_u32 s16, s12, s4
	v_cmp_gt_i32_e64 s[10:11], s7, v3
	v_mov_b32_e32 v14, s92
	v_add_co_u32_e32 v3, vcc, s91, v5
	s_mul_i32 s8, s27, 0xc0
	s_mul_hi_u32 s9, s26, 0xc0
	s_mov_b32 s38, 0
	s_addc_u32 s17, s13, s5
	v_cmp_gt_u32_e64 s[4:5], 64, v11
	s_add_i32 s39, s6, -1
	v_addc_co_u32_e32 v14, vcc, v14, v6, vcc
	s_lshl_b64 s[20:21], s[26:27], 6
	s_lshl_b64 s[28:29], s[26:27], 7
	s_add_i32 s40, s9, s8
	s_mul_i32 s41, s26, 0xc0
	v_mov_b32_e32 v15, -1
	s_branch .LBB106_1039
.LBB106_1037:                           ;   in Loop: Header=BB106_1039 Depth=1
	ds_read_b32 v5, v13 offset:192
	s_waitcnt vmcnt(0) lgkmcnt(0)
	v_fmac_f32_e32 v12, v16, v5
.LBB106_1038:                           ;   in Loop: Header=BB106_1039 Depth=1
	s_or_b64 exec, exec, s[34:35]
	s_add_i32 s38, s38, 1
	s_cmp_eq_u32 s38, s6
	s_cbranch_scc1 .LBB106_1061
.LBB106_1039:                           ; =>This Loop Header: Depth=1
                                        ;     Child Loop BB106_1041 Depth 2
	v_cmp_gt_i32_e32 vcc, s38, v15
	s_and_b64 s[34:35], s[2:3], vcc
	s_and_saveexec_b64 s[8:9], s[34:35]
	s_cbranch_execz .LBB106_1042
; %bb.1040:                             ;   in Loop: Header=BB106_1039 Depth=1
	global_load_dword v15, v4, s[16:17]
	s_waitcnt vmcnt(0)
	v_cmp_le_i32_e32 vcc, s38, v15
	s_cbranch_vccnz .LBB106_1042
.LBB106_1041:                           ;   Parent Loop BB106_1039 Depth=1
                                        ; =>  This Inner Loop Header: Depth=2
	buffer_wbinvl1_vol
	global_load_dword v15, v4, s[16:17]
	s_waitcnt vmcnt(0)
	v_cmp_gt_i32_e32 vcc, s38, v15
	s_cbranch_vccnz .LBB106_1041
.LBB106_1042:                           ;   in Loop: Header=BB106_1039 Depth=1
	s_or_b64 exec, exec, s[8:9]
	s_lshl_b32 s42, s38, 6
	buffer_wbinvl1_vol
	s_barrier
	s_and_saveexec_b64 s[8:9], s[4:5]
	s_cbranch_execz .LBB106_1046
; %bb.1043:                             ;   in Loop: Header=BB106_1039 Depth=1
	v_or_b32_e32 v6, s42, v11
	v_cmp_gt_i32_e32 vcc, s7, v6
	v_mov_b32_e32 v5, 0
	s_and_saveexec_b64 s[34:35], vcc
	s_cbranch_execz .LBB106_1045
; %bb.1044:                             ;   in Loop: Header=BB106_1039 Depth=1
	v_mad_u64_u32 v[16:17], s[44:45], s22, v6, 0
	v_mov_b32_e32 v18, s37
	v_mov_b32_e32 v5, v17
	v_mad_u64_u32 v[5:6], s[44:45], s23, v6, v[5:6]
	v_mov_b32_e32 v17, v5
	v_lshlrev_b64 v[5:6], 2, v[16:17]
	v_add_co_u32_e32 v5, vcc, s36, v5
	v_addc_co_u32_e32 v6, vcc, v18, v6, vcc
	flat_load_dword v5, v[5:6]
.LBB106_1045:                           ;   in Loop: Header=BB106_1039 Depth=1
	s_or_b64 exec, exec, s[34:35]
	s_waitcnt vmcnt(0) lgkmcnt(0)
	ds_write_b32 v1, v5
.LBB106_1046:                           ;   in Loop: Header=BB106_1039 Depth=1
	s_or_b64 exec, exec, s[8:9]
	v_add_u32_e32 v16, s42, v2
	v_mad_u64_u32 v[5:6], s[8:9], s26, v16, 0
	s_cmp_lg_u32 s38, s39
	s_waitcnt lgkmcnt(0)
	v_mad_u64_u32 v[17:18], s[8:9], s27, v16, v[6:7]
	s_cselect_b64 s[8:9], -1, 0
	s_barrier
	v_mov_b32_e32 v6, v17
	v_lshlrev_b64 v[5:6], 2, v[5:6]
	v_cndmask_b32_e64 v17, 0, 1, s[8:9]
	v_add_co_u32_e32 v5, vcc, v3, v5
	v_addc_co_u32_e32 v6, vcc, v14, v6, vcc
	v_cmp_gt_i32_e32 vcc, s7, v16
	s_and_b64 s[42:43], s[10:11], vcc
	v_cmp_ne_u32_e64 s[8:9], 1, v17
	s_and_saveexec_b64 s[34:35], s[42:43]
	s_cbranch_execz .LBB106_1050
; %bb.1047:                             ;   in Loop: Header=BB106_1039 Depth=1
	s_and_b64 vcc, exec, s[8:9]
	v_mov_b32_e32 v17, v7
	s_cbranch_vccnz .LBB106_1049
; %bb.1048:                             ;   in Loop: Header=BB106_1039 Depth=1
	flat_load_dword v17, v[5:6]
.LBB106_1049:                           ;   in Loop: Header=BB106_1039 Depth=1
	ds_read_b32 v18, v13
	s_waitcnt vmcnt(0) lgkmcnt(0)
	v_fmac_f32_e32 v12, v17, v18
.LBB106_1050:                           ;   in Loop: Header=BB106_1039 Depth=1
	s_or_b64 exec, exec, s[34:35]
	v_add_u32_e32 v17, 16, v16
	v_cmp_gt_i32_e32 vcc, s7, v17
	s_and_b64 s[42:43], s[10:11], vcc
	s_and_saveexec_b64 s[34:35], s[42:43]
	s_cbranch_execz .LBB106_1054
; %bb.1051:                             ;   in Loop: Header=BB106_1039 Depth=1
	s_and_b64 vcc, exec, s[8:9]
	v_mov_b32_e32 v17, v8
	s_cbranch_vccnz .LBB106_1053
; %bb.1052:                             ;   in Loop: Header=BB106_1039 Depth=1
	v_mov_b32_e32 v18, s21
	v_add_co_u32_e32 v17, vcc, s20, v5
	v_addc_co_u32_e32 v18, vcc, v6, v18, vcc
	flat_load_dword v17, v[17:18]
.LBB106_1053:                           ;   in Loop: Header=BB106_1039 Depth=1
	ds_read_b32 v18, v13 offset:64
	s_waitcnt vmcnt(0) lgkmcnt(0)
	v_fmac_f32_e32 v12, v17, v18
.LBB106_1054:                           ;   in Loop: Header=BB106_1039 Depth=1
	s_or_b64 exec, exec, s[34:35]
	v_add_u32_e32 v17, 32, v16
	v_cmp_gt_i32_e32 vcc, s7, v17
	s_and_b64 s[42:43], s[10:11], vcc
	s_and_saveexec_b64 s[34:35], s[42:43]
	s_cbranch_execz .LBB106_1058
; %bb.1055:                             ;   in Loop: Header=BB106_1039 Depth=1
	s_and_b64 vcc, exec, s[8:9]
	v_mov_b32_e32 v17, v10
	s_cbranch_vccnz .LBB106_1057
; %bb.1056:                             ;   in Loop: Header=BB106_1039 Depth=1
	v_mov_b32_e32 v18, s29
	v_add_co_u32_e32 v17, vcc, s28, v5
	v_addc_co_u32_e32 v18, vcc, v6, v18, vcc
	flat_load_dword v17, v[17:18]
.LBB106_1057:                           ;   in Loop: Header=BB106_1039 Depth=1
	ds_read_b32 v18, v13 offset:128
	s_waitcnt vmcnt(0) lgkmcnt(0)
	v_fmac_f32_e32 v12, v17, v18
.LBB106_1058:                           ;   in Loop: Header=BB106_1039 Depth=1
	s_or_b64 exec, exec, s[34:35]
	v_add_u32_e32 v16, 48, v16
	v_cmp_gt_i32_e32 vcc, s7, v16
	s_and_b64 s[42:43], s[10:11], vcc
	s_and_saveexec_b64 s[34:35], s[42:43]
	s_cbranch_execz .LBB106_1038
; %bb.1059:                             ;   in Loop: Header=BB106_1039 Depth=1
	s_and_b64 vcc, exec, s[8:9]
	v_mov_b32_e32 v16, v9
	s_cbranch_vccnz .LBB106_1037
; %bb.1060:                             ;   in Loop: Header=BB106_1039 Depth=1
	v_mov_b32_e32 v16, s40
	v_add_co_u32_e32 v5, vcc, s41, v5
	v_addc_co_u32_e32 v6, vcc, v6, v16, vcc
	flat_load_dword v16, v[5:6]
	s_branch .LBB106_1037
.LBB106_1061:
	v_lshl_add_u32 v1, v2, 6, v0
	s_xor_b64 s[2:3], s[18:19], -1
	s_xor_b64 s[4:5], s[30:31], -1
	v_lshlrev_b32_e32 v1, 2, v1
	ds_write_b32 v1, v12 offset:16384
	s_waitcnt lgkmcnt(0)
	s_barrier
	s_and_saveexec_b64 s[6:7], s[0:1]
	s_cbranch_execz .LBB106_1063
; %bb.1062:
	v_lshlrev_b32_e32 v15, 2, v0
	ds_read2st64_b32 v[3:4], v15 offset0:65 offset1:66
	ds_read2st64_b32 v[5:6], v15 offset0:67 offset1:68
	;; [unrolled: 1-line block ×5, first 2 shown]
	s_waitcnt lgkmcnt(4)
	v_add_f32_e32 v3, v12, v3
	v_add_f32_e32 v3, v3, v4
	s_waitcnt lgkmcnt(3)
	v_add_f32_e32 v3, v3, v5
	v_add_f32_e32 v3, v3, v6
	;; [unrolled: 3-line block ×4, first 2 shown]
	ds_read2st64_b32 v[3:4], v15 offset0:75 offset1:76
	ds_read2st64_b32 v[5:6], v15 offset0:77 offset1:78
	ds_read_b32 v8, v15 offset:20224
	s_waitcnt lgkmcnt(3)
	v_add_f32_e32 v7, v7, v13
	v_add_f32_e32 v7, v7, v14
	s_waitcnt lgkmcnt(2)
	v_add_f32_e32 v3, v7, v3
	v_add_f32_e32 v3, v3, v4
	;; [unrolled: 3-line block ×3, first 2 shown]
	s_waitcnt lgkmcnt(0)
	v_add_f32_e32 v3, v3, v8
	v_cndmask_b32_e64 v12, -v3, 0, s[14:15]
.LBB106_1063:
	s_or_b64 exec, exec, s[6:7]
	s_andn2_b64 vcc, exec, s[4:5]
	s_cbranch_vccnz .LBB106_1076
; %bb.1064:
	v_mov_b32_e32 v3, 0x5000
	v_lshl_or_b32 v4, v2, 2, v3
	s_and_saveexec_b64 s[4:5], s[0:1]
; %bb.1065:
	v_lshl_add_u32 v3, v0, 2, v4
	ds_write_b32 v3, v12
; %bb.1066:
	s_or_b64 exec, exec, s[4:5]
	v_cmp_ge_u32_e32 vcc, v0, v2
	v_mov_b32_e32 v3, 0
	s_waitcnt lgkmcnt(0)
	s_barrier
	s_and_saveexec_b64 s[4:5], vcc
	s_cbranch_execz .LBB106_1068
; %bb.1067:
	ds_read_b32 v3, v1
	ds_read_b32 v5, v4
	s_waitcnt lgkmcnt(0)
	v_fma_f32 v3, v3, v5, 0
.LBB106_1068:
	s_or_b64 exec, exec, s[4:5]
	v_add_u32_e32 v5, 16, v2
	v_cmp_ge_u32_e32 vcc, v0, v5
	s_and_saveexec_b64 s[4:5], vcc
	s_cbranch_execz .LBB106_1070
; %bb.1069:
	ds_read_b32 v5, v1 offset:4096
	ds_read_b32 v6, v4 offset:64
	s_waitcnt lgkmcnt(0)
	v_fmac_f32_e32 v3, v5, v6
.LBB106_1070:
	s_or_b64 exec, exec, s[4:5]
	v_add_u32_e32 v5, 32, v2
	v_cmp_ge_u32_e32 vcc, v0, v5
	s_and_saveexec_b64 s[4:5], vcc
	s_cbranch_execz .LBB106_1072
; %bb.1071:
	ds_read_b32 v5, v1 offset:8192
	ds_read_b32 v6, v4 offset:128
	s_waitcnt lgkmcnt(0)
	v_fmac_f32_e32 v3, v5, v6
.LBB106_1072:
	s_or_b64 exec, exec, s[4:5]
	v_add_u32_e32 v2, 48, v2
	v_add_u32_e32 v5, 0x4000, v1
	v_cmp_ge_u32_e32 vcc, v0, v2
	s_and_saveexec_b64 s[4:5], vcc
	s_cbranch_execz .LBB106_1074
; %bb.1073:
	ds_read_b32 v1, v1 offset:12288
	ds_read_b32 v2, v4 offset:192
	s_waitcnt lgkmcnt(0)
	v_fmac_f32_e32 v3, v1, v2
.LBB106_1074:
	s_or_b64 exec, exec, s[4:5]
	s_mov_b64 s[6:7], 0
	s_mov_b64 s[4:5], 0
	ds_write_b32 v5, v3
	s_waitcnt lgkmcnt(0)
	s_barrier
                                        ; implicit-def: $vgpr4
                                        ; implicit-def: $vgpr1_vgpr2
	s_and_saveexec_b64 s[8:9], s[0:1]
	s_cbranch_execz .LBB106_1133
; %bb.1075:
	v_lshlrev_b32_e32 v10, 2, v0
	ds_read2st64_b32 v[1:2], v10 offset0:65 offset1:66
	ds_read2st64_b32 v[4:5], v10 offset0:67 offset1:68
	;; [unrolled: 1-line block ×4, first 2 shown]
	s_mov_b64 s[4:5], exec
	s_waitcnt lgkmcnt(3)
	v_add_f32_e32 v1, v3, v1
	v_add_f32_e32 v1, v2, v1
	s_waitcnt lgkmcnt(2)
	v_add_f32_e32 v1, v4, v1
	v_add_f32_e32 v1, v5, v1
	ds_read2st64_b32 v[2:3], v10 offset0:73 offset1:74
	s_waitcnt lgkmcnt(2)
	v_add_f32_e32 v1, v6, v1
	v_add_f32_e32 v1, v7, v1
	s_waitcnt lgkmcnt(1)
	v_add_f32_e32 v1, v8, v1
	v_add_f32_e32 v1, v9, v1
	ds_read2st64_b32 v[4:5], v10 offset0:75 offset1:76
	ds_read2st64_b32 v[6:7], v10 offset0:77 offset1:78
	ds_read_b32 v8, v10 offset:20224
	v_add_u32_e32 v10, s33, v11
	s_waitcnt lgkmcnt(3)
	v_add_f32_e32 v9, v2, v1
	v_mad_u64_u32 v[1:2], s[10:11], s22, v10, 0
	v_add_f32_e32 v3, v3, v9
	s_waitcnt lgkmcnt(2)
	v_add_f32_e32 v3, v4, v3
	v_add_f32_e32 v4, v5, v3
	v_mad_u64_u32 v[2:3], s[10:11], s23, v10, v[2:3]
	s_waitcnt lgkmcnt(1)
	v_add_f32_e32 v3, v6, v4
	v_add_f32_e32 v3, v7, v3
	s_waitcnt lgkmcnt(0)
	v_add_f32_e32 v4, v8, v3
	s_or_b64 exec, exec, s[8:9]
	s_and_b64 vcc, exec, s[6:7]
	s_cbranch_vccnz .LBB106_1077
	s_branch .LBB106_1134
.LBB106_1076:
	s_mov_b64 s[4:5], 0
                                        ; implicit-def: $vgpr4
                                        ; implicit-def: $vgpr1_vgpr2
	s_cbranch_execz .LBB106_1134
.LBB106_1077:
	v_mul_u32_u24_e32 v1, 0x104, v0
	v_lshlrev_b32_e32 v2, 8, v0
	v_sub_u32_e32 v2, v1, v2
	s_mov_b32 s8, 0
	v_mov_b32_e32 v3, 0
	v_mov_b32_e32 v4, v0
	s_branch .LBB106_1079
.LBB106_1078:                           ;   in Loop: Header=BB106_1079 Depth=1
	s_or_b64 exec, exec, s[6:7]
	s_add_i32 s8, s8, 4
	v_add_u32_e32 v2, 0x400, v2
	s_cmp_lg_u32 s8, 64
	v_add_u32_e32 v4, -4, v4
	s_barrier
	s_cbranch_scc0 .LBB106_1095
.LBB106_1079:                           ; =>This Inner Loop Header: Depth=1
	v_cmp_eq_u32_e32 vcc, 0, v4
	s_and_b64 s[10:11], s[0:1], vcc
	s_and_saveexec_b64 s[6:7], s[10:11]
	s_cbranch_execz .LBB106_1081
; %bb.1080:                             ;   in Loop: Header=BB106_1079 Depth=1
	ds_read_b32 v5, v1
	s_waitcnt lgkmcnt(0)
	v_mul_f32_e32 v12, v12, v5
	ds_write_b32 v3, v12 offset:20736
.LBB106_1081:                           ;   in Loop: Header=BB106_1079 Depth=1
	s_or_b64 exec, exec, s[6:7]
	v_cmp_lt_u32_e32 vcc, s8, v0
	s_and_b64 s[10:11], s[0:1], vcc
	s_waitcnt lgkmcnt(0)
	s_barrier
	s_and_saveexec_b64 s[6:7], s[10:11]
	s_cbranch_execz .LBB106_1083
; %bb.1082:                             ;   in Loop: Header=BB106_1079 Depth=1
	ds_read_b32 v5, v2
	ds_read_b32 v6, v3 offset:20736
	s_waitcnt lgkmcnt(0)
	v_fmac_f32_e32 v12, v5, v6
.LBB106_1083:                           ;   in Loop: Header=BB106_1079 Depth=1
	s_or_b64 exec, exec, s[6:7]
	s_or_b32 s9, s8, 1
	v_cmp_eq_u32_e32 vcc, s9, v0
	s_and_b64 s[10:11], s[0:1], vcc
	s_barrier
	s_and_saveexec_b64 s[6:7], s[10:11]
	s_cbranch_execz .LBB106_1085
; %bb.1084:                             ;   in Loop: Header=BB106_1079 Depth=1
	ds_read_b32 v5, v1
	s_waitcnt lgkmcnt(0)
	v_mul_f32_e32 v12, v12, v5
	ds_write_b32 v3, v12 offset:20736
.LBB106_1085:                           ;   in Loop: Header=BB106_1079 Depth=1
	s_or_b64 exec, exec, s[6:7]
	v_cmp_lt_u32_e32 vcc, s9, v0
	s_and_b64 s[10:11], s[0:1], vcc
	s_waitcnt lgkmcnt(0)
	s_barrier
	s_and_saveexec_b64 s[6:7], s[10:11]
	s_cbranch_execz .LBB106_1087
; %bb.1086:                             ;   in Loop: Header=BB106_1079 Depth=1
	ds_read_b32 v5, v2 offset:256
	ds_read_b32 v6, v3 offset:20736
	s_waitcnt lgkmcnt(0)
	v_fmac_f32_e32 v12, v5, v6
.LBB106_1087:                           ;   in Loop: Header=BB106_1079 Depth=1
	s_or_b64 exec, exec, s[6:7]
	s_or_b32 s9, s8, 2
	v_cmp_eq_u32_e32 vcc, s9, v0
	s_and_b64 s[10:11], s[0:1], vcc
	s_barrier
	s_and_saveexec_b64 s[6:7], s[10:11]
	s_cbranch_execz .LBB106_1089
; %bb.1088:                             ;   in Loop: Header=BB106_1079 Depth=1
	ds_read_b32 v5, v1
	s_waitcnt lgkmcnt(0)
	v_mul_f32_e32 v12, v12, v5
	ds_write_b32 v3, v12 offset:20736
.LBB106_1089:                           ;   in Loop: Header=BB106_1079 Depth=1
	s_or_b64 exec, exec, s[6:7]
	v_cmp_lt_u32_e32 vcc, s9, v0
	s_and_b64 s[10:11], s[0:1], vcc
	s_waitcnt lgkmcnt(0)
	s_barrier
	s_and_saveexec_b64 s[6:7], s[10:11]
	s_cbranch_execz .LBB106_1091
; %bb.1090:                             ;   in Loop: Header=BB106_1079 Depth=1
	ds_read_b32 v5, v2 offset:512
	ds_read_b32 v6, v3 offset:20736
	s_waitcnt lgkmcnt(0)
	v_fmac_f32_e32 v12, v5, v6
.LBB106_1091:                           ;   in Loop: Header=BB106_1079 Depth=1
	s_or_b64 exec, exec, s[6:7]
	s_or_b32 s9, s8, 3
	v_cmp_eq_u32_e32 vcc, s9, v0
	s_and_b64 s[10:11], s[0:1], vcc
	s_barrier
	s_and_saveexec_b64 s[6:7], s[10:11]
	s_cbranch_execz .LBB106_1093
; %bb.1092:                             ;   in Loop: Header=BB106_1079 Depth=1
	ds_read_b32 v5, v1
	s_waitcnt lgkmcnt(0)
	v_mul_f32_e32 v12, v12, v5
	ds_write_b32 v3, v12 offset:20736
.LBB106_1093:                           ;   in Loop: Header=BB106_1079 Depth=1
	s_or_b64 exec, exec, s[6:7]
	v_cmp_lt_u32_e32 vcc, s9, v0
	s_and_b64 s[10:11], s[0:1], vcc
	s_waitcnt lgkmcnt(0)
	s_barrier
	s_and_saveexec_b64 s[6:7], s[10:11]
	s_cbranch_execz .LBB106_1078
; %bb.1094:                             ;   in Loop: Header=BB106_1079 Depth=1
	ds_read_b32 v5, v2 offset:768
	ds_read_b32 v6, v3 offset:20736
	s_waitcnt lgkmcnt(0)
	v_fmac_f32_e32 v12, v5, v6
	s_branch .LBB106_1078
.LBB106_1095:
	s_and_b64 vcc, exec, s[2:3]
	s_cbranch_vccz .LBB106_1135
; %bb.1096:
	s_and_b64 s[2:3], s[0:1], exec
	s_cbranch_execz .LBB106_1136
	s_branch .LBB106_1137
.LBB106_1097:
	v_cmp_ne_u32_e32 vcc, v0, v2
	s_and_saveexec_b64 s[8:9], vcc
	s_xor_b64 s[8:9], exec, s[8:9]
; %bb.1098:
	v_or_b32_e32 v1, v2, v0
	v_cmp_gt_u32_e32 vcc, 64, v1
	s_and_b64 s[2:3], vcc, exec
                                        ; implicit-def: $vgpr5_vgpr6
; %bb.1099:
	s_or_saveexec_b64 s[8:9], s[8:9]
	v_mov_b32_e32 v1, 0
	s_xor_b64 exec, exec, s[8:9]
	s_cbranch_execz .LBB106_1101
; %bb.1100:
	v_lshlrev_b64 v[5:6], 2, v[5:6]
	v_mov_b32_e32 v1, s92
	v_add_co_u32_e32 v5, vcc, s91, v5
	v_addc_co_u32_e32 v6, vcc, v1, v6, vcc
	flat_load_dword v1, v[5:6]
	s_or_b64 s[2:3], s[2:3], exec
	s_waitcnt vmcnt(0) lgkmcnt(0)
	v_div_scale_f32 v5, s[10:11], v1, v1, 1.0
	v_div_scale_f32 v6, vcc, 1.0, v1, 1.0
	v_rcp_f32_e32 v11, v5
	v_fma_f32 v12, -v5, v11, 1.0
	v_fmac_f32_e32 v11, v12, v11
	v_mul_f32_e32 v12, v6, v11
	v_fma_f32 v13, -v5, v12, v6
	v_fmac_f32_e32 v12, v13, v11
	v_fma_f32 v5, -v5, v12, v6
	v_div_fmas_f32 v5, v5, v11, v12
	v_div_fixup_f32 v1, v5, v1, 1.0
.LBB106_1101:
	s_or_b64 exec, exec, s[8:9]
	s_and_b64 s[2:3], s[2:3], exec
                                        ; implicit-def: $vgpr5_vgpr6
	s_andn2_saveexec_b64 s[0:1], s[0:1]
	s_cbranch_execz .LBB106_14
.LBB106_1102:
	v_lshlrev_b64 v[5:6], 2, v[5:6]
	v_mov_b32_e32 v1, s92
	v_add_co_u32_e32 v5, vcc, s91, v5
	v_addc_co_u32_e32 v6, vcc, v1, v6, vcc
	flat_load_dword v1, v[5:6]
	s_or_b64 s[2:3], s[2:3], exec
	s_waitcnt vmcnt(0) lgkmcnt(0)
	v_xor_b32_e32 v1, 0x80000000, v1
	s_or_b64 exec, exec, s[0:1]
	s_and_saveexec_b64 s[0:1], s[2:3]
	s_cbranch_execnz .LBB106_15
	s_branch .LBB106_16
.LBB106_1103:
	v_cmp_ne_u32_e32 vcc, v0, v1
	s_and_saveexec_b64 s[8:9], vcc
	s_xor_b64 s[8:9], exec, s[8:9]
; %bb.1104:
	v_or_b32_e32 v5, v1, v0
	v_cmp_gt_u32_e32 vcc, 64, v5
	s_and_b64 s[2:3], vcc, exec
                                        ; implicit-def: $vgpr5_vgpr6
; %bb.1105:
	s_or_saveexec_b64 s[8:9], s[8:9]
	v_mov_b32_e32 v11, 0
	s_xor_b64 exec, exec, s[8:9]
	s_cbranch_execz .LBB106_1107
; %bb.1106:
	v_lshlrev_b64 v[5:6], 2, v[5:6]
	v_mov_b32_e32 v11, s92
	v_add_co_u32_e32 v5, vcc, s91, v5
	v_addc_co_u32_e32 v6, vcc, v11, v6, vcc
	flat_load_dword v5, v[5:6]
	s_or_b64 s[2:3], s[2:3], exec
	s_waitcnt vmcnt(0) lgkmcnt(0)
	v_div_scale_f32 v6, s[10:11], v5, v5, 1.0
	v_div_scale_f32 v11, vcc, 1.0, v5, 1.0
	v_rcp_f32_e32 v12, v6
	v_fma_f32 v13, -v6, v12, 1.0
	v_fmac_f32_e32 v12, v13, v12
	v_mul_f32_e32 v13, v11, v12
	v_fma_f32 v14, -v6, v13, v11
	v_fmac_f32_e32 v13, v14, v12
	v_fma_f32 v6, -v6, v13, v11
	v_div_fmas_f32 v6, v6, v12, v13
	v_div_fixup_f32 v11, v6, v5, 1.0
.LBB106_1107:
	s_or_b64 exec, exec, s[8:9]
	s_and_b64 s[2:3], s[2:3], exec
                                        ; implicit-def: $vgpr5_vgpr6
	s_andn2_saveexec_b64 s[0:1], s[0:1]
	s_cbranch_execz .LBB106_18
.LBB106_1108:
	v_lshlrev_b64 v[5:6], 2, v[5:6]
	v_mov_b32_e32 v11, s92
	v_add_co_u32_e32 v5, vcc, s91, v5
	v_addc_co_u32_e32 v6, vcc, v11, v6, vcc
	flat_load_dword v5, v[5:6]
	s_or_b64 s[2:3], s[2:3], exec
	s_waitcnt vmcnt(0) lgkmcnt(0)
	v_xor_b32_e32 v11, 0x80000000, v5
	s_or_b64 exec, exec, s[0:1]
	s_and_saveexec_b64 s[0:1], s[2:3]
	s_cbranch_execnz .LBB106_19
	s_branch .LBB106_20
.LBB106_1109:
	v_cmp_ne_u32_e32 vcc, v0, v1
	s_and_saveexec_b64 s[8:9], vcc
	s_xor_b64 s[8:9], exec, s[8:9]
; %bb.1110:
	v_or_b32_e32 v5, v1, v0
	v_cmp_gt_u32_e32 vcc, 64, v5
	s_and_b64 s[2:3], vcc, exec
                                        ; implicit-def: $vgpr5_vgpr6
; %bb.1111:
	s_or_saveexec_b64 s[8:9], s[8:9]
	v_mov_b32_e32 v11, 0
	s_xor_b64 exec, exec, s[8:9]
	s_cbranch_execz .LBB106_1113
; %bb.1112:
	v_lshlrev_b64 v[5:6], 2, v[5:6]
	v_mov_b32_e32 v11, s92
	v_add_co_u32_e32 v5, vcc, s91, v5
	v_addc_co_u32_e32 v6, vcc, v11, v6, vcc
	flat_load_dword v5, v[5:6]
	s_or_b64 s[2:3], s[2:3], exec
	s_waitcnt vmcnt(0) lgkmcnt(0)
	v_div_scale_f32 v6, s[10:11], v5, v5, 1.0
	v_div_scale_f32 v11, vcc, 1.0, v5, 1.0
	v_rcp_f32_e32 v12, v6
	v_fma_f32 v13, -v6, v12, 1.0
	v_fmac_f32_e32 v12, v13, v12
	v_mul_f32_e32 v13, v11, v12
	v_fma_f32 v14, -v6, v13, v11
	v_fmac_f32_e32 v13, v14, v12
	v_fma_f32 v6, -v6, v13, v11
	v_div_fmas_f32 v6, v6, v12, v13
	v_div_fixup_f32 v11, v6, v5, 1.0
.LBB106_1113:
	s_or_b64 exec, exec, s[8:9]
	s_and_b64 s[2:3], s[2:3], exec
                                        ; implicit-def: $vgpr5_vgpr6
	s_andn2_saveexec_b64 s[0:1], s[0:1]
	s_cbranch_execz .LBB106_22
.LBB106_1114:
	v_lshlrev_b64 v[5:6], 2, v[5:6]
	v_mov_b32_e32 v11, s92
	v_add_co_u32_e32 v5, vcc, s91, v5
	v_addc_co_u32_e32 v6, vcc, v11, v6, vcc
	flat_load_dword v5, v[5:6]
	s_or_b64 s[2:3], s[2:3], exec
	s_waitcnt vmcnt(0) lgkmcnt(0)
	v_xor_b32_e32 v11, 0x80000000, v5
	s_or_b64 exec, exec, s[0:1]
	s_and_saveexec_b64 s[0:1], s[2:3]
	s_cbranch_execnz .LBB106_23
	s_branch .LBB106_24
.LBB106_1115:
	v_cmp_ne_u32_e32 vcc, v0, v2
	s_xor_b64 s[10:11], s[0:1], -1
	s_or_b64 s[12:13], s[10:11], vcc
	s_mov_b64 s[10:11], 0
	s_and_saveexec_b64 s[14:15], s[12:13]
	s_xor_b64 s[12:13], exec, s[14:15]
; %bb.1116:
	v_or_b32_e32 v1, v2, v0
	v_cmp_gt_u32_e32 vcc, 64, v1
	s_and_b64 s[10:11], vcc, exec
                                        ; implicit-def: $vgpr5_vgpr6
; %bb.1117:
	s_or_saveexec_b64 s[12:13], s[12:13]
	v_mov_b32_e32 v1, 0
	s_xor_b64 exec, exec, s[12:13]
	s_cbranch_execz .LBB106_1119
; %bb.1118:
	v_lshlrev_b64 v[5:6], 2, v[5:6]
	v_mov_b32_e32 v1, s92
	v_add_co_u32_e32 v5, vcc, s91, v5
	v_addc_co_u32_e32 v6, vcc, v1, v6, vcc
	flat_load_dword v1, v[5:6]
	s_or_b64 s[10:11], s[10:11], exec
	s_waitcnt vmcnt(0) lgkmcnt(0)
	v_div_scale_f32 v5, s[14:15], v1, v1, 1.0
	v_div_scale_f32 v6, vcc, 1.0, v1, 1.0
	v_rcp_f32_e32 v11, v5
	v_fma_f32 v12, -v5, v11, 1.0
	v_fmac_f32_e32 v11, v12, v11
	v_mul_f32_e32 v12, v6, v11
	v_fma_f32 v13, -v5, v12, v6
	v_fmac_f32_e32 v12, v13, v11
	v_fma_f32 v5, -v5, v12, v6
	v_div_fmas_f32 v5, v5, v11, v12
	v_div_fixup_f32 v1, v5, v1, 1.0
.LBB106_1119:
	s_or_b64 exec, exec, s[12:13]
	s_and_b64 s[10:11], s[10:11], exec
                                        ; implicit-def: $vgpr5_vgpr6
	s_andn2_saveexec_b64 s[2:3], s[2:3]
	s_cbranch_execz .LBB106_36
.LBB106_1120:
	v_lshlrev_b64 v[5:6], 2, v[5:6]
	v_mov_b32_e32 v1, s92
	v_add_co_u32_e32 v5, vcc, s91, v5
	v_addc_co_u32_e32 v6, vcc, v1, v6, vcc
	flat_load_dword v1, v[5:6]
	s_or_b64 s[10:11], s[10:11], exec
	s_waitcnt vmcnt(0) lgkmcnt(0)
	v_xor_b32_e32 v1, 0x80000000, v1
	s_or_b64 exec, exec, s[2:3]
	s_and_saveexec_b64 s[2:3], s[10:11]
	s_cbranch_execnz .LBB106_37
	s_branch .LBB106_38
.LBB106_1121:
	v_cmp_ne_u32_e32 vcc, v0, v1
	s_xor_b64 s[10:11], s[0:1], -1
	s_or_b64 s[12:13], s[10:11], vcc
	s_mov_b64 s[10:11], 0
	s_and_saveexec_b64 s[14:15], s[12:13]
	s_xor_b64 s[12:13], exec, s[14:15]
; %bb.1122:
	v_or_b32_e32 v5, v1, v0
	v_cmp_gt_u32_e32 vcc, 64, v5
	s_and_b64 s[10:11], vcc, exec
                                        ; implicit-def: $vgpr5_vgpr6
; %bb.1123:
	s_or_saveexec_b64 s[12:13], s[12:13]
	v_mov_b32_e32 v11, 0
	s_xor_b64 exec, exec, s[12:13]
	s_cbranch_execz .LBB106_1125
; %bb.1124:
	v_lshlrev_b64 v[5:6], 2, v[5:6]
	v_mov_b32_e32 v11, s92
	v_add_co_u32_e32 v5, vcc, s91, v5
	v_addc_co_u32_e32 v6, vcc, v11, v6, vcc
	flat_load_dword v5, v[5:6]
	s_or_b64 s[10:11], s[10:11], exec
	s_waitcnt vmcnt(0) lgkmcnt(0)
	v_div_scale_f32 v6, s[14:15], v5, v5, 1.0
	v_div_scale_f32 v11, vcc, 1.0, v5, 1.0
	v_rcp_f32_e32 v12, v6
	v_fma_f32 v13, -v6, v12, 1.0
	v_fmac_f32_e32 v12, v13, v12
	v_mul_f32_e32 v13, v11, v12
	v_fma_f32 v14, -v6, v13, v11
	v_fmac_f32_e32 v13, v14, v12
	v_fma_f32 v6, -v6, v13, v11
	v_div_fmas_f32 v6, v6, v12, v13
	v_div_fixup_f32 v11, v6, v5, 1.0
.LBB106_1125:
	s_or_b64 exec, exec, s[12:13]
	s_and_b64 s[10:11], s[10:11], exec
                                        ; implicit-def: $vgpr5_vgpr6
	s_andn2_saveexec_b64 s[2:3], s[2:3]
	s_cbranch_execz .LBB106_40
.LBB106_1126:
	v_lshlrev_b64 v[5:6], 2, v[5:6]
	v_mov_b32_e32 v11, s92
	v_add_co_u32_e32 v5, vcc, s91, v5
	v_addc_co_u32_e32 v6, vcc, v11, v6, vcc
	flat_load_dword v5, v[5:6]
	s_or_b64 s[10:11], s[10:11], exec
	s_waitcnt vmcnt(0) lgkmcnt(0)
	v_xor_b32_e32 v11, 0x80000000, v5
	s_or_b64 exec, exec, s[2:3]
	s_and_saveexec_b64 s[2:3], s[10:11]
	s_cbranch_execnz .LBB106_41
	s_branch .LBB106_42
.LBB106_1127:
	v_cmp_ne_u32_e32 vcc, v0, v1
	s_xor_b64 s[10:11], s[0:1], -1
	s_or_b64 s[12:13], s[10:11], vcc
	s_mov_b64 s[10:11], 0
	s_and_saveexec_b64 s[14:15], s[12:13]
	s_xor_b64 s[12:13], exec, s[14:15]
; %bb.1128:
	v_or_b32_e32 v5, v1, v0
	v_cmp_gt_u32_e32 vcc, 64, v5
	s_and_b64 s[10:11], vcc, exec
                                        ; implicit-def: $vgpr5_vgpr6
; %bb.1129:
	s_or_saveexec_b64 s[12:13], s[12:13]
	v_mov_b32_e32 v11, 0
	s_xor_b64 exec, exec, s[12:13]
	s_cbranch_execz .LBB106_1131
; %bb.1130:
	v_lshlrev_b64 v[5:6], 2, v[5:6]
	v_mov_b32_e32 v11, s92
	v_add_co_u32_e32 v5, vcc, s91, v5
	v_addc_co_u32_e32 v6, vcc, v11, v6, vcc
	flat_load_dword v5, v[5:6]
	s_or_b64 s[10:11], s[10:11], exec
	s_waitcnt vmcnt(0) lgkmcnt(0)
	v_div_scale_f32 v6, s[14:15], v5, v5, 1.0
	v_div_scale_f32 v11, vcc, 1.0, v5, 1.0
	v_rcp_f32_e32 v12, v6
	v_fma_f32 v13, -v6, v12, 1.0
	v_fmac_f32_e32 v12, v13, v12
	v_mul_f32_e32 v13, v11, v12
	v_fma_f32 v14, -v6, v13, v11
	v_fmac_f32_e32 v13, v14, v12
	v_fma_f32 v6, -v6, v13, v11
	v_div_fmas_f32 v6, v6, v12, v13
	v_div_fixup_f32 v11, v6, v5, 1.0
.LBB106_1131:
	s_or_b64 exec, exec, s[12:13]
	s_and_b64 s[10:11], s[10:11], exec
                                        ; implicit-def: $vgpr5_vgpr6
	s_andn2_saveexec_b64 s[2:3], s[2:3]
	s_cbranch_execz .LBB106_44
.LBB106_1132:
	v_lshlrev_b64 v[5:6], 2, v[5:6]
	v_mov_b32_e32 v11, s92
	v_add_co_u32_e32 v5, vcc, s91, v5
	v_addc_co_u32_e32 v6, vcc, v11, v6, vcc
	flat_load_dword v5, v[5:6]
	s_or_b64 s[10:11], s[10:11], exec
	s_waitcnt vmcnt(0) lgkmcnt(0)
	v_xor_b32_e32 v11, 0x80000000, v5
	s_or_b64 exec, exec, s[2:3]
	s_and_saveexec_b64 s[2:3], s[10:11]
	s_cbranch_execnz .LBB106_45
	s_branch .LBB106_46
.LBB106_1133:
	s_or_b64 exec, exec, s[8:9]
	s_and_b64 vcc, exec, s[6:7]
	s_cbranch_vccnz .LBB106_1077
.LBB106_1134:
	v_mov_b32_e32 v12, v4
	s_and_saveexec_b64 s[0:1], s[4:5]
	s_cbranch_execnz .LBB106_1140
	s_branch .LBB106_1141
.LBB106_1135:
	s_mov_b64 s[2:3], 0
.LBB106_1136:
	v_cmp_gt_i32_e32 vcc, s90, v0
	s_and_b64 s[0:1], s[0:1], vcc
	s_andn2_b64 s[2:3], s[2:3], exec
	s_and_b64 s[0:1], s[0:1], exec
	s_or_b64 s[2:3], s[2:3], s[0:1]
.LBB106_1137:
                                        ; implicit-def: $vgpr1_vgpr2
	s_and_saveexec_b64 s[0:1], s[2:3]
	s_cbranch_execz .LBB106_1139
; %bb.1138:
	v_mov_b32_e32 v0, s50
	v_add_co_u32_e32 v1, vcc, s33, v11
	v_addc_co_u32_e32 v0, vcc, 0, v0, vcc
	v_mul_lo_u32 v0, v0, s22
	v_mul_lo_u32 v3, v1, s23
	v_mad_u64_u32 v[1:2], s[2:3], v1, s22, 0
	s_or_b64 s[4:5], s[4:5], exec
	v_add3_u32 v2, v2, v3, v0
.LBB106_1139:
	s_or_b64 exec, exec, s[0:1]
	s_and_saveexec_b64 s[0:1], s[4:5]
	s_cbranch_execz .LBB106_1141
.LBB106_1140:
	v_lshlrev_b64 v[0:1], 2, v[1:2]
	v_mov_b32_e32 v2, s37
	v_add_co_u32_e32 v0, vcc, s36, v0
	v_addc_co_u32_e32 v1, vcc, v2, v1, vcc
	flat_store_dword v[0:1], v12
.LBB106_1141:
	s_or_b64 exec, exec, s[0:1]
	v_cmp_eq_u32_e32 vcc, 0, v11
	s_waitcnt vmcnt(0) lgkmcnt(0)
	buffer_wbinvl1_vol
	s_barrier
	s_and_saveexec_b64 s[0:1], vcc
	s_cbranch_execz .LBB106_1143
; %bb.1142:
	s_lshl_b64 s[2:3], s[24:25], 2
	s_add_u32 s2, s12, s2
	s_addc_u32 s3, s13, s3
	v_mov_b32_e32 v0, 0
	global_load_dword v1, v0, s[2:3]
	s_waitcnt vmcnt(0)
	v_add_u32_e32 v1, 1, v1
	global_store_dword v0, v1, s[2:3]
.LBB106_1143:
	s_or_b64 exec, exec, s[0:1]
	s_waitcnt vmcnt(0)
	buffer_wbinvl1_vol
	s_endpgm
.LBB106_1144:
	v_lshlrev_b32_e32 v16, 2, v14
	v_sub_u32_e32 v16, v15, v16
	v_lshl_add_u32 v16, v13, 2, v16
	ds_read_b32 v16, v16 offset:272
	ds_read_b32 v17, v15 offset:4
	s_waitcnt lgkmcnt(0)
	v_fmac_f32_e32 v12, v16, v17
	s_or_b64 exec, exec, s[14:15]
	v_cmp_gt_u32_e64 s[10:11], 8, v4
	s_and_saveexec_b64 s[14:15], s[10:11]
	s_cbranch_execz .LBB106_77
.LBB106_1145:
	ds_read_b32 v16, v6 offset:528
	ds_read_b32 v15, v15 offset:8
	s_waitcnt lgkmcnt(0)
	v_fmac_f32_e32 v12, v16, v15
	s_or_b64 exec, exec, s[14:15]
	v_cmp_gt_u32_e64 s[10:11], 4, v4
	s_and_saveexec_b64 s[14:15], s[10:11]
	s_cbranch_execnz .LBB106_78
	s_branch .LBB106_79
.LBB106_1146:
	v_lshlrev_b32_e32 v21, 2, v19
	v_sub_u32_e32 v21, v20, v21
	v_lshl_add_u32 v21, v18, 2, v21
	ds_read_b32 v21, v21 offset:288
	ds_read_b32 v22, v20 offset:4
	s_waitcnt lgkmcnt(0)
	v_fmac_f32_e32 v17, v21, v22
	s_or_b64 exec, exec, s[16:17]
	v_cmp_gt_u32_e64 s[10:11], 48, v4
	s_and_saveexec_b64 s[16:17], s[10:11]
	s_cbranch_execz .LBB106_115
.LBB106_1147:
	v_lshlrev_b32_e32 v21, 2, v19
	v_sub_u32_e32 v21, v20, v21
	v_lshl_add_u32 v21, v18, 2, v21
	ds_read_b32 v21, v21 offset:544
	ds_read_b32 v22, v20 offset:8
	s_waitcnt lgkmcnt(0)
	v_fmac_f32_e32 v17, v21, v22
	s_or_b64 exec, exec, s[16:17]
	v_cmp_gt_u32_e64 s[10:11], 40, v4
	s_and_saveexec_b64 s[16:17], s[10:11]
	s_cbranch_execz .LBB106_116
.LBB106_1148:
	v_lshlrev_b32_e32 v21, 2, v19
	v_sub_u32_e32 v21, v20, v21
	v_lshl_add_u32 v21, v18, 2, v21
	ds_read_b32 v21, v21 offset:800
	ds_read_b32 v22, v20 offset:12
	s_waitcnt lgkmcnt(0)
	v_fmac_f32_e32 v17, v21, v22
	s_or_b64 exec, exec, s[16:17]
	v_cmp_gt_u32_e64 s[10:11], 32, v4
	s_and_saveexec_b64 s[16:17], s[10:11]
	s_cbranch_execz .LBB106_117
.LBB106_1149:
	ds_read_b32 v21, v15 offset:1056
	ds_read_b32 v22, v20 offset:16
	s_waitcnt lgkmcnt(0)
	v_fmac_f32_e32 v17, v21, v22
	s_or_b64 exec, exec, s[16:17]
	v_cmp_gt_u32_e64 s[10:11], 24, v4
	s_and_saveexec_b64 s[16:17], s[10:11]
	s_cbranch_execz .LBB106_118
.LBB106_1150:
	v_lshlrev_b32_e32 v21, 2, v19
	v_sub_u32_e32 v21, v20, v21
	v_lshl_add_u32 v21, v18, 2, v21
	ds_read_b32 v21, v21 offset:1312
	ds_read_b32 v22, v20 offset:20
	s_waitcnt lgkmcnt(0)
	v_fmac_f32_e32 v17, v21, v22
	s_or_b64 exec, exec, s[16:17]
	v_cmp_gt_u32_e64 s[10:11], 16, v4
	s_and_saveexec_b64 s[16:17], s[10:11]
	s_cbranch_execz .LBB106_119
.LBB106_1151:
	ds_read_b32 v21, v15 offset:1568
	ds_read_b32 v20, v20 offset:24
	s_waitcnt lgkmcnt(0)
	v_fmac_f32_e32 v17, v21, v20
	s_or_b64 exec, exec, s[16:17]
	v_cmp_gt_u32_e64 s[10:11], 8, v4
	s_and_saveexec_b64 s[16:17], s[10:11]
	s_cbranch_execnz .LBB106_120
	s_branch .LBB106_121
.LBB106_1152:
	v_lshlrev_b32_e32 v22, 2, v14
	v_sub_u32_e32 v22, v21, v22
	v_lshl_add_u32 v22, v13, 2, v22
	ds_read_b32 v22, v22 offset:2352
	ds_read_b32 v23, v21 offset:2084
	s_waitcnt lgkmcnt(0)
	v_fmac_f32_e32 v20, v22, v23
	s_or_b64 exec, exec, s[12:13]
	v_cmp_gt_u32_e64 s[8:9], 8, v4
	s_and_saveexec_b64 s[12:13], s[8:9]
	s_cbranch_execz .LBB106_173
.LBB106_1153:
	ds_read_b32 v22, v6 offset:2608
	ds_read_b32 v21, v21 offset:2088
	s_waitcnt lgkmcnt(0)
	v_fmac_f32_e32 v20, v22, v21
	s_or_b64 exec, exec, s[12:13]
	v_cmp_gt_u32_e64 s[8:9], 4, v4
	s_and_saveexec_b64 s[12:13], s[8:9]
	s_cbranch_execnz .LBB106_174
	s_branch .LBB106_175
.LBB106_1154:
	v_lshlrev_b32_e32 v26, 2, v21
	v_lshl_add_u32 v26, v23, 2, v26
	ds_read_b32 v26, v26 offset:2880
	ds_read_b32 v27, v25 offset:44
	s_waitcnt lgkmcnt(0)
	v_fmac_f32_e32 v22, v26, v27
	s_or_b64 exec, exec, s[78:79]
	v_cmp_gt_u32_e64 s[12:13], 64, v4
	s_and_saveexec_b64 s[78:79], s[12:13]
	s_cbranch_execz .LBB106_231
.LBB106_1155:
	ds_read_b32 v26, v20 offset:3136
	ds_read_b32 v27, v25 offset:48
	s_waitcnt lgkmcnt(0)
	v_fmac_f32_e32 v22, v26, v27
	s_or_b64 exec, exec, s[78:79]
	v_cmp_gt_u32_e64 s[12:13], 48, v4
	s_and_saveexec_b64 s[78:79], s[12:13]
	s_cbranch_execz .LBB106_232
.LBB106_1156:
	v_lshlrev_b32_e32 v26, 2, v21
	v_lshl_add_u32 v26, v23, 2, v26
	ds_read_b32 v26, v26 offset:3392
	ds_read_b32 v27, v25 offset:52
	s_waitcnt lgkmcnt(0)
	v_fmac_f32_e32 v22, v26, v27
	s_or_b64 exec, exec, s[78:79]
	v_cmp_gt_u32_e64 s[12:13], 32, v4
	s_and_saveexec_b64 s[78:79], s[12:13]
	s_cbranch_execz .LBB106_233
.LBB106_1157:
	ds_read_b32 v26, v20 offset:3648
	ds_read_b32 v25, v25 offset:56
	s_waitcnt lgkmcnt(0)
	v_fmac_f32_e32 v22, v26, v25
	s_or_b64 exec, exec, s[78:79]
	v_cmp_gt_u32_e64 s[12:13], 16, v4
	s_and_saveexec_b64 s[78:79], s[12:13]
	s_cbranch_execnz .LBB106_234
	s_branch .LBB106_235
.LBB106_1158:
	v_lshlrev_b32_e32 v27, 2, v14
	v_sub_u32_e32 v27, v26, v27
	v_lshl_add_u32 v27, v13, 2, v27
	ds_read_b32 v27, v27 offset:4432
	ds_read_b32 v28, v26 offset:4164
	s_waitcnt lgkmcnt(0)
	v_fmac_f32_e32 v25, v27, v28
	s_or_b64 exec, exec, s[16:17]
	v_cmp_gt_u32_e64 s[10:11], 8, v4
	s_and_saveexec_b64 s[16:17], s[10:11]
	s_cbranch_execz .LBB106_319
.LBB106_1159:
	ds_read_b32 v27, v6 offset:4688
	ds_read_b32 v26, v26 offset:4168
	s_waitcnt lgkmcnt(0)
	v_fmac_f32_e32 v25, v27, v26
	s_or_b64 exec, exec, s[16:17]
	v_cmp_gt_u32_e64 s[10:11], 4, v4
	s_and_saveexec_b64 s[16:17], s[10:11]
	s_cbranch_execnz .LBB106_320
	s_branch .LBB106_321
.LBB106_1160:
	v_lshlrev_b32_e32 v27, 2, v19
	v_sub_u32_e32 v27, v26, v27
	v_lshl_add_u32 v27, v18, 2, v27
	ds_read_b32 v27, v27 offset:4448
	ds_read_b32 v28, v26 offset:4164
	s_waitcnt lgkmcnt(0)
	v_fmac_f32_e32 v25, v27, v28
	s_or_b64 exec, exec, s[16:17]
	v_cmp_gt_u32_e64 s[10:11], 48, v4
	s_and_saveexec_b64 s[16:17], s[10:11]
	s_cbranch_execz .LBB106_357
.LBB106_1161:
	v_lshlrev_b32_e32 v27, 2, v19
	v_sub_u32_e32 v27, v26, v27
	v_lshl_add_u32 v27, v18, 2, v27
	ds_read_b32 v27, v27 offset:4704
	ds_read_b32 v28, v26 offset:4168
	s_waitcnt lgkmcnt(0)
	v_fmac_f32_e32 v25, v27, v28
	s_or_b64 exec, exec, s[16:17]
	v_cmp_gt_u32_e64 s[10:11], 40, v4
	s_and_saveexec_b64 s[16:17], s[10:11]
	s_cbranch_execz .LBB106_358
.LBB106_1162:
	v_lshlrev_b32_e32 v27, 2, v19
	v_sub_u32_e32 v27, v26, v27
	v_lshl_add_u32 v27, v18, 2, v27
	ds_read_b32 v27, v27 offset:4960
	ds_read_b32 v28, v26 offset:4172
	s_waitcnt lgkmcnt(0)
	v_fmac_f32_e32 v25, v27, v28
	s_or_b64 exec, exec, s[16:17]
	v_cmp_gt_u32_e64 s[10:11], 32, v4
	s_and_saveexec_b64 s[16:17], s[10:11]
	s_cbranch_execz .LBB106_359
.LBB106_1163:
	ds_read_b32 v27, v15 offset:5216
	ds_read_b32 v28, v26 offset:4176
	s_waitcnt lgkmcnt(0)
	v_fmac_f32_e32 v25, v27, v28
	s_or_b64 exec, exec, s[16:17]
	v_cmp_gt_u32_e64 s[10:11], 24, v4
	s_and_saveexec_b64 s[16:17], s[10:11]
	s_cbranch_execz .LBB106_360
.LBB106_1164:
	v_lshlrev_b32_e32 v27, 2, v19
	v_sub_u32_e32 v27, v26, v27
	v_lshl_add_u32 v27, v18, 2, v27
	ds_read_b32 v27, v27 offset:5472
	ds_read_b32 v28, v26 offset:4180
	s_waitcnt lgkmcnt(0)
	v_fmac_f32_e32 v25, v27, v28
	s_or_b64 exec, exec, s[16:17]
	v_cmp_gt_u32_e64 s[10:11], 16, v4
	s_and_saveexec_b64 s[16:17], s[10:11]
	s_cbranch_execz .LBB106_361
.LBB106_1165:
	ds_read_b32 v27, v15 offset:5728
	ds_read_b32 v26, v26 offset:4184
	s_waitcnt lgkmcnt(0)
	v_fmac_f32_e32 v25, v27, v26
	s_or_b64 exec, exec, s[16:17]
	v_cmp_gt_u32_e64 s[10:11], 8, v4
	s_and_saveexec_b64 s[16:17], s[10:11]
	s_cbranch_execnz .LBB106_362
	s_branch .LBB106_363
.LBB106_1166:
	v_lshlrev_b32_e32 v27, 2, v14
	v_sub_u32_e32 v27, v26, v27
	v_lshl_add_u32 v27, v13, 2, v27
	ds_read_b32 v27, v27 offset:6512
	ds_read_b32 v28, v26 offset:6244
	s_waitcnt lgkmcnt(0)
	v_fmac_f32_e32 v25, v27, v28
	s_or_b64 exec, exec, s[16:17]
	v_cmp_gt_u32_e64 s[10:11], 8, v4
	s_and_saveexec_b64 s[16:17], s[10:11]
	s_cbranch_execz .LBB106_415
.LBB106_1167:
	ds_read_b32 v27, v6 offset:6768
	ds_read_b32 v26, v26 offset:6248
	s_waitcnt lgkmcnt(0)
	v_fmac_f32_e32 v25, v27, v26
	s_or_b64 exec, exec, s[16:17]
	v_cmp_gt_u32_e64 s[10:11], 4, v4
	s_and_saveexec_b64 s[16:17], s[10:11]
	s_cbranch_execnz .LBB106_416
	s_branch .LBB106_417
.LBB106_1168:
	ds_read_b32 v31, v25 offset:7552
	ds_read_b32 v32, v30 offset:116
	s_waitcnt lgkmcnt(0)
	v_fmac_f32_e32 v28, v31, v32
	s_or_b64 exec, exec, s[88:89]
	v_cmp_gt_u32_e64 s[16:17], 64, v4
	s_and_saveexec_b64 s[88:89], s[16:17]
	s_cbranch_execz .LBB106_509
.LBB106_1169:
	ds_read_b32 v31, v25 offset:7808
	ds_read_b32 v30, v30 offset:120
	s_waitcnt lgkmcnt(0)
	v_fmac_f32_e32 v28, v31, v30
	s_or_b64 exec, exec, s[88:89]
	v_cmp_gt_u32_e64 s[16:17], 32, v4
	s_and_saveexec_b64 s[88:89], s[16:17]
	s_cbranch_execnz .LBB106_510
	s_branch .LBB106_511
.LBB106_1170:
	v_lshlrev_b32_e32 v27, 2, v14
	v_sub_u32_e32 v27, v26, v27
	v_lshl_add_u32 v27, v13, 2, v27
	ds_read_b32 v27, v27 offset:8592
	ds_read_b32 v28, v26 offset:8324
	s_waitcnt lgkmcnt(0)
	v_fmac_f32_e32 v25, v27, v28
	s_or_b64 exec, exec, s[16:17]
	v_cmp_gt_u32_e64 s[10:11], 8, v4
	s_and_saveexec_b64 s[16:17], s[10:11]
	s_cbranch_execz .LBB106_659
.LBB106_1171:
	ds_read_b32 v27, v6 offset:8848
	ds_read_b32 v26, v26 offset:8328
	s_waitcnt lgkmcnt(0)
	v_fmac_f32_e32 v25, v27, v26
	s_or_b64 exec, exec, s[16:17]
	v_cmp_gt_u32_e64 s[10:11], 4, v4
	s_and_saveexec_b64 s[16:17], s[10:11]
	s_cbranch_execnz .LBB106_660
	s_branch .LBB106_661
.LBB106_1172:
	v_lshlrev_b32_e32 v27, 2, v19
	v_sub_u32_e32 v27, v26, v27
	v_lshl_add_u32 v27, v18, 2, v27
	ds_read_b32 v27, v27 offset:8608
	ds_read_b32 v28, v26 offset:8324
	s_waitcnt lgkmcnt(0)
	v_fmac_f32_e32 v25, v27, v28
	s_or_b64 exec, exec, s[16:17]
	v_cmp_gt_u32_e64 s[10:11], 48, v4
	s_and_saveexec_b64 s[16:17], s[10:11]
	s_cbranch_execz .LBB106_697
.LBB106_1173:
	v_lshlrev_b32_e32 v27, 2, v19
	v_sub_u32_e32 v27, v26, v27
	v_lshl_add_u32 v27, v18, 2, v27
	ds_read_b32 v27, v27 offset:8864
	ds_read_b32 v28, v26 offset:8328
	s_waitcnt lgkmcnt(0)
	v_fmac_f32_e32 v25, v27, v28
	s_or_b64 exec, exec, s[16:17]
	v_cmp_gt_u32_e64 s[10:11], 40, v4
	s_and_saveexec_b64 s[16:17], s[10:11]
	s_cbranch_execz .LBB106_698
.LBB106_1174:
	v_lshlrev_b32_e32 v27, 2, v19
	v_sub_u32_e32 v27, v26, v27
	v_lshl_add_u32 v27, v18, 2, v27
	ds_read_b32 v27, v27 offset:9120
	ds_read_b32 v28, v26 offset:8332
	s_waitcnt lgkmcnt(0)
	v_fmac_f32_e32 v25, v27, v28
	s_or_b64 exec, exec, s[16:17]
	v_cmp_gt_u32_e64 s[10:11], 32, v4
	s_and_saveexec_b64 s[16:17], s[10:11]
	s_cbranch_execz .LBB106_699
.LBB106_1175:
	ds_read_b32 v27, v15 offset:9376
	ds_read_b32 v28, v26 offset:8336
	s_waitcnt lgkmcnt(0)
	v_fmac_f32_e32 v25, v27, v28
	s_or_b64 exec, exec, s[16:17]
	v_cmp_gt_u32_e64 s[10:11], 24, v4
	s_and_saveexec_b64 s[16:17], s[10:11]
	s_cbranch_execz .LBB106_700
.LBB106_1176:
	v_lshlrev_b32_e32 v27, 2, v19
	v_sub_u32_e32 v27, v26, v27
	v_lshl_add_u32 v27, v18, 2, v27
	ds_read_b32 v27, v27 offset:9632
	ds_read_b32 v28, v26 offset:8340
	s_waitcnt lgkmcnt(0)
	v_fmac_f32_e32 v25, v27, v28
	s_or_b64 exec, exec, s[16:17]
	v_cmp_gt_u32_e64 s[10:11], 16, v4
	s_and_saveexec_b64 s[16:17], s[10:11]
	s_cbranch_execz .LBB106_701
.LBB106_1177:
	ds_read_b32 v27, v15 offset:9888
	ds_read_b32 v26, v26 offset:8344
	s_waitcnt lgkmcnt(0)
	v_fmac_f32_e32 v25, v27, v26
	s_or_b64 exec, exec, s[16:17]
	v_cmp_gt_u32_e64 s[10:11], 8, v4
	s_and_saveexec_b64 s[16:17], s[10:11]
	s_cbranch_execnz .LBB106_702
	s_branch .LBB106_703
.LBB106_1178:
	v_lshlrev_b32_e32 v27, 2, v14
	v_sub_u32_e32 v27, v26, v27
	v_lshl_add_u32 v27, v13, 2, v27
	ds_read_b32 v27, v27 offset:10672
	ds_read_b32 v28, v26 offset:10404
	s_waitcnt lgkmcnt(0)
	v_fmac_f32_e32 v25, v27, v28
	s_or_b64 exec, exec, s[16:17]
	v_cmp_gt_u32_e64 s[10:11], 8, v4
	s_and_saveexec_b64 s[16:17], s[10:11]
	s_cbranch_execz .LBB106_755
.LBB106_1179:
	ds_read_b32 v27, v6 offset:10928
	ds_read_b32 v26, v26 offset:10408
	s_waitcnt lgkmcnt(0)
	v_fmac_f32_e32 v25, v27, v26
	s_or_b64 exec, exec, s[16:17]
	v_cmp_gt_u32_e64 s[10:11], 4, v4
	s_and_saveexec_b64 s[16:17], s[10:11]
	s_cbranch_execnz .LBB106_756
	s_branch .LBB106_757
.LBB106_1180:
	v_lshlrev_b32_e32 v24, 2, v21
	v_lshl_add_u32 v24, v23, 2, v24
	ds_read_b32 v24, v24 offset:11200
	ds_read_b32 v27, v26 offset:8364
	s_waitcnt lgkmcnt(0)
	v_fmac_f32_e32 v25, v24, v27
	s_or_b64 exec, exec, s[16:17]
	v_cmp_gt_u32_e64 s[10:11], 64, v4
	s_and_saveexec_b64 s[16:17], s[10:11]
	s_cbranch_execz .LBB106_813
.LBB106_1181:
	ds_read_b32 v24, v20 offset:11456
	ds_read_b32 v27, v26 offset:8368
	s_waitcnt lgkmcnt(0)
	v_fmac_f32_e32 v25, v24, v27
	s_or_b64 exec, exec, s[16:17]
	v_cmp_gt_u32_e64 s[10:11], 48, v4
	s_and_saveexec_b64 s[16:17], s[10:11]
	s_cbranch_execz .LBB106_814
.LBB106_1182:
	v_lshlrev_b32_e32 v24, 2, v21
	v_lshl_add_u32 v23, v23, 2, v24
	ds_read_b32 v23, v23 offset:11712
	ds_read_b32 v24, v26 offset:8372
	s_waitcnt lgkmcnt(0)
	v_fmac_f32_e32 v25, v23, v24
	s_or_b64 exec, exec, s[16:17]
	v_cmp_gt_u32_e64 s[10:11], 32, v4
	s_and_saveexec_b64 s[16:17], s[10:11]
	s_cbranch_execz .LBB106_815
.LBB106_1183:
	ds_read_b32 v23, v20 offset:11968
	ds_read_b32 v24, v26 offset:8376
	s_waitcnt lgkmcnt(0)
	v_fmac_f32_e32 v25, v23, v24
	s_or_b64 exec, exec, s[16:17]
	v_cmp_gt_u32_e64 s[10:11], 16, v4
	s_and_saveexec_b64 s[16:17], s[10:11]
	s_cbranch_execnz .LBB106_816
	s_branch .LBB106_817
.LBB106_1184:
	v_lshlrev_b32_e32 v22, 2, v14
	v_sub_u32_e32 v22, v21, v22
	v_lshl_add_u32 v22, v13, 2, v22
	ds_read_b32 v22, v22 offset:12752
	ds_read_b32 v23, v21 offset:12484
	s_waitcnt lgkmcnt(0)
	v_fmac_f32_e32 v20, v22, v23
	s_or_b64 exec, exec, s[12:13]
	v_cmp_gt_u32_e64 s[8:9], 8, v4
	s_and_saveexec_b64 s[12:13], s[8:9]
	s_cbranch_execz .LBB106_901
.LBB106_1185:
	ds_read_b32 v22, v6 offset:13008
	ds_read_b32 v21, v21 offset:12488
	s_waitcnt lgkmcnt(0)
	v_fmac_f32_e32 v20, v22, v21
	s_or_b64 exec, exec, s[12:13]
	v_cmp_gt_u32_e64 s[8:9], 4, v4
	s_and_saveexec_b64 s[12:13], s[8:9]
	s_cbranch_execnz .LBB106_902
	s_branch .LBB106_903
.LBB106_1186:
	v_lshlrev_b32_e32 v22, 2, v19
	v_sub_u32_e32 v22, v21, v22
	v_lshl_add_u32 v22, v18, 2, v22
	ds_read_b32 v22, v22 offset:12768
	ds_read_b32 v23, v21 offset:12484
	s_waitcnt lgkmcnt(0)
	v_fmac_f32_e32 v20, v22, v23
	s_or_b64 exec, exec, s[12:13]
	v_cmp_gt_u32_e64 s[8:9], 48, v4
	s_and_saveexec_b64 s[12:13], s[8:9]
	s_cbranch_execz .LBB106_939
.LBB106_1187:
	v_lshlrev_b32_e32 v22, 2, v19
	v_sub_u32_e32 v22, v21, v22
	v_lshl_add_u32 v22, v18, 2, v22
	ds_read_b32 v22, v22 offset:13024
	ds_read_b32 v23, v21 offset:12488
	s_waitcnt lgkmcnt(0)
	v_fmac_f32_e32 v20, v22, v23
	s_or_b64 exec, exec, s[12:13]
	v_cmp_gt_u32_e64 s[8:9], 40, v4
	s_and_saveexec_b64 s[12:13], s[8:9]
	s_cbranch_execz .LBB106_940
.LBB106_1188:
	v_lshlrev_b32_e32 v22, 2, v19
	v_sub_u32_e32 v22, v21, v22
	v_lshl_add_u32 v22, v18, 2, v22
	ds_read_b32 v22, v22 offset:13280
	ds_read_b32 v23, v21 offset:12492
	s_waitcnt lgkmcnt(0)
	v_fmac_f32_e32 v20, v22, v23
	s_or_b64 exec, exec, s[12:13]
	v_cmp_gt_u32_e64 s[8:9], 32, v4
	s_and_saveexec_b64 s[12:13], s[8:9]
	s_cbranch_execz .LBB106_941
.LBB106_1189:
	ds_read_b32 v22, v15 offset:13536
	ds_read_b32 v23, v21 offset:12496
	s_waitcnt lgkmcnt(0)
	v_fmac_f32_e32 v20, v22, v23
	s_or_b64 exec, exec, s[12:13]
	v_cmp_gt_u32_e64 s[8:9], 24, v4
	s_and_saveexec_b64 s[12:13], s[8:9]
	s_cbranch_execz .LBB106_942
.LBB106_1190:
	v_lshlrev_b32_e32 v19, 2, v19
	v_sub_u32_e32 v19, v21, v19
	v_lshl_add_u32 v18, v18, 2, v19
	ds_read_b32 v18, v18 offset:13792
	ds_read_b32 v19, v21 offset:12500
	s_waitcnt lgkmcnt(0)
	v_fmac_f32_e32 v20, v18, v19
	s_or_b64 exec, exec, s[12:13]
	v_cmp_gt_u32_e64 s[8:9], 16, v4
	s_and_saveexec_b64 s[12:13], s[8:9]
	s_cbranch_execz .LBB106_943
.LBB106_1191:
	ds_read_b32 v18, v15 offset:14048
	ds_read_b32 v19, v21 offset:12504
	s_waitcnt lgkmcnt(0)
	v_fmac_f32_e32 v20, v18, v19
	s_or_b64 exec, exec, s[12:13]
	v_cmp_gt_u32_e64 s[8:9], 8, v4
	s_and_saveexec_b64 s[12:13], s[8:9]
	s_cbranch_execnz .LBB106_944
	s_branch .LBB106_945
.LBB106_1192:
	v_lshlrev_b32_e32 v14, 2, v14
	v_sub_u32_e32 v14, v16, v14
	v_lshl_add_u32 v13, v13, 2, v14
	ds_read_b32 v13, v13 offset:14832
	ds_read_b32 v14, v16 offset:14564
	s_waitcnt lgkmcnt(0)
	v_fmac_f32_e32 v15, v13, v14
	s_or_b64 exec, exec, s[12:13]
	v_cmp_gt_u32_e64 s[8:9], 8, v4
	s_and_saveexec_b64 s[12:13], s[8:9]
	s_cbranch_execz .LBB106_997
.LBB106_1193:
	ds_read_b32 v13, v6 offset:15088
	ds_read_b32 v14, v16 offset:14568
	s_waitcnt lgkmcnt(0)
	v_fmac_f32_e32 v15, v13, v14
	s_or_b64 exec, exec, s[12:13]
	v_cmp_gt_u32_e64 s[8:9], 4, v4
	s_and_saveexec_b64 s[12:13], s[8:9]
	s_cbranch_execnz .LBB106_998
	s_branch .LBB106_999
	.section	.rodata,"a",@progbits
	.p2align	6, 0x0
	.amdhsa_kernel _ZL19rocblas_trsv_deviceILi64ELi16ELb1ELb0ELb0ELb0EfPKfPKS1_PKPfEviT7_lllT6_T8_lllPii
		.amdhsa_group_segment_fixed_size 20740
		.amdhsa_private_segment_fixed_size 0
		.amdhsa_kernarg_size 352
		.amdhsa_user_sgpr_count 6
		.amdhsa_user_sgpr_private_segment_buffer 1
		.amdhsa_user_sgpr_dispatch_ptr 0
		.amdhsa_user_sgpr_queue_ptr 0
		.amdhsa_user_sgpr_kernarg_segment_ptr 1
		.amdhsa_user_sgpr_dispatch_id 0
		.amdhsa_user_sgpr_flat_scratch_init 0
		.amdhsa_user_sgpr_private_segment_size 0
		.amdhsa_uses_dynamic_stack 0
		.amdhsa_system_sgpr_private_segment_wavefront_offset 0
		.amdhsa_system_sgpr_workgroup_id_x 1
		.amdhsa_system_sgpr_workgroup_id_y 0
		.amdhsa_system_sgpr_workgroup_id_z 1
		.amdhsa_system_sgpr_workgroup_info 0
		.amdhsa_system_vgpr_workitem_id 1
		.amdhsa_next_free_vgpr 34
		.amdhsa_next_free_sgpr 96
		.amdhsa_reserve_vcc 1
		.amdhsa_reserve_flat_scratch 0
		.amdhsa_float_round_mode_32 0
		.amdhsa_float_round_mode_16_64 0
		.amdhsa_float_denorm_mode_32 3
		.amdhsa_float_denorm_mode_16_64 3
		.amdhsa_dx10_clamp 1
		.amdhsa_ieee_mode 1
		.amdhsa_fp16_overflow 0
		.amdhsa_exception_fp_ieee_invalid_op 0
		.amdhsa_exception_fp_denorm_src 0
		.amdhsa_exception_fp_ieee_div_zero 0
		.amdhsa_exception_fp_ieee_overflow 0
		.amdhsa_exception_fp_ieee_underflow 0
		.amdhsa_exception_fp_ieee_inexact 0
		.amdhsa_exception_int_div_zero 0
	.end_amdhsa_kernel
	.section	.text._ZL19rocblas_trsv_deviceILi64ELi16ELb1ELb0ELb0ELb0EfPKfPKS1_PKPfEviT7_lllT6_T8_lllPii,"axG",@progbits,_ZL19rocblas_trsv_deviceILi64ELi16ELb1ELb0ELb0ELb0EfPKfPKS1_PKPfEviT7_lllT6_T8_lllPii,comdat
.Lfunc_end106:
	.size	_ZL19rocblas_trsv_deviceILi64ELi16ELb1ELb0ELb0ELb0EfPKfPKS1_PKPfEviT7_lllT6_T8_lllPii, .Lfunc_end106-_ZL19rocblas_trsv_deviceILi64ELi16ELb1ELb0ELb0ELb0EfPKfPKS1_PKPfEviT7_lllT6_T8_lllPii
                                        ; -- End function
	.set _ZL19rocblas_trsv_deviceILi64ELi16ELb1ELb0ELb0ELb0EfPKfPKS1_PKPfEviT7_lllT6_T8_lllPii.num_vgpr, 34
	.set _ZL19rocblas_trsv_deviceILi64ELi16ELb1ELb0ELb0ELb0EfPKfPKS1_PKPfEviT7_lllT6_T8_lllPii.num_agpr, 0
	.set _ZL19rocblas_trsv_deviceILi64ELi16ELb1ELb0ELb0ELb0EfPKfPKS1_PKPfEviT7_lllT6_T8_lllPii.numbered_sgpr, 96
	.set _ZL19rocblas_trsv_deviceILi64ELi16ELb1ELb0ELb0ELb0EfPKfPKS1_PKPfEviT7_lllT6_T8_lllPii.num_named_barrier, 0
	.set _ZL19rocblas_trsv_deviceILi64ELi16ELb1ELb0ELb0ELb0EfPKfPKS1_PKPfEviT7_lllT6_T8_lllPii.private_seg_size, 0
	.set _ZL19rocblas_trsv_deviceILi64ELi16ELb1ELb0ELb0ELb0EfPKfPKS1_PKPfEviT7_lllT6_T8_lllPii.uses_vcc, 1
	.set _ZL19rocblas_trsv_deviceILi64ELi16ELb1ELb0ELb0ELb0EfPKfPKS1_PKPfEviT7_lllT6_T8_lllPii.uses_flat_scratch, 0
	.set _ZL19rocblas_trsv_deviceILi64ELi16ELb1ELb0ELb0ELb0EfPKfPKS1_PKPfEviT7_lllT6_T8_lllPii.has_dyn_sized_stack, 0
	.set _ZL19rocblas_trsv_deviceILi64ELi16ELb1ELb0ELb0ELb0EfPKfPKS1_PKPfEviT7_lllT6_T8_lllPii.has_recursion, 0
	.set _ZL19rocblas_trsv_deviceILi64ELi16ELb1ELb0ELb0ELb0EfPKfPKS1_PKPfEviT7_lllT6_T8_lllPii.has_indirect_call, 0
	.section	.AMDGPU.csdata,"",@progbits
; Kernel info:
; codeLenInByte = 34396
; TotalNumSgprs: 100
; NumVgprs: 34
; ScratchSize: 0
; MemoryBound: 0
; FloatMode: 240
; IeeeMode: 1
; LDSByteSize: 20740 bytes/workgroup (compile time only)
; SGPRBlocks: 12
; VGPRBlocks: 8
; NumSGPRsForWavesPerEU: 100
; NumVGPRsForWavesPerEU: 34
; Occupancy: 7
; WaveLimiterHint : 1
; COMPUTE_PGM_RSRC2:SCRATCH_EN: 0
; COMPUTE_PGM_RSRC2:USER_SGPR: 6
; COMPUTE_PGM_RSRC2:TRAP_HANDLER: 0
; COMPUTE_PGM_RSRC2:TGID_X_EN: 1
; COMPUTE_PGM_RSRC2:TGID_Y_EN: 0
; COMPUTE_PGM_RSRC2:TGID_Z_EN: 1
; COMPUTE_PGM_RSRC2:TIDIG_COMP_CNT: 1
	.section	.text._ZL19rocblas_trsv_deviceILi64ELi16ELb1ELb1ELb0ELb0EfPKfPKS1_PKPfEviT7_lllT6_T8_lllPii,"axG",@progbits,_ZL19rocblas_trsv_deviceILi64ELi16ELb1ELb1ELb0ELb0EfPKfPKS1_PKPfEviT7_lllT6_T8_lllPii,comdat
	.globl	_ZL19rocblas_trsv_deviceILi64ELi16ELb1ELb1ELb0ELb0EfPKfPKS1_PKPfEviT7_lllT6_T8_lllPii ; -- Begin function _ZL19rocblas_trsv_deviceILi64ELi16ELb1ELb1ELb0ELb0EfPKfPKS1_PKPfEviT7_lllT6_T8_lllPii
	.p2align	8
	.type	_ZL19rocblas_trsv_deviceILi64ELi16ELb1ELb1ELb0ELb0EfPKfPKS1_PKPfEviT7_lllT6_T8_lllPii,@function
_ZL19rocblas_trsv_deviceILi64ELi16ELb1ELb1ELb0ELb0EfPKfPKS1_PKPfEviT7_lllT6_T8_lllPii: ; @_ZL19rocblas_trsv_deviceILi64ELi16ELb1ELb1ELb0ELb0EfPKfPKS1_PKPfEviT7_lllT6_T8_lllPii
; %bb.0:
	s_load_dwordx4 s[0:3], s[4:5], 0x8
	s_mov_b32 s28, s7
	s_mov_b32 s29, 0
	s_lshl_b64 s[8:9], s[28:29], 3
	v_mov_b32_e32 v2, v1
	s_waitcnt lgkmcnt(0)
	s_add_u32 s0, s0, s8
	s_addc_u32 s1, s1, s9
	s_load_dwordx2 s[10:11], s[0:1], 0x0
	s_load_dword s30, s[4:5], 0x0
	s_load_dwordx8 s[20:27], s[4:5], 0x28
	s_load_dwordx2 s[34:35], s[4:5], 0x18
	s_lshl_b64 s[0:1], s[2:3], 2
	s_waitcnt lgkmcnt(0)
	s_add_u32 s91, s10, s0
	s_addc_u32 s92, s11, s1
	s_add_u32 s0, s22, s8
	s_load_dword s7, s[4:5], 0x60
	s_addc_u32 s1, s23, s9
	s_load_dwordx2 s[36:37], s[0:1], 0x0
	s_load_dword s46, s[20:21], 0x0
	s_load_dword s41, s[4:5], 0x6c
	s_waitcnt lgkmcnt(0)
	s_add_i32 s7, s7, -1
	s_sub_i32 s93, s7, s6
	s_cmp_lg_u32 s6, 0
	s_cbranch_scc0 .LBB107_1164
; %bb.1:
	s_lshl_b32 s33, s93, 6
	v_add_u32_e32 v1, s33, v0
	v_ashrrev_i32_e32 v3, 31, v1
	v_mul_lo_u32 v7, s34, v3
	v_mul_lo_u32 v8, s35, v1
	v_mad_u64_u32 v[5:6], s[0:1], s34, v1, 0
	v_add3_u32 v3, v2, s33, 64
	v_ashrrev_i32_e32 v4, 31, v3
	v_add3_u32 v6, v6, v7, v8
	v_lshlrev_b64 v[5:6], 2, v[5:6]
	v_cmp_gt_i32_e32 vcc, s30, v1
	v_mov_b32_e32 v1, s92
	v_add_co_u32_e64 v7, s[0:1], s91, v5
	v_lshlrev_b64 v[4:5], 2, v[3:4]
	v_addc_co_u32_e64 v1, s[0:1], v1, v6, s[0:1]
	v_add_co_u32_e64 v4, s[0:1], v7, v4
	v_addc_co_u32_e64 v5, s[0:1], v1, v5, s[0:1]
	v_cmp_gt_i32_e64 s[0:1], s30, v3
	s_and_b64 s[2:3], s[0:1], vcc
	v_mov_b32_e32 v7, 0
	v_mov_b32_e32 v8, 0
	s_barrier
	s_and_saveexec_b64 s[0:1], s[2:3]
	s_cbranch_execz .LBB107_3
; %bb.2:
	flat_load_dword v8, v[4:5]
.LBB107_3:
	s_or_b64 exec, exec, s[0:1]
	v_add_u32_e32 v1, 16, v3
	v_cmp_gt_i32_e64 s[0:1], s30, v1
	s_and_b64 s[2:3], s[0:1], vcc
	s_waitcnt vmcnt(0) lgkmcnt(0)
	s_barrier
	s_and_saveexec_b64 s[0:1], s[2:3]
	s_cbranch_execz .LBB107_5
; %bb.4:
	flat_load_dword v7, v[4:5] offset:64
.LBB107_5:
	s_or_b64 exec, exec, s[0:1]
	v_add_u32_e32 v1, 32, v3
	v_cmp_gt_i32_e64 s[0:1], s30, v1
	s_and_b64 s[2:3], s[0:1], vcc
	v_mov_b32_e32 v9, 0
	v_mov_b32_e32 v10, 0
	s_waitcnt vmcnt(0) lgkmcnt(0)
	s_barrier
	s_and_saveexec_b64 s[0:1], s[2:3]
	s_cbranch_execz .LBB107_7
; %bb.6:
	flat_load_dword v10, v[4:5] offset:128
.LBB107_7:
	s_or_b64 exec, exec, s[0:1]
	v_add_u32_e32 v1, 48, v3
	v_cmp_gt_i32_e64 s[0:1], s30, v1
	s_and_b64 s[2:3], s[0:1], vcc
	s_waitcnt vmcnt(0) lgkmcnt(0)
	s_barrier
	s_and_saveexec_b64 s[0:1], s[2:3]
	s_cbranch_execz .LBB107_9
; %bb.8:
	flat_load_dword v9, v[4:5] offset:192
.LBB107_9:
	s_or_b64 exec, exec, s[0:1]
	s_branch .LBB107_11
.LBB107_10:
	s_lshl_b32 s33, s93, 6
                                        ; implicit-def: $vgpr8
                                        ; implicit-def: $vgpr7
                                        ; implicit-def: $vgpr10
                                        ; implicit-def: $vgpr9
.LBB107_11:
	s_ashr_i32 s31, s30, 31
	s_lshr_b32 s0, s31, 26
	s_add_i32 s0, s30, s0
	s_andn2_b32 s0, s0, 63
	s_sub_i32 s90, s30, s0
	s_add_i32 s0, s30, -1
	s_ashr_i32 s1, s0, 31
	s_lshr_b32 s1, s1, 26
	s_add_i32 s0, s0, s1
	s_ashr_i32 s0, s0, 6
	s_cmp_eq_u32 s0, s93
	s_cselect_b64 s[0:1], -1, 0
	s_cmp_lg_u32 s90, 0
	s_cselect_b64 s[2:3], -1, 0
	s_and_b64 s[22:23], s[2:3], s[0:1]
	s_cmp_lt_i32 s6, 5
	s_cselect_b64 s[2:3], -1, 0
	s_or_b64 s[0:1], s[2:3], s[22:23]
	s_ashr_i32 s40, s33, 31
	s_add_u32 s10, s34, 1
	v_mov_b32_e32 v1, 0
	v_mov_b32_e32 v3, s33
	v_mad_u64_u32 v[3:4], s[8:9], s10, v3, v[0:1]
	s_addc_u32 s11, s35, 0
	s_mul_i32 s8, s10, s40
	s_mul_i32 s11, s11, s33
	s_add_i32 s8, s8, s11
	s_mov_b64 s[12:13], -1
	v_lshlrev_b32_e32 v11, 6, v0
	v_add_u32_e32 v4, s8, v4
	s_and_b64 vcc, exec, s[22:23]
	v_cmp_le_u32_e64 s[8:9], v0, v2
	s_cbranch_vccnz .LBB107_33
; %bb.12:
	v_mad_u64_u32 v[5:6], s[10:11], s34, v2, v[3:4]
	v_mov_b32_e32 v1, v6
	v_mad_u64_u32 v[12:13], s[10:11], s35, v2, v[1:2]
	s_mov_b64 s[10:11], 0
                                        ; implicit-def: $vgpr1
	v_mov_b32_e32 v6, v12
	s_and_saveexec_b64 s[12:13], s[8:9]
	s_xor_b64 s[8:9], exec, s[12:13]
	s_cbranch_execnz .LBB107_1165
; %bb.13:
	s_andn2_saveexec_b64 s[8:9], s[8:9]
	s_cbranch_execnz .LBB107_1170
.LBB107_14:
	s_or_b64 exec, exec, s[8:9]
	s_and_saveexec_b64 s[8:9], s[10:11]
.LBB107_15:
	v_add_u32_e32 v5, v2, v11
	v_lshl_add_u32 v6, v2, 6, v0
	v_cndmask_b32_e64 v5, v6, v5, s[2:3]
	v_lshlrev_b32_e32 v5, 2, v5
	ds_write_b32 v5, v1
.LBB107_16:
	s_or_b64 exec, exec, s[8:9]
	v_add_u32_e32 v1, 16, v2
	v_mad_u64_u32 v[5:6], s[2:3], s34, v1, v[3:4]
	v_cmp_le_u32_e32 vcc, v0, v1
	s_mov_b64 s[8:9], 0
	v_mad_u64_u32 v[12:13], s[2:3], s35, v1, v[6:7]
	v_mov_b32_e32 v6, v12
                                        ; implicit-def: $vgpr12
	s_and_saveexec_b64 s[2:3], vcc
	s_xor_b64 s[2:3], exec, s[2:3]
	s_cbranch_execnz .LBB107_1171
; %bb.17:
	s_andn2_saveexec_b64 s[2:3], s[2:3]
	s_cbranch_execnz .LBB107_1176
.LBB107_18:
	s_or_b64 exec, exec, s[2:3]
	s_and_saveexec_b64 s[2:3], s[8:9]
.LBB107_19:
	v_add_u32_e32 v5, v1, v11
	v_lshl_add_u32 v1, v1, 6, v0
	v_cndmask_b32_e64 v1, v1, v5, s[0:1]
	v_lshlrev_b32_e32 v1, 2, v1
	ds_write_b32 v1, v12
.LBB107_20:
	s_or_b64 exec, exec, s[2:3]
	v_add_u32_e32 v1, 32, v2
	v_mad_u64_u32 v[5:6], s[2:3], s34, v1, v[3:4]
	v_cmp_le_u32_e32 vcc, v0, v1
	s_mov_b64 s[8:9], 0
	v_mad_u64_u32 v[12:13], s[2:3], s35, v1, v[6:7]
	v_mov_b32_e32 v6, v12
                                        ; implicit-def: $vgpr12
	s_and_saveexec_b64 s[2:3], vcc
	s_xor_b64 s[2:3], exec, s[2:3]
	s_cbranch_execnz .LBB107_1177
; %bb.21:
	s_andn2_saveexec_b64 s[2:3], s[2:3]
	s_cbranch_execnz .LBB107_1182
.LBB107_22:
	s_or_b64 exec, exec, s[2:3]
	s_and_saveexec_b64 s[2:3], s[8:9]
.LBB107_23:
	v_add_u32_e32 v5, v1, v11
	v_lshl_add_u32 v1, v1, 6, v0
	v_cndmask_b32_e64 v1, v1, v5, s[0:1]
	v_lshlrev_b32_e32 v1, 2, v1
	ds_write_b32 v1, v12
.LBB107_24:
	s_or_b64 exec, exec, s[2:3]
	v_add_u32_e32 v12, 48, v2
	v_mad_u64_u32 v[5:6], s[2:3], s34, v12, v[3:4]
	v_cmp_le_u32_e32 vcc, v0, v12
	s_mov_b64 s[10:11], 0
	v_mov_b32_e32 v1, v6
	v_mad_u64_u32 v[13:14], s[2:3], s35, v12, v[1:2]
                                        ; implicit-def: $vgpr1
	v_mov_b32_e32 v6, v13
	s_and_saveexec_b64 s[2:3], vcc
	s_xor_b64 s[2:3], exec, s[2:3]
	s_cbranch_execz .LBB107_30
; %bb.25:
	v_cmp_ne_u32_e32 vcc, v0, v12
	s_mov_b64 s[8:9], 0
	s_and_saveexec_b64 s[10:11], vcc
	s_xor_b64 s[10:11], exec, s[10:11]
; %bb.26:
	v_or_b32_e32 v1, v12, v0
	v_cmp_gt_u32_e32 vcc, 64, v1
	s_and_b64 s[8:9], vcc, exec
                                        ; implicit-def: $vgpr5_vgpr6
; %bb.27:
	s_or_saveexec_b64 s[10:11], s[10:11]
	v_mov_b32_e32 v1, 0
	s_xor_b64 exec, exec, s[10:11]
	s_cbranch_execz .LBB107_29
; %bb.28:
	v_lshlrev_b64 v[5:6], 2, v[5:6]
	v_mov_b32_e32 v1, s92
	v_add_co_u32_e32 v5, vcc, s91, v5
	v_addc_co_u32_e32 v6, vcc, v1, v6, vcc
	flat_load_dword v1, v[5:6]
	s_or_b64 s[8:9], s[8:9], exec
	s_waitcnt vmcnt(0) lgkmcnt(0)
	v_div_scale_f32 v5, s[12:13], v1, v1, 1.0
	v_div_scale_f32 v6, vcc, 1.0, v1, 1.0
	v_rcp_f32_e32 v13, v5
	v_fma_f32 v14, -v5, v13, 1.0
	v_fmac_f32_e32 v13, v14, v13
	v_mul_f32_e32 v14, v6, v13
	v_fma_f32 v15, -v5, v14, v6
	v_fmac_f32_e32 v14, v15, v13
	v_fma_f32 v5, -v5, v14, v6
	v_div_fmas_f32 v5, v5, v13, v14
	v_div_fixup_f32 v1, v5, v1, 1.0
.LBB107_29:
	s_or_b64 exec, exec, s[10:11]
	s_and_b64 s[10:11], s[8:9], exec
                                        ; implicit-def: $vgpr5_vgpr6
.LBB107_30:
	s_or_saveexec_b64 s[2:3], s[2:3]
	v_add_u32_e32 v13, v12, v11
	v_lshl_add_u32 v12, v12, 6, v0
	s_xor_b64 exec, exec, s[2:3]
	s_cbranch_execz .LBB107_32
; %bb.31:
	v_lshlrev_b64 v[5:6], 2, v[5:6]
	v_mov_b32_e32 v1, s92
	v_add_co_u32_e32 v5, vcc, s91, v5
	v_addc_co_u32_e32 v6, vcc, v1, v6, vcc
	flat_load_dword v1, v[5:6]
	s_or_b64 s[10:11], s[10:11], exec
	s_waitcnt vmcnt(0) lgkmcnt(0)
	v_xor_b32_e32 v1, 0x80000000, v1
.LBB107_32:
	s_or_b64 exec, exec, s[2:3]
	v_cndmask_b32_e64 v5, v12, v13, s[0:1]
	s_branch .LBB107_55
.LBB107_33:
	s_mov_b64 s[10:11], 0
                                        ; implicit-def: $vgpr1
                                        ; implicit-def: $vgpr5
	s_and_b64 vcc, exec, s[12:13]
	s_cbranch_vccz .LBB107_55
; %bb.34:
	v_mad_u64_u32 v[5:6], s[2:3], s34, v2, v[3:4]
	v_cmp_le_u32_e32 vcc, v0, v2
	v_cmp_gt_i32_e64 s[2:3], s90, v0
	v_mov_b32_e32 v1, v6
	v_mad_u64_u32 v[12:13], s[8:9], s35, v2, v[1:2]
	v_max_i32_e32 v1, v2, v0
	v_cmp_le_i32_e64 s[8:9], s90, v1
	v_mov_b32_e32 v6, v12
	s_or_b64 s[8:9], s[8:9], vcc
	s_mov_b64 s[12:13], 0
                                        ; implicit-def: $vgpr1
	s_and_saveexec_b64 s[14:15], s[8:9]
	s_xor_b64 s[8:9], exec, s[14:15]
	s_cbranch_execnz .LBB107_1183
; %bb.35:
	s_andn2_saveexec_b64 s[8:9], s[8:9]
	s_cbranch_execnz .LBB107_1188
.LBB107_36:
	s_or_b64 exec, exec, s[8:9]
	s_and_saveexec_b64 s[8:9], s[12:13]
.LBB107_37:
	v_lshlrev_b32_e32 v5, 2, v11
	v_lshl_add_u32 v5, v2, 2, v5
	ds_write_b32 v5, v1
.LBB107_38:
	s_or_b64 exec, exec, s[8:9]
	v_add_u32_e32 v1, 16, v2
	v_mad_u64_u32 v[5:6], s[8:9], s34, v1, v[3:4]
	v_cmp_gt_u32_e32 vcc, v0, v1
	s_mov_b64 s[12:13], 0
	v_mad_u64_u32 v[12:13], s[8:9], s35, v1, v[6:7]
	v_cmp_gt_i32_e64 s[8:9], s90, v1
	s_and_b64 s[8:9], vcc, s[8:9]
	s_and_b64 s[8:9], s[2:3], s[8:9]
	v_mov_b32_e32 v6, v12
	s_xor_b64 s[8:9], s[8:9], -1
                                        ; implicit-def: $vgpr12
	s_and_saveexec_b64 s[14:15], s[8:9]
	s_xor_b64 s[8:9], exec, s[14:15]
	s_cbranch_execnz .LBB107_1189
; %bb.39:
	s_andn2_saveexec_b64 s[8:9], s[8:9]
	s_cbranch_execnz .LBB107_1194
.LBB107_40:
	s_or_b64 exec, exec, s[8:9]
	s_and_saveexec_b64 s[8:9], s[12:13]
.LBB107_41:
	v_add_u32_e32 v5, v1, v11
	v_lshl_add_u32 v1, v1, 6, v0
	v_cndmask_b32_e64 v1, v1, v5, s[0:1]
	v_lshlrev_b32_e32 v1, 2, v1
	ds_write_b32 v1, v12
.LBB107_42:
	s_or_b64 exec, exec, s[8:9]
	v_add_u32_e32 v1, 32, v2
	v_mad_u64_u32 v[5:6], s[8:9], s34, v1, v[3:4]
	v_cmp_gt_u32_e32 vcc, v0, v1
	s_mov_b64 s[12:13], 0
	v_mad_u64_u32 v[12:13], s[8:9], s35, v1, v[6:7]
	v_cmp_gt_i32_e64 s[8:9], s90, v1
	s_and_b64 s[8:9], vcc, s[8:9]
	s_and_b64 s[8:9], s[2:3], s[8:9]
	v_mov_b32_e32 v6, v12
	s_xor_b64 s[8:9], s[8:9], -1
                                        ; implicit-def: $vgpr12
	s_and_saveexec_b64 s[14:15], s[8:9]
	s_xor_b64 s[8:9], exec, s[14:15]
	s_cbranch_execnz .LBB107_1195
; %bb.43:
	s_andn2_saveexec_b64 s[8:9], s[8:9]
	s_cbranch_execnz .LBB107_1200
.LBB107_44:
	s_or_b64 exec, exec, s[8:9]
	s_and_saveexec_b64 s[8:9], s[12:13]
.LBB107_45:
	v_add_u32_e32 v5, v1, v11
	v_lshl_add_u32 v1, v1, 6, v0
	v_cndmask_b32_e64 v1, v1, v5, s[0:1]
	v_lshlrev_b32_e32 v1, 2, v1
	ds_write_b32 v1, v12
.LBB107_46:
	s_or_b64 exec, exec, s[8:9]
	v_add_u32_e32 v5, 48, v2
	v_mad_u64_u32 v[3:4], s[8:9], s34, v5, v[3:4]
	v_cmp_gt_u32_e32 vcc, v0, v5
	v_mov_b32_e32 v1, v4
	v_mad_u64_u32 v[12:13], s[8:9], s35, v5, v[1:2]
	v_cmp_gt_i32_e64 s[8:9], s90, v5
	s_and_b64 s[8:9], vcc, s[8:9]
	s_and_b64 s[8:9], s[2:3], s[8:9]
	v_mov_b32_e32 v4, v12
	s_xor_b64 s[8:9], s[8:9], -1
                                        ; implicit-def: $vgpr1
	s_and_saveexec_b64 s[12:13], s[8:9]
	s_xor_b64 s[8:9], exec, s[12:13]
	s_cbranch_execz .LBB107_52
; %bb.47:
	v_cmp_ne_u32_e32 vcc, v0, v5
	s_xor_b64 s[2:3], s[2:3], -1
	s_or_b64 s[12:13], s[2:3], vcc
	s_mov_b64 s[2:3], s[10:11]
	s_and_saveexec_b64 s[14:15], s[12:13]
	s_xor_b64 s[12:13], exec, s[14:15]
; %bb.48:
	v_or_b32_e32 v1, v5, v0
	v_cmp_gt_u32_e32 vcc, 64, v1
	s_andn2_b64 s[2:3], s[10:11], exec
	s_and_b64 s[14:15], vcc, exec
	s_or_b64 s[2:3], s[2:3], s[14:15]
                                        ; implicit-def: $vgpr3_vgpr4
; %bb.49:
	s_or_saveexec_b64 s[12:13], s[12:13]
	v_mov_b32_e32 v1, 0
	s_xor_b64 exec, exec, s[12:13]
	s_cbranch_execz .LBB107_51
; %bb.50:
	v_lshlrev_b64 v[3:4], 2, v[3:4]
	v_mov_b32_e32 v1, s92
	v_add_co_u32_e32 v3, vcc, s91, v3
	v_addc_co_u32_e32 v4, vcc, v1, v4, vcc
	flat_load_dword v1, v[3:4]
	s_or_b64 s[2:3], s[2:3], exec
	s_waitcnt vmcnt(0) lgkmcnt(0)
	v_div_scale_f32 v3, s[14:15], v1, v1, 1.0
	v_div_scale_f32 v4, vcc, 1.0, v1, 1.0
	v_rcp_f32_e32 v6, v3
	v_fma_f32 v12, -v3, v6, 1.0
	v_fmac_f32_e32 v6, v12, v6
	v_mul_f32_e32 v12, v4, v6
	v_fma_f32 v13, -v3, v12, v4
	v_fmac_f32_e32 v12, v13, v6
	v_fma_f32 v3, -v3, v12, v4
	v_div_fmas_f32 v3, v3, v6, v12
	v_div_fixup_f32 v1, v3, v1, 1.0
.LBB107_51:
	s_or_b64 exec, exec, s[12:13]
	s_andn2_b64 s[10:11], s[10:11], exec
	s_and_b64 s[2:3], s[2:3], exec
	s_or_b64 s[10:11], s[10:11], s[2:3]
                                        ; implicit-def: $vgpr3_vgpr4
.LBB107_52:
	s_or_saveexec_b64 s[2:3], s[8:9]
	v_add_u32_e32 v6, v5, v11
	v_lshl_add_u32 v5, v5, 6, v0
	s_xor_b64 exec, exec, s[2:3]
	s_cbranch_execz .LBB107_54
; %bb.53:
	v_lshlrev_b64 v[3:4], 2, v[3:4]
	v_mov_b32_e32 v1, s92
	v_add_co_u32_e32 v3, vcc, s91, v3
	v_addc_co_u32_e32 v4, vcc, v1, v4, vcc
	flat_load_dword v1, v[3:4]
	s_or_b64 s[10:11], s[10:11], exec
	s_waitcnt vmcnt(0) lgkmcnt(0)
	v_xor_b32_e32 v1, 0x80000000, v1
.LBB107_54:
	s_or_b64 exec, exec, s[2:3]
	v_cndmask_b32_e64 v5, v5, v6, s[0:1]
.LBB107_55:
	s_xor_b64 s[0:1], s[0:1], -1
	s_and_saveexec_b64 s[2:3], s[10:11]
; %bb.56:
	v_lshlrev_b32_e32 v3, 2, v5
	ds_write_b32 v3, v1
; %bb.57:
	s_or_b64 exec, exec, s[2:3]
	v_cndmask_b32_e64 v1, 0, 1, s[0:1]
	v_cmp_ne_u32_e64 s[58:59], 1, v1
	s_andn2_b64 vcc, exec, s[0:1]
	s_waitcnt vmcnt(0) lgkmcnt(0)
	s_barrier
	s_cbranch_vccnz .LBB107_1095
; %bb.58:
	v_or_b32_e32 v1, v0, v2
	v_cmp_eq_u32_e32 vcc, 0, v1
	s_and_saveexec_b64 s[0:1], vcc
	s_cbranch_execz .LBB107_60
; %bb.59:
	v_mov_b32_e32 v1, 0
	ds_read_b64 v[3:4], v1
	ds_read_b32 v5, v1 offset:260
	s_waitcnt lgkmcnt(0)
	v_mul_f32_e32 v3, v3, v5
	v_mul_f32_e32 v3, v4, v3
	ds_write2_b32 v1, v3, v3 offset0:1 offset1:64
.LBB107_60:
	s_or_b64 exec, exec, s[0:1]
	v_lshl_add_u32 v4, v2, 6, v0
	v_and_b32_e32 v11, 1, v0
	v_lshrrev_b32_e32 v5, 1, v4
	v_lshlrev_b32_e32 v1, 2, v11
	v_cmp_lt_u32_e64 s[8:9], 3, v4
	v_cmp_gt_u32_e64 s[2:3], 4, v4
	v_lshl_or_b32 v1, v5, 8, v1
	v_mov_b32_e32 v6, 0
	s_waitcnt lgkmcnt(0)
	s_barrier
	s_and_saveexec_b64 s[0:1], s[2:3]
	s_cbranch_execz .LBB107_64
; %bb.61:
	v_mul_u32_u24_e32 v3, 0x104, v5
	ds_read_b32 v12, v1 offset:8
	ds_read_b32 v3, v3
	v_mov_b32_e32 v6, 0
	v_cmp_gt_u32_e64 s[10:11], 2, v4
	s_waitcnt lgkmcnt(0)
	v_fma_f32 v3, v12, v3, 0
	s_and_saveexec_b64 s[12:13], s[10:11]
	s_cbranch_execz .LBB107_63
; %bb.62:
	v_lshlrev_b32_e32 v12, 2, v0
	ds_read_b32 v12, v12 offset:264
	ds_read_b32 v6, v6 offset:4
	s_waitcnt lgkmcnt(0)
	v_fmac_f32_e32 v3, v12, v6
.LBB107_63:
	s_or_b64 exec, exec, s[12:13]
	v_xor_b32_e32 v6, 0x80000000, v3
.LBB107_64:
                                        ; implicit-def: $vgpr33 : SGPR spill to VGPR lane
	v_writelane_b32 v33, s40, 0
	s_or_b64 exec, exec, s[0:1]
	v_mov_b32_e32 v3, 0x4000
	v_cmp_eq_u32_e64 s[10:11], 0, v11
	s_xor_b64 s[0:1], s[8:9], -1
	v_lshl_add_u32 v3, v5, 2, v3
	s_and_b64 s[40:41], s[10:11], s[0:1]
	s_and_saveexec_b64 s[8:9], s[40:41]
	s_cbranch_execz .LBB107_66
; %bb.65:
	v_mov_b32_e32 v12, 0
	ds_read_b32 v12, v12 offset:520
	s_waitcnt lgkmcnt(0)
	v_mul_f32_e32 v6, v6, v12
	ds_write_b32 v3, v6
.LBB107_66:
	s_or_b64 exec, exec, s[8:9]
	v_cmp_ne_u32_e64 s[8:9], 0, v11
	s_and_b64 s[38:39], s[8:9], s[0:1]
	s_waitcnt lgkmcnt(0)
	s_barrier
	s_and_saveexec_b64 s[0:1], s[38:39]
	s_cbranch_execz .LBB107_68
; %bb.67:
	v_mov_b32_e32 v11, 0
	ds_read_b32 v11, v11 offset:524
	ds_read_b32 v12, v3
	s_waitcnt lgkmcnt(0)
	v_fmac_f32_e32 v6, v11, v12
.LBB107_68:
	s_or_b64 exec, exec, s[0:1]
	s_barrier
	s_and_saveexec_b64 s[0:1], s[38:39]
	s_cbranch_execz .LBB107_70
; %bb.69:
	v_mov_b32_e32 v11, 0
	ds_read_b32 v11, v11 offset:780
	s_waitcnt lgkmcnt(0)
	v_mul_f32_e32 v6, v6, v11
	ds_write_b32 v3, v6
.LBB107_70:
	s_or_b64 exec, exec, s[0:1]
	s_waitcnt lgkmcnt(0)
	s_barrier
	s_barrier
	s_and_saveexec_b64 s[0:1], s[2:3]
; %bb.71:
	v_xor_b32_e32 v6, 0x80000000, v6
	ds_write_b32 v1, v6 offset:8
; %bb.72:
	s_or_b64 exec, exec, s[0:1]
	v_cmp_eq_u32_e64 s[12:13], 0, v2
	v_cmp_gt_u32_e64 s[8:9], 2, v0
	s_and_b64 s[42:43], s[12:13], s[8:9]
	s_waitcnt lgkmcnt(0)
	s_barrier
	s_barrier
	s_and_saveexec_b64 s[0:1], s[42:43]
	s_cbranch_execz .LBB107_74
; %bb.73:
	v_lshlrev_b32_e32 v6, 2, v0
	s_movk_i32 s8, 0xfc
	v_mad_u32_u24 v11, v0, s8, v6
	ds_read_b32 v12, v11 offset:8
	s_waitcnt lgkmcnt(0)
	ds_write_b32 v6, v12 offset:512
	ds_read_b32 v11, v11 offset:12
	s_waitcnt lgkmcnt(0)
	ds_write_b32 v6, v11 offset:768
.LBB107_74:
	s_or_b64 exec, exec, s[0:1]
	s_waitcnt lgkmcnt(0)
	s_barrier
	s_and_saveexec_b64 s[0:1], vcc
	s_cbranch_execz .LBB107_76
; %bb.75:
	v_mov_b32_e32 v6, 0
	ds_read_b64 v[11:12], v6 offset:520
	ds_read_b32 v13, v6 offset:780
	s_waitcnt lgkmcnt(0)
	v_mul_f32_e32 v11, v11, v13
	v_mul_f32_e32 v11, v12, v11
	ds_write2_b32 v6, v11, v11 offset0:131 offset1:194
.LBB107_76:
	s_or_b64 exec, exec, s[0:1]
	v_and_b32_e32 v13, 3, v0
	v_lshrrev_b32_e32 v14, 2, v4
	v_lshlrev_b32_e32 v11, 2, v13
	v_cmp_lt_u32_e64 s[8:9], 15, v4
	v_cmp_gt_u32_e64 s[18:19], 16, v4
	v_lshl_or_b32 v6, v14, 8, v11
	v_mov_b32_e32 v15, 0
	s_waitcnt lgkmcnt(0)
	s_barrier
	s_and_saveexec_b64 s[0:1], s[18:19]
	s_cbranch_execz .LBB107_82
; %bb.77:
	v_mul_u32_u24_e32 v15, 0x104, v14
	ds_read_b32 v12, v6 offset:16
	ds_read_b32 v16, v15
	v_cmp_gt_u32_e64 s[10:11], 12, v4
	s_waitcnt lgkmcnt(0)
	v_fma_f32 v12, v12, v16, 0
	s_and_saveexec_b64 s[14:15], s[10:11]
	s_cbranch_execnz .LBB107_1205
; %bb.78:
	s_or_b64 exec, exec, s[14:15]
	v_cmp_gt_u32_e64 s[10:11], 8, v4
	s_and_saveexec_b64 s[14:15], s[10:11]
	s_cbranch_execnz .LBB107_1206
.LBB107_79:
	s_or_b64 exec, exec, s[14:15]
	v_cmp_gt_u32_e64 s[10:11], 4, v4
	s_and_saveexec_b64 s[14:15], s[10:11]
	s_cbranch_execz .LBB107_81
.LBB107_80:
	v_lshlrev_b32_e32 v15, 2, v0
	v_mov_b32_e32 v16, 0
	ds_read_b32 v15, v15 offset:784
	ds_read_b32 v16, v16 offset:12
	s_waitcnt lgkmcnt(0)
	v_fmac_f32_e32 v12, v15, v16
.LBB107_81:
	s_or_b64 exec, exec, s[14:15]
	v_xor_b32_e32 v15, 0x80000000, v12
.LBB107_82:
	v_writelane_b32 v33, s46, 1
	s_or_b64 exec, exec, s[0:1]
	v_mov_b32_e32 v12, 0x4000
	v_cmp_eq_u32_e64 s[10:11], 0, v13
	s_xor_b64 s[0:1], s[8:9], -1
	v_lshl_add_u32 v12, v14, 2, v12
	s_and_b64 s[46:47], s[10:11], s[0:1]
	s_and_saveexec_b64 s[8:9], s[46:47]
	s_cbranch_execz .LBB107_84
; %bb.83:
	v_mov_b32_e32 v16, 0
	ds_read_b32 v16, v16 offset:1040
	s_waitcnt lgkmcnt(0)
	v_mul_f32_e32 v15, v15, v16
	ds_write_b32 v12, v15
.LBB107_84:
	s_or_b64 exec, exec, s[8:9]
	v_cmp_ne_u32_e64 s[8:9], 0, v13
	s_and_b64 s[48:49], s[8:9], s[0:1]
	s_waitcnt lgkmcnt(0)
	s_barrier
	s_and_saveexec_b64 s[8:9], s[48:49]
	s_cbranch_execz .LBB107_86
; %bb.85:
	ds_read_b32 v16, v11 offset:1040
	ds_read_b32 v17, v12
	s_waitcnt lgkmcnt(0)
	v_fmac_f32_e32 v15, v16, v17
.LBB107_86:
	s_or_b64 exec, exec, s[8:9]
	v_cmp_eq_u32_e64 s[8:9], 1, v13
	s_and_b64 s[50:51], s[8:9], s[0:1]
	s_barrier
	s_and_saveexec_b64 s[8:9], s[50:51]
	s_cbranch_execz .LBB107_88
; %bb.87:
	v_mov_b32_e32 v16, 0
	ds_read_b32 v16, v16 offset:1300
	s_waitcnt lgkmcnt(0)
	v_mul_f32_e32 v15, v15, v16
	ds_write_b32 v12, v15
.LBB107_88:
	s_or_b64 exec, exec, s[8:9]
	v_cmp_lt_u32_e64 s[8:9], 1, v13
	s_and_b64 s[52:53], s[8:9], s[0:1]
	s_waitcnt lgkmcnt(0)
	s_barrier
	s_and_saveexec_b64 s[8:9], s[52:53]
	s_cbranch_execz .LBB107_90
; %bb.89:
	ds_read_b32 v16, v11 offset:1296
	ds_read_b32 v17, v12
	s_waitcnt lgkmcnt(0)
	v_fmac_f32_e32 v15, v16, v17
.LBB107_90:
	s_or_b64 exec, exec, s[8:9]
	v_cmp_eq_u32_e64 s[8:9], 2, v13
	s_and_b64 s[54:55], s[8:9], s[0:1]
	s_barrier
	s_and_saveexec_b64 s[8:9], s[54:55]
	s_cbranch_execz .LBB107_92
; %bb.91:
	v_mov_b32_e32 v16, 0
	ds_read_b32 v16, v16 offset:1560
	s_waitcnt lgkmcnt(0)
	v_mul_f32_e32 v15, v15, v16
	ds_write_b32 v12, v15
.LBB107_92:
	s_or_b64 exec, exec, s[8:9]
	v_cmp_eq_u32_e64 s[8:9], 3, v13
	s_and_b64 s[44:45], s[8:9], s[0:1]
	s_waitcnt lgkmcnt(0)
	s_barrier
	s_and_saveexec_b64 s[0:1], s[44:45]
	s_cbranch_execz .LBB107_94
; %bb.93:
	v_mov_b32_e32 v16, 0
	ds_read_b32 v16, v16 offset:1564
	ds_read_b32 v17, v12
	s_waitcnt lgkmcnt(0)
	v_fmac_f32_e32 v15, v16, v17
.LBB107_94:
	s_or_b64 exec, exec, s[0:1]
	s_barrier
	s_and_saveexec_b64 s[0:1], s[44:45]
	s_cbranch_execz .LBB107_96
; %bb.95:
	v_mov_b32_e32 v16, 0
	ds_read_b32 v16, v16 offset:1820
	s_waitcnt lgkmcnt(0)
	v_mul_f32_e32 v15, v15, v16
	ds_write_b32 v12, v15
.LBB107_96:
	s_or_b64 exec, exec, s[0:1]
	s_waitcnt lgkmcnt(0)
	s_barrier
	s_barrier
	s_and_saveexec_b64 s[0:1], s[18:19]
; %bb.97:
	v_xor_b32_e32 v15, 0x80000000, v15
	ds_write_b32 v6, v15 offset:16
; %bb.98:
	s_or_b64 exec, exec, s[0:1]
	v_cmp_gt_u32_e64 s[8:9], 4, v0
	s_and_b64 s[56:57], s[12:13], s[8:9]
	s_waitcnt lgkmcnt(0)
	s_barrier
	s_barrier
	s_and_saveexec_b64 s[0:1], s[56:57]
	s_cbranch_execz .LBB107_100
; %bb.99:
	v_lshlrev_b32_e32 v15, 8, v0
	ds_read_b32 v16, v15 offset:16
	s_movk_i32 s8, 0xff04
	v_mad_i32_i24 v17, v0, s8, v15
	s_waitcnt lgkmcnt(0)
	ds_write_b32 v17, v16 offset:1024
	ds_read_b32 v16, v15 offset:20
	s_waitcnt lgkmcnt(0)
	ds_write_b32 v17, v16 offset:1280
	ds_read_b32 v16, v15 offset:24
	;; [unrolled: 3-line block ×3, first 2 shown]
	s_waitcnt lgkmcnt(0)
	ds_write_b32 v17, v15 offset:1792
.LBB107_100:
	s_or_b64 exec, exec, s[0:1]
	s_waitcnt lgkmcnt(0)
	s_barrier
	s_and_saveexec_b64 s[0:1], vcc
	s_cbranch_execz .LBB107_102
; %bb.101:
	v_mov_b32_e32 v17, 0
	ds_read_b64 v[15:16], v17 offset:1040
	ds_read_b32 v17, v17 offset:1300
	s_movk_i32 s8, 0x400
	s_waitcnt lgkmcnt(0)
	v_mul_f32_e32 v15, v15, v17
	v_mul_f32_e32 v15, v16, v15
	v_add_u32_e64 v16, s8, 0
	ds_write2_b32 v16, v15, v15 offset0:5 offset1:68
.LBB107_102:
	s_or_b64 exec, exec, s[0:1]
	v_mov_b32_e32 v15, 0
	s_waitcnt lgkmcnt(0)
	s_barrier
	s_and_saveexec_b64 s[0:1], s[2:3]
	s_cbranch_execz .LBB107_106
; %bb.103:
	v_mul_u32_u24_e32 v15, 0x104, v5
	ds_read_b32 v17, v1 offset:1048
	ds_read_b32 v15, v15 offset:1040
	v_mov_b32_e32 v16, 0
	v_cmp_gt_u32_e64 s[8:9], 2, v4
	s_waitcnt lgkmcnt(0)
	v_fma_f32 v15, v17, v15, 0
	s_and_saveexec_b64 s[10:11], s[8:9]
	s_cbranch_execz .LBB107_105
; %bb.104:
	v_lshlrev_b32_e32 v17, 2, v0
	ds_read_b32 v17, v17 offset:1304
	ds_read_b32 v16, v16 offset:1044
	s_waitcnt lgkmcnt(0)
	v_fmac_f32_e32 v15, v17, v16
.LBB107_105:
	s_or_b64 exec, exec, s[10:11]
	v_xor_b32_e32 v15, 0x80000000, v15
.LBB107_106:
	s_or_b64 exec, exec, s[0:1]
	s_and_saveexec_b64 s[0:1], s[40:41]
	s_cbranch_execz .LBB107_108
; %bb.107:
	v_mov_b32_e32 v16, 0
	ds_read_b32 v16, v16 offset:1560
	s_waitcnt lgkmcnt(0)
	v_mul_f32_e32 v15, v15, v16
	ds_write_b32 v3, v15
.LBB107_108:
	s_or_b64 exec, exec, s[0:1]
	s_waitcnt lgkmcnt(0)
	s_barrier
	s_and_saveexec_b64 s[0:1], s[38:39]
	s_cbranch_execz .LBB107_110
; %bb.109:
	v_mov_b32_e32 v16, 0
	ds_read_b32 v16, v16 offset:1564
	ds_read_b32 v17, v3
	s_waitcnt lgkmcnt(0)
	v_fmac_f32_e32 v15, v16, v17
.LBB107_110:
	s_or_b64 exec, exec, s[0:1]
	s_barrier
	s_and_saveexec_b64 s[0:1], s[38:39]
	s_cbranch_execz .LBB107_112
; %bb.111:
	v_mov_b32_e32 v16, 0
	ds_read_b32 v16, v16 offset:1820
	s_waitcnt lgkmcnt(0)
	v_mul_f32_e32 v15, v15, v16
	ds_write_b32 v3, v15
.LBB107_112:
	s_or_b64 exec, exec, s[0:1]
	s_waitcnt lgkmcnt(0)
	s_barrier
	s_barrier
	s_and_saveexec_b64 s[0:1], s[2:3]
; %bb.113:
	v_xor_b32_e32 v15, 0x80000000, v15
	ds_write_b32 v1, v15 offset:1048
; %bb.114:
	s_or_b64 exec, exec, s[0:1]
	s_waitcnt lgkmcnt(0)
	s_barrier
	s_barrier
	s_and_saveexec_b64 s[0:1], s[42:43]
	s_cbranch_execz .LBB107_116
; %bb.115:
	v_lshlrev_b32_e32 v15, 2, v0
	s_movk_i32 s8, 0xfc
	v_mad_u32_u24 v16, v0, s8, v15
	ds_read_b32 v17, v16 offset:1048
	s_waitcnt lgkmcnt(0)
	ds_write_b32 v15, v17 offset:1552
	ds_read_b32 v16, v16 offset:1052
	s_waitcnt lgkmcnt(0)
	ds_write_b32 v15, v16 offset:1808
.LBB107_116:
	s_or_b64 exec, exec, s[0:1]
	s_waitcnt lgkmcnt(0)
	s_barrier
	s_and_saveexec_b64 s[0:1], vcc
	s_cbranch_execz .LBB107_118
; %bb.117:
	v_mov_b32_e32 v17, 0
	ds_read_b64 v[15:16], v17 offset:1560
	ds_read_b32 v17, v17 offset:1820
	s_movk_i32 s8, 0x400
	s_waitcnt lgkmcnt(0)
	v_mul_f32_e32 v15, v15, v17
	v_mul_f32_e32 v15, v16, v15
	v_add_u32_e64 v16, s8, 0
	ds_write2_b32 v16, v15, v15 offset0:135 offset1:198
.LBB107_118:
	s_or_b64 exec, exec, s[0:1]
	v_and_b32_e32 v18, 7, v0
	v_lshrrev_b32_e32 v19, 3, v4
	v_lshlrev_b32_e32 v16, 2, v18
	v_cmp_lt_u32_e64 s[10:11], 63, v4
	v_cmp_gt_u32_e64 s[8:9], 64, v4
	v_lshl_or_b32 v15, v19, 8, v16
	v_mov_b32_e32 v20, 0
	s_waitcnt lgkmcnt(0)
	s_barrier
	s_and_saveexec_b64 s[0:1], s[8:9]
	s_cbranch_execz .LBB107_128
; %bb.119:
	v_mul_u32_u24_e32 v20, 0x104, v19
	ds_read_b32 v17, v15 offset:32
	ds_read_b32 v21, v20
	v_cmp_gt_u32_e64 s[14:15], 56, v4
	s_waitcnt lgkmcnt(0)
	v_fma_f32 v17, v17, v21, 0
	s_and_saveexec_b64 s[16:17], s[14:15]
	s_cbranch_execnz .LBB107_1207
; %bb.120:
	s_or_b64 exec, exec, s[16:17]
	v_cmp_gt_u32_e64 s[14:15], 48, v4
	s_and_saveexec_b64 s[16:17], s[14:15]
	s_cbranch_execnz .LBB107_1208
.LBB107_121:
	s_or_b64 exec, exec, s[16:17]
	v_cmp_gt_u32_e64 s[14:15], 40, v4
	s_and_saveexec_b64 s[16:17], s[14:15]
	s_cbranch_execnz .LBB107_1209
.LBB107_122:
	s_or_b64 exec, exec, s[16:17]
	v_cmp_gt_u32_e64 s[14:15], 32, v4
	s_and_saveexec_b64 s[16:17], s[14:15]
	s_cbranch_execnz .LBB107_1210
.LBB107_123:
	s_or_b64 exec, exec, s[16:17]
	v_cmp_gt_u32_e64 s[14:15], 24, v4
	s_and_saveexec_b64 s[16:17], s[14:15]
	s_cbranch_execnz .LBB107_1211
.LBB107_124:
	s_or_b64 exec, exec, s[16:17]
	v_cmp_gt_u32_e64 s[14:15], 16, v4
	s_and_saveexec_b64 s[16:17], s[14:15]
	s_cbranch_execnz .LBB107_1212
.LBB107_125:
	s_or_b64 exec, exec, s[16:17]
	v_cmp_gt_u32_e64 s[14:15], 8, v4
	s_and_saveexec_b64 s[16:17], s[14:15]
	s_cbranch_execz .LBB107_127
.LBB107_126:
	v_lshlrev_b32_e32 v20, 2, v0
	v_mov_b32_e32 v21, 0
	ds_read_b32 v20, v20 offset:1824
	ds_read_b32 v21, v21 offset:28
	s_waitcnt lgkmcnt(0)
	v_fmac_f32_e32 v17, v20, v21
.LBB107_127:
	s_or_b64 exec, exec, s[16:17]
	v_xor_b32_e32 v20, 0x80000000, v17
.LBB107_128:
	v_writelane_b32 v33, s58, 2
	v_writelane_b32 v33, s59, 3
	s_or_b64 exec, exec, s[0:1]
	v_mov_b32_e32 v17, 0x4000
	v_cmp_eq_u32_e64 s[14:15], 0, v18
	s_xor_b64 s[0:1], s[10:11], -1
	v_lshl_add_u32 v17, v19, 2, v17
	s_and_b64 s[58:59], s[14:15], s[0:1]
	s_and_saveexec_b64 s[10:11], s[58:59]
	s_cbranch_execz .LBB107_130
; %bb.129:
	v_mov_b32_e32 v21, 0
	ds_read_b32 v21, v21 offset:2080
	s_waitcnt lgkmcnt(0)
	v_mul_f32_e32 v20, v20, v21
	ds_write_b32 v17, v20
.LBB107_130:
	s_or_b64 exec, exec, s[10:11]
	v_cmp_ne_u32_e64 s[10:11], 0, v18
	s_and_b64 s[60:61], s[10:11], s[0:1]
	s_waitcnt lgkmcnt(0)
	s_barrier
	s_and_saveexec_b64 s[10:11], s[60:61]
	s_cbranch_execz .LBB107_132
; %bb.131:
	ds_read_b32 v21, v16 offset:2080
	ds_read_b32 v22, v17
	s_waitcnt lgkmcnt(0)
	v_fmac_f32_e32 v20, v21, v22
.LBB107_132:
	s_or_b64 exec, exec, s[10:11]
	v_cmp_eq_u32_e64 s[10:11], 1, v18
	s_and_b64 s[62:63], s[10:11], s[0:1]
	s_barrier
	s_and_saveexec_b64 s[10:11], s[62:63]
	s_cbranch_execz .LBB107_134
; %bb.133:
	v_mov_b32_e32 v21, 0
	ds_read_b32 v21, v21 offset:2340
	s_waitcnt lgkmcnt(0)
	v_mul_f32_e32 v20, v20, v21
	ds_write_b32 v17, v20
.LBB107_134:
	s_or_b64 exec, exec, s[10:11]
	v_cmp_lt_u32_e64 s[10:11], 1, v18
	s_and_b64 s[64:65], s[10:11], s[0:1]
	s_waitcnt lgkmcnt(0)
	s_barrier
	s_and_saveexec_b64 s[10:11], s[64:65]
	s_cbranch_execz .LBB107_136
; %bb.135:
	ds_read_b32 v21, v16 offset:2336
	ds_read_b32 v22, v17
	s_waitcnt lgkmcnt(0)
	v_fmac_f32_e32 v20, v21, v22
.LBB107_136:
	s_or_b64 exec, exec, s[10:11]
	v_cmp_eq_u32_e64 s[10:11], 2, v18
	s_and_b64 s[68:69], s[10:11], s[0:1]
	s_barrier
	s_and_saveexec_b64 s[10:11], s[68:69]
	s_cbranch_execz .LBB107_138
; %bb.137:
	v_mov_b32_e32 v21, 0
	ds_read_b32 v21, v21 offset:2600
	s_waitcnt lgkmcnt(0)
	v_mul_f32_e32 v20, v20, v21
	ds_write_b32 v17, v20
.LBB107_138:
	s_or_b64 exec, exec, s[10:11]
	v_cmp_lt_u32_e64 s[10:11], 2, v18
	;; [unrolled: 26-line block ×5, first 2 shown]
	s_and_b64 s[82:83], s[10:11], s[0:1]
	s_waitcnt lgkmcnt(0)
	s_barrier
	s_and_saveexec_b64 s[10:11], s[82:83]
	s_cbranch_execz .LBB107_152
; %bb.151:
	ds_read_b32 v21, v16 offset:3360
	ds_read_b32 v22, v17
	s_waitcnt lgkmcnt(0)
	v_fmac_f32_e32 v20, v21, v22
.LBB107_152:
	s_or_b64 exec, exec, s[10:11]
	v_cmp_eq_u32_e64 s[10:11], 6, v18
	s_and_b64 s[84:85], s[10:11], s[0:1]
	s_barrier
	s_and_saveexec_b64 s[10:11], s[84:85]
	s_cbranch_execz .LBB107_154
; %bb.153:
	v_mov_b32_e32 v21, 0
	ds_read_b32 v21, v21 offset:3640
	s_waitcnt lgkmcnt(0)
	v_mul_f32_e32 v20, v20, v21
	ds_write_b32 v17, v20
.LBB107_154:
	s_or_b64 exec, exec, s[10:11]
	v_cmp_eq_u32_e64 s[10:11], 7, v18
	s_and_b64 s[66:67], s[10:11], s[0:1]
	s_waitcnt lgkmcnt(0)
	s_barrier
	s_and_saveexec_b64 s[0:1], s[66:67]
	s_cbranch_execz .LBB107_156
; %bb.155:
	v_mov_b32_e32 v21, 0
	ds_read_b32 v21, v21 offset:3644
	ds_read_b32 v22, v17
	s_waitcnt lgkmcnt(0)
	v_fmac_f32_e32 v20, v21, v22
.LBB107_156:
	s_or_b64 exec, exec, s[0:1]
	s_barrier
	s_and_saveexec_b64 s[0:1], s[66:67]
	s_cbranch_execz .LBB107_158
; %bb.157:
	v_mov_b32_e32 v21, 0
	ds_read_b32 v21, v21 offset:3900
	s_waitcnt lgkmcnt(0)
	v_mul_f32_e32 v20, v20, v21
	ds_write_b32 v17, v20
.LBB107_158:
	s_or_b64 exec, exec, s[0:1]
	s_waitcnt lgkmcnt(0)
	s_barrier
	s_barrier
	s_and_saveexec_b64 s[0:1], s[8:9]
; %bb.159:
	v_xor_b32_e32 v20, 0x80000000, v20
	ds_write_b32 v15, v20 offset:32
; %bb.160:
	s_or_b64 exec, exec, s[0:1]
	v_cmp_gt_u32_e64 s[10:11], 8, v0
	s_and_b64 s[86:87], s[12:13], s[10:11]
	s_waitcnt lgkmcnt(0)
	s_barrier
	s_barrier
	s_and_saveexec_b64 s[0:1], s[86:87]
	s_cbranch_execz .LBB107_162
; %bb.161:
	v_lshlrev_b32_e32 v20, 8, v0
	ds_read_b32 v21, v20 offset:32
	s_movk_i32 s10, 0xff04
	v_mad_i32_i24 v22, v0, s10, v20
	s_waitcnt lgkmcnt(0)
	ds_write_b32 v22, v21 offset:2048
	ds_read_b32 v21, v20 offset:36
	s_waitcnt lgkmcnt(0)
	ds_write_b32 v22, v21 offset:2304
	ds_read_b32 v21, v20 offset:40
	;; [unrolled: 3-line block ×7, first 2 shown]
	s_waitcnt lgkmcnt(0)
	ds_write_b32 v22, v20 offset:3840
.LBB107_162:
	s_or_b64 exec, exec, s[0:1]
	s_waitcnt lgkmcnt(0)
	s_barrier
	s_and_saveexec_b64 s[0:1], vcc
	s_cbranch_execz .LBB107_164
; %bb.163:
	v_mov_b32_e32 v22, 0
	ds_read_b64 v[20:21], v22 offset:2080
	ds_read_b32 v22, v22 offset:2340
	s_movk_i32 s10, 0x800
	s_waitcnt lgkmcnt(0)
	v_mul_f32_e32 v20, v20, v22
	v_mul_f32_e32 v20, v21, v20
	v_add_u32_e64 v21, s10, 0
	ds_write2_b32 v21, v20, v20 offset0:9 offset1:72
.LBB107_164:
	s_or_b64 exec, exec, s[0:1]
	v_mov_b32_e32 v20, 0
	s_waitcnt lgkmcnt(0)
	s_barrier
	s_and_saveexec_b64 s[0:1], s[2:3]
	s_cbranch_execz .LBB107_168
; %bb.165:
	v_mul_u32_u24_e32 v20, 0x104, v5
	ds_read_b32 v22, v1 offset:2088
	ds_read_b32 v20, v20 offset:2080
	v_mov_b32_e32 v21, 0
	v_cmp_gt_u32_e64 s[10:11], 2, v4
	s_waitcnt lgkmcnt(0)
	v_fma_f32 v20, v22, v20, 0
	s_and_saveexec_b64 s[14:15], s[10:11]
	s_cbranch_execz .LBB107_167
; %bb.166:
	v_lshlrev_b32_e32 v22, 2, v0
	ds_read_b32 v22, v22 offset:2344
	ds_read_b32 v21, v21 offset:2084
	s_waitcnt lgkmcnt(0)
	v_fmac_f32_e32 v20, v22, v21
.LBB107_167:
	s_or_b64 exec, exec, s[14:15]
	v_xor_b32_e32 v20, 0x80000000, v20
.LBB107_168:
	s_or_b64 exec, exec, s[0:1]
	s_and_saveexec_b64 s[0:1], s[40:41]
	s_cbranch_execz .LBB107_170
; %bb.169:
	v_mov_b32_e32 v21, 0
	ds_read_b32 v21, v21 offset:2600
	s_waitcnt lgkmcnt(0)
	v_mul_f32_e32 v20, v20, v21
	ds_write_b32 v3, v20
.LBB107_170:
	s_or_b64 exec, exec, s[0:1]
	s_waitcnt lgkmcnt(0)
	s_barrier
	s_and_saveexec_b64 s[0:1], s[38:39]
	s_cbranch_execz .LBB107_172
; %bb.171:
	v_mov_b32_e32 v21, 0
	ds_read_b32 v21, v21 offset:2604
	ds_read_b32 v22, v3
	s_waitcnt lgkmcnt(0)
	v_fmac_f32_e32 v20, v21, v22
.LBB107_172:
	s_or_b64 exec, exec, s[0:1]
	s_barrier
	s_and_saveexec_b64 s[0:1], s[38:39]
	s_cbranch_execz .LBB107_174
; %bb.173:
	v_mov_b32_e32 v21, 0
	ds_read_b32 v21, v21 offset:2860
	s_waitcnt lgkmcnt(0)
	v_mul_f32_e32 v20, v20, v21
	ds_write_b32 v3, v20
.LBB107_174:
	s_or_b64 exec, exec, s[0:1]
	s_waitcnt lgkmcnt(0)
	s_barrier
	s_barrier
	s_and_saveexec_b64 s[0:1], s[2:3]
; %bb.175:
	v_xor_b32_e32 v20, 0x80000000, v20
	ds_write_b32 v1, v20 offset:2088
; %bb.176:
	s_or_b64 exec, exec, s[0:1]
	s_waitcnt lgkmcnt(0)
	s_barrier
	s_barrier
	s_and_saveexec_b64 s[0:1], s[42:43]
	s_cbranch_execz .LBB107_178
; %bb.177:
	v_lshlrev_b32_e32 v20, 2, v0
	s_movk_i32 s10, 0xfc
	v_mad_u32_u24 v21, v0, s10, v20
	ds_read_b32 v22, v21 offset:2088
	s_waitcnt lgkmcnt(0)
	ds_write_b32 v20, v22 offset:2592
	ds_read_b32 v21, v21 offset:2092
	s_waitcnt lgkmcnt(0)
	ds_write_b32 v20, v21 offset:2848
.LBB107_178:
	s_or_b64 exec, exec, s[0:1]
	s_waitcnt lgkmcnt(0)
	s_barrier
	s_and_saveexec_b64 s[0:1], vcc
	s_cbranch_execz .LBB107_180
; %bb.179:
	v_mov_b32_e32 v22, 0
	ds_read_b64 v[20:21], v22 offset:2600
	ds_read_b32 v22, v22 offset:2860
	s_movk_i32 s10, 0x800
	s_waitcnt lgkmcnt(0)
	v_mul_f32_e32 v20, v20, v22
	v_mul_f32_e32 v20, v21, v20
	v_add_u32_e64 v21, s10, 0
	ds_write2_b32 v21, v20, v20 offset0:139 offset1:202
.LBB107_180:
	s_or_b64 exec, exec, s[0:1]
	v_mov_b32_e32 v20, 0
	s_waitcnt lgkmcnt(0)
	s_barrier
	s_and_saveexec_b64 s[0:1], s[18:19]
	s_cbranch_execz .LBB107_186
; %bb.181:
	v_mul_u32_u24_e32 v21, 0x104, v14
	ds_read_b32 v20, v6 offset:2096
	ds_read_b32 v22, v21 offset:2080
	v_cmp_gt_u32_e64 s[10:11], 12, v4
	s_waitcnt lgkmcnt(0)
	v_fma_f32 v20, v20, v22, 0
	s_and_saveexec_b64 s[14:15], s[10:11]
	s_cbranch_execnz .LBB107_1213
; %bb.182:
	s_or_b64 exec, exec, s[14:15]
	v_cmp_gt_u32_e64 s[10:11], 8, v4
	s_and_saveexec_b64 s[14:15], s[10:11]
	s_cbranch_execnz .LBB107_1214
.LBB107_183:
	s_or_b64 exec, exec, s[14:15]
	v_cmp_gt_u32_e64 s[10:11], 4, v4
	s_and_saveexec_b64 s[14:15], s[10:11]
	s_cbranch_execz .LBB107_185
.LBB107_184:
	v_lshlrev_b32_e32 v21, 2, v0
	v_mov_b32_e32 v22, 0
	ds_read_b32 v21, v21 offset:2864
	ds_read_b32 v22, v22 offset:2092
	s_waitcnt lgkmcnt(0)
	v_fmac_f32_e32 v20, v21, v22
.LBB107_185:
	s_or_b64 exec, exec, s[14:15]
	v_xor_b32_e32 v20, 0x80000000, v20
.LBB107_186:
	s_or_b64 exec, exec, s[0:1]
	s_and_saveexec_b64 s[0:1], s[46:47]
	s_cbranch_execz .LBB107_188
; %bb.187:
	v_mov_b32_e32 v21, 0
	ds_read_b32 v21, v21 offset:3120
	s_waitcnt lgkmcnt(0)
	v_mul_f32_e32 v20, v20, v21
	ds_write_b32 v12, v20
.LBB107_188:
	s_or_b64 exec, exec, s[0:1]
	s_waitcnt lgkmcnt(0)
	s_barrier
	s_and_saveexec_b64 s[0:1], s[48:49]
	s_cbranch_execz .LBB107_190
; %bb.189:
	ds_read_b32 v21, v11 offset:3120
	ds_read_b32 v22, v12
	s_waitcnt lgkmcnt(0)
	v_fmac_f32_e32 v20, v21, v22
.LBB107_190:
	s_or_b64 exec, exec, s[0:1]
	s_barrier
	s_and_saveexec_b64 s[0:1], s[50:51]
	s_cbranch_execz .LBB107_192
; %bb.191:
	v_mov_b32_e32 v21, 0
	ds_read_b32 v21, v21 offset:3380
	s_waitcnt lgkmcnt(0)
	v_mul_f32_e32 v20, v20, v21
	ds_write_b32 v12, v20
.LBB107_192:
	s_or_b64 exec, exec, s[0:1]
	s_waitcnt lgkmcnt(0)
	s_barrier
	s_and_saveexec_b64 s[0:1], s[52:53]
	s_cbranch_execz .LBB107_194
; %bb.193:
	ds_read_b32 v21, v11 offset:3376
	ds_read_b32 v22, v12
	s_waitcnt lgkmcnt(0)
	v_fmac_f32_e32 v20, v21, v22
.LBB107_194:
	s_or_b64 exec, exec, s[0:1]
	s_barrier
	s_and_saveexec_b64 s[0:1], s[54:55]
	s_cbranch_execz .LBB107_196
; %bb.195:
	v_mov_b32_e32 v21, 0
	ds_read_b32 v21, v21 offset:3640
	s_waitcnt lgkmcnt(0)
	v_mul_f32_e32 v20, v20, v21
	ds_write_b32 v12, v20
.LBB107_196:
	s_or_b64 exec, exec, s[0:1]
	s_waitcnt lgkmcnt(0)
	s_barrier
	s_and_saveexec_b64 s[0:1], s[44:45]
	s_cbranch_execz .LBB107_198
; %bb.197:
	v_mov_b32_e32 v21, 0
	ds_read_b32 v21, v21 offset:3644
	ds_read_b32 v22, v12
	s_waitcnt lgkmcnt(0)
	v_fmac_f32_e32 v20, v21, v22
.LBB107_198:
	s_or_b64 exec, exec, s[0:1]
	s_barrier
	s_and_saveexec_b64 s[0:1], s[44:45]
	s_cbranch_execz .LBB107_200
; %bb.199:
	v_mov_b32_e32 v21, 0
	ds_read_b32 v21, v21 offset:3900
	s_waitcnt lgkmcnt(0)
	v_mul_f32_e32 v20, v20, v21
	ds_write_b32 v12, v20
.LBB107_200:
	s_or_b64 exec, exec, s[0:1]
	s_waitcnt lgkmcnt(0)
	s_barrier
	s_barrier
	s_and_saveexec_b64 s[0:1], s[18:19]
; %bb.201:
	v_xor_b32_e32 v20, 0x80000000, v20
	ds_write_b32 v6, v20 offset:2096
; %bb.202:
	s_or_b64 exec, exec, s[0:1]
	s_waitcnt lgkmcnt(0)
	s_barrier
	s_barrier
	s_and_saveexec_b64 s[0:1], s[56:57]
	s_cbranch_execz .LBB107_204
; %bb.203:
	v_lshlrev_b32_e32 v20, 8, v0
	ds_read_b32 v21, v20 offset:2096
	s_movk_i32 s10, 0xff04
	v_mad_i32_i24 v22, v0, s10, v20
	s_waitcnt lgkmcnt(0)
	ds_write_b32 v22, v21 offset:3104
	ds_read_b32 v21, v20 offset:2100
	s_waitcnt lgkmcnt(0)
	ds_write_b32 v22, v21 offset:3360
	ds_read_b32 v21, v20 offset:2104
	;; [unrolled: 3-line block ×3, first 2 shown]
	s_waitcnt lgkmcnt(0)
	ds_write_b32 v22, v20 offset:3872
.LBB107_204:
	s_or_b64 exec, exec, s[0:1]
	s_waitcnt lgkmcnt(0)
	s_barrier
	s_and_saveexec_b64 s[0:1], vcc
	s_cbranch_execz .LBB107_206
; %bb.205:
	v_mov_b32_e32 v22, 0
	ds_read_b64 v[20:21], v22 offset:3120
	ds_read_b32 v22, v22 offset:3380
	s_movk_i32 s10, 0xc00
	s_waitcnt lgkmcnt(0)
	v_mul_f32_e32 v20, v20, v22
	v_mul_f32_e32 v20, v21, v20
	v_add_u32_e64 v21, s10, 0
	ds_write2_b32 v21, v20, v20 offset0:13 offset1:76
.LBB107_206:
	s_or_b64 exec, exec, s[0:1]
	v_mov_b32_e32 v20, 0
	s_waitcnt lgkmcnt(0)
	s_barrier
	s_and_saveexec_b64 s[0:1], s[2:3]
	s_cbranch_execz .LBB107_210
; %bb.207:
	v_mul_u32_u24_e32 v20, 0x104, v5
	ds_read_b32 v22, v1 offset:3128
	ds_read_b32 v20, v20 offset:3120
	v_mov_b32_e32 v21, 0
	v_cmp_gt_u32_e64 s[10:11], 2, v4
	s_waitcnt lgkmcnt(0)
	v_fma_f32 v20, v22, v20, 0
	s_and_saveexec_b64 s[14:15], s[10:11]
	s_cbranch_execz .LBB107_209
; %bb.208:
	v_lshlrev_b32_e32 v22, 2, v0
	ds_read_b32 v22, v22 offset:3384
	ds_read_b32 v21, v21 offset:3124
	s_waitcnt lgkmcnt(0)
	v_fmac_f32_e32 v20, v22, v21
.LBB107_209:
	s_or_b64 exec, exec, s[14:15]
	v_xor_b32_e32 v20, 0x80000000, v20
.LBB107_210:
	s_or_b64 exec, exec, s[0:1]
	s_and_saveexec_b64 s[0:1], s[40:41]
	s_cbranch_execz .LBB107_212
; %bb.211:
	v_mov_b32_e32 v21, 0
	ds_read_b32 v21, v21 offset:3640
	s_waitcnt lgkmcnt(0)
	v_mul_f32_e32 v20, v20, v21
	ds_write_b32 v3, v20
.LBB107_212:
	s_or_b64 exec, exec, s[0:1]
	s_waitcnt lgkmcnt(0)
	s_barrier
	s_and_saveexec_b64 s[0:1], s[38:39]
	s_cbranch_execz .LBB107_214
; %bb.213:
	v_mov_b32_e32 v21, 0
	ds_read_b32 v21, v21 offset:3644
	ds_read_b32 v22, v3
	s_waitcnt lgkmcnt(0)
	v_fmac_f32_e32 v20, v21, v22
.LBB107_214:
	s_or_b64 exec, exec, s[0:1]
	s_barrier
	s_and_saveexec_b64 s[0:1], s[38:39]
	s_cbranch_execz .LBB107_216
; %bb.215:
	v_mov_b32_e32 v21, 0
	ds_read_b32 v21, v21 offset:3900
	s_waitcnt lgkmcnt(0)
	v_mul_f32_e32 v20, v20, v21
	ds_write_b32 v3, v20
.LBB107_216:
	s_or_b64 exec, exec, s[0:1]
	s_waitcnt lgkmcnt(0)
	s_barrier
	s_barrier
	s_and_saveexec_b64 s[0:1], s[2:3]
; %bb.217:
	v_xor_b32_e32 v20, 0x80000000, v20
	ds_write_b32 v1, v20 offset:3128
; %bb.218:
	s_or_b64 exec, exec, s[0:1]
	s_waitcnt lgkmcnt(0)
	s_barrier
	s_barrier
	s_and_saveexec_b64 s[0:1], s[42:43]
	s_cbranch_execz .LBB107_220
; %bb.219:
	v_lshlrev_b32_e32 v20, 2, v0
	s_movk_i32 s10, 0xfc
	v_mad_u32_u24 v21, v0, s10, v20
	ds_read_b32 v22, v21 offset:3128
	s_waitcnt lgkmcnt(0)
	ds_write_b32 v20, v22 offset:3632
	ds_read_b32 v21, v21 offset:3132
	s_waitcnt lgkmcnt(0)
	ds_write_b32 v20, v21 offset:3888
.LBB107_220:
	s_or_b64 exec, exec, s[0:1]
	s_waitcnt lgkmcnt(0)
	s_barrier
	s_and_saveexec_b64 s[0:1], vcc
	s_cbranch_execz .LBB107_222
; %bb.221:
	v_mov_b32_e32 v22, 0
	ds_read_b64 v[20:21], v22 offset:3640
	ds_read_b32 v22, v22 offset:3900
	s_movk_i32 s10, 0xc00
	s_waitcnt lgkmcnt(0)
	v_mul_f32_e32 v20, v20, v22
	v_mul_f32_e32 v20, v21, v20
	v_add_u32_e64 v21, s10, 0
	ds_write2_b32 v21, v20, v20 offset0:143 offset1:206
.LBB107_222:
	s_or_b64 exec, exec, s[0:1]
	v_lshrrev_b32_e32 v24, 4, v4
	v_and_b32_e32 v21, 15, v0
	s_movk_i32 s0, 0xff
	v_lshlrev_b32_e32 v23, 6, v24
	v_cmp_lt_u32_e64 s[14:15], s0, v4
	s_movk_i32 s0, 0x100
	v_or_b32_e32 v20, v23, v21
	v_cmp_gt_u32_e64 s[10:11], s0, v4
	v_lshlrev_b32_e32 v20, 2, v20
	v_mov_b32_e32 v25, 0
	s_waitcnt lgkmcnt(0)
	s_barrier
	s_and_saveexec_b64 s[0:1], s[10:11]
	s_cbranch_execz .LBB107_250
; %bb.223:
	v_mul_u32_u24_e32 v25, 0x104, v24
	ds_read_b32 v22, v20 offset:64
	ds_read_b32 v26, v25
	s_movk_i32 s16, 0xf0
	v_cmp_gt_u32_e64 s[16:17], s16, v4
	s_waitcnt lgkmcnt(0)
	v_fma_f32 v22, v22, v26, 0
	s_and_saveexec_b64 s[20:21], s[16:17]
	s_cbranch_execz .LBB107_225
; %bb.224:
	v_lshlrev_b32_e32 v26, 2, v24
	v_sub_u32_e32 v26, v25, v26
	v_lshl_add_u32 v26, v21, 2, v26
	ds_read_b32 v26, v26 offset:320
	ds_read_b32 v27, v25 offset:4
	s_waitcnt lgkmcnt(0)
	v_fmac_f32_e32 v22, v26, v27
.LBB107_225:
	s_or_b64 exec, exec, s[20:21]
	s_movk_i32 s16, 0xe0
	v_cmp_gt_u32_e64 s[16:17], s16, v4
	s_and_saveexec_b64 s[20:21], s[16:17]
	s_cbranch_execz .LBB107_227
; %bb.226:
	v_lshlrev_b32_e32 v26, 2, v24
	v_sub_u32_e32 v26, v25, v26
	v_lshl_add_u32 v26, v21, 2, v26
	ds_read_b32 v26, v26 offset:576
	ds_read_b32 v27, v25 offset:8
	s_waitcnt lgkmcnt(0)
	v_fmac_f32_e32 v22, v26, v27
.LBB107_227:
	s_or_b64 exec, exec, s[20:21]
	s_movk_i32 s16, 0xd0
	v_cmp_gt_u32_e64 s[16:17], s16, v4
	s_and_saveexec_b64 s[20:21], s[16:17]
	s_cbranch_execz .LBB107_229
; %bb.228:
	v_lshlrev_b32_e32 v26, 2, v24
	v_sub_u32_e32 v26, v25, v26
	v_lshl_add_u32 v26, v21, 2, v26
	ds_read_b32 v26, v26 offset:832
	ds_read_b32 v27, v25 offset:12
	s_waitcnt lgkmcnt(0)
	v_fmac_f32_e32 v22, v26, v27
.LBB107_229:
	s_or_b64 exec, exec, s[20:21]
	s_movk_i32 s16, 0xc0
	v_cmp_gt_u32_e64 s[16:17], s16, v4
	s_and_saveexec_b64 s[20:21], s[16:17]
	s_cbranch_execz .LBB107_231
; %bb.230:
	v_lshlrev_b32_e32 v26, 2, v24
	v_sub_u32_e32 v26, v25, v26
	v_lshl_add_u32 v26, v21, 2, v26
	ds_read_b32 v26, v26 offset:1088
	ds_read_b32 v27, v25 offset:16
	s_waitcnt lgkmcnt(0)
	v_fmac_f32_e32 v22, v26, v27
.LBB107_231:
	s_or_b64 exec, exec, s[20:21]
	s_movk_i32 s16, 0xb0
	v_cmp_gt_u32_e64 s[16:17], s16, v4
	s_and_saveexec_b64 s[20:21], s[16:17]
	s_cbranch_execz .LBB107_233
; %bb.232:
	v_lshlrev_b32_e32 v26, 2, v24
	v_sub_u32_e32 v26, v25, v26
	v_lshl_add_u32 v26, v21, 2, v26
	ds_read_b32 v26, v26 offset:1344
	ds_read_b32 v27, v25 offset:20
	s_waitcnt lgkmcnt(0)
	v_fmac_f32_e32 v22, v26, v27
.LBB107_233:
	s_or_b64 exec, exec, s[20:21]
	s_movk_i32 s16, 0xa0
	v_cmp_gt_u32_e64 s[16:17], s16, v4
	s_and_saveexec_b64 s[20:21], s[16:17]
	s_cbranch_execz .LBB107_235
; %bb.234:
	v_lshlrev_b32_e32 v26, 2, v24
	v_sub_u32_e32 v26, v25, v26
	v_lshl_add_u32 v26, v21, 2, v26
	ds_read_b32 v26, v26 offset:1600
	ds_read_b32 v27, v25 offset:24
	s_waitcnt lgkmcnt(0)
	v_fmac_f32_e32 v22, v26, v27
.LBB107_235:
	s_or_b64 exec, exec, s[20:21]
	s_movk_i32 s16, 0x90
	v_cmp_gt_u32_e64 s[16:17], s16, v4
	s_and_saveexec_b64 s[20:21], s[16:17]
	s_cbranch_execz .LBB107_237
; %bb.236:
	v_lshlrev_b32_e32 v26, 2, v24
	v_sub_u32_e32 v26, v25, v26
	v_lshl_add_u32 v26, v21, 2, v26
	ds_read_b32 v26, v26 offset:1856
	ds_read_b32 v27, v25 offset:28
	s_waitcnt lgkmcnt(0)
	v_fmac_f32_e32 v22, v26, v27
.LBB107_237:
	s_or_b64 exec, exec, s[20:21]
	s_movk_i32 s16, 0x80
	v_cmp_gt_u32_e64 s[16:17], s16, v4
	s_and_saveexec_b64 s[20:21], s[16:17]
	s_cbranch_execz .LBB107_239
; %bb.238:
	ds_read_b32 v26, v20 offset:2112
	ds_read_b32 v27, v25 offset:32
	s_waitcnt lgkmcnt(0)
	v_fmac_f32_e32 v22, v26, v27
.LBB107_239:
	s_or_b64 exec, exec, s[20:21]
	s_movk_i32 s16, 0x70
	v_cmp_gt_u32_e64 s[16:17], s16, v4
	s_and_saveexec_b64 s[20:21], s[16:17]
	s_cbranch_execz .LBB107_241
; %bb.240:
	v_lshlrev_b32_e32 v26, 2, v24
	v_sub_u32_e32 v26, v25, v26
	v_lshl_add_u32 v26, v21, 2, v26
	ds_read_b32 v26, v26 offset:2368
	ds_read_b32 v27, v25 offset:36
	s_waitcnt lgkmcnt(0)
	v_fmac_f32_e32 v22, v26, v27
.LBB107_241:
	s_or_b64 exec, exec, s[20:21]
	s_movk_i32 s16, 0x60
	v_cmp_gt_u32_e64 s[16:17], s16, v4
	s_and_saveexec_b64 s[20:21], s[16:17]
	s_cbranch_execz .LBB107_243
; %bb.242:
	v_lshlrev_b32_e32 v26, 2, v21
	v_lshl_add_u32 v26, v23, 2, v26
	ds_read_b32 v26, v26 offset:2624
	ds_read_b32 v27, v25 offset:40
	s_waitcnt lgkmcnt(0)
	v_fmac_f32_e32 v22, v26, v27
.LBB107_243:
	s_or_b64 exec, exec, s[20:21]
	s_movk_i32 s16, 0x50
	v_cmp_gt_u32_e64 s[16:17], s16, v4
	s_and_saveexec_b64 s[20:21], s[16:17]
	s_cbranch_execnz .LBB107_1215
; %bb.244:
	s_or_b64 exec, exec, s[20:21]
	v_cmp_gt_u32_e64 s[16:17], 64, v4
	s_and_saveexec_b64 s[20:21], s[16:17]
	s_cbranch_execnz .LBB107_1216
.LBB107_245:
	s_or_b64 exec, exec, s[20:21]
	v_cmp_gt_u32_e64 s[16:17], 48, v4
	s_and_saveexec_b64 s[20:21], s[16:17]
	s_cbranch_execnz .LBB107_1217
.LBB107_246:
	s_or_b64 exec, exec, s[20:21]
	v_cmp_gt_u32_e64 s[16:17], 32, v4
	s_and_saveexec_b64 s[20:21], s[16:17]
	s_cbranch_execnz .LBB107_1218
.LBB107_247:
	s_or_b64 exec, exec, s[20:21]
	v_cmp_gt_u32_e64 s[16:17], 16, v4
	s_and_saveexec_b64 s[20:21], s[16:17]
	s_cbranch_execz .LBB107_249
.LBB107_248:
	v_lshlrev_b32_e32 v25, 2, v0
	v_mov_b32_e32 v26, 0
	ds_read_b32 v25, v25 offset:3904
	ds_read_b32 v26, v26 offset:60
	s_waitcnt lgkmcnt(0)
	v_fmac_f32_e32 v22, v25, v26
.LBB107_249:
	s_or_b64 exec, exec, s[20:21]
	v_xor_b32_e32 v25, 0x80000000, v22
.LBB107_250:
	s_or_b64 exec, exec, s[0:1]
	v_mov_b32_e32 v22, 0x4000
	v_lshl_add_u32 v22, v24, 2, v22
	v_cmp_eq_u32_e64 s[16:17], 0, v21
	s_xor_b64 s[20:21], s[14:15], -1
	s_and_b64 s[14:15], s[16:17], s[20:21]
	s_mov_b64 s[0:1], exec
	v_writelane_b32 v33, s14, 4
	v_writelane_b32 v33, s15, 5
	s_and_b64 s[14:15], s[0:1], s[14:15]
	s_mov_b64 exec, s[14:15]
	s_cbranch_execz .LBB107_252
; %bb.251:
	v_mov_b32_e32 v26, 0
	ds_read_b32 v26, v26 offset:4160
	s_waitcnt lgkmcnt(0)
	v_mul_f32_e32 v25, v25, v26
	ds_write_b32 v22, v25
.LBB107_252:
	s_or_b64 exec, exec, s[0:1]
	v_cmp_ne_u32_e64 s[14:15], 0, v21
	s_waitcnt lgkmcnt(0)
	s_barrier
	s_and_b64 s[14:15], s[14:15], s[20:21]
	s_mov_b64 s[0:1], exec
	v_writelane_b32 v33, s14, 6
	v_writelane_b32 v33, s15, 7
	s_and_b64 s[14:15], s[0:1], s[14:15]
	s_mov_b64 exec, s[14:15]
	s_cbranch_execz .LBB107_254
; %bb.253:
	v_lshlrev_b32_e32 v26, 2, v21
	ds_read_b32 v26, v26 offset:4160
	ds_read_b32 v27, v22
	s_waitcnt lgkmcnt(0)
	v_fmac_f32_e32 v25, v26, v27
.LBB107_254:
	s_or_b64 exec, exec, s[0:1]
	v_cmp_eq_u32_e64 s[14:15], 1, v21
	s_barrier
	s_and_b64 s[14:15], s[14:15], s[20:21]
	s_mov_b64 s[0:1], exec
	v_writelane_b32 v33, s14, 8
	v_writelane_b32 v33, s15, 9
	s_and_b64 s[14:15], s[0:1], s[14:15]
	s_mov_b64 exec, s[14:15]
	s_cbranch_execz .LBB107_256
; %bb.255:
	v_mov_b32_e32 v26, 0
	ds_read_b32 v26, v26 offset:4420
	s_waitcnt lgkmcnt(0)
	v_mul_f32_e32 v25, v25, v26
	ds_write_b32 v22, v25
.LBB107_256:
	s_or_b64 exec, exec, s[0:1]
	v_cmp_lt_u32_e64 s[14:15], 1, v21
	s_waitcnt lgkmcnt(0)
	s_barrier
	s_and_b64 s[14:15], s[14:15], s[20:21]
	s_mov_b64 s[0:1], exec
	v_writelane_b32 v33, s14, 10
	v_writelane_b32 v33, s15, 11
	s_and_b64 s[14:15], s[0:1], s[14:15]
	s_mov_b64 exec, s[14:15]
	s_cbranch_execz .LBB107_258
; %bb.257:
	v_lshlrev_b32_e32 v26, 2, v21
	ds_read_b32 v26, v26 offset:4416
	ds_read_b32 v27, v22
	s_waitcnt lgkmcnt(0)
	v_fmac_f32_e32 v25, v26, v27
.LBB107_258:
	s_or_b64 exec, exec, s[0:1]
	v_cmp_eq_u32_e64 s[14:15], 2, v21
	s_barrier
	s_and_b64 s[14:15], s[14:15], s[20:21]
	s_mov_b64 s[0:1], exec
	v_writelane_b32 v33, s14, 12
	v_writelane_b32 v33, s15, 13
	s_and_b64 s[14:15], s[0:1], s[14:15]
	s_mov_b64 exec, s[14:15]
	s_cbranch_execz .LBB107_260
; %bb.259:
	v_mov_b32_e32 v26, 0
	ds_read_b32 v26, v26 offset:4680
	s_waitcnt lgkmcnt(0)
	v_mul_f32_e32 v25, v25, v26
	ds_write_b32 v22, v25
.LBB107_260:
	s_or_b64 exec, exec, s[0:1]
	v_cmp_lt_u32_e64 s[14:15], 2, v21
	;; [unrolled: 35-line block ×13, first 2 shown]
	s_waitcnt lgkmcnt(0)
	s_barrier
	s_and_b64 s[14:15], s[14:15], s[20:21]
	s_mov_b64 s[0:1], exec
	v_writelane_b32 v33, s14, 58
	v_writelane_b32 v33, s15, 59
	s_and_b64 s[14:15], s[0:1], s[14:15]
	s_mov_b64 exec, s[14:15]
	s_cbranch_execz .LBB107_306
; %bb.305:
	v_lshlrev_b32_e32 v26, 2, v21
	ds_read_b32 v26, v26 offset:7488
	ds_read_b32 v27, v22
	s_waitcnt lgkmcnt(0)
	v_fmac_f32_e32 v25, v26, v27
.LBB107_306:
	s_or_b64 exec, exec, s[0:1]
	v_cmp_eq_u32_e64 s[14:15], 14, v21
	s_barrier
	s_and_b64 s[14:15], s[14:15], s[20:21]
	s_mov_b64 s[0:1], exec
	v_writelane_b32 v33, s14, 60
	v_writelane_b32 v33, s15, 61
	s_and_b64 s[14:15], s[0:1], s[14:15]
	s_mov_b64 exec, s[14:15]
	s_cbranch_execz .LBB107_308
; %bb.307:
	v_mov_b32_e32 v26, 0
	ds_read_b32 v26, v26 offset:7800
	s_waitcnt lgkmcnt(0)
	v_mul_f32_e32 v25, v25, v26
	ds_write_b32 v22, v25
.LBB107_308:
	s_or_b64 exec, exec, s[0:1]
	v_cmp_eq_u32_e64 s[14:15], 15, v21
	s_and_b64 s[88:89], s[14:15], s[20:21]
	s_waitcnt lgkmcnt(0)
	s_barrier
	s_and_saveexec_b64 s[0:1], s[88:89]
	s_cbranch_execz .LBB107_310
; %bb.309:
	v_mov_b32_e32 v26, 0
	ds_read_b32 v26, v26 offset:7804
	ds_read_b32 v27, v22
	s_waitcnt lgkmcnt(0)
	v_fmac_f32_e32 v25, v26, v27
.LBB107_310:
	s_or_b64 exec, exec, s[0:1]
	s_barrier
	s_and_saveexec_b64 s[0:1], s[88:89]
	s_cbranch_execz .LBB107_312
; %bb.311:
	v_mov_b32_e32 v26, 0
	ds_read_b32 v26, v26 offset:8060
	s_waitcnt lgkmcnt(0)
	v_mul_f32_e32 v25, v25, v26
	ds_write_b32 v22, v25
.LBB107_312:
	s_or_b64 exec, exec, s[0:1]
	s_waitcnt lgkmcnt(0)
	s_barrier
	s_barrier
	s_and_saveexec_b64 s[0:1], s[10:11]
; %bb.313:
	v_xor_b32_e32 v25, 0x80000000, v25
	ds_write_b32 v20, v25 offset:64
; %bb.314:
	s_or_b64 exec, exec, s[0:1]
	v_cmp_gt_u32_e64 s[14:15], 16, v0
	s_waitcnt lgkmcnt(0)
	s_barrier
	s_barrier
	s_and_b64 s[0:1], s[12:13], s[14:15]
	s_mov_b64 s[14:15], exec
	v_writelane_b32 v33, s0, 62
	v_writelane_b32 v33, s1, 63
	s_and_b64 s[0:1], s[14:15], s[0:1]
	s_mov_b64 exec, s[0:1]
	s_cbranch_execz .LBB107_316
; %bb.315:
	v_lshlrev_b32_e32 v25, 8, v0
	ds_read_b32 v26, v25 offset:64
	s_movk_i32 s0, 0xff04
	v_mad_i32_i24 v27, v0, s0, v25
	s_waitcnt lgkmcnt(0)
	ds_write_b32 v27, v26 offset:4096
	ds_read_b32 v26, v25 offset:68
	s_waitcnt lgkmcnt(0)
	ds_write_b32 v27, v26 offset:4352
	ds_read_b32 v26, v25 offset:72
	;; [unrolled: 3-line block ×15, first 2 shown]
	s_waitcnt lgkmcnt(0)
	ds_write_b32 v27, v25 offset:7936
.LBB107_316:
	s_or_b64 exec, exec, s[14:15]
	s_waitcnt lgkmcnt(0)
	s_barrier
	s_and_saveexec_b64 s[14:15], vcc
	s_cbranch_execz .LBB107_318
; %bb.317:
	v_mov_b32_e32 v27, 0
	ds_read_b64 v[25:26], v27 offset:4160
	ds_read_b32 v27, v27 offset:4420
	s_movk_i32 s0, 0x1000
	s_waitcnt lgkmcnt(0)
	v_mul_f32_e32 v25, v25, v27
	v_mul_f32_e32 v25, v26, v25
	v_add_u32_e64 v26, s0, 0
	ds_write2_b32 v26, v25, v25 offset0:17 offset1:80
.LBB107_318:
	s_or_b64 exec, exec, s[14:15]
	v_mov_b32_e32 v25, 0
	s_waitcnt lgkmcnt(0)
	s_barrier
	s_and_saveexec_b64 s[16:17], s[2:3]
	s_cbranch_execz .LBB107_322
; %bb.319:
	v_mul_u32_u24_e32 v25, 0x104, v5
	ds_read_b32 v27, v1 offset:4168
	ds_read_b32 v25, v25 offset:4160
	v_mov_b32_e32 v26, 0
	v_cmp_gt_u32_e64 s[14:15], 2, v4
	s_waitcnt lgkmcnt(0)
	v_fma_f32 v25, v27, v25, 0
	s_and_saveexec_b64 s[0:1], s[14:15]
	s_cbranch_execz .LBB107_321
; %bb.320:
	v_lshlrev_b32_e32 v27, 2, v0
	ds_read_b32 v27, v27 offset:4424
	ds_read_b32 v26, v26 offset:4164
	s_waitcnt lgkmcnt(0)
	v_fmac_f32_e32 v25, v27, v26
.LBB107_321:
	s_or_b64 exec, exec, s[0:1]
	v_xor_b32_e32 v25, 0x80000000, v25
.LBB107_322:
	s_or_b64 exec, exec, s[16:17]
	s_and_saveexec_b64 s[0:1], s[40:41]
	s_cbranch_execz .LBB107_324
; %bb.323:
	v_mov_b32_e32 v26, 0
	ds_read_b32 v26, v26 offset:4680
	s_waitcnt lgkmcnt(0)
	v_mul_f32_e32 v25, v25, v26
	ds_write_b32 v3, v25
.LBB107_324:
	s_or_b64 exec, exec, s[0:1]
	s_waitcnt lgkmcnt(0)
	s_barrier
	s_and_saveexec_b64 s[0:1], s[38:39]
	s_cbranch_execz .LBB107_326
; %bb.325:
	v_mov_b32_e32 v26, 0
	ds_read_b32 v26, v26 offset:4684
	ds_read_b32 v27, v3
	s_waitcnt lgkmcnt(0)
	v_fmac_f32_e32 v25, v26, v27
.LBB107_326:
	s_or_b64 exec, exec, s[0:1]
	s_barrier
	s_and_saveexec_b64 s[0:1], s[38:39]
	s_cbranch_execz .LBB107_328
; %bb.327:
	v_mov_b32_e32 v26, 0
	ds_read_b32 v26, v26 offset:4940
	s_waitcnt lgkmcnt(0)
	v_mul_f32_e32 v25, v25, v26
	ds_write_b32 v3, v25
.LBB107_328:
	s_or_b64 exec, exec, s[0:1]
	s_waitcnt lgkmcnt(0)
	s_barrier
	s_barrier
	s_and_saveexec_b64 s[0:1], s[2:3]
; %bb.329:
	v_xor_b32_e32 v25, 0x80000000, v25
	ds_write_b32 v1, v25 offset:4168
; %bb.330:
	s_or_b64 exec, exec, s[0:1]
	s_waitcnt lgkmcnt(0)
	s_barrier
	s_barrier
	s_and_saveexec_b64 s[0:1], s[42:43]
	s_cbranch_execz .LBB107_332
; %bb.331:
	v_lshlrev_b32_e32 v25, 2, v0
	s_movk_i32 s14, 0xfc
	v_mad_u32_u24 v26, v0, s14, v25
	ds_read_b32 v27, v26 offset:4168
	s_waitcnt lgkmcnt(0)
	ds_write_b32 v25, v27 offset:4672
	ds_read_b32 v26, v26 offset:4172
	s_waitcnt lgkmcnt(0)
	ds_write_b32 v25, v26 offset:4928
.LBB107_332:
	s_or_b64 exec, exec, s[0:1]
	s_waitcnt lgkmcnt(0)
	s_barrier
	s_and_saveexec_b64 s[14:15], vcc
	s_cbranch_execz .LBB107_334
; %bb.333:
	v_mov_b32_e32 v27, 0
	ds_read_b64 v[25:26], v27 offset:4680
	ds_read_b32 v27, v27 offset:4940
	s_movk_i32 s0, 0x1000
	s_waitcnt lgkmcnt(0)
	v_mul_f32_e32 v25, v25, v27
	v_mul_f32_e32 v25, v26, v25
	v_add_u32_e64 v26, s0, 0
	ds_write2_b32 v26, v25, v25 offset0:147 offset1:210
.LBB107_334:
	s_or_b64 exec, exec, s[14:15]
	v_mov_b32_e32 v25, 0
	s_waitcnt lgkmcnt(0)
	s_barrier
	s_and_saveexec_b64 s[16:17], s[18:19]
	s_cbranch_execz .LBB107_340
; %bb.335:
	v_mul_u32_u24_e32 v26, 0x104, v14
	ds_read_b32 v25, v6 offset:4176
	ds_read_b32 v27, v26 offset:4160
	v_cmp_gt_u32_e64 s[14:15], 12, v4
	s_waitcnt lgkmcnt(0)
	v_fma_f32 v25, v25, v27, 0
	s_and_saveexec_b64 s[20:21], s[14:15]
	s_cbranch_execnz .LBB107_1219
; %bb.336:
	s_or_b64 exec, exec, s[20:21]
	v_cmp_gt_u32_e64 s[14:15], 8, v4
	s_and_saveexec_b64 s[0:1], s[14:15]
	s_cbranch_execnz .LBB107_1220
.LBB107_337:
	s_or_b64 exec, exec, s[0:1]
	v_cmp_gt_u32_e64 s[14:15], 4, v4
	s_and_saveexec_b64 s[20:21], s[14:15]
	s_cbranch_execz .LBB107_339
.LBB107_338:
	v_lshlrev_b32_e32 v26, 2, v0
	v_mov_b32_e32 v27, 0
	ds_read_b32 v26, v26 offset:4944
	ds_read_b32 v27, v27 offset:4172
	s_waitcnt lgkmcnt(0)
	v_fmac_f32_e32 v25, v26, v27
.LBB107_339:
	s_or_b64 exec, exec, s[20:21]
	v_xor_b32_e32 v25, 0x80000000, v25
.LBB107_340:
	s_or_b64 exec, exec, s[16:17]
	s_and_saveexec_b64 s[0:1], s[46:47]
	s_cbranch_execz .LBB107_342
; %bb.341:
	v_mov_b32_e32 v26, 0
	ds_read_b32 v26, v26 offset:5200
	s_waitcnt lgkmcnt(0)
	v_mul_f32_e32 v25, v25, v26
	ds_write_b32 v12, v25
.LBB107_342:
	s_or_b64 exec, exec, s[0:1]
	s_waitcnt lgkmcnt(0)
	s_barrier
	s_and_saveexec_b64 s[0:1], s[48:49]
	s_cbranch_execz .LBB107_344
; %bb.343:
	ds_read_b32 v26, v11 offset:5200
	ds_read_b32 v27, v12
	s_waitcnt lgkmcnt(0)
	v_fmac_f32_e32 v25, v26, v27
.LBB107_344:
	s_or_b64 exec, exec, s[0:1]
	s_barrier
	s_and_saveexec_b64 s[0:1], s[50:51]
	s_cbranch_execz .LBB107_346
; %bb.345:
	v_mov_b32_e32 v26, 0
	ds_read_b32 v26, v26 offset:5460
	s_waitcnt lgkmcnt(0)
	v_mul_f32_e32 v25, v25, v26
	ds_write_b32 v12, v25
.LBB107_346:
	s_or_b64 exec, exec, s[0:1]
	s_waitcnt lgkmcnt(0)
	s_barrier
	s_and_saveexec_b64 s[0:1], s[52:53]
	s_cbranch_execz .LBB107_348
; %bb.347:
	ds_read_b32 v26, v11 offset:5456
	ds_read_b32 v27, v12
	s_waitcnt lgkmcnt(0)
	v_fmac_f32_e32 v25, v26, v27
.LBB107_348:
	s_or_b64 exec, exec, s[0:1]
	s_barrier
	s_and_saveexec_b64 s[0:1], s[54:55]
	s_cbranch_execz .LBB107_350
; %bb.349:
	v_mov_b32_e32 v26, 0
	ds_read_b32 v26, v26 offset:5720
	s_waitcnt lgkmcnt(0)
	v_mul_f32_e32 v25, v25, v26
	ds_write_b32 v12, v25
.LBB107_350:
	s_or_b64 exec, exec, s[0:1]
	s_waitcnt lgkmcnt(0)
	s_barrier
	s_and_saveexec_b64 s[0:1], s[44:45]
	s_cbranch_execz .LBB107_352
; %bb.351:
	v_mov_b32_e32 v26, 0
	ds_read_b32 v26, v26 offset:5724
	ds_read_b32 v27, v12
	s_waitcnt lgkmcnt(0)
	v_fmac_f32_e32 v25, v26, v27
.LBB107_352:
	s_or_b64 exec, exec, s[0:1]
	s_barrier
	s_and_saveexec_b64 s[0:1], s[44:45]
	s_cbranch_execz .LBB107_354
; %bb.353:
	v_mov_b32_e32 v26, 0
	ds_read_b32 v26, v26 offset:5980
	s_waitcnt lgkmcnt(0)
	v_mul_f32_e32 v25, v25, v26
	ds_write_b32 v12, v25
.LBB107_354:
	s_or_b64 exec, exec, s[0:1]
	s_waitcnt lgkmcnt(0)
	s_barrier
	s_barrier
	s_and_saveexec_b64 s[0:1], s[18:19]
; %bb.355:
	v_xor_b32_e32 v25, 0x80000000, v25
	ds_write_b32 v6, v25 offset:4176
; %bb.356:
	s_or_b64 exec, exec, s[0:1]
	s_waitcnt lgkmcnt(0)
	s_barrier
	s_barrier
	s_and_saveexec_b64 s[14:15], s[56:57]
	s_cbranch_execz .LBB107_358
; %bb.357:
	v_lshlrev_b32_e32 v25, 8, v0
	ds_read_b32 v26, v25 offset:4176
	s_movk_i32 s0, 0xff04
	v_mad_i32_i24 v27, v0, s0, v25
	s_waitcnt lgkmcnt(0)
	ds_write_b32 v27, v26 offset:5184
	ds_read_b32 v26, v25 offset:4180
	s_waitcnt lgkmcnt(0)
	ds_write_b32 v27, v26 offset:5440
	ds_read_b32 v26, v25 offset:4184
	;; [unrolled: 3-line block ×3, first 2 shown]
	s_waitcnt lgkmcnt(0)
	ds_write_b32 v27, v25 offset:5952
.LBB107_358:
	s_or_b64 exec, exec, s[14:15]
	s_waitcnt lgkmcnt(0)
	s_barrier
	s_and_saveexec_b64 s[14:15], vcc
	s_cbranch_execz .LBB107_360
; %bb.359:
	v_mov_b32_e32 v27, 0
	ds_read_b64 v[25:26], v27 offset:5200
	ds_read_b32 v27, v27 offset:5460
	s_movk_i32 s0, 0x1400
	s_waitcnt lgkmcnt(0)
	v_mul_f32_e32 v25, v25, v27
	v_mul_f32_e32 v25, v26, v25
	v_add_u32_e64 v26, s0, 0
	ds_write2_b32 v26, v25, v25 offset0:21 offset1:84
.LBB107_360:
	s_or_b64 exec, exec, s[14:15]
	v_mov_b32_e32 v25, 0
	s_waitcnt lgkmcnt(0)
	s_barrier
	s_and_saveexec_b64 s[16:17], s[2:3]
	s_cbranch_execz .LBB107_364
; %bb.361:
	v_mul_u32_u24_e32 v25, 0x104, v5
	ds_read_b32 v27, v1 offset:5208
	ds_read_b32 v25, v25 offset:5200
	v_mov_b32_e32 v26, 0
	v_cmp_gt_u32_e64 s[14:15], 2, v4
	s_waitcnt lgkmcnt(0)
	v_fma_f32 v25, v27, v25, 0
	s_and_saveexec_b64 s[0:1], s[14:15]
	s_cbranch_execz .LBB107_363
; %bb.362:
	v_lshlrev_b32_e32 v27, 2, v0
	ds_read_b32 v27, v27 offset:5464
	ds_read_b32 v26, v26 offset:5204
	s_waitcnt lgkmcnt(0)
	v_fmac_f32_e32 v25, v27, v26
.LBB107_363:
	s_or_b64 exec, exec, s[0:1]
	v_xor_b32_e32 v25, 0x80000000, v25
.LBB107_364:
	s_or_b64 exec, exec, s[16:17]
	s_and_saveexec_b64 s[0:1], s[40:41]
	s_cbranch_execz .LBB107_366
; %bb.365:
	v_mov_b32_e32 v26, 0
	ds_read_b32 v26, v26 offset:5720
	s_waitcnt lgkmcnt(0)
	v_mul_f32_e32 v25, v25, v26
	ds_write_b32 v3, v25
.LBB107_366:
	s_or_b64 exec, exec, s[0:1]
	s_waitcnt lgkmcnt(0)
	s_barrier
	s_and_saveexec_b64 s[0:1], s[38:39]
	s_cbranch_execz .LBB107_368
; %bb.367:
	v_mov_b32_e32 v26, 0
	ds_read_b32 v26, v26 offset:5724
	ds_read_b32 v27, v3
	s_waitcnt lgkmcnt(0)
	v_fmac_f32_e32 v25, v26, v27
.LBB107_368:
	s_or_b64 exec, exec, s[0:1]
	s_barrier
	s_and_saveexec_b64 s[0:1], s[38:39]
	s_cbranch_execz .LBB107_370
; %bb.369:
	v_mov_b32_e32 v26, 0
	ds_read_b32 v26, v26 offset:5980
	s_waitcnt lgkmcnt(0)
	v_mul_f32_e32 v25, v25, v26
	ds_write_b32 v3, v25
.LBB107_370:
	s_or_b64 exec, exec, s[0:1]
	s_waitcnt lgkmcnt(0)
	s_barrier
	s_barrier
	s_and_saveexec_b64 s[0:1], s[2:3]
; %bb.371:
	v_xor_b32_e32 v25, 0x80000000, v25
	ds_write_b32 v1, v25 offset:5208
; %bb.372:
	s_or_b64 exec, exec, s[0:1]
	s_waitcnt lgkmcnt(0)
	s_barrier
	s_barrier
	s_and_saveexec_b64 s[0:1], s[42:43]
	s_cbranch_execz .LBB107_374
; %bb.373:
	v_lshlrev_b32_e32 v25, 2, v0
	s_movk_i32 s14, 0xfc
	v_mad_u32_u24 v26, v0, s14, v25
	ds_read_b32 v27, v26 offset:5208
	s_waitcnt lgkmcnt(0)
	ds_write_b32 v25, v27 offset:5712
	ds_read_b32 v26, v26 offset:5212
	s_waitcnt lgkmcnt(0)
	ds_write_b32 v25, v26 offset:5968
.LBB107_374:
	s_or_b64 exec, exec, s[0:1]
	s_waitcnt lgkmcnt(0)
	s_barrier
	s_and_saveexec_b64 s[14:15], vcc
	s_cbranch_execz .LBB107_376
; %bb.375:
	v_mov_b32_e32 v27, 0
	ds_read_b64 v[25:26], v27 offset:5720
	ds_read_b32 v27, v27 offset:5980
	s_movk_i32 s0, 0x1400
	s_waitcnt lgkmcnt(0)
	v_mul_f32_e32 v25, v25, v27
	v_mul_f32_e32 v25, v26, v25
	v_add_u32_e64 v26, s0, 0
	ds_write2_b32 v26, v25, v25 offset0:151 offset1:214
.LBB107_376:
	s_or_b64 exec, exec, s[14:15]
	v_mov_b32_e32 v25, 0
	s_waitcnt lgkmcnt(0)
	s_barrier
	s_and_saveexec_b64 s[16:17], s[8:9]
	s_cbranch_execz .LBB107_386
; %bb.377:
	v_mul_u32_u24_e32 v26, 0x104, v19
	ds_read_b32 v25, v15 offset:4192
	ds_read_b32 v27, v26 offset:4160
	v_cmp_gt_u32_e64 s[14:15], 56, v4
	s_waitcnt lgkmcnt(0)
	v_fma_f32 v25, v25, v27, 0
	s_and_saveexec_b64 s[20:21], s[14:15]
	s_cbranch_execnz .LBB107_1221
; %bb.378:
	s_or_b64 exec, exec, s[20:21]
	v_cmp_gt_u32_e64 s[14:15], 48, v4
	s_and_saveexec_b64 s[20:21], s[14:15]
	s_cbranch_execnz .LBB107_1222
.LBB107_379:
	s_or_b64 exec, exec, s[20:21]
	v_cmp_gt_u32_e64 s[14:15], 40, v4
	s_and_saveexec_b64 s[20:21], s[14:15]
	s_cbranch_execnz .LBB107_1223
.LBB107_380:
	s_or_b64 exec, exec, s[20:21]
	v_cmp_gt_u32_e64 s[14:15], 32, v4
	s_and_saveexec_b64 s[0:1], s[14:15]
	s_cbranch_execnz .LBB107_1224
.LBB107_381:
	s_or_b64 exec, exec, s[0:1]
	v_cmp_gt_u32_e64 s[14:15], 24, v4
	s_and_saveexec_b64 s[20:21], s[14:15]
	s_cbranch_execnz .LBB107_1225
.LBB107_382:
	s_or_b64 exec, exec, s[20:21]
	v_cmp_gt_u32_e64 s[14:15], 16, v4
	s_and_saveexec_b64 s[0:1], s[14:15]
	s_cbranch_execnz .LBB107_1226
.LBB107_383:
	s_or_b64 exec, exec, s[0:1]
	v_cmp_gt_u32_e64 s[14:15], 8, v4
	s_and_saveexec_b64 s[20:21], s[14:15]
	s_cbranch_execz .LBB107_385
.LBB107_384:
	v_lshlrev_b32_e32 v26, 2, v0
	v_mov_b32_e32 v27, 0
	ds_read_b32 v26, v26 offset:5984
	ds_read_b32 v27, v27 offset:4188
	s_waitcnt lgkmcnt(0)
	v_fmac_f32_e32 v25, v26, v27
.LBB107_385:
	s_or_b64 exec, exec, s[20:21]
	v_xor_b32_e32 v25, 0x80000000, v25
.LBB107_386:
	s_or_b64 exec, exec, s[16:17]
	s_and_saveexec_b64 s[0:1], s[58:59]
	s_cbranch_execz .LBB107_388
; %bb.387:
	v_mov_b32_e32 v26, 0
	ds_read_b32 v26, v26 offset:6240
	s_waitcnt lgkmcnt(0)
	v_mul_f32_e32 v25, v25, v26
	ds_write_b32 v17, v25
.LBB107_388:
	s_or_b64 exec, exec, s[0:1]
	s_waitcnt lgkmcnt(0)
	s_barrier
	s_and_saveexec_b64 s[0:1], s[60:61]
	s_cbranch_execz .LBB107_390
; %bb.389:
	ds_read_b32 v26, v16 offset:6240
	ds_read_b32 v27, v17
	s_waitcnt lgkmcnt(0)
	v_fmac_f32_e32 v25, v26, v27
.LBB107_390:
	s_or_b64 exec, exec, s[0:1]
	s_barrier
	s_and_saveexec_b64 s[0:1], s[62:63]
	s_cbranch_execz .LBB107_392
; %bb.391:
	v_mov_b32_e32 v26, 0
	ds_read_b32 v26, v26 offset:6500
	s_waitcnt lgkmcnt(0)
	v_mul_f32_e32 v25, v25, v26
	ds_write_b32 v17, v25
.LBB107_392:
	s_or_b64 exec, exec, s[0:1]
	s_waitcnt lgkmcnt(0)
	s_barrier
	s_and_saveexec_b64 s[0:1], s[64:65]
	s_cbranch_execz .LBB107_394
; %bb.393:
	ds_read_b32 v26, v16 offset:6496
	ds_read_b32 v27, v17
	s_waitcnt lgkmcnt(0)
	v_fmac_f32_e32 v25, v26, v27
.LBB107_394:
	s_or_b64 exec, exec, s[0:1]
	s_barrier
	;; [unrolled: 22-line block ×6, first 2 shown]
	s_and_saveexec_b64 s[0:1], s[84:85]
	s_cbranch_execz .LBB107_412
; %bb.411:
	v_mov_b32_e32 v26, 0
	ds_read_b32 v26, v26 offset:7800
	s_waitcnt lgkmcnt(0)
	v_mul_f32_e32 v25, v25, v26
	ds_write_b32 v17, v25
.LBB107_412:
	s_or_b64 exec, exec, s[0:1]
	s_waitcnt lgkmcnt(0)
	s_barrier
	s_and_saveexec_b64 s[0:1], s[66:67]
	s_cbranch_execz .LBB107_414
; %bb.413:
	v_mov_b32_e32 v26, 0
	ds_read_b32 v26, v26 offset:7804
	ds_read_b32 v27, v17
	s_waitcnt lgkmcnt(0)
	v_fmac_f32_e32 v25, v26, v27
.LBB107_414:
	s_or_b64 exec, exec, s[0:1]
	s_barrier
	s_and_saveexec_b64 s[0:1], s[66:67]
	s_cbranch_execz .LBB107_416
; %bb.415:
	v_mov_b32_e32 v26, 0
	ds_read_b32 v26, v26 offset:8060
	s_waitcnt lgkmcnt(0)
	v_mul_f32_e32 v25, v25, v26
	ds_write_b32 v17, v25
.LBB107_416:
	s_or_b64 exec, exec, s[0:1]
	s_waitcnt lgkmcnt(0)
	s_barrier
	s_barrier
	s_and_saveexec_b64 s[0:1], s[8:9]
; %bb.417:
	v_xor_b32_e32 v25, 0x80000000, v25
	ds_write_b32 v15, v25 offset:4192
; %bb.418:
	s_or_b64 exec, exec, s[0:1]
	s_waitcnt lgkmcnt(0)
	s_barrier
	s_barrier
	s_and_saveexec_b64 s[14:15], s[86:87]
	s_cbranch_execz .LBB107_420
; %bb.419:
	v_lshlrev_b32_e32 v25, 8, v0
	ds_read_b32 v26, v25 offset:4192
	s_movk_i32 s0, 0xff04
	v_mad_i32_i24 v27, v0, s0, v25
	s_waitcnt lgkmcnt(0)
	ds_write_b32 v27, v26 offset:6208
	ds_read_b32 v26, v25 offset:4196
	s_waitcnt lgkmcnt(0)
	ds_write_b32 v27, v26 offset:6464
	ds_read_b32 v26, v25 offset:4200
	;; [unrolled: 3-line block ×7, first 2 shown]
	s_waitcnt lgkmcnt(0)
	ds_write_b32 v27, v25 offset:8000
.LBB107_420:
	s_or_b64 exec, exec, s[14:15]
	s_waitcnt lgkmcnt(0)
	s_barrier
	s_and_saveexec_b64 s[14:15], vcc
	s_cbranch_execz .LBB107_422
; %bb.421:
	v_mov_b32_e32 v27, 0
	ds_read_b64 v[25:26], v27 offset:6240
	ds_read_b32 v27, v27 offset:6500
	s_movk_i32 s0, 0x1800
	s_waitcnt lgkmcnt(0)
	v_mul_f32_e32 v25, v25, v27
	v_mul_f32_e32 v25, v26, v25
	v_add_u32_e64 v26, s0, 0
	ds_write2_b32 v26, v25, v25 offset0:25 offset1:88
.LBB107_422:
	s_or_b64 exec, exec, s[14:15]
	v_mov_b32_e32 v25, 0
	s_waitcnt lgkmcnt(0)
	s_barrier
	s_and_saveexec_b64 s[16:17], s[2:3]
	s_cbranch_execz .LBB107_426
; %bb.423:
	v_mul_u32_u24_e32 v25, 0x104, v5
	ds_read_b32 v27, v1 offset:6248
	ds_read_b32 v25, v25 offset:6240
	v_mov_b32_e32 v26, 0
	v_cmp_gt_u32_e64 s[14:15], 2, v4
	s_waitcnt lgkmcnt(0)
	v_fma_f32 v25, v27, v25, 0
	s_and_saveexec_b64 s[0:1], s[14:15]
	s_cbranch_execz .LBB107_425
; %bb.424:
	v_lshlrev_b32_e32 v27, 2, v0
	ds_read_b32 v27, v27 offset:6504
	ds_read_b32 v26, v26 offset:6244
	s_waitcnt lgkmcnt(0)
	v_fmac_f32_e32 v25, v27, v26
.LBB107_425:
	s_or_b64 exec, exec, s[0:1]
	v_xor_b32_e32 v25, 0x80000000, v25
.LBB107_426:
	s_or_b64 exec, exec, s[16:17]
	s_and_saveexec_b64 s[0:1], s[40:41]
	s_cbranch_execz .LBB107_428
; %bb.427:
	v_mov_b32_e32 v26, 0
	ds_read_b32 v26, v26 offset:6760
	s_waitcnt lgkmcnt(0)
	v_mul_f32_e32 v25, v25, v26
	ds_write_b32 v3, v25
.LBB107_428:
	s_or_b64 exec, exec, s[0:1]
	s_waitcnt lgkmcnt(0)
	s_barrier
	s_and_saveexec_b64 s[0:1], s[38:39]
	s_cbranch_execz .LBB107_430
; %bb.429:
	v_mov_b32_e32 v26, 0
	ds_read_b32 v26, v26 offset:6764
	ds_read_b32 v27, v3
	s_waitcnt lgkmcnt(0)
	v_fmac_f32_e32 v25, v26, v27
.LBB107_430:
	s_or_b64 exec, exec, s[0:1]
	s_barrier
	s_and_saveexec_b64 s[0:1], s[38:39]
	s_cbranch_execz .LBB107_432
; %bb.431:
	v_mov_b32_e32 v26, 0
	ds_read_b32 v26, v26 offset:7020
	s_waitcnt lgkmcnt(0)
	v_mul_f32_e32 v25, v25, v26
	ds_write_b32 v3, v25
.LBB107_432:
	s_or_b64 exec, exec, s[0:1]
	s_waitcnt lgkmcnt(0)
	s_barrier
	s_barrier
	s_and_saveexec_b64 s[0:1], s[2:3]
; %bb.433:
	v_xor_b32_e32 v25, 0x80000000, v25
	ds_write_b32 v1, v25 offset:6248
; %bb.434:
	s_or_b64 exec, exec, s[0:1]
	s_waitcnt lgkmcnt(0)
	s_barrier
	s_barrier
	s_and_saveexec_b64 s[0:1], s[42:43]
	s_cbranch_execz .LBB107_436
; %bb.435:
	v_lshlrev_b32_e32 v25, 2, v0
	s_movk_i32 s14, 0xfc
	v_mad_u32_u24 v26, v0, s14, v25
	ds_read_b32 v27, v26 offset:6248
	s_waitcnt lgkmcnt(0)
	ds_write_b32 v25, v27 offset:6752
	ds_read_b32 v26, v26 offset:6252
	s_waitcnt lgkmcnt(0)
	ds_write_b32 v25, v26 offset:7008
.LBB107_436:
	s_or_b64 exec, exec, s[0:1]
	s_waitcnt lgkmcnt(0)
	s_barrier
	s_and_saveexec_b64 s[14:15], vcc
	s_cbranch_execz .LBB107_438
; %bb.437:
	v_mov_b32_e32 v27, 0
	ds_read_b64 v[25:26], v27 offset:6760
	ds_read_b32 v27, v27 offset:7020
	s_movk_i32 s0, 0x1800
	s_waitcnt lgkmcnt(0)
	v_mul_f32_e32 v25, v25, v27
	v_mul_f32_e32 v25, v26, v25
	v_add_u32_e64 v26, s0, 0
	ds_write2_b32 v26, v25, v25 offset0:155 offset1:218
.LBB107_438:
	s_or_b64 exec, exec, s[14:15]
	v_mov_b32_e32 v25, 0
	s_waitcnt lgkmcnt(0)
	s_barrier
	s_and_saveexec_b64 s[16:17], s[18:19]
	s_cbranch_execz .LBB107_444
; %bb.439:
	v_mul_u32_u24_e32 v26, 0x104, v14
	ds_read_b32 v25, v6 offset:6256
	ds_read_b32 v27, v26 offset:6240
	v_cmp_gt_u32_e64 s[14:15], 12, v4
	s_waitcnt lgkmcnt(0)
	v_fma_f32 v25, v25, v27, 0
	s_and_saveexec_b64 s[20:21], s[14:15]
	s_cbranch_execnz .LBB107_1227
; %bb.440:
	s_or_b64 exec, exec, s[20:21]
	v_cmp_gt_u32_e64 s[14:15], 8, v4
	s_and_saveexec_b64 s[0:1], s[14:15]
	s_cbranch_execnz .LBB107_1228
.LBB107_441:
	s_or_b64 exec, exec, s[0:1]
	v_cmp_gt_u32_e64 s[14:15], 4, v4
	s_and_saveexec_b64 s[20:21], s[14:15]
	s_cbranch_execz .LBB107_443
.LBB107_442:
	v_lshlrev_b32_e32 v26, 2, v0
	v_mov_b32_e32 v27, 0
	ds_read_b32 v26, v26 offset:7024
	ds_read_b32 v27, v27 offset:6252
	s_waitcnt lgkmcnt(0)
	v_fmac_f32_e32 v25, v26, v27
.LBB107_443:
	s_or_b64 exec, exec, s[20:21]
	v_xor_b32_e32 v25, 0x80000000, v25
.LBB107_444:
	s_or_b64 exec, exec, s[16:17]
	s_and_saveexec_b64 s[0:1], s[46:47]
	s_cbranch_execz .LBB107_446
; %bb.445:
	v_mov_b32_e32 v26, 0
	ds_read_b32 v26, v26 offset:7280
	s_waitcnt lgkmcnt(0)
	v_mul_f32_e32 v25, v25, v26
	ds_write_b32 v12, v25
.LBB107_446:
	s_or_b64 exec, exec, s[0:1]
	s_waitcnt lgkmcnt(0)
	s_barrier
	s_and_saveexec_b64 s[0:1], s[48:49]
	s_cbranch_execz .LBB107_448
; %bb.447:
	ds_read_b32 v26, v11 offset:7280
	ds_read_b32 v27, v12
	s_waitcnt lgkmcnt(0)
	v_fmac_f32_e32 v25, v26, v27
.LBB107_448:
	s_or_b64 exec, exec, s[0:1]
	s_barrier
	s_and_saveexec_b64 s[0:1], s[50:51]
	s_cbranch_execz .LBB107_450
; %bb.449:
	v_mov_b32_e32 v26, 0
	ds_read_b32 v26, v26 offset:7540
	s_waitcnt lgkmcnt(0)
	v_mul_f32_e32 v25, v25, v26
	ds_write_b32 v12, v25
.LBB107_450:
	s_or_b64 exec, exec, s[0:1]
	s_waitcnt lgkmcnt(0)
	s_barrier
	s_and_saveexec_b64 s[0:1], s[52:53]
	s_cbranch_execz .LBB107_452
; %bb.451:
	ds_read_b32 v26, v11 offset:7536
	ds_read_b32 v27, v12
	s_waitcnt lgkmcnt(0)
	v_fmac_f32_e32 v25, v26, v27
.LBB107_452:
	s_or_b64 exec, exec, s[0:1]
	s_barrier
	s_and_saveexec_b64 s[0:1], s[54:55]
	s_cbranch_execz .LBB107_454
; %bb.453:
	v_mov_b32_e32 v26, 0
	ds_read_b32 v26, v26 offset:7800
	s_waitcnt lgkmcnt(0)
	v_mul_f32_e32 v25, v25, v26
	ds_write_b32 v12, v25
.LBB107_454:
	s_or_b64 exec, exec, s[0:1]
	s_waitcnt lgkmcnt(0)
	s_barrier
	s_and_saveexec_b64 s[0:1], s[44:45]
	s_cbranch_execz .LBB107_456
; %bb.455:
	v_mov_b32_e32 v26, 0
	ds_read_b32 v26, v26 offset:7804
	ds_read_b32 v27, v12
	s_waitcnt lgkmcnt(0)
	v_fmac_f32_e32 v25, v26, v27
.LBB107_456:
	s_or_b64 exec, exec, s[0:1]
	s_barrier
	s_and_saveexec_b64 s[0:1], s[44:45]
	s_cbranch_execz .LBB107_458
; %bb.457:
	v_mov_b32_e32 v26, 0
	ds_read_b32 v26, v26 offset:8060
	s_waitcnt lgkmcnt(0)
	v_mul_f32_e32 v25, v25, v26
	ds_write_b32 v12, v25
.LBB107_458:
	s_or_b64 exec, exec, s[0:1]
	s_waitcnt lgkmcnt(0)
	s_barrier
	s_barrier
	s_and_saveexec_b64 s[0:1], s[18:19]
; %bb.459:
	v_xor_b32_e32 v25, 0x80000000, v25
	ds_write_b32 v6, v25 offset:6256
; %bb.460:
	s_or_b64 exec, exec, s[0:1]
	s_waitcnt lgkmcnt(0)
	s_barrier
	s_barrier
	s_and_saveexec_b64 s[14:15], s[56:57]
	s_cbranch_execz .LBB107_462
; %bb.461:
	v_lshlrev_b32_e32 v25, 8, v0
	ds_read_b32 v26, v25 offset:6256
	s_movk_i32 s0, 0xff04
	v_mad_i32_i24 v27, v0, s0, v25
	s_waitcnt lgkmcnt(0)
	ds_write_b32 v27, v26 offset:7264
	ds_read_b32 v26, v25 offset:6260
	s_waitcnt lgkmcnt(0)
	ds_write_b32 v27, v26 offset:7520
	ds_read_b32 v26, v25 offset:6264
	;; [unrolled: 3-line block ×3, first 2 shown]
	s_waitcnt lgkmcnt(0)
	ds_write_b32 v27, v25 offset:8032
.LBB107_462:
	s_or_b64 exec, exec, s[14:15]
	s_waitcnt lgkmcnt(0)
	s_barrier
	s_and_saveexec_b64 s[14:15], vcc
	s_cbranch_execz .LBB107_464
; %bb.463:
	v_mov_b32_e32 v27, 0
	ds_read_b64 v[25:26], v27 offset:7280
	ds_read_b32 v27, v27 offset:7540
	s_movk_i32 s0, 0x1c00
	s_waitcnt lgkmcnt(0)
	v_mul_f32_e32 v25, v25, v27
	v_mul_f32_e32 v25, v26, v25
	v_add_u32_e64 v26, s0, 0
	ds_write2_b32 v26, v25, v25 offset0:29 offset1:92
.LBB107_464:
	s_or_b64 exec, exec, s[14:15]
	v_mov_b32_e32 v25, 0
	s_waitcnt lgkmcnt(0)
	s_barrier
	s_and_saveexec_b64 s[16:17], s[2:3]
	s_cbranch_execz .LBB107_468
; %bb.465:
	v_mul_u32_u24_e32 v25, 0x104, v5
	ds_read_b32 v27, v1 offset:7288
	ds_read_b32 v25, v25 offset:7280
	v_mov_b32_e32 v26, 0
	v_cmp_gt_u32_e64 s[14:15], 2, v4
	s_waitcnt lgkmcnt(0)
	v_fma_f32 v25, v27, v25, 0
	s_and_saveexec_b64 s[0:1], s[14:15]
	s_cbranch_execz .LBB107_467
; %bb.466:
	v_lshlrev_b32_e32 v27, 2, v0
	ds_read_b32 v27, v27 offset:7544
	ds_read_b32 v26, v26 offset:7284
	s_waitcnt lgkmcnt(0)
	v_fmac_f32_e32 v25, v27, v26
.LBB107_467:
	s_or_b64 exec, exec, s[0:1]
	v_xor_b32_e32 v25, 0x80000000, v25
.LBB107_468:
	s_or_b64 exec, exec, s[16:17]
	s_and_saveexec_b64 s[0:1], s[40:41]
	s_cbranch_execz .LBB107_470
; %bb.469:
	v_mov_b32_e32 v26, 0
	ds_read_b32 v26, v26 offset:7800
	s_waitcnt lgkmcnt(0)
	v_mul_f32_e32 v25, v25, v26
	ds_write_b32 v3, v25
.LBB107_470:
	s_or_b64 exec, exec, s[0:1]
	s_waitcnt lgkmcnt(0)
	s_barrier
	s_and_saveexec_b64 s[0:1], s[38:39]
	s_cbranch_execz .LBB107_472
; %bb.471:
	v_mov_b32_e32 v26, 0
	ds_read_b32 v26, v26 offset:7804
	ds_read_b32 v27, v3
	s_waitcnt lgkmcnt(0)
	v_fmac_f32_e32 v25, v26, v27
.LBB107_472:
	s_or_b64 exec, exec, s[0:1]
	s_barrier
	s_and_saveexec_b64 s[0:1], s[38:39]
	s_cbranch_execz .LBB107_474
; %bb.473:
	v_mov_b32_e32 v26, 0
	ds_read_b32 v26, v26 offset:8060
	s_waitcnt lgkmcnt(0)
	v_mul_f32_e32 v25, v25, v26
	ds_write_b32 v3, v25
.LBB107_474:
	s_or_b64 exec, exec, s[0:1]
	s_waitcnt lgkmcnt(0)
	s_barrier
	s_barrier
	s_and_saveexec_b64 s[0:1], s[2:3]
; %bb.475:
	v_xor_b32_e32 v25, 0x80000000, v25
	ds_write_b32 v1, v25 offset:7288
; %bb.476:
	s_or_b64 exec, exec, s[0:1]
	s_waitcnt lgkmcnt(0)
	s_barrier
	s_barrier
	s_and_saveexec_b64 s[0:1], s[42:43]
	s_cbranch_execz .LBB107_478
; %bb.477:
	v_lshlrev_b32_e32 v25, 2, v0
	s_movk_i32 s14, 0xfc
	v_mad_u32_u24 v26, v0, s14, v25
	ds_read_b32 v27, v26 offset:7288
	s_waitcnt lgkmcnt(0)
	ds_write_b32 v25, v27 offset:7792
	ds_read_b32 v26, v26 offset:7292
	s_waitcnt lgkmcnt(0)
	ds_write_b32 v25, v26 offset:8048
.LBB107_478:
	s_or_b64 exec, exec, s[0:1]
	s_waitcnt lgkmcnt(0)
	s_barrier
	s_and_saveexec_b64 s[14:15], vcc
	s_cbranch_execz .LBB107_480
; %bb.479:
	v_mov_b32_e32 v27, 0
	ds_read_b64 v[25:26], v27 offset:7800
	ds_read_b32 v27, v27 offset:8060
	s_movk_i32 s0, 0x1c00
	s_waitcnt lgkmcnt(0)
	v_mul_f32_e32 v25, v25, v27
	v_mul_f32_e32 v25, v26, v25
	v_add_u32_e64 v26, s0, 0
	ds_write2_b32 v26, v25, v25 offset0:159 offset1:222
.LBB107_480:
	s_or_b64 exec, exec, s[14:15]
	v_and_b32_e32 v26, 31, v0
	s_movk_i32 s0, 0x3ff
	v_lshrrev_b32_e32 v29, 5, v4
	v_cmp_lt_u32_e64 s[16:17], s0, v4
	s_movk_i32 s0, 0x400
	v_lshlrev_b32_e32 v27, 2, v26
	v_cmp_gt_u32_e64 s[14:15], s0, v4
	v_lshl_or_b32 v25, v29, 8, v27
	v_mov_b32_e32 v28, 0
	s_waitcnt lgkmcnt(0)
	s_barrier
	s_and_saveexec_b64 s[94:95], s[14:15]
	s_cbranch_execz .LBB107_542
; %bb.481:
	v_mul_u32_u24_e32 v30, 0x104, v29
	ds_read_b32 v28, v25 offset:128
	ds_read_b32 v31, v30
	s_movk_i32 s0, 0x3e0
	v_cmp_gt_u32_e64 s[20:21], s0, v4
	s_waitcnt lgkmcnt(0)
	v_fma_f32 v28, v28, v31, 0
	s_and_saveexec_b64 s[0:1], s[20:21]
	s_cbranch_execz .LBB107_483
; %bb.482:
	ds_read_b32 v31, v25 offset:384
	ds_read_b32 v32, v30 offset:4
	s_waitcnt lgkmcnt(0)
	v_fmac_f32_e32 v28, v31, v32
.LBB107_483:
	s_or_b64 exec, exec, s[0:1]
	s_movk_i32 s0, 0x3c0
	v_cmp_gt_u32_e64 s[20:21], s0, v4
	s_and_saveexec_b64 s[0:1], s[20:21]
	s_cbranch_execz .LBB107_485
; %bb.484:
	ds_read_b32 v31, v25 offset:640
	ds_read_b32 v32, v30 offset:8
	s_waitcnt lgkmcnt(0)
	v_fmac_f32_e32 v28, v31, v32
.LBB107_485:
	s_or_b64 exec, exec, s[0:1]
	s_movk_i32 s0, 0x3a0
	v_cmp_gt_u32_e64 s[20:21], s0, v4
	;; [unrolled: 11-line block ×28, first 2 shown]
	s_and_saveexec_b64 s[0:1], s[20:21]
	s_cbranch_execnz .LBB107_1229
; %bb.538:
	s_or_b64 exec, exec, s[0:1]
	v_cmp_gt_u32_e64 s[20:21], 64, v4
	s_and_saveexec_b64 s[0:1], s[20:21]
	s_cbranch_execnz .LBB107_1230
.LBB107_539:
	s_or_b64 exec, exec, s[0:1]
	v_cmp_gt_u32_e64 s[20:21], 32, v4
	s_and_saveexec_b64 s[0:1], s[20:21]
	s_cbranch_execz .LBB107_541
.LBB107_540:
	v_lshlrev_b32_e32 v30, 2, v0
	v_mov_b32_e32 v31, 0
	ds_read_b32 v30, v30 offset:8064
	ds_read_b32 v31, v31 offset:124
	s_waitcnt lgkmcnt(0)
	v_fmac_f32_e32 v28, v30, v31
.LBB107_541:
	s_or_b64 exec, exec, s[0:1]
	v_xor_b32_e32 v28, 0x80000000, v28
.LBB107_542:
	s_or_b64 exec, exec, s[94:95]
	v_mov_b32_e32 v30, 0x4000
	v_cmp_eq_u32_e64 s[20:21], 0, v26
	s_xor_b64 s[94:95], s[16:17], -1
	v_lshl_or_b32 v29, v29, 2, v30
	s_and_b64 s[16:17], s[20:21], s[94:95]
	s_and_saveexec_b64 s[0:1], s[16:17]
	s_cbranch_execz .LBB107_544
; %bb.543:
	v_mov_b32_e32 v30, 0
	ds_read_b32 v30, v30 offset:8320
	s_waitcnt lgkmcnt(0)
	v_mul_f32_e32 v28, v28, v30
	ds_write_b32 v29, v28
.LBB107_544:
	s_or_b64 exec, exec, s[0:1]
	v_cmp_ne_u32_e64 s[16:17], 0, v26
	s_and_b64 s[16:17], s[16:17], s[94:95]
	s_waitcnt lgkmcnt(0)
	s_barrier
	s_and_saveexec_b64 s[0:1], s[16:17]
	s_cbranch_execz .LBB107_546
; %bb.545:
	ds_read_b32 v30, v27 offset:8320
	ds_read_b32 v31, v29
	s_waitcnt lgkmcnt(0)
	v_fmac_f32_e32 v28, v30, v31
.LBB107_546:
	s_or_b64 exec, exec, s[0:1]
	v_cmp_eq_u32_e64 s[16:17], 1, v26
	s_and_b64 s[16:17], s[16:17], s[94:95]
	s_barrier
	s_and_saveexec_b64 s[0:1], s[16:17]
	s_cbranch_execz .LBB107_548
; %bb.547:
	v_mov_b32_e32 v30, 0
	ds_read_b32 v30, v30 offset:8580
	s_waitcnt lgkmcnt(0)
	v_mul_f32_e32 v28, v28, v30
	ds_write_b32 v29, v28
.LBB107_548:
	s_or_b64 exec, exec, s[0:1]
	v_cmp_lt_u32_e64 s[16:17], 1, v26
	s_and_b64 s[16:17], s[16:17], s[94:95]
	s_waitcnt lgkmcnt(0)
	s_barrier
	s_and_saveexec_b64 s[0:1], s[16:17]
	s_cbranch_execz .LBB107_550
; %bb.549:
	ds_read_b32 v30, v27 offset:8576
	ds_read_b32 v31, v29
	s_waitcnt lgkmcnt(0)
	v_fmac_f32_e32 v28, v30, v31
.LBB107_550:
	s_or_b64 exec, exec, s[0:1]
	v_cmp_eq_u32_e64 s[16:17], 2, v26
	s_and_b64 s[16:17], s[16:17], s[94:95]
	s_barrier
	s_and_saveexec_b64 s[0:1], s[16:17]
	s_cbranch_execz .LBB107_552
; %bb.551:
	v_mov_b32_e32 v30, 0
	ds_read_b32 v30, v30 offset:8840
	s_waitcnt lgkmcnt(0)
	v_mul_f32_e32 v28, v28, v30
	ds_write_b32 v29, v28
.LBB107_552:
	s_or_b64 exec, exec, s[0:1]
	v_cmp_lt_u32_e64 s[16:17], 2, v26
	;; [unrolled: 26-line block ×29, first 2 shown]
	s_and_b64 s[16:17], s[16:17], s[94:95]
	s_waitcnt lgkmcnt(0)
	s_barrier
	s_and_saveexec_b64 s[0:1], s[16:17]
	s_cbranch_execz .LBB107_662
; %bb.661:
	ds_read_b32 v27, v27 offset:15744
	ds_read_b32 v30, v29
	s_waitcnt lgkmcnt(0)
	v_fmac_f32_e32 v28, v27, v30
.LBB107_662:
	s_or_b64 exec, exec, s[0:1]
	v_cmp_eq_u32_e64 s[16:17], 30, v26
	s_and_b64 s[16:17], s[16:17], s[94:95]
	s_barrier
	s_and_saveexec_b64 s[0:1], s[16:17]
	s_cbranch_execz .LBB107_664
; %bb.663:
	v_mov_b32_e32 v27, 0
	ds_read_b32 v27, v27 offset:16120
	s_waitcnt lgkmcnt(0)
	v_mul_f32_e32 v28, v28, v27
	ds_write_b32 v29, v28
.LBB107_664:
	s_or_b64 exec, exec, s[0:1]
	v_cmp_eq_u32_e64 s[16:17], 31, v26
	s_and_b64 s[16:17], s[16:17], s[94:95]
	s_waitcnt lgkmcnt(0)
	s_barrier
	s_and_saveexec_b64 s[0:1], s[16:17]
	s_cbranch_execz .LBB107_666
; %bb.665:
	v_mov_b32_e32 v26, 0
	ds_read_b32 v26, v26 offset:16124
	ds_read_b32 v27, v29
	s_waitcnt lgkmcnt(0)
	v_fmac_f32_e32 v28, v26, v27
.LBB107_666:
	s_or_b64 exec, exec, s[0:1]
	s_barrier
	s_and_saveexec_b64 s[0:1], s[16:17]
	s_cbranch_execz .LBB107_668
; %bb.667:
	v_mov_b32_e32 v26, 0
	ds_read_b32 v26, v26 offset:16380
	s_waitcnt lgkmcnt(0)
	v_mul_f32_e32 v28, v28, v26
	ds_write_b32 v29, v28
.LBB107_668:
	s_or_b64 exec, exec, s[0:1]
	s_waitcnt lgkmcnt(0)
	s_barrier
	s_barrier
	s_and_saveexec_b64 s[0:1], s[14:15]
; %bb.669:
	v_xor_b32_e32 v26, 0x80000000, v28
	ds_write_b32 v25, v26 offset:128
; %bb.670:
	s_or_b64 exec, exec, s[0:1]
	v_cmp_gt_u32_e64 s[14:15], 32, v0
	s_and_b64 s[0:1], s[12:13], s[14:15]
	s_waitcnt lgkmcnt(0)
	s_barrier
	s_barrier
	s_and_saveexec_b64 s[12:13], s[0:1]
	s_cbranch_execz .LBB107_672
; %bb.671:
	v_lshlrev_b32_e32 v25, 8, v0
	ds_read_b32 v26, v25 offset:128
	s_movk_i32 s0, 0xff04
	v_mad_i32_i24 v27, v0, s0, v25
	s_waitcnt lgkmcnt(0)
	ds_write_b32 v27, v26 offset:8192
	ds_read_b32 v26, v25 offset:132
	s_waitcnt lgkmcnt(0)
	ds_write_b32 v27, v26 offset:8448
	ds_read_b32 v26, v25 offset:136
	;; [unrolled: 3-line block ×31, first 2 shown]
	s_waitcnt lgkmcnt(0)
	ds_write_b32 v27, v25 offset:16128
.LBB107_672:
	s_or_b64 exec, exec, s[12:13]
	s_waitcnt lgkmcnt(0)
	s_barrier
	s_and_saveexec_b64 s[12:13], vcc
	s_cbranch_execz .LBB107_674
; %bb.673:
	v_mov_b32_e32 v27, 0
	ds_read_b64 v[25:26], v27 offset:8320
	ds_read_b32 v27, v27 offset:8580
	s_movk_i32 s0, 0x2000
	s_waitcnt lgkmcnt(0)
	v_mul_f32_e32 v25, v25, v27
	v_mul_f32_e32 v25, v26, v25
	v_add_u32_e64 v26, s0, 0
	ds_write2_b32 v26, v25, v25 offset0:33 offset1:96
.LBB107_674:
	s_or_b64 exec, exec, s[12:13]
	v_mov_b32_e32 v25, 0
	s_waitcnt lgkmcnt(0)
	s_barrier
	s_and_saveexec_b64 s[14:15], s[2:3]
	s_cbranch_execz .LBB107_678
; %bb.675:
	v_mul_u32_u24_e32 v25, 0x104, v5
	ds_read_b32 v27, v1 offset:8328
	ds_read_b32 v25, v25 offset:8320
	v_mov_b32_e32 v26, 0
	v_cmp_gt_u32_e64 s[12:13], 2, v4
	s_waitcnt lgkmcnt(0)
	v_fma_f32 v25, v27, v25, 0
	s_and_saveexec_b64 s[0:1], s[12:13]
	s_cbranch_execz .LBB107_677
; %bb.676:
	v_lshlrev_b32_e32 v27, 2, v0
	ds_read_b32 v27, v27 offset:8584
	ds_read_b32 v26, v26 offset:8324
	s_waitcnt lgkmcnt(0)
	v_fmac_f32_e32 v25, v27, v26
.LBB107_677:
	s_or_b64 exec, exec, s[0:1]
	v_xor_b32_e32 v25, 0x80000000, v25
.LBB107_678:
	s_or_b64 exec, exec, s[14:15]
	s_and_saveexec_b64 s[0:1], s[40:41]
	s_cbranch_execz .LBB107_680
; %bb.679:
	v_mov_b32_e32 v26, 0
	ds_read_b32 v26, v26 offset:8840
	s_waitcnt lgkmcnt(0)
	v_mul_f32_e32 v25, v25, v26
	ds_write_b32 v3, v25
.LBB107_680:
	s_or_b64 exec, exec, s[0:1]
	s_waitcnt lgkmcnt(0)
	s_barrier
	s_and_saveexec_b64 s[0:1], s[38:39]
	s_cbranch_execz .LBB107_682
; %bb.681:
	v_mov_b32_e32 v26, 0
	ds_read_b32 v26, v26 offset:8844
	ds_read_b32 v27, v3
	s_waitcnt lgkmcnt(0)
	v_fmac_f32_e32 v25, v26, v27
.LBB107_682:
	s_or_b64 exec, exec, s[0:1]
	s_barrier
	s_and_saveexec_b64 s[0:1], s[38:39]
	s_cbranch_execz .LBB107_684
; %bb.683:
	v_mov_b32_e32 v26, 0
	ds_read_b32 v26, v26 offset:9100
	s_waitcnt lgkmcnt(0)
	v_mul_f32_e32 v25, v25, v26
	ds_write_b32 v3, v25
.LBB107_684:
	s_or_b64 exec, exec, s[0:1]
	s_waitcnt lgkmcnt(0)
	s_barrier
	s_barrier
	s_and_saveexec_b64 s[0:1], s[2:3]
; %bb.685:
	v_xor_b32_e32 v25, 0x80000000, v25
	ds_write_b32 v1, v25 offset:8328
; %bb.686:
	s_or_b64 exec, exec, s[0:1]
	s_waitcnt lgkmcnt(0)
	s_barrier
	s_barrier
	s_and_saveexec_b64 s[0:1], s[42:43]
	s_cbranch_execz .LBB107_688
; %bb.687:
	v_lshlrev_b32_e32 v25, 2, v0
	s_movk_i32 s12, 0xfc
	v_mad_u32_u24 v26, v0, s12, v25
	ds_read_b32 v27, v26 offset:8328
	s_waitcnt lgkmcnt(0)
	ds_write_b32 v25, v27 offset:8832
	ds_read_b32 v26, v26 offset:8332
	s_waitcnt lgkmcnt(0)
	ds_write_b32 v25, v26 offset:9088
.LBB107_688:
	s_or_b64 exec, exec, s[0:1]
	s_waitcnt lgkmcnt(0)
	s_barrier
	s_and_saveexec_b64 s[12:13], vcc
	s_cbranch_execz .LBB107_690
; %bb.689:
	v_mov_b32_e32 v27, 0
	ds_read_b64 v[25:26], v27 offset:8840
	ds_read_b32 v27, v27 offset:9100
	s_movk_i32 s0, 0x2000
	s_waitcnt lgkmcnt(0)
	v_mul_f32_e32 v25, v25, v27
	v_mul_f32_e32 v25, v26, v25
	v_add_u32_e64 v26, s0, 0
	ds_write2_b32 v26, v25, v25 offset0:163 offset1:226
.LBB107_690:
	s_or_b64 exec, exec, s[12:13]
	v_mov_b32_e32 v25, 0
	s_waitcnt lgkmcnt(0)
	s_barrier
	s_and_saveexec_b64 s[14:15], s[18:19]
	s_cbranch_execz .LBB107_696
; %bb.691:
	v_mul_u32_u24_e32 v26, 0x104, v14
	ds_read_b32 v25, v6 offset:8336
	ds_read_b32 v27, v26 offset:8320
	v_cmp_gt_u32_e64 s[12:13], 12, v4
	s_waitcnt lgkmcnt(0)
	v_fma_f32 v25, v25, v27, 0
	s_and_saveexec_b64 s[16:17], s[12:13]
	s_cbranch_execnz .LBB107_1231
; %bb.692:
	s_or_b64 exec, exec, s[16:17]
	v_cmp_gt_u32_e64 s[12:13], 8, v4
	s_and_saveexec_b64 s[0:1], s[12:13]
	s_cbranch_execnz .LBB107_1232
.LBB107_693:
	s_or_b64 exec, exec, s[0:1]
	v_cmp_gt_u32_e64 s[12:13], 4, v4
	s_and_saveexec_b64 s[0:1], s[12:13]
	s_cbranch_execz .LBB107_695
.LBB107_694:
	v_lshlrev_b32_e32 v26, 2, v0
	v_mov_b32_e32 v27, 0
	ds_read_b32 v26, v26 offset:9104
	ds_read_b32 v27, v27 offset:8332
	s_waitcnt lgkmcnt(0)
	v_fmac_f32_e32 v25, v26, v27
.LBB107_695:
	s_or_b64 exec, exec, s[0:1]
	v_xor_b32_e32 v25, 0x80000000, v25
.LBB107_696:
	s_or_b64 exec, exec, s[14:15]
	s_and_saveexec_b64 s[0:1], s[46:47]
	s_cbranch_execz .LBB107_698
; %bb.697:
	v_mov_b32_e32 v26, 0
	ds_read_b32 v26, v26 offset:9360
	s_waitcnt lgkmcnt(0)
	v_mul_f32_e32 v25, v25, v26
	ds_write_b32 v12, v25
.LBB107_698:
	s_or_b64 exec, exec, s[0:1]
	s_waitcnt lgkmcnt(0)
	s_barrier
	s_and_saveexec_b64 s[0:1], s[48:49]
	s_cbranch_execz .LBB107_700
; %bb.699:
	ds_read_b32 v26, v11 offset:9360
	ds_read_b32 v27, v12
	s_waitcnt lgkmcnt(0)
	v_fmac_f32_e32 v25, v26, v27
.LBB107_700:
	s_or_b64 exec, exec, s[0:1]
	s_barrier
	s_and_saveexec_b64 s[0:1], s[50:51]
	s_cbranch_execz .LBB107_702
; %bb.701:
	v_mov_b32_e32 v26, 0
	ds_read_b32 v26, v26 offset:9620
	s_waitcnt lgkmcnt(0)
	v_mul_f32_e32 v25, v25, v26
	ds_write_b32 v12, v25
.LBB107_702:
	s_or_b64 exec, exec, s[0:1]
	s_waitcnt lgkmcnt(0)
	s_barrier
	s_and_saveexec_b64 s[0:1], s[52:53]
	s_cbranch_execz .LBB107_704
; %bb.703:
	ds_read_b32 v26, v11 offset:9616
	ds_read_b32 v27, v12
	s_waitcnt lgkmcnt(0)
	v_fmac_f32_e32 v25, v26, v27
.LBB107_704:
	s_or_b64 exec, exec, s[0:1]
	s_barrier
	s_and_saveexec_b64 s[0:1], s[54:55]
	s_cbranch_execz .LBB107_706
; %bb.705:
	v_mov_b32_e32 v26, 0
	ds_read_b32 v26, v26 offset:9880
	s_waitcnt lgkmcnt(0)
	v_mul_f32_e32 v25, v25, v26
	ds_write_b32 v12, v25
.LBB107_706:
	s_or_b64 exec, exec, s[0:1]
	s_waitcnt lgkmcnt(0)
	s_barrier
	s_and_saveexec_b64 s[0:1], s[44:45]
	s_cbranch_execz .LBB107_708
; %bb.707:
	v_mov_b32_e32 v26, 0
	ds_read_b32 v26, v26 offset:9884
	ds_read_b32 v27, v12
	s_waitcnt lgkmcnt(0)
	v_fmac_f32_e32 v25, v26, v27
.LBB107_708:
	s_or_b64 exec, exec, s[0:1]
	s_barrier
	s_and_saveexec_b64 s[0:1], s[44:45]
	s_cbranch_execz .LBB107_710
; %bb.709:
	v_mov_b32_e32 v26, 0
	ds_read_b32 v26, v26 offset:10140
	s_waitcnt lgkmcnt(0)
	v_mul_f32_e32 v25, v25, v26
	ds_write_b32 v12, v25
.LBB107_710:
	s_or_b64 exec, exec, s[0:1]
	s_waitcnt lgkmcnt(0)
	s_barrier
	s_barrier
	s_and_saveexec_b64 s[0:1], s[18:19]
; %bb.711:
	v_xor_b32_e32 v25, 0x80000000, v25
	ds_write_b32 v6, v25 offset:8336
; %bb.712:
	s_or_b64 exec, exec, s[0:1]
	s_waitcnt lgkmcnt(0)
	s_barrier
	s_barrier
	s_and_saveexec_b64 s[12:13], s[56:57]
	s_cbranch_execz .LBB107_714
; %bb.713:
	v_lshlrev_b32_e32 v25, 8, v0
	ds_read_b32 v26, v25 offset:8336
	s_movk_i32 s0, 0xff04
	v_mad_i32_i24 v27, v0, s0, v25
	s_waitcnt lgkmcnt(0)
	ds_write_b32 v27, v26 offset:9344
	ds_read_b32 v26, v25 offset:8340
	s_waitcnt lgkmcnt(0)
	ds_write_b32 v27, v26 offset:9600
	ds_read_b32 v26, v25 offset:8344
	;; [unrolled: 3-line block ×3, first 2 shown]
	s_waitcnt lgkmcnt(0)
	ds_write_b32 v27, v25 offset:10112
.LBB107_714:
	s_or_b64 exec, exec, s[12:13]
	s_waitcnt lgkmcnt(0)
	s_barrier
	s_and_saveexec_b64 s[12:13], vcc
	s_cbranch_execz .LBB107_716
; %bb.715:
	v_mov_b32_e32 v27, 0
	ds_read_b64 v[25:26], v27 offset:9360
	ds_read_b32 v27, v27 offset:9620
	s_movk_i32 s0, 0x2400
	s_waitcnt lgkmcnt(0)
	v_mul_f32_e32 v25, v25, v27
	v_mul_f32_e32 v25, v26, v25
	v_add_u32_e64 v26, s0, 0
	ds_write2_b32 v26, v25, v25 offset0:37 offset1:100
.LBB107_716:
	s_or_b64 exec, exec, s[12:13]
	v_mov_b32_e32 v25, 0
	s_waitcnt lgkmcnt(0)
	s_barrier
	s_and_saveexec_b64 s[14:15], s[2:3]
	s_cbranch_execz .LBB107_720
; %bb.717:
	v_mul_u32_u24_e32 v25, 0x104, v5
	ds_read_b32 v27, v1 offset:9368
	ds_read_b32 v25, v25 offset:9360
	v_mov_b32_e32 v26, 0
	v_cmp_gt_u32_e64 s[12:13], 2, v4
	s_waitcnt lgkmcnt(0)
	v_fma_f32 v25, v27, v25, 0
	s_and_saveexec_b64 s[0:1], s[12:13]
	s_cbranch_execz .LBB107_719
; %bb.718:
	v_lshlrev_b32_e32 v27, 2, v0
	ds_read_b32 v27, v27 offset:9624
	ds_read_b32 v26, v26 offset:9364
	s_waitcnt lgkmcnt(0)
	v_fmac_f32_e32 v25, v27, v26
.LBB107_719:
	s_or_b64 exec, exec, s[0:1]
	v_xor_b32_e32 v25, 0x80000000, v25
.LBB107_720:
	s_or_b64 exec, exec, s[14:15]
	s_and_saveexec_b64 s[0:1], s[40:41]
	s_cbranch_execz .LBB107_722
; %bb.721:
	v_mov_b32_e32 v26, 0
	ds_read_b32 v26, v26 offset:9880
	s_waitcnt lgkmcnt(0)
	v_mul_f32_e32 v25, v25, v26
	ds_write_b32 v3, v25
.LBB107_722:
	s_or_b64 exec, exec, s[0:1]
	s_waitcnt lgkmcnt(0)
	s_barrier
	s_and_saveexec_b64 s[0:1], s[38:39]
	s_cbranch_execz .LBB107_724
; %bb.723:
	v_mov_b32_e32 v26, 0
	ds_read_b32 v26, v26 offset:9884
	ds_read_b32 v27, v3
	s_waitcnt lgkmcnt(0)
	v_fmac_f32_e32 v25, v26, v27
.LBB107_724:
	s_or_b64 exec, exec, s[0:1]
	s_barrier
	s_and_saveexec_b64 s[0:1], s[38:39]
	s_cbranch_execz .LBB107_726
; %bb.725:
	v_mov_b32_e32 v26, 0
	ds_read_b32 v26, v26 offset:10140
	s_waitcnt lgkmcnt(0)
	v_mul_f32_e32 v25, v25, v26
	ds_write_b32 v3, v25
.LBB107_726:
	s_or_b64 exec, exec, s[0:1]
	s_waitcnt lgkmcnt(0)
	s_barrier
	s_barrier
	s_and_saveexec_b64 s[0:1], s[2:3]
; %bb.727:
	v_xor_b32_e32 v25, 0x80000000, v25
	ds_write_b32 v1, v25 offset:9368
; %bb.728:
	s_or_b64 exec, exec, s[0:1]
	s_waitcnt lgkmcnt(0)
	s_barrier
	s_barrier
	s_and_saveexec_b64 s[0:1], s[42:43]
	s_cbranch_execz .LBB107_730
; %bb.729:
	v_lshlrev_b32_e32 v25, 2, v0
	s_movk_i32 s12, 0xfc
	v_mad_u32_u24 v26, v0, s12, v25
	ds_read_b32 v27, v26 offset:9368
	s_waitcnt lgkmcnt(0)
	ds_write_b32 v25, v27 offset:9872
	ds_read_b32 v26, v26 offset:9372
	s_waitcnt lgkmcnt(0)
	ds_write_b32 v25, v26 offset:10128
.LBB107_730:
	s_or_b64 exec, exec, s[0:1]
	s_waitcnt lgkmcnt(0)
	s_barrier
	s_and_saveexec_b64 s[12:13], vcc
	s_cbranch_execz .LBB107_732
; %bb.731:
	v_mov_b32_e32 v27, 0
	ds_read_b64 v[25:26], v27 offset:9880
	ds_read_b32 v27, v27 offset:10140
	s_movk_i32 s0, 0x2400
	s_waitcnt lgkmcnt(0)
	v_mul_f32_e32 v25, v25, v27
	v_mul_f32_e32 v25, v26, v25
	v_add_u32_e64 v26, s0, 0
	ds_write2_b32 v26, v25, v25 offset0:167 offset1:230
.LBB107_732:
	s_or_b64 exec, exec, s[12:13]
	v_mov_b32_e32 v25, 0
	s_waitcnt lgkmcnt(0)
	s_barrier
	s_and_saveexec_b64 s[14:15], s[8:9]
	s_cbranch_execz .LBB107_742
; %bb.733:
	v_mul_u32_u24_e32 v26, 0x104, v19
	ds_read_b32 v25, v15 offset:8352
	ds_read_b32 v27, v26 offset:8320
	v_cmp_gt_u32_e64 s[12:13], 56, v4
	s_waitcnt lgkmcnt(0)
	v_fma_f32 v25, v25, v27, 0
	s_and_saveexec_b64 s[16:17], s[12:13]
	s_cbranch_execnz .LBB107_1233
; %bb.734:
	s_or_b64 exec, exec, s[16:17]
	v_cmp_gt_u32_e64 s[12:13], 48, v4
	s_and_saveexec_b64 s[0:1], s[12:13]
	s_cbranch_execnz .LBB107_1234
.LBB107_735:
	s_or_b64 exec, exec, s[0:1]
	v_cmp_gt_u32_e64 s[12:13], 40, v4
	s_and_saveexec_b64 s[0:1], s[12:13]
	s_cbranch_execnz .LBB107_1235
.LBB107_736:
	s_or_b64 exec, exec, s[0:1]
	v_cmp_gt_u32_e64 s[12:13], 32, v4
	s_and_saveexec_b64 s[0:1], s[12:13]
	s_cbranch_execnz .LBB107_1236
.LBB107_737:
	s_or_b64 exec, exec, s[0:1]
	v_cmp_gt_u32_e64 s[12:13], 24, v4
	s_and_saveexec_b64 s[0:1], s[12:13]
	s_cbranch_execnz .LBB107_1237
.LBB107_738:
	s_or_b64 exec, exec, s[0:1]
	v_cmp_gt_u32_e64 s[12:13], 16, v4
	s_and_saveexec_b64 s[0:1], s[12:13]
	s_cbranch_execnz .LBB107_1238
.LBB107_739:
	s_or_b64 exec, exec, s[0:1]
	v_cmp_gt_u32_e64 s[12:13], 8, v4
	s_and_saveexec_b64 s[0:1], s[12:13]
	s_cbranch_execz .LBB107_741
.LBB107_740:
	v_lshlrev_b32_e32 v26, 2, v0
	v_mov_b32_e32 v27, 0
	ds_read_b32 v26, v26 offset:10144
	ds_read_b32 v27, v27 offset:8348
	s_waitcnt lgkmcnt(0)
	v_fmac_f32_e32 v25, v26, v27
.LBB107_741:
	s_or_b64 exec, exec, s[0:1]
	v_xor_b32_e32 v25, 0x80000000, v25
.LBB107_742:
	s_or_b64 exec, exec, s[14:15]
	s_and_saveexec_b64 s[0:1], s[58:59]
	s_cbranch_execz .LBB107_744
; %bb.743:
	v_mov_b32_e32 v26, 0
	ds_read_b32 v26, v26 offset:10400
	s_waitcnt lgkmcnt(0)
	v_mul_f32_e32 v25, v25, v26
	ds_write_b32 v17, v25
.LBB107_744:
	s_or_b64 exec, exec, s[0:1]
	s_waitcnt lgkmcnt(0)
	s_barrier
	s_and_saveexec_b64 s[0:1], s[60:61]
	s_cbranch_execz .LBB107_746
; %bb.745:
	ds_read_b32 v26, v16 offset:10400
	ds_read_b32 v27, v17
	s_waitcnt lgkmcnt(0)
	v_fmac_f32_e32 v25, v26, v27
.LBB107_746:
	s_or_b64 exec, exec, s[0:1]
	s_barrier
	s_and_saveexec_b64 s[0:1], s[62:63]
	s_cbranch_execz .LBB107_748
; %bb.747:
	v_mov_b32_e32 v26, 0
	ds_read_b32 v26, v26 offset:10660
	s_waitcnt lgkmcnt(0)
	v_mul_f32_e32 v25, v25, v26
	ds_write_b32 v17, v25
.LBB107_748:
	s_or_b64 exec, exec, s[0:1]
	s_waitcnt lgkmcnt(0)
	s_barrier
	s_and_saveexec_b64 s[0:1], s[64:65]
	s_cbranch_execz .LBB107_750
; %bb.749:
	ds_read_b32 v26, v16 offset:10656
	ds_read_b32 v27, v17
	s_waitcnt lgkmcnt(0)
	v_fmac_f32_e32 v25, v26, v27
.LBB107_750:
	s_or_b64 exec, exec, s[0:1]
	s_barrier
	;; [unrolled: 22-line block ×6, first 2 shown]
	s_and_saveexec_b64 s[0:1], s[84:85]
	s_cbranch_execz .LBB107_768
; %bb.767:
	v_mov_b32_e32 v26, 0
	ds_read_b32 v26, v26 offset:11960
	s_waitcnt lgkmcnt(0)
	v_mul_f32_e32 v25, v25, v26
	ds_write_b32 v17, v25
.LBB107_768:
	s_or_b64 exec, exec, s[0:1]
	s_waitcnt lgkmcnt(0)
	s_barrier
	s_and_saveexec_b64 s[0:1], s[66:67]
	s_cbranch_execz .LBB107_770
; %bb.769:
	v_mov_b32_e32 v26, 0
	ds_read_b32 v26, v26 offset:11964
	ds_read_b32 v27, v17
	s_waitcnt lgkmcnt(0)
	v_fmac_f32_e32 v25, v26, v27
.LBB107_770:
	s_or_b64 exec, exec, s[0:1]
	s_barrier
	s_and_saveexec_b64 s[0:1], s[66:67]
	s_cbranch_execz .LBB107_772
; %bb.771:
	v_mov_b32_e32 v26, 0
	ds_read_b32 v26, v26 offset:12220
	s_waitcnt lgkmcnt(0)
	v_mul_f32_e32 v25, v25, v26
	ds_write_b32 v17, v25
.LBB107_772:
	s_or_b64 exec, exec, s[0:1]
	s_waitcnt lgkmcnt(0)
	s_barrier
	s_barrier
	s_and_saveexec_b64 s[0:1], s[8:9]
; %bb.773:
	v_xor_b32_e32 v25, 0x80000000, v25
	ds_write_b32 v15, v25 offset:8352
; %bb.774:
	s_or_b64 exec, exec, s[0:1]
	s_waitcnt lgkmcnt(0)
	s_barrier
	s_barrier
	s_and_saveexec_b64 s[12:13], s[86:87]
	s_cbranch_execz .LBB107_776
; %bb.775:
	v_lshlrev_b32_e32 v25, 8, v0
	ds_read_b32 v26, v25 offset:8352
	s_movk_i32 s0, 0xff04
	v_mad_i32_i24 v27, v0, s0, v25
	s_waitcnt lgkmcnt(0)
	ds_write_b32 v27, v26 offset:10368
	ds_read_b32 v26, v25 offset:8356
	s_waitcnt lgkmcnt(0)
	ds_write_b32 v27, v26 offset:10624
	ds_read_b32 v26, v25 offset:8360
	;; [unrolled: 3-line block ×7, first 2 shown]
	s_waitcnt lgkmcnt(0)
	ds_write_b32 v27, v25 offset:12160
.LBB107_776:
	s_or_b64 exec, exec, s[12:13]
	s_waitcnt lgkmcnt(0)
	s_barrier
	s_and_saveexec_b64 s[12:13], vcc
	s_cbranch_execz .LBB107_778
; %bb.777:
	v_mov_b32_e32 v27, 0
	ds_read_b64 v[25:26], v27 offset:10400
	ds_read_b32 v27, v27 offset:10660
	s_movk_i32 s0, 0x2800
	s_waitcnt lgkmcnt(0)
	v_mul_f32_e32 v25, v25, v27
	v_mul_f32_e32 v25, v26, v25
	v_add_u32_e64 v26, s0, 0
	ds_write2_b32 v26, v25, v25 offset0:41 offset1:104
.LBB107_778:
	s_or_b64 exec, exec, s[12:13]
	v_mov_b32_e32 v25, 0
	s_waitcnt lgkmcnt(0)
	s_barrier
	s_and_saveexec_b64 s[14:15], s[2:3]
	s_cbranch_execz .LBB107_782
; %bb.779:
	v_mul_u32_u24_e32 v25, 0x104, v5
	ds_read_b32 v27, v1 offset:10408
	ds_read_b32 v25, v25 offset:10400
	v_mov_b32_e32 v26, 0
	v_cmp_gt_u32_e64 s[12:13], 2, v4
	s_waitcnt lgkmcnt(0)
	v_fma_f32 v25, v27, v25, 0
	s_and_saveexec_b64 s[0:1], s[12:13]
	s_cbranch_execz .LBB107_781
; %bb.780:
	v_lshlrev_b32_e32 v27, 2, v0
	ds_read_b32 v27, v27 offset:10664
	ds_read_b32 v26, v26 offset:10404
	s_waitcnt lgkmcnt(0)
	v_fmac_f32_e32 v25, v27, v26
.LBB107_781:
	s_or_b64 exec, exec, s[0:1]
	v_xor_b32_e32 v25, 0x80000000, v25
.LBB107_782:
	s_or_b64 exec, exec, s[14:15]
	s_and_saveexec_b64 s[0:1], s[40:41]
	s_cbranch_execz .LBB107_784
; %bb.783:
	v_mov_b32_e32 v26, 0
	ds_read_b32 v26, v26 offset:10920
	s_waitcnt lgkmcnt(0)
	v_mul_f32_e32 v25, v25, v26
	ds_write_b32 v3, v25
.LBB107_784:
	s_or_b64 exec, exec, s[0:1]
	s_waitcnt lgkmcnt(0)
	s_barrier
	s_and_saveexec_b64 s[0:1], s[38:39]
	s_cbranch_execz .LBB107_786
; %bb.785:
	v_mov_b32_e32 v26, 0
	ds_read_b32 v26, v26 offset:10924
	ds_read_b32 v27, v3
	s_waitcnt lgkmcnt(0)
	v_fmac_f32_e32 v25, v26, v27
.LBB107_786:
	s_or_b64 exec, exec, s[0:1]
	s_barrier
	s_and_saveexec_b64 s[0:1], s[38:39]
	s_cbranch_execz .LBB107_788
; %bb.787:
	v_mov_b32_e32 v26, 0
	ds_read_b32 v26, v26 offset:11180
	s_waitcnt lgkmcnt(0)
	v_mul_f32_e32 v25, v25, v26
	ds_write_b32 v3, v25
.LBB107_788:
	s_or_b64 exec, exec, s[0:1]
	s_waitcnt lgkmcnt(0)
	s_barrier
	s_barrier
	s_and_saveexec_b64 s[0:1], s[2:3]
; %bb.789:
	v_xor_b32_e32 v25, 0x80000000, v25
	ds_write_b32 v1, v25 offset:10408
; %bb.790:
	s_or_b64 exec, exec, s[0:1]
	s_waitcnt lgkmcnt(0)
	s_barrier
	s_barrier
	s_and_saveexec_b64 s[0:1], s[42:43]
	s_cbranch_execz .LBB107_792
; %bb.791:
	v_lshlrev_b32_e32 v25, 2, v0
	s_movk_i32 s12, 0xfc
	v_mad_u32_u24 v26, v0, s12, v25
	ds_read_b32 v27, v26 offset:10408
	s_waitcnt lgkmcnt(0)
	ds_write_b32 v25, v27 offset:10912
	ds_read_b32 v26, v26 offset:10412
	s_waitcnt lgkmcnt(0)
	ds_write_b32 v25, v26 offset:11168
.LBB107_792:
	s_or_b64 exec, exec, s[0:1]
	s_waitcnt lgkmcnt(0)
	s_barrier
	s_and_saveexec_b64 s[12:13], vcc
	s_cbranch_execz .LBB107_794
; %bb.793:
	v_mov_b32_e32 v27, 0
	ds_read_b64 v[25:26], v27 offset:10920
	ds_read_b32 v27, v27 offset:11180
	s_movk_i32 s0, 0x2800
	s_waitcnt lgkmcnt(0)
	v_mul_f32_e32 v25, v25, v27
	v_mul_f32_e32 v25, v26, v25
	v_add_u32_e64 v26, s0, 0
	ds_write2_b32 v26, v25, v25 offset0:171 offset1:234
.LBB107_794:
	s_or_b64 exec, exec, s[12:13]
	v_mov_b32_e32 v25, 0
	s_waitcnt lgkmcnt(0)
	s_barrier
	s_and_saveexec_b64 s[14:15], s[18:19]
	s_cbranch_execz .LBB107_800
; %bb.795:
	v_mul_u32_u24_e32 v26, 0x104, v14
	ds_read_b32 v25, v6 offset:10416
	ds_read_b32 v27, v26 offset:10400
	v_cmp_gt_u32_e64 s[12:13], 12, v4
	s_waitcnt lgkmcnt(0)
	v_fma_f32 v25, v25, v27, 0
	s_and_saveexec_b64 s[16:17], s[12:13]
	s_cbranch_execnz .LBB107_1239
; %bb.796:
	s_or_b64 exec, exec, s[16:17]
	v_cmp_gt_u32_e64 s[12:13], 8, v4
	s_and_saveexec_b64 s[0:1], s[12:13]
	s_cbranch_execnz .LBB107_1240
.LBB107_797:
	s_or_b64 exec, exec, s[0:1]
	v_cmp_gt_u32_e64 s[12:13], 4, v4
	s_and_saveexec_b64 s[0:1], s[12:13]
	s_cbranch_execz .LBB107_799
.LBB107_798:
	v_lshlrev_b32_e32 v26, 2, v0
	v_mov_b32_e32 v27, 0
	ds_read_b32 v26, v26 offset:11184
	ds_read_b32 v27, v27 offset:10412
	s_waitcnt lgkmcnt(0)
	v_fmac_f32_e32 v25, v26, v27
.LBB107_799:
	s_or_b64 exec, exec, s[0:1]
	v_xor_b32_e32 v25, 0x80000000, v25
.LBB107_800:
	s_or_b64 exec, exec, s[14:15]
	s_and_saveexec_b64 s[0:1], s[46:47]
	s_cbranch_execz .LBB107_802
; %bb.801:
	v_mov_b32_e32 v26, 0
	ds_read_b32 v26, v26 offset:11440
	s_waitcnt lgkmcnt(0)
	v_mul_f32_e32 v25, v25, v26
	ds_write_b32 v12, v25
.LBB107_802:
	s_or_b64 exec, exec, s[0:1]
	s_waitcnt lgkmcnt(0)
	s_barrier
	s_and_saveexec_b64 s[0:1], s[48:49]
	s_cbranch_execz .LBB107_804
; %bb.803:
	ds_read_b32 v26, v11 offset:11440
	ds_read_b32 v27, v12
	s_waitcnt lgkmcnt(0)
	v_fmac_f32_e32 v25, v26, v27
.LBB107_804:
	s_or_b64 exec, exec, s[0:1]
	s_barrier
	s_and_saveexec_b64 s[0:1], s[50:51]
	s_cbranch_execz .LBB107_806
; %bb.805:
	v_mov_b32_e32 v26, 0
	ds_read_b32 v26, v26 offset:11700
	s_waitcnt lgkmcnt(0)
	v_mul_f32_e32 v25, v25, v26
	ds_write_b32 v12, v25
.LBB107_806:
	s_or_b64 exec, exec, s[0:1]
	s_waitcnt lgkmcnt(0)
	s_barrier
	s_and_saveexec_b64 s[0:1], s[52:53]
	s_cbranch_execz .LBB107_808
; %bb.807:
	ds_read_b32 v26, v11 offset:11696
	ds_read_b32 v27, v12
	s_waitcnt lgkmcnt(0)
	v_fmac_f32_e32 v25, v26, v27
.LBB107_808:
	s_or_b64 exec, exec, s[0:1]
	s_barrier
	s_and_saveexec_b64 s[0:1], s[54:55]
	s_cbranch_execz .LBB107_810
; %bb.809:
	v_mov_b32_e32 v26, 0
	ds_read_b32 v26, v26 offset:11960
	s_waitcnt lgkmcnt(0)
	v_mul_f32_e32 v25, v25, v26
	ds_write_b32 v12, v25
.LBB107_810:
	s_or_b64 exec, exec, s[0:1]
	s_waitcnt lgkmcnt(0)
	s_barrier
	s_and_saveexec_b64 s[0:1], s[44:45]
	s_cbranch_execz .LBB107_812
; %bb.811:
	v_mov_b32_e32 v26, 0
	ds_read_b32 v26, v26 offset:11964
	ds_read_b32 v27, v12
	s_waitcnt lgkmcnt(0)
	v_fmac_f32_e32 v25, v26, v27
.LBB107_812:
	s_or_b64 exec, exec, s[0:1]
	s_barrier
	s_and_saveexec_b64 s[0:1], s[44:45]
	s_cbranch_execz .LBB107_814
; %bb.813:
	v_mov_b32_e32 v26, 0
	ds_read_b32 v26, v26 offset:12220
	s_waitcnt lgkmcnt(0)
	v_mul_f32_e32 v25, v25, v26
	ds_write_b32 v12, v25
.LBB107_814:
	s_or_b64 exec, exec, s[0:1]
	s_waitcnt lgkmcnt(0)
	s_barrier
	s_barrier
	s_and_saveexec_b64 s[0:1], s[18:19]
; %bb.815:
	v_xor_b32_e32 v25, 0x80000000, v25
	ds_write_b32 v6, v25 offset:10416
; %bb.816:
	s_or_b64 exec, exec, s[0:1]
	s_waitcnt lgkmcnt(0)
	s_barrier
	s_barrier
	s_and_saveexec_b64 s[12:13], s[56:57]
	s_cbranch_execz .LBB107_818
; %bb.817:
	v_lshlrev_b32_e32 v25, 8, v0
	ds_read_b32 v26, v25 offset:10416
	s_movk_i32 s0, 0xff04
	v_mad_i32_i24 v27, v0, s0, v25
	s_waitcnt lgkmcnt(0)
	ds_write_b32 v27, v26 offset:11424
	ds_read_b32 v26, v25 offset:10420
	s_waitcnt lgkmcnt(0)
	ds_write_b32 v27, v26 offset:11680
	ds_read_b32 v26, v25 offset:10424
	;; [unrolled: 3-line block ×3, first 2 shown]
	s_waitcnt lgkmcnt(0)
	ds_write_b32 v27, v25 offset:12192
.LBB107_818:
	s_or_b64 exec, exec, s[12:13]
	s_waitcnt lgkmcnt(0)
	s_barrier
	s_and_saveexec_b64 s[12:13], vcc
	s_cbranch_execz .LBB107_820
; %bb.819:
	v_mov_b32_e32 v27, 0
	ds_read_b64 v[25:26], v27 offset:11440
	ds_read_b32 v27, v27 offset:11700
	s_movk_i32 s0, 0x2c00
	s_waitcnt lgkmcnt(0)
	v_mul_f32_e32 v25, v25, v27
	v_mul_f32_e32 v25, v26, v25
	v_add_u32_e64 v26, s0, 0
	ds_write2_b32 v26, v25, v25 offset0:45 offset1:108
.LBB107_820:
	s_or_b64 exec, exec, s[12:13]
	v_mov_b32_e32 v25, 0
	s_waitcnt lgkmcnt(0)
	s_barrier
	s_and_saveexec_b64 s[14:15], s[2:3]
	s_cbranch_execz .LBB107_824
; %bb.821:
	v_mul_u32_u24_e32 v25, 0x104, v5
	ds_read_b32 v27, v1 offset:11448
	ds_read_b32 v25, v25 offset:11440
	v_mov_b32_e32 v26, 0
	v_cmp_gt_u32_e64 s[12:13], 2, v4
	s_waitcnt lgkmcnt(0)
	v_fma_f32 v25, v27, v25, 0
	s_and_saveexec_b64 s[0:1], s[12:13]
	s_cbranch_execz .LBB107_823
; %bb.822:
	v_lshlrev_b32_e32 v27, 2, v0
	ds_read_b32 v27, v27 offset:11704
	ds_read_b32 v26, v26 offset:11444
	s_waitcnt lgkmcnt(0)
	v_fmac_f32_e32 v25, v27, v26
.LBB107_823:
	s_or_b64 exec, exec, s[0:1]
	v_xor_b32_e32 v25, 0x80000000, v25
.LBB107_824:
	s_or_b64 exec, exec, s[14:15]
	s_and_saveexec_b64 s[0:1], s[40:41]
	s_cbranch_execz .LBB107_826
; %bb.825:
	v_mov_b32_e32 v26, 0
	ds_read_b32 v26, v26 offset:11960
	s_waitcnt lgkmcnt(0)
	v_mul_f32_e32 v25, v25, v26
	ds_write_b32 v3, v25
.LBB107_826:
	s_or_b64 exec, exec, s[0:1]
	s_waitcnt lgkmcnt(0)
	s_barrier
	s_and_saveexec_b64 s[0:1], s[38:39]
	s_cbranch_execz .LBB107_828
; %bb.827:
	v_mov_b32_e32 v26, 0
	ds_read_b32 v26, v26 offset:11964
	ds_read_b32 v27, v3
	s_waitcnt lgkmcnt(0)
	v_fmac_f32_e32 v25, v26, v27
.LBB107_828:
	s_or_b64 exec, exec, s[0:1]
	s_barrier
	s_and_saveexec_b64 s[0:1], s[38:39]
	s_cbranch_execz .LBB107_830
; %bb.829:
	v_mov_b32_e32 v26, 0
	ds_read_b32 v26, v26 offset:12220
	s_waitcnt lgkmcnt(0)
	v_mul_f32_e32 v25, v25, v26
	ds_write_b32 v3, v25
.LBB107_830:
	s_or_b64 exec, exec, s[0:1]
	s_waitcnt lgkmcnt(0)
	s_barrier
	s_barrier
	s_and_saveexec_b64 s[0:1], s[2:3]
; %bb.831:
	v_xor_b32_e32 v25, 0x80000000, v25
	ds_write_b32 v1, v25 offset:11448
; %bb.832:
	s_or_b64 exec, exec, s[0:1]
	s_waitcnt lgkmcnt(0)
	s_barrier
	s_barrier
	s_and_saveexec_b64 s[0:1], s[42:43]
	s_cbranch_execz .LBB107_834
; %bb.833:
	v_lshlrev_b32_e32 v25, 2, v0
	s_movk_i32 s12, 0xfc
	v_mad_u32_u24 v26, v0, s12, v25
	ds_read_b32 v27, v26 offset:11448
	s_waitcnt lgkmcnt(0)
	ds_write_b32 v25, v27 offset:11952
	ds_read_b32 v26, v26 offset:11452
	s_waitcnt lgkmcnt(0)
	ds_write_b32 v25, v26 offset:12208
.LBB107_834:
	s_or_b64 exec, exec, s[0:1]
	s_waitcnt lgkmcnt(0)
	s_barrier
	s_and_saveexec_b64 s[12:13], vcc
	s_cbranch_execz .LBB107_836
; %bb.835:
	v_mov_b32_e32 v27, 0
	ds_read_b64 v[25:26], v27 offset:11960
	ds_read_b32 v27, v27 offset:12220
	s_movk_i32 s0, 0x2c00
	s_waitcnt lgkmcnt(0)
	v_mul_f32_e32 v25, v25, v27
	v_mul_f32_e32 v25, v26, v25
	v_add_u32_e64 v26, s0, 0
	ds_write2_b32 v26, v25, v25 offset0:175 offset1:238
.LBB107_836:
	s_or_b64 exec, exec, s[12:13]
	v_mov_b32_e32 v25, 0
	s_waitcnt lgkmcnt(0)
	s_barrier
	s_and_saveexec_b64 s[14:15], s[10:11]
	s_cbranch_execz .LBB107_864
; %bb.837:
	v_mul_u32_u24_e32 v26, 0x104, v24
	ds_read_b32 v25, v20 offset:8384
	ds_read_b32 v27, v26 offset:8320
	s_movk_i32 s0, 0xf0
	v_cmp_gt_u32_e64 s[12:13], s0, v4
	s_waitcnt lgkmcnt(0)
	v_fma_f32 v25, v25, v27, 0
	s_and_saveexec_b64 s[16:17], s[12:13]
	s_cbranch_execz .LBB107_839
; %bb.838:
	v_lshlrev_b32_e32 v27, 2, v24
	v_sub_u32_e32 v27, v26, v27
	v_lshl_add_u32 v27, v21, 2, v27
	ds_read_b32 v27, v27 offset:8640
	ds_read_b32 v28, v26 offset:8324
	s_waitcnt lgkmcnt(0)
	v_fmac_f32_e32 v25, v27, v28
.LBB107_839:
	s_or_b64 exec, exec, s[16:17]
	s_movk_i32 s0, 0xe0
	v_cmp_gt_u32_e64 s[12:13], s0, v4
	s_and_saveexec_b64 s[0:1], s[12:13]
	s_cbranch_execz .LBB107_841
; %bb.840:
	v_lshlrev_b32_e32 v27, 2, v24
	v_sub_u32_e32 v27, v26, v27
	v_lshl_add_u32 v27, v21, 2, v27
	ds_read_b32 v27, v27 offset:8896
	ds_read_b32 v28, v26 offset:8328
	s_waitcnt lgkmcnt(0)
	v_fmac_f32_e32 v25, v27, v28
.LBB107_841:
	s_or_b64 exec, exec, s[0:1]
	s_movk_i32 s0, 0xd0
	v_cmp_gt_u32_e64 s[12:13], s0, v4
	;; [unrolled: 14-line block ×7, first 2 shown]
	s_and_saveexec_b64 s[0:1], s[12:13]
	s_cbranch_execz .LBB107_853
; %bb.852:
	ds_read_b32 v24, v20 offset:10432
	ds_read_b32 v27, v26 offset:8352
	s_waitcnt lgkmcnt(0)
	v_fmac_f32_e32 v25, v24, v27
.LBB107_853:
	s_or_b64 exec, exec, s[0:1]
	s_movk_i32 s0, 0x70
	v_cmp_gt_u32_e64 s[12:13], s0, v4
	s_and_saveexec_b64 s[0:1], s[12:13]
	s_cbranch_execz .LBB107_855
; %bb.854:
	v_lshlrev_b32_e32 v24, 2, v21
	v_lshl_add_u32 v24, v23, 2, v24
	ds_read_b32 v24, v24 offset:10688
	ds_read_b32 v27, v26 offset:8356
	s_waitcnt lgkmcnt(0)
	v_fmac_f32_e32 v25, v24, v27
.LBB107_855:
	s_or_b64 exec, exec, s[0:1]
	s_movk_i32 s0, 0x60
	v_cmp_gt_u32_e64 s[12:13], s0, v4
	s_and_saveexec_b64 s[0:1], s[12:13]
	s_cbranch_execz .LBB107_857
; %bb.856:
	v_lshlrev_b32_e32 v24, 2, v21
	v_lshl_add_u32 v24, v23, 2, v24
	ds_read_b32 v24, v24 offset:10944
	ds_read_b32 v27, v26 offset:8360
	s_waitcnt lgkmcnt(0)
	v_fmac_f32_e32 v25, v24, v27
.LBB107_857:
	s_or_b64 exec, exec, s[0:1]
	s_movk_i32 s0, 0x50
	v_cmp_gt_u32_e64 s[12:13], s0, v4
	s_and_saveexec_b64 s[0:1], s[12:13]
	s_cbranch_execnz .LBB107_1241
; %bb.858:
	s_or_b64 exec, exec, s[0:1]
	v_cmp_gt_u32_e64 s[12:13], 64, v4
	s_and_saveexec_b64 s[0:1], s[12:13]
	s_cbranch_execnz .LBB107_1242
.LBB107_859:
	s_or_b64 exec, exec, s[0:1]
	v_cmp_gt_u32_e64 s[12:13], 48, v4
	s_and_saveexec_b64 s[0:1], s[12:13]
	s_cbranch_execnz .LBB107_1243
.LBB107_860:
	s_or_b64 exec, exec, s[0:1]
	v_cmp_gt_u32_e64 s[12:13], 32, v4
	s_and_saveexec_b64 s[0:1], s[12:13]
	s_cbranch_execnz .LBB107_1244
.LBB107_861:
	s_or_b64 exec, exec, s[0:1]
	v_cmp_gt_u32_e64 s[12:13], 16, v4
	s_and_saveexec_b64 s[0:1], s[12:13]
	s_cbranch_execz .LBB107_863
.LBB107_862:
	v_lshlrev_b32_e32 v23, 2, v0
	v_mov_b32_e32 v24, 0
	ds_read_b32 v23, v23 offset:12224
	ds_read_b32 v24, v24 offset:8380
	s_waitcnt lgkmcnt(0)
	v_fmac_f32_e32 v25, v23, v24
.LBB107_863:
	s_or_b64 exec, exec, s[0:1]
	v_xor_b32_e32 v25, 0x80000000, v25
.LBB107_864:
	s_or_b64 exec, exec, s[14:15]
	s_mov_b64 s[0:1], exec
	v_readlane_b32 s12, v33, 4
	v_readlane_b32 s13, v33, 5
	s_and_b64 s[12:13], s[0:1], s[12:13]
	s_mov_b64 exec, s[12:13]
	s_cbranch_execz .LBB107_866
; %bb.865:
	v_mov_b32_e32 v23, 0
	ds_read_b32 v23, v23 offset:12480
	s_waitcnt lgkmcnt(0)
	v_mul_f32_e32 v25, v25, v23
	ds_write_b32 v22, v25
.LBB107_866:
	s_or_b64 exec, exec, s[0:1]
	s_waitcnt lgkmcnt(0)
	s_barrier
	s_mov_b64 s[0:1], exec
	v_readlane_b32 s12, v33, 6
	v_readlane_b32 s13, v33, 7
	s_and_b64 s[12:13], s[0:1], s[12:13]
	s_mov_b64 exec, s[12:13]
	s_cbranch_execz .LBB107_868
; %bb.867:
	v_lshlrev_b32_e32 v23, 2, v21
	ds_read_b32 v23, v23 offset:12480
	ds_read_b32 v24, v22
	s_waitcnt lgkmcnt(0)
	v_fmac_f32_e32 v25, v23, v24
.LBB107_868:
	s_or_b64 exec, exec, s[0:1]
	s_barrier
	s_mov_b64 s[0:1], exec
	v_readlane_b32 s12, v33, 8
	v_readlane_b32 s13, v33, 9
	s_and_b64 s[12:13], s[0:1], s[12:13]
	s_mov_b64 exec, s[12:13]
	s_cbranch_execz .LBB107_870
; %bb.869:
	v_mov_b32_e32 v23, 0
	ds_read_b32 v23, v23 offset:12740
	s_waitcnt lgkmcnt(0)
	v_mul_f32_e32 v25, v25, v23
	ds_write_b32 v22, v25
.LBB107_870:
	s_or_b64 exec, exec, s[0:1]
	s_waitcnt lgkmcnt(0)
	s_barrier
	s_mov_b64 s[0:1], exec
	v_readlane_b32 s12, v33, 10
	v_readlane_b32 s13, v33, 11
	s_and_b64 s[12:13], s[0:1], s[12:13]
	s_mov_b64 exec, s[12:13]
	s_cbranch_execz .LBB107_872
; %bb.871:
	v_lshlrev_b32_e32 v23, 2, v21
	ds_read_b32 v23, v23 offset:12736
	ds_read_b32 v24, v22
	s_waitcnt lgkmcnt(0)
	v_fmac_f32_e32 v25, v23, v24
.LBB107_872:
	s_or_b64 exec, exec, s[0:1]
	s_barrier
	;; [unrolled: 31-line block ×14, first 2 shown]
	s_mov_b64 s[0:1], exec
	v_readlane_b32 s12, v33, 60
	v_readlane_b32 s13, v33, 61
	s_and_b64 s[12:13], s[0:1], s[12:13]
	s_mov_b64 exec, s[12:13]
	s_cbranch_execz .LBB107_922
; %bb.921:
	v_mov_b32_e32 v21, 0
	ds_read_b32 v21, v21 offset:16120
	s_waitcnt lgkmcnt(0)
	v_mul_f32_e32 v25, v25, v21
	ds_write_b32 v22, v25
.LBB107_922:
	s_or_b64 exec, exec, s[0:1]
	s_waitcnt lgkmcnt(0)
	s_barrier
	s_and_saveexec_b64 s[0:1], s[88:89]
	s_cbranch_execz .LBB107_924
; %bb.923:
	v_mov_b32_e32 v21, 0
	ds_read_b32 v21, v21 offset:16124
	ds_read_b32 v23, v22
	s_waitcnt lgkmcnt(0)
	v_fmac_f32_e32 v25, v21, v23
.LBB107_924:
	s_or_b64 exec, exec, s[0:1]
	s_barrier
	s_and_saveexec_b64 s[0:1], s[88:89]
	s_cbranch_execz .LBB107_926
; %bb.925:
	v_mov_b32_e32 v21, 0
	ds_read_b32 v21, v21 offset:16380
	s_waitcnt lgkmcnt(0)
	v_mul_f32_e32 v25, v25, v21
	ds_write_b32 v22, v25
.LBB107_926:
	s_or_b64 exec, exec, s[0:1]
	s_waitcnt lgkmcnt(0)
	s_barrier
	s_barrier
	s_and_saveexec_b64 s[0:1], s[10:11]
; %bb.927:
	v_xor_b32_e32 v21, 0x80000000, v25
	ds_write_b32 v20, v21 offset:8384
; %bb.928:
	s_or_b64 exec, exec, s[0:1]
	s_waitcnt lgkmcnt(0)
	s_barrier
	s_barrier
	s_mov_b64 s[0:1], exec
	v_readlane_b32 s10, v33, 62
	v_readlane_b32 s11, v33, 63
	s_and_b64 s[10:11], s[0:1], s[10:11]
	s_mov_b64 exec, s[10:11]
	s_cbranch_execz .LBB107_930
; %bb.929:
	v_lshlrev_b32_e32 v20, 8, v0
	ds_read_b32 v21, v20 offset:8384
	s_movk_i32 s10, 0xff04
	v_mad_i32_i24 v22, v0, s10, v20
	s_waitcnt lgkmcnt(0)
	ds_write_b32 v22, v21 offset:12416
	ds_read_b32 v21, v20 offset:8388
	s_waitcnt lgkmcnt(0)
	ds_write_b32 v22, v21 offset:12672
	ds_read_b32 v21, v20 offset:8392
	;; [unrolled: 3-line block ×15, first 2 shown]
	s_waitcnt lgkmcnt(0)
	ds_write_b32 v22, v20 offset:16256
.LBB107_930:
	s_or_b64 exec, exec, s[0:1]
	s_waitcnt lgkmcnt(0)
	s_barrier
	s_and_saveexec_b64 s[0:1], vcc
	s_cbranch_execz .LBB107_932
; %bb.931:
	v_mov_b32_e32 v22, 0
	ds_read_b64 v[20:21], v22 offset:12480
	ds_read_b32 v22, v22 offset:12740
	s_movk_i32 s10, 0x3000
	s_waitcnt lgkmcnt(0)
	v_mul_f32_e32 v20, v20, v22
	v_mul_f32_e32 v20, v21, v20
	v_add_u32_e64 v21, s10, 0
	ds_write2_b32 v21, v20, v20 offset0:49 offset1:112
.LBB107_932:
	s_or_b64 exec, exec, s[0:1]
	v_mov_b32_e32 v20, 0
	s_waitcnt lgkmcnt(0)
	s_barrier
	s_and_saveexec_b64 s[0:1], s[2:3]
	s_cbranch_execz .LBB107_936
; %bb.933:
	v_mul_u32_u24_e32 v20, 0x104, v5
	ds_read_b32 v22, v1 offset:12488
	ds_read_b32 v20, v20 offset:12480
	v_mov_b32_e32 v21, 0
	v_cmp_gt_u32_e64 s[10:11], 2, v4
	s_waitcnt lgkmcnt(0)
	v_fma_f32 v20, v22, v20, 0
	s_and_saveexec_b64 s[12:13], s[10:11]
	s_cbranch_execz .LBB107_935
; %bb.934:
	v_lshlrev_b32_e32 v22, 2, v0
	ds_read_b32 v22, v22 offset:12744
	ds_read_b32 v21, v21 offset:12484
	s_waitcnt lgkmcnt(0)
	v_fmac_f32_e32 v20, v22, v21
.LBB107_935:
	s_or_b64 exec, exec, s[12:13]
	v_xor_b32_e32 v20, 0x80000000, v20
.LBB107_936:
	s_or_b64 exec, exec, s[0:1]
	s_and_saveexec_b64 s[0:1], s[40:41]
	s_cbranch_execz .LBB107_938
; %bb.937:
	v_mov_b32_e32 v21, 0
	ds_read_b32 v21, v21 offset:13000
	s_waitcnt lgkmcnt(0)
	v_mul_f32_e32 v20, v20, v21
	ds_write_b32 v3, v20
.LBB107_938:
	s_or_b64 exec, exec, s[0:1]
	s_waitcnt lgkmcnt(0)
	s_barrier
	s_and_saveexec_b64 s[0:1], s[38:39]
	s_cbranch_execz .LBB107_940
; %bb.939:
	v_mov_b32_e32 v21, 0
	ds_read_b32 v21, v21 offset:13004
	ds_read_b32 v22, v3
	s_waitcnt lgkmcnt(0)
	v_fmac_f32_e32 v20, v21, v22
.LBB107_940:
	s_or_b64 exec, exec, s[0:1]
	s_barrier
	s_and_saveexec_b64 s[0:1], s[38:39]
	s_cbranch_execz .LBB107_942
; %bb.941:
	v_mov_b32_e32 v21, 0
	ds_read_b32 v21, v21 offset:13260
	s_waitcnt lgkmcnt(0)
	v_mul_f32_e32 v20, v20, v21
	ds_write_b32 v3, v20
.LBB107_942:
	s_or_b64 exec, exec, s[0:1]
	s_waitcnt lgkmcnt(0)
	s_barrier
	s_barrier
	s_and_saveexec_b64 s[0:1], s[2:3]
; %bb.943:
	v_xor_b32_e32 v20, 0x80000000, v20
	ds_write_b32 v1, v20 offset:12488
; %bb.944:
	s_or_b64 exec, exec, s[0:1]
	s_waitcnt lgkmcnt(0)
	s_barrier
	s_barrier
	s_and_saveexec_b64 s[0:1], s[42:43]
	s_cbranch_execz .LBB107_946
; %bb.945:
	v_lshlrev_b32_e32 v20, 2, v0
	s_movk_i32 s10, 0xfc
	v_mad_u32_u24 v21, v0, s10, v20
	ds_read_b32 v22, v21 offset:12488
	s_waitcnt lgkmcnt(0)
	ds_write_b32 v20, v22 offset:12992
	ds_read_b32 v21, v21 offset:12492
	s_waitcnt lgkmcnt(0)
	ds_write_b32 v20, v21 offset:13248
.LBB107_946:
	s_or_b64 exec, exec, s[0:1]
	s_waitcnt lgkmcnt(0)
	s_barrier
	s_and_saveexec_b64 s[0:1], vcc
	s_cbranch_execz .LBB107_948
; %bb.947:
	v_mov_b32_e32 v22, 0
	ds_read_b64 v[20:21], v22 offset:13000
	ds_read_b32 v22, v22 offset:13260
	s_movk_i32 s10, 0x3000
	s_waitcnt lgkmcnt(0)
	v_mul_f32_e32 v20, v20, v22
	v_mul_f32_e32 v20, v21, v20
	v_add_u32_e64 v21, s10, 0
	ds_write2_b32 v21, v20, v20 offset0:179 offset1:242
.LBB107_948:
	s_or_b64 exec, exec, s[0:1]
	v_mov_b32_e32 v20, 0
	s_waitcnt lgkmcnt(0)
	s_barrier
	s_and_saveexec_b64 s[0:1], s[18:19]
	s_cbranch_execz .LBB107_954
; %bb.949:
	v_mul_u32_u24_e32 v21, 0x104, v14
	ds_read_b32 v20, v6 offset:12496
	ds_read_b32 v22, v21 offset:12480
	v_cmp_gt_u32_e64 s[10:11], 12, v4
	s_waitcnt lgkmcnt(0)
	v_fma_f32 v20, v20, v22, 0
	s_and_saveexec_b64 s[12:13], s[10:11]
	s_cbranch_execnz .LBB107_1245
; %bb.950:
	s_or_b64 exec, exec, s[12:13]
	v_cmp_gt_u32_e64 s[10:11], 8, v4
	s_and_saveexec_b64 s[12:13], s[10:11]
	s_cbranch_execnz .LBB107_1246
.LBB107_951:
	s_or_b64 exec, exec, s[12:13]
	v_cmp_gt_u32_e64 s[10:11], 4, v4
	s_and_saveexec_b64 s[12:13], s[10:11]
	s_cbranch_execz .LBB107_953
.LBB107_952:
	v_lshlrev_b32_e32 v21, 2, v0
	v_mov_b32_e32 v22, 0
	ds_read_b32 v21, v21 offset:13264
	ds_read_b32 v22, v22 offset:12492
	s_waitcnt lgkmcnt(0)
	v_fmac_f32_e32 v20, v21, v22
.LBB107_953:
	s_or_b64 exec, exec, s[12:13]
	v_xor_b32_e32 v20, 0x80000000, v20
.LBB107_954:
	s_or_b64 exec, exec, s[0:1]
	s_and_saveexec_b64 s[0:1], s[46:47]
	s_cbranch_execz .LBB107_956
; %bb.955:
	v_mov_b32_e32 v21, 0
	ds_read_b32 v21, v21 offset:13520
	s_waitcnt lgkmcnt(0)
	v_mul_f32_e32 v20, v20, v21
	ds_write_b32 v12, v20
.LBB107_956:
	s_or_b64 exec, exec, s[0:1]
	s_waitcnt lgkmcnt(0)
	s_barrier
	s_and_saveexec_b64 s[0:1], s[48:49]
	s_cbranch_execz .LBB107_958
; %bb.957:
	ds_read_b32 v21, v11 offset:13520
	ds_read_b32 v22, v12
	s_waitcnt lgkmcnt(0)
	v_fmac_f32_e32 v20, v21, v22
.LBB107_958:
	s_or_b64 exec, exec, s[0:1]
	s_barrier
	s_and_saveexec_b64 s[0:1], s[50:51]
	s_cbranch_execz .LBB107_960
; %bb.959:
	v_mov_b32_e32 v21, 0
	ds_read_b32 v21, v21 offset:13780
	s_waitcnt lgkmcnt(0)
	v_mul_f32_e32 v20, v20, v21
	ds_write_b32 v12, v20
.LBB107_960:
	s_or_b64 exec, exec, s[0:1]
	s_waitcnt lgkmcnt(0)
	s_barrier
	s_and_saveexec_b64 s[0:1], s[52:53]
	s_cbranch_execz .LBB107_962
; %bb.961:
	ds_read_b32 v21, v11 offset:13776
	ds_read_b32 v22, v12
	s_waitcnt lgkmcnt(0)
	v_fmac_f32_e32 v20, v21, v22
.LBB107_962:
	s_or_b64 exec, exec, s[0:1]
	s_barrier
	s_and_saveexec_b64 s[0:1], s[54:55]
	s_cbranch_execz .LBB107_964
; %bb.963:
	v_mov_b32_e32 v21, 0
	ds_read_b32 v21, v21 offset:14040
	s_waitcnt lgkmcnt(0)
	v_mul_f32_e32 v20, v20, v21
	ds_write_b32 v12, v20
.LBB107_964:
	s_or_b64 exec, exec, s[0:1]
	s_waitcnt lgkmcnt(0)
	s_barrier
	s_and_saveexec_b64 s[0:1], s[44:45]
	s_cbranch_execz .LBB107_966
; %bb.965:
	v_mov_b32_e32 v21, 0
	ds_read_b32 v21, v21 offset:14044
	ds_read_b32 v22, v12
	s_waitcnt lgkmcnt(0)
	v_fmac_f32_e32 v20, v21, v22
.LBB107_966:
	s_or_b64 exec, exec, s[0:1]
	s_barrier
	s_and_saveexec_b64 s[0:1], s[44:45]
	s_cbranch_execz .LBB107_968
; %bb.967:
	v_mov_b32_e32 v21, 0
	ds_read_b32 v21, v21 offset:14300
	s_waitcnt lgkmcnt(0)
	v_mul_f32_e32 v20, v20, v21
	ds_write_b32 v12, v20
.LBB107_968:
	s_or_b64 exec, exec, s[0:1]
	s_waitcnt lgkmcnt(0)
	s_barrier
	s_barrier
	s_and_saveexec_b64 s[0:1], s[18:19]
; %bb.969:
	v_xor_b32_e32 v20, 0x80000000, v20
	ds_write_b32 v6, v20 offset:12496
; %bb.970:
	s_or_b64 exec, exec, s[0:1]
	s_waitcnt lgkmcnt(0)
	s_barrier
	s_barrier
	s_and_saveexec_b64 s[0:1], s[56:57]
	s_cbranch_execz .LBB107_972
; %bb.971:
	v_lshlrev_b32_e32 v20, 8, v0
	ds_read_b32 v21, v20 offset:12496
	s_movk_i32 s10, 0xff04
	v_mad_i32_i24 v22, v0, s10, v20
	s_waitcnt lgkmcnt(0)
	ds_write_b32 v22, v21 offset:13504
	ds_read_b32 v21, v20 offset:12500
	s_waitcnt lgkmcnt(0)
	ds_write_b32 v22, v21 offset:13760
	ds_read_b32 v21, v20 offset:12504
	;; [unrolled: 3-line block ×3, first 2 shown]
	s_waitcnt lgkmcnt(0)
	ds_write_b32 v22, v20 offset:14272
.LBB107_972:
	s_or_b64 exec, exec, s[0:1]
	s_waitcnt lgkmcnt(0)
	s_barrier
	s_and_saveexec_b64 s[0:1], vcc
	s_cbranch_execz .LBB107_974
; %bb.973:
	v_mov_b32_e32 v22, 0
	ds_read_b64 v[20:21], v22 offset:13520
	ds_read_b32 v22, v22 offset:13780
	s_movk_i32 s10, 0x3400
	s_waitcnt lgkmcnt(0)
	v_mul_f32_e32 v20, v20, v22
	v_mul_f32_e32 v20, v21, v20
	v_add_u32_e64 v21, s10, 0
	ds_write2_b32 v21, v20, v20 offset0:53 offset1:116
.LBB107_974:
	s_or_b64 exec, exec, s[0:1]
	v_mov_b32_e32 v20, 0
	s_waitcnt lgkmcnt(0)
	s_barrier
	s_and_saveexec_b64 s[0:1], s[2:3]
	s_cbranch_execz .LBB107_978
; %bb.975:
	v_mul_u32_u24_e32 v20, 0x104, v5
	ds_read_b32 v22, v1 offset:13528
	ds_read_b32 v20, v20 offset:13520
	v_mov_b32_e32 v21, 0
	v_cmp_gt_u32_e64 s[10:11], 2, v4
	s_waitcnt lgkmcnt(0)
	v_fma_f32 v20, v22, v20, 0
	s_and_saveexec_b64 s[12:13], s[10:11]
	s_cbranch_execz .LBB107_977
; %bb.976:
	v_lshlrev_b32_e32 v22, 2, v0
	ds_read_b32 v22, v22 offset:13784
	ds_read_b32 v21, v21 offset:13524
	s_waitcnt lgkmcnt(0)
	v_fmac_f32_e32 v20, v22, v21
.LBB107_977:
	s_or_b64 exec, exec, s[12:13]
	v_xor_b32_e32 v20, 0x80000000, v20
.LBB107_978:
	s_or_b64 exec, exec, s[0:1]
	s_and_saveexec_b64 s[0:1], s[40:41]
	s_cbranch_execz .LBB107_980
; %bb.979:
	v_mov_b32_e32 v21, 0
	ds_read_b32 v21, v21 offset:14040
	s_waitcnt lgkmcnt(0)
	v_mul_f32_e32 v20, v20, v21
	ds_write_b32 v3, v20
.LBB107_980:
	s_or_b64 exec, exec, s[0:1]
	s_waitcnt lgkmcnt(0)
	s_barrier
	s_and_saveexec_b64 s[0:1], s[38:39]
	s_cbranch_execz .LBB107_982
; %bb.981:
	v_mov_b32_e32 v21, 0
	ds_read_b32 v21, v21 offset:14044
	ds_read_b32 v22, v3
	s_waitcnt lgkmcnt(0)
	v_fmac_f32_e32 v20, v21, v22
.LBB107_982:
	s_or_b64 exec, exec, s[0:1]
	s_barrier
	s_and_saveexec_b64 s[0:1], s[38:39]
	s_cbranch_execz .LBB107_984
; %bb.983:
	v_mov_b32_e32 v21, 0
	ds_read_b32 v21, v21 offset:14300
	s_waitcnt lgkmcnt(0)
	v_mul_f32_e32 v20, v20, v21
	ds_write_b32 v3, v20
.LBB107_984:
	s_or_b64 exec, exec, s[0:1]
	s_waitcnt lgkmcnt(0)
	s_barrier
	s_barrier
	s_and_saveexec_b64 s[0:1], s[2:3]
; %bb.985:
	v_xor_b32_e32 v20, 0x80000000, v20
	ds_write_b32 v1, v20 offset:13528
; %bb.986:
	s_or_b64 exec, exec, s[0:1]
	s_waitcnt lgkmcnt(0)
	s_barrier
	s_barrier
	s_and_saveexec_b64 s[0:1], s[42:43]
	s_cbranch_execz .LBB107_988
; %bb.987:
	v_lshlrev_b32_e32 v20, 2, v0
	s_movk_i32 s10, 0xfc
	v_mad_u32_u24 v21, v0, s10, v20
	ds_read_b32 v22, v21 offset:13528
	s_waitcnt lgkmcnt(0)
	ds_write_b32 v20, v22 offset:14032
	ds_read_b32 v21, v21 offset:13532
	s_waitcnt lgkmcnt(0)
	ds_write_b32 v20, v21 offset:14288
.LBB107_988:
	s_or_b64 exec, exec, s[0:1]
	s_waitcnt lgkmcnt(0)
	s_barrier
	s_and_saveexec_b64 s[0:1], vcc
	s_cbranch_execz .LBB107_990
; %bb.989:
	v_mov_b32_e32 v22, 0
	ds_read_b64 v[20:21], v22 offset:14040
	ds_read_b32 v22, v22 offset:14300
	s_movk_i32 s10, 0x3400
	s_waitcnt lgkmcnt(0)
	v_mul_f32_e32 v20, v20, v22
	v_mul_f32_e32 v20, v21, v20
	v_add_u32_e64 v21, s10, 0
	ds_write2_b32 v21, v20, v20 offset0:183 offset1:246
.LBB107_990:
	s_or_b64 exec, exec, s[0:1]
	v_mov_b32_e32 v20, 0
	s_waitcnt lgkmcnt(0)
	s_barrier
	s_and_saveexec_b64 s[0:1], s[8:9]
	s_cbranch_execz .LBB107_1000
; %bb.991:
	v_mul_u32_u24_e32 v21, 0x104, v19
	ds_read_b32 v20, v15 offset:12512
	ds_read_b32 v22, v21 offset:12480
	v_cmp_gt_u32_e64 s[10:11], 56, v4
	s_waitcnt lgkmcnt(0)
	v_fma_f32 v20, v20, v22, 0
	s_and_saveexec_b64 s[12:13], s[10:11]
	s_cbranch_execnz .LBB107_1247
; %bb.992:
	s_or_b64 exec, exec, s[12:13]
	v_cmp_gt_u32_e64 s[10:11], 48, v4
	s_and_saveexec_b64 s[12:13], s[10:11]
	s_cbranch_execnz .LBB107_1248
.LBB107_993:
	s_or_b64 exec, exec, s[12:13]
	v_cmp_gt_u32_e64 s[10:11], 40, v4
	s_and_saveexec_b64 s[12:13], s[10:11]
	s_cbranch_execnz .LBB107_1249
.LBB107_994:
	s_or_b64 exec, exec, s[12:13]
	v_cmp_gt_u32_e64 s[10:11], 32, v4
	s_and_saveexec_b64 s[12:13], s[10:11]
	s_cbranch_execnz .LBB107_1250
.LBB107_995:
	s_or_b64 exec, exec, s[12:13]
	v_cmp_gt_u32_e64 s[10:11], 24, v4
	s_and_saveexec_b64 s[12:13], s[10:11]
	s_cbranch_execnz .LBB107_1251
.LBB107_996:
	s_or_b64 exec, exec, s[12:13]
	v_cmp_gt_u32_e64 s[10:11], 16, v4
	s_and_saveexec_b64 s[12:13], s[10:11]
	s_cbranch_execnz .LBB107_1252
.LBB107_997:
	s_or_b64 exec, exec, s[12:13]
	v_cmp_gt_u32_e64 s[10:11], 8, v4
	s_and_saveexec_b64 s[12:13], s[10:11]
	s_cbranch_execz .LBB107_999
.LBB107_998:
	v_lshlrev_b32_e32 v18, 2, v0
	v_mov_b32_e32 v19, 0
	ds_read_b32 v18, v18 offset:14304
	ds_read_b32 v19, v19 offset:12508
	s_waitcnt lgkmcnt(0)
	v_fmac_f32_e32 v20, v18, v19
.LBB107_999:
	s_or_b64 exec, exec, s[12:13]
	v_xor_b32_e32 v20, 0x80000000, v20
.LBB107_1000:
	s_or_b64 exec, exec, s[0:1]
	s_and_saveexec_b64 s[0:1], s[58:59]
	s_cbranch_execz .LBB107_1002
; %bb.1001:
	v_mov_b32_e32 v18, 0
	ds_read_b32 v18, v18 offset:14560
	s_waitcnt lgkmcnt(0)
	v_mul_f32_e32 v20, v20, v18
	ds_write_b32 v17, v20
.LBB107_1002:
	s_or_b64 exec, exec, s[0:1]
	s_waitcnt lgkmcnt(0)
	s_barrier
	s_and_saveexec_b64 s[0:1], s[60:61]
	v_readlane_b32 s58, v33, 2
	v_readlane_b32 s59, v33, 3
	s_cbranch_execz .LBB107_1004
; %bb.1003:
	ds_read_b32 v18, v16 offset:14560
	ds_read_b32 v19, v17
	s_waitcnt lgkmcnt(0)
	v_fmac_f32_e32 v20, v18, v19
.LBB107_1004:
	s_or_b64 exec, exec, s[0:1]
	s_barrier
	s_and_saveexec_b64 s[0:1], s[62:63]
	s_cbranch_execz .LBB107_1006
; %bb.1005:
	v_mov_b32_e32 v18, 0
	ds_read_b32 v18, v18 offset:14820
	s_waitcnt lgkmcnt(0)
	v_mul_f32_e32 v20, v20, v18
	ds_write_b32 v17, v20
.LBB107_1006:
	s_or_b64 exec, exec, s[0:1]
	s_waitcnt lgkmcnt(0)
	s_barrier
	s_and_saveexec_b64 s[0:1], s[64:65]
	s_cbranch_execz .LBB107_1008
; %bb.1007:
	ds_read_b32 v18, v16 offset:14816
	ds_read_b32 v19, v17
	s_waitcnt lgkmcnt(0)
	v_fmac_f32_e32 v20, v18, v19
.LBB107_1008:
	s_or_b64 exec, exec, s[0:1]
	s_barrier
	s_and_saveexec_b64 s[0:1], s[68:69]
	s_cbranch_execz .LBB107_1010
; %bb.1009:
	v_mov_b32_e32 v18, 0
	ds_read_b32 v18, v18 offset:15080
	s_waitcnt lgkmcnt(0)
	v_mul_f32_e32 v20, v20, v18
	ds_write_b32 v17, v20
.LBB107_1010:
	s_or_b64 exec, exec, s[0:1]
	s_waitcnt lgkmcnt(0)
	s_barrier
	s_and_saveexec_b64 s[0:1], s[70:71]
	;; [unrolled: 22-line block ×6, first 2 shown]
	s_cbranch_execz .LBB107_1028
; %bb.1027:
	v_mov_b32_e32 v16, 0
	ds_read_b32 v16, v16 offset:16124
	ds_read_b32 v18, v17
	s_waitcnt lgkmcnt(0)
	v_fmac_f32_e32 v20, v16, v18
.LBB107_1028:
	s_or_b64 exec, exec, s[0:1]
	s_barrier
	s_and_saveexec_b64 s[0:1], s[66:67]
	s_cbranch_execz .LBB107_1030
; %bb.1029:
	v_mov_b32_e32 v16, 0
	ds_read_b32 v16, v16 offset:16380
	s_waitcnt lgkmcnt(0)
	v_mul_f32_e32 v20, v20, v16
	ds_write_b32 v17, v20
.LBB107_1030:
	s_or_b64 exec, exec, s[0:1]
	s_waitcnt lgkmcnt(0)
	s_barrier
	s_barrier
	s_and_saveexec_b64 s[0:1], s[8:9]
; %bb.1031:
	v_xor_b32_e32 v16, 0x80000000, v20
	ds_write_b32 v15, v16 offset:12512
; %bb.1032:
	s_or_b64 exec, exec, s[0:1]
	s_waitcnt lgkmcnt(0)
	s_barrier
	s_barrier
	s_and_saveexec_b64 s[0:1], s[86:87]
	s_cbranch_execz .LBB107_1034
; %bb.1033:
	v_lshlrev_b32_e32 v15, 8, v0
	ds_read_b32 v16, v15 offset:12512
	s_movk_i32 s8, 0xff04
	v_mad_i32_i24 v17, v0, s8, v15
	s_waitcnt lgkmcnt(0)
	ds_write_b32 v17, v16 offset:14528
	ds_read_b32 v16, v15 offset:12516
	s_waitcnt lgkmcnt(0)
	ds_write_b32 v17, v16 offset:14784
	ds_read_b32 v16, v15 offset:12520
	;; [unrolled: 3-line block ×7, first 2 shown]
	s_waitcnt lgkmcnt(0)
	ds_write_b32 v17, v15 offset:16320
.LBB107_1034:
	s_or_b64 exec, exec, s[0:1]
	s_waitcnt lgkmcnt(0)
	s_barrier
	s_and_saveexec_b64 s[0:1], vcc
	s_cbranch_execz .LBB107_1036
; %bb.1035:
	v_mov_b32_e32 v17, 0
	ds_read_b64 v[15:16], v17 offset:14560
	ds_read_b32 v17, v17 offset:14820
	s_movk_i32 s8, 0x3800
	s_waitcnt lgkmcnt(0)
	v_mul_f32_e32 v15, v15, v17
	v_mul_f32_e32 v15, v16, v15
	v_add_u32_e64 v16, s8, 0
	ds_write2_b32 v16, v15, v15 offset0:57 offset1:120
.LBB107_1036:
	s_or_b64 exec, exec, s[0:1]
	v_mov_b32_e32 v15, 0
	s_waitcnt lgkmcnt(0)
	s_barrier
	s_and_saveexec_b64 s[0:1], s[2:3]
	s_cbranch_execz .LBB107_1040
; %bb.1037:
	v_mul_u32_u24_e32 v15, 0x104, v5
	ds_read_b32 v17, v1 offset:14568
	ds_read_b32 v15, v15 offset:14560
	v_mov_b32_e32 v16, 0
	v_cmp_gt_u32_e64 s[8:9], 2, v4
	s_waitcnt lgkmcnt(0)
	v_fma_f32 v15, v17, v15, 0
	s_and_saveexec_b64 s[10:11], s[8:9]
	s_cbranch_execz .LBB107_1039
; %bb.1038:
	v_lshlrev_b32_e32 v17, 2, v0
	ds_read_b32 v17, v17 offset:14824
	ds_read_b32 v16, v16 offset:14564
	s_waitcnt lgkmcnt(0)
	v_fmac_f32_e32 v15, v17, v16
.LBB107_1039:
	s_or_b64 exec, exec, s[10:11]
	v_xor_b32_e32 v15, 0x80000000, v15
.LBB107_1040:
	s_or_b64 exec, exec, s[0:1]
	s_and_saveexec_b64 s[0:1], s[40:41]
	s_cbranch_execz .LBB107_1042
; %bb.1041:
	v_mov_b32_e32 v16, 0
	ds_read_b32 v16, v16 offset:15080
	s_waitcnt lgkmcnt(0)
	v_mul_f32_e32 v15, v15, v16
	ds_write_b32 v3, v15
.LBB107_1042:
	s_or_b64 exec, exec, s[0:1]
	s_waitcnt lgkmcnt(0)
	s_barrier
	s_and_saveexec_b64 s[0:1], s[38:39]
	s_cbranch_execz .LBB107_1044
; %bb.1043:
	v_mov_b32_e32 v16, 0
	ds_read_b32 v16, v16 offset:15084
	ds_read_b32 v17, v3
	s_waitcnt lgkmcnt(0)
	v_fmac_f32_e32 v15, v16, v17
.LBB107_1044:
	s_or_b64 exec, exec, s[0:1]
	s_barrier
	s_and_saveexec_b64 s[0:1], s[38:39]
	s_cbranch_execz .LBB107_1046
; %bb.1045:
	v_mov_b32_e32 v16, 0
	ds_read_b32 v16, v16 offset:15340
	s_waitcnt lgkmcnt(0)
	v_mul_f32_e32 v15, v15, v16
	ds_write_b32 v3, v15
.LBB107_1046:
	s_or_b64 exec, exec, s[0:1]
	s_waitcnt lgkmcnt(0)
	s_barrier
	s_barrier
	s_and_saveexec_b64 s[0:1], s[2:3]
; %bb.1047:
	v_xor_b32_e32 v15, 0x80000000, v15
	ds_write_b32 v1, v15 offset:14568
; %bb.1048:
	s_or_b64 exec, exec, s[0:1]
	s_waitcnt lgkmcnt(0)
	s_barrier
	s_barrier
	s_and_saveexec_b64 s[0:1], s[42:43]
	s_cbranch_execz .LBB107_1050
; %bb.1049:
	v_lshlrev_b32_e32 v15, 2, v0
	s_movk_i32 s8, 0xfc
	v_mad_u32_u24 v16, v0, s8, v15
	ds_read_b32 v17, v16 offset:14568
	s_waitcnt lgkmcnt(0)
	ds_write_b32 v15, v17 offset:15072
	ds_read_b32 v16, v16 offset:14572
	s_waitcnt lgkmcnt(0)
	ds_write_b32 v15, v16 offset:15328
.LBB107_1050:
	s_or_b64 exec, exec, s[0:1]
	s_waitcnt lgkmcnt(0)
	s_barrier
	s_and_saveexec_b64 s[0:1], vcc
	s_cbranch_execz .LBB107_1052
; %bb.1051:
	v_mov_b32_e32 v17, 0
	ds_read_b64 v[15:16], v17 offset:15080
	ds_read_b32 v17, v17 offset:15340
	s_movk_i32 s8, 0x3800
	s_waitcnt lgkmcnt(0)
	v_mul_f32_e32 v15, v15, v17
	v_mul_f32_e32 v15, v16, v15
	v_add_u32_e64 v16, s8, 0
	ds_write2_b32 v16, v15, v15 offset0:187 offset1:250
.LBB107_1052:
	s_or_b64 exec, exec, s[0:1]
	v_mov_b32_e32 v15, 0
	s_waitcnt lgkmcnt(0)
	s_barrier
	s_and_saveexec_b64 s[0:1], s[18:19]
	s_cbranch_execz .LBB107_1058
; %bb.1053:
	v_mul_u32_u24_e32 v16, 0x104, v14
	ds_read_b32 v15, v6 offset:14576
	ds_read_b32 v17, v16 offset:14560
	v_cmp_gt_u32_e64 s[8:9], 12, v4
	s_waitcnt lgkmcnt(0)
	v_fma_f32 v15, v15, v17, 0
	s_and_saveexec_b64 s[10:11], s[8:9]
	s_cbranch_execnz .LBB107_1253
; %bb.1054:
	s_or_b64 exec, exec, s[10:11]
	v_cmp_gt_u32_e64 s[8:9], 8, v4
	s_and_saveexec_b64 s[10:11], s[8:9]
	s_cbranch_execnz .LBB107_1254
.LBB107_1055:
	s_or_b64 exec, exec, s[10:11]
	v_cmp_gt_u32_e64 s[8:9], 4, v4
	s_and_saveexec_b64 s[10:11], s[8:9]
	s_cbranch_execz .LBB107_1057
.LBB107_1056:
	v_lshlrev_b32_e32 v13, 2, v0
	v_mov_b32_e32 v14, 0
	ds_read_b32 v13, v13 offset:15344
	ds_read_b32 v14, v14 offset:14572
	s_waitcnt lgkmcnt(0)
	v_fmac_f32_e32 v15, v13, v14
.LBB107_1057:
	s_or_b64 exec, exec, s[10:11]
	v_xor_b32_e32 v15, 0x80000000, v15
.LBB107_1058:
	s_or_b64 exec, exec, s[0:1]
	s_and_saveexec_b64 s[0:1], s[46:47]
	s_cbranch_execz .LBB107_1060
; %bb.1059:
	v_mov_b32_e32 v13, 0
	ds_read_b32 v13, v13 offset:15600
	s_waitcnt lgkmcnt(0)
	v_mul_f32_e32 v15, v15, v13
	ds_write_b32 v12, v15
.LBB107_1060:
	s_or_b64 exec, exec, s[0:1]
	s_waitcnt lgkmcnt(0)
	s_barrier
	s_and_saveexec_b64 s[0:1], s[48:49]
	v_readlane_b32 s46, v33, 1
	s_cbranch_execz .LBB107_1062
; %bb.1061:
	ds_read_b32 v13, v11 offset:15600
	ds_read_b32 v14, v12
	s_waitcnt lgkmcnt(0)
	v_fmac_f32_e32 v15, v13, v14
.LBB107_1062:
	s_or_b64 exec, exec, s[0:1]
	s_barrier
	s_and_saveexec_b64 s[0:1], s[50:51]
	s_cbranch_execz .LBB107_1064
; %bb.1063:
	v_mov_b32_e32 v13, 0
	ds_read_b32 v13, v13 offset:15860
	s_waitcnt lgkmcnt(0)
	v_mul_f32_e32 v15, v15, v13
	ds_write_b32 v12, v15
.LBB107_1064:
	s_or_b64 exec, exec, s[0:1]
	s_waitcnt lgkmcnt(0)
	s_barrier
	s_and_saveexec_b64 s[0:1], s[52:53]
	s_cbranch_execz .LBB107_1066
; %bb.1065:
	ds_read_b32 v11, v11 offset:15856
	ds_read_b32 v13, v12
	s_waitcnt lgkmcnt(0)
	v_fmac_f32_e32 v15, v11, v13
.LBB107_1066:
	s_or_b64 exec, exec, s[0:1]
	s_barrier
	s_and_saveexec_b64 s[0:1], s[54:55]
	s_cbranch_execz .LBB107_1068
; %bb.1067:
	v_mov_b32_e32 v11, 0
	ds_read_b32 v11, v11 offset:16120
	s_waitcnt lgkmcnt(0)
	v_mul_f32_e32 v15, v15, v11
	ds_write_b32 v12, v15
.LBB107_1068:
	s_or_b64 exec, exec, s[0:1]
	s_waitcnt lgkmcnt(0)
	s_barrier
	s_and_saveexec_b64 s[0:1], s[44:45]
	s_cbranch_execz .LBB107_1070
; %bb.1069:
	v_mov_b32_e32 v11, 0
	ds_read_b32 v11, v11 offset:16124
	ds_read_b32 v13, v12
	s_waitcnt lgkmcnt(0)
	v_fmac_f32_e32 v15, v11, v13
.LBB107_1070:
	s_or_b64 exec, exec, s[0:1]
	s_barrier
	s_and_saveexec_b64 s[0:1], s[44:45]
	s_cbranch_execz .LBB107_1072
; %bb.1071:
	v_mov_b32_e32 v11, 0
	ds_read_b32 v11, v11 offset:16380
	s_waitcnt lgkmcnt(0)
	v_mul_f32_e32 v15, v15, v11
	ds_write_b32 v12, v15
.LBB107_1072:
	s_or_b64 exec, exec, s[0:1]
	s_waitcnt lgkmcnt(0)
	s_barrier
	s_barrier
	s_and_saveexec_b64 s[0:1], s[18:19]
; %bb.1073:
	v_xor_b32_e32 v11, 0x80000000, v15
	ds_write_b32 v6, v11 offset:14576
; %bb.1074:
	s_or_b64 exec, exec, s[0:1]
	s_waitcnt lgkmcnt(0)
	s_barrier
	s_barrier
	s_and_saveexec_b64 s[0:1], s[56:57]
	s_cbranch_execz .LBB107_1076
; %bb.1075:
	v_lshlrev_b32_e32 v6, 8, v0
	ds_read_b32 v11, v6 offset:14576
	s_movk_i32 s8, 0xff04
	v_mad_i32_i24 v12, v0, s8, v6
	s_waitcnt lgkmcnt(0)
	ds_write_b32 v12, v11 offset:15584
	ds_read_b32 v11, v6 offset:14580
	s_waitcnt lgkmcnt(0)
	ds_write_b32 v12, v11 offset:15840
	ds_read_b32 v11, v6 offset:14584
	;; [unrolled: 3-line block ×3, first 2 shown]
	s_waitcnt lgkmcnt(0)
	ds_write_b32 v12, v6 offset:16352
.LBB107_1076:
	s_or_b64 exec, exec, s[0:1]
	s_waitcnt lgkmcnt(0)
	s_barrier
	s_and_saveexec_b64 s[0:1], vcc
	s_cbranch_execz .LBB107_1078
; %bb.1077:
	v_mov_b32_e32 v6, 0
	ds_read_b64 v[11:12], v6 offset:15600
	ds_read_b32 v6, v6 offset:15860
	s_movk_i32 s8, 0x3c00
	s_waitcnt lgkmcnt(0)
	v_mul_f32_e32 v6, v11, v6
	v_mul_f32_e32 v6, v12, v6
	v_add_u32_e64 v11, s8, 0
	ds_write2_b32 v11, v6, v6 offset0:61 offset1:124
.LBB107_1078:
	s_or_b64 exec, exec, s[0:1]
	v_mov_b32_e32 v6, 0
	s_waitcnt lgkmcnt(0)
	s_barrier
	s_and_saveexec_b64 s[0:1], s[2:3]
	s_cbranch_execz .LBB107_1082
; %bb.1079:
	v_mul_u32_u24_e32 v5, 0x104, v5
	ds_read_b32 v11, v1 offset:15608
	ds_read_b32 v5, v5 offset:15600
	v_mov_b32_e32 v6, 0
	v_cmp_gt_u32_e64 s[8:9], 2, v4
	s_waitcnt lgkmcnt(0)
	v_fma_f32 v5, v11, v5, 0
	s_and_saveexec_b64 s[10:11], s[8:9]
	s_cbranch_execz .LBB107_1081
; %bb.1080:
	v_lshlrev_b32_e32 v4, 2, v0
	ds_read_b32 v4, v4 offset:15864
	ds_read_b32 v6, v6 offset:15604
	s_waitcnt lgkmcnt(0)
	v_fmac_f32_e32 v5, v4, v6
.LBB107_1081:
	s_or_b64 exec, exec, s[10:11]
	v_xor_b32_e32 v6, 0x80000000, v5
.LBB107_1082:
	s_or_b64 exec, exec, s[0:1]
	s_and_saveexec_b64 s[0:1], s[40:41]
	s_cbranch_execz .LBB107_1084
; %bb.1083:
	v_mov_b32_e32 v4, 0
	ds_read_b32 v4, v4 offset:16120
	s_waitcnt lgkmcnt(0)
	v_mul_f32_e32 v6, v6, v4
	ds_write_b32 v3, v6
.LBB107_1084:
	s_or_b64 exec, exec, s[0:1]
	s_waitcnt lgkmcnt(0)
	s_barrier
	s_and_saveexec_b64 s[0:1], s[38:39]
	s_load_dword s41, s[4:5], 0x6c
	v_readlane_b32 s40, v33, 0
	s_cbranch_execz .LBB107_1086
; %bb.1085:
	v_mov_b32_e32 v4, 0
	ds_read_b32 v4, v4 offset:16124
	ds_read_b32 v5, v3
	s_waitcnt lgkmcnt(0)
	v_fmac_f32_e32 v6, v4, v5
.LBB107_1086:
	s_or_b64 exec, exec, s[0:1]
	s_waitcnt lgkmcnt(0)
	s_barrier
	s_and_saveexec_b64 s[0:1], s[38:39]
	s_cbranch_execz .LBB107_1088
; %bb.1087:
	v_mov_b32_e32 v4, 0
	ds_read_b32 v4, v4 offset:16380
	s_waitcnt lgkmcnt(0)
	v_mul_f32_e32 v6, v6, v4
	ds_write_b32 v3, v6
.LBB107_1088:
	s_or_b64 exec, exec, s[0:1]
	s_waitcnt lgkmcnt(0)
	s_barrier
	s_barrier
	s_and_saveexec_b64 s[0:1], s[2:3]
; %bb.1089:
	v_xor_b32_e32 v3, 0x80000000, v6
	ds_write_b32 v1, v3 offset:15608
; %bb.1090:
	s_or_b64 exec, exec, s[0:1]
	s_waitcnt lgkmcnt(0)
	s_barrier
	s_barrier
	s_and_saveexec_b64 s[0:1], s[42:43]
	s_cbranch_execz .LBB107_1092
; %bb.1091:
	v_lshlrev_b32_e32 v1, 2, v0
	s_movk_i32 s2, 0xfc
	v_mad_u32_u24 v3, v0, s2, v1
	ds_read_b32 v4, v3 offset:15608
	s_waitcnt lgkmcnt(0)
	ds_write_b32 v1, v4 offset:16112
	ds_read_b32 v3, v3 offset:15612
	s_waitcnt lgkmcnt(0)
	ds_write_b32 v1, v3 offset:16368
.LBB107_1092:
	s_or_b64 exec, exec, s[0:1]
	s_waitcnt lgkmcnt(0)
	s_barrier
	s_and_saveexec_b64 s[0:1], vcc
	s_cbranch_execz .LBB107_1094
; %bb.1093:
	v_mov_b32_e32 v1, 0
	ds_read_b64 v[3:4], v1 offset:16120
	ds_read_b32 v1, v1 offset:16380
	s_movk_i32 s2, 0x3c00
	s_waitcnt lgkmcnt(0)
	v_mul_f32_e32 v1, v3, v1
	v_mul_f32_e32 v1, v4, v1
	v_add_u32_e64 v3, s2, 0
	ds_write2_b32 v3, v1, v1 offset0:191 offset1:254
.LBB107_1094:
	s_or_b64 exec, exec, s[0:1]
.LBB107_1095:
	s_lshl_b64 s[0:1], s[24:25], 2
	s_add_u32 s20, s36, s0
	v_cmp_le_i32_e32 vcc, s90, v0
	s_addc_u32 s21, s37, s1
	s_and_b64 s[14:15], vcc, s[22:23]
	v_cmp_eq_u32_e64 s[2:3], 0, v2
	s_xor_b64 s[0:1], s[14:15], -1
	s_and_b64 s[8:9], s[2:3], s[0:1]
	v_mov_b32_e32 v11, 0
	v_add_u32_e32 v3, s33, v0
	s_waitcnt lgkmcnt(0)
	s_barrier
	s_and_saveexec_b64 s[0:1], s[8:9]
	s_cbranch_execz .LBB107_1097
; %bb.1096:
	v_ashrrev_i32_e32 v1, 31, v3
	v_mul_lo_u32 v6, s27, v3
	v_mad_u64_u32 v[4:5], s[8:9], s26, v3, 0
	v_mul_lo_u32 v1, s26, v1
	v_add3_u32 v5, v5, v1, v6
	v_lshlrev_b64 v[4:5], 2, v[4:5]
	v_mov_b32_e32 v1, s21
	v_add_co_u32_e32 v4, vcc, s20, v4
	v_addc_co_u32_e32 v5, vcc, v1, v5, vcc
	flat_load_dword v1, v[4:5]
	s_waitcnt vmcnt(0) lgkmcnt(0)
	v_mul_f32_e64 v11, v1, -s46
.LBB107_1097:
	s_or_b64 exec, exec, s[0:1]
	s_load_dwordx2 s[0:1], s[4:5], 0x50
	s_and_b32 s4, 0xffff, s41
	v_mad_u32_u24 v1, v2, s4, v0
	s_cmp_lt_i32 s6, 1
	v_cmp_eq_u32_e64 s[4:5], 0, v1
	s_cbranch_scc1 .LBB107_1123
; %bb.1098:
	v_ashrrev_i32_e32 v6, 31, v3
	v_mul_lo_u32 v12, s35, v3
	v_mad_u64_u32 v[4:5], s[8:9], s34, v3, 0
	v_mul_lo_u32 v6, s34, v6
	s_lshl_b64 s[8:9], s[28:29], 2
	s_waitcnt lgkmcnt(0)
	s_add_u32 s16, s0, s8
	s_addc_u32 s17, s1, s9
	v_add3_u32 v5, v5, v6, v12
	v_cmp_gt_i32_e64 s[8:9], s30, v3
	v_lshlrev_b64 v[3:4], 2, v[4:5]
	v_mov_b32_e32 v6, 0x5000
	v_mov_b32_e32 v5, s92
	v_add_co_u32_e32 v14, vcc, s91, v3
	s_mov_b32 s24, 0
	v_cmp_gt_u32_e64 s[12:13], 64, v1
	v_lshl_add_u32 v12, v1, 2, v6
	v_lshl_or_b32 v13, v2, 2, v6
	s_add_i32 s93, s93, 1
	v_addc_co_u32_e32 v15, vcc, v5, v4, vcc
	v_mov_b32_e32 v17, -1
	v_mov_b32_e32 v16, 0
	s_branch .LBB107_1101
.LBB107_1099:                           ;   in Loop: Header=BB107_1101 Depth=1
	ds_read_b32 v3, v13 offset:192
	s_waitcnt vmcnt(0) lgkmcnt(0)
	v_fmac_f32_e32 v11, v5, v3
.LBB107_1100:                           ;   in Loop: Header=BB107_1101 Depth=1
	s_or_b64 exec, exec, s[18:19]
	s_add_i32 s24, s24, 1
	s_cmp_eq_u32 s24, s6
	s_cbranch_scc1 .LBB107_1123
.LBB107_1101:                           ; =>This Loop Header: Depth=1
                                        ;     Child Loop BB107_1103 Depth 2
	v_cmp_gt_i32_e32 vcc, s24, v17
	s_and_b64 s[18:19], s[4:5], vcc
	s_and_saveexec_b64 s[10:11], s[18:19]
	s_cbranch_execz .LBB107_1104
; %bb.1102:                             ;   in Loop: Header=BB107_1101 Depth=1
	global_load_dword v17, v16, s[16:17]
	s_waitcnt vmcnt(0)
	v_cmp_le_i32_e32 vcc, s24, v17
	s_cbranch_vccnz .LBB107_1104
.LBB107_1103:                           ;   Parent Loop BB107_1101 Depth=1
                                        ; =>  This Inner Loop Header: Depth=2
	buffer_wbinvl1_vol
	global_load_dword v17, v16, s[16:17]
	s_waitcnt vmcnt(0)
	v_cmp_gt_i32_e32 vcc, s24, v17
	s_cbranch_vccnz .LBB107_1103
.LBB107_1104:                           ;   in Loop: Header=BB107_1101 Depth=1
	s_or_b64 exec, exec, s[10:11]
	s_sub_i32 s25, s7, s24
	s_lshl_b32 s34, s25, 6
	buffer_wbinvl1_vol
	s_barrier
	s_and_saveexec_b64 s[10:11], s[12:13]
	s_cbranch_execz .LBB107_1108
; %bb.1105:                             ;   in Loop: Header=BB107_1101 Depth=1
	s_ashr_i32 s18, s34, 31
	v_mov_b32_e32 v4, s18
	v_or_b32_e32 v3, s34, v1
	v_cmp_gt_i64_e32 vcc, s[30:31], v[3:4]
	v_mov_b32_e32 v5, 0
	s_and_saveexec_b64 s[18:19], vcc
	s_cbranch_execz .LBB107_1107
; %bb.1106:                             ;   in Loop: Header=BB107_1101 Depth=1
	v_mul_lo_u32 v5, v4, s26
	v_mul_lo_u32 v6, v3, s27
	v_mad_u64_u32 v[3:4], s[36:37], v3, s26, 0
	v_add3_u32 v4, v4, v6, v5
	v_lshlrev_b64 v[3:4], 2, v[3:4]
	v_mov_b32_e32 v5, s21
	v_add_co_u32_e32 v3, vcc, s20, v3
	v_addc_co_u32_e32 v4, vcc, v5, v4, vcc
	flat_load_dword v5, v[3:4]
.LBB107_1107:                           ;   in Loop: Header=BB107_1101 Depth=1
	s_or_b64 exec, exec, s[18:19]
	s_waitcnt vmcnt(0) lgkmcnt(0)
	ds_write_b32 v12, v5
.LBB107_1108:                           ;   in Loop: Header=BB107_1101 Depth=1
	s_or_b64 exec, exec, s[10:11]
	v_add_u32_e32 v5, s34, v2
	v_ashrrev_i32_e32 v6, 31, v5
	v_lshlrev_b64 v[3:4], 2, v[5:6]
	s_cmp_lg_u32 s25, s93
	v_add_co_u32_e32 v3, vcc, v14, v3
	s_cselect_b64 s[10:11], -1, 0
	v_addc_co_u32_e32 v4, vcc, v15, v4, vcc
	v_cmp_gt_i32_e32 vcc, s30, v5
	v_cndmask_b32_e64 v6, 0, 1, s[10:11]
	s_and_b64 s[34:35], vcc, s[8:9]
	v_cmp_ne_u32_e64 s[10:11], 1, v6
	s_waitcnt lgkmcnt(0)
	s_barrier
	s_and_saveexec_b64 s[18:19], s[34:35]
	s_cbranch_execz .LBB107_1112
; %bb.1109:                             ;   in Loop: Header=BB107_1101 Depth=1
	s_and_b64 vcc, exec, s[10:11]
	v_mov_b32_e32 v6, v8
	s_cbranch_vccnz .LBB107_1111
; %bb.1110:                             ;   in Loop: Header=BB107_1101 Depth=1
	flat_load_dword v6, v[3:4]
.LBB107_1111:                           ;   in Loop: Header=BB107_1101 Depth=1
	ds_read_b32 v18, v13
	s_waitcnt vmcnt(0) lgkmcnt(0)
	v_fmac_f32_e32 v11, v6, v18
.LBB107_1112:                           ;   in Loop: Header=BB107_1101 Depth=1
	s_or_b64 exec, exec, s[18:19]
	v_add_u32_e32 v6, 16, v5
	v_cmp_gt_i32_e32 vcc, s30, v6
	s_and_b64 s[34:35], vcc, s[8:9]
	s_and_saveexec_b64 s[18:19], s[34:35]
	s_cbranch_execz .LBB107_1116
; %bb.1113:                             ;   in Loop: Header=BB107_1101 Depth=1
	s_and_b64 vcc, exec, s[10:11]
	v_mov_b32_e32 v6, v7
	s_cbranch_vccnz .LBB107_1115
; %bb.1114:                             ;   in Loop: Header=BB107_1101 Depth=1
	flat_load_dword v6, v[3:4] offset:64
.LBB107_1115:                           ;   in Loop: Header=BB107_1101 Depth=1
	ds_read_b32 v18, v13 offset:64
	s_waitcnt vmcnt(0) lgkmcnt(0)
	v_fmac_f32_e32 v11, v6, v18
.LBB107_1116:                           ;   in Loop: Header=BB107_1101 Depth=1
	s_or_b64 exec, exec, s[18:19]
	v_add_u32_e32 v6, 32, v5
	v_cmp_gt_i32_e32 vcc, s30, v6
	s_and_b64 s[34:35], vcc, s[8:9]
	s_and_saveexec_b64 s[18:19], s[34:35]
	s_cbranch_execz .LBB107_1120
; %bb.1117:                             ;   in Loop: Header=BB107_1101 Depth=1
	s_and_b64 vcc, exec, s[10:11]
	v_mov_b32_e32 v6, v10
	s_cbranch_vccnz .LBB107_1119
; %bb.1118:                             ;   in Loop: Header=BB107_1101 Depth=1
	flat_load_dword v6, v[3:4] offset:128
.LBB107_1119:                           ;   in Loop: Header=BB107_1101 Depth=1
	ds_read_b32 v18, v13 offset:128
	s_waitcnt vmcnt(0) lgkmcnt(0)
	v_fmac_f32_e32 v11, v6, v18
.LBB107_1120:                           ;   in Loop: Header=BB107_1101 Depth=1
	s_or_b64 exec, exec, s[18:19]
	v_add_u32_e32 v5, 48, v5
	v_cmp_gt_i32_e32 vcc, s30, v5
	s_and_b64 s[34:35], vcc, s[8:9]
	s_and_saveexec_b64 s[18:19], s[34:35]
	s_cbranch_execz .LBB107_1100
; %bb.1121:                             ;   in Loop: Header=BB107_1101 Depth=1
	s_and_b64 vcc, exec, s[10:11]
	v_mov_b32_e32 v5, v9
	s_cbranch_vccnz .LBB107_1099
; %bb.1122:                             ;   in Loop: Header=BB107_1101 Depth=1
	flat_load_dword v5, v[3:4] offset:192
	s_branch .LBB107_1099
.LBB107_1123:
	v_lshl_add_u32 v3, v2, 6, v0
	s_xor_b64 s[4:5], s[22:23], -1
	v_lshlrev_b32_e32 v3, 2, v3
	ds_write_b32 v3, v11 offset:16384
	s_waitcnt lgkmcnt(0)
	s_barrier
	s_and_saveexec_b64 s[6:7], s[2:3]
	s_cbranch_execz .LBB107_1125
; %bb.1124:
	v_lshlrev_b32_e32 v10, 2, v0
	ds_read2st64_b32 v[4:5], v10 offset0:65 offset1:66
	ds_read2st64_b32 v[6:7], v10 offset0:67 offset1:68
	;; [unrolled: 1-line block ×5, first 2 shown]
	s_waitcnt lgkmcnt(4)
	v_add_f32_e32 v4, v11, v4
	v_add_f32_e32 v4, v4, v5
	s_waitcnt lgkmcnt(3)
	v_add_f32_e32 v4, v4, v6
	v_add_f32_e32 v4, v4, v7
	;; [unrolled: 3-line block ×4, first 2 shown]
	ds_read2st64_b32 v[4:5], v10 offset0:75 offset1:76
	ds_read2st64_b32 v[6:7], v10 offset0:77 offset1:78
	ds_read_b32 v9, v10 offset:20224
	s_waitcnt lgkmcnt(3)
	v_add_f32_e32 v8, v8, v14
	v_add_f32_e32 v8, v8, v15
	s_waitcnt lgkmcnt(2)
	v_add_f32_e32 v4, v8, v4
	v_add_f32_e32 v4, v4, v5
	;; [unrolled: 3-line block ×3, first 2 shown]
	s_waitcnt lgkmcnt(0)
	v_add_f32_e32 v4, v4, v9
	v_cndmask_b32_e64 v11, -v4, 0, s[14:15]
.LBB107_1125:
	s_or_b64 exec, exec, s[6:7]
	s_and_b64 vcc, exec, s[58:59]
	s_cbranch_vccnz .LBB107_1138
; %bb.1126:
	v_mov_b32_e32 v4, 0x5000
	v_lshl_or_b32 v5, v2, 2, v4
	s_and_saveexec_b64 s[6:7], s[2:3]
; %bb.1127:
	v_lshl_add_u32 v4, v0, 2, v5
	ds_write_b32 v4, v11
; %bb.1128:
	s_or_b64 exec, exec, s[6:7]
	v_cmp_le_u32_e32 vcc, v0, v2
	v_mov_b32_e32 v4, 0
	s_waitcnt lgkmcnt(0)
	s_barrier
	s_and_saveexec_b64 s[6:7], vcc
	s_cbranch_execz .LBB107_1130
; %bb.1129:
	ds_read_b32 v4, v3
	ds_read_b32 v6, v5
	s_waitcnt lgkmcnt(0)
	v_fma_f32 v4, v4, v6, 0
.LBB107_1130:
	s_or_b64 exec, exec, s[6:7]
	v_add_u32_e32 v6, 16, v2
	v_cmp_le_u32_e32 vcc, v0, v6
	s_and_saveexec_b64 s[6:7], vcc
	s_cbranch_execz .LBB107_1132
; %bb.1131:
	ds_read_b32 v6, v3 offset:4096
	ds_read_b32 v7, v5 offset:64
	s_waitcnt lgkmcnt(0)
	v_fmac_f32_e32 v4, v6, v7
.LBB107_1132:
	s_or_b64 exec, exec, s[6:7]
	v_add_u32_e32 v6, 32, v2
	v_cmp_le_u32_e32 vcc, v0, v6
	s_and_saveexec_b64 s[6:7], vcc
	s_cbranch_execz .LBB107_1134
; %bb.1133:
	ds_read_b32 v6, v3 offset:8192
	ds_read_b32 v7, v5 offset:128
	s_waitcnt lgkmcnt(0)
	v_fmac_f32_e32 v4, v6, v7
.LBB107_1134:
	s_or_b64 exec, exec, s[6:7]
	v_add_u32_e32 v2, 48, v2
	v_add_u32_e32 v6, 0x4000, v3
	v_cmp_le_u32_e32 vcc, v0, v2
	s_and_saveexec_b64 s[6:7], vcc
	s_cbranch_execz .LBB107_1136
; %bb.1135:
	ds_read_b32 v2, v3 offset:12288
	ds_read_b32 v3, v5 offset:192
	s_waitcnt lgkmcnt(0)
	v_fmac_f32_e32 v4, v2, v3
.LBB107_1136:
	s_or_b64 exec, exec, s[6:7]
	s_mov_b64 s[8:9], 0
	s_mov_b64 s[6:7], 0
	ds_write_b32 v6, v4
	s_waitcnt lgkmcnt(0)
	s_barrier
                                        ; implicit-def: $vgpr2
	s_and_saveexec_b64 s[10:11], s[2:3]
	s_cbranch_execz .LBB107_1201
; %bb.1137:
	v_lshlrev_b32_e32 v12, 2, v0
	ds_read2st64_b32 v[2:3], v12 offset0:65 offset1:66
	ds_read2st64_b32 v[5:6], v12 offset0:67 offset1:68
	;; [unrolled: 1-line block ×4, first 2 shown]
	s_mov_b64 s[6:7], exec
	s_waitcnt lgkmcnt(3)
	v_add_f32_e32 v2, v4, v2
	v_add_f32_e32 v2, v3, v2
	s_waitcnt lgkmcnt(2)
	v_add_f32_e32 v2, v5, v2
	v_add_f32_e32 v2, v6, v2
	;; [unrolled: 3-line block ×3, first 2 shown]
	s_waitcnt lgkmcnt(0)
	v_add_f32_e32 v4, v9, v2
	ds_read2st64_b32 v[2:3], v12 offset0:73 offset1:74
	v_add_f32_e32 v8, v10, v4
	ds_read2st64_b32 v[4:5], v12 offset0:75 offset1:76
	ds_read2st64_b32 v[6:7], v12 offset0:77 offset1:78
	ds_read_b32 v9, v12 offset:20224
	s_waitcnt lgkmcnt(3)
	v_add_f32_e32 v2, v2, v8
	v_add_f32_e32 v2, v3, v2
	s_waitcnt lgkmcnt(2)
	v_add_f32_e32 v2, v4, v2
	v_add_f32_e32 v2, v5, v2
	;; [unrolled: 3-line block ×3, first 2 shown]
	s_waitcnt lgkmcnt(0)
	v_add_f32_e32 v2, v9, v2
	s_or_b64 exec, exec, s[10:11]
	s_and_b64 vcc, exec, s[8:9]
	s_cbranch_vccnz .LBB107_1139
	s_branch .LBB107_1202
.LBB107_1138:
	s_mov_b64 s[6:7], 0
                                        ; implicit-def: $vgpr2
	s_cbranch_execz .LBB107_1202
.LBB107_1139:
	s_movk_i32 s8, 0x104
	v_lshlrev_b32_e32 v3, 8, v0
	v_mov_b32_e32 v4, 0x3c00
	v_mul_u32_u24_e32 v2, 0x104, v0
	v_sub_u32_e32 v3, 0, v3
	v_mad_u32_u24 v4, v0, s8, v4
	s_mov_b32 s10, 63
	s_movk_i32 s11, 0xc100
	v_mov_b32_e32 v5, 0
	s_branch .LBB107_1141
.LBB107_1140:                           ;   in Loop: Header=BB107_1141 Depth=1
	s_or_b64 exec, exec, s[8:9]
	s_add_i32 s10, s10, -4
	s_cmp_lg_u32 s12, 0
	v_add_u32_e32 v3, 0xfffffc00, v3
	s_barrier
	s_cbranch_scc0 .LBB107_1157
.LBB107_1141:                           ; =>This Inner Loop Header: Depth=1
	v_cmp_eq_u32_e32 vcc, s11, v3
	s_and_b64 s[12:13], s[2:3], vcc
	s_and_saveexec_b64 s[8:9], s[12:13]
	s_cbranch_execz .LBB107_1143
; %bb.1142:                             ;   in Loop: Header=BB107_1141 Depth=1
	ds_read_b32 v6, v2
	s_waitcnt lgkmcnt(0)
	v_mul_f32_e32 v11, v11, v6
	ds_write_b32 v5, v11 offset:20736
.LBB107_1143:                           ;   in Loop: Header=BB107_1141 Depth=1
	s_or_b64 exec, exec, s[8:9]
	v_cmp_gt_u32_e32 vcc, s10, v0
	s_and_b64 s[12:13], s[2:3], vcc
	v_add_u32_e32 v6, v4, v3
	s_waitcnt lgkmcnt(0)
	s_barrier
	s_and_saveexec_b64 s[8:9], s[12:13]
	s_cbranch_execz .LBB107_1145
; %bb.1144:                             ;   in Loop: Header=BB107_1141 Depth=1
	ds_read_b32 v7, v6 offset:768
	ds_read_b32 v8, v5 offset:20736
	s_waitcnt lgkmcnt(0)
	v_fmac_f32_e32 v11, v7, v8
.LBB107_1145:                           ;   in Loop: Header=BB107_1141 Depth=1
	s_or_b64 exec, exec, s[8:9]
	s_add_i32 s12, s10, -1
	v_cmp_eq_u32_e32 vcc, s12, v0
	s_and_b64 s[14:15], s[2:3], vcc
	s_barrier
	s_and_saveexec_b64 s[8:9], s[14:15]
	s_cbranch_execz .LBB107_1147
; %bb.1146:                             ;   in Loop: Header=BB107_1141 Depth=1
	ds_read_b32 v7, v2
	s_waitcnt lgkmcnt(0)
	v_mul_f32_e32 v11, v11, v7
	ds_write_b32 v5, v11 offset:20736
.LBB107_1147:                           ;   in Loop: Header=BB107_1141 Depth=1
	s_or_b64 exec, exec, s[8:9]
	v_cmp_gt_u32_e32 vcc, s12, v0
	s_and_b64 s[12:13], s[2:3], vcc
	s_waitcnt lgkmcnt(0)
	s_barrier
	s_and_saveexec_b64 s[8:9], s[12:13]
	s_cbranch_execz .LBB107_1149
; %bb.1148:                             ;   in Loop: Header=BB107_1141 Depth=1
	ds_read_b32 v7, v6 offset:512
	ds_read_b32 v8, v5 offset:20736
	s_waitcnt lgkmcnt(0)
	v_fmac_f32_e32 v11, v7, v8
.LBB107_1149:                           ;   in Loop: Header=BB107_1141 Depth=1
	s_or_b64 exec, exec, s[8:9]
	s_add_i32 s12, s10, -2
	v_cmp_eq_u32_e32 vcc, s12, v0
	s_and_b64 s[14:15], s[2:3], vcc
	s_barrier
	s_and_saveexec_b64 s[8:9], s[14:15]
	s_cbranch_execz .LBB107_1151
; %bb.1150:                             ;   in Loop: Header=BB107_1141 Depth=1
	ds_read_b32 v7, v2
	s_waitcnt lgkmcnt(0)
	v_mul_f32_e32 v11, v11, v7
	ds_write_b32 v5, v11 offset:20736
.LBB107_1151:                           ;   in Loop: Header=BB107_1141 Depth=1
	s_or_b64 exec, exec, s[8:9]
	v_cmp_gt_u32_e32 vcc, s12, v0
	s_and_b64 s[12:13], s[2:3], vcc
	s_waitcnt lgkmcnt(0)
	s_barrier
	s_and_saveexec_b64 s[8:9], s[12:13]
	s_cbranch_execz .LBB107_1153
; %bb.1152:                             ;   in Loop: Header=BB107_1141 Depth=1
	ds_read_b32 v7, v6 offset:256
	ds_read_b32 v8, v5 offset:20736
	s_waitcnt lgkmcnt(0)
	v_fmac_f32_e32 v11, v7, v8
.LBB107_1153:                           ;   in Loop: Header=BB107_1141 Depth=1
	s_or_b64 exec, exec, s[8:9]
	s_add_i32 s12, s10, -3
	v_cmp_eq_u32_e32 vcc, s12, v0
	s_and_b64 s[14:15], s[2:3], vcc
	s_barrier
	s_and_saveexec_b64 s[8:9], s[14:15]
	s_cbranch_execz .LBB107_1155
; %bb.1154:                             ;   in Loop: Header=BB107_1141 Depth=1
	ds_read_b32 v7, v2
	s_waitcnt lgkmcnt(0)
	v_mul_f32_e32 v11, v11, v7
	ds_write_b32 v5, v11 offset:20736
.LBB107_1155:                           ;   in Loop: Header=BB107_1141 Depth=1
	s_or_b64 exec, exec, s[8:9]
	v_cmp_gt_u32_e32 vcc, s12, v0
	s_and_b64 s[14:15], s[2:3], vcc
	s_waitcnt lgkmcnt(0)
	s_barrier
	s_and_saveexec_b64 s[8:9], s[14:15]
	s_cbranch_execz .LBB107_1140
; %bb.1156:                             ;   in Loop: Header=BB107_1141 Depth=1
	ds_read_b32 v6, v6
	ds_read_b32 v7, v5 offset:20736
	s_waitcnt lgkmcnt(0)
	v_fmac_f32_e32 v11, v6, v7
	s_branch .LBB107_1140
.LBB107_1157:
	s_mov_b64 s[8:9], -1
	s_and_b64 vcc, exec, s[4:5]
	s_cbranch_vccnz .LBB107_1203
; %bb.1158:
	s_andn2_b64 vcc, exec, s[8:9]
	s_cbranch_vccz .LBB107_1204
.LBB107_1159:
	s_and_saveexec_b64 s[2:3], s[6:7]
	s_cbranch_execz .LBB107_1161
.LBB107_1160:
	v_mov_b32_e32 v0, s40
	v_add_co_u32_e32 v2, vcc, s33, v1
	v_addc_co_u32_e32 v0, vcc, 0, v0, vcc
	v_mul_lo_u32 v0, v0, s26
	v_mul_lo_u32 v4, v2, s27
	v_mad_u64_u32 v[2:3], s[4:5], v2, s26, 0
	v_add3_u32 v3, v3, v4, v0
	v_lshlrev_b64 v[2:3], 2, v[2:3]
	v_mov_b32_e32 v0, s21
	v_add_co_u32_e32 v2, vcc, s20, v2
	v_addc_co_u32_e32 v3, vcc, v0, v3, vcc
	flat_store_dword v[2:3], v11
.LBB107_1161:
	s_or_b64 exec, exec, s[2:3]
	v_cmp_eq_u32_e32 vcc, 0, v1
	s_waitcnt vmcnt(0) lgkmcnt(0)
	buffer_wbinvl1_vol
	s_barrier
	s_and_saveexec_b64 s[2:3], vcc
	s_cbranch_execz .LBB107_1163
; %bb.1162:
	s_lshl_b64 s[4:5], s[28:29], 2
	s_add_u32 s0, s0, s4
	s_addc_u32 s1, s1, s5
	v_mov_b32_e32 v0, 0
	global_load_dword v1, v0, s[0:1]
	s_waitcnt vmcnt(0)
	v_add_u32_e32 v1, 1, v1
	global_store_dword v0, v1, s[0:1]
.LBB107_1163:
	s_or_b64 exec, exec, s[2:3]
	s_waitcnt vmcnt(0)
	buffer_wbinvl1_vol
	s_endpgm
.LBB107_1164:
                                        ; implicit-def: $vgpr9
                                        ; implicit-def: $vgpr10
                                        ; implicit-def: $vgpr7
                                        ; implicit-def: $vgpr8
                                        ; implicit-def: $sgpr33
	s_cbranch_execnz .LBB107_10
	s_branch .LBB107_11
.LBB107_1165:
	v_cmp_ne_u32_e32 vcc, v0, v2
	s_and_saveexec_b64 s[12:13], vcc
	s_xor_b64 s[12:13], exec, s[12:13]
; %bb.1166:
	v_or_b32_e32 v1, v2, v0
	v_cmp_gt_u32_e32 vcc, 64, v1
	s_and_b64 s[10:11], vcc, exec
                                        ; implicit-def: $vgpr5_vgpr6
; %bb.1167:
	s_or_saveexec_b64 s[12:13], s[12:13]
	v_mov_b32_e32 v1, 0
	s_xor_b64 exec, exec, s[12:13]
	s_cbranch_execz .LBB107_1169
; %bb.1168:
	v_lshlrev_b64 v[5:6], 2, v[5:6]
	v_mov_b32_e32 v1, s92
	v_add_co_u32_e32 v5, vcc, s91, v5
	v_addc_co_u32_e32 v6, vcc, v1, v6, vcc
	flat_load_dword v1, v[5:6]
	s_or_b64 s[10:11], s[10:11], exec
	s_waitcnt vmcnt(0) lgkmcnt(0)
	v_div_scale_f32 v5, s[14:15], v1, v1, 1.0
	v_div_scale_f32 v6, vcc, 1.0, v1, 1.0
	v_rcp_f32_e32 v12, v5
	v_fma_f32 v13, -v5, v12, 1.0
	v_fmac_f32_e32 v12, v13, v12
	v_mul_f32_e32 v13, v6, v12
	v_fma_f32 v14, -v5, v13, v6
	v_fmac_f32_e32 v13, v14, v12
	v_fma_f32 v5, -v5, v13, v6
	v_div_fmas_f32 v5, v5, v12, v13
	v_div_fixup_f32 v1, v5, v1, 1.0
.LBB107_1169:
	s_or_b64 exec, exec, s[12:13]
	s_and_b64 s[10:11], s[10:11], exec
                                        ; implicit-def: $vgpr5_vgpr6
	s_andn2_saveexec_b64 s[8:9], s[8:9]
	s_cbranch_execz .LBB107_14
.LBB107_1170:
	v_lshlrev_b64 v[5:6], 2, v[5:6]
	v_mov_b32_e32 v1, s92
	v_add_co_u32_e32 v5, vcc, s91, v5
	v_addc_co_u32_e32 v6, vcc, v1, v6, vcc
	flat_load_dword v1, v[5:6]
	s_or_b64 s[10:11], s[10:11], exec
	s_waitcnt vmcnt(0) lgkmcnt(0)
	v_xor_b32_e32 v1, 0x80000000, v1
	s_or_b64 exec, exec, s[8:9]
	s_and_saveexec_b64 s[8:9], s[10:11]
	s_cbranch_execnz .LBB107_15
	s_branch .LBB107_16
.LBB107_1171:
	v_cmp_ne_u32_e32 vcc, v0, v1
	s_and_saveexec_b64 s[10:11], vcc
	s_xor_b64 s[10:11], exec, s[10:11]
; %bb.1172:
	v_or_b32_e32 v5, v1, v0
	v_cmp_gt_u32_e32 vcc, 64, v5
	s_and_b64 s[8:9], vcc, exec
                                        ; implicit-def: $vgpr5_vgpr6
; %bb.1173:
	s_or_saveexec_b64 s[10:11], s[10:11]
	v_mov_b32_e32 v12, 0
	s_xor_b64 exec, exec, s[10:11]
	s_cbranch_execz .LBB107_1175
; %bb.1174:
	v_lshlrev_b64 v[5:6], 2, v[5:6]
	v_mov_b32_e32 v12, s92
	v_add_co_u32_e32 v5, vcc, s91, v5
	v_addc_co_u32_e32 v6, vcc, v12, v6, vcc
	flat_load_dword v5, v[5:6]
	s_or_b64 s[8:9], s[8:9], exec
	s_waitcnt vmcnt(0) lgkmcnt(0)
	v_div_scale_f32 v6, s[12:13], v5, v5, 1.0
	v_div_scale_f32 v12, vcc, 1.0, v5, 1.0
	v_rcp_f32_e32 v13, v6
	v_fma_f32 v14, -v6, v13, 1.0
	v_fmac_f32_e32 v13, v14, v13
	v_mul_f32_e32 v14, v12, v13
	v_fma_f32 v15, -v6, v14, v12
	v_fmac_f32_e32 v14, v15, v13
	v_fma_f32 v6, -v6, v14, v12
	v_div_fmas_f32 v6, v6, v13, v14
	v_div_fixup_f32 v12, v6, v5, 1.0
.LBB107_1175:
	s_or_b64 exec, exec, s[10:11]
	s_and_b64 s[8:9], s[8:9], exec
                                        ; implicit-def: $vgpr5_vgpr6
	s_andn2_saveexec_b64 s[2:3], s[2:3]
	s_cbranch_execz .LBB107_18
.LBB107_1176:
	v_lshlrev_b64 v[5:6], 2, v[5:6]
	v_mov_b32_e32 v12, s92
	v_add_co_u32_e32 v5, vcc, s91, v5
	v_addc_co_u32_e32 v6, vcc, v12, v6, vcc
	flat_load_dword v5, v[5:6]
	s_or_b64 s[8:9], s[8:9], exec
	s_waitcnt vmcnt(0) lgkmcnt(0)
	v_xor_b32_e32 v12, 0x80000000, v5
	s_or_b64 exec, exec, s[2:3]
	s_and_saveexec_b64 s[2:3], s[8:9]
	s_cbranch_execnz .LBB107_19
	s_branch .LBB107_20
.LBB107_1177:
	v_cmp_ne_u32_e32 vcc, v0, v1
	s_and_saveexec_b64 s[10:11], vcc
	s_xor_b64 s[10:11], exec, s[10:11]
; %bb.1178:
	v_or_b32_e32 v5, v1, v0
	v_cmp_gt_u32_e32 vcc, 64, v5
	s_and_b64 s[8:9], vcc, exec
                                        ; implicit-def: $vgpr5_vgpr6
; %bb.1179:
	s_or_saveexec_b64 s[10:11], s[10:11]
	v_mov_b32_e32 v12, 0
	s_xor_b64 exec, exec, s[10:11]
	s_cbranch_execz .LBB107_1181
; %bb.1180:
	v_lshlrev_b64 v[5:6], 2, v[5:6]
	v_mov_b32_e32 v12, s92
	v_add_co_u32_e32 v5, vcc, s91, v5
	v_addc_co_u32_e32 v6, vcc, v12, v6, vcc
	flat_load_dword v5, v[5:6]
	s_or_b64 s[8:9], s[8:9], exec
	s_waitcnt vmcnt(0) lgkmcnt(0)
	v_div_scale_f32 v6, s[12:13], v5, v5, 1.0
	v_div_scale_f32 v12, vcc, 1.0, v5, 1.0
	v_rcp_f32_e32 v13, v6
	v_fma_f32 v14, -v6, v13, 1.0
	v_fmac_f32_e32 v13, v14, v13
	v_mul_f32_e32 v14, v12, v13
	v_fma_f32 v15, -v6, v14, v12
	v_fmac_f32_e32 v14, v15, v13
	v_fma_f32 v6, -v6, v14, v12
	v_div_fmas_f32 v6, v6, v13, v14
	v_div_fixup_f32 v12, v6, v5, 1.0
.LBB107_1181:
	s_or_b64 exec, exec, s[10:11]
	s_and_b64 s[8:9], s[8:9], exec
                                        ; implicit-def: $vgpr5_vgpr6
	s_andn2_saveexec_b64 s[2:3], s[2:3]
	s_cbranch_execz .LBB107_22
.LBB107_1182:
	v_lshlrev_b64 v[5:6], 2, v[5:6]
	v_mov_b32_e32 v12, s92
	v_add_co_u32_e32 v5, vcc, s91, v5
	v_addc_co_u32_e32 v6, vcc, v12, v6, vcc
	flat_load_dword v5, v[5:6]
	s_or_b64 s[8:9], s[8:9], exec
	s_waitcnt vmcnt(0) lgkmcnt(0)
	v_xor_b32_e32 v12, 0x80000000, v5
	s_or_b64 exec, exec, s[2:3]
	s_and_saveexec_b64 s[2:3], s[8:9]
	s_cbranch_execnz .LBB107_23
	s_branch .LBB107_24
.LBB107_1183:
	v_cmp_ne_u32_e32 vcc, v0, v2
	s_xor_b64 s[12:13], s[2:3], -1
	s_or_b64 s[14:15], s[12:13], vcc
	s_mov_b64 s[12:13], 0
	s_and_saveexec_b64 s[16:17], s[14:15]
	s_xor_b64 s[14:15], exec, s[16:17]
; %bb.1184:
	v_or_b32_e32 v1, v2, v0
	v_cmp_gt_u32_e32 vcc, 64, v1
	s_and_b64 s[12:13], vcc, exec
                                        ; implicit-def: $vgpr5_vgpr6
; %bb.1185:
	s_or_saveexec_b64 s[14:15], s[14:15]
	v_mov_b32_e32 v1, 0
	s_xor_b64 exec, exec, s[14:15]
	s_cbranch_execz .LBB107_1187
; %bb.1186:
	v_lshlrev_b64 v[5:6], 2, v[5:6]
	v_mov_b32_e32 v1, s92
	v_add_co_u32_e32 v5, vcc, s91, v5
	v_addc_co_u32_e32 v6, vcc, v1, v6, vcc
	flat_load_dword v1, v[5:6]
	s_or_b64 s[12:13], s[12:13], exec
	s_waitcnt vmcnt(0) lgkmcnt(0)
	v_div_scale_f32 v5, s[16:17], v1, v1, 1.0
	v_div_scale_f32 v6, vcc, 1.0, v1, 1.0
	v_rcp_f32_e32 v12, v5
	v_fma_f32 v13, -v5, v12, 1.0
	v_fmac_f32_e32 v12, v13, v12
	v_mul_f32_e32 v13, v6, v12
	v_fma_f32 v14, -v5, v13, v6
	v_fmac_f32_e32 v13, v14, v12
	v_fma_f32 v5, -v5, v13, v6
	v_div_fmas_f32 v5, v5, v12, v13
	v_div_fixup_f32 v1, v5, v1, 1.0
.LBB107_1187:
	s_or_b64 exec, exec, s[14:15]
	s_and_b64 s[12:13], s[12:13], exec
                                        ; implicit-def: $vgpr5_vgpr6
	s_andn2_saveexec_b64 s[8:9], s[8:9]
	s_cbranch_execz .LBB107_36
.LBB107_1188:
	v_lshlrev_b64 v[5:6], 2, v[5:6]
	v_mov_b32_e32 v1, s92
	v_add_co_u32_e32 v5, vcc, s91, v5
	v_addc_co_u32_e32 v6, vcc, v1, v6, vcc
	flat_load_dword v1, v[5:6]
	s_or_b64 s[12:13], s[12:13], exec
	s_waitcnt vmcnt(0) lgkmcnt(0)
	v_xor_b32_e32 v1, 0x80000000, v1
	s_or_b64 exec, exec, s[8:9]
	s_and_saveexec_b64 s[8:9], s[12:13]
	s_cbranch_execnz .LBB107_37
	s_branch .LBB107_38
.LBB107_1189:
	v_cmp_ne_u32_e32 vcc, v0, v1
	s_xor_b64 s[12:13], s[2:3], -1
	s_or_b64 s[14:15], s[12:13], vcc
	s_mov_b64 s[12:13], 0
	s_and_saveexec_b64 s[16:17], s[14:15]
	s_xor_b64 s[14:15], exec, s[16:17]
; %bb.1190:
	v_or_b32_e32 v5, v1, v0
	v_cmp_gt_u32_e32 vcc, 64, v5
	s_and_b64 s[12:13], vcc, exec
                                        ; implicit-def: $vgpr5_vgpr6
; %bb.1191:
	s_or_saveexec_b64 s[14:15], s[14:15]
	v_mov_b32_e32 v12, 0
	s_xor_b64 exec, exec, s[14:15]
	s_cbranch_execz .LBB107_1193
; %bb.1192:
	v_lshlrev_b64 v[5:6], 2, v[5:6]
	v_mov_b32_e32 v12, s92
	v_add_co_u32_e32 v5, vcc, s91, v5
	v_addc_co_u32_e32 v6, vcc, v12, v6, vcc
	flat_load_dword v5, v[5:6]
	s_or_b64 s[12:13], s[12:13], exec
	s_waitcnt vmcnt(0) lgkmcnt(0)
	v_div_scale_f32 v6, s[16:17], v5, v5, 1.0
	v_div_scale_f32 v12, vcc, 1.0, v5, 1.0
	v_rcp_f32_e32 v13, v6
	v_fma_f32 v14, -v6, v13, 1.0
	v_fmac_f32_e32 v13, v14, v13
	v_mul_f32_e32 v14, v12, v13
	v_fma_f32 v15, -v6, v14, v12
	v_fmac_f32_e32 v14, v15, v13
	v_fma_f32 v6, -v6, v14, v12
	v_div_fmas_f32 v6, v6, v13, v14
	v_div_fixup_f32 v12, v6, v5, 1.0
.LBB107_1193:
	s_or_b64 exec, exec, s[14:15]
	s_and_b64 s[12:13], s[12:13], exec
                                        ; implicit-def: $vgpr5_vgpr6
	s_andn2_saveexec_b64 s[8:9], s[8:9]
	s_cbranch_execz .LBB107_40
.LBB107_1194:
	v_lshlrev_b64 v[5:6], 2, v[5:6]
	v_mov_b32_e32 v12, s92
	v_add_co_u32_e32 v5, vcc, s91, v5
	v_addc_co_u32_e32 v6, vcc, v12, v6, vcc
	flat_load_dword v5, v[5:6]
	s_or_b64 s[12:13], s[12:13], exec
	s_waitcnt vmcnt(0) lgkmcnt(0)
	v_xor_b32_e32 v12, 0x80000000, v5
	s_or_b64 exec, exec, s[8:9]
	s_and_saveexec_b64 s[8:9], s[12:13]
	s_cbranch_execnz .LBB107_41
	s_branch .LBB107_42
.LBB107_1195:
	v_cmp_ne_u32_e32 vcc, v0, v1
	s_xor_b64 s[12:13], s[2:3], -1
	s_or_b64 s[14:15], s[12:13], vcc
	s_mov_b64 s[12:13], 0
	s_and_saveexec_b64 s[16:17], s[14:15]
	s_xor_b64 s[14:15], exec, s[16:17]
; %bb.1196:
	v_or_b32_e32 v5, v1, v0
	v_cmp_gt_u32_e32 vcc, 64, v5
	s_and_b64 s[12:13], vcc, exec
                                        ; implicit-def: $vgpr5_vgpr6
; %bb.1197:
	s_or_saveexec_b64 s[14:15], s[14:15]
	v_mov_b32_e32 v12, 0
	s_xor_b64 exec, exec, s[14:15]
	s_cbranch_execz .LBB107_1199
; %bb.1198:
	v_lshlrev_b64 v[5:6], 2, v[5:6]
	v_mov_b32_e32 v12, s92
	v_add_co_u32_e32 v5, vcc, s91, v5
	v_addc_co_u32_e32 v6, vcc, v12, v6, vcc
	flat_load_dword v5, v[5:6]
	s_or_b64 s[12:13], s[12:13], exec
	s_waitcnt vmcnt(0) lgkmcnt(0)
	v_div_scale_f32 v6, s[16:17], v5, v5, 1.0
	v_div_scale_f32 v12, vcc, 1.0, v5, 1.0
	v_rcp_f32_e32 v13, v6
	v_fma_f32 v14, -v6, v13, 1.0
	v_fmac_f32_e32 v13, v14, v13
	v_mul_f32_e32 v14, v12, v13
	v_fma_f32 v15, -v6, v14, v12
	v_fmac_f32_e32 v14, v15, v13
	v_fma_f32 v6, -v6, v14, v12
	v_div_fmas_f32 v6, v6, v13, v14
	v_div_fixup_f32 v12, v6, v5, 1.0
.LBB107_1199:
	s_or_b64 exec, exec, s[14:15]
	s_and_b64 s[12:13], s[12:13], exec
                                        ; implicit-def: $vgpr5_vgpr6
	s_andn2_saveexec_b64 s[8:9], s[8:9]
	s_cbranch_execz .LBB107_44
.LBB107_1200:
	v_lshlrev_b64 v[5:6], 2, v[5:6]
	v_mov_b32_e32 v12, s92
	v_add_co_u32_e32 v5, vcc, s91, v5
	v_addc_co_u32_e32 v6, vcc, v12, v6, vcc
	flat_load_dword v5, v[5:6]
	s_or_b64 s[12:13], s[12:13], exec
	s_waitcnt vmcnt(0) lgkmcnt(0)
	v_xor_b32_e32 v12, 0x80000000, v5
	s_or_b64 exec, exec, s[8:9]
	s_and_saveexec_b64 s[8:9], s[12:13]
	s_cbranch_execnz .LBB107_45
	s_branch .LBB107_46
.LBB107_1201:
	s_or_b64 exec, exec, s[10:11]
	s_and_b64 vcc, exec, s[8:9]
	s_cbranch_vccnz .LBB107_1139
.LBB107_1202:
	v_mov_b32_e32 v11, v2
	s_and_saveexec_b64 s[2:3], s[6:7]
	s_cbranch_execnz .LBB107_1160
	s_branch .LBB107_1161
.LBB107_1203:
	s_andn2_b64 s[4:5], s[6:7], exec
	s_and_b64 s[6:7], s[2:3], exec
	s_or_b64 s[6:7], s[4:5], s[6:7]
	s_cbranch_execnz .LBB107_1159
.LBB107_1204:
	v_cmp_gt_i32_e32 vcc, s90, v0
	s_and_b64 s[2:3], s[2:3], vcc
	s_andn2_b64 s[4:5], s[6:7], exec
	s_and_b64 s[2:3], s[2:3], exec
	s_or_b64 s[6:7], s[4:5], s[2:3]
	s_and_saveexec_b64 s[2:3], s[6:7]
	s_cbranch_execnz .LBB107_1160
	s_branch .LBB107_1161
.LBB107_1205:
	v_lshlrev_b32_e32 v16, 2, v14
	v_sub_u32_e32 v16, v15, v16
	v_lshl_add_u32 v16, v13, 2, v16
	ds_read_b32 v16, v16 offset:272
	ds_read_b32 v17, v15 offset:4
	s_waitcnt lgkmcnt(0)
	v_fmac_f32_e32 v12, v16, v17
	s_or_b64 exec, exec, s[14:15]
	v_cmp_gt_u32_e64 s[10:11], 8, v4
	s_and_saveexec_b64 s[14:15], s[10:11]
	s_cbranch_execz .LBB107_79
.LBB107_1206:
	ds_read_b32 v16, v6 offset:528
	ds_read_b32 v15, v15 offset:8
	s_waitcnt lgkmcnt(0)
	v_fmac_f32_e32 v12, v16, v15
	s_or_b64 exec, exec, s[14:15]
	v_cmp_gt_u32_e64 s[10:11], 4, v4
	s_and_saveexec_b64 s[14:15], s[10:11]
	s_cbranch_execnz .LBB107_80
	s_branch .LBB107_81
.LBB107_1207:
	v_lshlrev_b32_e32 v21, 2, v19
	v_sub_u32_e32 v21, v20, v21
	v_lshl_add_u32 v21, v18, 2, v21
	ds_read_b32 v21, v21 offset:288
	ds_read_b32 v22, v20 offset:4
	s_waitcnt lgkmcnt(0)
	v_fmac_f32_e32 v17, v21, v22
	s_or_b64 exec, exec, s[16:17]
	v_cmp_gt_u32_e64 s[14:15], 48, v4
	s_and_saveexec_b64 s[16:17], s[14:15]
	s_cbranch_execz .LBB107_121
.LBB107_1208:
	v_lshlrev_b32_e32 v21, 2, v19
	v_sub_u32_e32 v21, v20, v21
	v_lshl_add_u32 v21, v18, 2, v21
	ds_read_b32 v21, v21 offset:544
	ds_read_b32 v22, v20 offset:8
	s_waitcnt lgkmcnt(0)
	v_fmac_f32_e32 v17, v21, v22
	s_or_b64 exec, exec, s[16:17]
	v_cmp_gt_u32_e64 s[14:15], 40, v4
	s_and_saveexec_b64 s[16:17], s[14:15]
	s_cbranch_execz .LBB107_122
.LBB107_1209:
	v_lshlrev_b32_e32 v21, 2, v19
	v_sub_u32_e32 v21, v20, v21
	v_lshl_add_u32 v21, v18, 2, v21
	ds_read_b32 v21, v21 offset:800
	ds_read_b32 v22, v20 offset:12
	s_waitcnt lgkmcnt(0)
	v_fmac_f32_e32 v17, v21, v22
	s_or_b64 exec, exec, s[16:17]
	v_cmp_gt_u32_e64 s[14:15], 32, v4
	s_and_saveexec_b64 s[16:17], s[14:15]
	s_cbranch_execz .LBB107_123
.LBB107_1210:
	ds_read_b32 v21, v15 offset:1056
	ds_read_b32 v22, v20 offset:16
	s_waitcnt lgkmcnt(0)
	v_fmac_f32_e32 v17, v21, v22
	s_or_b64 exec, exec, s[16:17]
	v_cmp_gt_u32_e64 s[14:15], 24, v4
	s_and_saveexec_b64 s[16:17], s[14:15]
	s_cbranch_execz .LBB107_124
.LBB107_1211:
	v_lshlrev_b32_e32 v21, 2, v19
	v_sub_u32_e32 v21, v20, v21
	v_lshl_add_u32 v21, v18, 2, v21
	ds_read_b32 v21, v21 offset:1312
	ds_read_b32 v22, v20 offset:20
	s_waitcnt lgkmcnt(0)
	v_fmac_f32_e32 v17, v21, v22
	s_or_b64 exec, exec, s[16:17]
	v_cmp_gt_u32_e64 s[14:15], 16, v4
	s_and_saveexec_b64 s[16:17], s[14:15]
	s_cbranch_execz .LBB107_125
.LBB107_1212:
	ds_read_b32 v21, v15 offset:1568
	ds_read_b32 v20, v20 offset:24
	s_waitcnt lgkmcnt(0)
	v_fmac_f32_e32 v17, v21, v20
	s_or_b64 exec, exec, s[16:17]
	v_cmp_gt_u32_e64 s[14:15], 8, v4
	s_and_saveexec_b64 s[16:17], s[14:15]
	s_cbranch_execnz .LBB107_126
	s_branch .LBB107_127
.LBB107_1213:
	v_lshlrev_b32_e32 v22, 2, v14
	v_sub_u32_e32 v22, v21, v22
	v_lshl_add_u32 v22, v13, 2, v22
	ds_read_b32 v22, v22 offset:2352
	ds_read_b32 v23, v21 offset:2084
	s_waitcnt lgkmcnt(0)
	v_fmac_f32_e32 v20, v22, v23
	s_or_b64 exec, exec, s[14:15]
	v_cmp_gt_u32_e64 s[10:11], 8, v4
	s_and_saveexec_b64 s[14:15], s[10:11]
	s_cbranch_execz .LBB107_183
.LBB107_1214:
	ds_read_b32 v22, v6 offset:2608
	ds_read_b32 v21, v21 offset:2088
	s_waitcnt lgkmcnt(0)
	v_fmac_f32_e32 v20, v22, v21
	s_or_b64 exec, exec, s[14:15]
	v_cmp_gt_u32_e64 s[10:11], 4, v4
	s_and_saveexec_b64 s[14:15], s[10:11]
	s_cbranch_execnz .LBB107_184
	s_branch .LBB107_185
.LBB107_1215:
	v_lshlrev_b32_e32 v26, 2, v21
	v_lshl_add_u32 v26, v23, 2, v26
	ds_read_b32 v26, v26 offset:2880
	ds_read_b32 v27, v25 offset:44
	s_waitcnt lgkmcnt(0)
	v_fmac_f32_e32 v22, v26, v27
	s_or_b64 exec, exec, s[20:21]
	v_cmp_gt_u32_e64 s[16:17], 64, v4
	s_and_saveexec_b64 s[20:21], s[16:17]
	s_cbranch_execz .LBB107_245
.LBB107_1216:
	ds_read_b32 v26, v20 offset:3136
	ds_read_b32 v27, v25 offset:48
	s_waitcnt lgkmcnt(0)
	v_fmac_f32_e32 v22, v26, v27
	s_or_b64 exec, exec, s[20:21]
	v_cmp_gt_u32_e64 s[16:17], 48, v4
	s_and_saveexec_b64 s[20:21], s[16:17]
	s_cbranch_execz .LBB107_246
.LBB107_1217:
	v_lshlrev_b32_e32 v26, 2, v21
	v_lshl_add_u32 v26, v23, 2, v26
	ds_read_b32 v26, v26 offset:3392
	ds_read_b32 v27, v25 offset:52
	s_waitcnt lgkmcnt(0)
	v_fmac_f32_e32 v22, v26, v27
	s_or_b64 exec, exec, s[20:21]
	v_cmp_gt_u32_e64 s[16:17], 32, v4
	s_and_saveexec_b64 s[20:21], s[16:17]
	s_cbranch_execz .LBB107_247
.LBB107_1218:
	ds_read_b32 v26, v20 offset:3648
	ds_read_b32 v25, v25 offset:56
	s_waitcnt lgkmcnt(0)
	v_fmac_f32_e32 v22, v26, v25
	s_or_b64 exec, exec, s[20:21]
	v_cmp_gt_u32_e64 s[16:17], 16, v4
	s_and_saveexec_b64 s[20:21], s[16:17]
	s_cbranch_execnz .LBB107_248
	s_branch .LBB107_249
.LBB107_1219:
	v_lshlrev_b32_e32 v27, 2, v14
	v_sub_u32_e32 v27, v26, v27
	v_lshl_add_u32 v27, v13, 2, v27
	ds_read_b32 v27, v27 offset:4432
	ds_read_b32 v28, v26 offset:4164
	s_waitcnt lgkmcnt(0)
	v_fmac_f32_e32 v25, v27, v28
	s_or_b64 exec, exec, s[20:21]
	v_cmp_gt_u32_e64 s[14:15], 8, v4
	s_and_saveexec_b64 s[0:1], s[14:15]
	s_cbranch_execz .LBB107_337
.LBB107_1220:
	ds_read_b32 v27, v6 offset:4688
	ds_read_b32 v26, v26 offset:4168
	s_waitcnt lgkmcnt(0)
	v_fmac_f32_e32 v25, v27, v26
	s_or_b64 exec, exec, s[0:1]
	v_cmp_gt_u32_e64 s[14:15], 4, v4
	s_and_saveexec_b64 s[20:21], s[14:15]
	s_cbranch_execnz .LBB107_338
	s_branch .LBB107_339
.LBB107_1221:
	v_lshlrev_b32_e32 v27, 2, v19
	v_sub_u32_e32 v27, v26, v27
	v_lshl_add_u32 v27, v18, 2, v27
	ds_read_b32 v27, v27 offset:4448
	ds_read_b32 v28, v26 offset:4164
	s_waitcnt lgkmcnt(0)
	v_fmac_f32_e32 v25, v27, v28
	s_or_b64 exec, exec, s[20:21]
	v_cmp_gt_u32_e64 s[14:15], 48, v4
	s_and_saveexec_b64 s[20:21], s[14:15]
	s_cbranch_execz .LBB107_379
.LBB107_1222:
	v_lshlrev_b32_e32 v27, 2, v19
	v_sub_u32_e32 v27, v26, v27
	v_lshl_add_u32 v27, v18, 2, v27
	ds_read_b32 v27, v27 offset:4704
	ds_read_b32 v28, v26 offset:4168
	s_waitcnt lgkmcnt(0)
	v_fmac_f32_e32 v25, v27, v28
	s_or_b64 exec, exec, s[20:21]
	v_cmp_gt_u32_e64 s[14:15], 40, v4
	s_and_saveexec_b64 s[20:21], s[14:15]
	s_cbranch_execz .LBB107_380
.LBB107_1223:
	v_lshlrev_b32_e32 v27, 2, v19
	v_sub_u32_e32 v27, v26, v27
	v_lshl_add_u32 v27, v18, 2, v27
	ds_read_b32 v27, v27 offset:4960
	ds_read_b32 v28, v26 offset:4172
	s_waitcnt lgkmcnt(0)
	v_fmac_f32_e32 v25, v27, v28
	s_or_b64 exec, exec, s[20:21]
	v_cmp_gt_u32_e64 s[14:15], 32, v4
	s_and_saveexec_b64 s[0:1], s[14:15]
	s_cbranch_execz .LBB107_381
.LBB107_1224:
	ds_read_b32 v27, v15 offset:5216
	ds_read_b32 v28, v26 offset:4176
	s_waitcnt lgkmcnt(0)
	v_fmac_f32_e32 v25, v27, v28
	s_or_b64 exec, exec, s[0:1]
	v_cmp_gt_u32_e64 s[14:15], 24, v4
	s_and_saveexec_b64 s[20:21], s[14:15]
	s_cbranch_execz .LBB107_382
.LBB107_1225:
	v_lshlrev_b32_e32 v27, 2, v19
	v_sub_u32_e32 v27, v26, v27
	v_lshl_add_u32 v27, v18, 2, v27
	ds_read_b32 v27, v27 offset:5472
	ds_read_b32 v28, v26 offset:4180
	s_waitcnt lgkmcnt(0)
	v_fmac_f32_e32 v25, v27, v28
	s_or_b64 exec, exec, s[20:21]
	v_cmp_gt_u32_e64 s[14:15], 16, v4
	s_and_saveexec_b64 s[0:1], s[14:15]
	s_cbranch_execz .LBB107_383
.LBB107_1226:
	ds_read_b32 v27, v15 offset:5728
	ds_read_b32 v26, v26 offset:4184
	s_waitcnt lgkmcnt(0)
	v_fmac_f32_e32 v25, v27, v26
	s_or_b64 exec, exec, s[0:1]
	v_cmp_gt_u32_e64 s[14:15], 8, v4
	s_and_saveexec_b64 s[20:21], s[14:15]
	s_cbranch_execnz .LBB107_384
	s_branch .LBB107_385
.LBB107_1227:
	v_lshlrev_b32_e32 v27, 2, v14
	v_sub_u32_e32 v27, v26, v27
	v_lshl_add_u32 v27, v13, 2, v27
	ds_read_b32 v27, v27 offset:6512
	ds_read_b32 v28, v26 offset:6244
	s_waitcnt lgkmcnt(0)
	v_fmac_f32_e32 v25, v27, v28
	s_or_b64 exec, exec, s[20:21]
	v_cmp_gt_u32_e64 s[14:15], 8, v4
	s_and_saveexec_b64 s[0:1], s[14:15]
	s_cbranch_execz .LBB107_441
.LBB107_1228:
	ds_read_b32 v27, v6 offset:6768
	ds_read_b32 v26, v26 offset:6248
	s_waitcnt lgkmcnt(0)
	v_fmac_f32_e32 v25, v27, v26
	s_or_b64 exec, exec, s[0:1]
	v_cmp_gt_u32_e64 s[14:15], 4, v4
	s_and_saveexec_b64 s[20:21], s[14:15]
	s_cbranch_execnz .LBB107_442
	s_branch .LBB107_443
.LBB107_1229:
	ds_read_b32 v31, v25 offset:7552
	ds_read_b32 v32, v30 offset:116
	s_waitcnt lgkmcnt(0)
	v_fmac_f32_e32 v28, v31, v32
	s_or_b64 exec, exec, s[0:1]
	v_cmp_gt_u32_e64 s[20:21], 64, v4
	s_and_saveexec_b64 s[0:1], s[20:21]
	s_cbranch_execz .LBB107_539
.LBB107_1230:
	ds_read_b32 v31, v25 offset:7808
	ds_read_b32 v30, v30 offset:120
	s_waitcnt lgkmcnt(0)
	v_fmac_f32_e32 v28, v31, v30
	s_or_b64 exec, exec, s[0:1]
	v_cmp_gt_u32_e64 s[20:21], 32, v4
	s_and_saveexec_b64 s[0:1], s[20:21]
	s_cbranch_execnz .LBB107_540
	s_branch .LBB107_541
.LBB107_1231:
	v_lshlrev_b32_e32 v27, 2, v14
	v_sub_u32_e32 v27, v26, v27
	v_lshl_add_u32 v27, v13, 2, v27
	ds_read_b32 v27, v27 offset:8592
	ds_read_b32 v28, v26 offset:8324
	s_waitcnt lgkmcnt(0)
	v_fmac_f32_e32 v25, v27, v28
	s_or_b64 exec, exec, s[16:17]
	v_cmp_gt_u32_e64 s[12:13], 8, v4
	s_and_saveexec_b64 s[0:1], s[12:13]
	s_cbranch_execz .LBB107_693
.LBB107_1232:
	ds_read_b32 v27, v6 offset:8848
	ds_read_b32 v26, v26 offset:8328
	s_waitcnt lgkmcnt(0)
	v_fmac_f32_e32 v25, v27, v26
	s_or_b64 exec, exec, s[0:1]
	v_cmp_gt_u32_e64 s[12:13], 4, v4
	s_and_saveexec_b64 s[0:1], s[12:13]
	s_cbranch_execnz .LBB107_694
	s_branch .LBB107_695
.LBB107_1233:
	v_lshlrev_b32_e32 v27, 2, v19
	v_sub_u32_e32 v27, v26, v27
	v_lshl_add_u32 v27, v18, 2, v27
	ds_read_b32 v27, v27 offset:8608
	ds_read_b32 v28, v26 offset:8324
	s_waitcnt lgkmcnt(0)
	v_fmac_f32_e32 v25, v27, v28
	s_or_b64 exec, exec, s[16:17]
	v_cmp_gt_u32_e64 s[12:13], 48, v4
	s_and_saveexec_b64 s[0:1], s[12:13]
	s_cbranch_execz .LBB107_735
.LBB107_1234:
	v_lshlrev_b32_e32 v27, 2, v19
	v_sub_u32_e32 v27, v26, v27
	v_lshl_add_u32 v27, v18, 2, v27
	ds_read_b32 v27, v27 offset:8864
	ds_read_b32 v28, v26 offset:8328
	s_waitcnt lgkmcnt(0)
	v_fmac_f32_e32 v25, v27, v28
	s_or_b64 exec, exec, s[0:1]
	v_cmp_gt_u32_e64 s[12:13], 40, v4
	s_and_saveexec_b64 s[0:1], s[12:13]
	s_cbranch_execz .LBB107_736
.LBB107_1235:
	v_lshlrev_b32_e32 v27, 2, v19
	v_sub_u32_e32 v27, v26, v27
	v_lshl_add_u32 v27, v18, 2, v27
	ds_read_b32 v27, v27 offset:9120
	ds_read_b32 v28, v26 offset:8332
	s_waitcnt lgkmcnt(0)
	v_fmac_f32_e32 v25, v27, v28
	s_or_b64 exec, exec, s[0:1]
	v_cmp_gt_u32_e64 s[12:13], 32, v4
	s_and_saveexec_b64 s[0:1], s[12:13]
	s_cbranch_execz .LBB107_737
.LBB107_1236:
	ds_read_b32 v27, v15 offset:9376
	ds_read_b32 v28, v26 offset:8336
	s_waitcnt lgkmcnt(0)
	v_fmac_f32_e32 v25, v27, v28
	s_or_b64 exec, exec, s[0:1]
	v_cmp_gt_u32_e64 s[12:13], 24, v4
	s_and_saveexec_b64 s[0:1], s[12:13]
	s_cbranch_execz .LBB107_738
.LBB107_1237:
	v_lshlrev_b32_e32 v27, 2, v19
	v_sub_u32_e32 v27, v26, v27
	v_lshl_add_u32 v27, v18, 2, v27
	ds_read_b32 v27, v27 offset:9632
	ds_read_b32 v28, v26 offset:8340
	s_waitcnt lgkmcnt(0)
	v_fmac_f32_e32 v25, v27, v28
	s_or_b64 exec, exec, s[0:1]
	v_cmp_gt_u32_e64 s[12:13], 16, v4
	s_and_saveexec_b64 s[0:1], s[12:13]
	s_cbranch_execz .LBB107_739
.LBB107_1238:
	ds_read_b32 v27, v15 offset:9888
	ds_read_b32 v26, v26 offset:8344
	s_waitcnt lgkmcnt(0)
	v_fmac_f32_e32 v25, v27, v26
	s_or_b64 exec, exec, s[0:1]
	v_cmp_gt_u32_e64 s[12:13], 8, v4
	s_and_saveexec_b64 s[0:1], s[12:13]
	s_cbranch_execnz .LBB107_740
	s_branch .LBB107_741
.LBB107_1239:
	v_lshlrev_b32_e32 v27, 2, v14
	v_sub_u32_e32 v27, v26, v27
	v_lshl_add_u32 v27, v13, 2, v27
	ds_read_b32 v27, v27 offset:10672
	ds_read_b32 v28, v26 offset:10404
	s_waitcnt lgkmcnt(0)
	v_fmac_f32_e32 v25, v27, v28
	s_or_b64 exec, exec, s[16:17]
	v_cmp_gt_u32_e64 s[12:13], 8, v4
	s_and_saveexec_b64 s[0:1], s[12:13]
	s_cbranch_execz .LBB107_797
.LBB107_1240:
	ds_read_b32 v27, v6 offset:10928
	ds_read_b32 v26, v26 offset:10408
	s_waitcnt lgkmcnt(0)
	v_fmac_f32_e32 v25, v27, v26
	s_or_b64 exec, exec, s[0:1]
	v_cmp_gt_u32_e64 s[12:13], 4, v4
	s_and_saveexec_b64 s[0:1], s[12:13]
	s_cbranch_execnz .LBB107_798
	s_branch .LBB107_799
.LBB107_1241:
	v_lshlrev_b32_e32 v24, 2, v21
	v_lshl_add_u32 v24, v23, 2, v24
	ds_read_b32 v24, v24 offset:11200
	ds_read_b32 v27, v26 offset:8364
	s_waitcnt lgkmcnt(0)
	v_fmac_f32_e32 v25, v24, v27
	s_or_b64 exec, exec, s[0:1]
	v_cmp_gt_u32_e64 s[12:13], 64, v4
	s_and_saveexec_b64 s[0:1], s[12:13]
	s_cbranch_execz .LBB107_859
.LBB107_1242:
	ds_read_b32 v24, v20 offset:11456
	ds_read_b32 v27, v26 offset:8368
	s_waitcnt lgkmcnt(0)
	v_fmac_f32_e32 v25, v24, v27
	s_or_b64 exec, exec, s[0:1]
	v_cmp_gt_u32_e64 s[12:13], 48, v4
	s_and_saveexec_b64 s[0:1], s[12:13]
	s_cbranch_execz .LBB107_860
.LBB107_1243:
	v_lshlrev_b32_e32 v24, 2, v21
	v_lshl_add_u32 v23, v23, 2, v24
	ds_read_b32 v23, v23 offset:11712
	ds_read_b32 v24, v26 offset:8372
	s_waitcnt lgkmcnt(0)
	v_fmac_f32_e32 v25, v23, v24
	s_or_b64 exec, exec, s[0:1]
	v_cmp_gt_u32_e64 s[12:13], 32, v4
	s_and_saveexec_b64 s[0:1], s[12:13]
	s_cbranch_execz .LBB107_861
.LBB107_1244:
	ds_read_b32 v23, v20 offset:11968
	ds_read_b32 v24, v26 offset:8376
	s_waitcnt lgkmcnt(0)
	v_fmac_f32_e32 v25, v23, v24
	s_or_b64 exec, exec, s[0:1]
	v_cmp_gt_u32_e64 s[12:13], 16, v4
	s_and_saveexec_b64 s[0:1], s[12:13]
	s_cbranch_execnz .LBB107_862
	s_branch .LBB107_863
.LBB107_1245:
	v_lshlrev_b32_e32 v22, 2, v14
	v_sub_u32_e32 v22, v21, v22
	v_lshl_add_u32 v22, v13, 2, v22
	ds_read_b32 v22, v22 offset:12752
	ds_read_b32 v23, v21 offset:12484
	s_waitcnt lgkmcnt(0)
	v_fmac_f32_e32 v20, v22, v23
	s_or_b64 exec, exec, s[12:13]
	v_cmp_gt_u32_e64 s[10:11], 8, v4
	s_and_saveexec_b64 s[12:13], s[10:11]
	s_cbranch_execz .LBB107_951
.LBB107_1246:
	ds_read_b32 v22, v6 offset:13008
	ds_read_b32 v21, v21 offset:12488
	s_waitcnt lgkmcnt(0)
	v_fmac_f32_e32 v20, v22, v21
	s_or_b64 exec, exec, s[12:13]
	v_cmp_gt_u32_e64 s[10:11], 4, v4
	s_and_saveexec_b64 s[12:13], s[10:11]
	s_cbranch_execnz .LBB107_952
	s_branch .LBB107_953
.LBB107_1247:
	v_lshlrev_b32_e32 v22, 2, v19
	v_sub_u32_e32 v22, v21, v22
	v_lshl_add_u32 v22, v18, 2, v22
	ds_read_b32 v22, v22 offset:12768
	ds_read_b32 v23, v21 offset:12484
	s_waitcnt lgkmcnt(0)
	v_fmac_f32_e32 v20, v22, v23
	s_or_b64 exec, exec, s[12:13]
	v_cmp_gt_u32_e64 s[10:11], 48, v4
	s_and_saveexec_b64 s[12:13], s[10:11]
	s_cbranch_execz .LBB107_993
.LBB107_1248:
	v_lshlrev_b32_e32 v22, 2, v19
	v_sub_u32_e32 v22, v21, v22
	v_lshl_add_u32 v22, v18, 2, v22
	ds_read_b32 v22, v22 offset:13024
	ds_read_b32 v23, v21 offset:12488
	s_waitcnt lgkmcnt(0)
	v_fmac_f32_e32 v20, v22, v23
	s_or_b64 exec, exec, s[12:13]
	v_cmp_gt_u32_e64 s[10:11], 40, v4
	s_and_saveexec_b64 s[12:13], s[10:11]
	s_cbranch_execz .LBB107_994
.LBB107_1249:
	v_lshlrev_b32_e32 v22, 2, v19
	v_sub_u32_e32 v22, v21, v22
	v_lshl_add_u32 v22, v18, 2, v22
	ds_read_b32 v22, v22 offset:13280
	ds_read_b32 v23, v21 offset:12492
	s_waitcnt lgkmcnt(0)
	v_fmac_f32_e32 v20, v22, v23
	s_or_b64 exec, exec, s[12:13]
	v_cmp_gt_u32_e64 s[10:11], 32, v4
	s_and_saveexec_b64 s[12:13], s[10:11]
	s_cbranch_execz .LBB107_995
.LBB107_1250:
	ds_read_b32 v22, v15 offset:13536
	ds_read_b32 v23, v21 offset:12496
	s_waitcnt lgkmcnt(0)
	v_fmac_f32_e32 v20, v22, v23
	s_or_b64 exec, exec, s[12:13]
	v_cmp_gt_u32_e64 s[10:11], 24, v4
	s_and_saveexec_b64 s[12:13], s[10:11]
	s_cbranch_execz .LBB107_996
.LBB107_1251:
	v_lshlrev_b32_e32 v19, 2, v19
	v_sub_u32_e32 v19, v21, v19
	v_lshl_add_u32 v18, v18, 2, v19
	ds_read_b32 v18, v18 offset:13792
	ds_read_b32 v19, v21 offset:12500
	s_waitcnt lgkmcnt(0)
	v_fmac_f32_e32 v20, v18, v19
	s_or_b64 exec, exec, s[12:13]
	v_cmp_gt_u32_e64 s[10:11], 16, v4
	s_and_saveexec_b64 s[12:13], s[10:11]
	s_cbranch_execz .LBB107_997
.LBB107_1252:
	ds_read_b32 v18, v15 offset:14048
	ds_read_b32 v19, v21 offset:12504
	s_waitcnt lgkmcnt(0)
	v_fmac_f32_e32 v20, v18, v19
	s_or_b64 exec, exec, s[12:13]
	v_cmp_gt_u32_e64 s[10:11], 8, v4
	s_and_saveexec_b64 s[12:13], s[10:11]
	s_cbranch_execnz .LBB107_998
	s_branch .LBB107_999
.LBB107_1253:
	v_lshlrev_b32_e32 v14, 2, v14
	v_sub_u32_e32 v14, v16, v14
	v_lshl_add_u32 v13, v13, 2, v14
	ds_read_b32 v13, v13 offset:14832
	ds_read_b32 v14, v16 offset:14564
	s_waitcnt lgkmcnt(0)
	v_fmac_f32_e32 v15, v13, v14
	s_or_b64 exec, exec, s[10:11]
	v_cmp_gt_u32_e64 s[8:9], 8, v4
	s_and_saveexec_b64 s[10:11], s[8:9]
	s_cbranch_execz .LBB107_1055
.LBB107_1254:
	ds_read_b32 v13, v6 offset:15088
	ds_read_b32 v14, v16 offset:14568
	s_waitcnt lgkmcnt(0)
	v_fmac_f32_e32 v15, v13, v14
	s_or_b64 exec, exec, s[10:11]
	v_cmp_gt_u32_e64 s[8:9], 4, v4
	s_and_saveexec_b64 s[10:11], s[8:9]
	s_cbranch_execnz .LBB107_1056
	s_branch .LBB107_1057
	.section	.rodata,"a",@progbits
	.p2align	6, 0x0
	.amdhsa_kernel _ZL19rocblas_trsv_deviceILi64ELi16ELb1ELb1ELb0ELb0EfPKfPKS1_PKPfEviT7_lllT6_T8_lllPii
		.amdhsa_group_segment_fixed_size 20740
		.amdhsa_private_segment_fixed_size 0
		.amdhsa_kernarg_size 352
		.amdhsa_user_sgpr_count 6
		.amdhsa_user_sgpr_private_segment_buffer 1
		.amdhsa_user_sgpr_dispatch_ptr 0
		.amdhsa_user_sgpr_queue_ptr 0
		.amdhsa_user_sgpr_kernarg_segment_ptr 1
		.amdhsa_user_sgpr_dispatch_id 0
		.amdhsa_user_sgpr_flat_scratch_init 0
		.amdhsa_user_sgpr_private_segment_size 0
		.amdhsa_uses_dynamic_stack 0
		.amdhsa_system_sgpr_private_segment_wavefront_offset 0
		.amdhsa_system_sgpr_workgroup_id_x 1
		.amdhsa_system_sgpr_workgroup_id_y 0
		.amdhsa_system_sgpr_workgroup_id_z 1
		.amdhsa_system_sgpr_workgroup_info 0
		.amdhsa_system_vgpr_workitem_id 1
		.amdhsa_next_free_vgpr 34
		.amdhsa_next_free_sgpr 96
		.amdhsa_reserve_vcc 1
		.amdhsa_reserve_flat_scratch 0
		.amdhsa_float_round_mode_32 0
		.amdhsa_float_round_mode_16_64 0
		.amdhsa_float_denorm_mode_32 3
		.amdhsa_float_denorm_mode_16_64 3
		.amdhsa_dx10_clamp 1
		.amdhsa_ieee_mode 1
		.amdhsa_fp16_overflow 0
		.amdhsa_exception_fp_ieee_invalid_op 0
		.amdhsa_exception_fp_denorm_src 0
		.amdhsa_exception_fp_ieee_div_zero 0
		.amdhsa_exception_fp_ieee_overflow 0
		.amdhsa_exception_fp_ieee_underflow 0
		.amdhsa_exception_fp_ieee_inexact 0
		.amdhsa_exception_int_div_zero 0
	.end_amdhsa_kernel
	.section	.text._ZL19rocblas_trsv_deviceILi64ELi16ELb1ELb1ELb0ELb0EfPKfPKS1_PKPfEviT7_lllT6_T8_lllPii,"axG",@progbits,_ZL19rocblas_trsv_deviceILi64ELi16ELb1ELb1ELb0ELb0EfPKfPKS1_PKPfEviT7_lllT6_T8_lllPii,comdat
.Lfunc_end107:
	.size	_ZL19rocblas_trsv_deviceILi64ELi16ELb1ELb1ELb0ELb0EfPKfPKS1_PKPfEviT7_lllT6_T8_lllPii, .Lfunc_end107-_ZL19rocblas_trsv_deviceILi64ELi16ELb1ELb1ELb0ELb0EfPKfPKS1_PKPfEviT7_lllT6_T8_lllPii
                                        ; -- End function
	.set _ZL19rocblas_trsv_deviceILi64ELi16ELb1ELb1ELb0ELb0EfPKfPKS1_PKPfEviT7_lllT6_T8_lllPii.num_vgpr, 34
	.set _ZL19rocblas_trsv_deviceILi64ELi16ELb1ELb1ELb0ELb0EfPKfPKS1_PKPfEviT7_lllT6_T8_lllPii.num_agpr, 0
	.set _ZL19rocblas_trsv_deviceILi64ELi16ELb1ELb1ELb0ELb0EfPKfPKS1_PKPfEviT7_lllT6_T8_lllPii.numbered_sgpr, 96
	.set _ZL19rocblas_trsv_deviceILi64ELi16ELb1ELb1ELb0ELb0EfPKfPKS1_PKPfEviT7_lllT6_T8_lllPii.num_named_barrier, 0
	.set _ZL19rocblas_trsv_deviceILi64ELi16ELb1ELb1ELb0ELb0EfPKfPKS1_PKPfEviT7_lllT6_T8_lllPii.private_seg_size, 0
	.set _ZL19rocblas_trsv_deviceILi64ELi16ELb1ELb1ELb0ELb0EfPKfPKS1_PKPfEviT7_lllT6_T8_lllPii.uses_vcc, 1
	.set _ZL19rocblas_trsv_deviceILi64ELi16ELb1ELb1ELb0ELb0EfPKfPKS1_PKPfEviT7_lllT6_T8_lllPii.uses_flat_scratch, 0
	.set _ZL19rocblas_trsv_deviceILi64ELi16ELb1ELb1ELb0ELb0EfPKfPKS1_PKPfEviT7_lllT6_T8_lllPii.has_dyn_sized_stack, 0
	.set _ZL19rocblas_trsv_deviceILi64ELi16ELb1ELb1ELb0ELb0EfPKfPKS1_PKPfEviT7_lllT6_T8_lllPii.has_recursion, 0
	.set _ZL19rocblas_trsv_deviceILi64ELi16ELb1ELb1ELb0ELb0EfPKfPKS1_PKPfEviT7_lllT6_T8_lllPii.has_indirect_call, 0
	.section	.AMDGPU.csdata,"",@progbits
; Kernel info:
; codeLenInByte = 39472
; TotalNumSgprs: 100
; NumVgprs: 34
; ScratchSize: 0
; MemoryBound: 0
; FloatMode: 240
; IeeeMode: 1
; LDSByteSize: 20740 bytes/workgroup (compile time only)
; SGPRBlocks: 12
; VGPRBlocks: 8
; NumSGPRsForWavesPerEU: 100
; NumVGPRsForWavesPerEU: 34
; Occupancy: 7
; WaveLimiterHint : 1
; COMPUTE_PGM_RSRC2:SCRATCH_EN: 0
; COMPUTE_PGM_RSRC2:USER_SGPR: 6
; COMPUTE_PGM_RSRC2:TRAP_HANDLER: 0
; COMPUTE_PGM_RSRC2:TGID_X_EN: 1
; COMPUTE_PGM_RSRC2:TGID_Y_EN: 0
; COMPUTE_PGM_RSRC2:TGID_Z_EN: 1
; COMPUTE_PGM_RSRC2:TIDIG_COMP_CNT: 1
	.section	.text._ZL19rocblas_trsv_deviceILi64ELi16ELb1ELb1ELb1ELb0EfPKfPKS1_PKPfEviT7_lllT6_T8_lllPii,"axG",@progbits,_ZL19rocblas_trsv_deviceILi64ELi16ELb1ELb1ELb1ELb0EfPKfPKS1_PKPfEviT7_lllT6_T8_lllPii,comdat
	.globl	_ZL19rocblas_trsv_deviceILi64ELi16ELb1ELb1ELb1ELb0EfPKfPKS1_PKPfEviT7_lllT6_T8_lllPii ; -- Begin function _ZL19rocblas_trsv_deviceILi64ELi16ELb1ELb1ELb1ELb0EfPKfPKS1_PKPfEviT7_lllT6_T8_lllPii
	.p2align	8
	.type	_ZL19rocblas_trsv_deviceILi64ELi16ELb1ELb1ELb1ELb0EfPKfPKS1_PKPfEviT7_lllT6_T8_lllPii,@function
_ZL19rocblas_trsv_deviceILi64ELi16ELb1ELb1ELb1ELb0EfPKfPKS1_PKPfEviT7_lllT6_T8_lllPii: ; @_ZL19rocblas_trsv_deviceILi64ELi16ELb1ELb1ELb1ELb0EfPKfPKS1_PKPfEviT7_lllT6_T8_lllPii
; %bb.0:
	s_load_dwordx4 s[0:3], s[4:5], 0x8
	s_mov_b32 s28, s7
	s_mov_b32 s29, 0
	s_lshl_b64 s[8:9], s[28:29], 3
	v_mov_b32_e32 v2, v1
	s_waitcnt lgkmcnt(0)
	s_add_u32 s0, s0, s8
	s_addc_u32 s1, s1, s9
	s_load_dwordx2 s[10:11], s[0:1], 0x0
	s_load_dword s30, s[4:5], 0x0
	s_load_dwordx8 s[20:27], s[4:5], 0x28
	s_load_dwordx2 s[34:35], s[4:5], 0x18
	s_lshl_b64 s[0:1], s[2:3], 2
	s_waitcnt lgkmcnt(0)
	s_add_u32 s91, s10, s0
	s_addc_u32 s92, s11, s1
	s_add_u32 s0, s22, s8
	s_load_dword s7, s[4:5], 0x60
	s_addc_u32 s1, s23, s9
	s_load_dwordx2 s[36:37], s[0:1], 0x0
	s_load_dword s46, s[20:21], 0x0
	s_load_dword s41, s[4:5], 0x6c
	s_waitcnt lgkmcnt(0)
	s_add_i32 s7, s7, -1
	s_sub_i32 s93, s7, s6
	s_cmp_lg_u32 s6, 0
	s_cbranch_scc0 .LBB108_1164
; %bb.1:
	s_lshl_b32 s33, s93, 6
	v_add_u32_e32 v1, s33, v0
	v_ashrrev_i32_e32 v3, 31, v1
	v_mul_lo_u32 v7, s34, v3
	v_mul_lo_u32 v8, s35, v1
	v_mad_u64_u32 v[5:6], s[0:1], s34, v1, 0
	v_add3_u32 v3, v2, s33, 64
	v_ashrrev_i32_e32 v4, 31, v3
	v_add3_u32 v6, v6, v7, v8
	v_lshlrev_b64 v[5:6], 2, v[5:6]
	v_cmp_gt_i32_e32 vcc, s30, v1
	v_mov_b32_e32 v1, s92
	v_add_co_u32_e64 v7, s[0:1], s91, v5
	v_lshlrev_b64 v[4:5], 2, v[3:4]
	v_addc_co_u32_e64 v1, s[0:1], v1, v6, s[0:1]
	v_add_co_u32_e64 v4, s[0:1], v7, v4
	v_addc_co_u32_e64 v5, s[0:1], v1, v5, s[0:1]
	v_cmp_gt_i32_e64 s[0:1], s30, v3
	s_and_b64 s[2:3], s[0:1], vcc
	v_mov_b32_e32 v7, 0
	v_mov_b32_e32 v8, 0
	s_barrier
	s_and_saveexec_b64 s[0:1], s[2:3]
	s_cbranch_execz .LBB108_3
; %bb.2:
	flat_load_dword v8, v[4:5]
.LBB108_3:
	s_or_b64 exec, exec, s[0:1]
	v_add_u32_e32 v1, 16, v3
	v_cmp_gt_i32_e64 s[0:1], s30, v1
	s_and_b64 s[2:3], s[0:1], vcc
	s_waitcnt vmcnt(0) lgkmcnt(0)
	s_barrier
	s_and_saveexec_b64 s[0:1], s[2:3]
	s_cbranch_execz .LBB108_5
; %bb.4:
	flat_load_dword v7, v[4:5] offset:64
.LBB108_5:
	s_or_b64 exec, exec, s[0:1]
	v_add_u32_e32 v1, 32, v3
	v_cmp_gt_i32_e64 s[0:1], s30, v1
	s_and_b64 s[2:3], s[0:1], vcc
	v_mov_b32_e32 v9, 0
	v_mov_b32_e32 v10, 0
	s_waitcnt vmcnt(0) lgkmcnt(0)
	s_barrier
	s_and_saveexec_b64 s[0:1], s[2:3]
	s_cbranch_execz .LBB108_7
; %bb.6:
	flat_load_dword v10, v[4:5] offset:128
.LBB108_7:
	s_or_b64 exec, exec, s[0:1]
	v_add_u32_e32 v1, 48, v3
	v_cmp_gt_i32_e64 s[0:1], s30, v1
	s_and_b64 s[2:3], s[0:1], vcc
	s_waitcnt vmcnt(0) lgkmcnt(0)
	s_barrier
	s_and_saveexec_b64 s[0:1], s[2:3]
	s_cbranch_execz .LBB108_9
; %bb.8:
	flat_load_dword v9, v[4:5] offset:192
.LBB108_9:
	s_or_b64 exec, exec, s[0:1]
	s_branch .LBB108_11
.LBB108_10:
	s_lshl_b32 s33, s93, 6
                                        ; implicit-def: $vgpr8
                                        ; implicit-def: $vgpr7
                                        ; implicit-def: $vgpr10
                                        ; implicit-def: $vgpr9
.LBB108_11:
	s_ashr_i32 s31, s30, 31
	s_lshr_b32 s0, s31, 26
	s_add_i32 s0, s30, s0
	s_andn2_b32 s0, s0, 63
	s_sub_i32 s90, s30, s0
	s_add_i32 s0, s30, -1
	s_ashr_i32 s1, s0, 31
	s_lshr_b32 s1, s1, 26
	s_add_i32 s0, s0, s1
	s_ashr_i32 s0, s0, 6
	s_cmp_eq_u32 s0, s93
	s_cselect_b64 s[0:1], -1, 0
	s_cmp_lg_u32 s90, 0
	s_cselect_b64 s[2:3], -1, 0
	s_and_b64 s[22:23], s[2:3], s[0:1]
	s_cmp_lt_i32 s6, 5
	s_cselect_b64 s[2:3], -1, 0
	s_or_b64 s[0:1], s[2:3], s[22:23]
	s_ashr_i32 s40, s33, 31
	s_add_u32 s10, s34, 1
	v_mov_b32_e32 v1, 0
	v_mov_b32_e32 v3, s33
	v_mad_u64_u32 v[3:4], s[8:9], s10, v3, v[0:1]
	s_addc_u32 s11, s35, 0
	s_mul_i32 s8, s10, s40
	s_mul_i32 s11, s11, s33
	s_add_i32 s8, s8, s11
	s_mov_b64 s[12:13], -1
	v_lshlrev_b32_e32 v11, 6, v0
	v_add_u32_e32 v4, s8, v4
	s_and_b64 vcc, exec, s[22:23]
	v_cmp_le_u32_e64 s[8:9], v0, v2
	s_cbranch_vccnz .LBB108_33
; %bb.12:
	v_mad_u64_u32 v[5:6], s[10:11], s34, v2, v[3:4]
	v_mov_b32_e32 v1, v6
	v_mad_u64_u32 v[12:13], s[10:11], s35, v2, v[1:2]
	s_mov_b64 s[10:11], 0
                                        ; implicit-def: $vgpr1
	v_mov_b32_e32 v6, v12
	s_and_saveexec_b64 s[12:13], s[8:9]
	s_xor_b64 s[8:9], exec, s[12:13]
	s_cbranch_execnz .LBB108_1165
; %bb.13:
	s_andn2_saveexec_b64 s[8:9], s[8:9]
	s_cbranch_execnz .LBB108_1170
.LBB108_14:
	s_or_b64 exec, exec, s[8:9]
	s_and_saveexec_b64 s[8:9], s[10:11]
.LBB108_15:
	v_add_u32_e32 v5, v2, v11
	v_lshl_add_u32 v6, v2, 6, v0
	v_cndmask_b32_e64 v5, v6, v5, s[2:3]
	v_lshlrev_b32_e32 v5, 2, v5
	ds_write_b32 v5, v1
.LBB108_16:
	s_or_b64 exec, exec, s[8:9]
	v_add_u32_e32 v1, 16, v2
	v_mad_u64_u32 v[5:6], s[2:3], s34, v1, v[3:4]
	v_cmp_le_u32_e32 vcc, v0, v1
	s_mov_b64 s[8:9], 0
	v_mad_u64_u32 v[12:13], s[2:3], s35, v1, v[6:7]
	v_mov_b32_e32 v6, v12
                                        ; implicit-def: $vgpr12
	s_and_saveexec_b64 s[2:3], vcc
	s_xor_b64 s[2:3], exec, s[2:3]
	s_cbranch_execnz .LBB108_1171
; %bb.17:
	s_andn2_saveexec_b64 s[2:3], s[2:3]
	s_cbranch_execnz .LBB108_1176
.LBB108_18:
	s_or_b64 exec, exec, s[2:3]
	s_and_saveexec_b64 s[2:3], s[8:9]
.LBB108_19:
	v_add_u32_e32 v5, v1, v11
	v_lshl_add_u32 v1, v1, 6, v0
	v_cndmask_b32_e64 v1, v1, v5, s[0:1]
	v_lshlrev_b32_e32 v1, 2, v1
	ds_write_b32 v1, v12
.LBB108_20:
	s_or_b64 exec, exec, s[2:3]
	v_add_u32_e32 v1, 32, v2
	v_mad_u64_u32 v[5:6], s[2:3], s34, v1, v[3:4]
	v_cmp_le_u32_e32 vcc, v0, v1
	s_mov_b64 s[8:9], 0
	v_mad_u64_u32 v[12:13], s[2:3], s35, v1, v[6:7]
	v_mov_b32_e32 v6, v12
                                        ; implicit-def: $vgpr12
	s_and_saveexec_b64 s[2:3], vcc
	s_xor_b64 s[2:3], exec, s[2:3]
	s_cbranch_execnz .LBB108_1177
; %bb.21:
	s_andn2_saveexec_b64 s[2:3], s[2:3]
	s_cbranch_execnz .LBB108_1182
.LBB108_22:
	s_or_b64 exec, exec, s[2:3]
	s_and_saveexec_b64 s[2:3], s[8:9]
.LBB108_23:
	v_add_u32_e32 v5, v1, v11
	v_lshl_add_u32 v1, v1, 6, v0
	v_cndmask_b32_e64 v1, v1, v5, s[0:1]
	v_lshlrev_b32_e32 v1, 2, v1
	ds_write_b32 v1, v12
.LBB108_24:
	s_or_b64 exec, exec, s[2:3]
	v_add_u32_e32 v12, 48, v2
	v_mad_u64_u32 v[5:6], s[2:3], s34, v12, v[3:4]
	v_cmp_le_u32_e32 vcc, v0, v12
	s_mov_b64 s[10:11], 0
	v_mov_b32_e32 v1, v6
	v_mad_u64_u32 v[13:14], s[2:3], s35, v12, v[1:2]
                                        ; implicit-def: $vgpr1
	v_mov_b32_e32 v6, v13
	s_and_saveexec_b64 s[2:3], vcc
	s_xor_b64 s[2:3], exec, s[2:3]
	s_cbranch_execz .LBB108_30
; %bb.25:
	v_cmp_ne_u32_e32 vcc, v0, v12
	s_mov_b64 s[8:9], 0
	s_and_saveexec_b64 s[10:11], vcc
	s_xor_b64 s[10:11], exec, s[10:11]
; %bb.26:
	v_or_b32_e32 v1, v12, v0
	v_cmp_gt_u32_e32 vcc, 64, v1
	s_and_b64 s[8:9], vcc, exec
                                        ; implicit-def: $vgpr5_vgpr6
; %bb.27:
	s_or_saveexec_b64 s[10:11], s[10:11]
	v_mov_b32_e32 v1, 0
	s_xor_b64 exec, exec, s[10:11]
	s_cbranch_execz .LBB108_29
; %bb.28:
	v_lshlrev_b64 v[5:6], 2, v[5:6]
	v_mov_b32_e32 v1, s92
	v_add_co_u32_e32 v5, vcc, s91, v5
	v_addc_co_u32_e32 v6, vcc, v1, v6, vcc
	flat_load_dword v1, v[5:6]
	s_or_b64 s[8:9], s[8:9], exec
	s_waitcnt vmcnt(0) lgkmcnt(0)
	v_div_scale_f32 v5, s[12:13], v1, v1, 1.0
	v_div_scale_f32 v6, vcc, 1.0, v1, 1.0
	v_rcp_f32_e32 v13, v5
	v_fma_f32 v14, -v5, v13, 1.0
	v_fmac_f32_e32 v13, v14, v13
	v_mul_f32_e32 v14, v6, v13
	v_fma_f32 v15, -v5, v14, v6
	v_fmac_f32_e32 v14, v15, v13
	v_fma_f32 v5, -v5, v14, v6
	v_div_fmas_f32 v5, v5, v13, v14
	v_div_fixup_f32 v1, v5, v1, 1.0
.LBB108_29:
	s_or_b64 exec, exec, s[10:11]
	s_and_b64 s[10:11], s[8:9], exec
                                        ; implicit-def: $vgpr5_vgpr6
.LBB108_30:
	s_or_saveexec_b64 s[2:3], s[2:3]
	v_add_u32_e32 v13, v12, v11
	v_lshl_add_u32 v12, v12, 6, v0
	s_xor_b64 exec, exec, s[2:3]
	s_cbranch_execz .LBB108_32
; %bb.31:
	v_lshlrev_b64 v[5:6], 2, v[5:6]
	v_mov_b32_e32 v1, s92
	v_add_co_u32_e32 v5, vcc, s91, v5
	v_addc_co_u32_e32 v6, vcc, v1, v6, vcc
	flat_load_dword v1, v[5:6]
	s_or_b64 s[10:11], s[10:11], exec
	s_waitcnt vmcnt(0) lgkmcnt(0)
	v_xor_b32_e32 v1, 0x80000000, v1
.LBB108_32:
	s_or_b64 exec, exec, s[2:3]
	v_cndmask_b32_e64 v5, v12, v13, s[0:1]
	s_branch .LBB108_55
.LBB108_33:
	s_mov_b64 s[10:11], 0
                                        ; implicit-def: $vgpr1
                                        ; implicit-def: $vgpr5
	s_and_b64 vcc, exec, s[12:13]
	s_cbranch_vccz .LBB108_55
; %bb.34:
	v_mad_u64_u32 v[5:6], s[2:3], s34, v2, v[3:4]
	v_cmp_le_u32_e32 vcc, v0, v2
	v_cmp_gt_i32_e64 s[2:3], s90, v0
	v_mov_b32_e32 v1, v6
	v_mad_u64_u32 v[12:13], s[8:9], s35, v2, v[1:2]
	v_max_i32_e32 v1, v2, v0
	v_cmp_le_i32_e64 s[8:9], s90, v1
	v_mov_b32_e32 v6, v12
	s_or_b64 s[8:9], s[8:9], vcc
	s_mov_b64 s[12:13], 0
                                        ; implicit-def: $vgpr1
	s_and_saveexec_b64 s[14:15], s[8:9]
	s_xor_b64 s[8:9], exec, s[14:15]
	s_cbranch_execnz .LBB108_1183
; %bb.35:
	s_andn2_saveexec_b64 s[8:9], s[8:9]
	s_cbranch_execnz .LBB108_1188
.LBB108_36:
	s_or_b64 exec, exec, s[8:9]
	s_and_saveexec_b64 s[8:9], s[12:13]
.LBB108_37:
	v_lshlrev_b32_e32 v5, 2, v11
	v_lshl_add_u32 v5, v2, 2, v5
	ds_write_b32 v5, v1
.LBB108_38:
	s_or_b64 exec, exec, s[8:9]
	v_add_u32_e32 v1, 16, v2
	v_mad_u64_u32 v[5:6], s[8:9], s34, v1, v[3:4]
	v_cmp_gt_u32_e32 vcc, v0, v1
	s_mov_b64 s[12:13], 0
	v_mad_u64_u32 v[12:13], s[8:9], s35, v1, v[6:7]
	v_cmp_gt_i32_e64 s[8:9], s90, v1
	s_and_b64 s[8:9], vcc, s[8:9]
	s_and_b64 s[8:9], s[2:3], s[8:9]
	v_mov_b32_e32 v6, v12
	s_xor_b64 s[8:9], s[8:9], -1
                                        ; implicit-def: $vgpr12
	s_and_saveexec_b64 s[14:15], s[8:9]
	s_xor_b64 s[8:9], exec, s[14:15]
	s_cbranch_execnz .LBB108_1189
; %bb.39:
	s_andn2_saveexec_b64 s[8:9], s[8:9]
	s_cbranch_execnz .LBB108_1194
.LBB108_40:
	s_or_b64 exec, exec, s[8:9]
	s_and_saveexec_b64 s[8:9], s[12:13]
.LBB108_41:
	v_add_u32_e32 v5, v1, v11
	v_lshl_add_u32 v1, v1, 6, v0
	v_cndmask_b32_e64 v1, v1, v5, s[0:1]
	v_lshlrev_b32_e32 v1, 2, v1
	ds_write_b32 v1, v12
.LBB108_42:
	s_or_b64 exec, exec, s[8:9]
	v_add_u32_e32 v1, 32, v2
	v_mad_u64_u32 v[5:6], s[8:9], s34, v1, v[3:4]
	v_cmp_gt_u32_e32 vcc, v0, v1
	s_mov_b64 s[12:13], 0
	v_mad_u64_u32 v[12:13], s[8:9], s35, v1, v[6:7]
	v_cmp_gt_i32_e64 s[8:9], s90, v1
	s_and_b64 s[8:9], vcc, s[8:9]
	s_and_b64 s[8:9], s[2:3], s[8:9]
	v_mov_b32_e32 v6, v12
	s_xor_b64 s[8:9], s[8:9], -1
                                        ; implicit-def: $vgpr12
	s_and_saveexec_b64 s[14:15], s[8:9]
	s_xor_b64 s[8:9], exec, s[14:15]
	s_cbranch_execnz .LBB108_1195
; %bb.43:
	s_andn2_saveexec_b64 s[8:9], s[8:9]
	s_cbranch_execnz .LBB108_1200
.LBB108_44:
	s_or_b64 exec, exec, s[8:9]
	s_and_saveexec_b64 s[8:9], s[12:13]
.LBB108_45:
	v_add_u32_e32 v5, v1, v11
	v_lshl_add_u32 v1, v1, 6, v0
	v_cndmask_b32_e64 v1, v1, v5, s[0:1]
	v_lshlrev_b32_e32 v1, 2, v1
	ds_write_b32 v1, v12
.LBB108_46:
	s_or_b64 exec, exec, s[8:9]
	v_add_u32_e32 v5, 48, v2
	v_mad_u64_u32 v[3:4], s[8:9], s34, v5, v[3:4]
	v_cmp_gt_u32_e32 vcc, v0, v5
	v_mov_b32_e32 v1, v4
	v_mad_u64_u32 v[12:13], s[8:9], s35, v5, v[1:2]
	v_cmp_gt_i32_e64 s[8:9], s90, v5
	s_and_b64 s[8:9], vcc, s[8:9]
	s_and_b64 s[8:9], s[2:3], s[8:9]
	v_mov_b32_e32 v4, v12
	s_xor_b64 s[8:9], s[8:9], -1
                                        ; implicit-def: $vgpr1
	s_and_saveexec_b64 s[12:13], s[8:9]
	s_xor_b64 s[8:9], exec, s[12:13]
	s_cbranch_execz .LBB108_52
; %bb.47:
	v_cmp_ne_u32_e32 vcc, v0, v5
	s_xor_b64 s[2:3], s[2:3], -1
	s_or_b64 s[12:13], s[2:3], vcc
	s_mov_b64 s[2:3], s[10:11]
	s_and_saveexec_b64 s[14:15], s[12:13]
	s_xor_b64 s[12:13], exec, s[14:15]
; %bb.48:
	v_or_b32_e32 v1, v5, v0
	v_cmp_gt_u32_e32 vcc, 64, v1
	s_andn2_b64 s[2:3], s[10:11], exec
	s_and_b64 s[14:15], vcc, exec
	s_or_b64 s[2:3], s[2:3], s[14:15]
                                        ; implicit-def: $vgpr3_vgpr4
; %bb.49:
	s_or_saveexec_b64 s[12:13], s[12:13]
	v_mov_b32_e32 v1, 0
	s_xor_b64 exec, exec, s[12:13]
	s_cbranch_execz .LBB108_51
; %bb.50:
	v_lshlrev_b64 v[3:4], 2, v[3:4]
	v_mov_b32_e32 v1, s92
	v_add_co_u32_e32 v3, vcc, s91, v3
	v_addc_co_u32_e32 v4, vcc, v1, v4, vcc
	flat_load_dword v1, v[3:4]
	s_or_b64 s[2:3], s[2:3], exec
	s_waitcnt vmcnt(0) lgkmcnt(0)
	v_div_scale_f32 v3, s[14:15], v1, v1, 1.0
	v_div_scale_f32 v4, vcc, 1.0, v1, 1.0
	v_rcp_f32_e32 v6, v3
	v_fma_f32 v12, -v3, v6, 1.0
	v_fmac_f32_e32 v6, v12, v6
	v_mul_f32_e32 v12, v4, v6
	v_fma_f32 v13, -v3, v12, v4
	v_fmac_f32_e32 v12, v13, v6
	v_fma_f32 v3, -v3, v12, v4
	v_div_fmas_f32 v3, v3, v6, v12
	v_div_fixup_f32 v1, v3, v1, 1.0
.LBB108_51:
	s_or_b64 exec, exec, s[12:13]
	s_andn2_b64 s[10:11], s[10:11], exec
	s_and_b64 s[2:3], s[2:3], exec
	s_or_b64 s[10:11], s[10:11], s[2:3]
                                        ; implicit-def: $vgpr3_vgpr4
.LBB108_52:
	s_or_saveexec_b64 s[2:3], s[8:9]
	v_add_u32_e32 v6, v5, v11
	v_lshl_add_u32 v5, v5, 6, v0
	s_xor_b64 exec, exec, s[2:3]
	s_cbranch_execz .LBB108_54
; %bb.53:
	v_lshlrev_b64 v[3:4], 2, v[3:4]
	v_mov_b32_e32 v1, s92
	v_add_co_u32_e32 v3, vcc, s91, v3
	v_addc_co_u32_e32 v4, vcc, v1, v4, vcc
	flat_load_dword v1, v[3:4]
	s_or_b64 s[10:11], s[10:11], exec
	s_waitcnt vmcnt(0) lgkmcnt(0)
	v_xor_b32_e32 v1, 0x80000000, v1
.LBB108_54:
	s_or_b64 exec, exec, s[2:3]
	v_cndmask_b32_e64 v5, v5, v6, s[0:1]
.LBB108_55:
	s_xor_b64 s[0:1], s[0:1], -1
	s_and_saveexec_b64 s[2:3], s[10:11]
; %bb.56:
	v_lshlrev_b32_e32 v3, 2, v5
	ds_write_b32 v3, v1
; %bb.57:
	s_or_b64 exec, exec, s[2:3]
	v_cndmask_b32_e64 v1, 0, 1, s[0:1]
	v_cmp_ne_u32_e64 s[58:59], 1, v1
	s_andn2_b64 vcc, exec, s[0:1]
	s_waitcnt vmcnt(0) lgkmcnt(0)
	s_barrier
	s_cbranch_vccnz .LBB108_1095
; %bb.58:
	v_or_b32_e32 v1, v0, v2
	v_cmp_eq_u32_e32 vcc, 0, v1
	s_and_saveexec_b64 s[0:1], vcc
	s_cbranch_execz .LBB108_60
; %bb.59:
	v_mov_b32_e32 v1, 0
	ds_read_b64 v[3:4], v1
	ds_read_b32 v5, v1 offset:260
	s_waitcnt lgkmcnt(0)
	v_mul_f32_e32 v3, v3, v5
	v_mul_f32_e32 v3, v4, v3
	ds_write2_b32 v1, v3, v3 offset0:1 offset1:64
.LBB108_60:
	s_or_b64 exec, exec, s[0:1]
	v_lshl_add_u32 v4, v2, 6, v0
	v_and_b32_e32 v11, 1, v0
	v_lshrrev_b32_e32 v5, 1, v4
	v_lshlrev_b32_e32 v1, 2, v11
	v_cmp_lt_u32_e64 s[8:9], 3, v4
	v_cmp_gt_u32_e64 s[2:3], 4, v4
	v_lshl_or_b32 v1, v5, 8, v1
	v_mov_b32_e32 v6, 0
	s_waitcnt lgkmcnt(0)
	s_barrier
	s_and_saveexec_b64 s[0:1], s[2:3]
	s_cbranch_execz .LBB108_64
; %bb.61:
	v_mul_u32_u24_e32 v3, 0x104, v5
	ds_read_b32 v12, v1 offset:8
	ds_read_b32 v3, v3
	v_mov_b32_e32 v6, 0
	v_cmp_gt_u32_e64 s[10:11], 2, v4
	s_waitcnt lgkmcnt(0)
	v_fma_f32 v3, v12, v3, 0
	s_and_saveexec_b64 s[12:13], s[10:11]
	s_cbranch_execz .LBB108_63
; %bb.62:
	v_lshlrev_b32_e32 v12, 2, v0
	ds_read_b32 v12, v12 offset:264
	ds_read_b32 v6, v6 offset:4
	s_waitcnt lgkmcnt(0)
	v_fmac_f32_e32 v3, v12, v6
.LBB108_63:
	s_or_b64 exec, exec, s[12:13]
	v_xor_b32_e32 v6, 0x80000000, v3
.LBB108_64:
                                        ; implicit-def: $vgpr33 : SGPR spill to VGPR lane
	v_writelane_b32 v33, s40, 0
	s_or_b64 exec, exec, s[0:1]
	v_mov_b32_e32 v3, 0x4000
	v_cmp_eq_u32_e64 s[10:11], 0, v11
	s_xor_b64 s[0:1], s[8:9], -1
	v_lshl_add_u32 v3, v5, 2, v3
	s_and_b64 s[40:41], s[10:11], s[0:1]
	s_and_saveexec_b64 s[8:9], s[40:41]
	s_cbranch_execz .LBB108_66
; %bb.65:
	v_mov_b32_e32 v12, 0
	ds_read_b32 v12, v12 offset:520
	s_waitcnt lgkmcnt(0)
	v_mul_f32_e32 v6, v6, v12
	ds_write_b32 v3, v6
.LBB108_66:
	s_or_b64 exec, exec, s[8:9]
	v_cmp_ne_u32_e64 s[8:9], 0, v11
	s_and_b64 s[38:39], s[8:9], s[0:1]
	s_waitcnt lgkmcnt(0)
	s_barrier
	s_and_saveexec_b64 s[0:1], s[38:39]
	s_cbranch_execz .LBB108_68
; %bb.67:
	v_mov_b32_e32 v11, 0
	ds_read_b32 v11, v11 offset:524
	ds_read_b32 v12, v3
	s_waitcnt lgkmcnt(0)
	v_fmac_f32_e32 v6, v11, v12
.LBB108_68:
	s_or_b64 exec, exec, s[0:1]
	s_barrier
	s_and_saveexec_b64 s[0:1], s[38:39]
	s_cbranch_execz .LBB108_70
; %bb.69:
	v_mov_b32_e32 v11, 0
	ds_read_b32 v11, v11 offset:780
	s_waitcnt lgkmcnt(0)
	v_mul_f32_e32 v6, v6, v11
	ds_write_b32 v3, v6
.LBB108_70:
	s_or_b64 exec, exec, s[0:1]
	s_waitcnt lgkmcnt(0)
	s_barrier
	s_barrier
	s_and_saveexec_b64 s[0:1], s[2:3]
; %bb.71:
	v_xor_b32_e32 v6, 0x80000000, v6
	ds_write_b32 v1, v6 offset:8
; %bb.72:
	s_or_b64 exec, exec, s[0:1]
	v_cmp_eq_u32_e64 s[12:13], 0, v2
	v_cmp_gt_u32_e64 s[8:9], 2, v0
	s_and_b64 s[42:43], s[12:13], s[8:9]
	s_waitcnt lgkmcnt(0)
	s_barrier
	s_barrier
	s_and_saveexec_b64 s[0:1], s[42:43]
	s_cbranch_execz .LBB108_74
; %bb.73:
	v_lshlrev_b32_e32 v6, 2, v0
	s_movk_i32 s8, 0xfc
	v_mad_u32_u24 v11, v0, s8, v6
	ds_read_b32 v12, v11 offset:8
	s_waitcnt lgkmcnt(0)
	ds_write_b32 v6, v12 offset:512
	ds_read_b32 v11, v11 offset:12
	s_waitcnt lgkmcnt(0)
	ds_write_b32 v6, v11 offset:768
.LBB108_74:
	s_or_b64 exec, exec, s[0:1]
	s_waitcnt lgkmcnt(0)
	s_barrier
	s_and_saveexec_b64 s[0:1], vcc
	s_cbranch_execz .LBB108_76
; %bb.75:
	v_mov_b32_e32 v6, 0
	ds_read_b64 v[11:12], v6 offset:520
	ds_read_b32 v13, v6 offset:780
	s_waitcnt lgkmcnt(0)
	v_mul_f32_e32 v11, v11, v13
	v_mul_f32_e32 v11, v12, v11
	ds_write2_b32 v6, v11, v11 offset0:131 offset1:194
.LBB108_76:
	s_or_b64 exec, exec, s[0:1]
	v_and_b32_e32 v13, 3, v0
	v_lshrrev_b32_e32 v14, 2, v4
	v_lshlrev_b32_e32 v11, 2, v13
	v_cmp_lt_u32_e64 s[8:9], 15, v4
	v_cmp_gt_u32_e64 s[18:19], 16, v4
	v_lshl_or_b32 v6, v14, 8, v11
	v_mov_b32_e32 v15, 0
	s_waitcnt lgkmcnt(0)
	s_barrier
	s_and_saveexec_b64 s[0:1], s[18:19]
	s_cbranch_execz .LBB108_82
; %bb.77:
	v_mul_u32_u24_e32 v15, 0x104, v14
	ds_read_b32 v12, v6 offset:16
	ds_read_b32 v16, v15
	v_cmp_gt_u32_e64 s[10:11], 12, v4
	s_waitcnt lgkmcnt(0)
	v_fma_f32 v12, v12, v16, 0
	s_and_saveexec_b64 s[14:15], s[10:11]
	s_cbranch_execnz .LBB108_1205
; %bb.78:
	s_or_b64 exec, exec, s[14:15]
	v_cmp_gt_u32_e64 s[10:11], 8, v4
	s_and_saveexec_b64 s[14:15], s[10:11]
	s_cbranch_execnz .LBB108_1206
.LBB108_79:
	s_or_b64 exec, exec, s[14:15]
	v_cmp_gt_u32_e64 s[10:11], 4, v4
	s_and_saveexec_b64 s[14:15], s[10:11]
	s_cbranch_execz .LBB108_81
.LBB108_80:
	v_lshlrev_b32_e32 v15, 2, v0
	v_mov_b32_e32 v16, 0
	ds_read_b32 v15, v15 offset:784
	ds_read_b32 v16, v16 offset:12
	s_waitcnt lgkmcnt(0)
	v_fmac_f32_e32 v12, v15, v16
.LBB108_81:
	s_or_b64 exec, exec, s[14:15]
	v_xor_b32_e32 v15, 0x80000000, v12
.LBB108_82:
	v_writelane_b32 v33, s46, 1
	s_or_b64 exec, exec, s[0:1]
	v_mov_b32_e32 v12, 0x4000
	v_cmp_eq_u32_e64 s[10:11], 0, v13
	s_xor_b64 s[0:1], s[8:9], -1
	v_lshl_add_u32 v12, v14, 2, v12
	s_and_b64 s[46:47], s[10:11], s[0:1]
	s_and_saveexec_b64 s[8:9], s[46:47]
	s_cbranch_execz .LBB108_84
; %bb.83:
	v_mov_b32_e32 v16, 0
	ds_read_b32 v16, v16 offset:1040
	s_waitcnt lgkmcnt(0)
	v_mul_f32_e32 v15, v15, v16
	ds_write_b32 v12, v15
.LBB108_84:
	s_or_b64 exec, exec, s[8:9]
	v_cmp_ne_u32_e64 s[8:9], 0, v13
	s_and_b64 s[48:49], s[8:9], s[0:1]
	s_waitcnt lgkmcnt(0)
	s_barrier
	s_and_saveexec_b64 s[8:9], s[48:49]
	s_cbranch_execz .LBB108_86
; %bb.85:
	ds_read_b32 v16, v11 offset:1040
	ds_read_b32 v17, v12
	s_waitcnt lgkmcnt(0)
	v_fmac_f32_e32 v15, v16, v17
.LBB108_86:
	s_or_b64 exec, exec, s[8:9]
	v_cmp_eq_u32_e64 s[8:9], 1, v13
	s_and_b64 s[50:51], s[8:9], s[0:1]
	s_barrier
	s_and_saveexec_b64 s[8:9], s[50:51]
	s_cbranch_execz .LBB108_88
; %bb.87:
	v_mov_b32_e32 v16, 0
	ds_read_b32 v16, v16 offset:1300
	s_waitcnt lgkmcnt(0)
	v_mul_f32_e32 v15, v15, v16
	ds_write_b32 v12, v15
.LBB108_88:
	s_or_b64 exec, exec, s[8:9]
	v_cmp_lt_u32_e64 s[8:9], 1, v13
	s_and_b64 s[52:53], s[8:9], s[0:1]
	s_waitcnt lgkmcnt(0)
	s_barrier
	s_and_saveexec_b64 s[8:9], s[52:53]
	s_cbranch_execz .LBB108_90
; %bb.89:
	ds_read_b32 v16, v11 offset:1296
	ds_read_b32 v17, v12
	s_waitcnt lgkmcnt(0)
	v_fmac_f32_e32 v15, v16, v17
.LBB108_90:
	s_or_b64 exec, exec, s[8:9]
	v_cmp_eq_u32_e64 s[8:9], 2, v13
	s_and_b64 s[54:55], s[8:9], s[0:1]
	s_barrier
	s_and_saveexec_b64 s[8:9], s[54:55]
	s_cbranch_execz .LBB108_92
; %bb.91:
	v_mov_b32_e32 v16, 0
	ds_read_b32 v16, v16 offset:1560
	s_waitcnt lgkmcnt(0)
	v_mul_f32_e32 v15, v15, v16
	ds_write_b32 v12, v15
.LBB108_92:
	s_or_b64 exec, exec, s[8:9]
	v_cmp_eq_u32_e64 s[8:9], 3, v13
	s_and_b64 s[44:45], s[8:9], s[0:1]
	s_waitcnt lgkmcnt(0)
	s_barrier
	s_and_saveexec_b64 s[0:1], s[44:45]
	s_cbranch_execz .LBB108_94
; %bb.93:
	v_mov_b32_e32 v16, 0
	ds_read_b32 v16, v16 offset:1564
	ds_read_b32 v17, v12
	s_waitcnt lgkmcnt(0)
	v_fmac_f32_e32 v15, v16, v17
.LBB108_94:
	s_or_b64 exec, exec, s[0:1]
	s_barrier
	s_and_saveexec_b64 s[0:1], s[44:45]
	s_cbranch_execz .LBB108_96
; %bb.95:
	v_mov_b32_e32 v16, 0
	ds_read_b32 v16, v16 offset:1820
	s_waitcnt lgkmcnt(0)
	v_mul_f32_e32 v15, v15, v16
	ds_write_b32 v12, v15
.LBB108_96:
	s_or_b64 exec, exec, s[0:1]
	s_waitcnt lgkmcnt(0)
	s_barrier
	s_barrier
	s_and_saveexec_b64 s[0:1], s[18:19]
; %bb.97:
	v_xor_b32_e32 v15, 0x80000000, v15
	ds_write_b32 v6, v15 offset:16
; %bb.98:
	s_or_b64 exec, exec, s[0:1]
	v_cmp_gt_u32_e64 s[8:9], 4, v0
	s_and_b64 s[56:57], s[12:13], s[8:9]
	s_waitcnt lgkmcnt(0)
	s_barrier
	s_barrier
	s_and_saveexec_b64 s[0:1], s[56:57]
	s_cbranch_execz .LBB108_100
; %bb.99:
	v_lshlrev_b32_e32 v15, 8, v0
	ds_read_b32 v16, v15 offset:16
	s_movk_i32 s8, 0xff04
	v_mad_i32_i24 v17, v0, s8, v15
	s_waitcnt lgkmcnt(0)
	ds_write_b32 v17, v16 offset:1024
	ds_read_b32 v16, v15 offset:20
	s_waitcnt lgkmcnt(0)
	ds_write_b32 v17, v16 offset:1280
	ds_read_b32 v16, v15 offset:24
	;; [unrolled: 3-line block ×3, first 2 shown]
	s_waitcnt lgkmcnt(0)
	ds_write_b32 v17, v15 offset:1792
.LBB108_100:
	s_or_b64 exec, exec, s[0:1]
	s_waitcnt lgkmcnt(0)
	s_barrier
	s_and_saveexec_b64 s[0:1], vcc
	s_cbranch_execz .LBB108_102
; %bb.101:
	v_mov_b32_e32 v17, 0
	ds_read_b64 v[15:16], v17 offset:1040
	ds_read_b32 v17, v17 offset:1300
	s_movk_i32 s8, 0x400
	s_waitcnt lgkmcnt(0)
	v_mul_f32_e32 v15, v15, v17
	v_mul_f32_e32 v15, v16, v15
	v_add_u32_e64 v16, s8, 0
	ds_write2_b32 v16, v15, v15 offset0:5 offset1:68
.LBB108_102:
	s_or_b64 exec, exec, s[0:1]
	v_mov_b32_e32 v15, 0
	s_waitcnt lgkmcnt(0)
	s_barrier
	s_and_saveexec_b64 s[0:1], s[2:3]
	s_cbranch_execz .LBB108_106
; %bb.103:
	v_mul_u32_u24_e32 v15, 0x104, v5
	ds_read_b32 v17, v1 offset:1048
	ds_read_b32 v15, v15 offset:1040
	v_mov_b32_e32 v16, 0
	v_cmp_gt_u32_e64 s[8:9], 2, v4
	s_waitcnt lgkmcnt(0)
	v_fma_f32 v15, v17, v15, 0
	s_and_saveexec_b64 s[10:11], s[8:9]
	s_cbranch_execz .LBB108_105
; %bb.104:
	v_lshlrev_b32_e32 v17, 2, v0
	ds_read_b32 v17, v17 offset:1304
	ds_read_b32 v16, v16 offset:1044
	s_waitcnt lgkmcnt(0)
	v_fmac_f32_e32 v15, v17, v16
.LBB108_105:
	s_or_b64 exec, exec, s[10:11]
	v_xor_b32_e32 v15, 0x80000000, v15
.LBB108_106:
	s_or_b64 exec, exec, s[0:1]
	s_and_saveexec_b64 s[0:1], s[40:41]
	s_cbranch_execz .LBB108_108
; %bb.107:
	v_mov_b32_e32 v16, 0
	ds_read_b32 v16, v16 offset:1560
	s_waitcnt lgkmcnt(0)
	v_mul_f32_e32 v15, v15, v16
	ds_write_b32 v3, v15
.LBB108_108:
	s_or_b64 exec, exec, s[0:1]
	s_waitcnt lgkmcnt(0)
	s_barrier
	s_and_saveexec_b64 s[0:1], s[38:39]
	s_cbranch_execz .LBB108_110
; %bb.109:
	v_mov_b32_e32 v16, 0
	ds_read_b32 v16, v16 offset:1564
	ds_read_b32 v17, v3
	s_waitcnt lgkmcnt(0)
	v_fmac_f32_e32 v15, v16, v17
.LBB108_110:
	s_or_b64 exec, exec, s[0:1]
	s_barrier
	s_and_saveexec_b64 s[0:1], s[38:39]
	s_cbranch_execz .LBB108_112
; %bb.111:
	v_mov_b32_e32 v16, 0
	ds_read_b32 v16, v16 offset:1820
	s_waitcnt lgkmcnt(0)
	v_mul_f32_e32 v15, v15, v16
	ds_write_b32 v3, v15
.LBB108_112:
	s_or_b64 exec, exec, s[0:1]
	s_waitcnt lgkmcnt(0)
	s_barrier
	s_barrier
	s_and_saveexec_b64 s[0:1], s[2:3]
; %bb.113:
	v_xor_b32_e32 v15, 0x80000000, v15
	ds_write_b32 v1, v15 offset:1048
; %bb.114:
	s_or_b64 exec, exec, s[0:1]
	s_waitcnt lgkmcnt(0)
	s_barrier
	s_barrier
	s_and_saveexec_b64 s[0:1], s[42:43]
	s_cbranch_execz .LBB108_116
; %bb.115:
	v_lshlrev_b32_e32 v15, 2, v0
	s_movk_i32 s8, 0xfc
	v_mad_u32_u24 v16, v0, s8, v15
	ds_read_b32 v17, v16 offset:1048
	s_waitcnt lgkmcnt(0)
	ds_write_b32 v15, v17 offset:1552
	ds_read_b32 v16, v16 offset:1052
	s_waitcnt lgkmcnt(0)
	ds_write_b32 v15, v16 offset:1808
.LBB108_116:
	s_or_b64 exec, exec, s[0:1]
	s_waitcnt lgkmcnt(0)
	s_barrier
	s_and_saveexec_b64 s[0:1], vcc
	s_cbranch_execz .LBB108_118
; %bb.117:
	v_mov_b32_e32 v17, 0
	ds_read_b64 v[15:16], v17 offset:1560
	ds_read_b32 v17, v17 offset:1820
	s_movk_i32 s8, 0x400
	s_waitcnt lgkmcnt(0)
	v_mul_f32_e32 v15, v15, v17
	v_mul_f32_e32 v15, v16, v15
	v_add_u32_e64 v16, s8, 0
	ds_write2_b32 v16, v15, v15 offset0:135 offset1:198
.LBB108_118:
	s_or_b64 exec, exec, s[0:1]
	v_and_b32_e32 v18, 7, v0
	v_lshrrev_b32_e32 v19, 3, v4
	v_lshlrev_b32_e32 v16, 2, v18
	v_cmp_lt_u32_e64 s[10:11], 63, v4
	v_cmp_gt_u32_e64 s[8:9], 64, v4
	v_lshl_or_b32 v15, v19, 8, v16
	v_mov_b32_e32 v20, 0
	s_waitcnt lgkmcnt(0)
	s_barrier
	s_and_saveexec_b64 s[0:1], s[8:9]
	s_cbranch_execz .LBB108_128
; %bb.119:
	v_mul_u32_u24_e32 v20, 0x104, v19
	ds_read_b32 v17, v15 offset:32
	ds_read_b32 v21, v20
	v_cmp_gt_u32_e64 s[14:15], 56, v4
	s_waitcnt lgkmcnt(0)
	v_fma_f32 v17, v17, v21, 0
	s_and_saveexec_b64 s[16:17], s[14:15]
	s_cbranch_execnz .LBB108_1207
; %bb.120:
	s_or_b64 exec, exec, s[16:17]
	v_cmp_gt_u32_e64 s[14:15], 48, v4
	s_and_saveexec_b64 s[16:17], s[14:15]
	s_cbranch_execnz .LBB108_1208
.LBB108_121:
	s_or_b64 exec, exec, s[16:17]
	v_cmp_gt_u32_e64 s[14:15], 40, v4
	s_and_saveexec_b64 s[16:17], s[14:15]
	s_cbranch_execnz .LBB108_1209
.LBB108_122:
	s_or_b64 exec, exec, s[16:17]
	v_cmp_gt_u32_e64 s[14:15], 32, v4
	s_and_saveexec_b64 s[16:17], s[14:15]
	s_cbranch_execnz .LBB108_1210
.LBB108_123:
	s_or_b64 exec, exec, s[16:17]
	v_cmp_gt_u32_e64 s[14:15], 24, v4
	s_and_saveexec_b64 s[16:17], s[14:15]
	s_cbranch_execnz .LBB108_1211
.LBB108_124:
	s_or_b64 exec, exec, s[16:17]
	v_cmp_gt_u32_e64 s[14:15], 16, v4
	s_and_saveexec_b64 s[16:17], s[14:15]
	s_cbranch_execnz .LBB108_1212
.LBB108_125:
	s_or_b64 exec, exec, s[16:17]
	v_cmp_gt_u32_e64 s[14:15], 8, v4
	s_and_saveexec_b64 s[16:17], s[14:15]
	s_cbranch_execz .LBB108_127
.LBB108_126:
	v_lshlrev_b32_e32 v20, 2, v0
	v_mov_b32_e32 v21, 0
	ds_read_b32 v20, v20 offset:1824
	ds_read_b32 v21, v21 offset:28
	s_waitcnt lgkmcnt(0)
	v_fmac_f32_e32 v17, v20, v21
.LBB108_127:
	s_or_b64 exec, exec, s[16:17]
	v_xor_b32_e32 v20, 0x80000000, v17
.LBB108_128:
	v_writelane_b32 v33, s58, 2
	v_writelane_b32 v33, s59, 3
	s_or_b64 exec, exec, s[0:1]
	v_mov_b32_e32 v17, 0x4000
	v_cmp_eq_u32_e64 s[14:15], 0, v18
	s_xor_b64 s[0:1], s[10:11], -1
	v_lshl_add_u32 v17, v19, 2, v17
	s_and_b64 s[58:59], s[14:15], s[0:1]
	s_and_saveexec_b64 s[10:11], s[58:59]
	s_cbranch_execz .LBB108_130
; %bb.129:
	v_mov_b32_e32 v21, 0
	ds_read_b32 v21, v21 offset:2080
	s_waitcnt lgkmcnt(0)
	v_mul_f32_e32 v20, v20, v21
	ds_write_b32 v17, v20
.LBB108_130:
	s_or_b64 exec, exec, s[10:11]
	v_cmp_ne_u32_e64 s[10:11], 0, v18
	s_and_b64 s[60:61], s[10:11], s[0:1]
	s_waitcnt lgkmcnt(0)
	s_barrier
	s_and_saveexec_b64 s[10:11], s[60:61]
	s_cbranch_execz .LBB108_132
; %bb.131:
	ds_read_b32 v21, v16 offset:2080
	ds_read_b32 v22, v17
	s_waitcnt lgkmcnt(0)
	v_fmac_f32_e32 v20, v21, v22
.LBB108_132:
	s_or_b64 exec, exec, s[10:11]
	v_cmp_eq_u32_e64 s[10:11], 1, v18
	s_and_b64 s[62:63], s[10:11], s[0:1]
	s_barrier
	s_and_saveexec_b64 s[10:11], s[62:63]
	s_cbranch_execz .LBB108_134
; %bb.133:
	v_mov_b32_e32 v21, 0
	ds_read_b32 v21, v21 offset:2340
	s_waitcnt lgkmcnt(0)
	v_mul_f32_e32 v20, v20, v21
	ds_write_b32 v17, v20
.LBB108_134:
	s_or_b64 exec, exec, s[10:11]
	v_cmp_lt_u32_e64 s[10:11], 1, v18
	s_and_b64 s[64:65], s[10:11], s[0:1]
	s_waitcnt lgkmcnt(0)
	s_barrier
	s_and_saveexec_b64 s[10:11], s[64:65]
	s_cbranch_execz .LBB108_136
; %bb.135:
	ds_read_b32 v21, v16 offset:2336
	ds_read_b32 v22, v17
	s_waitcnt lgkmcnt(0)
	v_fmac_f32_e32 v20, v21, v22
.LBB108_136:
	s_or_b64 exec, exec, s[10:11]
	v_cmp_eq_u32_e64 s[10:11], 2, v18
	s_and_b64 s[68:69], s[10:11], s[0:1]
	s_barrier
	s_and_saveexec_b64 s[10:11], s[68:69]
	s_cbranch_execz .LBB108_138
; %bb.137:
	v_mov_b32_e32 v21, 0
	ds_read_b32 v21, v21 offset:2600
	s_waitcnt lgkmcnt(0)
	v_mul_f32_e32 v20, v20, v21
	ds_write_b32 v17, v20
.LBB108_138:
	s_or_b64 exec, exec, s[10:11]
	v_cmp_lt_u32_e64 s[10:11], 2, v18
	;; [unrolled: 26-line block ×5, first 2 shown]
	s_and_b64 s[82:83], s[10:11], s[0:1]
	s_waitcnt lgkmcnt(0)
	s_barrier
	s_and_saveexec_b64 s[10:11], s[82:83]
	s_cbranch_execz .LBB108_152
; %bb.151:
	ds_read_b32 v21, v16 offset:3360
	ds_read_b32 v22, v17
	s_waitcnt lgkmcnt(0)
	v_fmac_f32_e32 v20, v21, v22
.LBB108_152:
	s_or_b64 exec, exec, s[10:11]
	v_cmp_eq_u32_e64 s[10:11], 6, v18
	s_and_b64 s[84:85], s[10:11], s[0:1]
	s_barrier
	s_and_saveexec_b64 s[10:11], s[84:85]
	s_cbranch_execz .LBB108_154
; %bb.153:
	v_mov_b32_e32 v21, 0
	ds_read_b32 v21, v21 offset:3640
	s_waitcnt lgkmcnt(0)
	v_mul_f32_e32 v20, v20, v21
	ds_write_b32 v17, v20
.LBB108_154:
	s_or_b64 exec, exec, s[10:11]
	v_cmp_eq_u32_e64 s[10:11], 7, v18
	s_and_b64 s[66:67], s[10:11], s[0:1]
	s_waitcnt lgkmcnt(0)
	s_barrier
	s_and_saveexec_b64 s[0:1], s[66:67]
	s_cbranch_execz .LBB108_156
; %bb.155:
	v_mov_b32_e32 v21, 0
	ds_read_b32 v21, v21 offset:3644
	ds_read_b32 v22, v17
	s_waitcnt lgkmcnt(0)
	v_fmac_f32_e32 v20, v21, v22
.LBB108_156:
	s_or_b64 exec, exec, s[0:1]
	s_barrier
	s_and_saveexec_b64 s[0:1], s[66:67]
	s_cbranch_execz .LBB108_158
; %bb.157:
	v_mov_b32_e32 v21, 0
	ds_read_b32 v21, v21 offset:3900
	s_waitcnt lgkmcnt(0)
	v_mul_f32_e32 v20, v20, v21
	ds_write_b32 v17, v20
.LBB108_158:
	s_or_b64 exec, exec, s[0:1]
	s_waitcnt lgkmcnt(0)
	s_barrier
	s_barrier
	s_and_saveexec_b64 s[0:1], s[8:9]
; %bb.159:
	v_xor_b32_e32 v20, 0x80000000, v20
	ds_write_b32 v15, v20 offset:32
; %bb.160:
	s_or_b64 exec, exec, s[0:1]
	v_cmp_gt_u32_e64 s[10:11], 8, v0
	s_and_b64 s[86:87], s[12:13], s[10:11]
	s_waitcnt lgkmcnt(0)
	s_barrier
	s_barrier
	s_and_saveexec_b64 s[0:1], s[86:87]
	s_cbranch_execz .LBB108_162
; %bb.161:
	v_lshlrev_b32_e32 v20, 8, v0
	ds_read_b32 v21, v20 offset:32
	s_movk_i32 s10, 0xff04
	v_mad_i32_i24 v22, v0, s10, v20
	s_waitcnt lgkmcnt(0)
	ds_write_b32 v22, v21 offset:2048
	ds_read_b32 v21, v20 offset:36
	s_waitcnt lgkmcnt(0)
	ds_write_b32 v22, v21 offset:2304
	ds_read_b32 v21, v20 offset:40
	;; [unrolled: 3-line block ×7, first 2 shown]
	s_waitcnt lgkmcnt(0)
	ds_write_b32 v22, v20 offset:3840
.LBB108_162:
	s_or_b64 exec, exec, s[0:1]
	s_waitcnt lgkmcnt(0)
	s_barrier
	s_and_saveexec_b64 s[0:1], vcc
	s_cbranch_execz .LBB108_164
; %bb.163:
	v_mov_b32_e32 v22, 0
	ds_read_b64 v[20:21], v22 offset:2080
	ds_read_b32 v22, v22 offset:2340
	s_movk_i32 s10, 0x800
	s_waitcnt lgkmcnt(0)
	v_mul_f32_e32 v20, v20, v22
	v_mul_f32_e32 v20, v21, v20
	v_add_u32_e64 v21, s10, 0
	ds_write2_b32 v21, v20, v20 offset0:9 offset1:72
.LBB108_164:
	s_or_b64 exec, exec, s[0:1]
	v_mov_b32_e32 v20, 0
	s_waitcnt lgkmcnt(0)
	s_barrier
	s_and_saveexec_b64 s[0:1], s[2:3]
	s_cbranch_execz .LBB108_168
; %bb.165:
	v_mul_u32_u24_e32 v20, 0x104, v5
	ds_read_b32 v22, v1 offset:2088
	ds_read_b32 v20, v20 offset:2080
	v_mov_b32_e32 v21, 0
	v_cmp_gt_u32_e64 s[10:11], 2, v4
	s_waitcnt lgkmcnt(0)
	v_fma_f32 v20, v22, v20, 0
	s_and_saveexec_b64 s[14:15], s[10:11]
	s_cbranch_execz .LBB108_167
; %bb.166:
	v_lshlrev_b32_e32 v22, 2, v0
	ds_read_b32 v22, v22 offset:2344
	ds_read_b32 v21, v21 offset:2084
	s_waitcnt lgkmcnt(0)
	v_fmac_f32_e32 v20, v22, v21
.LBB108_167:
	s_or_b64 exec, exec, s[14:15]
	v_xor_b32_e32 v20, 0x80000000, v20
.LBB108_168:
	s_or_b64 exec, exec, s[0:1]
	s_and_saveexec_b64 s[0:1], s[40:41]
	s_cbranch_execz .LBB108_170
; %bb.169:
	v_mov_b32_e32 v21, 0
	ds_read_b32 v21, v21 offset:2600
	s_waitcnt lgkmcnt(0)
	v_mul_f32_e32 v20, v20, v21
	ds_write_b32 v3, v20
.LBB108_170:
	s_or_b64 exec, exec, s[0:1]
	s_waitcnt lgkmcnt(0)
	s_barrier
	s_and_saveexec_b64 s[0:1], s[38:39]
	s_cbranch_execz .LBB108_172
; %bb.171:
	v_mov_b32_e32 v21, 0
	ds_read_b32 v21, v21 offset:2604
	ds_read_b32 v22, v3
	s_waitcnt lgkmcnt(0)
	v_fmac_f32_e32 v20, v21, v22
.LBB108_172:
	s_or_b64 exec, exec, s[0:1]
	s_barrier
	s_and_saveexec_b64 s[0:1], s[38:39]
	s_cbranch_execz .LBB108_174
; %bb.173:
	v_mov_b32_e32 v21, 0
	ds_read_b32 v21, v21 offset:2860
	s_waitcnt lgkmcnt(0)
	v_mul_f32_e32 v20, v20, v21
	ds_write_b32 v3, v20
.LBB108_174:
	s_or_b64 exec, exec, s[0:1]
	s_waitcnt lgkmcnt(0)
	s_barrier
	s_barrier
	s_and_saveexec_b64 s[0:1], s[2:3]
; %bb.175:
	v_xor_b32_e32 v20, 0x80000000, v20
	ds_write_b32 v1, v20 offset:2088
; %bb.176:
	s_or_b64 exec, exec, s[0:1]
	s_waitcnt lgkmcnt(0)
	s_barrier
	s_barrier
	s_and_saveexec_b64 s[0:1], s[42:43]
	s_cbranch_execz .LBB108_178
; %bb.177:
	v_lshlrev_b32_e32 v20, 2, v0
	s_movk_i32 s10, 0xfc
	v_mad_u32_u24 v21, v0, s10, v20
	ds_read_b32 v22, v21 offset:2088
	s_waitcnt lgkmcnt(0)
	ds_write_b32 v20, v22 offset:2592
	ds_read_b32 v21, v21 offset:2092
	s_waitcnt lgkmcnt(0)
	ds_write_b32 v20, v21 offset:2848
.LBB108_178:
	s_or_b64 exec, exec, s[0:1]
	s_waitcnt lgkmcnt(0)
	s_barrier
	s_and_saveexec_b64 s[0:1], vcc
	s_cbranch_execz .LBB108_180
; %bb.179:
	v_mov_b32_e32 v22, 0
	ds_read_b64 v[20:21], v22 offset:2600
	ds_read_b32 v22, v22 offset:2860
	s_movk_i32 s10, 0x800
	s_waitcnt lgkmcnt(0)
	v_mul_f32_e32 v20, v20, v22
	v_mul_f32_e32 v20, v21, v20
	v_add_u32_e64 v21, s10, 0
	ds_write2_b32 v21, v20, v20 offset0:139 offset1:202
.LBB108_180:
	s_or_b64 exec, exec, s[0:1]
	v_mov_b32_e32 v20, 0
	s_waitcnt lgkmcnt(0)
	s_barrier
	s_and_saveexec_b64 s[0:1], s[18:19]
	s_cbranch_execz .LBB108_186
; %bb.181:
	v_mul_u32_u24_e32 v21, 0x104, v14
	ds_read_b32 v20, v6 offset:2096
	ds_read_b32 v22, v21 offset:2080
	v_cmp_gt_u32_e64 s[10:11], 12, v4
	s_waitcnt lgkmcnt(0)
	v_fma_f32 v20, v20, v22, 0
	s_and_saveexec_b64 s[14:15], s[10:11]
	s_cbranch_execnz .LBB108_1213
; %bb.182:
	s_or_b64 exec, exec, s[14:15]
	v_cmp_gt_u32_e64 s[10:11], 8, v4
	s_and_saveexec_b64 s[14:15], s[10:11]
	s_cbranch_execnz .LBB108_1214
.LBB108_183:
	s_or_b64 exec, exec, s[14:15]
	v_cmp_gt_u32_e64 s[10:11], 4, v4
	s_and_saveexec_b64 s[14:15], s[10:11]
	s_cbranch_execz .LBB108_185
.LBB108_184:
	v_lshlrev_b32_e32 v21, 2, v0
	v_mov_b32_e32 v22, 0
	ds_read_b32 v21, v21 offset:2864
	ds_read_b32 v22, v22 offset:2092
	s_waitcnt lgkmcnt(0)
	v_fmac_f32_e32 v20, v21, v22
.LBB108_185:
	s_or_b64 exec, exec, s[14:15]
	v_xor_b32_e32 v20, 0x80000000, v20
.LBB108_186:
	s_or_b64 exec, exec, s[0:1]
	s_and_saveexec_b64 s[0:1], s[46:47]
	s_cbranch_execz .LBB108_188
; %bb.187:
	v_mov_b32_e32 v21, 0
	ds_read_b32 v21, v21 offset:3120
	s_waitcnt lgkmcnt(0)
	v_mul_f32_e32 v20, v20, v21
	ds_write_b32 v12, v20
.LBB108_188:
	s_or_b64 exec, exec, s[0:1]
	s_waitcnt lgkmcnt(0)
	s_barrier
	s_and_saveexec_b64 s[0:1], s[48:49]
	s_cbranch_execz .LBB108_190
; %bb.189:
	ds_read_b32 v21, v11 offset:3120
	ds_read_b32 v22, v12
	s_waitcnt lgkmcnt(0)
	v_fmac_f32_e32 v20, v21, v22
.LBB108_190:
	s_or_b64 exec, exec, s[0:1]
	s_barrier
	s_and_saveexec_b64 s[0:1], s[50:51]
	s_cbranch_execz .LBB108_192
; %bb.191:
	v_mov_b32_e32 v21, 0
	ds_read_b32 v21, v21 offset:3380
	s_waitcnt lgkmcnt(0)
	v_mul_f32_e32 v20, v20, v21
	ds_write_b32 v12, v20
.LBB108_192:
	s_or_b64 exec, exec, s[0:1]
	s_waitcnt lgkmcnt(0)
	s_barrier
	s_and_saveexec_b64 s[0:1], s[52:53]
	s_cbranch_execz .LBB108_194
; %bb.193:
	ds_read_b32 v21, v11 offset:3376
	ds_read_b32 v22, v12
	s_waitcnt lgkmcnt(0)
	v_fmac_f32_e32 v20, v21, v22
.LBB108_194:
	s_or_b64 exec, exec, s[0:1]
	s_barrier
	s_and_saveexec_b64 s[0:1], s[54:55]
	s_cbranch_execz .LBB108_196
; %bb.195:
	v_mov_b32_e32 v21, 0
	ds_read_b32 v21, v21 offset:3640
	s_waitcnt lgkmcnt(0)
	v_mul_f32_e32 v20, v20, v21
	ds_write_b32 v12, v20
.LBB108_196:
	s_or_b64 exec, exec, s[0:1]
	s_waitcnt lgkmcnt(0)
	s_barrier
	s_and_saveexec_b64 s[0:1], s[44:45]
	s_cbranch_execz .LBB108_198
; %bb.197:
	v_mov_b32_e32 v21, 0
	ds_read_b32 v21, v21 offset:3644
	ds_read_b32 v22, v12
	s_waitcnt lgkmcnt(0)
	v_fmac_f32_e32 v20, v21, v22
.LBB108_198:
	s_or_b64 exec, exec, s[0:1]
	s_barrier
	s_and_saveexec_b64 s[0:1], s[44:45]
	s_cbranch_execz .LBB108_200
; %bb.199:
	v_mov_b32_e32 v21, 0
	ds_read_b32 v21, v21 offset:3900
	s_waitcnt lgkmcnt(0)
	v_mul_f32_e32 v20, v20, v21
	ds_write_b32 v12, v20
.LBB108_200:
	s_or_b64 exec, exec, s[0:1]
	s_waitcnt lgkmcnt(0)
	s_barrier
	s_barrier
	s_and_saveexec_b64 s[0:1], s[18:19]
; %bb.201:
	v_xor_b32_e32 v20, 0x80000000, v20
	ds_write_b32 v6, v20 offset:2096
; %bb.202:
	s_or_b64 exec, exec, s[0:1]
	s_waitcnt lgkmcnt(0)
	s_barrier
	s_barrier
	s_and_saveexec_b64 s[0:1], s[56:57]
	s_cbranch_execz .LBB108_204
; %bb.203:
	v_lshlrev_b32_e32 v20, 8, v0
	ds_read_b32 v21, v20 offset:2096
	s_movk_i32 s10, 0xff04
	v_mad_i32_i24 v22, v0, s10, v20
	s_waitcnt lgkmcnt(0)
	ds_write_b32 v22, v21 offset:3104
	ds_read_b32 v21, v20 offset:2100
	s_waitcnt lgkmcnt(0)
	ds_write_b32 v22, v21 offset:3360
	ds_read_b32 v21, v20 offset:2104
	;; [unrolled: 3-line block ×3, first 2 shown]
	s_waitcnt lgkmcnt(0)
	ds_write_b32 v22, v20 offset:3872
.LBB108_204:
	s_or_b64 exec, exec, s[0:1]
	s_waitcnt lgkmcnt(0)
	s_barrier
	s_and_saveexec_b64 s[0:1], vcc
	s_cbranch_execz .LBB108_206
; %bb.205:
	v_mov_b32_e32 v22, 0
	ds_read_b64 v[20:21], v22 offset:3120
	ds_read_b32 v22, v22 offset:3380
	s_movk_i32 s10, 0xc00
	s_waitcnt lgkmcnt(0)
	v_mul_f32_e32 v20, v20, v22
	v_mul_f32_e32 v20, v21, v20
	v_add_u32_e64 v21, s10, 0
	ds_write2_b32 v21, v20, v20 offset0:13 offset1:76
.LBB108_206:
	s_or_b64 exec, exec, s[0:1]
	v_mov_b32_e32 v20, 0
	s_waitcnt lgkmcnt(0)
	s_barrier
	s_and_saveexec_b64 s[0:1], s[2:3]
	s_cbranch_execz .LBB108_210
; %bb.207:
	v_mul_u32_u24_e32 v20, 0x104, v5
	ds_read_b32 v22, v1 offset:3128
	ds_read_b32 v20, v20 offset:3120
	v_mov_b32_e32 v21, 0
	v_cmp_gt_u32_e64 s[10:11], 2, v4
	s_waitcnt lgkmcnt(0)
	v_fma_f32 v20, v22, v20, 0
	s_and_saveexec_b64 s[14:15], s[10:11]
	s_cbranch_execz .LBB108_209
; %bb.208:
	v_lshlrev_b32_e32 v22, 2, v0
	ds_read_b32 v22, v22 offset:3384
	ds_read_b32 v21, v21 offset:3124
	s_waitcnt lgkmcnt(0)
	v_fmac_f32_e32 v20, v22, v21
.LBB108_209:
	s_or_b64 exec, exec, s[14:15]
	v_xor_b32_e32 v20, 0x80000000, v20
.LBB108_210:
	s_or_b64 exec, exec, s[0:1]
	s_and_saveexec_b64 s[0:1], s[40:41]
	s_cbranch_execz .LBB108_212
; %bb.211:
	v_mov_b32_e32 v21, 0
	ds_read_b32 v21, v21 offset:3640
	s_waitcnt lgkmcnt(0)
	v_mul_f32_e32 v20, v20, v21
	ds_write_b32 v3, v20
.LBB108_212:
	s_or_b64 exec, exec, s[0:1]
	s_waitcnt lgkmcnt(0)
	s_barrier
	s_and_saveexec_b64 s[0:1], s[38:39]
	s_cbranch_execz .LBB108_214
; %bb.213:
	v_mov_b32_e32 v21, 0
	ds_read_b32 v21, v21 offset:3644
	ds_read_b32 v22, v3
	s_waitcnt lgkmcnt(0)
	v_fmac_f32_e32 v20, v21, v22
.LBB108_214:
	s_or_b64 exec, exec, s[0:1]
	s_barrier
	s_and_saveexec_b64 s[0:1], s[38:39]
	s_cbranch_execz .LBB108_216
; %bb.215:
	v_mov_b32_e32 v21, 0
	ds_read_b32 v21, v21 offset:3900
	s_waitcnt lgkmcnt(0)
	v_mul_f32_e32 v20, v20, v21
	ds_write_b32 v3, v20
.LBB108_216:
	s_or_b64 exec, exec, s[0:1]
	s_waitcnt lgkmcnt(0)
	s_barrier
	s_barrier
	s_and_saveexec_b64 s[0:1], s[2:3]
; %bb.217:
	v_xor_b32_e32 v20, 0x80000000, v20
	ds_write_b32 v1, v20 offset:3128
; %bb.218:
	s_or_b64 exec, exec, s[0:1]
	s_waitcnt lgkmcnt(0)
	s_barrier
	s_barrier
	s_and_saveexec_b64 s[0:1], s[42:43]
	s_cbranch_execz .LBB108_220
; %bb.219:
	v_lshlrev_b32_e32 v20, 2, v0
	s_movk_i32 s10, 0xfc
	v_mad_u32_u24 v21, v0, s10, v20
	ds_read_b32 v22, v21 offset:3128
	s_waitcnt lgkmcnt(0)
	ds_write_b32 v20, v22 offset:3632
	ds_read_b32 v21, v21 offset:3132
	s_waitcnt lgkmcnt(0)
	ds_write_b32 v20, v21 offset:3888
.LBB108_220:
	s_or_b64 exec, exec, s[0:1]
	s_waitcnt lgkmcnt(0)
	s_barrier
	s_and_saveexec_b64 s[0:1], vcc
	s_cbranch_execz .LBB108_222
; %bb.221:
	v_mov_b32_e32 v22, 0
	ds_read_b64 v[20:21], v22 offset:3640
	ds_read_b32 v22, v22 offset:3900
	s_movk_i32 s10, 0xc00
	s_waitcnt lgkmcnt(0)
	v_mul_f32_e32 v20, v20, v22
	v_mul_f32_e32 v20, v21, v20
	v_add_u32_e64 v21, s10, 0
	ds_write2_b32 v21, v20, v20 offset0:143 offset1:206
.LBB108_222:
	s_or_b64 exec, exec, s[0:1]
	v_lshrrev_b32_e32 v24, 4, v4
	v_and_b32_e32 v21, 15, v0
	s_movk_i32 s0, 0xff
	v_lshlrev_b32_e32 v23, 6, v24
	v_cmp_lt_u32_e64 s[14:15], s0, v4
	s_movk_i32 s0, 0x100
	v_or_b32_e32 v20, v23, v21
	v_cmp_gt_u32_e64 s[10:11], s0, v4
	v_lshlrev_b32_e32 v20, 2, v20
	v_mov_b32_e32 v25, 0
	s_waitcnt lgkmcnt(0)
	s_barrier
	s_and_saveexec_b64 s[0:1], s[10:11]
	s_cbranch_execz .LBB108_250
; %bb.223:
	v_mul_u32_u24_e32 v25, 0x104, v24
	ds_read_b32 v22, v20 offset:64
	ds_read_b32 v26, v25
	s_movk_i32 s16, 0xf0
	v_cmp_gt_u32_e64 s[16:17], s16, v4
	s_waitcnt lgkmcnt(0)
	v_fma_f32 v22, v22, v26, 0
	s_and_saveexec_b64 s[20:21], s[16:17]
	s_cbranch_execz .LBB108_225
; %bb.224:
	v_lshlrev_b32_e32 v26, 2, v24
	v_sub_u32_e32 v26, v25, v26
	v_lshl_add_u32 v26, v21, 2, v26
	ds_read_b32 v26, v26 offset:320
	ds_read_b32 v27, v25 offset:4
	s_waitcnt lgkmcnt(0)
	v_fmac_f32_e32 v22, v26, v27
.LBB108_225:
	s_or_b64 exec, exec, s[20:21]
	s_movk_i32 s16, 0xe0
	v_cmp_gt_u32_e64 s[16:17], s16, v4
	s_and_saveexec_b64 s[20:21], s[16:17]
	s_cbranch_execz .LBB108_227
; %bb.226:
	v_lshlrev_b32_e32 v26, 2, v24
	v_sub_u32_e32 v26, v25, v26
	v_lshl_add_u32 v26, v21, 2, v26
	ds_read_b32 v26, v26 offset:576
	ds_read_b32 v27, v25 offset:8
	s_waitcnt lgkmcnt(0)
	v_fmac_f32_e32 v22, v26, v27
.LBB108_227:
	s_or_b64 exec, exec, s[20:21]
	s_movk_i32 s16, 0xd0
	v_cmp_gt_u32_e64 s[16:17], s16, v4
	;; [unrolled: 14-line block ×7, first 2 shown]
	s_and_saveexec_b64 s[20:21], s[16:17]
	s_cbranch_execz .LBB108_239
; %bb.238:
	ds_read_b32 v26, v20 offset:2112
	ds_read_b32 v27, v25 offset:32
	s_waitcnt lgkmcnt(0)
	v_fmac_f32_e32 v22, v26, v27
.LBB108_239:
	s_or_b64 exec, exec, s[20:21]
	s_movk_i32 s16, 0x70
	v_cmp_gt_u32_e64 s[16:17], s16, v4
	s_and_saveexec_b64 s[20:21], s[16:17]
	s_cbranch_execz .LBB108_241
; %bb.240:
	v_lshlrev_b32_e32 v26, 2, v24
	v_sub_u32_e32 v26, v25, v26
	v_lshl_add_u32 v26, v21, 2, v26
	ds_read_b32 v26, v26 offset:2368
	ds_read_b32 v27, v25 offset:36
	s_waitcnt lgkmcnt(0)
	v_fmac_f32_e32 v22, v26, v27
.LBB108_241:
	s_or_b64 exec, exec, s[20:21]
	s_movk_i32 s16, 0x60
	v_cmp_gt_u32_e64 s[16:17], s16, v4
	s_and_saveexec_b64 s[20:21], s[16:17]
	s_cbranch_execz .LBB108_243
; %bb.242:
	v_lshlrev_b32_e32 v26, 2, v21
	v_lshl_add_u32 v26, v23, 2, v26
	ds_read_b32 v26, v26 offset:2624
	ds_read_b32 v27, v25 offset:40
	s_waitcnt lgkmcnt(0)
	v_fmac_f32_e32 v22, v26, v27
.LBB108_243:
	s_or_b64 exec, exec, s[20:21]
	s_movk_i32 s16, 0x50
	v_cmp_gt_u32_e64 s[16:17], s16, v4
	s_and_saveexec_b64 s[20:21], s[16:17]
	s_cbranch_execnz .LBB108_1215
; %bb.244:
	s_or_b64 exec, exec, s[20:21]
	v_cmp_gt_u32_e64 s[16:17], 64, v4
	s_and_saveexec_b64 s[20:21], s[16:17]
	s_cbranch_execnz .LBB108_1216
.LBB108_245:
	s_or_b64 exec, exec, s[20:21]
	v_cmp_gt_u32_e64 s[16:17], 48, v4
	s_and_saveexec_b64 s[20:21], s[16:17]
	s_cbranch_execnz .LBB108_1217
.LBB108_246:
	s_or_b64 exec, exec, s[20:21]
	v_cmp_gt_u32_e64 s[16:17], 32, v4
	s_and_saveexec_b64 s[20:21], s[16:17]
	s_cbranch_execnz .LBB108_1218
.LBB108_247:
	s_or_b64 exec, exec, s[20:21]
	v_cmp_gt_u32_e64 s[16:17], 16, v4
	s_and_saveexec_b64 s[20:21], s[16:17]
	s_cbranch_execz .LBB108_249
.LBB108_248:
	v_lshlrev_b32_e32 v25, 2, v0
	v_mov_b32_e32 v26, 0
	ds_read_b32 v25, v25 offset:3904
	ds_read_b32 v26, v26 offset:60
	s_waitcnt lgkmcnt(0)
	v_fmac_f32_e32 v22, v25, v26
.LBB108_249:
	s_or_b64 exec, exec, s[20:21]
	v_xor_b32_e32 v25, 0x80000000, v22
.LBB108_250:
	s_or_b64 exec, exec, s[0:1]
	v_mov_b32_e32 v22, 0x4000
	v_lshl_add_u32 v22, v24, 2, v22
	v_cmp_eq_u32_e64 s[16:17], 0, v21
	s_xor_b64 s[20:21], s[14:15], -1
	s_and_b64 s[14:15], s[16:17], s[20:21]
	s_mov_b64 s[0:1], exec
	v_writelane_b32 v33, s14, 4
	v_writelane_b32 v33, s15, 5
	s_and_b64 s[14:15], s[0:1], s[14:15]
	s_mov_b64 exec, s[14:15]
	s_cbranch_execz .LBB108_252
; %bb.251:
	v_mov_b32_e32 v26, 0
	ds_read_b32 v26, v26 offset:4160
	s_waitcnt lgkmcnt(0)
	v_mul_f32_e32 v25, v25, v26
	ds_write_b32 v22, v25
.LBB108_252:
	s_or_b64 exec, exec, s[0:1]
	v_cmp_ne_u32_e64 s[14:15], 0, v21
	s_waitcnt lgkmcnt(0)
	s_barrier
	s_and_b64 s[14:15], s[14:15], s[20:21]
	s_mov_b64 s[0:1], exec
	v_writelane_b32 v33, s14, 6
	v_writelane_b32 v33, s15, 7
	s_and_b64 s[14:15], s[0:1], s[14:15]
	s_mov_b64 exec, s[14:15]
	s_cbranch_execz .LBB108_254
; %bb.253:
	v_lshlrev_b32_e32 v26, 2, v21
	ds_read_b32 v26, v26 offset:4160
	ds_read_b32 v27, v22
	s_waitcnt lgkmcnt(0)
	v_fmac_f32_e32 v25, v26, v27
.LBB108_254:
	s_or_b64 exec, exec, s[0:1]
	v_cmp_eq_u32_e64 s[14:15], 1, v21
	s_barrier
	s_and_b64 s[14:15], s[14:15], s[20:21]
	s_mov_b64 s[0:1], exec
	v_writelane_b32 v33, s14, 8
	v_writelane_b32 v33, s15, 9
	s_and_b64 s[14:15], s[0:1], s[14:15]
	s_mov_b64 exec, s[14:15]
	s_cbranch_execz .LBB108_256
; %bb.255:
	v_mov_b32_e32 v26, 0
	ds_read_b32 v26, v26 offset:4420
	s_waitcnt lgkmcnt(0)
	v_mul_f32_e32 v25, v25, v26
	ds_write_b32 v22, v25
.LBB108_256:
	s_or_b64 exec, exec, s[0:1]
	v_cmp_lt_u32_e64 s[14:15], 1, v21
	s_waitcnt lgkmcnt(0)
	s_barrier
	s_and_b64 s[14:15], s[14:15], s[20:21]
	s_mov_b64 s[0:1], exec
	v_writelane_b32 v33, s14, 10
	v_writelane_b32 v33, s15, 11
	s_and_b64 s[14:15], s[0:1], s[14:15]
	s_mov_b64 exec, s[14:15]
	s_cbranch_execz .LBB108_258
; %bb.257:
	v_lshlrev_b32_e32 v26, 2, v21
	ds_read_b32 v26, v26 offset:4416
	ds_read_b32 v27, v22
	s_waitcnt lgkmcnt(0)
	v_fmac_f32_e32 v25, v26, v27
.LBB108_258:
	s_or_b64 exec, exec, s[0:1]
	v_cmp_eq_u32_e64 s[14:15], 2, v21
	s_barrier
	s_and_b64 s[14:15], s[14:15], s[20:21]
	s_mov_b64 s[0:1], exec
	v_writelane_b32 v33, s14, 12
	v_writelane_b32 v33, s15, 13
	s_and_b64 s[14:15], s[0:1], s[14:15]
	s_mov_b64 exec, s[14:15]
	s_cbranch_execz .LBB108_260
; %bb.259:
	v_mov_b32_e32 v26, 0
	ds_read_b32 v26, v26 offset:4680
	s_waitcnt lgkmcnt(0)
	v_mul_f32_e32 v25, v25, v26
	ds_write_b32 v22, v25
.LBB108_260:
	s_or_b64 exec, exec, s[0:1]
	v_cmp_lt_u32_e64 s[14:15], 2, v21
	;; [unrolled: 35-line block ×13, first 2 shown]
	s_waitcnt lgkmcnt(0)
	s_barrier
	s_and_b64 s[14:15], s[14:15], s[20:21]
	s_mov_b64 s[0:1], exec
	v_writelane_b32 v33, s14, 58
	v_writelane_b32 v33, s15, 59
	s_and_b64 s[14:15], s[0:1], s[14:15]
	s_mov_b64 exec, s[14:15]
	s_cbranch_execz .LBB108_306
; %bb.305:
	v_lshlrev_b32_e32 v26, 2, v21
	ds_read_b32 v26, v26 offset:7488
	ds_read_b32 v27, v22
	s_waitcnt lgkmcnt(0)
	v_fmac_f32_e32 v25, v26, v27
.LBB108_306:
	s_or_b64 exec, exec, s[0:1]
	v_cmp_eq_u32_e64 s[14:15], 14, v21
	s_barrier
	s_and_b64 s[14:15], s[14:15], s[20:21]
	s_mov_b64 s[0:1], exec
	v_writelane_b32 v33, s14, 60
	v_writelane_b32 v33, s15, 61
	s_and_b64 s[14:15], s[0:1], s[14:15]
	s_mov_b64 exec, s[14:15]
	s_cbranch_execz .LBB108_308
; %bb.307:
	v_mov_b32_e32 v26, 0
	ds_read_b32 v26, v26 offset:7800
	s_waitcnt lgkmcnt(0)
	v_mul_f32_e32 v25, v25, v26
	ds_write_b32 v22, v25
.LBB108_308:
	s_or_b64 exec, exec, s[0:1]
	v_cmp_eq_u32_e64 s[14:15], 15, v21
	s_and_b64 s[88:89], s[14:15], s[20:21]
	s_waitcnt lgkmcnt(0)
	s_barrier
	s_and_saveexec_b64 s[0:1], s[88:89]
	s_cbranch_execz .LBB108_310
; %bb.309:
	v_mov_b32_e32 v26, 0
	ds_read_b32 v26, v26 offset:7804
	ds_read_b32 v27, v22
	s_waitcnt lgkmcnt(0)
	v_fmac_f32_e32 v25, v26, v27
.LBB108_310:
	s_or_b64 exec, exec, s[0:1]
	s_barrier
	s_and_saveexec_b64 s[0:1], s[88:89]
	s_cbranch_execz .LBB108_312
; %bb.311:
	v_mov_b32_e32 v26, 0
	ds_read_b32 v26, v26 offset:8060
	s_waitcnt lgkmcnt(0)
	v_mul_f32_e32 v25, v25, v26
	ds_write_b32 v22, v25
.LBB108_312:
	s_or_b64 exec, exec, s[0:1]
	s_waitcnt lgkmcnt(0)
	s_barrier
	s_barrier
	s_and_saveexec_b64 s[0:1], s[10:11]
; %bb.313:
	v_xor_b32_e32 v25, 0x80000000, v25
	ds_write_b32 v20, v25 offset:64
; %bb.314:
	s_or_b64 exec, exec, s[0:1]
	v_cmp_gt_u32_e64 s[14:15], 16, v0
	s_waitcnt lgkmcnt(0)
	s_barrier
	s_barrier
	s_and_b64 s[0:1], s[12:13], s[14:15]
	s_mov_b64 s[14:15], exec
	v_writelane_b32 v33, s0, 62
	v_writelane_b32 v33, s1, 63
	s_and_b64 s[0:1], s[14:15], s[0:1]
	s_mov_b64 exec, s[0:1]
	s_cbranch_execz .LBB108_316
; %bb.315:
	v_lshlrev_b32_e32 v25, 8, v0
	ds_read_b32 v26, v25 offset:64
	s_movk_i32 s0, 0xff04
	v_mad_i32_i24 v27, v0, s0, v25
	s_waitcnt lgkmcnt(0)
	ds_write_b32 v27, v26 offset:4096
	ds_read_b32 v26, v25 offset:68
	s_waitcnt lgkmcnt(0)
	ds_write_b32 v27, v26 offset:4352
	ds_read_b32 v26, v25 offset:72
	;; [unrolled: 3-line block ×15, first 2 shown]
	s_waitcnt lgkmcnt(0)
	ds_write_b32 v27, v25 offset:7936
.LBB108_316:
	s_or_b64 exec, exec, s[14:15]
	s_waitcnt lgkmcnt(0)
	s_barrier
	s_and_saveexec_b64 s[14:15], vcc
	s_cbranch_execz .LBB108_318
; %bb.317:
	v_mov_b32_e32 v27, 0
	ds_read_b64 v[25:26], v27 offset:4160
	ds_read_b32 v27, v27 offset:4420
	s_movk_i32 s0, 0x1000
	s_waitcnt lgkmcnt(0)
	v_mul_f32_e32 v25, v25, v27
	v_mul_f32_e32 v25, v26, v25
	v_add_u32_e64 v26, s0, 0
	ds_write2_b32 v26, v25, v25 offset0:17 offset1:80
.LBB108_318:
	s_or_b64 exec, exec, s[14:15]
	v_mov_b32_e32 v25, 0
	s_waitcnt lgkmcnt(0)
	s_barrier
	s_and_saveexec_b64 s[16:17], s[2:3]
	s_cbranch_execz .LBB108_322
; %bb.319:
	v_mul_u32_u24_e32 v25, 0x104, v5
	ds_read_b32 v27, v1 offset:4168
	ds_read_b32 v25, v25 offset:4160
	v_mov_b32_e32 v26, 0
	v_cmp_gt_u32_e64 s[14:15], 2, v4
	s_waitcnt lgkmcnt(0)
	v_fma_f32 v25, v27, v25, 0
	s_and_saveexec_b64 s[0:1], s[14:15]
	s_cbranch_execz .LBB108_321
; %bb.320:
	v_lshlrev_b32_e32 v27, 2, v0
	ds_read_b32 v27, v27 offset:4424
	ds_read_b32 v26, v26 offset:4164
	s_waitcnt lgkmcnt(0)
	v_fmac_f32_e32 v25, v27, v26
.LBB108_321:
	s_or_b64 exec, exec, s[0:1]
	v_xor_b32_e32 v25, 0x80000000, v25
.LBB108_322:
	s_or_b64 exec, exec, s[16:17]
	s_and_saveexec_b64 s[0:1], s[40:41]
	s_cbranch_execz .LBB108_324
; %bb.323:
	v_mov_b32_e32 v26, 0
	ds_read_b32 v26, v26 offset:4680
	s_waitcnt lgkmcnt(0)
	v_mul_f32_e32 v25, v25, v26
	ds_write_b32 v3, v25
.LBB108_324:
	s_or_b64 exec, exec, s[0:1]
	s_waitcnt lgkmcnt(0)
	s_barrier
	s_and_saveexec_b64 s[0:1], s[38:39]
	s_cbranch_execz .LBB108_326
; %bb.325:
	v_mov_b32_e32 v26, 0
	ds_read_b32 v26, v26 offset:4684
	ds_read_b32 v27, v3
	s_waitcnt lgkmcnt(0)
	v_fmac_f32_e32 v25, v26, v27
.LBB108_326:
	s_or_b64 exec, exec, s[0:1]
	s_barrier
	s_and_saveexec_b64 s[0:1], s[38:39]
	s_cbranch_execz .LBB108_328
; %bb.327:
	v_mov_b32_e32 v26, 0
	ds_read_b32 v26, v26 offset:4940
	s_waitcnt lgkmcnt(0)
	v_mul_f32_e32 v25, v25, v26
	ds_write_b32 v3, v25
.LBB108_328:
	s_or_b64 exec, exec, s[0:1]
	s_waitcnt lgkmcnt(0)
	s_barrier
	s_barrier
	s_and_saveexec_b64 s[0:1], s[2:3]
; %bb.329:
	v_xor_b32_e32 v25, 0x80000000, v25
	ds_write_b32 v1, v25 offset:4168
; %bb.330:
	s_or_b64 exec, exec, s[0:1]
	s_waitcnt lgkmcnt(0)
	s_barrier
	s_barrier
	s_and_saveexec_b64 s[0:1], s[42:43]
	s_cbranch_execz .LBB108_332
; %bb.331:
	v_lshlrev_b32_e32 v25, 2, v0
	s_movk_i32 s14, 0xfc
	v_mad_u32_u24 v26, v0, s14, v25
	ds_read_b32 v27, v26 offset:4168
	s_waitcnt lgkmcnt(0)
	ds_write_b32 v25, v27 offset:4672
	ds_read_b32 v26, v26 offset:4172
	s_waitcnt lgkmcnt(0)
	ds_write_b32 v25, v26 offset:4928
.LBB108_332:
	s_or_b64 exec, exec, s[0:1]
	s_waitcnt lgkmcnt(0)
	s_barrier
	s_and_saveexec_b64 s[14:15], vcc
	s_cbranch_execz .LBB108_334
; %bb.333:
	v_mov_b32_e32 v27, 0
	ds_read_b64 v[25:26], v27 offset:4680
	ds_read_b32 v27, v27 offset:4940
	s_movk_i32 s0, 0x1000
	s_waitcnt lgkmcnt(0)
	v_mul_f32_e32 v25, v25, v27
	v_mul_f32_e32 v25, v26, v25
	v_add_u32_e64 v26, s0, 0
	ds_write2_b32 v26, v25, v25 offset0:147 offset1:210
.LBB108_334:
	s_or_b64 exec, exec, s[14:15]
	v_mov_b32_e32 v25, 0
	s_waitcnt lgkmcnt(0)
	s_barrier
	s_and_saveexec_b64 s[16:17], s[18:19]
	s_cbranch_execz .LBB108_340
; %bb.335:
	v_mul_u32_u24_e32 v26, 0x104, v14
	ds_read_b32 v25, v6 offset:4176
	ds_read_b32 v27, v26 offset:4160
	v_cmp_gt_u32_e64 s[14:15], 12, v4
	s_waitcnt lgkmcnt(0)
	v_fma_f32 v25, v25, v27, 0
	s_and_saveexec_b64 s[20:21], s[14:15]
	s_cbranch_execnz .LBB108_1219
; %bb.336:
	s_or_b64 exec, exec, s[20:21]
	v_cmp_gt_u32_e64 s[14:15], 8, v4
	s_and_saveexec_b64 s[0:1], s[14:15]
	s_cbranch_execnz .LBB108_1220
.LBB108_337:
	s_or_b64 exec, exec, s[0:1]
	v_cmp_gt_u32_e64 s[14:15], 4, v4
	s_and_saveexec_b64 s[20:21], s[14:15]
	s_cbranch_execz .LBB108_339
.LBB108_338:
	v_lshlrev_b32_e32 v26, 2, v0
	v_mov_b32_e32 v27, 0
	ds_read_b32 v26, v26 offset:4944
	ds_read_b32 v27, v27 offset:4172
	s_waitcnt lgkmcnt(0)
	v_fmac_f32_e32 v25, v26, v27
.LBB108_339:
	s_or_b64 exec, exec, s[20:21]
	v_xor_b32_e32 v25, 0x80000000, v25
.LBB108_340:
	s_or_b64 exec, exec, s[16:17]
	s_and_saveexec_b64 s[0:1], s[46:47]
	s_cbranch_execz .LBB108_342
; %bb.341:
	v_mov_b32_e32 v26, 0
	ds_read_b32 v26, v26 offset:5200
	s_waitcnt lgkmcnt(0)
	v_mul_f32_e32 v25, v25, v26
	ds_write_b32 v12, v25
.LBB108_342:
	s_or_b64 exec, exec, s[0:1]
	s_waitcnt lgkmcnt(0)
	s_barrier
	s_and_saveexec_b64 s[0:1], s[48:49]
	s_cbranch_execz .LBB108_344
; %bb.343:
	ds_read_b32 v26, v11 offset:5200
	ds_read_b32 v27, v12
	s_waitcnt lgkmcnt(0)
	v_fmac_f32_e32 v25, v26, v27
.LBB108_344:
	s_or_b64 exec, exec, s[0:1]
	s_barrier
	s_and_saveexec_b64 s[0:1], s[50:51]
	s_cbranch_execz .LBB108_346
; %bb.345:
	v_mov_b32_e32 v26, 0
	ds_read_b32 v26, v26 offset:5460
	s_waitcnt lgkmcnt(0)
	v_mul_f32_e32 v25, v25, v26
	ds_write_b32 v12, v25
.LBB108_346:
	s_or_b64 exec, exec, s[0:1]
	s_waitcnt lgkmcnt(0)
	s_barrier
	s_and_saveexec_b64 s[0:1], s[52:53]
	s_cbranch_execz .LBB108_348
; %bb.347:
	ds_read_b32 v26, v11 offset:5456
	ds_read_b32 v27, v12
	s_waitcnt lgkmcnt(0)
	v_fmac_f32_e32 v25, v26, v27
.LBB108_348:
	s_or_b64 exec, exec, s[0:1]
	s_barrier
	s_and_saveexec_b64 s[0:1], s[54:55]
	s_cbranch_execz .LBB108_350
; %bb.349:
	v_mov_b32_e32 v26, 0
	ds_read_b32 v26, v26 offset:5720
	s_waitcnt lgkmcnt(0)
	v_mul_f32_e32 v25, v25, v26
	ds_write_b32 v12, v25
.LBB108_350:
	s_or_b64 exec, exec, s[0:1]
	s_waitcnt lgkmcnt(0)
	s_barrier
	s_and_saveexec_b64 s[0:1], s[44:45]
	s_cbranch_execz .LBB108_352
; %bb.351:
	v_mov_b32_e32 v26, 0
	ds_read_b32 v26, v26 offset:5724
	ds_read_b32 v27, v12
	s_waitcnt lgkmcnt(0)
	v_fmac_f32_e32 v25, v26, v27
.LBB108_352:
	s_or_b64 exec, exec, s[0:1]
	s_barrier
	s_and_saveexec_b64 s[0:1], s[44:45]
	s_cbranch_execz .LBB108_354
; %bb.353:
	v_mov_b32_e32 v26, 0
	ds_read_b32 v26, v26 offset:5980
	s_waitcnt lgkmcnt(0)
	v_mul_f32_e32 v25, v25, v26
	ds_write_b32 v12, v25
.LBB108_354:
	s_or_b64 exec, exec, s[0:1]
	s_waitcnt lgkmcnt(0)
	s_barrier
	s_barrier
	s_and_saveexec_b64 s[0:1], s[18:19]
; %bb.355:
	v_xor_b32_e32 v25, 0x80000000, v25
	ds_write_b32 v6, v25 offset:4176
; %bb.356:
	s_or_b64 exec, exec, s[0:1]
	s_waitcnt lgkmcnt(0)
	s_barrier
	s_barrier
	s_and_saveexec_b64 s[14:15], s[56:57]
	s_cbranch_execz .LBB108_358
; %bb.357:
	v_lshlrev_b32_e32 v25, 8, v0
	ds_read_b32 v26, v25 offset:4176
	s_movk_i32 s0, 0xff04
	v_mad_i32_i24 v27, v0, s0, v25
	s_waitcnt lgkmcnt(0)
	ds_write_b32 v27, v26 offset:5184
	ds_read_b32 v26, v25 offset:4180
	s_waitcnt lgkmcnt(0)
	ds_write_b32 v27, v26 offset:5440
	ds_read_b32 v26, v25 offset:4184
	;; [unrolled: 3-line block ×3, first 2 shown]
	s_waitcnt lgkmcnt(0)
	ds_write_b32 v27, v25 offset:5952
.LBB108_358:
	s_or_b64 exec, exec, s[14:15]
	s_waitcnt lgkmcnt(0)
	s_barrier
	s_and_saveexec_b64 s[14:15], vcc
	s_cbranch_execz .LBB108_360
; %bb.359:
	v_mov_b32_e32 v27, 0
	ds_read_b64 v[25:26], v27 offset:5200
	ds_read_b32 v27, v27 offset:5460
	s_movk_i32 s0, 0x1400
	s_waitcnt lgkmcnt(0)
	v_mul_f32_e32 v25, v25, v27
	v_mul_f32_e32 v25, v26, v25
	v_add_u32_e64 v26, s0, 0
	ds_write2_b32 v26, v25, v25 offset0:21 offset1:84
.LBB108_360:
	s_or_b64 exec, exec, s[14:15]
	v_mov_b32_e32 v25, 0
	s_waitcnt lgkmcnt(0)
	s_barrier
	s_and_saveexec_b64 s[16:17], s[2:3]
	s_cbranch_execz .LBB108_364
; %bb.361:
	v_mul_u32_u24_e32 v25, 0x104, v5
	ds_read_b32 v27, v1 offset:5208
	ds_read_b32 v25, v25 offset:5200
	v_mov_b32_e32 v26, 0
	v_cmp_gt_u32_e64 s[14:15], 2, v4
	s_waitcnt lgkmcnt(0)
	v_fma_f32 v25, v27, v25, 0
	s_and_saveexec_b64 s[0:1], s[14:15]
	s_cbranch_execz .LBB108_363
; %bb.362:
	v_lshlrev_b32_e32 v27, 2, v0
	ds_read_b32 v27, v27 offset:5464
	ds_read_b32 v26, v26 offset:5204
	s_waitcnt lgkmcnt(0)
	v_fmac_f32_e32 v25, v27, v26
.LBB108_363:
	s_or_b64 exec, exec, s[0:1]
	v_xor_b32_e32 v25, 0x80000000, v25
.LBB108_364:
	s_or_b64 exec, exec, s[16:17]
	s_and_saveexec_b64 s[0:1], s[40:41]
	s_cbranch_execz .LBB108_366
; %bb.365:
	v_mov_b32_e32 v26, 0
	ds_read_b32 v26, v26 offset:5720
	s_waitcnt lgkmcnt(0)
	v_mul_f32_e32 v25, v25, v26
	ds_write_b32 v3, v25
.LBB108_366:
	s_or_b64 exec, exec, s[0:1]
	s_waitcnt lgkmcnt(0)
	s_barrier
	s_and_saveexec_b64 s[0:1], s[38:39]
	s_cbranch_execz .LBB108_368
; %bb.367:
	v_mov_b32_e32 v26, 0
	ds_read_b32 v26, v26 offset:5724
	ds_read_b32 v27, v3
	s_waitcnt lgkmcnt(0)
	v_fmac_f32_e32 v25, v26, v27
.LBB108_368:
	s_or_b64 exec, exec, s[0:1]
	s_barrier
	s_and_saveexec_b64 s[0:1], s[38:39]
	s_cbranch_execz .LBB108_370
; %bb.369:
	v_mov_b32_e32 v26, 0
	ds_read_b32 v26, v26 offset:5980
	s_waitcnt lgkmcnt(0)
	v_mul_f32_e32 v25, v25, v26
	ds_write_b32 v3, v25
.LBB108_370:
	s_or_b64 exec, exec, s[0:1]
	s_waitcnt lgkmcnt(0)
	s_barrier
	s_barrier
	s_and_saveexec_b64 s[0:1], s[2:3]
; %bb.371:
	v_xor_b32_e32 v25, 0x80000000, v25
	ds_write_b32 v1, v25 offset:5208
; %bb.372:
	s_or_b64 exec, exec, s[0:1]
	s_waitcnt lgkmcnt(0)
	s_barrier
	s_barrier
	s_and_saveexec_b64 s[0:1], s[42:43]
	s_cbranch_execz .LBB108_374
; %bb.373:
	v_lshlrev_b32_e32 v25, 2, v0
	s_movk_i32 s14, 0xfc
	v_mad_u32_u24 v26, v0, s14, v25
	ds_read_b32 v27, v26 offset:5208
	s_waitcnt lgkmcnt(0)
	ds_write_b32 v25, v27 offset:5712
	ds_read_b32 v26, v26 offset:5212
	s_waitcnt lgkmcnt(0)
	ds_write_b32 v25, v26 offset:5968
.LBB108_374:
	s_or_b64 exec, exec, s[0:1]
	s_waitcnt lgkmcnt(0)
	s_barrier
	s_and_saveexec_b64 s[14:15], vcc
	s_cbranch_execz .LBB108_376
; %bb.375:
	v_mov_b32_e32 v27, 0
	ds_read_b64 v[25:26], v27 offset:5720
	ds_read_b32 v27, v27 offset:5980
	s_movk_i32 s0, 0x1400
	s_waitcnt lgkmcnt(0)
	v_mul_f32_e32 v25, v25, v27
	v_mul_f32_e32 v25, v26, v25
	v_add_u32_e64 v26, s0, 0
	ds_write2_b32 v26, v25, v25 offset0:151 offset1:214
.LBB108_376:
	s_or_b64 exec, exec, s[14:15]
	v_mov_b32_e32 v25, 0
	s_waitcnt lgkmcnt(0)
	s_barrier
	s_and_saveexec_b64 s[16:17], s[8:9]
	s_cbranch_execz .LBB108_386
; %bb.377:
	v_mul_u32_u24_e32 v26, 0x104, v19
	ds_read_b32 v25, v15 offset:4192
	ds_read_b32 v27, v26 offset:4160
	v_cmp_gt_u32_e64 s[14:15], 56, v4
	s_waitcnt lgkmcnt(0)
	v_fma_f32 v25, v25, v27, 0
	s_and_saveexec_b64 s[20:21], s[14:15]
	s_cbranch_execnz .LBB108_1221
; %bb.378:
	s_or_b64 exec, exec, s[20:21]
	v_cmp_gt_u32_e64 s[14:15], 48, v4
	s_and_saveexec_b64 s[20:21], s[14:15]
	s_cbranch_execnz .LBB108_1222
.LBB108_379:
	s_or_b64 exec, exec, s[20:21]
	v_cmp_gt_u32_e64 s[14:15], 40, v4
	s_and_saveexec_b64 s[20:21], s[14:15]
	s_cbranch_execnz .LBB108_1223
.LBB108_380:
	s_or_b64 exec, exec, s[20:21]
	v_cmp_gt_u32_e64 s[14:15], 32, v4
	s_and_saveexec_b64 s[0:1], s[14:15]
	s_cbranch_execnz .LBB108_1224
.LBB108_381:
	s_or_b64 exec, exec, s[0:1]
	v_cmp_gt_u32_e64 s[14:15], 24, v4
	s_and_saveexec_b64 s[20:21], s[14:15]
	s_cbranch_execnz .LBB108_1225
.LBB108_382:
	s_or_b64 exec, exec, s[20:21]
	v_cmp_gt_u32_e64 s[14:15], 16, v4
	s_and_saveexec_b64 s[0:1], s[14:15]
	s_cbranch_execnz .LBB108_1226
.LBB108_383:
	s_or_b64 exec, exec, s[0:1]
	v_cmp_gt_u32_e64 s[14:15], 8, v4
	s_and_saveexec_b64 s[20:21], s[14:15]
	s_cbranch_execz .LBB108_385
.LBB108_384:
	v_lshlrev_b32_e32 v26, 2, v0
	v_mov_b32_e32 v27, 0
	ds_read_b32 v26, v26 offset:5984
	ds_read_b32 v27, v27 offset:4188
	s_waitcnt lgkmcnt(0)
	v_fmac_f32_e32 v25, v26, v27
.LBB108_385:
	s_or_b64 exec, exec, s[20:21]
	v_xor_b32_e32 v25, 0x80000000, v25
.LBB108_386:
	s_or_b64 exec, exec, s[16:17]
	s_and_saveexec_b64 s[0:1], s[58:59]
	s_cbranch_execz .LBB108_388
; %bb.387:
	v_mov_b32_e32 v26, 0
	ds_read_b32 v26, v26 offset:6240
	s_waitcnt lgkmcnt(0)
	v_mul_f32_e32 v25, v25, v26
	ds_write_b32 v17, v25
.LBB108_388:
	s_or_b64 exec, exec, s[0:1]
	s_waitcnt lgkmcnt(0)
	s_barrier
	s_and_saveexec_b64 s[0:1], s[60:61]
	s_cbranch_execz .LBB108_390
; %bb.389:
	ds_read_b32 v26, v16 offset:6240
	ds_read_b32 v27, v17
	s_waitcnt lgkmcnt(0)
	v_fmac_f32_e32 v25, v26, v27
.LBB108_390:
	s_or_b64 exec, exec, s[0:1]
	s_barrier
	s_and_saveexec_b64 s[0:1], s[62:63]
	s_cbranch_execz .LBB108_392
; %bb.391:
	v_mov_b32_e32 v26, 0
	ds_read_b32 v26, v26 offset:6500
	s_waitcnt lgkmcnt(0)
	v_mul_f32_e32 v25, v25, v26
	ds_write_b32 v17, v25
.LBB108_392:
	s_or_b64 exec, exec, s[0:1]
	s_waitcnt lgkmcnt(0)
	s_barrier
	s_and_saveexec_b64 s[0:1], s[64:65]
	s_cbranch_execz .LBB108_394
; %bb.393:
	ds_read_b32 v26, v16 offset:6496
	ds_read_b32 v27, v17
	s_waitcnt lgkmcnt(0)
	v_fmac_f32_e32 v25, v26, v27
.LBB108_394:
	s_or_b64 exec, exec, s[0:1]
	s_barrier
	;; [unrolled: 22-line block ×6, first 2 shown]
	s_and_saveexec_b64 s[0:1], s[84:85]
	s_cbranch_execz .LBB108_412
; %bb.411:
	v_mov_b32_e32 v26, 0
	ds_read_b32 v26, v26 offset:7800
	s_waitcnt lgkmcnt(0)
	v_mul_f32_e32 v25, v25, v26
	ds_write_b32 v17, v25
.LBB108_412:
	s_or_b64 exec, exec, s[0:1]
	s_waitcnt lgkmcnt(0)
	s_barrier
	s_and_saveexec_b64 s[0:1], s[66:67]
	s_cbranch_execz .LBB108_414
; %bb.413:
	v_mov_b32_e32 v26, 0
	ds_read_b32 v26, v26 offset:7804
	ds_read_b32 v27, v17
	s_waitcnt lgkmcnt(0)
	v_fmac_f32_e32 v25, v26, v27
.LBB108_414:
	s_or_b64 exec, exec, s[0:1]
	s_barrier
	s_and_saveexec_b64 s[0:1], s[66:67]
	s_cbranch_execz .LBB108_416
; %bb.415:
	v_mov_b32_e32 v26, 0
	ds_read_b32 v26, v26 offset:8060
	s_waitcnt lgkmcnt(0)
	v_mul_f32_e32 v25, v25, v26
	ds_write_b32 v17, v25
.LBB108_416:
	s_or_b64 exec, exec, s[0:1]
	s_waitcnt lgkmcnt(0)
	s_barrier
	s_barrier
	s_and_saveexec_b64 s[0:1], s[8:9]
; %bb.417:
	v_xor_b32_e32 v25, 0x80000000, v25
	ds_write_b32 v15, v25 offset:4192
; %bb.418:
	s_or_b64 exec, exec, s[0:1]
	s_waitcnt lgkmcnt(0)
	s_barrier
	s_barrier
	s_and_saveexec_b64 s[14:15], s[86:87]
	s_cbranch_execz .LBB108_420
; %bb.419:
	v_lshlrev_b32_e32 v25, 8, v0
	ds_read_b32 v26, v25 offset:4192
	s_movk_i32 s0, 0xff04
	v_mad_i32_i24 v27, v0, s0, v25
	s_waitcnt lgkmcnt(0)
	ds_write_b32 v27, v26 offset:6208
	ds_read_b32 v26, v25 offset:4196
	s_waitcnt lgkmcnt(0)
	ds_write_b32 v27, v26 offset:6464
	ds_read_b32 v26, v25 offset:4200
	;; [unrolled: 3-line block ×7, first 2 shown]
	s_waitcnt lgkmcnt(0)
	ds_write_b32 v27, v25 offset:8000
.LBB108_420:
	s_or_b64 exec, exec, s[14:15]
	s_waitcnt lgkmcnt(0)
	s_barrier
	s_and_saveexec_b64 s[14:15], vcc
	s_cbranch_execz .LBB108_422
; %bb.421:
	v_mov_b32_e32 v27, 0
	ds_read_b64 v[25:26], v27 offset:6240
	ds_read_b32 v27, v27 offset:6500
	s_movk_i32 s0, 0x1800
	s_waitcnt lgkmcnt(0)
	v_mul_f32_e32 v25, v25, v27
	v_mul_f32_e32 v25, v26, v25
	v_add_u32_e64 v26, s0, 0
	ds_write2_b32 v26, v25, v25 offset0:25 offset1:88
.LBB108_422:
	s_or_b64 exec, exec, s[14:15]
	v_mov_b32_e32 v25, 0
	s_waitcnt lgkmcnt(0)
	s_barrier
	s_and_saveexec_b64 s[16:17], s[2:3]
	s_cbranch_execz .LBB108_426
; %bb.423:
	v_mul_u32_u24_e32 v25, 0x104, v5
	ds_read_b32 v27, v1 offset:6248
	ds_read_b32 v25, v25 offset:6240
	v_mov_b32_e32 v26, 0
	v_cmp_gt_u32_e64 s[14:15], 2, v4
	s_waitcnt lgkmcnt(0)
	v_fma_f32 v25, v27, v25, 0
	s_and_saveexec_b64 s[0:1], s[14:15]
	s_cbranch_execz .LBB108_425
; %bb.424:
	v_lshlrev_b32_e32 v27, 2, v0
	ds_read_b32 v27, v27 offset:6504
	ds_read_b32 v26, v26 offset:6244
	s_waitcnt lgkmcnt(0)
	v_fmac_f32_e32 v25, v27, v26
.LBB108_425:
	s_or_b64 exec, exec, s[0:1]
	v_xor_b32_e32 v25, 0x80000000, v25
.LBB108_426:
	s_or_b64 exec, exec, s[16:17]
	s_and_saveexec_b64 s[0:1], s[40:41]
	s_cbranch_execz .LBB108_428
; %bb.427:
	v_mov_b32_e32 v26, 0
	ds_read_b32 v26, v26 offset:6760
	s_waitcnt lgkmcnt(0)
	v_mul_f32_e32 v25, v25, v26
	ds_write_b32 v3, v25
.LBB108_428:
	s_or_b64 exec, exec, s[0:1]
	s_waitcnt lgkmcnt(0)
	s_barrier
	s_and_saveexec_b64 s[0:1], s[38:39]
	s_cbranch_execz .LBB108_430
; %bb.429:
	v_mov_b32_e32 v26, 0
	ds_read_b32 v26, v26 offset:6764
	ds_read_b32 v27, v3
	s_waitcnt lgkmcnt(0)
	v_fmac_f32_e32 v25, v26, v27
.LBB108_430:
	s_or_b64 exec, exec, s[0:1]
	s_barrier
	s_and_saveexec_b64 s[0:1], s[38:39]
	s_cbranch_execz .LBB108_432
; %bb.431:
	v_mov_b32_e32 v26, 0
	ds_read_b32 v26, v26 offset:7020
	s_waitcnt lgkmcnt(0)
	v_mul_f32_e32 v25, v25, v26
	ds_write_b32 v3, v25
.LBB108_432:
	s_or_b64 exec, exec, s[0:1]
	s_waitcnt lgkmcnt(0)
	s_barrier
	s_barrier
	s_and_saveexec_b64 s[0:1], s[2:3]
; %bb.433:
	v_xor_b32_e32 v25, 0x80000000, v25
	ds_write_b32 v1, v25 offset:6248
; %bb.434:
	s_or_b64 exec, exec, s[0:1]
	s_waitcnt lgkmcnt(0)
	s_barrier
	s_barrier
	s_and_saveexec_b64 s[0:1], s[42:43]
	s_cbranch_execz .LBB108_436
; %bb.435:
	v_lshlrev_b32_e32 v25, 2, v0
	s_movk_i32 s14, 0xfc
	v_mad_u32_u24 v26, v0, s14, v25
	ds_read_b32 v27, v26 offset:6248
	s_waitcnt lgkmcnt(0)
	ds_write_b32 v25, v27 offset:6752
	ds_read_b32 v26, v26 offset:6252
	s_waitcnt lgkmcnt(0)
	ds_write_b32 v25, v26 offset:7008
.LBB108_436:
	s_or_b64 exec, exec, s[0:1]
	s_waitcnt lgkmcnt(0)
	s_barrier
	s_and_saveexec_b64 s[14:15], vcc
	s_cbranch_execz .LBB108_438
; %bb.437:
	v_mov_b32_e32 v27, 0
	ds_read_b64 v[25:26], v27 offset:6760
	ds_read_b32 v27, v27 offset:7020
	s_movk_i32 s0, 0x1800
	s_waitcnt lgkmcnt(0)
	v_mul_f32_e32 v25, v25, v27
	v_mul_f32_e32 v25, v26, v25
	v_add_u32_e64 v26, s0, 0
	ds_write2_b32 v26, v25, v25 offset0:155 offset1:218
.LBB108_438:
	s_or_b64 exec, exec, s[14:15]
	v_mov_b32_e32 v25, 0
	s_waitcnt lgkmcnt(0)
	s_barrier
	s_and_saveexec_b64 s[16:17], s[18:19]
	s_cbranch_execz .LBB108_444
; %bb.439:
	v_mul_u32_u24_e32 v26, 0x104, v14
	ds_read_b32 v25, v6 offset:6256
	ds_read_b32 v27, v26 offset:6240
	v_cmp_gt_u32_e64 s[14:15], 12, v4
	s_waitcnt lgkmcnt(0)
	v_fma_f32 v25, v25, v27, 0
	s_and_saveexec_b64 s[20:21], s[14:15]
	s_cbranch_execnz .LBB108_1227
; %bb.440:
	s_or_b64 exec, exec, s[20:21]
	v_cmp_gt_u32_e64 s[14:15], 8, v4
	s_and_saveexec_b64 s[0:1], s[14:15]
	s_cbranch_execnz .LBB108_1228
.LBB108_441:
	s_or_b64 exec, exec, s[0:1]
	v_cmp_gt_u32_e64 s[14:15], 4, v4
	s_and_saveexec_b64 s[20:21], s[14:15]
	s_cbranch_execz .LBB108_443
.LBB108_442:
	v_lshlrev_b32_e32 v26, 2, v0
	v_mov_b32_e32 v27, 0
	ds_read_b32 v26, v26 offset:7024
	ds_read_b32 v27, v27 offset:6252
	s_waitcnt lgkmcnt(0)
	v_fmac_f32_e32 v25, v26, v27
.LBB108_443:
	s_or_b64 exec, exec, s[20:21]
	v_xor_b32_e32 v25, 0x80000000, v25
.LBB108_444:
	s_or_b64 exec, exec, s[16:17]
	s_and_saveexec_b64 s[0:1], s[46:47]
	s_cbranch_execz .LBB108_446
; %bb.445:
	v_mov_b32_e32 v26, 0
	ds_read_b32 v26, v26 offset:7280
	s_waitcnt lgkmcnt(0)
	v_mul_f32_e32 v25, v25, v26
	ds_write_b32 v12, v25
.LBB108_446:
	s_or_b64 exec, exec, s[0:1]
	s_waitcnt lgkmcnt(0)
	s_barrier
	s_and_saveexec_b64 s[0:1], s[48:49]
	s_cbranch_execz .LBB108_448
; %bb.447:
	ds_read_b32 v26, v11 offset:7280
	ds_read_b32 v27, v12
	s_waitcnt lgkmcnt(0)
	v_fmac_f32_e32 v25, v26, v27
.LBB108_448:
	s_or_b64 exec, exec, s[0:1]
	s_barrier
	s_and_saveexec_b64 s[0:1], s[50:51]
	s_cbranch_execz .LBB108_450
; %bb.449:
	v_mov_b32_e32 v26, 0
	ds_read_b32 v26, v26 offset:7540
	s_waitcnt lgkmcnt(0)
	v_mul_f32_e32 v25, v25, v26
	ds_write_b32 v12, v25
.LBB108_450:
	s_or_b64 exec, exec, s[0:1]
	s_waitcnt lgkmcnt(0)
	s_barrier
	s_and_saveexec_b64 s[0:1], s[52:53]
	s_cbranch_execz .LBB108_452
; %bb.451:
	ds_read_b32 v26, v11 offset:7536
	ds_read_b32 v27, v12
	s_waitcnt lgkmcnt(0)
	v_fmac_f32_e32 v25, v26, v27
.LBB108_452:
	s_or_b64 exec, exec, s[0:1]
	s_barrier
	s_and_saveexec_b64 s[0:1], s[54:55]
	s_cbranch_execz .LBB108_454
; %bb.453:
	v_mov_b32_e32 v26, 0
	ds_read_b32 v26, v26 offset:7800
	s_waitcnt lgkmcnt(0)
	v_mul_f32_e32 v25, v25, v26
	ds_write_b32 v12, v25
.LBB108_454:
	s_or_b64 exec, exec, s[0:1]
	s_waitcnt lgkmcnt(0)
	s_barrier
	s_and_saveexec_b64 s[0:1], s[44:45]
	s_cbranch_execz .LBB108_456
; %bb.455:
	v_mov_b32_e32 v26, 0
	ds_read_b32 v26, v26 offset:7804
	ds_read_b32 v27, v12
	s_waitcnt lgkmcnt(0)
	v_fmac_f32_e32 v25, v26, v27
.LBB108_456:
	s_or_b64 exec, exec, s[0:1]
	s_barrier
	s_and_saveexec_b64 s[0:1], s[44:45]
	s_cbranch_execz .LBB108_458
; %bb.457:
	v_mov_b32_e32 v26, 0
	ds_read_b32 v26, v26 offset:8060
	s_waitcnt lgkmcnt(0)
	v_mul_f32_e32 v25, v25, v26
	ds_write_b32 v12, v25
.LBB108_458:
	s_or_b64 exec, exec, s[0:1]
	s_waitcnt lgkmcnt(0)
	s_barrier
	s_barrier
	s_and_saveexec_b64 s[0:1], s[18:19]
; %bb.459:
	v_xor_b32_e32 v25, 0x80000000, v25
	ds_write_b32 v6, v25 offset:6256
; %bb.460:
	s_or_b64 exec, exec, s[0:1]
	s_waitcnt lgkmcnt(0)
	s_barrier
	s_barrier
	s_and_saveexec_b64 s[14:15], s[56:57]
	s_cbranch_execz .LBB108_462
; %bb.461:
	v_lshlrev_b32_e32 v25, 8, v0
	ds_read_b32 v26, v25 offset:6256
	s_movk_i32 s0, 0xff04
	v_mad_i32_i24 v27, v0, s0, v25
	s_waitcnt lgkmcnt(0)
	ds_write_b32 v27, v26 offset:7264
	ds_read_b32 v26, v25 offset:6260
	s_waitcnt lgkmcnt(0)
	ds_write_b32 v27, v26 offset:7520
	ds_read_b32 v26, v25 offset:6264
	s_waitcnt lgkmcnt(0)
	ds_write_b32 v27, v26 offset:7776
	ds_read_b32 v25, v25 offset:6268
	s_waitcnt lgkmcnt(0)
	ds_write_b32 v27, v25 offset:8032
.LBB108_462:
	s_or_b64 exec, exec, s[14:15]
	s_waitcnt lgkmcnt(0)
	s_barrier
	s_and_saveexec_b64 s[14:15], vcc
	s_cbranch_execz .LBB108_464
; %bb.463:
	v_mov_b32_e32 v27, 0
	ds_read_b64 v[25:26], v27 offset:7280
	ds_read_b32 v27, v27 offset:7540
	s_movk_i32 s0, 0x1c00
	s_waitcnt lgkmcnt(0)
	v_mul_f32_e32 v25, v25, v27
	v_mul_f32_e32 v25, v26, v25
	v_add_u32_e64 v26, s0, 0
	ds_write2_b32 v26, v25, v25 offset0:29 offset1:92
.LBB108_464:
	s_or_b64 exec, exec, s[14:15]
	v_mov_b32_e32 v25, 0
	s_waitcnt lgkmcnt(0)
	s_barrier
	s_and_saveexec_b64 s[16:17], s[2:3]
	s_cbranch_execz .LBB108_468
; %bb.465:
	v_mul_u32_u24_e32 v25, 0x104, v5
	ds_read_b32 v27, v1 offset:7288
	ds_read_b32 v25, v25 offset:7280
	v_mov_b32_e32 v26, 0
	v_cmp_gt_u32_e64 s[14:15], 2, v4
	s_waitcnt lgkmcnt(0)
	v_fma_f32 v25, v27, v25, 0
	s_and_saveexec_b64 s[0:1], s[14:15]
	s_cbranch_execz .LBB108_467
; %bb.466:
	v_lshlrev_b32_e32 v27, 2, v0
	ds_read_b32 v27, v27 offset:7544
	ds_read_b32 v26, v26 offset:7284
	s_waitcnt lgkmcnt(0)
	v_fmac_f32_e32 v25, v27, v26
.LBB108_467:
	s_or_b64 exec, exec, s[0:1]
	v_xor_b32_e32 v25, 0x80000000, v25
.LBB108_468:
	s_or_b64 exec, exec, s[16:17]
	s_and_saveexec_b64 s[0:1], s[40:41]
	s_cbranch_execz .LBB108_470
; %bb.469:
	v_mov_b32_e32 v26, 0
	ds_read_b32 v26, v26 offset:7800
	s_waitcnt lgkmcnt(0)
	v_mul_f32_e32 v25, v25, v26
	ds_write_b32 v3, v25
.LBB108_470:
	s_or_b64 exec, exec, s[0:1]
	s_waitcnt lgkmcnt(0)
	s_barrier
	s_and_saveexec_b64 s[0:1], s[38:39]
	s_cbranch_execz .LBB108_472
; %bb.471:
	v_mov_b32_e32 v26, 0
	ds_read_b32 v26, v26 offset:7804
	ds_read_b32 v27, v3
	s_waitcnt lgkmcnt(0)
	v_fmac_f32_e32 v25, v26, v27
.LBB108_472:
	s_or_b64 exec, exec, s[0:1]
	s_barrier
	s_and_saveexec_b64 s[0:1], s[38:39]
	s_cbranch_execz .LBB108_474
; %bb.473:
	v_mov_b32_e32 v26, 0
	ds_read_b32 v26, v26 offset:8060
	s_waitcnt lgkmcnt(0)
	v_mul_f32_e32 v25, v25, v26
	ds_write_b32 v3, v25
.LBB108_474:
	s_or_b64 exec, exec, s[0:1]
	s_waitcnt lgkmcnt(0)
	s_barrier
	s_barrier
	s_and_saveexec_b64 s[0:1], s[2:3]
; %bb.475:
	v_xor_b32_e32 v25, 0x80000000, v25
	ds_write_b32 v1, v25 offset:7288
; %bb.476:
	s_or_b64 exec, exec, s[0:1]
	s_waitcnt lgkmcnt(0)
	s_barrier
	s_barrier
	s_and_saveexec_b64 s[0:1], s[42:43]
	s_cbranch_execz .LBB108_478
; %bb.477:
	v_lshlrev_b32_e32 v25, 2, v0
	s_movk_i32 s14, 0xfc
	v_mad_u32_u24 v26, v0, s14, v25
	ds_read_b32 v27, v26 offset:7288
	s_waitcnt lgkmcnt(0)
	ds_write_b32 v25, v27 offset:7792
	ds_read_b32 v26, v26 offset:7292
	s_waitcnt lgkmcnt(0)
	ds_write_b32 v25, v26 offset:8048
.LBB108_478:
	s_or_b64 exec, exec, s[0:1]
	s_waitcnt lgkmcnt(0)
	s_barrier
	s_and_saveexec_b64 s[14:15], vcc
	s_cbranch_execz .LBB108_480
; %bb.479:
	v_mov_b32_e32 v27, 0
	ds_read_b64 v[25:26], v27 offset:7800
	ds_read_b32 v27, v27 offset:8060
	s_movk_i32 s0, 0x1c00
	s_waitcnt lgkmcnt(0)
	v_mul_f32_e32 v25, v25, v27
	v_mul_f32_e32 v25, v26, v25
	v_add_u32_e64 v26, s0, 0
	ds_write2_b32 v26, v25, v25 offset0:159 offset1:222
.LBB108_480:
	s_or_b64 exec, exec, s[14:15]
	v_and_b32_e32 v26, 31, v0
	s_movk_i32 s0, 0x3ff
	v_lshrrev_b32_e32 v29, 5, v4
	v_cmp_lt_u32_e64 s[16:17], s0, v4
	s_movk_i32 s0, 0x400
	v_lshlrev_b32_e32 v27, 2, v26
	v_cmp_gt_u32_e64 s[14:15], s0, v4
	v_lshl_or_b32 v25, v29, 8, v27
	v_mov_b32_e32 v28, 0
	s_waitcnt lgkmcnt(0)
	s_barrier
	s_and_saveexec_b64 s[94:95], s[14:15]
	s_cbranch_execz .LBB108_542
; %bb.481:
	v_mul_u32_u24_e32 v30, 0x104, v29
	ds_read_b32 v28, v25 offset:128
	ds_read_b32 v31, v30
	s_movk_i32 s0, 0x3e0
	v_cmp_gt_u32_e64 s[20:21], s0, v4
	s_waitcnt lgkmcnt(0)
	v_fma_f32 v28, v28, v31, 0
	s_and_saveexec_b64 s[0:1], s[20:21]
	s_cbranch_execz .LBB108_483
; %bb.482:
	ds_read_b32 v31, v25 offset:384
	ds_read_b32 v32, v30 offset:4
	s_waitcnt lgkmcnt(0)
	v_fmac_f32_e32 v28, v31, v32
.LBB108_483:
	s_or_b64 exec, exec, s[0:1]
	s_movk_i32 s0, 0x3c0
	v_cmp_gt_u32_e64 s[20:21], s0, v4
	s_and_saveexec_b64 s[0:1], s[20:21]
	s_cbranch_execz .LBB108_485
; %bb.484:
	ds_read_b32 v31, v25 offset:640
	ds_read_b32 v32, v30 offset:8
	s_waitcnt lgkmcnt(0)
	v_fmac_f32_e32 v28, v31, v32
.LBB108_485:
	s_or_b64 exec, exec, s[0:1]
	s_movk_i32 s0, 0x3a0
	v_cmp_gt_u32_e64 s[20:21], s0, v4
	;; [unrolled: 11-line block ×28, first 2 shown]
	s_and_saveexec_b64 s[0:1], s[20:21]
	s_cbranch_execnz .LBB108_1229
; %bb.538:
	s_or_b64 exec, exec, s[0:1]
	v_cmp_gt_u32_e64 s[20:21], 64, v4
	s_and_saveexec_b64 s[0:1], s[20:21]
	s_cbranch_execnz .LBB108_1230
.LBB108_539:
	s_or_b64 exec, exec, s[0:1]
	v_cmp_gt_u32_e64 s[20:21], 32, v4
	s_and_saveexec_b64 s[0:1], s[20:21]
	s_cbranch_execz .LBB108_541
.LBB108_540:
	v_lshlrev_b32_e32 v30, 2, v0
	v_mov_b32_e32 v31, 0
	ds_read_b32 v30, v30 offset:8064
	ds_read_b32 v31, v31 offset:124
	s_waitcnt lgkmcnt(0)
	v_fmac_f32_e32 v28, v30, v31
.LBB108_541:
	s_or_b64 exec, exec, s[0:1]
	v_xor_b32_e32 v28, 0x80000000, v28
.LBB108_542:
	s_or_b64 exec, exec, s[94:95]
	v_mov_b32_e32 v30, 0x4000
	v_cmp_eq_u32_e64 s[20:21], 0, v26
	s_xor_b64 s[94:95], s[16:17], -1
	v_lshl_or_b32 v29, v29, 2, v30
	s_and_b64 s[16:17], s[20:21], s[94:95]
	s_and_saveexec_b64 s[0:1], s[16:17]
	s_cbranch_execz .LBB108_544
; %bb.543:
	v_mov_b32_e32 v30, 0
	ds_read_b32 v30, v30 offset:8320
	s_waitcnt lgkmcnt(0)
	v_mul_f32_e32 v28, v28, v30
	ds_write_b32 v29, v28
.LBB108_544:
	s_or_b64 exec, exec, s[0:1]
	v_cmp_ne_u32_e64 s[16:17], 0, v26
	s_and_b64 s[16:17], s[16:17], s[94:95]
	s_waitcnt lgkmcnt(0)
	s_barrier
	s_and_saveexec_b64 s[0:1], s[16:17]
	s_cbranch_execz .LBB108_546
; %bb.545:
	ds_read_b32 v30, v27 offset:8320
	ds_read_b32 v31, v29
	s_waitcnt lgkmcnt(0)
	v_fmac_f32_e32 v28, v30, v31
.LBB108_546:
	s_or_b64 exec, exec, s[0:1]
	v_cmp_eq_u32_e64 s[16:17], 1, v26
	s_and_b64 s[16:17], s[16:17], s[94:95]
	s_barrier
	s_and_saveexec_b64 s[0:1], s[16:17]
	s_cbranch_execz .LBB108_548
; %bb.547:
	v_mov_b32_e32 v30, 0
	ds_read_b32 v30, v30 offset:8580
	s_waitcnt lgkmcnt(0)
	v_mul_f32_e32 v28, v28, v30
	ds_write_b32 v29, v28
.LBB108_548:
	s_or_b64 exec, exec, s[0:1]
	v_cmp_lt_u32_e64 s[16:17], 1, v26
	s_and_b64 s[16:17], s[16:17], s[94:95]
	s_waitcnt lgkmcnt(0)
	s_barrier
	s_and_saveexec_b64 s[0:1], s[16:17]
	s_cbranch_execz .LBB108_550
; %bb.549:
	ds_read_b32 v30, v27 offset:8576
	ds_read_b32 v31, v29
	s_waitcnt lgkmcnt(0)
	v_fmac_f32_e32 v28, v30, v31
.LBB108_550:
	s_or_b64 exec, exec, s[0:1]
	v_cmp_eq_u32_e64 s[16:17], 2, v26
	s_and_b64 s[16:17], s[16:17], s[94:95]
	s_barrier
	s_and_saveexec_b64 s[0:1], s[16:17]
	s_cbranch_execz .LBB108_552
; %bb.551:
	v_mov_b32_e32 v30, 0
	ds_read_b32 v30, v30 offset:8840
	s_waitcnt lgkmcnt(0)
	v_mul_f32_e32 v28, v28, v30
	ds_write_b32 v29, v28
.LBB108_552:
	s_or_b64 exec, exec, s[0:1]
	v_cmp_lt_u32_e64 s[16:17], 2, v26
	s_and_b64 s[16:17], s[16:17], s[94:95]
	s_waitcnt lgkmcnt(0)
	s_barrier
	s_and_saveexec_b64 s[0:1], s[16:17]
	s_cbranch_execz .LBB108_554
; %bb.553:
	ds_read_b32 v30, v27 offset:8832
	ds_read_b32 v31, v29
	s_waitcnt lgkmcnt(0)
	v_fmac_f32_e32 v28, v30, v31
.LBB108_554:
	s_or_b64 exec, exec, s[0:1]
	v_cmp_eq_u32_e64 s[16:17], 3, v26
	s_and_b64 s[16:17], s[16:17], s[94:95]
	s_barrier
	s_and_saveexec_b64 s[0:1], s[16:17]
	s_cbranch_execz .LBB108_556
; %bb.555:
	v_mov_b32_e32 v30, 0
	ds_read_b32 v30, v30 offset:9100
	s_waitcnt lgkmcnt(0)
	v_mul_f32_e32 v28, v28, v30
	ds_write_b32 v29, v28
.LBB108_556:
	s_or_b64 exec, exec, s[0:1]
	v_cmp_lt_u32_e64 s[16:17], 3, v26
	s_and_b64 s[16:17], s[16:17], s[94:95]
	s_waitcnt lgkmcnt(0)
	s_barrier
	s_and_saveexec_b64 s[0:1], s[16:17]
	s_cbranch_execz .LBB108_558
; %bb.557:
	ds_read_b32 v30, v27 offset:9088
	ds_read_b32 v31, v29
	s_waitcnt lgkmcnt(0)
	v_fmac_f32_e32 v28, v30, v31
.LBB108_558:
	s_or_b64 exec, exec, s[0:1]
	v_cmp_eq_u32_e64 s[16:17], 4, v26
	s_and_b64 s[16:17], s[16:17], s[94:95]
	s_barrier
	s_and_saveexec_b64 s[0:1], s[16:17]
	s_cbranch_execz .LBB108_560
; %bb.559:
	v_mov_b32_e32 v30, 0
	ds_read_b32 v30, v30 offset:9360
	s_waitcnt lgkmcnt(0)
	v_mul_f32_e32 v28, v28, v30
	ds_write_b32 v29, v28
.LBB108_560:
	s_or_b64 exec, exec, s[0:1]
	v_cmp_lt_u32_e64 s[16:17], 4, v26
	s_and_b64 s[16:17], s[16:17], s[94:95]
	s_waitcnt lgkmcnt(0)
	s_barrier
	s_and_saveexec_b64 s[0:1], s[16:17]
	s_cbranch_execz .LBB108_562
; %bb.561:
	ds_read_b32 v30, v27 offset:9344
	ds_read_b32 v31, v29
	s_waitcnt lgkmcnt(0)
	v_fmac_f32_e32 v28, v30, v31
.LBB108_562:
	s_or_b64 exec, exec, s[0:1]
	v_cmp_eq_u32_e64 s[16:17], 5, v26
	s_and_b64 s[16:17], s[16:17], s[94:95]
	s_barrier
	s_and_saveexec_b64 s[0:1], s[16:17]
	s_cbranch_execz .LBB108_564
; %bb.563:
	v_mov_b32_e32 v30, 0
	ds_read_b32 v30, v30 offset:9620
	s_waitcnt lgkmcnt(0)
	v_mul_f32_e32 v28, v28, v30
	ds_write_b32 v29, v28
.LBB108_564:
	s_or_b64 exec, exec, s[0:1]
	v_cmp_lt_u32_e64 s[16:17], 5, v26
	s_and_b64 s[16:17], s[16:17], s[94:95]
	s_waitcnt lgkmcnt(0)
	s_barrier
	s_and_saveexec_b64 s[0:1], s[16:17]
	s_cbranch_execz .LBB108_566
; %bb.565:
	ds_read_b32 v30, v27 offset:9600
	ds_read_b32 v31, v29
	s_waitcnt lgkmcnt(0)
	v_fmac_f32_e32 v28, v30, v31
.LBB108_566:
	s_or_b64 exec, exec, s[0:1]
	v_cmp_eq_u32_e64 s[16:17], 6, v26
	s_and_b64 s[16:17], s[16:17], s[94:95]
	s_barrier
	s_and_saveexec_b64 s[0:1], s[16:17]
	s_cbranch_execz .LBB108_568
; %bb.567:
	v_mov_b32_e32 v30, 0
	ds_read_b32 v30, v30 offset:9880
	s_waitcnt lgkmcnt(0)
	v_mul_f32_e32 v28, v28, v30
	ds_write_b32 v29, v28
.LBB108_568:
	s_or_b64 exec, exec, s[0:1]
	v_cmp_lt_u32_e64 s[16:17], 6, v26
	s_and_b64 s[16:17], s[16:17], s[94:95]
	s_waitcnt lgkmcnt(0)
	s_barrier
	s_and_saveexec_b64 s[0:1], s[16:17]
	s_cbranch_execz .LBB108_570
; %bb.569:
	ds_read_b32 v30, v27 offset:9856
	ds_read_b32 v31, v29
	s_waitcnt lgkmcnt(0)
	v_fmac_f32_e32 v28, v30, v31
.LBB108_570:
	s_or_b64 exec, exec, s[0:1]
	v_cmp_eq_u32_e64 s[16:17], 7, v26
	s_and_b64 s[16:17], s[16:17], s[94:95]
	s_barrier
	s_and_saveexec_b64 s[0:1], s[16:17]
	s_cbranch_execz .LBB108_572
; %bb.571:
	v_mov_b32_e32 v30, 0
	ds_read_b32 v30, v30 offset:10140
	s_waitcnt lgkmcnt(0)
	v_mul_f32_e32 v28, v28, v30
	ds_write_b32 v29, v28
.LBB108_572:
	s_or_b64 exec, exec, s[0:1]
	v_cmp_lt_u32_e64 s[16:17], 7, v26
	s_and_b64 s[16:17], s[16:17], s[94:95]
	s_waitcnt lgkmcnt(0)
	s_barrier
	s_and_saveexec_b64 s[0:1], s[16:17]
	s_cbranch_execz .LBB108_574
; %bb.573:
	ds_read_b32 v30, v27 offset:10112
	ds_read_b32 v31, v29
	s_waitcnt lgkmcnt(0)
	v_fmac_f32_e32 v28, v30, v31
.LBB108_574:
	s_or_b64 exec, exec, s[0:1]
	v_cmp_eq_u32_e64 s[16:17], 8, v26
	s_and_b64 s[16:17], s[16:17], s[94:95]
	s_barrier
	s_and_saveexec_b64 s[0:1], s[16:17]
	s_cbranch_execz .LBB108_576
; %bb.575:
	v_mov_b32_e32 v30, 0
	ds_read_b32 v30, v30 offset:10400
	s_waitcnt lgkmcnt(0)
	v_mul_f32_e32 v28, v28, v30
	ds_write_b32 v29, v28
.LBB108_576:
	s_or_b64 exec, exec, s[0:1]
	v_cmp_lt_u32_e64 s[16:17], 8, v26
	s_and_b64 s[16:17], s[16:17], s[94:95]
	s_waitcnt lgkmcnt(0)
	s_barrier
	s_and_saveexec_b64 s[0:1], s[16:17]
	s_cbranch_execz .LBB108_578
; %bb.577:
	ds_read_b32 v30, v27 offset:10368
	ds_read_b32 v31, v29
	s_waitcnt lgkmcnt(0)
	v_fmac_f32_e32 v28, v30, v31
.LBB108_578:
	s_or_b64 exec, exec, s[0:1]
	v_cmp_eq_u32_e64 s[16:17], 9, v26
	s_and_b64 s[16:17], s[16:17], s[94:95]
	s_barrier
	s_and_saveexec_b64 s[0:1], s[16:17]
	s_cbranch_execz .LBB108_580
; %bb.579:
	v_mov_b32_e32 v30, 0
	ds_read_b32 v30, v30 offset:10660
	s_waitcnt lgkmcnt(0)
	v_mul_f32_e32 v28, v28, v30
	ds_write_b32 v29, v28
.LBB108_580:
	s_or_b64 exec, exec, s[0:1]
	v_cmp_lt_u32_e64 s[16:17], 9, v26
	s_and_b64 s[16:17], s[16:17], s[94:95]
	s_waitcnt lgkmcnt(0)
	s_barrier
	s_and_saveexec_b64 s[0:1], s[16:17]
	s_cbranch_execz .LBB108_582
; %bb.581:
	ds_read_b32 v30, v27 offset:10624
	ds_read_b32 v31, v29
	s_waitcnt lgkmcnt(0)
	v_fmac_f32_e32 v28, v30, v31
.LBB108_582:
	s_or_b64 exec, exec, s[0:1]
	v_cmp_eq_u32_e64 s[16:17], 10, v26
	s_and_b64 s[16:17], s[16:17], s[94:95]
	s_barrier
	s_and_saveexec_b64 s[0:1], s[16:17]
	s_cbranch_execz .LBB108_584
; %bb.583:
	v_mov_b32_e32 v30, 0
	ds_read_b32 v30, v30 offset:10920
	s_waitcnt lgkmcnt(0)
	v_mul_f32_e32 v28, v28, v30
	ds_write_b32 v29, v28
.LBB108_584:
	s_or_b64 exec, exec, s[0:1]
	v_cmp_lt_u32_e64 s[16:17], 10, v26
	s_and_b64 s[16:17], s[16:17], s[94:95]
	s_waitcnt lgkmcnt(0)
	s_barrier
	s_and_saveexec_b64 s[0:1], s[16:17]
	s_cbranch_execz .LBB108_586
; %bb.585:
	ds_read_b32 v30, v27 offset:10880
	ds_read_b32 v31, v29
	s_waitcnt lgkmcnt(0)
	v_fmac_f32_e32 v28, v30, v31
.LBB108_586:
	s_or_b64 exec, exec, s[0:1]
	v_cmp_eq_u32_e64 s[16:17], 11, v26
	s_and_b64 s[16:17], s[16:17], s[94:95]
	s_barrier
	s_and_saveexec_b64 s[0:1], s[16:17]
	s_cbranch_execz .LBB108_588
; %bb.587:
	v_mov_b32_e32 v30, 0
	ds_read_b32 v30, v30 offset:11180
	s_waitcnt lgkmcnt(0)
	v_mul_f32_e32 v28, v28, v30
	ds_write_b32 v29, v28
.LBB108_588:
	s_or_b64 exec, exec, s[0:1]
	v_cmp_lt_u32_e64 s[16:17], 11, v26
	s_and_b64 s[16:17], s[16:17], s[94:95]
	s_waitcnt lgkmcnt(0)
	s_barrier
	s_and_saveexec_b64 s[0:1], s[16:17]
	s_cbranch_execz .LBB108_590
; %bb.589:
	ds_read_b32 v30, v27 offset:11136
	ds_read_b32 v31, v29
	s_waitcnt lgkmcnt(0)
	v_fmac_f32_e32 v28, v30, v31
.LBB108_590:
	s_or_b64 exec, exec, s[0:1]
	v_cmp_eq_u32_e64 s[16:17], 12, v26
	s_and_b64 s[16:17], s[16:17], s[94:95]
	s_barrier
	s_and_saveexec_b64 s[0:1], s[16:17]
	s_cbranch_execz .LBB108_592
; %bb.591:
	v_mov_b32_e32 v30, 0
	ds_read_b32 v30, v30 offset:11440
	s_waitcnt lgkmcnt(0)
	v_mul_f32_e32 v28, v28, v30
	ds_write_b32 v29, v28
.LBB108_592:
	s_or_b64 exec, exec, s[0:1]
	v_cmp_lt_u32_e64 s[16:17], 12, v26
	s_and_b64 s[16:17], s[16:17], s[94:95]
	s_waitcnt lgkmcnt(0)
	s_barrier
	s_and_saveexec_b64 s[0:1], s[16:17]
	s_cbranch_execz .LBB108_594
; %bb.593:
	ds_read_b32 v30, v27 offset:11392
	ds_read_b32 v31, v29
	s_waitcnt lgkmcnt(0)
	v_fmac_f32_e32 v28, v30, v31
.LBB108_594:
	s_or_b64 exec, exec, s[0:1]
	v_cmp_eq_u32_e64 s[16:17], 13, v26
	s_and_b64 s[16:17], s[16:17], s[94:95]
	s_barrier
	s_and_saveexec_b64 s[0:1], s[16:17]
	s_cbranch_execz .LBB108_596
; %bb.595:
	v_mov_b32_e32 v30, 0
	ds_read_b32 v30, v30 offset:11700
	s_waitcnt lgkmcnt(0)
	v_mul_f32_e32 v28, v28, v30
	ds_write_b32 v29, v28
.LBB108_596:
	s_or_b64 exec, exec, s[0:1]
	v_cmp_lt_u32_e64 s[16:17], 13, v26
	s_and_b64 s[16:17], s[16:17], s[94:95]
	s_waitcnt lgkmcnt(0)
	s_barrier
	s_and_saveexec_b64 s[0:1], s[16:17]
	s_cbranch_execz .LBB108_598
; %bb.597:
	ds_read_b32 v30, v27 offset:11648
	ds_read_b32 v31, v29
	s_waitcnt lgkmcnt(0)
	v_fmac_f32_e32 v28, v30, v31
.LBB108_598:
	s_or_b64 exec, exec, s[0:1]
	v_cmp_eq_u32_e64 s[16:17], 14, v26
	s_and_b64 s[16:17], s[16:17], s[94:95]
	s_barrier
	s_and_saveexec_b64 s[0:1], s[16:17]
	s_cbranch_execz .LBB108_600
; %bb.599:
	v_mov_b32_e32 v30, 0
	ds_read_b32 v30, v30 offset:11960
	s_waitcnt lgkmcnt(0)
	v_mul_f32_e32 v28, v28, v30
	ds_write_b32 v29, v28
.LBB108_600:
	s_or_b64 exec, exec, s[0:1]
	v_cmp_lt_u32_e64 s[16:17], 14, v26
	s_and_b64 s[16:17], s[16:17], s[94:95]
	s_waitcnt lgkmcnt(0)
	s_barrier
	s_and_saveexec_b64 s[0:1], s[16:17]
	s_cbranch_execz .LBB108_602
; %bb.601:
	ds_read_b32 v30, v27 offset:11904
	ds_read_b32 v31, v29
	s_waitcnt lgkmcnt(0)
	v_fmac_f32_e32 v28, v30, v31
.LBB108_602:
	s_or_b64 exec, exec, s[0:1]
	v_cmp_eq_u32_e64 s[16:17], 15, v26
	s_and_b64 s[16:17], s[16:17], s[94:95]
	s_barrier
	s_and_saveexec_b64 s[0:1], s[16:17]
	s_cbranch_execz .LBB108_604
; %bb.603:
	v_mov_b32_e32 v30, 0
	ds_read_b32 v30, v30 offset:12220
	s_waitcnt lgkmcnt(0)
	v_mul_f32_e32 v28, v28, v30
	ds_write_b32 v29, v28
.LBB108_604:
	s_or_b64 exec, exec, s[0:1]
	v_cmp_lt_u32_e64 s[16:17], 15, v26
	s_and_b64 s[16:17], s[16:17], s[94:95]
	s_waitcnt lgkmcnt(0)
	s_barrier
	s_and_saveexec_b64 s[0:1], s[16:17]
	s_cbranch_execz .LBB108_606
; %bb.605:
	ds_read_b32 v30, v27 offset:12160
	ds_read_b32 v31, v29
	s_waitcnt lgkmcnt(0)
	v_fmac_f32_e32 v28, v30, v31
.LBB108_606:
	s_or_b64 exec, exec, s[0:1]
	v_cmp_eq_u32_e64 s[16:17], 16, v26
	s_and_b64 s[16:17], s[16:17], s[94:95]
	s_barrier
	s_and_saveexec_b64 s[0:1], s[16:17]
	s_cbranch_execz .LBB108_608
; %bb.607:
	v_mov_b32_e32 v30, 0
	ds_read_b32 v30, v30 offset:12480
	s_waitcnt lgkmcnt(0)
	v_mul_f32_e32 v28, v28, v30
	ds_write_b32 v29, v28
.LBB108_608:
	s_or_b64 exec, exec, s[0:1]
	v_cmp_lt_u32_e64 s[16:17], 16, v26
	s_and_b64 s[16:17], s[16:17], s[94:95]
	s_waitcnt lgkmcnt(0)
	s_barrier
	s_and_saveexec_b64 s[0:1], s[16:17]
	s_cbranch_execz .LBB108_610
; %bb.609:
	ds_read_b32 v30, v27 offset:12416
	ds_read_b32 v31, v29
	s_waitcnt lgkmcnt(0)
	v_fmac_f32_e32 v28, v30, v31
.LBB108_610:
	s_or_b64 exec, exec, s[0:1]
	v_cmp_eq_u32_e64 s[16:17], 17, v26
	s_and_b64 s[16:17], s[16:17], s[94:95]
	s_barrier
	s_and_saveexec_b64 s[0:1], s[16:17]
	s_cbranch_execz .LBB108_612
; %bb.611:
	v_mov_b32_e32 v30, 0
	ds_read_b32 v30, v30 offset:12740
	s_waitcnt lgkmcnt(0)
	v_mul_f32_e32 v28, v28, v30
	ds_write_b32 v29, v28
.LBB108_612:
	s_or_b64 exec, exec, s[0:1]
	v_cmp_lt_u32_e64 s[16:17], 17, v26
	s_and_b64 s[16:17], s[16:17], s[94:95]
	s_waitcnt lgkmcnt(0)
	s_barrier
	s_and_saveexec_b64 s[0:1], s[16:17]
	s_cbranch_execz .LBB108_614
; %bb.613:
	ds_read_b32 v30, v27 offset:12672
	ds_read_b32 v31, v29
	s_waitcnt lgkmcnt(0)
	v_fmac_f32_e32 v28, v30, v31
.LBB108_614:
	s_or_b64 exec, exec, s[0:1]
	v_cmp_eq_u32_e64 s[16:17], 18, v26
	s_and_b64 s[16:17], s[16:17], s[94:95]
	s_barrier
	s_and_saveexec_b64 s[0:1], s[16:17]
	s_cbranch_execz .LBB108_616
; %bb.615:
	v_mov_b32_e32 v30, 0
	ds_read_b32 v30, v30 offset:13000
	s_waitcnt lgkmcnt(0)
	v_mul_f32_e32 v28, v28, v30
	ds_write_b32 v29, v28
.LBB108_616:
	s_or_b64 exec, exec, s[0:1]
	v_cmp_lt_u32_e64 s[16:17], 18, v26
	s_and_b64 s[16:17], s[16:17], s[94:95]
	s_waitcnt lgkmcnt(0)
	s_barrier
	s_and_saveexec_b64 s[0:1], s[16:17]
	s_cbranch_execz .LBB108_618
; %bb.617:
	ds_read_b32 v30, v27 offset:12928
	ds_read_b32 v31, v29
	s_waitcnt lgkmcnt(0)
	v_fmac_f32_e32 v28, v30, v31
.LBB108_618:
	s_or_b64 exec, exec, s[0:1]
	v_cmp_eq_u32_e64 s[16:17], 19, v26
	s_and_b64 s[16:17], s[16:17], s[94:95]
	s_barrier
	s_and_saveexec_b64 s[0:1], s[16:17]
	s_cbranch_execz .LBB108_620
; %bb.619:
	v_mov_b32_e32 v30, 0
	ds_read_b32 v30, v30 offset:13260
	s_waitcnt lgkmcnt(0)
	v_mul_f32_e32 v28, v28, v30
	ds_write_b32 v29, v28
.LBB108_620:
	s_or_b64 exec, exec, s[0:1]
	v_cmp_lt_u32_e64 s[16:17], 19, v26
	s_and_b64 s[16:17], s[16:17], s[94:95]
	s_waitcnt lgkmcnt(0)
	s_barrier
	s_and_saveexec_b64 s[0:1], s[16:17]
	s_cbranch_execz .LBB108_622
; %bb.621:
	ds_read_b32 v30, v27 offset:13184
	ds_read_b32 v31, v29
	s_waitcnt lgkmcnt(0)
	v_fmac_f32_e32 v28, v30, v31
.LBB108_622:
	s_or_b64 exec, exec, s[0:1]
	v_cmp_eq_u32_e64 s[16:17], 20, v26
	s_and_b64 s[16:17], s[16:17], s[94:95]
	s_barrier
	s_and_saveexec_b64 s[0:1], s[16:17]
	s_cbranch_execz .LBB108_624
; %bb.623:
	v_mov_b32_e32 v30, 0
	ds_read_b32 v30, v30 offset:13520
	s_waitcnt lgkmcnt(0)
	v_mul_f32_e32 v28, v28, v30
	ds_write_b32 v29, v28
.LBB108_624:
	s_or_b64 exec, exec, s[0:1]
	v_cmp_lt_u32_e64 s[16:17], 20, v26
	s_and_b64 s[16:17], s[16:17], s[94:95]
	s_waitcnt lgkmcnt(0)
	s_barrier
	s_and_saveexec_b64 s[0:1], s[16:17]
	s_cbranch_execz .LBB108_626
; %bb.625:
	ds_read_b32 v30, v27 offset:13440
	ds_read_b32 v31, v29
	s_waitcnt lgkmcnt(0)
	v_fmac_f32_e32 v28, v30, v31
.LBB108_626:
	s_or_b64 exec, exec, s[0:1]
	v_cmp_eq_u32_e64 s[16:17], 21, v26
	s_and_b64 s[16:17], s[16:17], s[94:95]
	s_barrier
	s_and_saveexec_b64 s[0:1], s[16:17]
	s_cbranch_execz .LBB108_628
; %bb.627:
	v_mov_b32_e32 v30, 0
	ds_read_b32 v30, v30 offset:13780
	s_waitcnt lgkmcnt(0)
	v_mul_f32_e32 v28, v28, v30
	ds_write_b32 v29, v28
.LBB108_628:
	s_or_b64 exec, exec, s[0:1]
	v_cmp_lt_u32_e64 s[16:17], 21, v26
	s_and_b64 s[16:17], s[16:17], s[94:95]
	s_waitcnt lgkmcnt(0)
	s_barrier
	s_and_saveexec_b64 s[0:1], s[16:17]
	s_cbranch_execz .LBB108_630
; %bb.629:
	ds_read_b32 v30, v27 offset:13696
	ds_read_b32 v31, v29
	s_waitcnt lgkmcnt(0)
	v_fmac_f32_e32 v28, v30, v31
.LBB108_630:
	s_or_b64 exec, exec, s[0:1]
	v_cmp_eq_u32_e64 s[16:17], 22, v26
	s_and_b64 s[16:17], s[16:17], s[94:95]
	s_barrier
	s_and_saveexec_b64 s[0:1], s[16:17]
	s_cbranch_execz .LBB108_632
; %bb.631:
	v_mov_b32_e32 v30, 0
	ds_read_b32 v30, v30 offset:14040
	s_waitcnt lgkmcnt(0)
	v_mul_f32_e32 v28, v28, v30
	ds_write_b32 v29, v28
.LBB108_632:
	s_or_b64 exec, exec, s[0:1]
	v_cmp_lt_u32_e64 s[16:17], 22, v26
	s_and_b64 s[16:17], s[16:17], s[94:95]
	s_waitcnt lgkmcnt(0)
	s_barrier
	s_and_saveexec_b64 s[0:1], s[16:17]
	s_cbranch_execz .LBB108_634
; %bb.633:
	ds_read_b32 v30, v27 offset:13952
	ds_read_b32 v31, v29
	s_waitcnt lgkmcnt(0)
	v_fmac_f32_e32 v28, v30, v31
.LBB108_634:
	s_or_b64 exec, exec, s[0:1]
	v_cmp_eq_u32_e64 s[16:17], 23, v26
	s_and_b64 s[16:17], s[16:17], s[94:95]
	s_barrier
	s_and_saveexec_b64 s[0:1], s[16:17]
	s_cbranch_execz .LBB108_636
; %bb.635:
	v_mov_b32_e32 v30, 0
	ds_read_b32 v30, v30 offset:14300
	s_waitcnt lgkmcnt(0)
	v_mul_f32_e32 v28, v28, v30
	ds_write_b32 v29, v28
.LBB108_636:
	s_or_b64 exec, exec, s[0:1]
	v_cmp_lt_u32_e64 s[16:17], 23, v26
	s_and_b64 s[16:17], s[16:17], s[94:95]
	s_waitcnt lgkmcnt(0)
	s_barrier
	s_and_saveexec_b64 s[0:1], s[16:17]
	s_cbranch_execz .LBB108_638
; %bb.637:
	ds_read_b32 v30, v27 offset:14208
	ds_read_b32 v31, v29
	s_waitcnt lgkmcnt(0)
	v_fmac_f32_e32 v28, v30, v31
.LBB108_638:
	s_or_b64 exec, exec, s[0:1]
	v_cmp_eq_u32_e64 s[16:17], 24, v26
	s_and_b64 s[16:17], s[16:17], s[94:95]
	s_barrier
	s_and_saveexec_b64 s[0:1], s[16:17]
	s_cbranch_execz .LBB108_640
; %bb.639:
	v_mov_b32_e32 v30, 0
	ds_read_b32 v30, v30 offset:14560
	s_waitcnt lgkmcnt(0)
	v_mul_f32_e32 v28, v28, v30
	ds_write_b32 v29, v28
.LBB108_640:
	s_or_b64 exec, exec, s[0:1]
	v_cmp_lt_u32_e64 s[16:17], 24, v26
	s_and_b64 s[16:17], s[16:17], s[94:95]
	s_waitcnt lgkmcnt(0)
	s_barrier
	s_and_saveexec_b64 s[0:1], s[16:17]
	s_cbranch_execz .LBB108_642
; %bb.641:
	ds_read_b32 v30, v27 offset:14464
	ds_read_b32 v31, v29
	s_waitcnt lgkmcnt(0)
	v_fmac_f32_e32 v28, v30, v31
.LBB108_642:
	s_or_b64 exec, exec, s[0:1]
	v_cmp_eq_u32_e64 s[16:17], 25, v26
	s_and_b64 s[16:17], s[16:17], s[94:95]
	s_barrier
	s_and_saveexec_b64 s[0:1], s[16:17]
	s_cbranch_execz .LBB108_644
; %bb.643:
	v_mov_b32_e32 v30, 0
	ds_read_b32 v30, v30 offset:14820
	s_waitcnt lgkmcnt(0)
	v_mul_f32_e32 v28, v28, v30
	ds_write_b32 v29, v28
.LBB108_644:
	s_or_b64 exec, exec, s[0:1]
	v_cmp_lt_u32_e64 s[16:17], 25, v26
	s_and_b64 s[16:17], s[16:17], s[94:95]
	s_waitcnt lgkmcnt(0)
	s_barrier
	s_and_saveexec_b64 s[0:1], s[16:17]
	s_cbranch_execz .LBB108_646
; %bb.645:
	ds_read_b32 v30, v27 offset:14720
	ds_read_b32 v31, v29
	s_waitcnt lgkmcnt(0)
	v_fmac_f32_e32 v28, v30, v31
.LBB108_646:
	s_or_b64 exec, exec, s[0:1]
	v_cmp_eq_u32_e64 s[16:17], 26, v26
	s_and_b64 s[16:17], s[16:17], s[94:95]
	s_barrier
	s_and_saveexec_b64 s[0:1], s[16:17]
	s_cbranch_execz .LBB108_648
; %bb.647:
	v_mov_b32_e32 v30, 0
	ds_read_b32 v30, v30 offset:15080
	s_waitcnt lgkmcnt(0)
	v_mul_f32_e32 v28, v28, v30
	ds_write_b32 v29, v28
.LBB108_648:
	s_or_b64 exec, exec, s[0:1]
	v_cmp_lt_u32_e64 s[16:17], 26, v26
	s_and_b64 s[16:17], s[16:17], s[94:95]
	s_waitcnt lgkmcnt(0)
	s_barrier
	s_and_saveexec_b64 s[0:1], s[16:17]
	s_cbranch_execz .LBB108_650
; %bb.649:
	ds_read_b32 v30, v27 offset:14976
	ds_read_b32 v31, v29
	s_waitcnt lgkmcnt(0)
	v_fmac_f32_e32 v28, v30, v31
.LBB108_650:
	s_or_b64 exec, exec, s[0:1]
	v_cmp_eq_u32_e64 s[16:17], 27, v26
	s_and_b64 s[16:17], s[16:17], s[94:95]
	s_barrier
	s_and_saveexec_b64 s[0:1], s[16:17]
	s_cbranch_execz .LBB108_652
; %bb.651:
	v_mov_b32_e32 v30, 0
	ds_read_b32 v30, v30 offset:15340
	s_waitcnt lgkmcnt(0)
	v_mul_f32_e32 v28, v28, v30
	ds_write_b32 v29, v28
.LBB108_652:
	s_or_b64 exec, exec, s[0:1]
	v_cmp_lt_u32_e64 s[16:17], 27, v26
	s_and_b64 s[16:17], s[16:17], s[94:95]
	s_waitcnt lgkmcnt(0)
	s_barrier
	s_and_saveexec_b64 s[0:1], s[16:17]
	s_cbranch_execz .LBB108_654
; %bb.653:
	ds_read_b32 v30, v27 offset:15232
	ds_read_b32 v31, v29
	s_waitcnt lgkmcnt(0)
	v_fmac_f32_e32 v28, v30, v31
.LBB108_654:
	s_or_b64 exec, exec, s[0:1]
	v_cmp_eq_u32_e64 s[16:17], 28, v26
	s_and_b64 s[16:17], s[16:17], s[94:95]
	s_barrier
	s_and_saveexec_b64 s[0:1], s[16:17]
	s_cbranch_execz .LBB108_656
; %bb.655:
	v_mov_b32_e32 v30, 0
	ds_read_b32 v30, v30 offset:15600
	s_waitcnt lgkmcnt(0)
	v_mul_f32_e32 v28, v28, v30
	ds_write_b32 v29, v28
.LBB108_656:
	s_or_b64 exec, exec, s[0:1]
	v_cmp_lt_u32_e64 s[16:17], 28, v26
	s_and_b64 s[16:17], s[16:17], s[94:95]
	s_waitcnt lgkmcnt(0)
	s_barrier
	s_and_saveexec_b64 s[0:1], s[16:17]
	s_cbranch_execz .LBB108_658
; %bb.657:
	ds_read_b32 v30, v27 offset:15488
	ds_read_b32 v31, v29
	s_waitcnt lgkmcnt(0)
	v_fmac_f32_e32 v28, v30, v31
.LBB108_658:
	s_or_b64 exec, exec, s[0:1]
	v_cmp_eq_u32_e64 s[16:17], 29, v26
	s_and_b64 s[16:17], s[16:17], s[94:95]
	s_barrier
	s_and_saveexec_b64 s[0:1], s[16:17]
	s_cbranch_execz .LBB108_660
; %bb.659:
	v_mov_b32_e32 v30, 0
	ds_read_b32 v30, v30 offset:15860
	s_waitcnt lgkmcnt(0)
	v_mul_f32_e32 v28, v28, v30
	ds_write_b32 v29, v28
.LBB108_660:
	s_or_b64 exec, exec, s[0:1]
	v_cmp_lt_u32_e64 s[16:17], 29, v26
	s_and_b64 s[16:17], s[16:17], s[94:95]
	s_waitcnt lgkmcnt(0)
	s_barrier
	s_and_saveexec_b64 s[0:1], s[16:17]
	s_cbranch_execz .LBB108_662
; %bb.661:
	ds_read_b32 v27, v27 offset:15744
	ds_read_b32 v30, v29
	s_waitcnt lgkmcnt(0)
	v_fmac_f32_e32 v28, v27, v30
.LBB108_662:
	s_or_b64 exec, exec, s[0:1]
	v_cmp_eq_u32_e64 s[16:17], 30, v26
	s_and_b64 s[16:17], s[16:17], s[94:95]
	s_barrier
	s_and_saveexec_b64 s[0:1], s[16:17]
	s_cbranch_execz .LBB108_664
; %bb.663:
	v_mov_b32_e32 v27, 0
	ds_read_b32 v27, v27 offset:16120
	s_waitcnt lgkmcnt(0)
	v_mul_f32_e32 v28, v28, v27
	ds_write_b32 v29, v28
.LBB108_664:
	s_or_b64 exec, exec, s[0:1]
	v_cmp_eq_u32_e64 s[16:17], 31, v26
	s_and_b64 s[16:17], s[16:17], s[94:95]
	s_waitcnt lgkmcnt(0)
	s_barrier
	s_and_saveexec_b64 s[0:1], s[16:17]
	s_cbranch_execz .LBB108_666
; %bb.665:
	v_mov_b32_e32 v26, 0
	ds_read_b32 v26, v26 offset:16124
	ds_read_b32 v27, v29
	s_waitcnt lgkmcnt(0)
	v_fmac_f32_e32 v28, v26, v27
.LBB108_666:
	s_or_b64 exec, exec, s[0:1]
	s_barrier
	s_and_saveexec_b64 s[0:1], s[16:17]
	s_cbranch_execz .LBB108_668
; %bb.667:
	v_mov_b32_e32 v26, 0
	ds_read_b32 v26, v26 offset:16380
	s_waitcnt lgkmcnt(0)
	v_mul_f32_e32 v28, v28, v26
	ds_write_b32 v29, v28
.LBB108_668:
	s_or_b64 exec, exec, s[0:1]
	s_waitcnt lgkmcnt(0)
	s_barrier
	s_barrier
	s_and_saveexec_b64 s[0:1], s[14:15]
; %bb.669:
	v_xor_b32_e32 v26, 0x80000000, v28
	ds_write_b32 v25, v26 offset:128
; %bb.670:
	s_or_b64 exec, exec, s[0:1]
	v_cmp_gt_u32_e64 s[14:15], 32, v0
	s_and_b64 s[0:1], s[12:13], s[14:15]
	s_waitcnt lgkmcnt(0)
	s_barrier
	s_barrier
	s_and_saveexec_b64 s[12:13], s[0:1]
	s_cbranch_execz .LBB108_672
; %bb.671:
	v_lshlrev_b32_e32 v25, 8, v0
	ds_read_b32 v26, v25 offset:128
	s_movk_i32 s0, 0xff04
	v_mad_i32_i24 v27, v0, s0, v25
	s_waitcnt lgkmcnt(0)
	ds_write_b32 v27, v26 offset:8192
	ds_read_b32 v26, v25 offset:132
	s_waitcnt lgkmcnt(0)
	ds_write_b32 v27, v26 offset:8448
	ds_read_b32 v26, v25 offset:136
	;; [unrolled: 3-line block ×31, first 2 shown]
	s_waitcnt lgkmcnt(0)
	ds_write_b32 v27, v25 offset:16128
.LBB108_672:
	s_or_b64 exec, exec, s[12:13]
	s_waitcnt lgkmcnt(0)
	s_barrier
	s_and_saveexec_b64 s[12:13], vcc
	s_cbranch_execz .LBB108_674
; %bb.673:
	v_mov_b32_e32 v27, 0
	ds_read_b64 v[25:26], v27 offset:8320
	ds_read_b32 v27, v27 offset:8580
	s_movk_i32 s0, 0x2000
	s_waitcnt lgkmcnt(0)
	v_mul_f32_e32 v25, v25, v27
	v_mul_f32_e32 v25, v26, v25
	v_add_u32_e64 v26, s0, 0
	ds_write2_b32 v26, v25, v25 offset0:33 offset1:96
.LBB108_674:
	s_or_b64 exec, exec, s[12:13]
	v_mov_b32_e32 v25, 0
	s_waitcnt lgkmcnt(0)
	s_barrier
	s_and_saveexec_b64 s[14:15], s[2:3]
	s_cbranch_execz .LBB108_678
; %bb.675:
	v_mul_u32_u24_e32 v25, 0x104, v5
	ds_read_b32 v27, v1 offset:8328
	ds_read_b32 v25, v25 offset:8320
	v_mov_b32_e32 v26, 0
	v_cmp_gt_u32_e64 s[12:13], 2, v4
	s_waitcnt lgkmcnt(0)
	v_fma_f32 v25, v27, v25, 0
	s_and_saveexec_b64 s[0:1], s[12:13]
	s_cbranch_execz .LBB108_677
; %bb.676:
	v_lshlrev_b32_e32 v27, 2, v0
	ds_read_b32 v27, v27 offset:8584
	ds_read_b32 v26, v26 offset:8324
	s_waitcnt lgkmcnt(0)
	v_fmac_f32_e32 v25, v27, v26
.LBB108_677:
	s_or_b64 exec, exec, s[0:1]
	v_xor_b32_e32 v25, 0x80000000, v25
.LBB108_678:
	s_or_b64 exec, exec, s[14:15]
	s_and_saveexec_b64 s[0:1], s[40:41]
	s_cbranch_execz .LBB108_680
; %bb.679:
	v_mov_b32_e32 v26, 0
	ds_read_b32 v26, v26 offset:8840
	s_waitcnt lgkmcnt(0)
	v_mul_f32_e32 v25, v25, v26
	ds_write_b32 v3, v25
.LBB108_680:
	s_or_b64 exec, exec, s[0:1]
	s_waitcnt lgkmcnt(0)
	s_barrier
	s_and_saveexec_b64 s[0:1], s[38:39]
	s_cbranch_execz .LBB108_682
; %bb.681:
	v_mov_b32_e32 v26, 0
	ds_read_b32 v26, v26 offset:8844
	ds_read_b32 v27, v3
	s_waitcnt lgkmcnt(0)
	v_fmac_f32_e32 v25, v26, v27
.LBB108_682:
	s_or_b64 exec, exec, s[0:1]
	s_barrier
	s_and_saveexec_b64 s[0:1], s[38:39]
	s_cbranch_execz .LBB108_684
; %bb.683:
	v_mov_b32_e32 v26, 0
	ds_read_b32 v26, v26 offset:9100
	s_waitcnt lgkmcnt(0)
	v_mul_f32_e32 v25, v25, v26
	ds_write_b32 v3, v25
.LBB108_684:
	s_or_b64 exec, exec, s[0:1]
	s_waitcnt lgkmcnt(0)
	s_barrier
	s_barrier
	s_and_saveexec_b64 s[0:1], s[2:3]
; %bb.685:
	v_xor_b32_e32 v25, 0x80000000, v25
	ds_write_b32 v1, v25 offset:8328
; %bb.686:
	s_or_b64 exec, exec, s[0:1]
	s_waitcnt lgkmcnt(0)
	s_barrier
	s_barrier
	s_and_saveexec_b64 s[0:1], s[42:43]
	s_cbranch_execz .LBB108_688
; %bb.687:
	v_lshlrev_b32_e32 v25, 2, v0
	s_movk_i32 s12, 0xfc
	v_mad_u32_u24 v26, v0, s12, v25
	ds_read_b32 v27, v26 offset:8328
	s_waitcnt lgkmcnt(0)
	ds_write_b32 v25, v27 offset:8832
	ds_read_b32 v26, v26 offset:8332
	s_waitcnt lgkmcnt(0)
	ds_write_b32 v25, v26 offset:9088
.LBB108_688:
	s_or_b64 exec, exec, s[0:1]
	s_waitcnt lgkmcnt(0)
	s_barrier
	s_and_saveexec_b64 s[12:13], vcc
	s_cbranch_execz .LBB108_690
; %bb.689:
	v_mov_b32_e32 v27, 0
	ds_read_b64 v[25:26], v27 offset:8840
	ds_read_b32 v27, v27 offset:9100
	s_movk_i32 s0, 0x2000
	s_waitcnt lgkmcnt(0)
	v_mul_f32_e32 v25, v25, v27
	v_mul_f32_e32 v25, v26, v25
	v_add_u32_e64 v26, s0, 0
	ds_write2_b32 v26, v25, v25 offset0:163 offset1:226
.LBB108_690:
	s_or_b64 exec, exec, s[12:13]
	v_mov_b32_e32 v25, 0
	s_waitcnt lgkmcnt(0)
	s_barrier
	s_and_saveexec_b64 s[14:15], s[18:19]
	s_cbranch_execz .LBB108_696
; %bb.691:
	v_mul_u32_u24_e32 v26, 0x104, v14
	ds_read_b32 v25, v6 offset:8336
	ds_read_b32 v27, v26 offset:8320
	v_cmp_gt_u32_e64 s[12:13], 12, v4
	s_waitcnt lgkmcnt(0)
	v_fma_f32 v25, v25, v27, 0
	s_and_saveexec_b64 s[16:17], s[12:13]
	s_cbranch_execnz .LBB108_1231
; %bb.692:
	s_or_b64 exec, exec, s[16:17]
	v_cmp_gt_u32_e64 s[12:13], 8, v4
	s_and_saveexec_b64 s[0:1], s[12:13]
	s_cbranch_execnz .LBB108_1232
.LBB108_693:
	s_or_b64 exec, exec, s[0:1]
	v_cmp_gt_u32_e64 s[12:13], 4, v4
	s_and_saveexec_b64 s[0:1], s[12:13]
	s_cbranch_execz .LBB108_695
.LBB108_694:
	v_lshlrev_b32_e32 v26, 2, v0
	v_mov_b32_e32 v27, 0
	ds_read_b32 v26, v26 offset:9104
	ds_read_b32 v27, v27 offset:8332
	s_waitcnt lgkmcnt(0)
	v_fmac_f32_e32 v25, v26, v27
.LBB108_695:
	s_or_b64 exec, exec, s[0:1]
	v_xor_b32_e32 v25, 0x80000000, v25
.LBB108_696:
	s_or_b64 exec, exec, s[14:15]
	s_and_saveexec_b64 s[0:1], s[46:47]
	s_cbranch_execz .LBB108_698
; %bb.697:
	v_mov_b32_e32 v26, 0
	ds_read_b32 v26, v26 offset:9360
	s_waitcnt lgkmcnt(0)
	v_mul_f32_e32 v25, v25, v26
	ds_write_b32 v12, v25
.LBB108_698:
	s_or_b64 exec, exec, s[0:1]
	s_waitcnt lgkmcnt(0)
	s_barrier
	s_and_saveexec_b64 s[0:1], s[48:49]
	s_cbranch_execz .LBB108_700
; %bb.699:
	ds_read_b32 v26, v11 offset:9360
	ds_read_b32 v27, v12
	s_waitcnt lgkmcnt(0)
	v_fmac_f32_e32 v25, v26, v27
.LBB108_700:
	s_or_b64 exec, exec, s[0:1]
	s_barrier
	s_and_saveexec_b64 s[0:1], s[50:51]
	s_cbranch_execz .LBB108_702
; %bb.701:
	v_mov_b32_e32 v26, 0
	ds_read_b32 v26, v26 offset:9620
	s_waitcnt lgkmcnt(0)
	v_mul_f32_e32 v25, v25, v26
	ds_write_b32 v12, v25
.LBB108_702:
	s_or_b64 exec, exec, s[0:1]
	s_waitcnt lgkmcnt(0)
	s_barrier
	s_and_saveexec_b64 s[0:1], s[52:53]
	s_cbranch_execz .LBB108_704
; %bb.703:
	ds_read_b32 v26, v11 offset:9616
	ds_read_b32 v27, v12
	s_waitcnt lgkmcnt(0)
	v_fmac_f32_e32 v25, v26, v27
.LBB108_704:
	s_or_b64 exec, exec, s[0:1]
	s_barrier
	s_and_saveexec_b64 s[0:1], s[54:55]
	s_cbranch_execz .LBB108_706
; %bb.705:
	v_mov_b32_e32 v26, 0
	ds_read_b32 v26, v26 offset:9880
	s_waitcnt lgkmcnt(0)
	v_mul_f32_e32 v25, v25, v26
	ds_write_b32 v12, v25
.LBB108_706:
	s_or_b64 exec, exec, s[0:1]
	s_waitcnt lgkmcnt(0)
	s_barrier
	s_and_saveexec_b64 s[0:1], s[44:45]
	s_cbranch_execz .LBB108_708
; %bb.707:
	v_mov_b32_e32 v26, 0
	ds_read_b32 v26, v26 offset:9884
	ds_read_b32 v27, v12
	s_waitcnt lgkmcnt(0)
	v_fmac_f32_e32 v25, v26, v27
.LBB108_708:
	s_or_b64 exec, exec, s[0:1]
	s_barrier
	s_and_saveexec_b64 s[0:1], s[44:45]
	s_cbranch_execz .LBB108_710
; %bb.709:
	v_mov_b32_e32 v26, 0
	ds_read_b32 v26, v26 offset:10140
	s_waitcnt lgkmcnt(0)
	v_mul_f32_e32 v25, v25, v26
	ds_write_b32 v12, v25
.LBB108_710:
	s_or_b64 exec, exec, s[0:1]
	s_waitcnt lgkmcnt(0)
	s_barrier
	s_barrier
	s_and_saveexec_b64 s[0:1], s[18:19]
; %bb.711:
	v_xor_b32_e32 v25, 0x80000000, v25
	ds_write_b32 v6, v25 offset:8336
; %bb.712:
	s_or_b64 exec, exec, s[0:1]
	s_waitcnt lgkmcnt(0)
	s_barrier
	s_barrier
	s_and_saveexec_b64 s[12:13], s[56:57]
	s_cbranch_execz .LBB108_714
; %bb.713:
	v_lshlrev_b32_e32 v25, 8, v0
	ds_read_b32 v26, v25 offset:8336
	s_movk_i32 s0, 0xff04
	v_mad_i32_i24 v27, v0, s0, v25
	s_waitcnt lgkmcnt(0)
	ds_write_b32 v27, v26 offset:9344
	ds_read_b32 v26, v25 offset:8340
	s_waitcnt lgkmcnt(0)
	ds_write_b32 v27, v26 offset:9600
	ds_read_b32 v26, v25 offset:8344
	;; [unrolled: 3-line block ×3, first 2 shown]
	s_waitcnt lgkmcnt(0)
	ds_write_b32 v27, v25 offset:10112
.LBB108_714:
	s_or_b64 exec, exec, s[12:13]
	s_waitcnt lgkmcnt(0)
	s_barrier
	s_and_saveexec_b64 s[12:13], vcc
	s_cbranch_execz .LBB108_716
; %bb.715:
	v_mov_b32_e32 v27, 0
	ds_read_b64 v[25:26], v27 offset:9360
	ds_read_b32 v27, v27 offset:9620
	s_movk_i32 s0, 0x2400
	s_waitcnt lgkmcnt(0)
	v_mul_f32_e32 v25, v25, v27
	v_mul_f32_e32 v25, v26, v25
	v_add_u32_e64 v26, s0, 0
	ds_write2_b32 v26, v25, v25 offset0:37 offset1:100
.LBB108_716:
	s_or_b64 exec, exec, s[12:13]
	v_mov_b32_e32 v25, 0
	s_waitcnt lgkmcnt(0)
	s_barrier
	s_and_saveexec_b64 s[14:15], s[2:3]
	s_cbranch_execz .LBB108_720
; %bb.717:
	v_mul_u32_u24_e32 v25, 0x104, v5
	ds_read_b32 v27, v1 offset:9368
	ds_read_b32 v25, v25 offset:9360
	v_mov_b32_e32 v26, 0
	v_cmp_gt_u32_e64 s[12:13], 2, v4
	s_waitcnt lgkmcnt(0)
	v_fma_f32 v25, v27, v25, 0
	s_and_saveexec_b64 s[0:1], s[12:13]
	s_cbranch_execz .LBB108_719
; %bb.718:
	v_lshlrev_b32_e32 v27, 2, v0
	ds_read_b32 v27, v27 offset:9624
	ds_read_b32 v26, v26 offset:9364
	s_waitcnt lgkmcnt(0)
	v_fmac_f32_e32 v25, v27, v26
.LBB108_719:
	s_or_b64 exec, exec, s[0:1]
	v_xor_b32_e32 v25, 0x80000000, v25
.LBB108_720:
	s_or_b64 exec, exec, s[14:15]
	s_and_saveexec_b64 s[0:1], s[40:41]
	s_cbranch_execz .LBB108_722
; %bb.721:
	v_mov_b32_e32 v26, 0
	ds_read_b32 v26, v26 offset:9880
	s_waitcnt lgkmcnt(0)
	v_mul_f32_e32 v25, v25, v26
	ds_write_b32 v3, v25
.LBB108_722:
	s_or_b64 exec, exec, s[0:1]
	s_waitcnt lgkmcnt(0)
	s_barrier
	s_and_saveexec_b64 s[0:1], s[38:39]
	s_cbranch_execz .LBB108_724
; %bb.723:
	v_mov_b32_e32 v26, 0
	ds_read_b32 v26, v26 offset:9884
	ds_read_b32 v27, v3
	s_waitcnt lgkmcnt(0)
	v_fmac_f32_e32 v25, v26, v27
.LBB108_724:
	s_or_b64 exec, exec, s[0:1]
	s_barrier
	s_and_saveexec_b64 s[0:1], s[38:39]
	s_cbranch_execz .LBB108_726
; %bb.725:
	v_mov_b32_e32 v26, 0
	ds_read_b32 v26, v26 offset:10140
	s_waitcnt lgkmcnt(0)
	v_mul_f32_e32 v25, v25, v26
	ds_write_b32 v3, v25
.LBB108_726:
	s_or_b64 exec, exec, s[0:1]
	s_waitcnt lgkmcnt(0)
	s_barrier
	s_barrier
	s_and_saveexec_b64 s[0:1], s[2:3]
; %bb.727:
	v_xor_b32_e32 v25, 0x80000000, v25
	ds_write_b32 v1, v25 offset:9368
; %bb.728:
	s_or_b64 exec, exec, s[0:1]
	s_waitcnt lgkmcnt(0)
	s_barrier
	s_barrier
	s_and_saveexec_b64 s[0:1], s[42:43]
	s_cbranch_execz .LBB108_730
; %bb.729:
	v_lshlrev_b32_e32 v25, 2, v0
	s_movk_i32 s12, 0xfc
	v_mad_u32_u24 v26, v0, s12, v25
	ds_read_b32 v27, v26 offset:9368
	s_waitcnt lgkmcnt(0)
	ds_write_b32 v25, v27 offset:9872
	ds_read_b32 v26, v26 offset:9372
	s_waitcnt lgkmcnt(0)
	ds_write_b32 v25, v26 offset:10128
.LBB108_730:
	s_or_b64 exec, exec, s[0:1]
	s_waitcnt lgkmcnt(0)
	s_barrier
	s_and_saveexec_b64 s[12:13], vcc
	s_cbranch_execz .LBB108_732
; %bb.731:
	v_mov_b32_e32 v27, 0
	ds_read_b64 v[25:26], v27 offset:9880
	ds_read_b32 v27, v27 offset:10140
	s_movk_i32 s0, 0x2400
	s_waitcnt lgkmcnt(0)
	v_mul_f32_e32 v25, v25, v27
	v_mul_f32_e32 v25, v26, v25
	v_add_u32_e64 v26, s0, 0
	ds_write2_b32 v26, v25, v25 offset0:167 offset1:230
.LBB108_732:
	s_or_b64 exec, exec, s[12:13]
	v_mov_b32_e32 v25, 0
	s_waitcnt lgkmcnt(0)
	s_barrier
	s_and_saveexec_b64 s[14:15], s[8:9]
	s_cbranch_execz .LBB108_742
; %bb.733:
	v_mul_u32_u24_e32 v26, 0x104, v19
	ds_read_b32 v25, v15 offset:8352
	ds_read_b32 v27, v26 offset:8320
	v_cmp_gt_u32_e64 s[12:13], 56, v4
	s_waitcnt lgkmcnt(0)
	v_fma_f32 v25, v25, v27, 0
	s_and_saveexec_b64 s[16:17], s[12:13]
	s_cbranch_execnz .LBB108_1233
; %bb.734:
	s_or_b64 exec, exec, s[16:17]
	v_cmp_gt_u32_e64 s[12:13], 48, v4
	s_and_saveexec_b64 s[0:1], s[12:13]
	s_cbranch_execnz .LBB108_1234
.LBB108_735:
	s_or_b64 exec, exec, s[0:1]
	v_cmp_gt_u32_e64 s[12:13], 40, v4
	s_and_saveexec_b64 s[0:1], s[12:13]
	s_cbranch_execnz .LBB108_1235
.LBB108_736:
	s_or_b64 exec, exec, s[0:1]
	v_cmp_gt_u32_e64 s[12:13], 32, v4
	s_and_saveexec_b64 s[0:1], s[12:13]
	s_cbranch_execnz .LBB108_1236
.LBB108_737:
	s_or_b64 exec, exec, s[0:1]
	v_cmp_gt_u32_e64 s[12:13], 24, v4
	s_and_saveexec_b64 s[0:1], s[12:13]
	s_cbranch_execnz .LBB108_1237
.LBB108_738:
	s_or_b64 exec, exec, s[0:1]
	v_cmp_gt_u32_e64 s[12:13], 16, v4
	s_and_saveexec_b64 s[0:1], s[12:13]
	s_cbranch_execnz .LBB108_1238
.LBB108_739:
	s_or_b64 exec, exec, s[0:1]
	v_cmp_gt_u32_e64 s[12:13], 8, v4
	s_and_saveexec_b64 s[0:1], s[12:13]
	s_cbranch_execz .LBB108_741
.LBB108_740:
	v_lshlrev_b32_e32 v26, 2, v0
	v_mov_b32_e32 v27, 0
	ds_read_b32 v26, v26 offset:10144
	ds_read_b32 v27, v27 offset:8348
	s_waitcnt lgkmcnt(0)
	v_fmac_f32_e32 v25, v26, v27
.LBB108_741:
	s_or_b64 exec, exec, s[0:1]
	v_xor_b32_e32 v25, 0x80000000, v25
.LBB108_742:
	s_or_b64 exec, exec, s[14:15]
	s_and_saveexec_b64 s[0:1], s[58:59]
	s_cbranch_execz .LBB108_744
; %bb.743:
	v_mov_b32_e32 v26, 0
	ds_read_b32 v26, v26 offset:10400
	s_waitcnt lgkmcnt(0)
	v_mul_f32_e32 v25, v25, v26
	ds_write_b32 v17, v25
.LBB108_744:
	s_or_b64 exec, exec, s[0:1]
	s_waitcnt lgkmcnt(0)
	s_barrier
	s_and_saveexec_b64 s[0:1], s[60:61]
	s_cbranch_execz .LBB108_746
; %bb.745:
	ds_read_b32 v26, v16 offset:10400
	ds_read_b32 v27, v17
	s_waitcnt lgkmcnt(0)
	v_fmac_f32_e32 v25, v26, v27
.LBB108_746:
	s_or_b64 exec, exec, s[0:1]
	s_barrier
	s_and_saveexec_b64 s[0:1], s[62:63]
	s_cbranch_execz .LBB108_748
; %bb.747:
	v_mov_b32_e32 v26, 0
	ds_read_b32 v26, v26 offset:10660
	s_waitcnt lgkmcnt(0)
	v_mul_f32_e32 v25, v25, v26
	ds_write_b32 v17, v25
.LBB108_748:
	s_or_b64 exec, exec, s[0:1]
	s_waitcnt lgkmcnt(0)
	s_barrier
	s_and_saveexec_b64 s[0:1], s[64:65]
	s_cbranch_execz .LBB108_750
; %bb.749:
	ds_read_b32 v26, v16 offset:10656
	ds_read_b32 v27, v17
	s_waitcnt lgkmcnt(0)
	v_fmac_f32_e32 v25, v26, v27
.LBB108_750:
	s_or_b64 exec, exec, s[0:1]
	s_barrier
	;; [unrolled: 22-line block ×6, first 2 shown]
	s_and_saveexec_b64 s[0:1], s[84:85]
	s_cbranch_execz .LBB108_768
; %bb.767:
	v_mov_b32_e32 v26, 0
	ds_read_b32 v26, v26 offset:11960
	s_waitcnt lgkmcnt(0)
	v_mul_f32_e32 v25, v25, v26
	ds_write_b32 v17, v25
.LBB108_768:
	s_or_b64 exec, exec, s[0:1]
	s_waitcnt lgkmcnt(0)
	s_barrier
	s_and_saveexec_b64 s[0:1], s[66:67]
	s_cbranch_execz .LBB108_770
; %bb.769:
	v_mov_b32_e32 v26, 0
	ds_read_b32 v26, v26 offset:11964
	ds_read_b32 v27, v17
	s_waitcnt lgkmcnt(0)
	v_fmac_f32_e32 v25, v26, v27
.LBB108_770:
	s_or_b64 exec, exec, s[0:1]
	s_barrier
	s_and_saveexec_b64 s[0:1], s[66:67]
	s_cbranch_execz .LBB108_772
; %bb.771:
	v_mov_b32_e32 v26, 0
	ds_read_b32 v26, v26 offset:12220
	s_waitcnt lgkmcnt(0)
	v_mul_f32_e32 v25, v25, v26
	ds_write_b32 v17, v25
.LBB108_772:
	s_or_b64 exec, exec, s[0:1]
	s_waitcnt lgkmcnt(0)
	s_barrier
	s_barrier
	s_and_saveexec_b64 s[0:1], s[8:9]
; %bb.773:
	v_xor_b32_e32 v25, 0x80000000, v25
	ds_write_b32 v15, v25 offset:8352
; %bb.774:
	s_or_b64 exec, exec, s[0:1]
	s_waitcnt lgkmcnt(0)
	s_barrier
	s_barrier
	s_and_saveexec_b64 s[12:13], s[86:87]
	s_cbranch_execz .LBB108_776
; %bb.775:
	v_lshlrev_b32_e32 v25, 8, v0
	ds_read_b32 v26, v25 offset:8352
	s_movk_i32 s0, 0xff04
	v_mad_i32_i24 v27, v0, s0, v25
	s_waitcnt lgkmcnt(0)
	ds_write_b32 v27, v26 offset:10368
	ds_read_b32 v26, v25 offset:8356
	s_waitcnt lgkmcnt(0)
	ds_write_b32 v27, v26 offset:10624
	ds_read_b32 v26, v25 offset:8360
	;; [unrolled: 3-line block ×7, first 2 shown]
	s_waitcnt lgkmcnt(0)
	ds_write_b32 v27, v25 offset:12160
.LBB108_776:
	s_or_b64 exec, exec, s[12:13]
	s_waitcnt lgkmcnt(0)
	s_barrier
	s_and_saveexec_b64 s[12:13], vcc
	s_cbranch_execz .LBB108_778
; %bb.777:
	v_mov_b32_e32 v27, 0
	ds_read_b64 v[25:26], v27 offset:10400
	ds_read_b32 v27, v27 offset:10660
	s_movk_i32 s0, 0x2800
	s_waitcnt lgkmcnt(0)
	v_mul_f32_e32 v25, v25, v27
	v_mul_f32_e32 v25, v26, v25
	v_add_u32_e64 v26, s0, 0
	ds_write2_b32 v26, v25, v25 offset0:41 offset1:104
.LBB108_778:
	s_or_b64 exec, exec, s[12:13]
	v_mov_b32_e32 v25, 0
	s_waitcnt lgkmcnt(0)
	s_barrier
	s_and_saveexec_b64 s[14:15], s[2:3]
	s_cbranch_execz .LBB108_782
; %bb.779:
	v_mul_u32_u24_e32 v25, 0x104, v5
	ds_read_b32 v27, v1 offset:10408
	ds_read_b32 v25, v25 offset:10400
	v_mov_b32_e32 v26, 0
	v_cmp_gt_u32_e64 s[12:13], 2, v4
	s_waitcnt lgkmcnt(0)
	v_fma_f32 v25, v27, v25, 0
	s_and_saveexec_b64 s[0:1], s[12:13]
	s_cbranch_execz .LBB108_781
; %bb.780:
	v_lshlrev_b32_e32 v27, 2, v0
	ds_read_b32 v27, v27 offset:10664
	ds_read_b32 v26, v26 offset:10404
	s_waitcnt lgkmcnt(0)
	v_fmac_f32_e32 v25, v27, v26
.LBB108_781:
	s_or_b64 exec, exec, s[0:1]
	v_xor_b32_e32 v25, 0x80000000, v25
.LBB108_782:
	s_or_b64 exec, exec, s[14:15]
	s_and_saveexec_b64 s[0:1], s[40:41]
	s_cbranch_execz .LBB108_784
; %bb.783:
	v_mov_b32_e32 v26, 0
	ds_read_b32 v26, v26 offset:10920
	s_waitcnt lgkmcnt(0)
	v_mul_f32_e32 v25, v25, v26
	ds_write_b32 v3, v25
.LBB108_784:
	s_or_b64 exec, exec, s[0:1]
	s_waitcnt lgkmcnt(0)
	s_barrier
	s_and_saveexec_b64 s[0:1], s[38:39]
	s_cbranch_execz .LBB108_786
; %bb.785:
	v_mov_b32_e32 v26, 0
	ds_read_b32 v26, v26 offset:10924
	ds_read_b32 v27, v3
	s_waitcnt lgkmcnt(0)
	v_fmac_f32_e32 v25, v26, v27
.LBB108_786:
	s_or_b64 exec, exec, s[0:1]
	s_barrier
	s_and_saveexec_b64 s[0:1], s[38:39]
	s_cbranch_execz .LBB108_788
; %bb.787:
	v_mov_b32_e32 v26, 0
	ds_read_b32 v26, v26 offset:11180
	s_waitcnt lgkmcnt(0)
	v_mul_f32_e32 v25, v25, v26
	ds_write_b32 v3, v25
.LBB108_788:
	s_or_b64 exec, exec, s[0:1]
	s_waitcnt lgkmcnt(0)
	s_barrier
	s_barrier
	s_and_saveexec_b64 s[0:1], s[2:3]
; %bb.789:
	v_xor_b32_e32 v25, 0x80000000, v25
	ds_write_b32 v1, v25 offset:10408
; %bb.790:
	s_or_b64 exec, exec, s[0:1]
	s_waitcnt lgkmcnt(0)
	s_barrier
	s_barrier
	s_and_saveexec_b64 s[0:1], s[42:43]
	s_cbranch_execz .LBB108_792
; %bb.791:
	v_lshlrev_b32_e32 v25, 2, v0
	s_movk_i32 s12, 0xfc
	v_mad_u32_u24 v26, v0, s12, v25
	ds_read_b32 v27, v26 offset:10408
	s_waitcnt lgkmcnt(0)
	ds_write_b32 v25, v27 offset:10912
	ds_read_b32 v26, v26 offset:10412
	s_waitcnt lgkmcnt(0)
	ds_write_b32 v25, v26 offset:11168
.LBB108_792:
	s_or_b64 exec, exec, s[0:1]
	s_waitcnt lgkmcnt(0)
	s_barrier
	s_and_saveexec_b64 s[12:13], vcc
	s_cbranch_execz .LBB108_794
; %bb.793:
	v_mov_b32_e32 v27, 0
	ds_read_b64 v[25:26], v27 offset:10920
	ds_read_b32 v27, v27 offset:11180
	s_movk_i32 s0, 0x2800
	s_waitcnt lgkmcnt(0)
	v_mul_f32_e32 v25, v25, v27
	v_mul_f32_e32 v25, v26, v25
	v_add_u32_e64 v26, s0, 0
	ds_write2_b32 v26, v25, v25 offset0:171 offset1:234
.LBB108_794:
	s_or_b64 exec, exec, s[12:13]
	v_mov_b32_e32 v25, 0
	s_waitcnt lgkmcnt(0)
	s_barrier
	s_and_saveexec_b64 s[14:15], s[18:19]
	s_cbranch_execz .LBB108_800
; %bb.795:
	v_mul_u32_u24_e32 v26, 0x104, v14
	ds_read_b32 v25, v6 offset:10416
	ds_read_b32 v27, v26 offset:10400
	v_cmp_gt_u32_e64 s[12:13], 12, v4
	s_waitcnt lgkmcnt(0)
	v_fma_f32 v25, v25, v27, 0
	s_and_saveexec_b64 s[16:17], s[12:13]
	s_cbranch_execnz .LBB108_1239
; %bb.796:
	s_or_b64 exec, exec, s[16:17]
	v_cmp_gt_u32_e64 s[12:13], 8, v4
	s_and_saveexec_b64 s[0:1], s[12:13]
	s_cbranch_execnz .LBB108_1240
.LBB108_797:
	s_or_b64 exec, exec, s[0:1]
	v_cmp_gt_u32_e64 s[12:13], 4, v4
	s_and_saveexec_b64 s[0:1], s[12:13]
	s_cbranch_execz .LBB108_799
.LBB108_798:
	v_lshlrev_b32_e32 v26, 2, v0
	v_mov_b32_e32 v27, 0
	ds_read_b32 v26, v26 offset:11184
	ds_read_b32 v27, v27 offset:10412
	s_waitcnt lgkmcnt(0)
	v_fmac_f32_e32 v25, v26, v27
.LBB108_799:
	s_or_b64 exec, exec, s[0:1]
	v_xor_b32_e32 v25, 0x80000000, v25
.LBB108_800:
	s_or_b64 exec, exec, s[14:15]
	s_and_saveexec_b64 s[0:1], s[46:47]
	s_cbranch_execz .LBB108_802
; %bb.801:
	v_mov_b32_e32 v26, 0
	ds_read_b32 v26, v26 offset:11440
	s_waitcnt lgkmcnt(0)
	v_mul_f32_e32 v25, v25, v26
	ds_write_b32 v12, v25
.LBB108_802:
	s_or_b64 exec, exec, s[0:1]
	s_waitcnt lgkmcnt(0)
	s_barrier
	s_and_saveexec_b64 s[0:1], s[48:49]
	s_cbranch_execz .LBB108_804
; %bb.803:
	ds_read_b32 v26, v11 offset:11440
	ds_read_b32 v27, v12
	s_waitcnt lgkmcnt(0)
	v_fmac_f32_e32 v25, v26, v27
.LBB108_804:
	s_or_b64 exec, exec, s[0:1]
	s_barrier
	s_and_saveexec_b64 s[0:1], s[50:51]
	s_cbranch_execz .LBB108_806
; %bb.805:
	v_mov_b32_e32 v26, 0
	ds_read_b32 v26, v26 offset:11700
	s_waitcnt lgkmcnt(0)
	v_mul_f32_e32 v25, v25, v26
	ds_write_b32 v12, v25
.LBB108_806:
	s_or_b64 exec, exec, s[0:1]
	s_waitcnt lgkmcnt(0)
	s_barrier
	s_and_saveexec_b64 s[0:1], s[52:53]
	s_cbranch_execz .LBB108_808
; %bb.807:
	ds_read_b32 v26, v11 offset:11696
	ds_read_b32 v27, v12
	s_waitcnt lgkmcnt(0)
	v_fmac_f32_e32 v25, v26, v27
.LBB108_808:
	s_or_b64 exec, exec, s[0:1]
	s_barrier
	s_and_saveexec_b64 s[0:1], s[54:55]
	s_cbranch_execz .LBB108_810
; %bb.809:
	v_mov_b32_e32 v26, 0
	ds_read_b32 v26, v26 offset:11960
	s_waitcnt lgkmcnt(0)
	v_mul_f32_e32 v25, v25, v26
	ds_write_b32 v12, v25
.LBB108_810:
	s_or_b64 exec, exec, s[0:1]
	s_waitcnt lgkmcnt(0)
	s_barrier
	s_and_saveexec_b64 s[0:1], s[44:45]
	s_cbranch_execz .LBB108_812
; %bb.811:
	v_mov_b32_e32 v26, 0
	ds_read_b32 v26, v26 offset:11964
	ds_read_b32 v27, v12
	s_waitcnt lgkmcnt(0)
	v_fmac_f32_e32 v25, v26, v27
.LBB108_812:
	s_or_b64 exec, exec, s[0:1]
	s_barrier
	s_and_saveexec_b64 s[0:1], s[44:45]
	s_cbranch_execz .LBB108_814
; %bb.813:
	v_mov_b32_e32 v26, 0
	ds_read_b32 v26, v26 offset:12220
	s_waitcnt lgkmcnt(0)
	v_mul_f32_e32 v25, v25, v26
	ds_write_b32 v12, v25
.LBB108_814:
	s_or_b64 exec, exec, s[0:1]
	s_waitcnt lgkmcnt(0)
	s_barrier
	s_barrier
	s_and_saveexec_b64 s[0:1], s[18:19]
; %bb.815:
	v_xor_b32_e32 v25, 0x80000000, v25
	ds_write_b32 v6, v25 offset:10416
; %bb.816:
	s_or_b64 exec, exec, s[0:1]
	s_waitcnt lgkmcnt(0)
	s_barrier
	s_barrier
	s_and_saveexec_b64 s[12:13], s[56:57]
	s_cbranch_execz .LBB108_818
; %bb.817:
	v_lshlrev_b32_e32 v25, 8, v0
	ds_read_b32 v26, v25 offset:10416
	s_movk_i32 s0, 0xff04
	v_mad_i32_i24 v27, v0, s0, v25
	s_waitcnt lgkmcnt(0)
	ds_write_b32 v27, v26 offset:11424
	ds_read_b32 v26, v25 offset:10420
	s_waitcnt lgkmcnt(0)
	ds_write_b32 v27, v26 offset:11680
	ds_read_b32 v26, v25 offset:10424
	;; [unrolled: 3-line block ×3, first 2 shown]
	s_waitcnt lgkmcnt(0)
	ds_write_b32 v27, v25 offset:12192
.LBB108_818:
	s_or_b64 exec, exec, s[12:13]
	s_waitcnt lgkmcnt(0)
	s_barrier
	s_and_saveexec_b64 s[12:13], vcc
	s_cbranch_execz .LBB108_820
; %bb.819:
	v_mov_b32_e32 v27, 0
	ds_read_b64 v[25:26], v27 offset:11440
	ds_read_b32 v27, v27 offset:11700
	s_movk_i32 s0, 0x2c00
	s_waitcnt lgkmcnt(0)
	v_mul_f32_e32 v25, v25, v27
	v_mul_f32_e32 v25, v26, v25
	v_add_u32_e64 v26, s0, 0
	ds_write2_b32 v26, v25, v25 offset0:45 offset1:108
.LBB108_820:
	s_or_b64 exec, exec, s[12:13]
	v_mov_b32_e32 v25, 0
	s_waitcnt lgkmcnt(0)
	s_barrier
	s_and_saveexec_b64 s[14:15], s[2:3]
	s_cbranch_execz .LBB108_824
; %bb.821:
	v_mul_u32_u24_e32 v25, 0x104, v5
	ds_read_b32 v27, v1 offset:11448
	ds_read_b32 v25, v25 offset:11440
	v_mov_b32_e32 v26, 0
	v_cmp_gt_u32_e64 s[12:13], 2, v4
	s_waitcnt lgkmcnt(0)
	v_fma_f32 v25, v27, v25, 0
	s_and_saveexec_b64 s[0:1], s[12:13]
	s_cbranch_execz .LBB108_823
; %bb.822:
	v_lshlrev_b32_e32 v27, 2, v0
	ds_read_b32 v27, v27 offset:11704
	ds_read_b32 v26, v26 offset:11444
	s_waitcnt lgkmcnt(0)
	v_fmac_f32_e32 v25, v27, v26
.LBB108_823:
	s_or_b64 exec, exec, s[0:1]
	v_xor_b32_e32 v25, 0x80000000, v25
.LBB108_824:
	s_or_b64 exec, exec, s[14:15]
	s_and_saveexec_b64 s[0:1], s[40:41]
	s_cbranch_execz .LBB108_826
; %bb.825:
	v_mov_b32_e32 v26, 0
	ds_read_b32 v26, v26 offset:11960
	s_waitcnt lgkmcnt(0)
	v_mul_f32_e32 v25, v25, v26
	ds_write_b32 v3, v25
.LBB108_826:
	s_or_b64 exec, exec, s[0:1]
	s_waitcnt lgkmcnt(0)
	s_barrier
	s_and_saveexec_b64 s[0:1], s[38:39]
	s_cbranch_execz .LBB108_828
; %bb.827:
	v_mov_b32_e32 v26, 0
	ds_read_b32 v26, v26 offset:11964
	ds_read_b32 v27, v3
	s_waitcnt lgkmcnt(0)
	v_fmac_f32_e32 v25, v26, v27
.LBB108_828:
	s_or_b64 exec, exec, s[0:1]
	s_barrier
	s_and_saveexec_b64 s[0:1], s[38:39]
	s_cbranch_execz .LBB108_830
; %bb.829:
	v_mov_b32_e32 v26, 0
	ds_read_b32 v26, v26 offset:12220
	s_waitcnt lgkmcnt(0)
	v_mul_f32_e32 v25, v25, v26
	ds_write_b32 v3, v25
.LBB108_830:
	s_or_b64 exec, exec, s[0:1]
	s_waitcnt lgkmcnt(0)
	s_barrier
	s_barrier
	s_and_saveexec_b64 s[0:1], s[2:3]
; %bb.831:
	v_xor_b32_e32 v25, 0x80000000, v25
	ds_write_b32 v1, v25 offset:11448
; %bb.832:
	s_or_b64 exec, exec, s[0:1]
	s_waitcnt lgkmcnt(0)
	s_barrier
	s_barrier
	s_and_saveexec_b64 s[0:1], s[42:43]
	s_cbranch_execz .LBB108_834
; %bb.833:
	v_lshlrev_b32_e32 v25, 2, v0
	s_movk_i32 s12, 0xfc
	v_mad_u32_u24 v26, v0, s12, v25
	ds_read_b32 v27, v26 offset:11448
	s_waitcnt lgkmcnt(0)
	ds_write_b32 v25, v27 offset:11952
	ds_read_b32 v26, v26 offset:11452
	s_waitcnt lgkmcnt(0)
	ds_write_b32 v25, v26 offset:12208
.LBB108_834:
	s_or_b64 exec, exec, s[0:1]
	s_waitcnt lgkmcnt(0)
	s_barrier
	s_and_saveexec_b64 s[12:13], vcc
	s_cbranch_execz .LBB108_836
; %bb.835:
	v_mov_b32_e32 v27, 0
	ds_read_b64 v[25:26], v27 offset:11960
	ds_read_b32 v27, v27 offset:12220
	s_movk_i32 s0, 0x2c00
	s_waitcnt lgkmcnt(0)
	v_mul_f32_e32 v25, v25, v27
	v_mul_f32_e32 v25, v26, v25
	v_add_u32_e64 v26, s0, 0
	ds_write2_b32 v26, v25, v25 offset0:175 offset1:238
.LBB108_836:
	s_or_b64 exec, exec, s[12:13]
	v_mov_b32_e32 v25, 0
	s_waitcnt lgkmcnt(0)
	s_barrier
	s_and_saveexec_b64 s[14:15], s[10:11]
	s_cbranch_execz .LBB108_864
; %bb.837:
	v_mul_u32_u24_e32 v26, 0x104, v24
	ds_read_b32 v25, v20 offset:8384
	ds_read_b32 v27, v26 offset:8320
	s_movk_i32 s0, 0xf0
	v_cmp_gt_u32_e64 s[12:13], s0, v4
	s_waitcnt lgkmcnt(0)
	v_fma_f32 v25, v25, v27, 0
	s_and_saveexec_b64 s[16:17], s[12:13]
	s_cbranch_execz .LBB108_839
; %bb.838:
	v_lshlrev_b32_e32 v27, 2, v24
	v_sub_u32_e32 v27, v26, v27
	v_lshl_add_u32 v27, v21, 2, v27
	ds_read_b32 v27, v27 offset:8640
	ds_read_b32 v28, v26 offset:8324
	s_waitcnt lgkmcnt(0)
	v_fmac_f32_e32 v25, v27, v28
.LBB108_839:
	s_or_b64 exec, exec, s[16:17]
	s_movk_i32 s0, 0xe0
	v_cmp_gt_u32_e64 s[12:13], s0, v4
	s_and_saveexec_b64 s[0:1], s[12:13]
	s_cbranch_execz .LBB108_841
; %bb.840:
	v_lshlrev_b32_e32 v27, 2, v24
	v_sub_u32_e32 v27, v26, v27
	v_lshl_add_u32 v27, v21, 2, v27
	ds_read_b32 v27, v27 offset:8896
	ds_read_b32 v28, v26 offset:8328
	s_waitcnt lgkmcnt(0)
	v_fmac_f32_e32 v25, v27, v28
.LBB108_841:
	s_or_b64 exec, exec, s[0:1]
	s_movk_i32 s0, 0xd0
	v_cmp_gt_u32_e64 s[12:13], s0, v4
	;; [unrolled: 14-line block ×7, first 2 shown]
	s_and_saveexec_b64 s[0:1], s[12:13]
	s_cbranch_execz .LBB108_853
; %bb.852:
	ds_read_b32 v24, v20 offset:10432
	ds_read_b32 v27, v26 offset:8352
	s_waitcnt lgkmcnt(0)
	v_fmac_f32_e32 v25, v24, v27
.LBB108_853:
	s_or_b64 exec, exec, s[0:1]
	s_movk_i32 s0, 0x70
	v_cmp_gt_u32_e64 s[12:13], s0, v4
	s_and_saveexec_b64 s[0:1], s[12:13]
	s_cbranch_execz .LBB108_855
; %bb.854:
	v_lshlrev_b32_e32 v24, 2, v21
	v_lshl_add_u32 v24, v23, 2, v24
	ds_read_b32 v24, v24 offset:10688
	ds_read_b32 v27, v26 offset:8356
	s_waitcnt lgkmcnt(0)
	v_fmac_f32_e32 v25, v24, v27
.LBB108_855:
	s_or_b64 exec, exec, s[0:1]
	s_movk_i32 s0, 0x60
	v_cmp_gt_u32_e64 s[12:13], s0, v4
	s_and_saveexec_b64 s[0:1], s[12:13]
	s_cbranch_execz .LBB108_857
; %bb.856:
	v_lshlrev_b32_e32 v24, 2, v21
	v_lshl_add_u32 v24, v23, 2, v24
	ds_read_b32 v24, v24 offset:10944
	ds_read_b32 v27, v26 offset:8360
	s_waitcnt lgkmcnt(0)
	v_fmac_f32_e32 v25, v24, v27
.LBB108_857:
	s_or_b64 exec, exec, s[0:1]
	s_movk_i32 s0, 0x50
	v_cmp_gt_u32_e64 s[12:13], s0, v4
	s_and_saveexec_b64 s[0:1], s[12:13]
	s_cbranch_execnz .LBB108_1241
; %bb.858:
	s_or_b64 exec, exec, s[0:1]
	v_cmp_gt_u32_e64 s[12:13], 64, v4
	s_and_saveexec_b64 s[0:1], s[12:13]
	s_cbranch_execnz .LBB108_1242
.LBB108_859:
	s_or_b64 exec, exec, s[0:1]
	v_cmp_gt_u32_e64 s[12:13], 48, v4
	s_and_saveexec_b64 s[0:1], s[12:13]
	s_cbranch_execnz .LBB108_1243
.LBB108_860:
	s_or_b64 exec, exec, s[0:1]
	v_cmp_gt_u32_e64 s[12:13], 32, v4
	s_and_saveexec_b64 s[0:1], s[12:13]
	s_cbranch_execnz .LBB108_1244
.LBB108_861:
	s_or_b64 exec, exec, s[0:1]
	v_cmp_gt_u32_e64 s[12:13], 16, v4
	s_and_saveexec_b64 s[0:1], s[12:13]
	s_cbranch_execz .LBB108_863
.LBB108_862:
	v_lshlrev_b32_e32 v23, 2, v0
	v_mov_b32_e32 v24, 0
	ds_read_b32 v23, v23 offset:12224
	ds_read_b32 v24, v24 offset:8380
	s_waitcnt lgkmcnt(0)
	v_fmac_f32_e32 v25, v23, v24
.LBB108_863:
	s_or_b64 exec, exec, s[0:1]
	v_xor_b32_e32 v25, 0x80000000, v25
.LBB108_864:
	s_or_b64 exec, exec, s[14:15]
	s_mov_b64 s[0:1], exec
	v_readlane_b32 s12, v33, 4
	v_readlane_b32 s13, v33, 5
	s_and_b64 s[12:13], s[0:1], s[12:13]
	s_mov_b64 exec, s[12:13]
	s_cbranch_execz .LBB108_866
; %bb.865:
	v_mov_b32_e32 v23, 0
	ds_read_b32 v23, v23 offset:12480
	s_waitcnt lgkmcnt(0)
	v_mul_f32_e32 v25, v25, v23
	ds_write_b32 v22, v25
.LBB108_866:
	s_or_b64 exec, exec, s[0:1]
	s_waitcnt lgkmcnt(0)
	s_barrier
	s_mov_b64 s[0:1], exec
	v_readlane_b32 s12, v33, 6
	v_readlane_b32 s13, v33, 7
	s_and_b64 s[12:13], s[0:1], s[12:13]
	s_mov_b64 exec, s[12:13]
	s_cbranch_execz .LBB108_868
; %bb.867:
	v_lshlrev_b32_e32 v23, 2, v21
	ds_read_b32 v23, v23 offset:12480
	ds_read_b32 v24, v22
	s_waitcnt lgkmcnt(0)
	v_fmac_f32_e32 v25, v23, v24
.LBB108_868:
	s_or_b64 exec, exec, s[0:1]
	s_barrier
	s_mov_b64 s[0:1], exec
	v_readlane_b32 s12, v33, 8
	v_readlane_b32 s13, v33, 9
	s_and_b64 s[12:13], s[0:1], s[12:13]
	s_mov_b64 exec, s[12:13]
	s_cbranch_execz .LBB108_870
; %bb.869:
	v_mov_b32_e32 v23, 0
	ds_read_b32 v23, v23 offset:12740
	s_waitcnt lgkmcnt(0)
	v_mul_f32_e32 v25, v25, v23
	ds_write_b32 v22, v25
.LBB108_870:
	s_or_b64 exec, exec, s[0:1]
	s_waitcnt lgkmcnt(0)
	s_barrier
	s_mov_b64 s[0:1], exec
	v_readlane_b32 s12, v33, 10
	v_readlane_b32 s13, v33, 11
	s_and_b64 s[12:13], s[0:1], s[12:13]
	s_mov_b64 exec, s[12:13]
	s_cbranch_execz .LBB108_872
; %bb.871:
	v_lshlrev_b32_e32 v23, 2, v21
	ds_read_b32 v23, v23 offset:12736
	ds_read_b32 v24, v22
	s_waitcnt lgkmcnt(0)
	v_fmac_f32_e32 v25, v23, v24
.LBB108_872:
	s_or_b64 exec, exec, s[0:1]
	s_barrier
	;; [unrolled: 31-line block ×14, first 2 shown]
	s_mov_b64 s[0:1], exec
	v_readlane_b32 s12, v33, 60
	v_readlane_b32 s13, v33, 61
	s_and_b64 s[12:13], s[0:1], s[12:13]
	s_mov_b64 exec, s[12:13]
	s_cbranch_execz .LBB108_922
; %bb.921:
	v_mov_b32_e32 v21, 0
	ds_read_b32 v21, v21 offset:16120
	s_waitcnt lgkmcnt(0)
	v_mul_f32_e32 v25, v25, v21
	ds_write_b32 v22, v25
.LBB108_922:
	s_or_b64 exec, exec, s[0:1]
	s_waitcnt lgkmcnt(0)
	s_barrier
	s_and_saveexec_b64 s[0:1], s[88:89]
	s_cbranch_execz .LBB108_924
; %bb.923:
	v_mov_b32_e32 v21, 0
	ds_read_b32 v21, v21 offset:16124
	ds_read_b32 v23, v22
	s_waitcnt lgkmcnt(0)
	v_fmac_f32_e32 v25, v21, v23
.LBB108_924:
	s_or_b64 exec, exec, s[0:1]
	s_barrier
	s_and_saveexec_b64 s[0:1], s[88:89]
	s_cbranch_execz .LBB108_926
; %bb.925:
	v_mov_b32_e32 v21, 0
	ds_read_b32 v21, v21 offset:16380
	s_waitcnt lgkmcnt(0)
	v_mul_f32_e32 v25, v25, v21
	ds_write_b32 v22, v25
.LBB108_926:
	s_or_b64 exec, exec, s[0:1]
	s_waitcnt lgkmcnt(0)
	s_barrier
	s_barrier
	s_and_saveexec_b64 s[0:1], s[10:11]
; %bb.927:
	v_xor_b32_e32 v21, 0x80000000, v25
	ds_write_b32 v20, v21 offset:8384
; %bb.928:
	s_or_b64 exec, exec, s[0:1]
	s_waitcnt lgkmcnt(0)
	s_barrier
	s_barrier
	s_mov_b64 s[0:1], exec
	v_readlane_b32 s10, v33, 62
	v_readlane_b32 s11, v33, 63
	s_and_b64 s[10:11], s[0:1], s[10:11]
	s_mov_b64 exec, s[10:11]
	s_cbranch_execz .LBB108_930
; %bb.929:
	v_lshlrev_b32_e32 v20, 8, v0
	ds_read_b32 v21, v20 offset:8384
	s_movk_i32 s10, 0xff04
	v_mad_i32_i24 v22, v0, s10, v20
	s_waitcnt lgkmcnt(0)
	ds_write_b32 v22, v21 offset:12416
	ds_read_b32 v21, v20 offset:8388
	s_waitcnt lgkmcnt(0)
	ds_write_b32 v22, v21 offset:12672
	ds_read_b32 v21, v20 offset:8392
	;; [unrolled: 3-line block ×15, first 2 shown]
	s_waitcnt lgkmcnt(0)
	ds_write_b32 v22, v20 offset:16256
.LBB108_930:
	s_or_b64 exec, exec, s[0:1]
	s_waitcnt lgkmcnt(0)
	s_barrier
	s_and_saveexec_b64 s[0:1], vcc
	s_cbranch_execz .LBB108_932
; %bb.931:
	v_mov_b32_e32 v22, 0
	ds_read_b64 v[20:21], v22 offset:12480
	ds_read_b32 v22, v22 offset:12740
	s_movk_i32 s10, 0x3000
	s_waitcnt lgkmcnt(0)
	v_mul_f32_e32 v20, v20, v22
	v_mul_f32_e32 v20, v21, v20
	v_add_u32_e64 v21, s10, 0
	ds_write2_b32 v21, v20, v20 offset0:49 offset1:112
.LBB108_932:
	s_or_b64 exec, exec, s[0:1]
	v_mov_b32_e32 v20, 0
	s_waitcnt lgkmcnt(0)
	s_barrier
	s_and_saveexec_b64 s[0:1], s[2:3]
	s_cbranch_execz .LBB108_936
; %bb.933:
	v_mul_u32_u24_e32 v20, 0x104, v5
	ds_read_b32 v22, v1 offset:12488
	ds_read_b32 v20, v20 offset:12480
	v_mov_b32_e32 v21, 0
	v_cmp_gt_u32_e64 s[10:11], 2, v4
	s_waitcnt lgkmcnt(0)
	v_fma_f32 v20, v22, v20, 0
	s_and_saveexec_b64 s[12:13], s[10:11]
	s_cbranch_execz .LBB108_935
; %bb.934:
	v_lshlrev_b32_e32 v22, 2, v0
	ds_read_b32 v22, v22 offset:12744
	ds_read_b32 v21, v21 offset:12484
	s_waitcnt lgkmcnt(0)
	v_fmac_f32_e32 v20, v22, v21
.LBB108_935:
	s_or_b64 exec, exec, s[12:13]
	v_xor_b32_e32 v20, 0x80000000, v20
.LBB108_936:
	s_or_b64 exec, exec, s[0:1]
	s_and_saveexec_b64 s[0:1], s[40:41]
	s_cbranch_execz .LBB108_938
; %bb.937:
	v_mov_b32_e32 v21, 0
	ds_read_b32 v21, v21 offset:13000
	s_waitcnt lgkmcnt(0)
	v_mul_f32_e32 v20, v20, v21
	ds_write_b32 v3, v20
.LBB108_938:
	s_or_b64 exec, exec, s[0:1]
	s_waitcnt lgkmcnt(0)
	s_barrier
	s_and_saveexec_b64 s[0:1], s[38:39]
	s_cbranch_execz .LBB108_940
; %bb.939:
	v_mov_b32_e32 v21, 0
	ds_read_b32 v21, v21 offset:13004
	ds_read_b32 v22, v3
	s_waitcnt lgkmcnt(0)
	v_fmac_f32_e32 v20, v21, v22
.LBB108_940:
	s_or_b64 exec, exec, s[0:1]
	s_barrier
	s_and_saveexec_b64 s[0:1], s[38:39]
	s_cbranch_execz .LBB108_942
; %bb.941:
	v_mov_b32_e32 v21, 0
	ds_read_b32 v21, v21 offset:13260
	s_waitcnt lgkmcnt(0)
	v_mul_f32_e32 v20, v20, v21
	ds_write_b32 v3, v20
.LBB108_942:
	s_or_b64 exec, exec, s[0:1]
	s_waitcnt lgkmcnt(0)
	s_barrier
	s_barrier
	s_and_saveexec_b64 s[0:1], s[2:3]
; %bb.943:
	v_xor_b32_e32 v20, 0x80000000, v20
	ds_write_b32 v1, v20 offset:12488
; %bb.944:
	s_or_b64 exec, exec, s[0:1]
	s_waitcnt lgkmcnt(0)
	s_barrier
	s_barrier
	s_and_saveexec_b64 s[0:1], s[42:43]
	s_cbranch_execz .LBB108_946
; %bb.945:
	v_lshlrev_b32_e32 v20, 2, v0
	s_movk_i32 s10, 0xfc
	v_mad_u32_u24 v21, v0, s10, v20
	ds_read_b32 v22, v21 offset:12488
	s_waitcnt lgkmcnt(0)
	ds_write_b32 v20, v22 offset:12992
	ds_read_b32 v21, v21 offset:12492
	s_waitcnt lgkmcnt(0)
	ds_write_b32 v20, v21 offset:13248
.LBB108_946:
	s_or_b64 exec, exec, s[0:1]
	s_waitcnt lgkmcnt(0)
	s_barrier
	s_and_saveexec_b64 s[0:1], vcc
	s_cbranch_execz .LBB108_948
; %bb.947:
	v_mov_b32_e32 v22, 0
	ds_read_b64 v[20:21], v22 offset:13000
	ds_read_b32 v22, v22 offset:13260
	s_movk_i32 s10, 0x3000
	s_waitcnt lgkmcnt(0)
	v_mul_f32_e32 v20, v20, v22
	v_mul_f32_e32 v20, v21, v20
	v_add_u32_e64 v21, s10, 0
	ds_write2_b32 v21, v20, v20 offset0:179 offset1:242
.LBB108_948:
	s_or_b64 exec, exec, s[0:1]
	v_mov_b32_e32 v20, 0
	s_waitcnt lgkmcnt(0)
	s_barrier
	s_and_saveexec_b64 s[0:1], s[18:19]
	s_cbranch_execz .LBB108_954
; %bb.949:
	v_mul_u32_u24_e32 v21, 0x104, v14
	ds_read_b32 v20, v6 offset:12496
	ds_read_b32 v22, v21 offset:12480
	v_cmp_gt_u32_e64 s[10:11], 12, v4
	s_waitcnt lgkmcnt(0)
	v_fma_f32 v20, v20, v22, 0
	s_and_saveexec_b64 s[12:13], s[10:11]
	s_cbranch_execnz .LBB108_1245
; %bb.950:
	s_or_b64 exec, exec, s[12:13]
	v_cmp_gt_u32_e64 s[10:11], 8, v4
	s_and_saveexec_b64 s[12:13], s[10:11]
	s_cbranch_execnz .LBB108_1246
.LBB108_951:
	s_or_b64 exec, exec, s[12:13]
	v_cmp_gt_u32_e64 s[10:11], 4, v4
	s_and_saveexec_b64 s[12:13], s[10:11]
	s_cbranch_execz .LBB108_953
.LBB108_952:
	v_lshlrev_b32_e32 v21, 2, v0
	v_mov_b32_e32 v22, 0
	ds_read_b32 v21, v21 offset:13264
	ds_read_b32 v22, v22 offset:12492
	s_waitcnt lgkmcnt(0)
	v_fmac_f32_e32 v20, v21, v22
.LBB108_953:
	s_or_b64 exec, exec, s[12:13]
	v_xor_b32_e32 v20, 0x80000000, v20
.LBB108_954:
	s_or_b64 exec, exec, s[0:1]
	s_and_saveexec_b64 s[0:1], s[46:47]
	s_cbranch_execz .LBB108_956
; %bb.955:
	v_mov_b32_e32 v21, 0
	ds_read_b32 v21, v21 offset:13520
	s_waitcnt lgkmcnt(0)
	v_mul_f32_e32 v20, v20, v21
	ds_write_b32 v12, v20
.LBB108_956:
	s_or_b64 exec, exec, s[0:1]
	s_waitcnt lgkmcnt(0)
	s_barrier
	s_and_saveexec_b64 s[0:1], s[48:49]
	s_cbranch_execz .LBB108_958
; %bb.957:
	ds_read_b32 v21, v11 offset:13520
	ds_read_b32 v22, v12
	s_waitcnt lgkmcnt(0)
	v_fmac_f32_e32 v20, v21, v22
.LBB108_958:
	s_or_b64 exec, exec, s[0:1]
	s_barrier
	s_and_saveexec_b64 s[0:1], s[50:51]
	s_cbranch_execz .LBB108_960
; %bb.959:
	v_mov_b32_e32 v21, 0
	ds_read_b32 v21, v21 offset:13780
	s_waitcnt lgkmcnt(0)
	v_mul_f32_e32 v20, v20, v21
	ds_write_b32 v12, v20
.LBB108_960:
	s_or_b64 exec, exec, s[0:1]
	s_waitcnt lgkmcnt(0)
	s_barrier
	s_and_saveexec_b64 s[0:1], s[52:53]
	s_cbranch_execz .LBB108_962
; %bb.961:
	ds_read_b32 v21, v11 offset:13776
	ds_read_b32 v22, v12
	s_waitcnt lgkmcnt(0)
	v_fmac_f32_e32 v20, v21, v22
.LBB108_962:
	s_or_b64 exec, exec, s[0:1]
	s_barrier
	s_and_saveexec_b64 s[0:1], s[54:55]
	s_cbranch_execz .LBB108_964
; %bb.963:
	v_mov_b32_e32 v21, 0
	ds_read_b32 v21, v21 offset:14040
	s_waitcnt lgkmcnt(0)
	v_mul_f32_e32 v20, v20, v21
	ds_write_b32 v12, v20
.LBB108_964:
	s_or_b64 exec, exec, s[0:1]
	s_waitcnt lgkmcnt(0)
	s_barrier
	s_and_saveexec_b64 s[0:1], s[44:45]
	s_cbranch_execz .LBB108_966
; %bb.965:
	v_mov_b32_e32 v21, 0
	ds_read_b32 v21, v21 offset:14044
	ds_read_b32 v22, v12
	s_waitcnt lgkmcnt(0)
	v_fmac_f32_e32 v20, v21, v22
.LBB108_966:
	s_or_b64 exec, exec, s[0:1]
	s_barrier
	s_and_saveexec_b64 s[0:1], s[44:45]
	s_cbranch_execz .LBB108_968
; %bb.967:
	v_mov_b32_e32 v21, 0
	ds_read_b32 v21, v21 offset:14300
	s_waitcnt lgkmcnt(0)
	v_mul_f32_e32 v20, v20, v21
	ds_write_b32 v12, v20
.LBB108_968:
	s_or_b64 exec, exec, s[0:1]
	s_waitcnt lgkmcnt(0)
	s_barrier
	s_barrier
	s_and_saveexec_b64 s[0:1], s[18:19]
; %bb.969:
	v_xor_b32_e32 v20, 0x80000000, v20
	ds_write_b32 v6, v20 offset:12496
; %bb.970:
	s_or_b64 exec, exec, s[0:1]
	s_waitcnt lgkmcnt(0)
	s_barrier
	s_barrier
	s_and_saveexec_b64 s[0:1], s[56:57]
	s_cbranch_execz .LBB108_972
; %bb.971:
	v_lshlrev_b32_e32 v20, 8, v0
	ds_read_b32 v21, v20 offset:12496
	s_movk_i32 s10, 0xff04
	v_mad_i32_i24 v22, v0, s10, v20
	s_waitcnt lgkmcnt(0)
	ds_write_b32 v22, v21 offset:13504
	ds_read_b32 v21, v20 offset:12500
	s_waitcnt lgkmcnt(0)
	ds_write_b32 v22, v21 offset:13760
	ds_read_b32 v21, v20 offset:12504
	;; [unrolled: 3-line block ×3, first 2 shown]
	s_waitcnt lgkmcnt(0)
	ds_write_b32 v22, v20 offset:14272
.LBB108_972:
	s_or_b64 exec, exec, s[0:1]
	s_waitcnt lgkmcnt(0)
	s_barrier
	s_and_saveexec_b64 s[0:1], vcc
	s_cbranch_execz .LBB108_974
; %bb.973:
	v_mov_b32_e32 v22, 0
	ds_read_b64 v[20:21], v22 offset:13520
	ds_read_b32 v22, v22 offset:13780
	s_movk_i32 s10, 0x3400
	s_waitcnt lgkmcnt(0)
	v_mul_f32_e32 v20, v20, v22
	v_mul_f32_e32 v20, v21, v20
	v_add_u32_e64 v21, s10, 0
	ds_write2_b32 v21, v20, v20 offset0:53 offset1:116
.LBB108_974:
	s_or_b64 exec, exec, s[0:1]
	v_mov_b32_e32 v20, 0
	s_waitcnt lgkmcnt(0)
	s_barrier
	s_and_saveexec_b64 s[0:1], s[2:3]
	s_cbranch_execz .LBB108_978
; %bb.975:
	v_mul_u32_u24_e32 v20, 0x104, v5
	ds_read_b32 v22, v1 offset:13528
	ds_read_b32 v20, v20 offset:13520
	v_mov_b32_e32 v21, 0
	v_cmp_gt_u32_e64 s[10:11], 2, v4
	s_waitcnt lgkmcnt(0)
	v_fma_f32 v20, v22, v20, 0
	s_and_saveexec_b64 s[12:13], s[10:11]
	s_cbranch_execz .LBB108_977
; %bb.976:
	v_lshlrev_b32_e32 v22, 2, v0
	ds_read_b32 v22, v22 offset:13784
	ds_read_b32 v21, v21 offset:13524
	s_waitcnt lgkmcnt(0)
	v_fmac_f32_e32 v20, v22, v21
.LBB108_977:
	s_or_b64 exec, exec, s[12:13]
	v_xor_b32_e32 v20, 0x80000000, v20
.LBB108_978:
	s_or_b64 exec, exec, s[0:1]
	s_and_saveexec_b64 s[0:1], s[40:41]
	s_cbranch_execz .LBB108_980
; %bb.979:
	v_mov_b32_e32 v21, 0
	ds_read_b32 v21, v21 offset:14040
	s_waitcnt lgkmcnt(0)
	v_mul_f32_e32 v20, v20, v21
	ds_write_b32 v3, v20
.LBB108_980:
	s_or_b64 exec, exec, s[0:1]
	s_waitcnt lgkmcnt(0)
	s_barrier
	s_and_saveexec_b64 s[0:1], s[38:39]
	s_cbranch_execz .LBB108_982
; %bb.981:
	v_mov_b32_e32 v21, 0
	ds_read_b32 v21, v21 offset:14044
	ds_read_b32 v22, v3
	s_waitcnt lgkmcnt(0)
	v_fmac_f32_e32 v20, v21, v22
.LBB108_982:
	s_or_b64 exec, exec, s[0:1]
	s_barrier
	s_and_saveexec_b64 s[0:1], s[38:39]
	s_cbranch_execz .LBB108_984
; %bb.983:
	v_mov_b32_e32 v21, 0
	ds_read_b32 v21, v21 offset:14300
	s_waitcnt lgkmcnt(0)
	v_mul_f32_e32 v20, v20, v21
	ds_write_b32 v3, v20
.LBB108_984:
	s_or_b64 exec, exec, s[0:1]
	s_waitcnt lgkmcnt(0)
	s_barrier
	s_barrier
	s_and_saveexec_b64 s[0:1], s[2:3]
; %bb.985:
	v_xor_b32_e32 v20, 0x80000000, v20
	ds_write_b32 v1, v20 offset:13528
; %bb.986:
	s_or_b64 exec, exec, s[0:1]
	s_waitcnt lgkmcnt(0)
	s_barrier
	s_barrier
	s_and_saveexec_b64 s[0:1], s[42:43]
	s_cbranch_execz .LBB108_988
; %bb.987:
	v_lshlrev_b32_e32 v20, 2, v0
	s_movk_i32 s10, 0xfc
	v_mad_u32_u24 v21, v0, s10, v20
	ds_read_b32 v22, v21 offset:13528
	s_waitcnt lgkmcnt(0)
	ds_write_b32 v20, v22 offset:14032
	ds_read_b32 v21, v21 offset:13532
	s_waitcnt lgkmcnt(0)
	ds_write_b32 v20, v21 offset:14288
.LBB108_988:
	s_or_b64 exec, exec, s[0:1]
	s_waitcnt lgkmcnt(0)
	s_barrier
	s_and_saveexec_b64 s[0:1], vcc
	s_cbranch_execz .LBB108_990
; %bb.989:
	v_mov_b32_e32 v22, 0
	ds_read_b64 v[20:21], v22 offset:14040
	ds_read_b32 v22, v22 offset:14300
	s_movk_i32 s10, 0x3400
	s_waitcnt lgkmcnt(0)
	v_mul_f32_e32 v20, v20, v22
	v_mul_f32_e32 v20, v21, v20
	v_add_u32_e64 v21, s10, 0
	ds_write2_b32 v21, v20, v20 offset0:183 offset1:246
.LBB108_990:
	s_or_b64 exec, exec, s[0:1]
	v_mov_b32_e32 v20, 0
	s_waitcnt lgkmcnt(0)
	s_barrier
	s_and_saveexec_b64 s[0:1], s[8:9]
	s_cbranch_execz .LBB108_1000
; %bb.991:
	v_mul_u32_u24_e32 v21, 0x104, v19
	ds_read_b32 v20, v15 offset:12512
	ds_read_b32 v22, v21 offset:12480
	v_cmp_gt_u32_e64 s[10:11], 56, v4
	s_waitcnt lgkmcnt(0)
	v_fma_f32 v20, v20, v22, 0
	s_and_saveexec_b64 s[12:13], s[10:11]
	s_cbranch_execnz .LBB108_1247
; %bb.992:
	s_or_b64 exec, exec, s[12:13]
	v_cmp_gt_u32_e64 s[10:11], 48, v4
	s_and_saveexec_b64 s[12:13], s[10:11]
	s_cbranch_execnz .LBB108_1248
.LBB108_993:
	s_or_b64 exec, exec, s[12:13]
	v_cmp_gt_u32_e64 s[10:11], 40, v4
	s_and_saveexec_b64 s[12:13], s[10:11]
	s_cbranch_execnz .LBB108_1249
.LBB108_994:
	s_or_b64 exec, exec, s[12:13]
	v_cmp_gt_u32_e64 s[10:11], 32, v4
	s_and_saveexec_b64 s[12:13], s[10:11]
	s_cbranch_execnz .LBB108_1250
.LBB108_995:
	s_or_b64 exec, exec, s[12:13]
	v_cmp_gt_u32_e64 s[10:11], 24, v4
	s_and_saveexec_b64 s[12:13], s[10:11]
	s_cbranch_execnz .LBB108_1251
.LBB108_996:
	s_or_b64 exec, exec, s[12:13]
	v_cmp_gt_u32_e64 s[10:11], 16, v4
	s_and_saveexec_b64 s[12:13], s[10:11]
	s_cbranch_execnz .LBB108_1252
.LBB108_997:
	s_or_b64 exec, exec, s[12:13]
	v_cmp_gt_u32_e64 s[10:11], 8, v4
	s_and_saveexec_b64 s[12:13], s[10:11]
	s_cbranch_execz .LBB108_999
.LBB108_998:
	v_lshlrev_b32_e32 v18, 2, v0
	v_mov_b32_e32 v19, 0
	ds_read_b32 v18, v18 offset:14304
	ds_read_b32 v19, v19 offset:12508
	s_waitcnt lgkmcnt(0)
	v_fmac_f32_e32 v20, v18, v19
.LBB108_999:
	s_or_b64 exec, exec, s[12:13]
	v_xor_b32_e32 v20, 0x80000000, v20
.LBB108_1000:
	s_or_b64 exec, exec, s[0:1]
	s_and_saveexec_b64 s[0:1], s[58:59]
	s_cbranch_execz .LBB108_1002
; %bb.1001:
	v_mov_b32_e32 v18, 0
	ds_read_b32 v18, v18 offset:14560
	s_waitcnt lgkmcnt(0)
	v_mul_f32_e32 v20, v20, v18
	ds_write_b32 v17, v20
.LBB108_1002:
	s_or_b64 exec, exec, s[0:1]
	s_waitcnt lgkmcnt(0)
	s_barrier
	s_and_saveexec_b64 s[0:1], s[60:61]
	v_readlane_b32 s58, v33, 2
	v_readlane_b32 s59, v33, 3
	s_cbranch_execz .LBB108_1004
; %bb.1003:
	ds_read_b32 v18, v16 offset:14560
	ds_read_b32 v19, v17
	s_waitcnt lgkmcnt(0)
	v_fmac_f32_e32 v20, v18, v19
.LBB108_1004:
	s_or_b64 exec, exec, s[0:1]
	s_barrier
	s_and_saveexec_b64 s[0:1], s[62:63]
	s_cbranch_execz .LBB108_1006
; %bb.1005:
	v_mov_b32_e32 v18, 0
	ds_read_b32 v18, v18 offset:14820
	s_waitcnt lgkmcnt(0)
	v_mul_f32_e32 v20, v20, v18
	ds_write_b32 v17, v20
.LBB108_1006:
	s_or_b64 exec, exec, s[0:1]
	s_waitcnt lgkmcnt(0)
	s_barrier
	s_and_saveexec_b64 s[0:1], s[64:65]
	s_cbranch_execz .LBB108_1008
; %bb.1007:
	ds_read_b32 v18, v16 offset:14816
	ds_read_b32 v19, v17
	s_waitcnt lgkmcnt(0)
	v_fmac_f32_e32 v20, v18, v19
.LBB108_1008:
	s_or_b64 exec, exec, s[0:1]
	s_barrier
	s_and_saveexec_b64 s[0:1], s[68:69]
	s_cbranch_execz .LBB108_1010
; %bb.1009:
	v_mov_b32_e32 v18, 0
	ds_read_b32 v18, v18 offset:15080
	s_waitcnt lgkmcnt(0)
	v_mul_f32_e32 v20, v20, v18
	ds_write_b32 v17, v20
.LBB108_1010:
	s_or_b64 exec, exec, s[0:1]
	s_waitcnt lgkmcnt(0)
	s_barrier
	s_and_saveexec_b64 s[0:1], s[70:71]
	;; [unrolled: 22-line block ×6, first 2 shown]
	s_cbranch_execz .LBB108_1028
; %bb.1027:
	v_mov_b32_e32 v16, 0
	ds_read_b32 v16, v16 offset:16124
	ds_read_b32 v18, v17
	s_waitcnt lgkmcnt(0)
	v_fmac_f32_e32 v20, v16, v18
.LBB108_1028:
	s_or_b64 exec, exec, s[0:1]
	s_barrier
	s_and_saveexec_b64 s[0:1], s[66:67]
	s_cbranch_execz .LBB108_1030
; %bb.1029:
	v_mov_b32_e32 v16, 0
	ds_read_b32 v16, v16 offset:16380
	s_waitcnt lgkmcnt(0)
	v_mul_f32_e32 v20, v20, v16
	ds_write_b32 v17, v20
.LBB108_1030:
	s_or_b64 exec, exec, s[0:1]
	s_waitcnt lgkmcnt(0)
	s_barrier
	s_barrier
	s_and_saveexec_b64 s[0:1], s[8:9]
; %bb.1031:
	v_xor_b32_e32 v16, 0x80000000, v20
	ds_write_b32 v15, v16 offset:12512
; %bb.1032:
	s_or_b64 exec, exec, s[0:1]
	s_waitcnt lgkmcnt(0)
	s_barrier
	s_barrier
	s_and_saveexec_b64 s[0:1], s[86:87]
	s_cbranch_execz .LBB108_1034
; %bb.1033:
	v_lshlrev_b32_e32 v15, 8, v0
	ds_read_b32 v16, v15 offset:12512
	s_movk_i32 s8, 0xff04
	v_mad_i32_i24 v17, v0, s8, v15
	s_waitcnt lgkmcnt(0)
	ds_write_b32 v17, v16 offset:14528
	ds_read_b32 v16, v15 offset:12516
	s_waitcnt lgkmcnt(0)
	ds_write_b32 v17, v16 offset:14784
	ds_read_b32 v16, v15 offset:12520
	s_waitcnt lgkmcnt(0)
	ds_write_b32 v17, v16 offset:15040
	ds_read_b32 v16, v15 offset:12524
	s_waitcnt lgkmcnt(0)
	ds_write_b32 v17, v16 offset:15296
	ds_read_b32 v16, v15 offset:12528
	s_waitcnt lgkmcnt(0)
	ds_write_b32 v17, v16 offset:15552
	ds_read_b32 v16, v15 offset:12532
	s_waitcnt lgkmcnt(0)
	ds_write_b32 v17, v16 offset:15808
	ds_read_b32 v16, v15 offset:12536
	s_waitcnt lgkmcnt(0)
	ds_write_b32 v17, v16 offset:16064
	ds_read_b32 v15, v15 offset:12540
	s_waitcnt lgkmcnt(0)
	ds_write_b32 v17, v15 offset:16320
.LBB108_1034:
	s_or_b64 exec, exec, s[0:1]
	s_waitcnt lgkmcnt(0)
	s_barrier
	s_and_saveexec_b64 s[0:1], vcc
	s_cbranch_execz .LBB108_1036
; %bb.1035:
	v_mov_b32_e32 v17, 0
	ds_read_b64 v[15:16], v17 offset:14560
	ds_read_b32 v17, v17 offset:14820
	s_movk_i32 s8, 0x3800
	s_waitcnt lgkmcnt(0)
	v_mul_f32_e32 v15, v15, v17
	v_mul_f32_e32 v15, v16, v15
	v_add_u32_e64 v16, s8, 0
	ds_write2_b32 v16, v15, v15 offset0:57 offset1:120
.LBB108_1036:
	s_or_b64 exec, exec, s[0:1]
	v_mov_b32_e32 v15, 0
	s_waitcnt lgkmcnt(0)
	s_barrier
	s_and_saveexec_b64 s[0:1], s[2:3]
	s_cbranch_execz .LBB108_1040
; %bb.1037:
	v_mul_u32_u24_e32 v15, 0x104, v5
	ds_read_b32 v17, v1 offset:14568
	ds_read_b32 v15, v15 offset:14560
	v_mov_b32_e32 v16, 0
	v_cmp_gt_u32_e64 s[8:9], 2, v4
	s_waitcnt lgkmcnt(0)
	v_fma_f32 v15, v17, v15, 0
	s_and_saveexec_b64 s[10:11], s[8:9]
	s_cbranch_execz .LBB108_1039
; %bb.1038:
	v_lshlrev_b32_e32 v17, 2, v0
	ds_read_b32 v17, v17 offset:14824
	ds_read_b32 v16, v16 offset:14564
	s_waitcnt lgkmcnt(0)
	v_fmac_f32_e32 v15, v17, v16
.LBB108_1039:
	s_or_b64 exec, exec, s[10:11]
	v_xor_b32_e32 v15, 0x80000000, v15
.LBB108_1040:
	s_or_b64 exec, exec, s[0:1]
	s_and_saveexec_b64 s[0:1], s[40:41]
	s_cbranch_execz .LBB108_1042
; %bb.1041:
	v_mov_b32_e32 v16, 0
	ds_read_b32 v16, v16 offset:15080
	s_waitcnt lgkmcnt(0)
	v_mul_f32_e32 v15, v15, v16
	ds_write_b32 v3, v15
.LBB108_1042:
	s_or_b64 exec, exec, s[0:1]
	s_waitcnt lgkmcnt(0)
	s_barrier
	s_and_saveexec_b64 s[0:1], s[38:39]
	s_cbranch_execz .LBB108_1044
; %bb.1043:
	v_mov_b32_e32 v16, 0
	ds_read_b32 v16, v16 offset:15084
	ds_read_b32 v17, v3
	s_waitcnt lgkmcnt(0)
	v_fmac_f32_e32 v15, v16, v17
.LBB108_1044:
	s_or_b64 exec, exec, s[0:1]
	s_barrier
	s_and_saveexec_b64 s[0:1], s[38:39]
	s_cbranch_execz .LBB108_1046
; %bb.1045:
	v_mov_b32_e32 v16, 0
	ds_read_b32 v16, v16 offset:15340
	s_waitcnt lgkmcnt(0)
	v_mul_f32_e32 v15, v15, v16
	ds_write_b32 v3, v15
.LBB108_1046:
	s_or_b64 exec, exec, s[0:1]
	s_waitcnt lgkmcnt(0)
	s_barrier
	s_barrier
	s_and_saveexec_b64 s[0:1], s[2:3]
; %bb.1047:
	v_xor_b32_e32 v15, 0x80000000, v15
	ds_write_b32 v1, v15 offset:14568
; %bb.1048:
	s_or_b64 exec, exec, s[0:1]
	s_waitcnt lgkmcnt(0)
	s_barrier
	s_barrier
	s_and_saveexec_b64 s[0:1], s[42:43]
	s_cbranch_execz .LBB108_1050
; %bb.1049:
	v_lshlrev_b32_e32 v15, 2, v0
	s_movk_i32 s8, 0xfc
	v_mad_u32_u24 v16, v0, s8, v15
	ds_read_b32 v17, v16 offset:14568
	s_waitcnt lgkmcnt(0)
	ds_write_b32 v15, v17 offset:15072
	ds_read_b32 v16, v16 offset:14572
	s_waitcnt lgkmcnt(0)
	ds_write_b32 v15, v16 offset:15328
.LBB108_1050:
	s_or_b64 exec, exec, s[0:1]
	s_waitcnt lgkmcnt(0)
	s_barrier
	s_and_saveexec_b64 s[0:1], vcc
	s_cbranch_execz .LBB108_1052
; %bb.1051:
	v_mov_b32_e32 v17, 0
	ds_read_b64 v[15:16], v17 offset:15080
	ds_read_b32 v17, v17 offset:15340
	s_movk_i32 s8, 0x3800
	s_waitcnt lgkmcnt(0)
	v_mul_f32_e32 v15, v15, v17
	v_mul_f32_e32 v15, v16, v15
	v_add_u32_e64 v16, s8, 0
	ds_write2_b32 v16, v15, v15 offset0:187 offset1:250
.LBB108_1052:
	s_or_b64 exec, exec, s[0:1]
	v_mov_b32_e32 v15, 0
	s_waitcnt lgkmcnt(0)
	s_barrier
	s_and_saveexec_b64 s[0:1], s[18:19]
	s_cbranch_execz .LBB108_1058
; %bb.1053:
	v_mul_u32_u24_e32 v16, 0x104, v14
	ds_read_b32 v15, v6 offset:14576
	ds_read_b32 v17, v16 offset:14560
	v_cmp_gt_u32_e64 s[8:9], 12, v4
	s_waitcnt lgkmcnt(0)
	v_fma_f32 v15, v15, v17, 0
	s_and_saveexec_b64 s[10:11], s[8:9]
	s_cbranch_execnz .LBB108_1253
; %bb.1054:
	s_or_b64 exec, exec, s[10:11]
	v_cmp_gt_u32_e64 s[8:9], 8, v4
	s_and_saveexec_b64 s[10:11], s[8:9]
	s_cbranch_execnz .LBB108_1254
.LBB108_1055:
	s_or_b64 exec, exec, s[10:11]
	v_cmp_gt_u32_e64 s[8:9], 4, v4
	s_and_saveexec_b64 s[10:11], s[8:9]
	s_cbranch_execz .LBB108_1057
.LBB108_1056:
	v_lshlrev_b32_e32 v13, 2, v0
	v_mov_b32_e32 v14, 0
	ds_read_b32 v13, v13 offset:15344
	ds_read_b32 v14, v14 offset:14572
	s_waitcnt lgkmcnt(0)
	v_fmac_f32_e32 v15, v13, v14
.LBB108_1057:
	s_or_b64 exec, exec, s[10:11]
	v_xor_b32_e32 v15, 0x80000000, v15
.LBB108_1058:
	s_or_b64 exec, exec, s[0:1]
	s_and_saveexec_b64 s[0:1], s[46:47]
	s_cbranch_execz .LBB108_1060
; %bb.1059:
	v_mov_b32_e32 v13, 0
	ds_read_b32 v13, v13 offset:15600
	s_waitcnt lgkmcnt(0)
	v_mul_f32_e32 v15, v15, v13
	ds_write_b32 v12, v15
.LBB108_1060:
	s_or_b64 exec, exec, s[0:1]
	s_waitcnt lgkmcnt(0)
	s_barrier
	s_and_saveexec_b64 s[0:1], s[48:49]
	v_readlane_b32 s46, v33, 1
	s_cbranch_execz .LBB108_1062
; %bb.1061:
	ds_read_b32 v13, v11 offset:15600
	ds_read_b32 v14, v12
	s_waitcnt lgkmcnt(0)
	v_fmac_f32_e32 v15, v13, v14
.LBB108_1062:
	s_or_b64 exec, exec, s[0:1]
	s_barrier
	s_and_saveexec_b64 s[0:1], s[50:51]
	s_cbranch_execz .LBB108_1064
; %bb.1063:
	v_mov_b32_e32 v13, 0
	ds_read_b32 v13, v13 offset:15860
	s_waitcnt lgkmcnt(0)
	v_mul_f32_e32 v15, v15, v13
	ds_write_b32 v12, v15
.LBB108_1064:
	s_or_b64 exec, exec, s[0:1]
	s_waitcnt lgkmcnt(0)
	s_barrier
	s_and_saveexec_b64 s[0:1], s[52:53]
	s_cbranch_execz .LBB108_1066
; %bb.1065:
	ds_read_b32 v11, v11 offset:15856
	ds_read_b32 v13, v12
	s_waitcnt lgkmcnt(0)
	v_fmac_f32_e32 v15, v11, v13
.LBB108_1066:
	s_or_b64 exec, exec, s[0:1]
	s_barrier
	s_and_saveexec_b64 s[0:1], s[54:55]
	s_cbranch_execz .LBB108_1068
; %bb.1067:
	v_mov_b32_e32 v11, 0
	ds_read_b32 v11, v11 offset:16120
	s_waitcnt lgkmcnt(0)
	v_mul_f32_e32 v15, v15, v11
	ds_write_b32 v12, v15
.LBB108_1068:
	s_or_b64 exec, exec, s[0:1]
	s_waitcnt lgkmcnt(0)
	s_barrier
	s_and_saveexec_b64 s[0:1], s[44:45]
	s_cbranch_execz .LBB108_1070
; %bb.1069:
	v_mov_b32_e32 v11, 0
	ds_read_b32 v11, v11 offset:16124
	ds_read_b32 v13, v12
	s_waitcnt lgkmcnt(0)
	v_fmac_f32_e32 v15, v11, v13
.LBB108_1070:
	s_or_b64 exec, exec, s[0:1]
	s_barrier
	s_and_saveexec_b64 s[0:1], s[44:45]
	s_cbranch_execz .LBB108_1072
; %bb.1071:
	v_mov_b32_e32 v11, 0
	ds_read_b32 v11, v11 offset:16380
	s_waitcnt lgkmcnt(0)
	v_mul_f32_e32 v15, v15, v11
	ds_write_b32 v12, v15
.LBB108_1072:
	s_or_b64 exec, exec, s[0:1]
	s_waitcnt lgkmcnt(0)
	s_barrier
	s_barrier
	s_and_saveexec_b64 s[0:1], s[18:19]
; %bb.1073:
	v_xor_b32_e32 v11, 0x80000000, v15
	ds_write_b32 v6, v11 offset:14576
; %bb.1074:
	s_or_b64 exec, exec, s[0:1]
	s_waitcnt lgkmcnt(0)
	s_barrier
	s_barrier
	s_and_saveexec_b64 s[0:1], s[56:57]
	s_cbranch_execz .LBB108_1076
; %bb.1075:
	v_lshlrev_b32_e32 v6, 8, v0
	ds_read_b32 v11, v6 offset:14576
	s_movk_i32 s8, 0xff04
	v_mad_i32_i24 v12, v0, s8, v6
	s_waitcnt lgkmcnt(0)
	ds_write_b32 v12, v11 offset:15584
	ds_read_b32 v11, v6 offset:14580
	s_waitcnt lgkmcnt(0)
	ds_write_b32 v12, v11 offset:15840
	ds_read_b32 v11, v6 offset:14584
	;; [unrolled: 3-line block ×3, first 2 shown]
	s_waitcnt lgkmcnt(0)
	ds_write_b32 v12, v6 offset:16352
.LBB108_1076:
	s_or_b64 exec, exec, s[0:1]
	s_waitcnt lgkmcnt(0)
	s_barrier
	s_and_saveexec_b64 s[0:1], vcc
	s_cbranch_execz .LBB108_1078
; %bb.1077:
	v_mov_b32_e32 v6, 0
	ds_read_b64 v[11:12], v6 offset:15600
	ds_read_b32 v6, v6 offset:15860
	s_movk_i32 s8, 0x3c00
	s_waitcnt lgkmcnt(0)
	v_mul_f32_e32 v6, v11, v6
	v_mul_f32_e32 v6, v12, v6
	v_add_u32_e64 v11, s8, 0
	ds_write2_b32 v11, v6, v6 offset0:61 offset1:124
.LBB108_1078:
	s_or_b64 exec, exec, s[0:1]
	v_mov_b32_e32 v6, 0
	s_waitcnt lgkmcnt(0)
	s_barrier
	s_and_saveexec_b64 s[0:1], s[2:3]
	s_cbranch_execz .LBB108_1082
; %bb.1079:
	v_mul_u32_u24_e32 v5, 0x104, v5
	ds_read_b32 v11, v1 offset:15608
	ds_read_b32 v5, v5 offset:15600
	v_mov_b32_e32 v6, 0
	v_cmp_gt_u32_e64 s[8:9], 2, v4
	s_waitcnt lgkmcnt(0)
	v_fma_f32 v5, v11, v5, 0
	s_and_saveexec_b64 s[10:11], s[8:9]
	s_cbranch_execz .LBB108_1081
; %bb.1080:
	v_lshlrev_b32_e32 v4, 2, v0
	ds_read_b32 v4, v4 offset:15864
	ds_read_b32 v6, v6 offset:15604
	s_waitcnt lgkmcnt(0)
	v_fmac_f32_e32 v5, v4, v6
.LBB108_1081:
	s_or_b64 exec, exec, s[10:11]
	v_xor_b32_e32 v6, 0x80000000, v5
.LBB108_1082:
	s_or_b64 exec, exec, s[0:1]
	s_and_saveexec_b64 s[0:1], s[40:41]
	s_cbranch_execz .LBB108_1084
; %bb.1083:
	v_mov_b32_e32 v4, 0
	ds_read_b32 v4, v4 offset:16120
	s_waitcnt lgkmcnt(0)
	v_mul_f32_e32 v6, v6, v4
	ds_write_b32 v3, v6
.LBB108_1084:
	s_or_b64 exec, exec, s[0:1]
	s_waitcnt lgkmcnt(0)
	s_barrier
	s_and_saveexec_b64 s[0:1], s[38:39]
	s_load_dword s41, s[4:5], 0x6c
	v_readlane_b32 s40, v33, 0
	s_cbranch_execz .LBB108_1086
; %bb.1085:
	v_mov_b32_e32 v4, 0
	ds_read_b32 v4, v4 offset:16124
	ds_read_b32 v5, v3
	s_waitcnt lgkmcnt(0)
	v_fmac_f32_e32 v6, v4, v5
.LBB108_1086:
	s_or_b64 exec, exec, s[0:1]
	s_waitcnt lgkmcnt(0)
	s_barrier
	s_and_saveexec_b64 s[0:1], s[38:39]
	s_cbranch_execz .LBB108_1088
; %bb.1087:
	v_mov_b32_e32 v4, 0
	ds_read_b32 v4, v4 offset:16380
	s_waitcnt lgkmcnt(0)
	v_mul_f32_e32 v6, v6, v4
	ds_write_b32 v3, v6
.LBB108_1088:
	s_or_b64 exec, exec, s[0:1]
	s_waitcnt lgkmcnt(0)
	s_barrier
	s_barrier
	s_and_saveexec_b64 s[0:1], s[2:3]
; %bb.1089:
	v_xor_b32_e32 v3, 0x80000000, v6
	ds_write_b32 v1, v3 offset:15608
; %bb.1090:
	s_or_b64 exec, exec, s[0:1]
	s_waitcnt lgkmcnt(0)
	s_barrier
	s_barrier
	s_and_saveexec_b64 s[0:1], s[42:43]
	s_cbranch_execz .LBB108_1092
; %bb.1091:
	v_lshlrev_b32_e32 v1, 2, v0
	s_movk_i32 s2, 0xfc
	v_mad_u32_u24 v3, v0, s2, v1
	ds_read_b32 v4, v3 offset:15608
	s_waitcnt lgkmcnt(0)
	ds_write_b32 v1, v4 offset:16112
	ds_read_b32 v3, v3 offset:15612
	s_waitcnt lgkmcnt(0)
	ds_write_b32 v1, v3 offset:16368
.LBB108_1092:
	s_or_b64 exec, exec, s[0:1]
	s_waitcnt lgkmcnt(0)
	s_barrier
	s_and_saveexec_b64 s[0:1], vcc
	s_cbranch_execz .LBB108_1094
; %bb.1093:
	v_mov_b32_e32 v1, 0
	ds_read_b64 v[3:4], v1 offset:16120
	ds_read_b32 v1, v1 offset:16380
	s_movk_i32 s2, 0x3c00
	s_waitcnt lgkmcnt(0)
	v_mul_f32_e32 v1, v3, v1
	v_mul_f32_e32 v1, v4, v1
	v_add_u32_e64 v3, s2, 0
	ds_write2_b32 v3, v1, v1 offset0:191 offset1:254
.LBB108_1094:
	s_or_b64 exec, exec, s[0:1]
.LBB108_1095:
	s_lshl_b64 s[0:1], s[24:25], 2
	s_add_u32 s20, s36, s0
	v_cmp_le_i32_e32 vcc, s90, v0
	s_addc_u32 s21, s37, s1
	s_and_b64 s[14:15], vcc, s[22:23]
	v_cmp_eq_u32_e64 s[2:3], 0, v2
	s_xor_b64 s[0:1], s[14:15], -1
	s_and_b64 s[8:9], s[2:3], s[0:1]
	v_mov_b32_e32 v11, 0
	v_add_u32_e32 v3, s33, v0
	s_waitcnt lgkmcnt(0)
	s_barrier
	s_and_saveexec_b64 s[0:1], s[8:9]
	s_cbranch_execz .LBB108_1097
; %bb.1096:
	v_ashrrev_i32_e32 v1, 31, v3
	v_mul_lo_u32 v6, s27, v3
	v_mad_u64_u32 v[4:5], s[8:9], s26, v3, 0
	v_mul_lo_u32 v1, s26, v1
	v_add3_u32 v5, v5, v1, v6
	v_lshlrev_b64 v[4:5], 2, v[4:5]
	v_mov_b32_e32 v1, s21
	v_add_co_u32_e32 v4, vcc, s20, v4
	v_addc_co_u32_e32 v5, vcc, v1, v5, vcc
	flat_load_dword v1, v[4:5]
	s_waitcnt vmcnt(0) lgkmcnt(0)
	v_mul_f32_e64 v11, v1, -s46
.LBB108_1097:
	s_or_b64 exec, exec, s[0:1]
	s_load_dwordx2 s[0:1], s[4:5], 0x50
	s_and_b32 s4, 0xffff, s41
	v_mad_u32_u24 v1, v2, s4, v0
	s_cmp_lt_i32 s6, 1
	v_cmp_eq_u32_e64 s[4:5], 0, v1
	s_cbranch_scc1 .LBB108_1123
; %bb.1098:
	v_ashrrev_i32_e32 v6, 31, v3
	v_mul_lo_u32 v12, s35, v3
	v_mad_u64_u32 v[4:5], s[8:9], s34, v3, 0
	v_mul_lo_u32 v6, s34, v6
	s_lshl_b64 s[8:9], s[28:29], 2
	s_waitcnt lgkmcnt(0)
	s_add_u32 s16, s0, s8
	s_addc_u32 s17, s1, s9
	v_add3_u32 v5, v5, v6, v12
	v_cmp_gt_i32_e64 s[8:9], s30, v3
	v_lshlrev_b64 v[3:4], 2, v[4:5]
	v_mov_b32_e32 v6, 0x5000
	v_mov_b32_e32 v5, s92
	v_add_co_u32_e32 v14, vcc, s91, v3
	s_mov_b32 s24, 0
	v_cmp_gt_u32_e64 s[12:13], 64, v1
	v_lshl_add_u32 v12, v1, 2, v6
	v_lshl_or_b32 v13, v2, 2, v6
	s_add_i32 s93, s93, 1
	v_addc_co_u32_e32 v15, vcc, v5, v4, vcc
	v_mov_b32_e32 v17, -1
	v_mov_b32_e32 v16, 0
	s_branch .LBB108_1101
.LBB108_1099:                           ;   in Loop: Header=BB108_1101 Depth=1
	ds_read_b32 v3, v13 offset:192
	s_waitcnt vmcnt(0) lgkmcnt(0)
	v_fmac_f32_e32 v11, v5, v3
.LBB108_1100:                           ;   in Loop: Header=BB108_1101 Depth=1
	s_or_b64 exec, exec, s[18:19]
	s_add_i32 s24, s24, 1
	s_cmp_eq_u32 s24, s6
	s_cbranch_scc1 .LBB108_1123
.LBB108_1101:                           ; =>This Loop Header: Depth=1
                                        ;     Child Loop BB108_1103 Depth 2
	v_cmp_gt_i32_e32 vcc, s24, v17
	s_and_b64 s[18:19], s[4:5], vcc
	s_and_saveexec_b64 s[10:11], s[18:19]
	s_cbranch_execz .LBB108_1104
; %bb.1102:                             ;   in Loop: Header=BB108_1101 Depth=1
	global_load_dword v17, v16, s[16:17]
	s_waitcnt vmcnt(0)
	v_cmp_le_i32_e32 vcc, s24, v17
	s_cbranch_vccnz .LBB108_1104
.LBB108_1103:                           ;   Parent Loop BB108_1101 Depth=1
                                        ; =>  This Inner Loop Header: Depth=2
	buffer_wbinvl1_vol
	global_load_dword v17, v16, s[16:17]
	s_waitcnt vmcnt(0)
	v_cmp_gt_i32_e32 vcc, s24, v17
	s_cbranch_vccnz .LBB108_1103
.LBB108_1104:                           ;   in Loop: Header=BB108_1101 Depth=1
	s_or_b64 exec, exec, s[10:11]
	s_sub_i32 s25, s7, s24
	s_lshl_b32 s34, s25, 6
	buffer_wbinvl1_vol
	s_barrier
	s_and_saveexec_b64 s[10:11], s[12:13]
	s_cbranch_execz .LBB108_1108
; %bb.1105:                             ;   in Loop: Header=BB108_1101 Depth=1
	s_ashr_i32 s18, s34, 31
	v_mov_b32_e32 v4, s18
	v_or_b32_e32 v3, s34, v1
	v_cmp_gt_i64_e32 vcc, s[30:31], v[3:4]
	v_mov_b32_e32 v5, 0
	s_and_saveexec_b64 s[18:19], vcc
	s_cbranch_execz .LBB108_1107
; %bb.1106:                             ;   in Loop: Header=BB108_1101 Depth=1
	v_mul_lo_u32 v5, v4, s26
	v_mul_lo_u32 v6, v3, s27
	v_mad_u64_u32 v[3:4], s[36:37], v3, s26, 0
	v_add3_u32 v4, v4, v6, v5
	v_lshlrev_b64 v[3:4], 2, v[3:4]
	v_mov_b32_e32 v5, s21
	v_add_co_u32_e32 v3, vcc, s20, v3
	v_addc_co_u32_e32 v4, vcc, v5, v4, vcc
	flat_load_dword v5, v[3:4]
.LBB108_1107:                           ;   in Loop: Header=BB108_1101 Depth=1
	s_or_b64 exec, exec, s[18:19]
	s_waitcnt vmcnt(0) lgkmcnt(0)
	ds_write_b32 v12, v5
.LBB108_1108:                           ;   in Loop: Header=BB108_1101 Depth=1
	s_or_b64 exec, exec, s[10:11]
	v_add_u32_e32 v5, s34, v2
	v_ashrrev_i32_e32 v6, 31, v5
	v_lshlrev_b64 v[3:4], 2, v[5:6]
	s_cmp_lg_u32 s25, s93
	v_add_co_u32_e32 v3, vcc, v14, v3
	s_cselect_b64 s[10:11], -1, 0
	v_addc_co_u32_e32 v4, vcc, v15, v4, vcc
	v_cmp_gt_i32_e32 vcc, s30, v5
	v_cndmask_b32_e64 v6, 0, 1, s[10:11]
	s_and_b64 s[34:35], vcc, s[8:9]
	v_cmp_ne_u32_e64 s[10:11], 1, v6
	s_waitcnt lgkmcnt(0)
	s_barrier
	s_and_saveexec_b64 s[18:19], s[34:35]
	s_cbranch_execz .LBB108_1112
; %bb.1109:                             ;   in Loop: Header=BB108_1101 Depth=1
	s_and_b64 vcc, exec, s[10:11]
	v_mov_b32_e32 v6, v8
	s_cbranch_vccnz .LBB108_1111
; %bb.1110:                             ;   in Loop: Header=BB108_1101 Depth=1
	flat_load_dword v6, v[3:4]
.LBB108_1111:                           ;   in Loop: Header=BB108_1101 Depth=1
	ds_read_b32 v18, v13
	s_waitcnt vmcnt(0) lgkmcnt(0)
	v_fmac_f32_e32 v11, v6, v18
.LBB108_1112:                           ;   in Loop: Header=BB108_1101 Depth=1
	s_or_b64 exec, exec, s[18:19]
	v_add_u32_e32 v6, 16, v5
	v_cmp_gt_i32_e32 vcc, s30, v6
	s_and_b64 s[34:35], vcc, s[8:9]
	s_and_saveexec_b64 s[18:19], s[34:35]
	s_cbranch_execz .LBB108_1116
; %bb.1113:                             ;   in Loop: Header=BB108_1101 Depth=1
	s_and_b64 vcc, exec, s[10:11]
	v_mov_b32_e32 v6, v7
	s_cbranch_vccnz .LBB108_1115
; %bb.1114:                             ;   in Loop: Header=BB108_1101 Depth=1
	flat_load_dword v6, v[3:4] offset:64
.LBB108_1115:                           ;   in Loop: Header=BB108_1101 Depth=1
	ds_read_b32 v18, v13 offset:64
	s_waitcnt vmcnt(0) lgkmcnt(0)
	v_fmac_f32_e32 v11, v6, v18
.LBB108_1116:                           ;   in Loop: Header=BB108_1101 Depth=1
	s_or_b64 exec, exec, s[18:19]
	v_add_u32_e32 v6, 32, v5
	v_cmp_gt_i32_e32 vcc, s30, v6
	s_and_b64 s[34:35], vcc, s[8:9]
	s_and_saveexec_b64 s[18:19], s[34:35]
	s_cbranch_execz .LBB108_1120
; %bb.1117:                             ;   in Loop: Header=BB108_1101 Depth=1
	s_and_b64 vcc, exec, s[10:11]
	v_mov_b32_e32 v6, v10
	s_cbranch_vccnz .LBB108_1119
; %bb.1118:                             ;   in Loop: Header=BB108_1101 Depth=1
	flat_load_dword v6, v[3:4] offset:128
.LBB108_1119:                           ;   in Loop: Header=BB108_1101 Depth=1
	ds_read_b32 v18, v13 offset:128
	s_waitcnt vmcnt(0) lgkmcnt(0)
	v_fmac_f32_e32 v11, v6, v18
.LBB108_1120:                           ;   in Loop: Header=BB108_1101 Depth=1
	s_or_b64 exec, exec, s[18:19]
	v_add_u32_e32 v5, 48, v5
	v_cmp_gt_i32_e32 vcc, s30, v5
	s_and_b64 s[34:35], vcc, s[8:9]
	s_and_saveexec_b64 s[18:19], s[34:35]
	s_cbranch_execz .LBB108_1100
; %bb.1121:                             ;   in Loop: Header=BB108_1101 Depth=1
	s_and_b64 vcc, exec, s[10:11]
	v_mov_b32_e32 v5, v9
	s_cbranch_vccnz .LBB108_1099
; %bb.1122:                             ;   in Loop: Header=BB108_1101 Depth=1
	flat_load_dword v5, v[3:4] offset:192
	s_branch .LBB108_1099
.LBB108_1123:
	v_lshl_add_u32 v3, v2, 6, v0
	s_xor_b64 s[4:5], s[22:23], -1
	v_lshlrev_b32_e32 v3, 2, v3
	ds_write_b32 v3, v11 offset:16384
	s_waitcnt lgkmcnt(0)
	s_barrier
	s_and_saveexec_b64 s[6:7], s[2:3]
	s_cbranch_execz .LBB108_1125
; %bb.1124:
	v_lshlrev_b32_e32 v10, 2, v0
	ds_read2st64_b32 v[4:5], v10 offset0:65 offset1:66
	ds_read2st64_b32 v[6:7], v10 offset0:67 offset1:68
	;; [unrolled: 1-line block ×5, first 2 shown]
	s_waitcnt lgkmcnt(4)
	v_add_f32_e32 v4, v11, v4
	v_add_f32_e32 v4, v4, v5
	s_waitcnt lgkmcnt(3)
	v_add_f32_e32 v4, v4, v6
	v_add_f32_e32 v4, v4, v7
	;; [unrolled: 3-line block ×4, first 2 shown]
	ds_read2st64_b32 v[4:5], v10 offset0:75 offset1:76
	ds_read2st64_b32 v[6:7], v10 offset0:77 offset1:78
	ds_read_b32 v9, v10 offset:20224
	s_waitcnt lgkmcnt(3)
	v_add_f32_e32 v8, v8, v14
	v_add_f32_e32 v8, v8, v15
	s_waitcnt lgkmcnt(2)
	v_add_f32_e32 v4, v8, v4
	v_add_f32_e32 v4, v4, v5
	;; [unrolled: 3-line block ×3, first 2 shown]
	s_waitcnt lgkmcnt(0)
	v_add_f32_e32 v4, v4, v9
	v_cndmask_b32_e64 v11, -v4, 0, s[14:15]
.LBB108_1125:
	s_or_b64 exec, exec, s[6:7]
	s_and_b64 vcc, exec, s[58:59]
	s_cbranch_vccnz .LBB108_1138
; %bb.1126:
	v_mov_b32_e32 v4, 0x5000
	v_lshl_or_b32 v5, v2, 2, v4
	s_and_saveexec_b64 s[6:7], s[2:3]
; %bb.1127:
	v_lshl_add_u32 v4, v0, 2, v5
	ds_write_b32 v4, v11
; %bb.1128:
	s_or_b64 exec, exec, s[6:7]
	v_cmp_le_u32_e32 vcc, v0, v2
	v_mov_b32_e32 v4, 0
	s_waitcnt lgkmcnt(0)
	s_barrier
	s_and_saveexec_b64 s[6:7], vcc
	s_cbranch_execz .LBB108_1130
; %bb.1129:
	ds_read_b32 v4, v3
	ds_read_b32 v6, v5
	s_waitcnt lgkmcnt(0)
	v_fma_f32 v4, v4, v6, 0
.LBB108_1130:
	s_or_b64 exec, exec, s[6:7]
	v_add_u32_e32 v6, 16, v2
	v_cmp_le_u32_e32 vcc, v0, v6
	s_and_saveexec_b64 s[6:7], vcc
	s_cbranch_execz .LBB108_1132
; %bb.1131:
	ds_read_b32 v6, v3 offset:4096
	ds_read_b32 v7, v5 offset:64
	s_waitcnt lgkmcnt(0)
	v_fmac_f32_e32 v4, v6, v7
.LBB108_1132:
	s_or_b64 exec, exec, s[6:7]
	v_add_u32_e32 v6, 32, v2
	v_cmp_le_u32_e32 vcc, v0, v6
	s_and_saveexec_b64 s[6:7], vcc
	s_cbranch_execz .LBB108_1134
; %bb.1133:
	ds_read_b32 v6, v3 offset:8192
	ds_read_b32 v7, v5 offset:128
	s_waitcnt lgkmcnt(0)
	v_fmac_f32_e32 v4, v6, v7
.LBB108_1134:
	s_or_b64 exec, exec, s[6:7]
	v_add_u32_e32 v2, 48, v2
	v_add_u32_e32 v6, 0x4000, v3
	v_cmp_le_u32_e32 vcc, v0, v2
	s_and_saveexec_b64 s[6:7], vcc
	s_cbranch_execz .LBB108_1136
; %bb.1135:
	ds_read_b32 v2, v3 offset:12288
	ds_read_b32 v3, v5 offset:192
	s_waitcnt lgkmcnt(0)
	v_fmac_f32_e32 v4, v2, v3
.LBB108_1136:
	s_or_b64 exec, exec, s[6:7]
	s_mov_b64 s[8:9], 0
	s_mov_b64 s[6:7], 0
	ds_write_b32 v6, v4
	s_waitcnt lgkmcnt(0)
	s_barrier
                                        ; implicit-def: $vgpr2
	s_and_saveexec_b64 s[10:11], s[2:3]
	s_cbranch_execz .LBB108_1201
; %bb.1137:
	v_lshlrev_b32_e32 v12, 2, v0
	ds_read2st64_b32 v[2:3], v12 offset0:65 offset1:66
	ds_read2st64_b32 v[5:6], v12 offset0:67 offset1:68
	;; [unrolled: 1-line block ×4, first 2 shown]
	s_mov_b64 s[6:7], exec
	s_waitcnt lgkmcnt(3)
	v_add_f32_e32 v2, v4, v2
	v_add_f32_e32 v2, v3, v2
	s_waitcnt lgkmcnt(2)
	v_add_f32_e32 v2, v5, v2
	v_add_f32_e32 v2, v6, v2
	;; [unrolled: 3-line block ×3, first 2 shown]
	s_waitcnt lgkmcnt(0)
	v_add_f32_e32 v4, v9, v2
	ds_read2st64_b32 v[2:3], v12 offset0:73 offset1:74
	v_add_f32_e32 v8, v10, v4
	ds_read2st64_b32 v[4:5], v12 offset0:75 offset1:76
	ds_read2st64_b32 v[6:7], v12 offset0:77 offset1:78
	ds_read_b32 v9, v12 offset:20224
	s_waitcnt lgkmcnt(3)
	v_add_f32_e32 v2, v2, v8
	v_add_f32_e32 v2, v3, v2
	s_waitcnt lgkmcnt(2)
	v_add_f32_e32 v2, v4, v2
	v_add_f32_e32 v2, v5, v2
	;; [unrolled: 3-line block ×3, first 2 shown]
	s_waitcnt lgkmcnt(0)
	v_add_f32_e32 v2, v9, v2
	s_or_b64 exec, exec, s[10:11]
	s_and_b64 vcc, exec, s[8:9]
	s_cbranch_vccnz .LBB108_1139
	s_branch .LBB108_1202
.LBB108_1138:
	s_mov_b64 s[6:7], 0
                                        ; implicit-def: $vgpr2
	s_cbranch_execz .LBB108_1202
.LBB108_1139:
	s_movk_i32 s8, 0x104
	v_lshlrev_b32_e32 v3, 8, v0
	v_mov_b32_e32 v4, 0x3c00
	v_mul_u32_u24_e32 v2, 0x104, v0
	v_sub_u32_e32 v3, 0, v3
	v_mad_u32_u24 v4, v0, s8, v4
	s_mov_b32 s10, 63
	s_movk_i32 s11, 0xc100
	v_mov_b32_e32 v5, 0
	s_branch .LBB108_1141
.LBB108_1140:                           ;   in Loop: Header=BB108_1141 Depth=1
	s_or_b64 exec, exec, s[8:9]
	s_add_i32 s10, s10, -4
	s_cmp_lg_u32 s12, 0
	v_add_u32_e32 v3, 0xfffffc00, v3
	s_barrier
	s_cbranch_scc0 .LBB108_1157
.LBB108_1141:                           ; =>This Inner Loop Header: Depth=1
	v_cmp_eq_u32_e32 vcc, s11, v3
	s_and_b64 s[12:13], s[2:3], vcc
	s_and_saveexec_b64 s[8:9], s[12:13]
	s_cbranch_execz .LBB108_1143
; %bb.1142:                             ;   in Loop: Header=BB108_1141 Depth=1
	ds_read_b32 v6, v2
	s_waitcnt lgkmcnt(0)
	v_mul_f32_e32 v11, v11, v6
	ds_write_b32 v5, v11 offset:20736
.LBB108_1143:                           ;   in Loop: Header=BB108_1141 Depth=1
	s_or_b64 exec, exec, s[8:9]
	v_cmp_gt_u32_e32 vcc, s10, v0
	s_and_b64 s[12:13], s[2:3], vcc
	v_add_u32_e32 v6, v4, v3
	s_waitcnt lgkmcnt(0)
	s_barrier
	s_and_saveexec_b64 s[8:9], s[12:13]
	s_cbranch_execz .LBB108_1145
; %bb.1144:                             ;   in Loop: Header=BB108_1141 Depth=1
	ds_read_b32 v7, v6 offset:768
	ds_read_b32 v8, v5 offset:20736
	s_waitcnt lgkmcnt(0)
	v_fmac_f32_e32 v11, v7, v8
.LBB108_1145:                           ;   in Loop: Header=BB108_1141 Depth=1
	s_or_b64 exec, exec, s[8:9]
	s_add_i32 s12, s10, -1
	v_cmp_eq_u32_e32 vcc, s12, v0
	s_and_b64 s[14:15], s[2:3], vcc
	s_barrier
	s_and_saveexec_b64 s[8:9], s[14:15]
	s_cbranch_execz .LBB108_1147
; %bb.1146:                             ;   in Loop: Header=BB108_1141 Depth=1
	ds_read_b32 v7, v2
	s_waitcnt lgkmcnt(0)
	v_mul_f32_e32 v11, v11, v7
	ds_write_b32 v5, v11 offset:20736
.LBB108_1147:                           ;   in Loop: Header=BB108_1141 Depth=1
	s_or_b64 exec, exec, s[8:9]
	v_cmp_gt_u32_e32 vcc, s12, v0
	s_and_b64 s[12:13], s[2:3], vcc
	s_waitcnt lgkmcnt(0)
	s_barrier
	s_and_saveexec_b64 s[8:9], s[12:13]
	s_cbranch_execz .LBB108_1149
; %bb.1148:                             ;   in Loop: Header=BB108_1141 Depth=1
	ds_read_b32 v7, v6 offset:512
	ds_read_b32 v8, v5 offset:20736
	s_waitcnt lgkmcnt(0)
	v_fmac_f32_e32 v11, v7, v8
.LBB108_1149:                           ;   in Loop: Header=BB108_1141 Depth=1
	s_or_b64 exec, exec, s[8:9]
	s_add_i32 s12, s10, -2
	v_cmp_eq_u32_e32 vcc, s12, v0
	s_and_b64 s[14:15], s[2:3], vcc
	s_barrier
	s_and_saveexec_b64 s[8:9], s[14:15]
	s_cbranch_execz .LBB108_1151
; %bb.1150:                             ;   in Loop: Header=BB108_1141 Depth=1
	ds_read_b32 v7, v2
	s_waitcnt lgkmcnt(0)
	v_mul_f32_e32 v11, v11, v7
	ds_write_b32 v5, v11 offset:20736
.LBB108_1151:                           ;   in Loop: Header=BB108_1141 Depth=1
	s_or_b64 exec, exec, s[8:9]
	v_cmp_gt_u32_e32 vcc, s12, v0
	s_and_b64 s[12:13], s[2:3], vcc
	s_waitcnt lgkmcnt(0)
	s_barrier
	s_and_saveexec_b64 s[8:9], s[12:13]
	s_cbranch_execz .LBB108_1153
; %bb.1152:                             ;   in Loop: Header=BB108_1141 Depth=1
	ds_read_b32 v7, v6 offset:256
	ds_read_b32 v8, v5 offset:20736
	s_waitcnt lgkmcnt(0)
	v_fmac_f32_e32 v11, v7, v8
.LBB108_1153:                           ;   in Loop: Header=BB108_1141 Depth=1
	s_or_b64 exec, exec, s[8:9]
	s_add_i32 s12, s10, -3
	v_cmp_eq_u32_e32 vcc, s12, v0
	s_and_b64 s[14:15], s[2:3], vcc
	s_barrier
	s_and_saveexec_b64 s[8:9], s[14:15]
	s_cbranch_execz .LBB108_1155
; %bb.1154:                             ;   in Loop: Header=BB108_1141 Depth=1
	ds_read_b32 v7, v2
	s_waitcnt lgkmcnt(0)
	v_mul_f32_e32 v11, v11, v7
	ds_write_b32 v5, v11 offset:20736
.LBB108_1155:                           ;   in Loop: Header=BB108_1141 Depth=1
	s_or_b64 exec, exec, s[8:9]
	v_cmp_gt_u32_e32 vcc, s12, v0
	s_and_b64 s[14:15], s[2:3], vcc
	s_waitcnt lgkmcnt(0)
	s_barrier
	s_and_saveexec_b64 s[8:9], s[14:15]
	s_cbranch_execz .LBB108_1140
; %bb.1156:                             ;   in Loop: Header=BB108_1141 Depth=1
	ds_read_b32 v6, v6
	ds_read_b32 v7, v5 offset:20736
	s_waitcnt lgkmcnt(0)
	v_fmac_f32_e32 v11, v6, v7
	s_branch .LBB108_1140
.LBB108_1157:
	s_mov_b64 s[8:9], -1
	s_and_b64 vcc, exec, s[4:5]
	s_cbranch_vccnz .LBB108_1203
; %bb.1158:
	s_andn2_b64 vcc, exec, s[8:9]
	s_cbranch_vccz .LBB108_1204
.LBB108_1159:
	s_and_saveexec_b64 s[2:3], s[6:7]
	s_cbranch_execz .LBB108_1161
.LBB108_1160:
	v_mov_b32_e32 v0, s40
	v_add_co_u32_e32 v2, vcc, s33, v1
	v_addc_co_u32_e32 v0, vcc, 0, v0, vcc
	v_mul_lo_u32 v0, v0, s26
	v_mul_lo_u32 v4, v2, s27
	v_mad_u64_u32 v[2:3], s[4:5], v2, s26, 0
	v_add3_u32 v3, v3, v4, v0
	v_lshlrev_b64 v[2:3], 2, v[2:3]
	v_mov_b32_e32 v0, s21
	v_add_co_u32_e32 v2, vcc, s20, v2
	v_addc_co_u32_e32 v3, vcc, v0, v3, vcc
	flat_store_dword v[2:3], v11
.LBB108_1161:
	s_or_b64 exec, exec, s[2:3]
	v_cmp_eq_u32_e32 vcc, 0, v1
	s_waitcnt vmcnt(0) lgkmcnt(0)
	buffer_wbinvl1_vol
	s_barrier
	s_and_saveexec_b64 s[2:3], vcc
	s_cbranch_execz .LBB108_1163
; %bb.1162:
	s_lshl_b64 s[4:5], s[28:29], 2
	s_add_u32 s0, s0, s4
	s_addc_u32 s1, s1, s5
	v_mov_b32_e32 v0, 0
	global_load_dword v1, v0, s[0:1]
	s_waitcnt vmcnt(0)
	v_add_u32_e32 v1, 1, v1
	global_store_dword v0, v1, s[0:1]
.LBB108_1163:
	s_or_b64 exec, exec, s[2:3]
	s_waitcnt vmcnt(0)
	buffer_wbinvl1_vol
	s_endpgm
.LBB108_1164:
                                        ; implicit-def: $vgpr9
                                        ; implicit-def: $vgpr10
                                        ; implicit-def: $vgpr7
                                        ; implicit-def: $vgpr8
                                        ; implicit-def: $sgpr33
	s_cbranch_execnz .LBB108_10
	s_branch .LBB108_11
.LBB108_1165:
	v_cmp_ne_u32_e32 vcc, v0, v2
	s_and_saveexec_b64 s[12:13], vcc
	s_xor_b64 s[12:13], exec, s[12:13]
; %bb.1166:
	v_or_b32_e32 v1, v2, v0
	v_cmp_gt_u32_e32 vcc, 64, v1
	s_and_b64 s[10:11], vcc, exec
                                        ; implicit-def: $vgpr5_vgpr6
; %bb.1167:
	s_or_saveexec_b64 s[12:13], s[12:13]
	v_mov_b32_e32 v1, 0
	s_xor_b64 exec, exec, s[12:13]
	s_cbranch_execz .LBB108_1169
; %bb.1168:
	v_lshlrev_b64 v[5:6], 2, v[5:6]
	v_mov_b32_e32 v1, s92
	v_add_co_u32_e32 v5, vcc, s91, v5
	v_addc_co_u32_e32 v6, vcc, v1, v6, vcc
	flat_load_dword v1, v[5:6]
	s_or_b64 s[10:11], s[10:11], exec
	s_waitcnt vmcnt(0) lgkmcnt(0)
	v_div_scale_f32 v5, s[14:15], v1, v1, 1.0
	v_div_scale_f32 v6, vcc, 1.0, v1, 1.0
	v_rcp_f32_e32 v12, v5
	v_fma_f32 v13, -v5, v12, 1.0
	v_fmac_f32_e32 v12, v13, v12
	v_mul_f32_e32 v13, v6, v12
	v_fma_f32 v14, -v5, v13, v6
	v_fmac_f32_e32 v13, v14, v12
	v_fma_f32 v5, -v5, v13, v6
	v_div_fmas_f32 v5, v5, v12, v13
	v_div_fixup_f32 v1, v5, v1, 1.0
.LBB108_1169:
	s_or_b64 exec, exec, s[12:13]
	s_and_b64 s[10:11], s[10:11], exec
                                        ; implicit-def: $vgpr5_vgpr6
	s_andn2_saveexec_b64 s[8:9], s[8:9]
	s_cbranch_execz .LBB108_14
.LBB108_1170:
	v_lshlrev_b64 v[5:6], 2, v[5:6]
	v_mov_b32_e32 v1, s92
	v_add_co_u32_e32 v5, vcc, s91, v5
	v_addc_co_u32_e32 v6, vcc, v1, v6, vcc
	flat_load_dword v1, v[5:6]
	s_or_b64 s[10:11], s[10:11], exec
	s_waitcnt vmcnt(0) lgkmcnt(0)
	v_xor_b32_e32 v1, 0x80000000, v1
	s_or_b64 exec, exec, s[8:9]
	s_and_saveexec_b64 s[8:9], s[10:11]
	s_cbranch_execnz .LBB108_15
	s_branch .LBB108_16
.LBB108_1171:
	v_cmp_ne_u32_e32 vcc, v0, v1
	s_and_saveexec_b64 s[10:11], vcc
	s_xor_b64 s[10:11], exec, s[10:11]
; %bb.1172:
	v_or_b32_e32 v5, v1, v0
	v_cmp_gt_u32_e32 vcc, 64, v5
	s_and_b64 s[8:9], vcc, exec
                                        ; implicit-def: $vgpr5_vgpr6
; %bb.1173:
	s_or_saveexec_b64 s[10:11], s[10:11]
	v_mov_b32_e32 v12, 0
	s_xor_b64 exec, exec, s[10:11]
	s_cbranch_execz .LBB108_1175
; %bb.1174:
	v_lshlrev_b64 v[5:6], 2, v[5:6]
	v_mov_b32_e32 v12, s92
	v_add_co_u32_e32 v5, vcc, s91, v5
	v_addc_co_u32_e32 v6, vcc, v12, v6, vcc
	flat_load_dword v5, v[5:6]
	s_or_b64 s[8:9], s[8:9], exec
	s_waitcnt vmcnt(0) lgkmcnt(0)
	v_div_scale_f32 v6, s[12:13], v5, v5, 1.0
	v_div_scale_f32 v12, vcc, 1.0, v5, 1.0
	v_rcp_f32_e32 v13, v6
	v_fma_f32 v14, -v6, v13, 1.0
	v_fmac_f32_e32 v13, v14, v13
	v_mul_f32_e32 v14, v12, v13
	v_fma_f32 v15, -v6, v14, v12
	v_fmac_f32_e32 v14, v15, v13
	v_fma_f32 v6, -v6, v14, v12
	v_div_fmas_f32 v6, v6, v13, v14
	v_div_fixup_f32 v12, v6, v5, 1.0
.LBB108_1175:
	s_or_b64 exec, exec, s[10:11]
	s_and_b64 s[8:9], s[8:9], exec
                                        ; implicit-def: $vgpr5_vgpr6
	s_andn2_saveexec_b64 s[2:3], s[2:3]
	s_cbranch_execz .LBB108_18
.LBB108_1176:
	v_lshlrev_b64 v[5:6], 2, v[5:6]
	v_mov_b32_e32 v12, s92
	v_add_co_u32_e32 v5, vcc, s91, v5
	v_addc_co_u32_e32 v6, vcc, v12, v6, vcc
	flat_load_dword v5, v[5:6]
	s_or_b64 s[8:9], s[8:9], exec
	s_waitcnt vmcnt(0) lgkmcnt(0)
	v_xor_b32_e32 v12, 0x80000000, v5
	s_or_b64 exec, exec, s[2:3]
	s_and_saveexec_b64 s[2:3], s[8:9]
	s_cbranch_execnz .LBB108_19
	s_branch .LBB108_20
.LBB108_1177:
	v_cmp_ne_u32_e32 vcc, v0, v1
	s_and_saveexec_b64 s[10:11], vcc
	s_xor_b64 s[10:11], exec, s[10:11]
; %bb.1178:
	v_or_b32_e32 v5, v1, v0
	v_cmp_gt_u32_e32 vcc, 64, v5
	s_and_b64 s[8:9], vcc, exec
                                        ; implicit-def: $vgpr5_vgpr6
; %bb.1179:
	s_or_saveexec_b64 s[10:11], s[10:11]
	v_mov_b32_e32 v12, 0
	s_xor_b64 exec, exec, s[10:11]
	s_cbranch_execz .LBB108_1181
; %bb.1180:
	v_lshlrev_b64 v[5:6], 2, v[5:6]
	v_mov_b32_e32 v12, s92
	v_add_co_u32_e32 v5, vcc, s91, v5
	v_addc_co_u32_e32 v6, vcc, v12, v6, vcc
	flat_load_dword v5, v[5:6]
	s_or_b64 s[8:9], s[8:9], exec
	s_waitcnt vmcnt(0) lgkmcnt(0)
	v_div_scale_f32 v6, s[12:13], v5, v5, 1.0
	v_div_scale_f32 v12, vcc, 1.0, v5, 1.0
	v_rcp_f32_e32 v13, v6
	v_fma_f32 v14, -v6, v13, 1.0
	v_fmac_f32_e32 v13, v14, v13
	v_mul_f32_e32 v14, v12, v13
	v_fma_f32 v15, -v6, v14, v12
	v_fmac_f32_e32 v14, v15, v13
	v_fma_f32 v6, -v6, v14, v12
	v_div_fmas_f32 v6, v6, v13, v14
	v_div_fixup_f32 v12, v6, v5, 1.0
.LBB108_1181:
	s_or_b64 exec, exec, s[10:11]
	s_and_b64 s[8:9], s[8:9], exec
                                        ; implicit-def: $vgpr5_vgpr6
	s_andn2_saveexec_b64 s[2:3], s[2:3]
	s_cbranch_execz .LBB108_22
.LBB108_1182:
	v_lshlrev_b64 v[5:6], 2, v[5:6]
	v_mov_b32_e32 v12, s92
	v_add_co_u32_e32 v5, vcc, s91, v5
	v_addc_co_u32_e32 v6, vcc, v12, v6, vcc
	flat_load_dword v5, v[5:6]
	s_or_b64 s[8:9], s[8:9], exec
	s_waitcnt vmcnt(0) lgkmcnt(0)
	v_xor_b32_e32 v12, 0x80000000, v5
	s_or_b64 exec, exec, s[2:3]
	s_and_saveexec_b64 s[2:3], s[8:9]
	s_cbranch_execnz .LBB108_23
	s_branch .LBB108_24
.LBB108_1183:
	v_cmp_ne_u32_e32 vcc, v0, v2
	s_xor_b64 s[12:13], s[2:3], -1
	s_or_b64 s[14:15], s[12:13], vcc
	s_mov_b64 s[12:13], 0
	s_and_saveexec_b64 s[16:17], s[14:15]
	s_xor_b64 s[14:15], exec, s[16:17]
; %bb.1184:
	v_or_b32_e32 v1, v2, v0
	v_cmp_gt_u32_e32 vcc, 64, v1
	s_and_b64 s[12:13], vcc, exec
                                        ; implicit-def: $vgpr5_vgpr6
; %bb.1185:
	s_or_saveexec_b64 s[14:15], s[14:15]
	v_mov_b32_e32 v1, 0
	s_xor_b64 exec, exec, s[14:15]
	s_cbranch_execz .LBB108_1187
; %bb.1186:
	v_lshlrev_b64 v[5:6], 2, v[5:6]
	v_mov_b32_e32 v1, s92
	v_add_co_u32_e32 v5, vcc, s91, v5
	v_addc_co_u32_e32 v6, vcc, v1, v6, vcc
	flat_load_dword v1, v[5:6]
	s_or_b64 s[12:13], s[12:13], exec
	s_waitcnt vmcnt(0) lgkmcnt(0)
	v_div_scale_f32 v5, s[16:17], v1, v1, 1.0
	v_div_scale_f32 v6, vcc, 1.0, v1, 1.0
	v_rcp_f32_e32 v12, v5
	v_fma_f32 v13, -v5, v12, 1.0
	v_fmac_f32_e32 v12, v13, v12
	v_mul_f32_e32 v13, v6, v12
	v_fma_f32 v14, -v5, v13, v6
	v_fmac_f32_e32 v13, v14, v12
	v_fma_f32 v5, -v5, v13, v6
	v_div_fmas_f32 v5, v5, v12, v13
	v_div_fixup_f32 v1, v5, v1, 1.0
.LBB108_1187:
	s_or_b64 exec, exec, s[14:15]
	s_and_b64 s[12:13], s[12:13], exec
                                        ; implicit-def: $vgpr5_vgpr6
	s_andn2_saveexec_b64 s[8:9], s[8:9]
	s_cbranch_execz .LBB108_36
.LBB108_1188:
	v_lshlrev_b64 v[5:6], 2, v[5:6]
	v_mov_b32_e32 v1, s92
	v_add_co_u32_e32 v5, vcc, s91, v5
	v_addc_co_u32_e32 v6, vcc, v1, v6, vcc
	flat_load_dword v1, v[5:6]
	s_or_b64 s[12:13], s[12:13], exec
	s_waitcnt vmcnt(0) lgkmcnt(0)
	v_xor_b32_e32 v1, 0x80000000, v1
	s_or_b64 exec, exec, s[8:9]
	s_and_saveexec_b64 s[8:9], s[12:13]
	s_cbranch_execnz .LBB108_37
	s_branch .LBB108_38
.LBB108_1189:
	v_cmp_ne_u32_e32 vcc, v0, v1
	s_xor_b64 s[12:13], s[2:3], -1
	s_or_b64 s[14:15], s[12:13], vcc
	s_mov_b64 s[12:13], 0
	s_and_saveexec_b64 s[16:17], s[14:15]
	s_xor_b64 s[14:15], exec, s[16:17]
; %bb.1190:
	v_or_b32_e32 v5, v1, v0
	v_cmp_gt_u32_e32 vcc, 64, v5
	s_and_b64 s[12:13], vcc, exec
                                        ; implicit-def: $vgpr5_vgpr6
; %bb.1191:
	s_or_saveexec_b64 s[14:15], s[14:15]
	v_mov_b32_e32 v12, 0
	s_xor_b64 exec, exec, s[14:15]
	s_cbranch_execz .LBB108_1193
; %bb.1192:
	v_lshlrev_b64 v[5:6], 2, v[5:6]
	v_mov_b32_e32 v12, s92
	v_add_co_u32_e32 v5, vcc, s91, v5
	v_addc_co_u32_e32 v6, vcc, v12, v6, vcc
	flat_load_dword v5, v[5:6]
	s_or_b64 s[12:13], s[12:13], exec
	s_waitcnt vmcnt(0) lgkmcnt(0)
	v_div_scale_f32 v6, s[16:17], v5, v5, 1.0
	v_div_scale_f32 v12, vcc, 1.0, v5, 1.0
	v_rcp_f32_e32 v13, v6
	v_fma_f32 v14, -v6, v13, 1.0
	v_fmac_f32_e32 v13, v14, v13
	v_mul_f32_e32 v14, v12, v13
	v_fma_f32 v15, -v6, v14, v12
	v_fmac_f32_e32 v14, v15, v13
	v_fma_f32 v6, -v6, v14, v12
	v_div_fmas_f32 v6, v6, v13, v14
	v_div_fixup_f32 v12, v6, v5, 1.0
.LBB108_1193:
	s_or_b64 exec, exec, s[14:15]
	s_and_b64 s[12:13], s[12:13], exec
                                        ; implicit-def: $vgpr5_vgpr6
	s_andn2_saveexec_b64 s[8:9], s[8:9]
	s_cbranch_execz .LBB108_40
.LBB108_1194:
	v_lshlrev_b64 v[5:6], 2, v[5:6]
	v_mov_b32_e32 v12, s92
	v_add_co_u32_e32 v5, vcc, s91, v5
	v_addc_co_u32_e32 v6, vcc, v12, v6, vcc
	flat_load_dword v5, v[5:6]
	s_or_b64 s[12:13], s[12:13], exec
	s_waitcnt vmcnt(0) lgkmcnt(0)
	v_xor_b32_e32 v12, 0x80000000, v5
	s_or_b64 exec, exec, s[8:9]
	s_and_saveexec_b64 s[8:9], s[12:13]
	s_cbranch_execnz .LBB108_41
	s_branch .LBB108_42
.LBB108_1195:
	v_cmp_ne_u32_e32 vcc, v0, v1
	s_xor_b64 s[12:13], s[2:3], -1
	s_or_b64 s[14:15], s[12:13], vcc
	s_mov_b64 s[12:13], 0
	s_and_saveexec_b64 s[16:17], s[14:15]
	s_xor_b64 s[14:15], exec, s[16:17]
; %bb.1196:
	v_or_b32_e32 v5, v1, v0
	v_cmp_gt_u32_e32 vcc, 64, v5
	s_and_b64 s[12:13], vcc, exec
                                        ; implicit-def: $vgpr5_vgpr6
; %bb.1197:
	s_or_saveexec_b64 s[14:15], s[14:15]
	v_mov_b32_e32 v12, 0
	s_xor_b64 exec, exec, s[14:15]
	s_cbranch_execz .LBB108_1199
; %bb.1198:
	v_lshlrev_b64 v[5:6], 2, v[5:6]
	v_mov_b32_e32 v12, s92
	v_add_co_u32_e32 v5, vcc, s91, v5
	v_addc_co_u32_e32 v6, vcc, v12, v6, vcc
	flat_load_dword v5, v[5:6]
	s_or_b64 s[12:13], s[12:13], exec
	s_waitcnt vmcnt(0) lgkmcnt(0)
	v_div_scale_f32 v6, s[16:17], v5, v5, 1.0
	v_div_scale_f32 v12, vcc, 1.0, v5, 1.0
	v_rcp_f32_e32 v13, v6
	v_fma_f32 v14, -v6, v13, 1.0
	v_fmac_f32_e32 v13, v14, v13
	v_mul_f32_e32 v14, v12, v13
	v_fma_f32 v15, -v6, v14, v12
	v_fmac_f32_e32 v14, v15, v13
	v_fma_f32 v6, -v6, v14, v12
	v_div_fmas_f32 v6, v6, v13, v14
	v_div_fixup_f32 v12, v6, v5, 1.0
.LBB108_1199:
	s_or_b64 exec, exec, s[14:15]
	s_and_b64 s[12:13], s[12:13], exec
                                        ; implicit-def: $vgpr5_vgpr6
	s_andn2_saveexec_b64 s[8:9], s[8:9]
	s_cbranch_execz .LBB108_44
.LBB108_1200:
	v_lshlrev_b64 v[5:6], 2, v[5:6]
	v_mov_b32_e32 v12, s92
	v_add_co_u32_e32 v5, vcc, s91, v5
	v_addc_co_u32_e32 v6, vcc, v12, v6, vcc
	flat_load_dword v5, v[5:6]
	s_or_b64 s[12:13], s[12:13], exec
	s_waitcnt vmcnt(0) lgkmcnt(0)
	v_xor_b32_e32 v12, 0x80000000, v5
	s_or_b64 exec, exec, s[8:9]
	s_and_saveexec_b64 s[8:9], s[12:13]
	s_cbranch_execnz .LBB108_45
	s_branch .LBB108_46
.LBB108_1201:
	s_or_b64 exec, exec, s[10:11]
	s_and_b64 vcc, exec, s[8:9]
	s_cbranch_vccnz .LBB108_1139
.LBB108_1202:
	v_mov_b32_e32 v11, v2
	s_and_saveexec_b64 s[2:3], s[6:7]
	s_cbranch_execnz .LBB108_1160
	s_branch .LBB108_1161
.LBB108_1203:
	s_andn2_b64 s[4:5], s[6:7], exec
	s_and_b64 s[6:7], s[2:3], exec
	s_or_b64 s[6:7], s[4:5], s[6:7]
	s_cbranch_execnz .LBB108_1159
.LBB108_1204:
	v_cmp_gt_i32_e32 vcc, s90, v0
	s_and_b64 s[2:3], s[2:3], vcc
	s_andn2_b64 s[4:5], s[6:7], exec
	s_and_b64 s[2:3], s[2:3], exec
	s_or_b64 s[6:7], s[4:5], s[2:3]
	s_and_saveexec_b64 s[2:3], s[6:7]
	s_cbranch_execnz .LBB108_1160
	s_branch .LBB108_1161
.LBB108_1205:
	v_lshlrev_b32_e32 v16, 2, v14
	v_sub_u32_e32 v16, v15, v16
	v_lshl_add_u32 v16, v13, 2, v16
	ds_read_b32 v16, v16 offset:272
	ds_read_b32 v17, v15 offset:4
	s_waitcnt lgkmcnt(0)
	v_fmac_f32_e32 v12, v16, v17
	s_or_b64 exec, exec, s[14:15]
	v_cmp_gt_u32_e64 s[10:11], 8, v4
	s_and_saveexec_b64 s[14:15], s[10:11]
	s_cbranch_execz .LBB108_79
.LBB108_1206:
	ds_read_b32 v16, v6 offset:528
	ds_read_b32 v15, v15 offset:8
	s_waitcnt lgkmcnt(0)
	v_fmac_f32_e32 v12, v16, v15
	s_or_b64 exec, exec, s[14:15]
	v_cmp_gt_u32_e64 s[10:11], 4, v4
	s_and_saveexec_b64 s[14:15], s[10:11]
	s_cbranch_execnz .LBB108_80
	s_branch .LBB108_81
.LBB108_1207:
	v_lshlrev_b32_e32 v21, 2, v19
	v_sub_u32_e32 v21, v20, v21
	v_lshl_add_u32 v21, v18, 2, v21
	ds_read_b32 v21, v21 offset:288
	ds_read_b32 v22, v20 offset:4
	s_waitcnt lgkmcnt(0)
	v_fmac_f32_e32 v17, v21, v22
	s_or_b64 exec, exec, s[16:17]
	v_cmp_gt_u32_e64 s[14:15], 48, v4
	s_and_saveexec_b64 s[16:17], s[14:15]
	s_cbranch_execz .LBB108_121
.LBB108_1208:
	v_lshlrev_b32_e32 v21, 2, v19
	v_sub_u32_e32 v21, v20, v21
	v_lshl_add_u32 v21, v18, 2, v21
	ds_read_b32 v21, v21 offset:544
	ds_read_b32 v22, v20 offset:8
	s_waitcnt lgkmcnt(0)
	v_fmac_f32_e32 v17, v21, v22
	s_or_b64 exec, exec, s[16:17]
	v_cmp_gt_u32_e64 s[14:15], 40, v4
	s_and_saveexec_b64 s[16:17], s[14:15]
	s_cbranch_execz .LBB108_122
.LBB108_1209:
	v_lshlrev_b32_e32 v21, 2, v19
	v_sub_u32_e32 v21, v20, v21
	v_lshl_add_u32 v21, v18, 2, v21
	ds_read_b32 v21, v21 offset:800
	ds_read_b32 v22, v20 offset:12
	s_waitcnt lgkmcnt(0)
	v_fmac_f32_e32 v17, v21, v22
	s_or_b64 exec, exec, s[16:17]
	v_cmp_gt_u32_e64 s[14:15], 32, v4
	s_and_saveexec_b64 s[16:17], s[14:15]
	s_cbranch_execz .LBB108_123
.LBB108_1210:
	ds_read_b32 v21, v15 offset:1056
	ds_read_b32 v22, v20 offset:16
	s_waitcnt lgkmcnt(0)
	v_fmac_f32_e32 v17, v21, v22
	s_or_b64 exec, exec, s[16:17]
	v_cmp_gt_u32_e64 s[14:15], 24, v4
	s_and_saveexec_b64 s[16:17], s[14:15]
	s_cbranch_execz .LBB108_124
.LBB108_1211:
	v_lshlrev_b32_e32 v21, 2, v19
	v_sub_u32_e32 v21, v20, v21
	v_lshl_add_u32 v21, v18, 2, v21
	ds_read_b32 v21, v21 offset:1312
	ds_read_b32 v22, v20 offset:20
	s_waitcnt lgkmcnt(0)
	v_fmac_f32_e32 v17, v21, v22
	s_or_b64 exec, exec, s[16:17]
	v_cmp_gt_u32_e64 s[14:15], 16, v4
	s_and_saveexec_b64 s[16:17], s[14:15]
	s_cbranch_execz .LBB108_125
.LBB108_1212:
	ds_read_b32 v21, v15 offset:1568
	ds_read_b32 v20, v20 offset:24
	s_waitcnt lgkmcnt(0)
	v_fmac_f32_e32 v17, v21, v20
	s_or_b64 exec, exec, s[16:17]
	v_cmp_gt_u32_e64 s[14:15], 8, v4
	s_and_saveexec_b64 s[16:17], s[14:15]
	s_cbranch_execnz .LBB108_126
	s_branch .LBB108_127
.LBB108_1213:
	v_lshlrev_b32_e32 v22, 2, v14
	v_sub_u32_e32 v22, v21, v22
	v_lshl_add_u32 v22, v13, 2, v22
	ds_read_b32 v22, v22 offset:2352
	ds_read_b32 v23, v21 offset:2084
	s_waitcnt lgkmcnt(0)
	v_fmac_f32_e32 v20, v22, v23
	s_or_b64 exec, exec, s[14:15]
	v_cmp_gt_u32_e64 s[10:11], 8, v4
	s_and_saveexec_b64 s[14:15], s[10:11]
	s_cbranch_execz .LBB108_183
.LBB108_1214:
	ds_read_b32 v22, v6 offset:2608
	ds_read_b32 v21, v21 offset:2088
	s_waitcnt lgkmcnt(0)
	v_fmac_f32_e32 v20, v22, v21
	s_or_b64 exec, exec, s[14:15]
	v_cmp_gt_u32_e64 s[10:11], 4, v4
	s_and_saveexec_b64 s[14:15], s[10:11]
	s_cbranch_execnz .LBB108_184
	s_branch .LBB108_185
.LBB108_1215:
	v_lshlrev_b32_e32 v26, 2, v21
	v_lshl_add_u32 v26, v23, 2, v26
	ds_read_b32 v26, v26 offset:2880
	ds_read_b32 v27, v25 offset:44
	s_waitcnt lgkmcnt(0)
	v_fmac_f32_e32 v22, v26, v27
	s_or_b64 exec, exec, s[20:21]
	v_cmp_gt_u32_e64 s[16:17], 64, v4
	s_and_saveexec_b64 s[20:21], s[16:17]
	s_cbranch_execz .LBB108_245
.LBB108_1216:
	ds_read_b32 v26, v20 offset:3136
	ds_read_b32 v27, v25 offset:48
	s_waitcnt lgkmcnt(0)
	v_fmac_f32_e32 v22, v26, v27
	s_or_b64 exec, exec, s[20:21]
	v_cmp_gt_u32_e64 s[16:17], 48, v4
	s_and_saveexec_b64 s[20:21], s[16:17]
	s_cbranch_execz .LBB108_246
.LBB108_1217:
	v_lshlrev_b32_e32 v26, 2, v21
	v_lshl_add_u32 v26, v23, 2, v26
	ds_read_b32 v26, v26 offset:3392
	ds_read_b32 v27, v25 offset:52
	s_waitcnt lgkmcnt(0)
	v_fmac_f32_e32 v22, v26, v27
	s_or_b64 exec, exec, s[20:21]
	v_cmp_gt_u32_e64 s[16:17], 32, v4
	s_and_saveexec_b64 s[20:21], s[16:17]
	s_cbranch_execz .LBB108_247
.LBB108_1218:
	ds_read_b32 v26, v20 offset:3648
	ds_read_b32 v25, v25 offset:56
	s_waitcnt lgkmcnt(0)
	v_fmac_f32_e32 v22, v26, v25
	s_or_b64 exec, exec, s[20:21]
	v_cmp_gt_u32_e64 s[16:17], 16, v4
	s_and_saveexec_b64 s[20:21], s[16:17]
	s_cbranch_execnz .LBB108_248
	s_branch .LBB108_249
.LBB108_1219:
	v_lshlrev_b32_e32 v27, 2, v14
	v_sub_u32_e32 v27, v26, v27
	v_lshl_add_u32 v27, v13, 2, v27
	ds_read_b32 v27, v27 offset:4432
	ds_read_b32 v28, v26 offset:4164
	s_waitcnt lgkmcnt(0)
	v_fmac_f32_e32 v25, v27, v28
	s_or_b64 exec, exec, s[20:21]
	v_cmp_gt_u32_e64 s[14:15], 8, v4
	s_and_saveexec_b64 s[0:1], s[14:15]
	s_cbranch_execz .LBB108_337
.LBB108_1220:
	ds_read_b32 v27, v6 offset:4688
	ds_read_b32 v26, v26 offset:4168
	s_waitcnt lgkmcnt(0)
	v_fmac_f32_e32 v25, v27, v26
	s_or_b64 exec, exec, s[0:1]
	v_cmp_gt_u32_e64 s[14:15], 4, v4
	s_and_saveexec_b64 s[20:21], s[14:15]
	s_cbranch_execnz .LBB108_338
	s_branch .LBB108_339
.LBB108_1221:
	v_lshlrev_b32_e32 v27, 2, v19
	v_sub_u32_e32 v27, v26, v27
	v_lshl_add_u32 v27, v18, 2, v27
	ds_read_b32 v27, v27 offset:4448
	ds_read_b32 v28, v26 offset:4164
	s_waitcnt lgkmcnt(0)
	v_fmac_f32_e32 v25, v27, v28
	s_or_b64 exec, exec, s[20:21]
	v_cmp_gt_u32_e64 s[14:15], 48, v4
	s_and_saveexec_b64 s[20:21], s[14:15]
	s_cbranch_execz .LBB108_379
.LBB108_1222:
	v_lshlrev_b32_e32 v27, 2, v19
	v_sub_u32_e32 v27, v26, v27
	v_lshl_add_u32 v27, v18, 2, v27
	ds_read_b32 v27, v27 offset:4704
	ds_read_b32 v28, v26 offset:4168
	s_waitcnt lgkmcnt(0)
	v_fmac_f32_e32 v25, v27, v28
	s_or_b64 exec, exec, s[20:21]
	v_cmp_gt_u32_e64 s[14:15], 40, v4
	s_and_saveexec_b64 s[20:21], s[14:15]
	s_cbranch_execz .LBB108_380
.LBB108_1223:
	v_lshlrev_b32_e32 v27, 2, v19
	v_sub_u32_e32 v27, v26, v27
	v_lshl_add_u32 v27, v18, 2, v27
	ds_read_b32 v27, v27 offset:4960
	ds_read_b32 v28, v26 offset:4172
	s_waitcnt lgkmcnt(0)
	v_fmac_f32_e32 v25, v27, v28
	s_or_b64 exec, exec, s[20:21]
	v_cmp_gt_u32_e64 s[14:15], 32, v4
	s_and_saveexec_b64 s[0:1], s[14:15]
	s_cbranch_execz .LBB108_381
.LBB108_1224:
	ds_read_b32 v27, v15 offset:5216
	ds_read_b32 v28, v26 offset:4176
	s_waitcnt lgkmcnt(0)
	v_fmac_f32_e32 v25, v27, v28
	s_or_b64 exec, exec, s[0:1]
	v_cmp_gt_u32_e64 s[14:15], 24, v4
	s_and_saveexec_b64 s[20:21], s[14:15]
	s_cbranch_execz .LBB108_382
.LBB108_1225:
	v_lshlrev_b32_e32 v27, 2, v19
	v_sub_u32_e32 v27, v26, v27
	v_lshl_add_u32 v27, v18, 2, v27
	ds_read_b32 v27, v27 offset:5472
	ds_read_b32 v28, v26 offset:4180
	s_waitcnt lgkmcnt(0)
	v_fmac_f32_e32 v25, v27, v28
	s_or_b64 exec, exec, s[20:21]
	v_cmp_gt_u32_e64 s[14:15], 16, v4
	s_and_saveexec_b64 s[0:1], s[14:15]
	s_cbranch_execz .LBB108_383
.LBB108_1226:
	ds_read_b32 v27, v15 offset:5728
	ds_read_b32 v26, v26 offset:4184
	s_waitcnt lgkmcnt(0)
	v_fmac_f32_e32 v25, v27, v26
	s_or_b64 exec, exec, s[0:1]
	v_cmp_gt_u32_e64 s[14:15], 8, v4
	s_and_saveexec_b64 s[20:21], s[14:15]
	s_cbranch_execnz .LBB108_384
	s_branch .LBB108_385
.LBB108_1227:
	v_lshlrev_b32_e32 v27, 2, v14
	v_sub_u32_e32 v27, v26, v27
	v_lshl_add_u32 v27, v13, 2, v27
	ds_read_b32 v27, v27 offset:6512
	ds_read_b32 v28, v26 offset:6244
	s_waitcnt lgkmcnt(0)
	v_fmac_f32_e32 v25, v27, v28
	s_or_b64 exec, exec, s[20:21]
	v_cmp_gt_u32_e64 s[14:15], 8, v4
	s_and_saveexec_b64 s[0:1], s[14:15]
	s_cbranch_execz .LBB108_441
.LBB108_1228:
	ds_read_b32 v27, v6 offset:6768
	ds_read_b32 v26, v26 offset:6248
	s_waitcnt lgkmcnt(0)
	v_fmac_f32_e32 v25, v27, v26
	s_or_b64 exec, exec, s[0:1]
	v_cmp_gt_u32_e64 s[14:15], 4, v4
	s_and_saveexec_b64 s[20:21], s[14:15]
	s_cbranch_execnz .LBB108_442
	s_branch .LBB108_443
.LBB108_1229:
	ds_read_b32 v31, v25 offset:7552
	ds_read_b32 v32, v30 offset:116
	s_waitcnt lgkmcnt(0)
	v_fmac_f32_e32 v28, v31, v32
	s_or_b64 exec, exec, s[0:1]
	v_cmp_gt_u32_e64 s[20:21], 64, v4
	s_and_saveexec_b64 s[0:1], s[20:21]
	s_cbranch_execz .LBB108_539
.LBB108_1230:
	ds_read_b32 v31, v25 offset:7808
	ds_read_b32 v30, v30 offset:120
	s_waitcnt lgkmcnt(0)
	v_fmac_f32_e32 v28, v31, v30
	s_or_b64 exec, exec, s[0:1]
	v_cmp_gt_u32_e64 s[20:21], 32, v4
	s_and_saveexec_b64 s[0:1], s[20:21]
	s_cbranch_execnz .LBB108_540
	s_branch .LBB108_541
.LBB108_1231:
	v_lshlrev_b32_e32 v27, 2, v14
	v_sub_u32_e32 v27, v26, v27
	v_lshl_add_u32 v27, v13, 2, v27
	ds_read_b32 v27, v27 offset:8592
	ds_read_b32 v28, v26 offset:8324
	s_waitcnt lgkmcnt(0)
	v_fmac_f32_e32 v25, v27, v28
	s_or_b64 exec, exec, s[16:17]
	v_cmp_gt_u32_e64 s[12:13], 8, v4
	s_and_saveexec_b64 s[0:1], s[12:13]
	s_cbranch_execz .LBB108_693
.LBB108_1232:
	ds_read_b32 v27, v6 offset:8848
	ds_read_b32 v26, v26 offset:8328
	s_waitcnt lgkmcnt(0)
	v_fmac_f32_e32 v25, v27, v26
	s_or_b64 exec, exec, s[0:1]
	v_cmp_gt_u32_e64 s[12:13], 4, v4
	s_and_saveexec_b64 s[0:1], s[12:13]
	s_cbranch_execnz .LBB108_694
	s_branch .LBB108_695
.LBB108_1233:
	v_lshlrev_b32_e32 v27, 2, v19
	v_sub_u32_e32 v27, v26, v27
	v_lshl_add_u32 v27, v18, 2, v27
	ds_read_b32 v27, v27 offset:8608
	ds_read_b32 v28, v26 offset:8324
	s_waitcnt lgkmcnt(0)
	v_fmac_f32_e32 v25, v27, v28
	s_or_b64 exec, exec, s[16:17]
	v_cmp_gt_u32_e64 s[12:13], 48, v4
	s_and_saveexec_b64 s[0:1], s[12:13]
	s_cbranch_execz .LBB108_735
.LBB108_1234:
	v_lshlrev_b32_e32 v27, 2, v19
	v_sub_u32_e32 v27, v26, v27
	v_lshl_add_u32 v27, v18, 2, v27
	ds_read_b32 v27, v27 offset:8864
	ds_read_b32 v28, v26 offset:8328
	s_waitcnt lgkmcnt(0)
	v_fmac_f32_e32 v25, v27, v28
	s_or_b64 exec, exec, s[0:1]
	v_cmp_gt_u32_e64 s[12:13], 40, v4
	s_and_saveexec_b64 s[0:1], s[12:13]
	s_cbranch_execz .LBB108_736
.LBB108_1235:
	v_lshlrev_b32_e32 v27, 2, v19
	v_sub_u32_e32 v27, v26, v27
	v_lshl_add_u32 v27, v18, 2, v27
	ds_read_b32 v27, v27 offset:9120
	ds_read_b32 v28, v26 offset:8332
	s_waitcnt lgkmcnt(0)
	v_fmac_f32_e32 v25, v27, v28
	s_or_b64 exec, exec, s[0:1]
	v_cmp_gt_u32_e64 s[12:13], 32, v4
	s_and_saveexec_b64 s[0:1], s[12:13]
	s_cbranch_execz .LBB108_737
.LBB108_1236:
	ds_read_b32 v27, v15 offset:9376
	ds_read_b32 v28, v26 offset:8336
	s_waitcnt lgkmcnt(0)
	v_fmac_f32_e32 v25, v27, v28
	s_or_b64 exec, exec, s[0:1]
	v_cmp_gt_u32_e64 s[12:13], 24, v4
	s_and_saveexec_b64 s[0:1], s[12:13]
	s_cbranch_execz .LBB108_738
.LBB108_1237:
	v_lshlrev_b32_e32 v27, 2, v19
	v_sub_u32_e32 v27, v26, v27
	v_lshl_add_u32 v27, v18, 2, v27
	ds_read_b32 v27, v27 offset:9632
	ds_read_b32 v28, v26 offset:8340
	s_waitcnt lgkmcnt(0)
	v_fmac_f32_e32 v25, v27, v28
	s_or_b64 exec, exec, s[0:1]
	v_cmp_gt_u32_e64 s[12:13], 16, v4
	s_and_saveexec_b64 s[0:1], s[12:13]
	s_cbranch_execz .LBB108_739
.LBB108_1238:
	ds_read_b32 v27, v15 offset:9888
	ds_read_b32 v26, v26 offset:8344
	s_waitcnt lgkmcnt(0)
	v_fmac_f32_e32 v25, v27, v26
	s_or_b64 exec, exec, s[0:1]
	v_cmp_gt_u32_e64 s[12:13], 8, v4
	s_and_saveexec_b64 s[0:1], s[12:13]
	s_cbranch_execnz .LBB108_740
	s_branch .LBB108_741
.LBB108_1239:
	v_lshlrev_b32_e32 v27, 2, v14
	v_sub_u32_e32 v27, v26, v27
	v_lshl_add_u32 v27, v13, 2, v27
	ds_read_b32 v27, v27 offset:10672
	ds_read_b32 v28, v26 offset:10404
	s_waitcnt lgkmcnt(0)
	v_fmac_f32_e32 v25, v27, v28
	s_or_b64 exec, exec, s[16:17]
	v_cmp_gt_u32_e64 s[12:13], 8, v4
	s_and_saveexec_b64 s[0:1], s[12:13]
	s_cbranch_execz .LBB108_797
.LBB108_1240:
	ds_read_b32 v27, v6 offset:10928
	ds_read_b32 v26, v26 offset:10408
	s_waitcnt lgkmcnt(0)
	v_fmac_f32_e32 v25, v27, v26
	s_or_b64 exec, exec, s[0:1]
	v_cmp_gt_u32_e64 s[12:13], 4, v4
	s_and_saveexec_b64 s[0:1], s[12:13]
	s_cbranch_execnz .LBB108_798
	s_branch .LBB108_799
.LBB108_1241:
	v_lshlrev_b32_e32 v24, 2, v21
	v_lshl_add_u32 v24, v23, 2, v24
	ds_read_b32 v24, v24 offset:11200
	ds_read_b32 v27, v26 offset:8364
	s_waitcnt lgkmcnt(0)
	v_fmac_f32_e32 v25, v24, v27
	s_or_b64 exec, exec, s[0:1]
	v_cmp_gt_u32_e64 s[12:13], 64, v4
	s_and_saveexec_b64 s[0:1], s[12:13]
	s_cbranch_execz .LBB108_859
.LBB108_1242:
	ds_read_b32 v24, v20 offset:11456
	ds_read_b32 v27, v26 offset:8368
	s_waitcnt lgkmcnt(0)
	v_fmac_f32_e32 v25, v24, v27
	s_or_b64 exec, exec, s[0:1]
	v_cmp_gt_u32_e64 s[12:13], 48, v4
	s_and_saveexec_b64 s[0:1], s[12:13]
	s_cbranch_execz .LBB108_860
.LBB108_1243:
	v_lshlrev_b32_e32 v24, 2, v21
	v_lshl_add_u32 v23, v23, 2, v24
	ds_read_b32 v23, v23 offset:11712
	ds_read_b32 v24, v26 offset:8372
	s_waitcnt lgkmcnt(0)
	v_fmac_f32_e32 v25, v23, v24
	s_or_b64 exec, exec, s[0:1]
	v_cmp_gt_u32_e64 s[12:13], 32, v4
	s_and_saveexec_b64 s[0:1], s[12:13]
	s_cbranch_execz .LBB108_861
.LBB108_1244:
	ds_read_b32 v23, v20 offset:11968
	ds_read_b32 v24, v26 offset:8376
	s_waitcnt lgkmcnt(0)
	v_fmac_f32_e32 v25, v23, v24
	s_or_b64 exec, exec, s[0:1]
	v_cmp_gt_u32_e64 s[12:13], 16, v4
	s_and_saveexec_b64 s[0:1], s[12:13]
	s_cbranch_execnz .LBB108_862
	s_branch .LBB108_863
.LBB108_1245:
	v_lshlrev_b32_e32 v22, 2, v14
	v_sub_u32_e32 v22, v21, v22
	v_lshl_add_u32 v22, v13, 2, v22
	ds_read_b32 v22, v22 offset:12752
	ds_read_b32 v23, v21 offset:12484
	s_waitcnt lgkmcnt(0)
	v_fmac_f32_e32 v20, v22, v23
	s_or_b64 exec, exec, s[12:13]
	v_cmp_gt_u32_e64 s[10:11], 8, v4
	s_and_saveexec_b64 s[12:13], s[10:11]
	s_cbranch_execz .LBB108_951
.LBB108_1246:
	ds_read_b32 v22, v6 offset:13008
	ds_read_b32 v21, v21 offset:12488
	s_waitcnt lgkmcnt(0)
	v_fmac_f32_e32 v20, v22, v21
	s_or_b64 exec, exec, s[12:13]
	v_cmp_gt_u32_e64 s[10:11], 4, v4
	s_and_saveexec_b64 s[12:13], s[10:11]
	s_cbranch_execnz .LBB108_952
	s_branch .LBB108_953
.LBB108_1247:
	v_lshlrev_b32_e32 v22, 2, v19
	v_sub_u32_e32 v22, v21, v22
	v_lshl_add_u32 v22, v18, 2, v22
	ds_read_b32 v22, v22 offset:12768
	ds_read_b32 v23, v21 offset:12484
	s_waitcnt lgkmcnt(0)
	v_fmac_f32_e32 v20, v22, v23
	s_or_b64 exec, exec, s[12:13]
	v_cmp_gt_u32_e64 s[10:11], 48, v4
	s_and_saveexec_b64 s[12:13], s[10:11]
	s_cbranch_execz .LBB108_993
.LBB108_1248:
	v_lshlrev_b32_e32 v22, 2, v19
	v_sub_u32_e32 v22, v21, v22
	v_lshl_add_u32 v22, v18, 2, v22
	ds_read_b32 v22, v22 offset:13024
	ds_read_b32 v23, v21 offset:12488
	s_waitcnt lgkmcnt(0)
	v_fmac_f32_e32 v20, v22, v23
	s_or_b64 exec, exec, s[12:13]
	v_cmp_gt_u32_e64 s[10:11], 40, v4
	s_and_saveexec_b64 s[12:13], s[10:11]
	s_cbranch_execz .LBB108_994
.LBB108_1249:
	v_lshlrev_b32_e32 v22, 2, v19
	v_sub_u32_e32 v22, v21, v22
	v_lshl_add_u32 v22, v18, 2, v22
	ds_read_b32 v22, v22 offset:13280
	ds_read_b32 v23, v21 offset:12492
	s_waitcnt lgkmcnt(0)
	v_fmac_f32_e32 v20, v22, v23
	s_or_b64 exec, exec, s[12:13]
	v_cmp_gt_u32_e64 s[10:11], 32, v4
	s_and_saveexec_b64 s[12:13], s[10:11]
	s_cbranch_execz .LBB108_995
.LBB108_1250:
	ds_read_b32 v22, v15 offset:13536
	ds_read_b32 v23, v21 offset:12496
	s_waitcnt lgkmcnt(0)
	v_fmac_f32_e32 v20, v22, v23
	s_or_b64 exec, exec, s[12:13]
	v_cmp_gt_u32_e64 s[10:11], 24, v4
	s_and_saveexec_b64 s[12:13], s[10:11]
	s_cbranch_execz .LBB108_996
.LBB108_1251:
	v_lshlrev_b32_e32 v19, 2, v19
	v_sub_u32_e32 v19, v21, v19
	v_lshl_add_u32 v18, v18, 2, v19
	ds_read_b32 v18, v18 offset:13792
	ds_read_b32 v19, v21 offset:12500
	s_waitcnt lgkmcnt(0)
	v_fmac_f32_e32 v20, v18, v19
	s_or_b64 exec, exec, s[12:13]
	v_cmp_gt_u32_e64 s[10:11], 16, v4
	s_and_saveexec_b64 s[12:13], s[10:11]
	s_cbranch_execz .LBB108_997
.LBB108_1252:
	ds_read_b32 v18, v15 offset:14048
	ds_read_b32 v19, v21 offset:12504
	s_waitcnt lgkmcnt(0)
	v_fmac_f32_e32 v20, v18, v19
	s_or_b64 exec, exec, s[12:13]
	v_cmp_gt_u32_e64 s[10:11], 8, v4
	s_and_saveexec_b64 s[12:13], s[10:11]
	s_cbranch_execnz .LBB108_998
	s_branch .LBB108_999
.LBB108_1253:
	v_lshlrev_b32_e32 v14, 2, v14
	v_sub_u32_e32 v14, v16, v14
	v_lshl_add_u32 v13, v13, 2, v14
	ds_read_b32 v13, v13 offset:14832
	ds_read_b32 v14, v16 offset:14564
	s_waitcnt lgkmcnt(0)
	v_fmac_f32_e32 v15, v13, v14
	s_or_b64 exec, exec, s[10:11]
	v_cmp_gt_u32_e64 s[8:9], 8, v4
	s_and_saveexec_b64 s[10:11], s[8:9]
	s_cbranch_execz .LBB108_1055
.LBB108_1254:
	ds_read_b32 v13, v6 offset:15088
	ds_read_b32 v14, v16 offset:14568
	s_waitcnt lgkmcnt(0)
	v_fmac_f32_e32 v15, v13, v14
	s_or_b64 exec, exec, s[10:11]
	v_cmp_gt_u32_e64 s[8:9], 4, v4
	s_and_saveexec_b64 s[10:11], s[8:9]
	s_cbranch_execnz .LBB108_1056
	s_branch .LBB108_1057
	.section	.rodata,"a",@progbits
	.p2align	6, 0x0
	.amdhsa_kernel _ZL19rocblas_trsv_deviceILi64ELi16ELb1ELb1ELb1ELb0EfPKfPKS1_PKPfEviT7_lllT6_T8_lllPii
		.amdhsa_group_segment_fixed_size 20740
		.amdhsa_private_segment_fixed_size 0
		.amdhsa_kernarg_size 352
		.amdhsa_user_sgpr_count 6
		.amdhsa_user_sgpr_private_segment_buffer 1
		.amdhsa_user_sgpr_dispatch_ptr 0
		.amdhsa_user_sgpr_queue_ptr 0
		.amdhsa_user_sgpr_kernarg_segment_ptr 1
		.amdhsa_user_sgpr_dispatch_id 0
		.amdhsa_user_sgpr_flat_scratch_init 0
		.amdhsa_user_sgpr_private_segment_size 0
		.amdhsa_uses_dynamic_stack 0
		.amdhsa_system_sgpr_private_segment_wavefront_offset 0
		.amdhsa_system_sgpr_workgroup_id_x 1
		.amdhsa_system_sgpr_workgroup_id_y 0
		.amdhsa_system_sgpr_workgroup_id_z 1
		.amdhsa_system_sgpr_workgroup_info 0
		.amdhsa_system_vgpr_workitem_id 1
		.amdhsa_next_free_vgpr 34
		.amdhsa_next_free_sgpr 96
		.amdhsa_reserve_vcc 1
		.amdhsa_reserve_flat_scratch 0
		.amdhsa_float_round_mode_32 0
		.amdhsa_float_round_mode_16_64 0
		.amdhsa_float_denorm_mode_32 3
		.amdhsa_float_denorm_mode_16_64 3
		.amdhsa_dx10_clamp 1
		.amdhsa_ieee_mode 1
		.amdhsa_fp16_overflow 0
		.amdhsa_exception_fp_ieee_invalid_op 0
		.amdhsa_exception_fp_denorm_src 0
		.amdhsa_exception_fp_ieee_div_zero 0
		.amdhsa_exception_fp_ieee_overflow 0
		.amdhsa_exception_fp_ieee_underflow 0
		.amdhsa_exception_fp_ieee_inexact 0
		.amdhsa_exception_int_div_zero 0
	.end_amdhsa_kernel
	.section	.text._ZL19rocblas_trsv_deviceILi64ELi16ELb1ELb1ELb1ELb0EfPKfPKS1_PKPfEviT7_lllT6_T8_lllPii,"axG",@progbits,_ZL19rocblas_trsv_deviceILi64ELi16ELb1ELb1ELb1ELb0EfPKfPKS1_PKPfEviT7_lllT6_T8_lllPii,comdat
.Lfunc_end108:
	.size	_ZL19rocblas_trsv_deviceILi64ELi16ELb1ELb1ELb1ELb0EfPKfPKS1_PKPfEviT7_lllT6_T8_lllPii, .Lfunc_end108-_ZL19rocblas_trsv_deviceILi64ELi16ELb1ELb1ELb1ELb0EfPKfPKS1_PKPfEviT7_lllT6_T8_lllPii
                                        ; -- End function
	.set _ZL19rocblas_trsv_deviceILi64ELi16ELb1ELb1ELb1ELb0EfPKfPKS1_PKPfEviT7_lllT6_T8_lllPii.num_vgpr, 34
	.set _ZL19rocblas_trsv_deviceILi64ELi16ELb1ELb1ELb1ELb0EfPKfPKS1_PKPfEviT7_lllT6_T8_lllPii.num_agpr, 0
	.set _ZL19rocblas_trsv_deviceILi64ELi16ELb1ELb1ELb1ELb0EfPKfPKS1_PKPfEviT7_lllT6_T8_lllPii.numbered_sgpr, 96
	.set _ZL19rocblas_trsv_deviceILi64ELi16ELb1ELb1ELb1ELb0EfPKfPKS1_PKPfEviT7_lllT6_T8_lllPii.num_named_barrier, 0
	.set _ZL19rocblas_trsv_deviceILi64ELi16ELb1ELb1ELb1ELb0EfPKfPKS1_PKPfEviT7_lllT6_T8_lllPii.private_seg_size, 0
	.set _ZL19rocblas_trsv_deviceILi64ELi16ELb1ELb1ELb1ELb0EfPKfPKS1_PKPfEviT7_lllT6_T8_lllPii.uses_vcc, 1
	.set _ZL19rocblas_trsv_deviceILi64ELi16ELb1ELb1ELb1ELb0EfPKfPKS1_PKPfEviT7_lllT6_T8_lllPii.uses_flat_scratch, 0
	.set _ZL19rocblas_trsv_deviceILi64ELi16ELb1ELb1ELb1ELb0EfPKfPKS1_PKPfEviT7_lllT6_T8_lllPii.has_dyn_sized_stack, 0
	.set _ZL19rocblas_trsv_deviceILi64ELi16ELb1ELb1ELb1ELb0EfPKfPKS1_PKPfEviT7_lllT6_T8_lllPii.has_recursion, 0
	.set _ZL19rocblas_trsv_deviceILi64ELi16ELb1ELb1ELb1ELb0EfPKfPKS1_PKPfEviT7_lllT6_T8_lllPii.has_indirect_call, 0
	.section	.AMDGPU.csdata,"",@progbits
; Kernel info:
; codeLenInByte = 39472
; TotalNumSgprs: 100
; NumVgprs: 34
; ScratchSize: 0
; MemoryBound: 0
; FloatMode: 240
; IeeeMode: 1
; LDSByteSize: 20740 bytes/workgroup (compile time only)
; SGPRBlocks: 12
; VGPRBlocks: 8
; NumSGPRsForWavesPerEU: 100
; NumVGPRsForWavesPerEU: 34
; Occupancy: 7
; WaveLimiterHint : 1
; COMPUTE_PGM_RSRC2:SCRATCH_EN: 0
; COMPUTE_PGM_RSRC2:USER_SGPR: 6
; COMPUTE_PGM_RSRC2:TRAP_HANDLER: 0
; COMPUTE_PGM_RSRC2:TGID_X_EN: 1
; COMPUTE_PGM_RSRC2:TGID_Y_EN: 0
; COMPUTE_PGM_RSRC2:TGID_Z_EN: 1
; COMPUTE_PGM_RSRC2:TIDIG_COMP_CNT: 1
	.section	.text._ZL19rocblas_trsv_deviceILi64ELi16ELb0ELb0ELb0ELb1EffPKPKfPKPfEviT7_lllT6_T8_lllPii,"axG",@progbits,_ZL19rocblas_trsv_deviceILi64ELi16ELb0ELb0ELb0ELb1EffPKPKfPKPfEviT7_lllT6_T8_lllPii,comdat
	.globl	_ZL19rocblas_trsv_deviceILi64ELi16ELb0ELb0ELb0ELb1EffPKPKfPKPfEviT7_lllT6_T8_lllPii ; -- Begin function _ZL19rocblas_trsv_deviceILi64ELi16ELb0ELb0ELb0ELb1EffPKPKfPKPfEviT7_lllT6_T8_lllPii
	.p2align	8
	.type	_ZL19rocblas_trsv_deviceILi64ELi16ELb0ELb0ELb0ELb1EffPKPKfPKPfEviT7_lllT6_T8_lllPii,@function
_ZL19rocblas_trsv_deviceILi64ELi16ELb0ELb0ELb0ELb1EffPKPKfPKPfEviT7_lllT6_T8_lllPii: ; @_ZL19rocblas_trsv_deviceILi64ELi16ELb0ELb0ELb0ELb1EffPKPKfPKPfEviT7_lllT6_T8_lllPii
; %bb.0:
	s_load_dwordx4 s[0:3], s[4:5], 0x8
	s_mov_b32 s20, s7
	s_mov_b32 s21, 0
	s_lshl_b64 s[8:9], s[20:21], 3
	s_waitcnt lgkmcnt(0)
	s_add_u32 s0, s0, s8
	s_addc_u32 s1, s1, s9
	s_load_dwordx2 s[10:11], s[0:1], 0x0
	s_load_dword s24, s[4:5], 0x0
	s_load_dwordx4 s[12:15], s[4:5], 0x30
	s_load_dwordx2 s[26:27], s[4:5], 0x18
	s_lshl_b64 s[0:1], s[2:3], 2
	s_waitcnt lgkmcnt(0)
	s_add_u32 s93, s10, s0
	s_addc_u32 s94, s11, s1
	s_add_u32 s0, s12, s8
	s_load_dword s7, s[4:5], 0x60
	s_addc_u32 s1, s13, s9
	s_load_dwordx2 s[30:31], s[0:1], 0x0
	s_load_dwordx2 s[22:23], s[4:5], 0x40
	s_load_dword s95, s[4:5], 0x6c
	s_waitcnt lgkmcnt(0)
	s_add_i32 s7, s7, -1
	s_sub_i32 s33, s7, s6
	s_cmp_eq_u32 s6, 0
	s_cbranch_scc1 .LBB109_10
; %bb.1:
	s_lshl_b32 s2, s33, 6
	v_add3_u32 v8, v1, s2, 64
	v_ashrrev_i32_e32 v2, 31, v8
	v_mul_lo_u32 v6, s26, v2
	v_mul_lo_u32 v7, s27, v8
	v_mad_u64_u32 v[2:3], s[0:1], s26, v8, 0
	v_add_u32_e32 v4, s2, v0
	v_ashrrev_i32_e32 v5, 31, v4
	v_add3_u32 v3, v3, v6, v7
	v_lshlrev_b64 v[2:3], 2, v[2:3]
	v_mov_b32_e32 v6, s94
	v_add_co_u32_e64 v7, s[0:1], s93, v2
	v_addc_co_u32_e64 v6, s[0:1], v6, v3, s[0:1]
	v_lshlrev_b64 v[2:3], 2, v[4:5]
	v_cmp_gt_i32_e32 vcc, s24, v4
	v_add_co_u32_e64 v2, s[0:1], v7, v2
	v_addc_co_u32_e64 v3, s[0:1], v6, v3, s[0:1]
	v_cmp_gt_i32_e64 s[0:1], s24, v8
	s_and_b64 s[2:3], vcc, s[0:1]
	v_mov_b32_e32 v5, 0
	v_mov_b32_e32 v4, 0
	s_barrier
	s_and_saveexec_b64 s[0:1], s[2:3]
	s_cbranch_execz .LBB109_3
; %bb.2:
	flat_load_dword v4, v[2:3]
.LBB109_3:
	s_or_b64 exec, exec, s[0:1]
	v_add_u32_e32 v6, 16, v8
	v_cmp_gt_i32_e64 s[0:1], s24, v6
	s_and_b64 s[0:1], vcc, s[0:1]
	s_waitcnt vmcnt(0) lgkmcnt(0)
	s_barrier
	s_and_saveexec_b64 s[2:3], s[0:1]
	s_cbranch_execz .LBB109_5
; %bb.4:
	s_lshl_b64 s[0:1], s[26:27], 6
	v_mov_b32_e32 v6, s1
	v_add_co_u32_e64 v5, s[0:1], s0, v2
	v_addc_co_u32_e64 v6, s[0:1], v3, v6, s[0:1]
	flat_load_dword v5, v[5:6]
.LBB109_5:
	s_or_b64 exec, exec, s[2:3]
	v_add_u32_e32 v6, 32, v8
	v_cmp_gt_i32_e64 s[0:1], s24, v6
	s_and_b64 s[0:1], vcc, s[0:1]
	v_mov_b32_e32 v6, 0
	v_mov_b32_e32 v7, 0
	s_waitcnt vmcnt(0) lgkmcnt(0)
	s_barrier
	s_and_saveexec_b64 s[2:3], s[0:1]
	s_cbranch_execz .LBB109_7
; %bb.6:
	s_lshl_b64 s[0:1], s[26:27], 7
	v_mov_b32_e32 v7, s1
	v_add_co_u32_e64 v9, s[0:1], s0, v2
	v_addc_co_u32_e64 v10, s[0:1], v3, v7, s[0:1]
	flat_load_dword v7, v[9:10]
.LBB109_7:
	s_or_b64 exec, exec, s[2:3]
	v_add_u32_e32 v8, 48, v8
	v_cmp_gt_i32_e64 s[0:1], s24, v8
	s_and_b64 s[2:3], vcc, s[0:1]
	s_waitcnt vmcnt(0) lgkmcnt(0)
	s_barrier
	s_and_saveexec_b64 s[0:1], s[2:3]
	s_cbranch_execz .LBB109_9
; %bb.8:
	v_mov_b32_e32 v6, 0xc0
	v_mad_u64_u32 v[2:3], s[2:3], s26, v6, v[2:3]
	s_mul_i32 s2, s27, 0xc0
	v_add_u32_e32 v3, s2, v3
	flat_load_dword v6, v[2:3]
.LBB109_9:
	s_or_b64 exec, exec, s[0:1]
	s_branch .LBB109_11
.LBB109_10:
                                        ; implicit-def: $vgpr6
                                        ; implicit-def: $vgpr7
                                        ; implicit-def: $vgpr5
                                        ; implicit-def: $vgpr4
.LBB109_11:
	s_ashr_i32 s25, s24, 31
	s_lshr_b32 s0, s25, 26
	s_add_i32 s0, s24, s0
	s_andn2_b32 s0, s0, 63
	s_sub_i32 s92, s24, s0
	s_add_i32 s0, s24, -1
	s_ashr_i32 s1, s0, 31
	s_lshr_b32 s1, s1, 26
	s_add_i32 s0, s0, s1
	s_ashr_i32 s0, s0, 6
	s_cmp_eq_u32 s0, s33
	s_cselect_b64 s[0:1], -1, 0
	s_cmp_lg_u32 s92, 0
	s_cselect_b64 s[2:3], -1, 0
	s_and_b64 s[28:29], s[2:3], s[0:1]
	s_mov_b64 s[2:3], -1
	s_and_b64 vcc, exec, s[28:29]
	v_cmp_le_u32_e64 s[0:1], v1, v0
	s_cbranch_vccnz .LBB109_27
; %bb.12:
	s_add_u32 s2, s26, 1
	s_addc_u32 s3, s27, 0
	s_lshl_b32 s8, s33, 6
	s_ashr_i32 s9, s8, 31
	s_mul_hi_u32 s10, s2, s8
	s_mul_i32 s9, s2, s9
	s_add_i32 s9, s10, s9
	s_mul_i32 s3, s3, s8
	s_add_i32 s3, s9, s3
	s_mul_i32 s2, s2, s8
	s_lshl_b64 s[2:3], s[2:3], 2
	s_add_u32 s2, s93, s2
	s_addc_u32 s3, s94, s3
	v_lshlrev_b32_e32 v8, 2, v0
	v_mov_b32_e32 v3, s3
	v_add_co_u32_e32 v2, vcc, s2, v8
	v_mov_b32_e32 v9, 0
	v_addc_co_u32_e32 v3, vcc, 0, v3, vcc
	s_mov_b64 s[2:3], 0
	s_and_saveexec_b64 s[8:9], s[0:1]
	s_xor_b64 s[0:1], exec, s[8:9]
	s_cbranch_execnz .LBB109_1092
; %bb.13:
	s_andn2_saveexec_b64 s[0:1], s[0:1]
	s_cbranch_execnz .LBB109_1093
.LBB109_14:
	s_or_b64 exec, exec, s[0:1]
	s_and_saveexec_b64 s[0:1], s[2:3]
.LBB109_15:
	v_lshl_add_u32 v10, v1, 8, v8
	ds_write_b32 v10, v9
.LBB109_16:
	s_or_b64 exec, exec, s[0:1]
	v_add_u32_e32 v9, 16, v1
	v_cmp_le_u32_e32 vcc, v9, v0
	s_mov_b64 s[0:1], 0
	s_and_saveexec_b64 s[2:3], vcc
	s_xor_b64 s[2:3], exec, s[2:3]
	s_cbranch_execnz .LBB109_1094
; %bb.17:
	s_or_saveexec_b64 s[2:3], s[2:3]
	v_mov_b32_e32 v10, 0
	s_xor_b64 exec, exec, s[2:3]
	s_cbranch_execnz .LBB109_1095
.LBB109_18:
	s_or_b64 exec, exec, s[2:3]
	s_and_saveexec_b64 s[2:3], s[0:1]
.LBB109_19:
	v_lshl_add_u32 v9, v9, 8, v8
	ds_write_b32 v9, v10
.LBB109_20:
	s_or_b64 exec, exec, s[2:3]
	v_add_u32_e32 v9, 32, v1
	v_cmp_le_u32_e32 vcc, v9, v0
	s_mov_b64 s[0:1], 0
	s_and_saveexec_b64 s[2:3], vcc
	s_xor_b64 s[2:3], exec, s[2:3]
	s_cbranch_execnz .LBB109_1096
; %bb.21:
	s_or_saveexec_b64 s[2:3], s[2:3]
	v_mov_b32_e32 v10, 0
	s_xor_b64 exec, exec, s[2:3]
	s_cbranch_execnz .LBB109_1097
.LBB109_22:
	s_or_b64 exec, exec, s[2:3]
	s_and_saveexec_b64 s[2:3], s[0:1]
.LBB109_23:
	v_lshl_add_u32 v8, v9, 8, v8
	ds_write_b32 v8, v10
.LBB109_24:
	s_or_b64 exec, exec, s[2:3]
	v_add_u32_e32 v8, 48, v1
	v_cmp_le_u32_e32 vcc, v8, v0
	s_mov_b64 s[0:1], -1
	s_mov_b64 s[2:3], 0
	s_mov_b64 s[8:9], 0
	s_and_saveexec_b64 s[10:11], vcc
	s_xor_b64 s[10:11], exec, s[10:11]
; %bb.25:
	v_or_b32_e32 v9, v8, v0
	v_cmp_gt_u32_e32 vcc, 64, v9
	s_and_b64 s[8:9], vcc, exec
	s_xor_b64 s[0:1], exec, -1
; %bb.26:
	s_or_b64 exec, exec, s[10:11]
	v_lshl_add_u32 v9, v8, 6, v0
	s_and_b64 vcc, exec, s[2:3]
	s_cbranch_vccnz .LBB109_28
	s_branch .LBB109_43
.LBB109_27:
	s_mov_b64 s[0:1], 0
	s_mov_b64 s[8:9], 0
                                        ; implicit-def: $vgpr9
                                        ; implicit-def: $vgpr2_vgpr3
                                        ; implicit-def: $vgpr8
	s_and_b64 vcc, exec, s[2:3]
	s_cbranch_vccz .LBB109_43
.LBB109_28:
	s_add_u32 s0, s26, 1
	s_addc_u32 s1, s27, 0
	s_lshl_b32 s2, s33, 6
	s_ashr_i32 s3, s2, 31
	s_mul_hi_u32 s10, s0, s2
	s_mul_i32 s3, s0, s3
	s_add_i32 s3, s10, s3
	s_mul_i32 s1, s1, s2
	s_add_i32 s1, s3, s1
	s_mul_i32 s0, s0, s2
	s_lshl_b64 s[0:1], s[0:1], 2
	s_add_u32 s0, s93, s0
	s_addc_u32 s1, s94, s1
	v_lshlrev_b32_e32 v8, 2, v0
	v_mov_b32_e32 v3, s1
	v_add_co_u32_e64 v2, s[0:1], s0, v8
	v_addc_co_u32_e64 v3, s[0:1], 0, v3, s[0:1]
	v_max_i32_e32 v10, v1, v0
	v_cmp_le_u32_e64 s[0:1], v1, v0
	v_cmp_le_i32_e64 s[2:3], s92, v10
	v_cmp_gt_i32_e32 vcc, s92, v0
	v_mov_b32_e32 v9, 0
	s_or_b64 s[0:1], s[2:3], s[0:1]
	s_mov_b64 s[2:3], 0
	s_and_saveexec_b64 s[10:11], s[0:1]
	s_xor_b64 s[10:11], exec, s[10:11]
	s_cbranch_execnz .LBB109_1098
; %bb.29:
	s_andn2_saveexec_b64 s[10:11], s[10:11]
	s_cbranch_execnz .LBB109_1099
.LBB109_30:
	s_or_b64 exec, exec, s[10:11]
	s_and_saveexec_b64 s[0:1], s[2:3]
.LBB109_31:
	v_lshl_add_u32 v10, v1, 8, v8
	ds_write_b32 v10, v9
.LBB109_32:
	s_or_b64 exec, exec, s[0:1]
	v_add_u32_e32 v9, 16, v1
	v_cmp_gt_u32_e64 s[0:1], v9, v0
	v_cmp_gt_i32_e64 s[2:3], s92, v9
	s_and_b64 s[0:1], s[0:1], s[2:3]
	s_and_b64 s[0:1], s[0:1], vcc
	s_xor_b64 s[0:1], s[0:1], -1
	s_mov_b64 s[2:3], 0
	s_and_saveexec_b64 s[10:11], s[0:1]
	s_xor_b64 s[10:11], exec, s[10:11]
	s_cbranch_execnz .LBB109_1100
; %bb.33:
	s_or_saveexec_b64 s[10:11], s[10:11]
	v_mov_b32_e32 v10, 0
	s_xor_b64 exec, exec, s[10:11]
	s_cbranch_execnz .LBB109_1101
.LBB109_34:
	s_or_b64 exec, exec, s[10:11]
	s_and_saveexec_b64 s[0:1], s[2:3]
.LBB109_35:
	v_lshl_add_u32 v9, v9, 8, v8
	ds_write_b32 v9, v10
.LBB109_36:
	s_or_b64 exec, exec, s[0:1]
	v_add_u32_e32 v9, 32, v1
	v_cmp_gt_u32_e64 s[0:1], v9, v0
	v_cmp_gt_i32_e64 s[2:3], s92, v9
	s_and_b64 s[0:1], s[0:1], s[2:3]
	s_and_b64 s[0:1], s[0:1], vcc
	s_xor_b64 s[0:1], s[0:1], -1
	s_mov_b64 s[2:3], 0
	s_and_saveexec_b64 s[10:11], s[0:1]
	s_xor_b64 s[10:11], exec, s[10:11]
	s_cbranch_execnz .LBB109_1102
; %bb.37:
	s_or_saveexec_b64 s[10:11], s[10:11]
	v_mov_b32_e32 v10, 0
	s_xor_b64 exec, exec, s[10:11]
	s_cbranch_execnz .LBB109_1103
.LBB109_38:
	s_or_b64 exec, exec, s[10:11]
	s_and_saveexec_b64 s[0:1], s[2:3]
.LBB109_39:
	v_lshl_add_u32 v8, v9, 8, v8
	ds_write_b32 v8, v10
.LBB109_40:
	s_or_b64 exec, exec, s[0:1]
	v_add_u32_e32 v8, 48, v1
	v_cmp_gt_u32_e64 s[0:1], v8, v0
	v_cmp_gt_i32_e64 s[2:3], s92, v8
	s_and_b64 s[0:1], s[0:1], s[2:3]
	s_and_b64 s[2:3], s[0:1], vcc
	s_mov_b64 s[0:1], -1
	s_xor_b64 s[10:11], s[2:3], -1
	s_and_saveexec_b64 s[2:3], s[10:11]
; %bb.41:
	v_or_b32_e32 v9, v8, v0
	v_cmp_gt_u32_e32 vcc, 64, v9
	s_andn2_b64 s[0:1], s[8:9], exec
	s_and_b64 s[8:9], vcc, exec
	s_or_b64 s[8:9], s[0:1], s[8:9]
	s_xor_b64 s[0:1], exec, -1
; %bb.42:
	s_or_b64 exec, exec, s[2:3]
	v_lshl_add_u32 v9, v8, 6, v0
.LBB109_43:
	v_mov_b32_e32 v10, 0
	s_and_saveexec_b64 s[2:3], s[0:1]
	s_cbranch_execnz .LBB109_1065
; %bb.44:
	s_or_b64 exec, exec, s[2:3]
	s_and_saveexec_b64 s[0:1], s[8:9]
.LBB109_45:
	v_lshlrev_b32_e32 v2, 2, v9
	ds_write_b32 v2, v10
.LBB109_46:
	s_or_b64 exec, exec, s[0:1]
	s_cmp_lt_i32 s6, 5
	s_cselect_b64 s[0:1], -1, 0
	s_or_b64 s[34:35], s[0:1], s[28:29]
	s_and_b64 vcc, exec, s[34:35]
	s_waitcnt vmcnt(0) lgkmcnt(0)
	s_barrier
	s_cbranch_vccnz .LBB109_1022
; %bb.47:
	v_or_b32_e32 v2, v0, v1
	v_cmp_eq_u32_e32 vcc, 0, v2
	s_and_saveexec_b64 s[0:1], vcc
; %bb.48:
	s_movk_i32 s2, 0x3c00
	v_mov_b32_e32 v2, 1.0
	v_add_u32_e64 v3, s2, 0
	ds_write2_b32 v3, v2, v2 offset0:190 offset1:255
; %bb.49:
	s_or_b64 exec, exec, s[0:1]
	v_lshlrev_b32_e32 v3, 6, v1
	v_add_u32_e32 v9, v3, v0
	v_and_b32_e32 v8, v3, v0
	v_xor_b32_e32 v3, v3, v0
	v_lshrrev_b16_e32 v3, 1, v3
	v_add_u16_e32 v8, v8, v3
	v_and_b32_e32 v2, 1, v0
	v_sub_u32_e32 v3, 1, v8
	v_cmp_lt_u32_e64 s[2:3], 3, v9
	v_cmp_gt_u32_e64 s[0:1], 4, v9
	v_mov_b32_e32 v10, 0
	s_waitcnt lgkmcnt(0)
	s_barrier
	buffer_wbinvl1_vol
	s_and_saveexec_b64 s[10:11], s[0:1]
	s_cbranch_execz .LBB109_53
; %bb.50:
	v_lshlrev_b32_e32 v10, 8, v3
	v_lshlrev_b32_e32 v11, 2, v2
	ds_read_b32 v12, v11 offset:16112
	ds_read_b32 v10, v10 offset:16120
	v_mov_b32_e32 v11, 0
	v_cmp_gt_u32_e64 s[8:9], 2, v9
	s_waitcnt lgkmcnt(0)
	v_fma_f32 v10, v12, v10, 0
	s_and_saveexec_b64 s[12:13], s[8:9]
	s_cbranch_execz .LBB109_52
; %bb.51:
	v_lshlrev_b32_e32 v12, 2, v0
	ds_read_b32 v12, v12 offset:16368
	ds_read_b32 v11, v11 offset:16380
	s_waitcnt lgkmcnt(0)
	v_fmac_f32_e32 v10, v12, v11
.LBB109_52:
	s_or_b64 exec, exec, s[12:13]
.LBB109_53:
	s_or_b64 exec, exec, s[10:11]
	v_mov_b32_e32 v11, 0x4000
	v_cmp_ne_u32_e64 s[8:9], 0, v2
	s_xor_b64 s[10:11], s[2:3], -1
	v_lshl_add_u32 v8, v8, 2, v11
	s_and_b64 s[38:39], s[8:9], s[10:11]
	s_and_saveexec_b64 s[2:3], s[38:39]
; %bb.54:
	v_xor_b32_e32 v11, 0x80000000, v10
	ds_write_b32 v8, v11
; %bb.55:
	s_or_b64 exec, exec, s[2:3]
	v_cmp_eq_u32_e64 s[2:3], 0, v2
	s_and_b64 s[36:37], s[2:3], s[10:11]
	s_waitcnt lgkmcnt(0)
	s_barrier
	s_and_saveexec_b64 s[2:3], s[36:37]
	s_cbranch_execz .LBB109_57
; %bb.56:
	v_mov_b32_e32 v11, 0
	ds_read_b32 v11, v11 offset:15856
	ds_read_b32 v12, v8
	s_waitcnt lgkmcnt(0)
	v_fma_f32 v10, -v11, v12, v10
.LBB109_57:
	s_or_b64 exec, exec, s[2:3]
	s_barrier
	s_and_saveexec_b64 s[2:3], s[36:37]
; %bb.58:
	v_xor_b32_e32 v11, 0x80000000, v10
	ds_write_b32 v8, v11
; %bb.59:
	s_or_b64 exec, exec, s[2:3]
	s_waitcnt lgkmcnt(0)
	s_barrier
	s_barrier
	s_and_saveexec_b64 s[2:3], s[0:1]
; %bb.60:
	v_lshlrev_b32_e32 v11, 2, v2
	v_lshl_or_b32 v11, v3, 8, v11
	ds_write_b32 v11, v10 offset:16112
; %bb.61:
	s_or_b64 exec, exec, s[2:3]
	s_waitcnt lgkmcnt(0)
	s_barrier
	s_barrier
	s_and_saveexec_b64 s[2:3], vcc
; %bb.62:
	s_movk_i32 s8, 0x3c00
	v_mov_b32_e32 v10, 1.0
	v_add_u32_e64 v11, s8, 0
	ds_write2_b32 v11, v10, v10 offset0:60 offset1:125
; %bb.63:
	s_or_b64 exec, exec, s[2:3]
	v_lshrrev_b32_e32 v12, 2, v9
	v_and_b32_e32 v10, 3, v0
	v_sub_u32_e32 v11, 3, v12
	v_cmp_lt_u32_e64 s[8:9], 15, v9
	v_cmp_gt_u32_e64 s[2:3], 16, v9
	v_mov_b32_e32 v13, 0
	s_waitcnt lgkmcnt(0)
	s_barrier
	buffer_wbinvl1_vol
	s_and_saveexec_b64 s[12:13], s[2:3]
	s_cbranch_execz .LBB109_69
; %bb.64:
	v_lshlrev_b32_e32 v15, 2, v10
	v_lshlrev_b32_e32 v14, 8, v11
	ds_read_b32 v13, v15 offset:15584
	ds_read_b32 v16, v14 offset:15600
	v_cmp_gt_u32_e64 s[10:11], 12, v9
	s_waitcnt lgkmcnt(0)
	v_fma_f32 v13, v13, v16, 0
	s_and_saveexec_b64 s[14:15], s[10:11]
	s_cbranch_execnz .LBB109_1108
; %bb.65:
	s_or_b64 exec, exec, s[14:15]
	v_cmp_gt_u32_e64 s[10:11], 8, v9
	s_and_saveexec_b64 s[14:15], s[10:11]
	s_cbranch_execnz .LBB109_1109
.LBB109_66:
	s_or_b64 exec, exec, s[14:15]
	v_cmp_gt_u32_e64 s[10:11], 4, v9
	s_and_saveexec_b64 s[14:15], s[10:11]
	s_cbranch_execz .LBB109_68
.LBB109_67:
	v_lshlrev_b32_e32 v14, 2, v0
	v_mov_b32_e32 v15, 0
	ds_read_b32 v14, v14 offset:16352
	ds_read_b32 v15, v15 offset:16380
	s_waitcnt lgkmcnt(0)
	v_fmac_f32_e32 v13, v14, v15
.LBB109_68:
	s_or_b64 exec, exec, s[14:15]
.LBB109_69:
	s_or_b64 exec, exec, s[12:13]
	v_mov_b32_e32 v14, 0x4000
	v_cmp_eq_u32_e64 s[10:11], 3, v10
	s_xor_b64 s[12:13], s[8:9], -1
	v_lshl_add_u32 v12, v12, 2, v14
	s_and_b64 s[42:43], s[10:11], s[12:13]
	s_and_saveexec_b64 s[8:9], s[42:43]
; %bb.70:
	v_xor_b32_e32 v14, 0x80000000, v13
	ds_write_b32 v12, v14
; %bb.71:
	s_or_b64 exec, exec, s[8:9]
	v_cmp_ne_u32_e64 s[8:9], 3, v10
	s_and_b64 s[44:45], s[8:9], s[12:13]
	s_waitcnt lgkmcnt(0)
	s_barrier
	s_and_saveexec_b64 s[8:9], s[44:45]
	s_cbranch_execz .LBB109_73
; %bb.72:
	v_lshlrev_b32_e32 v14, 2, v10
	ds_read_b32 v14, v14 offset:15328
	ds_read_b32 v15, v12
	s_waitcnt lgkmcnt(0)
	v_fma_f32 v13, -v14, v15, v13
.LBB109_73:
	s_or_b64 exec, exec, s[8:9]
	v_cmp_eq_u32_e64 s[8:9], 2, v10
	s_and_b64 s[46:47], s[8:9], s[12:13]
	s_barrier
	s_and_saveexec_b64 s[8:9], s[46:47]
; %bb.74:
	v_xor_b32_e32 v14, 0x80000000, v13
	ds_write_b32 v12, v14
; %bb.75:
	s_or_b64 exec, exec, s[8:9]
	v_cmp_gt_u32_e64 s[8:9], 2, v10
	s_and_b64 s[48:49], s[8:9], s[12:13]
	s_waitcnt lgkmcnt(0)
	s_barrier
	s_and_saveexec_b64 s[8:9], s[48:49]
	s_cbranch_execz .LBB109_77
; %bb.76:
	v_lshlrev_b32_e32 v14, 2, v10
	ds_read_b32 v14, v14 offset:15072
	ds_read_b32 v15, v12
	s_waitcnt lgkmcnt(0)
	v_fma_f32 v13, -v14, v15, v13
.LBB109_77:
	s_or_b64 exec, exec, s[8:9]
	v_cmp_eq_u32_e64 s[8:9], 1, v10
	s_and_b64 s[50:51], s[8:9], s[12:13]
	s_barrier
	s_and_saveexec_b64 s[8:9], s[50:51]
; %bb.78:
	v_xor_b32_e32 v14, 0x80000000, v13
	ds_write_b32 v12, v14
; %bb.79:
	s_or_b64 exec, exec, s[8:9]
	v_cmp_eq_u32_e64 s[8:9], 0, v10
	s_and_b64 s[40:41], s[8:9], s[12:13]
	s_waitcnt lgkmcnt(0)
	s_barrier
	s_and_saveexec_b64 s[8:9], s[40:41]
	s_cbranch_execz .LBB109_81
; %bb.80:
	v_mov_b32_e32 v14, 0
	ds_read_b32 v14, v14 offset:14816
	ds_read_b32 v15, v12
	s_waitcnt lgkmcnt(0)
	v_fma_f32 v13, -v14, v15, v13
.LBB109_81:
	s_or_b64 exec, exec, s[8:9]
	s_barrier
	s_and_saveexec_b64 s[8:9], s[40:41]
; %bb.82:
	v_xor_b32_e32 v14, 0x80000000, v13
	ds_write_b32 v12, v14
; %bb.83:
	s_or_b64 exec, exec, s[8:9]
	s_waitcnt lgkmcnt(0)
	s_barrier
	s_barrier
	s_and_saveexec_b64 s[8:9], s[2:3]
; %bb.84:
	v_lshlrev_b32_e32 v14, 2, v10
	v_lshl_or_b32 v14, v11, 8, v14
	ds_write_b32 v14, v13 offset:15584
; %bb.85:
	s_or_b64 exec, exec, s[8:9]
	s_waitcnt lgkmcnt(0)
	s_barrier
	s_barrier
	s_and_saveexec_b64 s[8:9], vcc
; %bb.86:
	s_movk_i32 s10, 0x3800
	v_mov_b32_e32 v13, 1.0
	v_add_u32_e64 v14, s10, 0
	ds_write2_b32 v14, v13, v13 offset0:186 offset1:251
; %bb.87:
	s_or_b64 exec, exec, s[8:9]
	v_mov_b32_e32 v13, 0
	s_waitcnt lgkmcnt(0)
	s_barrier
	buffer_wbinvl1_vol
	s_and_saveexec_b64 s[10:11], s[0:1]
	s_cbranch_execz .LBB109_91
; %bb.88:
	v_lshlrev_b32_e32 v13, 8, v3
	v_lshlrev_b32_e32 v14, 2, v2
	ds_read_b32 v15, v14 offset:15072
	ds_read_b32 v13, v13 offset:15080
	v_mov_b32_e32 v14, 0
	v_cmp_gt_u32_e64 s[8:9], 2, v9
	s_waitcnt lgkmcnt(0)
	v_fma_f32 v13, v15, v13, 0
	s_and_saveexec_b64 s[12:13], s[8:9]
	s_cbranch_execz .LBB109_90
; %bb.89:
	v_lshlrev_b32_e32 v15, 2, v0
	ds_read_b32 v15, v15 offset:15328
	ds_read_b32 v14, v14 offset:15340
	s_waitcnt lgkmcnt(0)
	v_fmac_f32_e32 v13, v15, v14
.LBB109_90:
	s_or_b64 exec, exec, s[12:13]
.LBB109_91:
	s_or_b64 exec, exec, s[10:11]
	s_and_saveexec_b64 s[8:9], s[38:39]
; %bb.92:
	v_xor_b32_e32 v14, 0x80000000, v13
	ds_write_b32 v8, v14
; %bb.93:
	s_or_b64 exec, exec, s[8:9]
	s_waitcnt lgkmcnt(0)
	s_barrier
	s_and_saveexec_b64 s[8:9], s[36:37]
	s_cbranch_execz .LBB109_95
; %bb.94:
	v_mov_b32_e32 v14, 0
	ds_read_b32 v14, v14 offset:14816
	ds_read_b32 v15, v8
	s_waitcnt lgkmcnt(0)
	v_fma_f32 v13, -v14, v15, v13
.LBB109_95:
	s_or_b64 exec, exec, s[8:9]
	s_barrier
	s_and_saveexec_b64 s[8:9], s[36:37]
; %bb.96:
	v_xor_b32_e32 v14, 0x80000000, v13
	ds_write_b32 v8, v14
; %bb.97:
	s_or_b64 exec, exec, s[8:9]
	s_waitcnt lgkmcnt(0)
	s_barrier
	s_barrier
	s_and_saveexec_b64 s[8:9], s[0:1]
; %bb.98:
	v_lshlrev_b32_e32 v14, 2, v2
	v_lshl_or_b32 v14, v3, 8, v14
	ds_write_b32 v14, v13 offset:15072
; %bb.99:
	s_or_b64 exec, exec, s[8:9]
	s_waitcnt lgkmcnt(0)
	s_barrier
	s_barrier
	s_and_saveexec_b64 s[8:9], vcc
; %bb.100:
	s_movk_i32 s10, 0x3800
	v_mov_b32_e32 v13, 1.0
	v_add_u32_e64 v14, s10, 0
	ds_write2_b32 v14, v13, v13 offset0:56 offset1:121
; %bb.101:
	s_or_b64 exec, exec, s[8:9]
	v_lshrrev_b32_e32 v15, 3, v9
	v_and_b32_e32 v13, 7, v0
	v_sub_u32_e32 v14, 7, v15
	v_cmp_lt_u32_e64 s[8:9], 63, v9
	v_cmp_gt_u32_e64 s[14:15], 64, v9
	v_mov_b32_e32 v16, 0
	s_waitcnt lgkmcnt(0)
	s_barrier
	buffer_wbinvl1_vol
	s_and_saveexec_b64 s[12:13], s[14:15]
	s_cbranch_execz .LBB109_111
; %bb.102:
	v_lshlrev_b32_e32 v18, 2, v13
	v_lshlrev_b32_e32 v17, 8, v14
	ds_read_b32 v16, v18 offset:14528
	ds_read_b32 v19, v17 offset:14560
	v_cmp_gt_u32_e64 s[10:11], 56, v9
	s_waitcnt lgkmcnt(0)
	v_fma_f32 v16, v16, v19, 0
	s_and_saveexec_b64 s[16:17], s[10:11]
	s_cbranch_execnz .LBB109_1110
; %bb.103:
	s_or_b64 exec, exec, s[16:17]
	v_cmp_gt_u32_e64 s[10:11], 48, v9
	s_and_saveexec_b64 s[16:17], s[10:11]
	s_cbranch_execnz .LBB109_1111
.LBB109_104:
	s_or_b64 exec, exec, s[16:17]
	v_cmp_gt_u32_e64 s[10:11], 40, v9
	s_and_saveexec_b64 s[16:17], s[10:11]
	s_cbranch_execnz .LBB109_1112
.LBB109_105:
	s_or_b64 exec, exec, s[16:17]
	v_cmp_gt_u32_e64 s[10:11], 32, v9
	s_and_saveexec_b64 s[16:17], s[10:11]
	s_cbranch_execnz .LBB109_1113
.LBB109_106:
	s_or_b64 exec, exec, s[16:17]
	v_cmp_gt_u32_e64 s[10:11], 24, v9
	s_and_saveexec_b64 s[16:17], s[10:11]
	s_cbranch_execnz .LBB109_1114
.LBB109_107:
	s_or_b64 exec, exec, s[16:17]
	s_and_saveexec_b64 s[10:11], s[2:3]
	s_cbranch_execnz .LBB109_1115
.LBB109_108:
	s_or_b64 exec, exec, s[10:11]
	v_cmp_gt_u32_e64 s[10:11], 8, v9
	s_and_saveexec_b64 s[16:17], s[10:11]
	s_cbranch_execz .LBB109_110
.LBB109_109:
	v_lshlrev_b32_e32 v17, 2, v0
	v_mov_b32_e32 v18, 0
	ds_read_b32 v17, v17 offset:16320
	ds_read_b32 v18, v18 offset:16380
	s_waitcnt lgkmcnt(0)
	v_fmac_f32_e32 v16, v17, v18
.LBB109_110:
	s_or_b64 exec, exec, s[16:17]
.LBB109_111:
	s_or_b64 exec, exec, s[12:13]
	v_mov_b32_e32 v17, 0x4000
	v_cmp_eq_u32_e64 s[10:11], 7, v13
	s_xor_b64 s[12:13], s[8:9], -1
	v_lshl_add_u32 v15, v15, 2, v17
	s_and_b64 s[52:53], s[10:11], s[12:13]
	s_and_saveexec_b64 s[8:9], s[52:53]
; %bb.112:
	v_xor_b32_e32 v17, 0x80000000, v16
	ds_write_b32 v15, v17
; %bb.113:
	s_or_b64 exec, exec, s[8:9]
	v_cmp_ne_u32_e64 s[8:9], 7, v13
	s_and_b64 s[54:55], s[8:9], s[12:13]
	s_waitcnt lgkmcnt(0)
	s_barrier
	s_and_saveexec_b64 s[8:9], s[54:55]
	s_cbranch_execz .LBB109_115
; %bb.114:
	v_lshlrev_b32_e32 v17, 2, v13
	ds_read_b32 v17, v17 offset:14272
	ds_read_b32 v18, v15
	s_waitcnt lgkmcnt(0)
	v_fma_f32 v16, -v17, v18, v16
.LBB109_115:
	s_or_b64 exec, exec, s[8:9]
	v_cmp_eq_u32_e64 s[8:9], 6, v13
	s_and_b64 s[56:57], s[8:9], s[12:13]
	s_barrier
	s_and_saveexec_b64 s[8:9], s[56:57]
; %bb.116:
	v_xor_b32_e32 v17, 0x80000000, v16
	ds_write_b32 v15, v17
; %bb.117:
	s_or_b64 exec, exec, s[8:9]
	v_cmp_gt_u32_e64 s[8:9], 6, v13
	s_and_b64 s[58:59], s[8:9], s[12:13]
	s_waitcnt lgkmcnt(0)
	s_barrier
	s_and_saveexec_b64 s[8:9], s[58:59]
	s_cbranch_execz .LBB109_119
; %bb.118:
	v_lshlrev_b32_e32 v17, 2, v13
	ds_read_b32 v17, v17 offset:14016
	ds_read_b32 v18, v15
	s_waitcnt lgkmcnt(0)
	v_fma_f32 v16, -v17, v18, v16
.LBB109_119:
	s_or_b64 exec, exec, s[8:9]
	v_cmp_eq_u32_e64 s[8:9], 5, v13
	s_and_b64 s[60:61], s[8:9], s[12:13]
	s_barrier
	s_and_saveexec_b64 s[8:9], s[60:61]
; %bb.120:
	v_xor_b32_e32 v17, 0x80000000, v16
	ds_write_b32 v15, v17
; %bb.121:
	s_or_b64 exec, exec, s[8:9]
	v_cmp_gt_u32_e64 s[8:9], 5, v13
	;; [unrolled: 23-line block ×5, first 2 shown]
	s_and_b64 s[76:77], s[8:9], s[12:13]
	s_waitcnt lgkmcnt(0)
	s_barrier
	s_and_saveexec_b64 s[8:9], s[76:77]
	s_cbranch_execz .LBB109_135
; %bb.134:
	v_lshlrev_b32_e32 v17, 2, v13
	ds_read_b32 v17, v17 offset:12992
	ds_read_b32 v18, v15
	s_waitcnt lgkmcnt(0)
	v_fma_f32 v16, -v17, v18, v16
.LBB109_135:
	s_or_b64 exec, exec, s[8:9]
	v_cmp_eq_u32_e64 s[8:9], 1, v13
	s_and_b64 s[78:79], s[8:9], s[12:13]
	s_barrier
	s_and_saveexec_b64 s[8:9], s[78:79]
; %bb.136:
	v_xor_b32_e32 v17, 0x80000000, v16
	ds_write_b32 v15, v17
; %bb.137:
	s_or_b64 exec, exec, s[8:9]
	v_cmp_eq_u32_e64 s[8:9], 0, v13
	s_and_b64 s[62:63], s[8:9], s[12:13]
	s_waitcnt lgkmcnt(0)
	s_barrier
	s_and_saveexec_b64 s[8:9], s[62:63]
	s_cbranch_execz .LBB109_139
; %bb.138:
	v_mov_b32_e32 v17, 0
	ds_read_b32 v17, v17 offset:12736
	ds_read_b32 v18, v15
	s_waitcnt lgkmcnt(0)
	v_fma_f32 v16, -v17, v18, v16
.LBB109_139:
	s_or_b64 exec, exec, s[8:9]
	s_barrier
	s_and_saveexec_b64 s[8:9], s[62:63]
; %bb.140:
	v_xor_b32_e32 v17, 0x80000000, v16
	ds_write_b32 v15, v17
; %bb.141:
	s_or_b64 exec, exec, s[8:9]
	s_waitcnt lgkmcnt(0)
	s_barrier
	s_barrier
	s_and_saveexec_b64 s[8:9], s[14:15]
; %bb.142:
	v_lshlrev_b32_e32 v17, 2, v13
	v_lshl_or_b32 v17, v14, 8, v17
	ds_write_b32 v17, v16 offset:14528
; %bb.143:
	s_or_b64 exec, exec, s[8:9]
	s_waitcnt lgkmcnt(0)
	s_barrier
	s_barrier
	s_and_saveexec_b64 s[8:9], vcc
; %bb.144:
	s_movk_i32 s10, 0x3400
	v_mov_b32_e32 v16, 1.0
	v_add_u32_e64 v17, s10, 0
	ds_write2_b32 v17, v16, v16 offset0:182 offset1:247
; %bb.145:
	s_or_b64 exec, exec, s[8:9]
	v_mov_b32_e32 v16, 0
	s_waitcnt lgkmcnt(0)
	s_barrier
	buffer_wbinvl1_vol
	s_and_saveexec_b64 s[10:11], s[0:1]
	s_cbranch_execz .LBB109_149
; %bb.146:
	v_lshlrev_b32_e32 v16, 8, v3
	v_lshlrev_b32_e32 v17, 2, v2
	ds_read_b32 v18, v17 offset:14032
	ds_read_b32 v16, v16 offset:14040
	v_mov_b32_e32 v17, 0
	v_cmp_gt_u32_e64 s[8:9], 2, v9
	s_waitcnt lgkmcnt(0)
	v_fma_f32 v16, v18, v16, 0
	s_and_saveexec_b64 s[12:13], s[8:9]
	s_cbranch_execz .LBB109_148
; %bb.147:
	v_lshlrev_b32_e32 v18, 2, v0
	ds_read_b32 v18, v18 offset:14288
	ds_read_b32 v17, v17 offset:14300
	s_waitcnt lgkmcnt(0)
	v_fmac_f32_e32 v16, v18, v17
.LBB109_148:
	s_or_b64 exec, exec, s[12:13]
.LBB109_149:
	s_or_b64 exec, exec, s[10:11]
	s_and_saveexec_b64 s[8:9], s[38:39]
; %bb.150:
	v_xor_b32_e32 v17, 0x80000000, v16
	ds_write_b32 v8, v17
; %bb.151:
	s_or_b64 exec, exec, s[8:9]
	s_waitcnt lgkmcnt(0)
	s_barrier
	s_and_saveexec_b64 s[8:9], s[36:37]
	s_cbranch_execz .LBB109_153
; %bb.152:
	v_mov_b32_e32 v17, 0
	ds_read_b32 v17, v17 offset:13776
	ds_read_b32 v18, v8
	s_waitcnt lgkmcnt(0)
	v_fma_f32 v16, -v17, v18, v16
.LBB109_153:
	s_or_b64 exec, exec, s[8:9]
	s_barrier
	s_and_saveexec_b64 s[8:9], s[36:37]
; %bb.154:
	v_xor_b32_e32 v17, 0x80000000, v16
	ds_write_b32 v8, v17
; %bb.155:
	s_or_b64 exec, exec, s[8:9]
	s_waitcnt lgkmcnt(0)
	s_barrier
	s_barrier
	s_and_saveexec_b64 s[8:9], s[0:1]
; %bb.156:
	v_lshlrev_b32_e32 v17, 2, v2
	v_lshl_or_b32 v17, v3, 8, v17
	ds_write_b32 v17, v16 offset:14032
; %bb.157:
	s_or_b64 exec, exec, s[8:9]
	s_waitcnt lgkmcnt(0)
	s_barrier
	s_barrier
	s_and_saveexec_b64 s[8:9], vcc
; %bb.158:
	s_movk_i32 s10, 0x3400
	v_mov_b32_e32 v16, 1.0
	v_add_u32_e64 v17, s10, 0
	ds_write2_b32 v17, v16, v16 offset0:52 offset1:117
; %bb.159:
	s_or_b64 exec, exec, s[8:9]
	v_mov_b32_e32 v16, 0
	s_waitcnt lgkmcnt(0)
	s_barrier
	buffer_wbinvl1_vol
	s_and_saveexec_b64 s[10:11], s[2:3]
	s_cbranch_execz .LBB109_165
; %bb.160:
	v_lshlrev_b32_e32 v18, 2, v10
	v_lshlrev_b32_e32 v17, 8, v11
	ds_read_b32 v16, v18 offset:13504
	ds_read_b32 v19, v17 offset:13520
	v_cmp_gt_u32_e64 s[8:9], 12, v9
	s_waitcnt lgkmcnt(0)
	v_fma_f32 v16, v16, v19, 0
	s_and_saveexec_b64 s[12:13], s[8:9]
	s_cbranch_execnz .LBB109_1116
; %bb.161:
	s_or_b64 exec, exec, s[12:13]
	v_cmp_gt_u32_e64 s[8:9], 8, v9
	s_and_saveexec_b64 s[12:13], s[8:9]
	s_cbranch_execnz .LBB109_1117
.LBB109_162:
	s_or_b64 exec, exec, s[12:13]
	v_cmp_gt_u32_e64 s[8:9], 4, v9
	s_and_saveexec_b64 s[12:13], s[8:9]
	s_cbranch_execz .LBB109_164
.LBB109_163:
	v_lshlrev_b32_e32 v17, 2, v0
	v_mov_b32_e32 v18, 0
	ds_read_b32 v17, v17 offset:14272
	ds_read_b32 v18, v18 offset:14300
	s_waitcnt lgkmcnt(0)
	v_fmac_f32_e32 v16, v17, v18
.LBB109_164:
	s_or_b64 exec, exec, s[12:13]
.LBB109_165:
	s_or_b64 exec, exec, s[10:11]
	s_and_saveexec_b64 s[8:9], s[42:43]
; %bb.166:
	v_xor_b32_e32 v17, 0x80000000, v16
	ds_write_b32 v12, v17
; %bb.167:
	s_or_b64 exec, exec, s[8:9]
	s_waitcnt lgkmcnt(0)
	s_barrier
	s_and_saveexec_b64 s[8:9], s[44:45]
	s_cbranch_execz .LBB109_169
; %bb.168:
	v_lshlrev_b32_e32 v17, 2, v10
	ds_read_b32 v17, v17 offset:13248
	ds_read_b32 v18, v12
	s_waitcnt lgkmcnt(0)
	v_fma_f32 v16, -v17, v18, v16
.LBB109_169:
	s_or_b64 exec, exec, s[8:9]
	s_barrier
	s_and_saveexec_b64 s[8:9], s[46:47]
; %bb.170:
	v_xor_b32_e32 v17, 0x80000000, v16
	ds_write_b32 v12, v17
; %bb.171:
	s_or_b64 exec, exec, s[8:9]
	s_waitcnt lgkmcnt(0)
	s_barrier
	s_and_saveexec_b64 s[8:9], s[48:49]
	s_cbranch_execz .LBB109_173
; %bb.172:
	v_lshlrev_b32_e32 v17, 2, v10
	ds_read_b32 v17, v17 offset:12992
	ds_read_b32 v18, v12
	s_waitcnt lgkmcnt(0)
	v_fma_f32 v16, -v17, v18, v16
.LBB109_173:
	s_or_b64 exec, exec, s[8:9]
	s_barrier
	s_and_saveexec_b64 s[8:9], s[50:51]
; %bb.174:
	v_xor_b32_e32 v17, 0x80000000, v16
	ds_write_b32 v12, v17
; %bb.175:
	s_or_b64 exec, exec, s[8:9]
	s_waitcnt lgkmcnt(0)
	s_barrier
	s_and_saveexec_b64 s[8:9], s[40:41]
	s_cbranch_execz .LBB109_177
; %bb.176:
	v_mov_b32_e32 v17, 0
	ds_read_b32 v17, v17 offset:12736
	ds_read_b32 v18, v12
	s_waitcnt lgkmcnt(0)
	v_fma_f32 v16, -v17, v18, v16
.LBB109_177:
	s_or_b64 exec, exec, s[8:9]
	s_barrier
	s_and_saveexec_b64 s[8:9], s[40:41]
; %bb.178:
	v_xor_b32_e32 v17, 0x80000000, v16
	ds_write_b32 v12, v17
; %bb.179:
	s_or_b64 exec, exec, s[8:9]
	s_waitcnt lgkmcnt(0)
	s_barrier
	s_barrier
	s_and_saveexec_b64 s[8:9], s[2:3]
; %bb.180:
	v_lshlrev_b32_e32 v17, 2, v10
	v_lshl_or_b32 v17, v11, 8, v17
	ds_write_b32 v17, v16 offset:13504
; %bb.181:
	s_or_b64 exec, exec, s[8:9]
	s_waitcnt lgkmcnt(0)
	s_barrier
	s_barrier
	s_and_saveexec_b64 s[8:9], vcc
; %bb.182:
	s_movk_i32 s10, 0x3000
	v_mov_b32_e32 v16, 1.0
	v_add_u32_e64 v17, s10, 0
	ds_write2_b32 v17, v16, v16 offset0:178 offset1:243
; %bb.183:
	s_or_b64 exec, exec, s[8:9]
	v_mov_b32_e32 v16, 0
	s_waitcnt lgkmcnt(0)
	s_barrier
	buffer_wbinvl1_vol
	s_and_saveexec_b64 s[10:11], s[0:1]
	s_cbranch_execz .LBB109_187
; %bb.184:
	v_lshlrev_b32_e32 v16, 8, v3
	v_lshlrev_b32_e32 v17, 2, v2
	ds_read_b32 v18, v17 offset:12992
	ds_read_b32 v16, v16 offset:13000
	v_mov_b32_e32 v17, 0
	v_cmp_gt_u32_e64 s[8:9], 2, v9
	s_waitcnt lgkmcnt(0)
	v_fma_f32 v16, v18, v16, 0
	s_and_saveexec_b64 s[12:13], s[8:9]
	s_cbranch_execz .LBB109_186
; %bb.185:
	v_lshlrev_b32_e32 v18, 2, v0
	ds_read_b32 v18, v18 offset:13248
	ds_read_b32 v17, v17 offset:13260
	s_waitcnt lgkmcnt(0)
	v_fmac_f32_e32 v16, v18, v17
.LBB109_186:
	s_or_b64 exec, exec, s[12:13]
.LBB109_187:
	s_or_b64 exec, exec, s[10:11]
	s_and_saveexec_b64 s[8:9], s[38:39]
; %bb.188:
	v_xor_b32_e32 v17, 0x80000000, v16
	ds_write_b32 v8, v17
; %bb.189:
	s_or_b64 exec, exec, s[8:9]
	s_waitcnt lgkmcnt(0)
	s_barrier
	s_and_saveexec_b64 s[8:9], s[36:37]
	s_cbranch_execz .LBB109_191
; %bb.190:
	v_mov_b32_e32 v17, 0
	ds_read_b32 v17, v17 offset:12736
	ds_read_b32 v18, v8
	s_waitcnt lgkmcnt(0)
	v_fma_f32 v16, -v17, v18, v16
.LBB109_191:
	s_or_b64 exec, exec, s[8:9]
	s_barrier
	s_and_saveexec_b64 s[8:9], s[36:37]
; %bb.192:
	v_xor_b32_e32 v17, 0x80000000, v16
	ds_write_b32 v8, v17
; %bb.193:
	s_or_b64 exec, exec, s[8:9]
	s_waitcnt lgkmcnt(0)
	s_barrier
	s_barrier
	s_and_saveexec_b64 s[8:9], s[0:1]
; %bb.194:
	v_lshlrev_b32_e32 v17, 2, v2
	v_lshl_or_b32 v17, v3, 8, v17
	ds_write_b32 v17, v16 offset:12992
; %bb.195:
	s_or_b64 exec, exec, s[8:9]
	s_waitcnt lgkmcnt(0)
	s_barrier
	s_barrier
	s_and_saveexec_b64 s[8:9], vcc
; %bb.196:
	s_movk_i32 s10, 0x3000
	v_mov_b32_e32 v16, 1.0
	v_add_u32_e64 v17, s10, 0
	ds_write2_b32 v17, v16, v16 offset0:48 offset1:113
; %bb.197:
	s_or_b64 exec, exec, s[8:9]
	s_movk_i32 s8, 0xff
	v_lshrrev_b32_e32 v18, 4, v9
	v_cmp_lt_u32_e64 s[10:11], s8, v9
	s_movk_i32 s8, 0x100
	v_and_b32_e32 v16, 15, v0
	v_sub_u32_e32 v17, 15, v18
	v_cmp_gt_u32_e64 s[8:9], s8, v9
	v_mov_b32_e32 v19, 0
	s_waitcnt lgkmcnt(0)
	s_barrier
	buffer_wbinvl1_vol
	s_and_saveexec_b64 s[16:17], s[8:9]
	s_cbranch_execz .LBB109_225
; %bb.198:
	v_lshlrev_b32_e32 v21, 2, v16
	v_lshlrev_b32_e32 v20, 8, v17
	ds_read_b32 v19, v21 offset:12416
	ds_read_b32 v22, v20 offset:12480
	s_movk_i32 s12, 0xf0
	v_cmp_gt_u32_e64 s[12:13], s12, v9
	s_waitcnt lgkmcnt(0)
	v_fma_f32 v19, v19, v22, 0
	s_and_saveexec_b64 s[18:19], s[12:13]
	s_cbranch_execz .LBB109_200
; %bb.199:
	ds_read_b32 v22, v21 offset:12672
	ds_read_b32 v23, v20 offset:12484
	s_waitcnt lgkmcnt(0)
	v_fmac_f32_e32 v19, v22, v23
.LBB109_200:
	s_or_b64 exec, exec, s[18:19]
	s_movk_i32 s12, 0xe0
	v_cmp_gt_u32_e64 s[12:13], s12, v9
	s_and_saveexec_b64 s[18:19], s[12:13]
	s_cbranch_execz .LBB109_202
; %bb.201:
	ds_read_b32 v22, v21 offset:12928
	ds_read_b32 v23, v20 offset:12488
	s_waitcnt lgkmcnt(0)
	v_fmac_f32_e32 v19, v22, v23
.LBB109_202:
	s_or_b64 exec, exec, s[18:19]
	s_movk_i32 s12, 0xd0
	v_cmp_gt_u32_e64 s[12:13], s12, v9
	;; [unrolled: 11-line block ×10, first 2 shown]
	s_and_saveexec_b64 s[18:19], s[12:13]
	s_cbranch_execnz .LBB109_1118
; %bb.219:
	s_or_b64 exec, exec, s[18:19]
	s_and_saveexec_b64 s[12:13], s[14:15]
	s_cbranch_execnz .LBB109_1119
.LBB109_220:
	s_or_b64 exec, exec, s[12:13]
	v_cmp_gt_u32_e64 s[12:13], 48, v9
	s_and_saveexec_b64 s[18:19], s[12:13]
	s_cbranch_execnz .LBB109_1120
.LBB109_221:
	s_or_b64 exec, exec, s[18:19]
	v_cmp_gt_u32_e64 s[12:13], 32, v9
	s_and_saveexec_b64 s[18:19], s[12:13]
	s_cbranch_execnz .LBB109_1121
.LBB109_222:
	s_or_b64 exec, exec, s[18:19]
	v_cmp_gt_u32_e64 s[12:13], 16, v9
	s_and_saveexec_b64 s[18:19], s[12:13]
	s_cbranch_execz .LBB109_224
.LBB109_223:
	v_lshlrev_b32_e32 v20, 2, v0
	v_mov_b32_e32 v21, 0
	ds_read_b32 v20, v20 offset:16256
	ds_read_b32 v21, v21 offset:16380
	s_waitcnt lgkmcnt(0)
	v_fmac_f32_e32 v19, v20, v21
.LBB109_224:
	s_or_b64 exec, exec, s[18:19]
.LBB109_225:
	s_or_b64 exec, exec, s[16:17]
	v_mov_b32_e32 v20, 0x4000
	v_lshl_add_u32 v18, v18, 2, v20
	v_cmp_eq_u32_e64 s[12:13], 15, v16
	s_xor_b64 s[16:17], s[10:11], -1
	s_and_b64 s[12:13], s[12:13], s[16:17]
	s_mov_b64 s[10:11], exec
                                        ; implicit-def: $vgpr27 : SGPR spill to VGPR lane
	v_writelane_b32 v27, s12, 0
	v_writelane_b32 v27, s13, 1
	s_and_b64 s[12:13], s[10:11], s[12:13]
	s_mov_b64 exec, s[12:13]
; %bb.226:
	v_xor_b32_e32 v20, 0x80000000, v19
	ds_write_b32 v18, v20
; %bb.227:
	s_or_b64 exec, exec, s[10:11]
	v_cmp_ne_u32_e64 s[10:11], 15, v16
	s_waitcnt lgkmcnt(0)
	s_barrier
	s_and_b64 s[12:13], s[10:11], s[16:17]
	s_mov_b64 s[10:11], exec
	v_writelane_b32 v27, s12, 2
	v_writelane_b32 v27, s13, 3
	s_and_b64 s[12:13], s[10:11], s[12:13]
	s_mov_b64 exec, s[12:13]
	s_cbranch_execz .LBB109_229
; %bb.228:
	v_lshlrev_b32_e32 v20, 2, v16
	ds_read_b32 v20, v20 offset:12160
	ds_read_b32 v21, v18
	s_waitcnt lgkmcnt(0)
	v_fma_f32 v19, -v20, v21, v19
.LBB109_229:
	s_or_b64 exec, exec, s[10:11]
	v_cmp_eq_u32_e64 s[10:11], 14, v16
	s_barrier
	s_and_b64 s[12:13], s[10:11], s[16:17]
	s_mov_b64 s[10:11], exec
	v_writelane_b32 v27, s12, 4
	v_writelane_b32 v27, s13, 5
	s_and_b64 s[12:13], s[10:11], s[12:13]
	s_mov_b64 exec, s[12:13]
; %bb.230:
	v_xor_b32_e32 v20, 0x80000000, v19
	ds_write_b32 v18, v20
; %bb.231:
	s_or_b64 exec, exec, s[10:11]
	v_cmp_gt_u32_e64 s[10:11], 14, v16
	s_waitcnt lgkmcnt(0)
	s_barrier
	s_and_b64 s[12:13], s[10:11], s[16:17]
	s_mov_b64 s[10:11], exec
	v_writelane_b32 v27, s12, 6
	v_writelane_b32 v27, s13, 7
	s_and_b64 s[12:13], s[10:11], s[12:13]
	s_mov_b64 exec, s[12:13]
	s_cbranch_execz .LBB109_233
; %bb.232:
	v_lshlrev_b32_e32 v20, 2, v16
	ds_read_b32 v20, v20 offset:11904
	ds_read_b32 v21, v18
	s_waitcnt lgkmcnt(0)
	v_fma_f32 v19, -v20, v21, v19
.LBB109_233:
	s_or_b64 exec, exec, s[10:11]
	v_cmp_eq_u32_e64 s[10:11], 13, v16
	s_barrier
	s_and_b64 s[12:13], s[10:11], s[16:17]
	s_mov_b64 s[10:11], exec
	v_writelane_b32 v27, s12, 8
	v_writelane_b32 v27, s13, 9
	s_and_b64 s[12:13], s[10:11], s[12:13]
	s_mov_b64 exec, s[12:13]
; %bb.234:
	v_xor_b32_e32 v20, 0x80000000, v19
	ds_write_b32 v18, v20
; %bb.235:
	s_or_b64 exec, exec, s[10:11]
	v_cmp_gt_u32_e64 s[10:11], 13, v16
	;; [unrolled: 31-line block ×12, first 2 shown]
	s_and_b64 s[18:19], s[10:11], s[16:17]
	s_waitcnt lgkmcnt(0)
	s_barrier
	s_and_saveexec_b64 s[10:11], s[18:19]
	s_cbranch_execz .LBB109_277
; %bb.276:
	v_lshlrev_b32_e32 v20, 2, v16
	ds_read_b32 v20, v20 offset:9088
	ds_read_b32 v21, v18
	s_waitcnt lgkmcnt(0)
	v_fma_f32 v19, -v20, v21, v19
.LBB109_277:
	s_or_b64 exec, exec, s[10:11]
	v_cmp_eq_u32_e64 s[10:11], 2, v16
	s_and_b64 s[80:81], s[10:11], s[16:17]
	s_barrier
	s_and_saveexec_b64 s[10:11], s[80:81]
; %bb.278:
	v_xor_b32_e32 v20, 0x80000000, v19
	ds_write_b32 v18, v20
; %bb.279:
	s_or_b64 exec, exec, s[10:11]
	v_cmp_gt_u32_e64 s[10:11], 2, v16
	s_and_b64 s[82:83], s[10:11], s[16:17]
	s_waitcnt lgkmcnt(0)
	s_barrier
	s_and_saveexec_b64 s[10:11], s[82:83]
	s_cbranch_execz .LBB109_281
; %bb.280:
	v_lshlrev_b32_e32 v20, 2, v16
	ds_read_b32 v20, v20 offset:8832
	ds_read_b32 v21, v18
	s_waitcnt lgkmcnt(0)
	v_fma_f32 v19, -v20, v21, v19
.LBB109_281:
	s_or_b64 exec, exec, s[10:11]
	v_cmp_eq_u32_e64 s[10:11], 1, v16
	s_and_b64 s[84:85], s[10:11], s[16:17]
	s_barrier
	s_and_saveexec_b64 s[10:11], s[84:85]
; %bb.282:
	v_xor_b32_e32 v20, 0x80000000, v19
	ds_write_b32 v18, v20
; %bb.283:
	s_or_b64 exec, exec, s[10:11]
	v_cmp_eq_u32_e64 s[10:11], 0, v16
	s_and_b64 s[86:87], s[10:11], s[16:17]
	s_waitcnt lgkmcnt(0)
	s_barrier
	s_and_saveexec_b64 s[10:11], s[86:87]
	s_cbranch_execz .LBB109_285
; %bb.284:
	v_mov_b32_e32 v20, 0
	ds_read_b32 v20, v20 offset:8576
	ds_read_b32 v21, v18
	s_waitcnt lgkmcnt(0)
	v_fma_f32 v19, -v20, v21, v19
.LBB109_285:
	s_or_b64 exec, exec, s[10:11]
	s_barrier
	s_and_saveexec_b64 s[10:11], s[86:87]
; %bb.286:
	v_xor_b32_e32 v20, 0x80000000, v19
	ds_write_b32 v18, v20
; %bb.287:
	s_or_b64 exec, exec, s[10:11]
	s_waitcnt lgkmcnt(0)
	s_barrier
	s_barrier
	s_and_saveexec_b64 s[10:11], s[8:9]
; %bb.288:
	v_lshlrev_b32_e32 v20, 2, v16
	v_lshl_or_b32 v20, v17, 8, v20
	ds_write_b32 v20, v19 offset:12416
; %bb.289:
	s_or_b64 exec, exec, s[10:11]
	s_waitcnt lgkmcnt(0)
	s_barrier
	s_barrier
	s_and_saveexec_b64 s[10:11], vcc
; %bb.290:
	s_movk_i32 s12, 0x2c00
	v_mov_b32_e32 v19, 1.0
	v_add_u32_e64 v20, s12, 0
	ds_write2_b32 v20, v19, v19 offset0:174 offset1:239
; %bb.291:
	s_or_b64 exec, exec, s[10:11]
	v_mov_b32_e32 v19, 0
	s_waitcnt lgkmcnt(0)
	s_barrier
	buffer_wbinvl1_vol
	s_and_saveexec_b64 s[12:13], s[0:1]
	s_cbranch_execz .LBB109_295
; %bb.292:
	v_lshlrev_b32_e32 v19, 8, v3
	v_lshlrev_b32_e32 v20, 2, v2
	ds_read_b32 v21, v20 offset:11952
	ds_read_b32 v19, v19 offset:11960
	v_mov_b32_e32 v20, 0
	v_cmp_gt_u32_e64 s[10:11], 2, v9
	s_waitcnt lgkmcnt(0)
	v_fma_f32 v19, v21, v19, 0
	s_and_saveexec_b64 s[16:17], s[10:11]
	s_cbranch_execz .LBB109_294
; %bb.293:
	v_lshlrev_b32_e32 v21, 2, v0
	ds_read_b32 v21, v21 offset:12208
	ds_read_b32 v20, v20 offset:12220
	s_waitcnt lgkmcnt(0)
	v_fmac_f32_e32 v19, v21, v20
.LBB109_294:
	s_or_b64 exec, exec, s[16:17]
.LBB109_295:
	s_or_b64 exec, exec, s[12:13]
	s_and_saveexec_b64 s[10:11], s[38:39]
; %bb.296:
	v_xor_b32_e32 v20, 0x80000000, v19
	ds_write_b32 v8, v20
; %bb.297:
	s_or_b64 exec, exec, s[10:11]
	s_waitcnt lgkmcnt(0)
	s_barrier
	s_and_saveexec_b64 s[10:11], s[36:37]
	s_cbranch_execz .LBB109_299
; %bb.298:
	v_mov_b32_e32 v20, 0
	ds_read_b32 v20, v20 offset:11696
	ds_read_b32 v21, v8
	s_waitcnt lgkmcnt(0)
	v_fma_f32 v19, -v20, v21, v19
.LBB109_299:
	s_or_b64 exec, exec, s[10:11]
	s_barrier
	s_and_saveexec_b64 s[10:11], s[36:37]
; %bb.300:
	v_xor_b32_e32 v20, 0x80000000, v19
	ds_write_b32 v8, v20
; %bb.301:
	s_or_b64 exec, exec, s[10:11]
	s_waitcnt lgkmcnt(0)
	s_barrier
	s_barrier
	s_and_saveexec_b64 s[10:11], s[0:1]
; %bb.302:
	v_lshlrev_b32_e32 v20, 2, v2
	v_lshl_or_b32 v20, v3, 8, v20
	ds_write_b32 v20, v19 offset:11952
; %bb.303:
	s_or_b64 exec, exec, s[10:11]
	s_waitcnt lgkmcnt(0)
	s_barrier
	s_barrier
	s_and_saveexec_b64 s[10:11], vcc
; %bb.304:
	s_movk_i32 s12, 0x2c00
	v_mov_b32_e32 v19, 1.0
	v_add_u32_e64 v20, s12, 0
	ds_write2_b32 v20, v19, v19 offset0:44 offset1:109
; %bb.305:
	s_or_b64 exec, exec, s[10:11]
	v_mov_b32_e32 v19, 0
	s_waitcnt lgkmcnt(0)
	s_barrier
	buffer_wbinvl1_vol
	s_and_saveexec_b64 s[12:13], s[2:3]
	s_cbranch_execz .LBB109_311
; %bb.306:
	v_lshlrev_b32_e32 v21, 2, v10
	v_lshlrev_b32_e32 v20, 8, v11
	ds_read_b32 v19, v21 offset:11424
	ds_read_b32 v22, v20 offset:11440
	v_cmp_gt_u32_e64 s[10:11], 12, v9
	s_waitcnt lgkmcnt(0)
	v_fma_f32 v19, v19, v22, 0
	s_and_saveexec_b64 s[16:17], s[10:11]
	s_cbranch_execnz .LBB109_1122
; %bb.307:
	s_or_b64 exec, exec, s[16:17]
	v_cmp_gt_u32_e64 s[10:11], 8, v9
	s_and_saveexec_b64 s[16:17], s[10:11]
	s_cbranch_execnz .LBB109_1123
.LBB109_308:
	s_or_b64 exec, exec, s[16:17]
	v_cmp_gt_u32_e64 s[10:11], 4, v9
	s_and_saveexec_b64 s[16:17], s[10:11]
	s_cbranch_execz .LBB109_310
.LBB109_309:
	v_lshlrev_b32_e32 v20, 2, v0
	v_mov_b32_e32 v21, 0
	ds_read_b32 v20, v20 offset:12192
	ds_read_b32 v21, v21 offset:12220
	s_waitcnt lgkmcnt(0)
	v_fmac_f32_e32 v19, v20, v21
.LBB109_310:
	s_or_b64 exec, exec, s[16:17]
.LBB109_311:
	s_or_b64 exec, exec, s[12:13]
	s_and_saveexec_b64 s[10:11], s[42:43]
; %bb.312:
	v_xor_b32_e32 v20, 0x80000000, v19
	ds_write_b32 v12, v20
; %bb.313:
	s_or_b64 exec, exec, s[10:11]
	s_waitcnt lgkmcnt(0)
	s_barrier
	s_and_saveexec_b64 s[10:11], s[44:45]
	s_cbranch_execz .LBB109_315
; %bb.314:
	v_lshlrev_b32_e32 v20, 2, v10
	ds_read_b32 v20, v20 offset:11168
	ds_read_b32 v21, v12
	s_waitcnt lgkmcnt(0)
	v_fma_f32 v19, -v20, v21, v19
.LBB109_315:
	s_or_b64 exec, exec, s[10:11]
	s_barrier
	s_and_saveexec_b64 s[10:11], s[46:47]
; %bb.316:
	v_xor_b32_e32 v20, 0x80000000, v19
	ds_write_b32 v12, v20
; %bb.317:
	s_or_b64 exec, exec, s[10:11]
	s_waitcnt lgkmcnt(0)
	s_barrier
	s_and_saveexec_b64 s[10:11], s[48:49]
	s_cbranch_execz .LBB109_319
; %bb.318:
	v_lshlrev_b32_e32 v20, 2, v10
	ds_read_b32 v20, v20 offset:10912
	ds_read_b32 v21, v12
	s_waitcnt lgkmcnt(0)
	v_fma_f32 v19, -v20, v21, v19
.LBB109_319:
	s_or_b64 exec, exec, s[10:11]
	s_barrier
	s_and_saveexec_b64 s[10:11], s[50:51]
; %bb.320:
	v_xor_b32_e32 v20, 0x80000000, v19
	ds_write_b32 v12, v20
; %bb.321:
	s_or_b64 exec, exec, s[10:11]
	s_waitcnt lgkmcnt(0)
	s_barrier
	s_and_saveexec_b64 s[10:11], s[40:41]
	s_cbranch_execz .LBB109_323
; %bb.322:
	v_mov_b32_e32 v20, 0
	ds_read_b32 v20, v20 offset:10656
	ds_read_b32 v21, v12
	s_waitcnt lgkmcnt(0)
	v_fma_f32 v19, -v20, v21, v19
.LBB109_323:
	s_or_b64 exec, exec, s[10:11]
	s_barrier
	s_and_saveexec_b64 s[10:11], s[40:41]
; %bb.324:
	v_xor_b32_e32 v20, 0x80000000, v19
	ds_write_b32 v12, v20
; %bb.325:
	s_or_b64 exec, exec, s[10:11]
	s_waitcnt lgkmcnt(0)
	s_barrier
	s_barrier
	s_and_saveexec_b64 s[10:11], s[2:3]
; %bb.326:
	v_lshlrev_b32_e32 v20, 2, v10
	v_lshl_or_b32 v20, v11, 8, v20
	ds_write_b32 v20, v19 offset:11424
; %bb.327:
	s_or_b64 exec, exec, s[10:11]
	s_waitcnt lgkmcnt(0)
	s_barrier
	s_barrier
	s_and_saveexec_b64 s[10:11], vcc
; %bb.328:
	s_movk_i32 s12, 0x2800
	v_mov_b32_e32 v19, 1.0
	v_add_u32_e64 v20, s12, 0
	ds_write2_b32 v20, v19, v19 offset0:170 offset1:235
; %bb.329:
	s_or_b64 exec, exec, s[10:11]
	v_mov_b32_e32 v19, 0
	s_waitcnt lgkmcnt(0)
	s_barrier
	buffer_wbinvl1_vol
	s_and_saveexec_b64 s[12:13], s[0:1]
	s_cbranch_execz .LBB109_333
; %bb.330:
	v_lshlrev_b32_e32 v19, 8, v3
	v_lshlrev_b32_e32 v20, 2, v2
	ds_read_b32 v21, v20 offset:10912
	ds_read_b32 v19, v19 offset:10920
	v_mov_b32_e32 v20, 0
	v_cmp_gt_u32_e64 s[10:11], 2, v9
	s_waitcnt lgkmcnt(0)
	v_fma_f32 v19, v21, v19, 0
	s_and_saveexec_b64 s[16:17], s[10:11]
	s_cbranch_execz .LBB109_332
; %bb.331:
	v_lshlrev_b32_e32 v21, 2, v0
	ds_read_b32 v21, v21 offset:11168
	ds_read_b32 v20, v20 offset:11180
	s_waitcnt lgkmcnt(0)
	v_fmac_f32_e32 v19, v21, v20
.LBB109_332:
	s_or_b64 exec, exec, s[16:17]
.LBB109_333:
	s_or_b64 exec, exec, s[12:13]
	s_and_saveexec_b64 s[10:11], s[38:39]
; %bb.334:
	v_xor_b32_e32 v20, 0x80000000, v19
	ds_write_b32 v8, v20
; %bb.335:
	s_or_b64 exec, exec, s[10:11]
	s_waitcnt lgkmcnt(0)
	s_barrier
	s_and_saveexec_b64 s[10:11], s[36:37]
	s_cbranch_execz .LBB109_337
; %bb.336:
	v_mov_b32_e32 v20, 0
	ds_read_b32 v20, v20 offset:10656
	ds_read_b32 v21, v8
	s_waitcnt lgkmcnt(0)
	v_fma_f32 v19, -v20, v21, v19
.LBB109_337:
	s_or_b64 exec, exec, s[10:11]
	s_barrier
	s_and_saveexec_b64 s[10:11], s[36:37]
; %bb.338:
	v_xor_b32_e32 v20, 0x80000000, v19
	ds_write_b32 v8, v20
; %bb.339:
	s_or_b64 exec, exec, s[10:11]
	s_waitcnt lgkmcnt(0)
	s_barrier
	s_barrier
	s_and_saveexec_b64 s[10:11], s[0:1]
; %bb.340:
	v_lshlrev_b32_e32 v20, 2, v2
	v_lshl_or_b32 v20, v3, 8, v20
	ds_write_b32 v20, v19 offset:10912
; %bb.341:
	s_or_b64 exec, exec, s[10:11]
	s_waitcnt lgkmcnt(0)
	s_barrier
	s_barrier
	s_and_saveexec_b64 s[10:11], vcc
; %bb.342:
	s_movk_i32 s12, 0x2800
	v_mov_b32_e32 v19, 1.0
	v_add_u32_e64 v20, s12, 0
	ds_write2_b32 v20, v19, v19 offset0:40 offset1:105
; %bb.343:
	s_or_b64 exec, exec, s[10:11]
	v_mov_b32_e32 v19, 0
	s_waitcnt lgkmcnt(0)
	s_barrier
	buffer_wbinvl1_vol
	s_and_saveexec_b64 s[12:13], s[14:15]
	s_cbranch_execz .LBB109_353
; %bb.344:
	v_lshlrev_b32_e32 v21, 2, v13
	v_lshlrev_b32_e32 v20, 8, v14
	ds_read_b32 v19, v21 offset:10368
	ds_read_b32 v22, v20 offset:10400
	v_cmp_gt_u32_e64 s[10:11], 56, v9
	s_waitcnt lgkmcnt(0)
	v_fma_f32 v19, v19, v22, 0
	s_and_saveexec_b64 s[16:17], s[10:11]
	s_cbranch_execnz .LBB109_1124
; %bb.345:
	s_or_b64 exec, exec, s[16:17]
	v_cmp_gt_u32_e64 s[10:11], 48, v9
	s_and_saveexec_b64 s[16:17], s[10:11]
	s_cbranch_execnz .LBB109_1125
.LBB109_346:
	s_or_b64 exec, exec, s[16:17]
	v_cmp_gt_u32_e64 s[10:11], 40, v9
	s_and_saveexec_b64 s[16:17], s[10:11]
	s_cbranch_execnz .LBB109_1126
.LBB109_347:
	s_or_b64 exec, exec, s[16:17]
	v_cmp_gt_u32_e64 s[10:11], 32, v9
	s_and_saveexec_b64 s[16:17], s[10:11]
	s_cbranch_execnz .LBB109_1127
.LBB109_348:
	s_or_b64 exec, exec, s[16:17]
	v_cmp_gt_u32_e64 s[10:11], 24, v9
	s_and_saveexec_b64 s[16:17], s[10:11]
	s_cbranch_execnz .LBB109_1128
.LBB109_349:
	s_or_b64 exec, exec, s[16:17]
	s_and_saveexec_b64 s[10:11], s[2:3]
	s_cbranch_execnz .LBB109_1129
.LBB109_350:
	s_or_b64 exec, exec, s[10:11]
	v_cmp_gt_u32_e64 s[10:11], 8, v9
	s_and_saveexec_b64 s[16:17], s[10:11]
	s_cbranch_execz .LBB109_352
.LBB109_351:
	v_lshlrev_b32_e32 v20, 2, v0
	v_mov_b32_e32 v21, 0
	ds_read_b32 v20, v20 offset:12160
	ds_read_b32 v21, v21 offset:12220
	s_waitcnt lgkmcnt(0)
	v_fmac_f32_e32 v19, v20, v21
.LBB109_352:
	s_or_b64 exec, exec, s[16:17]
.LBB109_353:
	s_or_b64 exec, exec, s[12:13]
	s_and_saveexec_b64 s[10:11], s[52:53]
; %bb.354:
	v_xor_b32_e32 v20, 0x80000000, v19
	ds_write_b32 v15, v20
; %bb.355:
	s_or_b64 exec, exec, s[10:11]
	s_waitcnt lgkmcnt(0)
	s_barrier
	s_and_saveexec_b64 s[10:11], s[54:55]
	s_cbranch_execz .LBB109_357
; %bb.356:
	v_lshlrev_b32_e32 v20, 2, v13
	ds_read_b32 v20, v20 offset:10112
	ds_read_b32 v21, v15
	s_waitcnt lgkmcnt(0)
	v_fma_f32 v19, -v20, v21, v19
.LBB109_357:
	s_or_b64 exec, exec, s[10:11]
	s_barrier
	s_and_saveexec_b64 s[10:11], s[56:57]
; %bb.358:
	v_xor_b32_e32 v20, 0x80000000, v19
	ds_write_b32 v15, v20
; %bb.359:
	s_or_b64 exec, exec, s[10:11]
	s_waitcnt lgkmcnt(0)
	s_barrier
	s_and_saveexec_b64 s[10:11], s[58:59]
	s_cbranch_execz .LBB109_361
; %bb.360:
	v_lshlrev_b32_e32 v20, 2, v13
	ds_read_b32 v20, v20 offset:9856
	ds_read_b32 v21, v15
	s_waitcnt lgkmcnt(0)
	v_fma_f32 v19, -v20, v21, v19
.LBB109_361:
	s_or_b64 exec, exec, s[10:11]
	s_barrier
	;; [unrolled: 19-line block ×6, first 2 shown]
	s_and_saveexec_b64 s[10:11], s[78:79]
; %bb.378:
	v_xor_b32_e32 v20, 0x80000000, v19
	ds_write_b32 v15, v20
; %bb.379:
	s_or_b64 exec, exec, s[10:11]
	s_waitcnt lgkmcnt(0)
	s_barrier
	s_and_saveexec_b64 s[10:11], s[62:63]
	s_cbranch_execz .LBB109_381
; %bb.380:
	v_mov_b32_e32 v20, 0
	ds_read_b32 v20, v20 offset:8576
	ds_read_b32 v21, v15
	s_waitcnt lgkmcnt(0)
	v_fma_f32 v19, -v20, v21, v19
.LBB109_381:
	s_or_b64 exec, exec, s[10:11]
	s_barrier
	s_and_saveexec_b64 s[10:11], s[62:63]
; %bb.382:
	v_xor_b32_e32 v20, 0x80000000, v19
	ds_write_b32 v15, v20
; %bb.383:
	s_or_b64 exec, exec, s[10:11]
	s_waitcnt lgkmcnt(0)
	s_barrier
	s_barrier
	s_and_saveexec_b64 s[10:11], s[14:15]
; %bb.384:
	v_lshlrev_b32_e32 v20, 2, v13
	v_lshl_or_b32 v20, v14, 8, v20
	ds_write_b32 v20, v19 offset:10368
; %bb.385:
	s_or_b64 exec, exec, s[10:11]
	s_waitcnt lgkmcnt(0)
	s_barrier
	s_barrier
	s_and_saveexec_b64 s[10:11], vcc
; %bb.386:
	s_movk_i32 s12, 0x2400
	v_mov_b32_e32 v19, 1.0
	v_add_u32_e64 v20, s12, 0
	ds_write2_b32 v20, v19, v19 offset0:166 offset1:231
; %bb.387:
	s_or_b64 exec, exec, s[10:11]
	v_mov_b32_e32 v19, 0
	s_waitcnt lgkmcnt(0)
	s_barrier
	buffer_wbinvl1_vol
	s_and_saveexec_b64 s[12:13], s[0:1]
	s_cbranch_execz .LBB109_391
; %bb.388:
	v_lshlrev_b32_e32 v19, 8, v3
	v_lshlrev_b32_e32 v20, 2, v2
	ds_read_b32 v21, v20 offset:9872
	ds_read_b32 v19, v19 offset:9880
	v_mov_b32_e32 v20, 0
	v_cmp_gt_u32_e64 s[10:11], 2, v9
	s_waitcnt lgkmcnt(0)
	v_fma_f32 v19, v21, v19, 0
	s_and_saveexec_b64 s[16:17], s[10:11]
	s_cbranch_execz .LBB109_390
; %bb.389:
	v_lshlrev_b32_e32 v21, 2, v0
	ds_read_b32 v21, v21 offset:10128
	ds_read_b32 v20, v20 offset:10140
	s_waitcnt lgkmcnt(0)
	v_fmac_f32_e32 v19, v21, v20
.LBB109_390:
	s_or_b64 exec, exec, s[16:17]
.LBB109_391:
	s_or_b64 exec, exec, s[12:13]
	s_and_saveexec_b64 s[10:11], s[38:39]
; %bb.392:
	v_xor_b32_e32 v20, 0x80000000, v19
	ds_write_b32 v8, v20
; %bb.393:
	s_or_b64 exec, exec, s[10:11]
	s_waitcnt lgkmcnt(0)
	s_barrier
	s_and_saveexec_b64 s[10:11], s[36:37]
	s_cbranch_execz .LBB109_395
; %bb.394:
	v_mov_b32_e32 v20, 0
	ds_read_b32 v20, v20 offset:9616
	ds_read_b32 v21, v8
	s_waitcnt lgkmcnt(0)
	v_fma_f32 v19, -v20, v21, v19
.LBB109_395:
	s_or_b64 exec, exec, s[10:11]
	s_barrier
	s_and_saveexec_b64 s[10:11], s[36:37]
; %bb.396:
	v_xor_b32_e32 v20, 0x80000000, v19
	ds_write_b32 v8, v20
; %bb.397:
	s_or_b64 exec, exec, s[10:11]
	s_waitcnt lgkmcnt(0)
	s_barrier
	s_barrier
	s_and_saveexec_b64 s[10:11], s[0:1]
; %bb.398:
	v_lshlrev_b32_e32 v20, 2, v2
	v_lshl_or_b32 v20, v3, 8, v20
	ds_write_b32 v20, v19 offset:9872
; %bb.399:
	s_or_b64 exec, exec, s[10:11]
	s_waitcnt lgkmcnt(0)
	s_barrier
	s_barrier
	s_and_saveexec_b64 s[10:11], vcc
; %bb.400:
	s_movk_i32 s12, 0x2400
	v_mov_b32_e32 v19, 1.0
	v_add_u32_e64 v20, s12, 0
	ds_write2_b32 v20, v19, v19 offset0:36 offset1:101
; %bb.401:
	s_or_b64 exec, exec, s[10:11]
	v_mov_b32_e32 v19, 0
	s_waitcnt lgkmcnt(0)
	s_barrier
	buffer_wbinvl1_vol
	s_and_saveexec_b64 s[12:13], s[2:3]
	s_cbranch_execz .LBB109_407
; %bb.402:
	v_lshlrev_b32_e32 v21, 2, v10
	v_lshlrev_b32_e32 v20, 8, v11
	ds_read_b32 v19, v21 offset:9344
	ds_read_b32 v22, v20 offset:9360
	v_cmp_gt_u32_e64 s[10:11], 12, v9
	s_waitcnt lgkmcnt(0)
	v_fma_f32 v19, v19, v22, 0
	s_and_saveexec_b64 s[16:17], s[10:11]
	s_cbranch_execnz .LBB109_1130
; %bb.403:
	s_or_b64 exec, exec, s[16:17]
	v_cmp_gt_u32_e64 s[10:11], 8, v9
	s_and_saveexec_b64 s[16:17], s[10:11]
	s_cbranch_execnz .LBB109_1131
.LBB109_404:
	s_or_b64 exec, exec, s[16:17]
	v_cmp_gt_u32_e64 s[10:11], 4, v9
	s_and_saveexec_b64 s[16:17], s[10:11]
	s_cbranch_execz .LBB109_406
.LBB109_405:
	v_lshlrev_b32_e32 v20, 2, v0
	v_mov_b32_e32 v21, 0
	ds_read_b32 v20, v20 offset:10112
	ds_read_b32 v21, v21 offset:10140
	s_waitcnt lgkmcnt(0)
	v_fmac_f32_e32 v19, v20, v21
.LBB109_406:
	s_or_b64 exec, exec, s[16:17]
.LBB109_407:
	s_or_b64 exec, exec, s[12:13]
	s_and_saveexec_b64 s[10:11], s[42:43]
; %bb.408:
	v_xor_b32_e32 v20, 0x80000000, v19
	ds_write_b32 v12, v20
; %bb.409:
	s_or_b64 exec, exec, s[10:11]
	s_waitcnt lgkmcnt(0)
	s_barrier
	s_and_saveexec_b64 s[10:11], s[44:45]
	s_cbranch_execz .LBB109_411
; %bb.410:
	v_lshlrev_b32_e32 v20, 2, v10
	ds_read_b32 v20, v20 offset:9088
	ds_read_b32 v21, v12
	s_waitcnt lgkmcnt(0)
	v_fma_f32 v19, -v20, v21, v19
.LBB109_411:
	s_or_b64 exec, exec, s[10:11]
	s_barrier
	s_and_saveexec_b64 s[10:11], s[46:47]
; %bb.412:
	v_xor_b32_e32 v20, 0x80000000, v19
	ds_write_b32 v12, v20
; %bb.413:
	s_or_b64 exec, exec, s[10:11]
	s_waitcnt lgkmcnt(0)
	s_barrier
	s_and_saveexec_b64 s[10:11], s[48:49]
	s_cbranch_execz .LBB109_415
; %bb.414:
	v_lshlrev_b32_e32 v20, 2, v10
	ds_read_b32 v20, v20 offset:8832
	ds_read_b32 v21, v12
	s_waitcnt lgkmcnt(0)
	v_fma_f32 v19, -v20, v21, v19
.LBB109_415:
	s_or_b64 exec, exec, s[10:11]
	s_barrier
	s_and_saveexec_b64 s[10:11], s[50:51]
; %bb.416:
	v_xor_b32_e32 v20, 0x80000000, v19
	ds_write_b32 v12, v20
; %bb.417:
	s_or_b64 exec, exec, s[10:11]
	s_waitcnt lgkmcnt(0)
	s_barrier
	s_and_saveexec_b64 s[10:11], s[40:41]
	s_cbranch_execz .LBB109_419
; %bb.418:
	v_mov_b32_e32 v20, 0
	ds_read_b32 v20, v20 offset:8576
	ds_read_b32 v21, v12
	s_waitcnt lgkmcnt(0)
	v_fma_f32 v19, -v20, v21, v19
.LBB109_419:
	s_or_b64 exec, exec, s[10:11]
	s_barrier
	s_and_saveexec_b64 s[10:11], s[40:41]
; %bb.420:
	v_xor_b32_e32 v20, 0x80000000, v19
	ds_write_b32 v12, v20
; %bb.421:
	s_or_b64 exec, exec, s[10:11]
	s_waitcnt lgkmcnt(0)
	s_barrier
	s_barrier
	s_and_saveexec_b64 s[10:11], s[2:3]
; %bb.422:
	v_lshlrev_b32_e32 v20, 2, v10
	v_lshl_or_b32 v20, v11, 8, v20
	ds_write_b32 v20, v19 offset:9344
; %bb.423:
	s_or_b64 exec, exec, s[10:11]
	s_waitcnt lgkmcnt(0)
	s_barrier
	s_barrier
	s_and_saveexec_b64 s[10:11], vcc
; %bb.424:
	s_movk_i32 s12, 0x2000
	v_mov_b32_e32 v19, 1.0
	v_add_u32_e64 v20, s12, 0
	ds_write2_b32 v20, v19, v19 offset0:162 offset1:227
; %bb.425:
	s_or_b64 exec, exec, s[10:11]
	v_mov_b32_e32 v19, 0
	s_waitcnt lgkmcnt(0)
	s_barrier
	buffer_wbinvl1_vol
	s_and_saveexec_b64 s[12:13], s[0:1]
	s_cbranch_execz .LBB109_429
; %bb.426:
	v_lshlrev_b32_e32 v19, 8, v3
	v_lshlrev_b32_e32 v20, 2, v2
	ds_read_b32 v21, v20 offset:8832
	ds_read_b32 v19, v19 offset:8840
	v_mov_b32_e32 v20, 0
	v_cmp_gt_u32_e64 s[10:11], 2, v9
	s_waitcnt lgkmcnt(0)
	v_fma_f32 v19, v21, v19, 0
	s_and_saveexec_b64 s[16:17], s[10:11]
	s_cbranch_execz .LBB109_428
; %bb.427:
	v_lshlrev_b32_e32 v21, 2, v0
	ds_read_b32 v21, v21 offset:9088
	ds_read_b32 v20, v20 offset:9100
	s_waitcnt lgkmcnt(0)
	v_fmac_f32_e32 v19, v21, v20
.LBB109_428:
	s_or_b64 exec, exec, s[16:17]
.LBB109_429:
	s_or_b64 exec, exec, s[12:13]
	s_and_saveexec_b64 s[10:11], s[38:39]
; %bb.430:
	v_xor_b32_e32 v20, 0x80000000, v19
	ds_write_b32 v8, v20
; %bb.431:
	s_or_b64 exec, exec, s[10:11]
	s_waitcnt lgkmcnt(0)
	s_barrier
	s_and_saveexec_b64 s[10:11], s[36:37]
	s_cbranch_execz .LBB109_433
; %bb.432:
	v_mov_b32_e32 v20, 0
	ds_read_b32 v20, v20 offset:8576
	ds_read_b32 v21, v8
	s_waitcnt lgkmcnt(0)
	v_fma_f32 v19, -v20, v21, v19
.LBB109_433:
	s_or_b64 exec, exec, s[10:11]
	s_barrier
	s_and_saveexec_b64 s[10:11], s[36:37]
; %bb.434:
	v_xor_b32_e32 v20, 0x80000000, v19
	ds_write_b32 v8, v20
; %bb.435:
	s_or_b64 exec, exec, s[10:11]
	s_waitcnt lgkmcnt(0)
	s_barrier
	s_barrier
	s_and_saveexec_b64 s[10:11], s[0:1]
; %bb.436:
	v_lshlrev_b32_e32 v20, 2, v2
	v_lshl_or_b32 v20, v3, 8, v20
	ds_write_b32 v20, v19 offset:8832
; %bb.437:
	s_or_b64 exec, exec, s[10:11]
	s_waitcnt lgkmcnt(0)
	s_barrier
	s_barrier
	s_and_saveexec_b64 s[10:11], vcc
; %bb.438:
	s_movk_i32 s12, 0x2000
	v_mov_b32_e32 v19, 1.0
	v_add_u32_e64 v20, s12, 0
	ds_write2_b32 v20, v19, v19 offset0:32 offset1:97
; %bb.439:
	s_or_b64 exec, exec, s[10:11]
	s_movk_i32 s10, 0x3ff
	v_lshrrev_b32_e32 v22, 5, v9
	v_cmp_lt_u32_e64 s[12:13], s10, v9
	s_movk_i32 s10, 0x400
	v_and_b32_e32 v19, 31, v0
	v_sub_u32_e32 v20, 31, v22
	v_cmp_gt_u32_e64 s[10:11], s10, v9
	v_mov_b32_e32 v21, 0
	s_waitcnt lgkmcnt(0)
	s_barrier
	buffer_wbinvl1_vol
	s_and_saveexec_b64 s[88:89], s[10:11]
	s_cbranch_execz .LBB109_501
; %bb.440:
	v_lshlrev_b32_e32 v24, 2, v19
	v_lshlrev_b32_e32 v23, 8, v20
	ds_read_b32 v21, v24 offset:8192
	ds_read_b32 v25, v23 offset:8320
	s_movk_i32 s16, 0x3e0
	v_cmp_gt_u32_e64 s[16:17], s16, v9
	s_waitcnt lgkmcnt(0)
	v_fma_f32 v21, v21, v25, 0
	s_and_saveexec_b64 s[90:91], s[16:17]
	s_cbranch_execz .LBB109_442
; %bb.441:
	ds_read_b32 v25, v24 offset:8448
	ds_read_b32 v26, v23 offset:8324
	s_waitcnt lgkmcnt(0)
	v_fmac_f32_e32 v21, v25, v26
.LBB109_442:
	s_or_b64 exec, exec, s[90:91]
	s_movk_i32 s16, 0x3c0
	v_cmp_gt_u32_e64 s[16:17], s16, v9
	s_and_saveexec_b64 s[90:91], s[16:17]
	s_cbranch_execz .LBB109_444
; %bb.443:
	ds_read_b32 v25, v24 offset:8704
	ds_read_b32 v26, v23 offset:8328
	s_waitcnt lgkmcnt(0)
	v_fmac_f32_e32 v21, v25, v26
.LBB109_444:
	s_or_b64 exec, exec, s[90:91]
	s_movk_i32 s16, 0x3a0
	v_cmp_gt_u32_e64 s[16:17], s16, v9
	;; [unrolled: 11-line block ×22, first 2 shown]
	s_and_saveexec_b64 s[90:91], s[16:17]
	s_cbranch_execz .LBB109_486
; %bb.485:
	ds_read_b32 v25, v24 offset:14080
	ds_read_b32 v26, v23 offset:8412
	s_waitcnt lgkmcnt(0)
	v_fmac_f32_e32 v21, v25, v26
.LBB109_486:
	s_or_b64 exec, exec, s[90:91]
	s_and_saveexec_b64 s[16:17], s[8:9]
	s_cbranch_execz .LBB109_488
; %bb.487:
	ds_read_b32 v25, v24 offset:14336
	ds_read_b32 v26, v23 offset:8416
	s_waitcnt lgkmcnt(0)
	v_fmac_f32_e32 v21, v25, v26
.LBB109_488:
	s_or_b64 exec, exec, s[16:17]
	s_movk_i32 s16, 0xe0
	v_cmp_gt_u32_e64 s[16:17], s16, v9
	s_and_saveexec_b64 s[90:91], s[16:17]
	s_cbranch_execz .LBB109_490
; %bb.489:
	ds_read_b32 v25, v24 offset:14592
	ds_read_b32 v26, v23 offset:8420
	s_waitcnt lgkmcnt(0)
	v_fmac_f32_e32 v21, v25, v26
.LBB109_490:
	s_or_b64 exec, exec, s[90:91]
	s_movk_i32 s16, 0xc0
	v_cmp_gt_u32_e64 s[16:17], s16, v9
	;; [unrolled: 11-line block ×5, first 2 shown]
	s_and_saveexec_b64 s[90:91], s[16:17]
	s_cbranch_execnz .LBB109_1132
; %bb.497:
	s_or_b64 exec, exec, s[90:91]
	s_and_saveexec_b64 s[16:17], s[14:15]
	s_cbranch_execnz .LBB109_1133
.LBB109_498:
	s_or_b64 exec, exec, s[16:17]
	v_cmp_gt_u32_e64 s[16:17], 32, v9
	s_and_saveexec_b64 s[90:91], s[16:17]
	s_cbranch_execz .LBB109_500
.LBB109_499:
	v_lshlrev_b32_e32 v23, 2, v0
	v_mov_b32_e32 v24, 0
	ds_read_b32 v23, v23 offset:16128
	ds_read_b32 v24, v24 offset:16380
	s_waitcnt lgkmcnt(0)
	v_fmac_f32_e32 v21, v23, v24
.LBB109_500:
	s_or_b64 exec, exec, s[90:91]
.LBB109_501:
	s_or_b64 exec, exec, s[88:89]
	v_mov_b32_e32 v23, 0x4000
	v_cmp_eq_u32_e64 s[16:17], 31, v19
	s_xor_b64 s[88:89], s[12:13], -1
	v_lshl_add_u32 v22, v22, 2, v23
	s_and_b64 s[16:17], s[16:17], s[88:89]
	s_and_saveexec_b64 s[12:13], s[16:17]
; %bb.502:
	v_xor_b32_e32 v23, 0x80000000, v21
	ds_write_b32 v22, v23
; %bb.503:
	s_or_b64 exec, exec, s[12:13]
	v_cmp_ne_u32_e64 s[12:13], 31, v19
	s_and_b64 s[16:17], s[12:13], s[88:89]
	s_waitcnt lgkmcnt(0)
	s_barrier
	s_and_saveexec_b64 s[12:13], s[16:17]
	s_cbranch_execz .LBB109_505
; %bb.504:
	v_lshlrev_b32_e32 v23, 2, v19
	ds_read_b32 v23, v23 offset:7936
	ds_read_b32 v24, v22
	s_waitcnt lgkmcnt(0)
	v_fma_f32 v21, -v23, v24, v21
.LBB109_505:
	s_or_b64 exec, exec, s[12:13]
	v_cmp_eq_u32_e64 s[12:13], 30, v19
	s_and_b64 s[16:17], s[12:13], s[88:89]
	s_barrier
	s_and_saveexec_b64 s[12:13], s[16:17]
; %bb.506:
	v_xor_b32_e32 v23, 0x80000000, v21
	ds_write_b32 v22, v23
; %bb.507:
	s_or_b64 exec, exec, s[12:13]
	v_cmp_gt_u32_e64 s[12:13], 30, v19
	s_and_b64 s[16:17], s[12:13], s[88:89]
	s_waitcnt lgkmcnt(0)
	s_barrier
	s_and_saveexec_b64 s[12:13], s[16:17]
	s_cbranch_execz .LBB109_509
; %bb.508:
	v_lshlrev_b32_e32 v23, 2, v19
	ds_read_b32 v23, v23 offset:7680
	ds_read_b32 v24, v22
	s_waitcnt lgkmcnt(0)
	v_fma_f32 v21, -v23, v24, v21
.LBB109_509:
	s_or_b64 exec, exec, s[12:13]
	v_cmp_eq_u32_e64 s[12:13], 29, v19
	s_and_b64 s[16:17], s[12:13], s[88:89]
	s_barrier
	s_and_saveexec_b64 s[12:13], s[16:17]
; %bb.510:
	v_xor_b32_e32 v23, 0x80000000, v21
	ds_write_b32 v22, v23
; %bb.511:
	s_or_b64 exec, exec, s[12:13]
	v_cmp_gt_u32_e64 s[12:13], 29, v19
	;; [unrolled: 23-line block ×29, first 2 shown]
	s_and_b64 s[16:17], s[12:13], s[88:89]
	s_waitcnt lgkmcnt(0)
	s_barrier
	s_and_saveexec_b64 s[12:13], s[16:17]
	s_cbranch_execz .LBB109_621
; %bb.620:
	v_lshlrev_b32_e32 v23, 2, v19
	ds_read_b32 v23, v23 offset:512
	ds_read_b32 v24, v22
	s_waitcnt lgkmcnt(0)
	v_fma_f32 v21, -v23, v24, v21
.LBB109_621:
	s_or_b64 exec, exec, s[12:13]
	v_cmp_eq_u32_e64 s[12:13], 1, v19
	s_and_b64 s[16:17], s[12:13], s[88:89]
	s_barrier
	s_and_saveexec_b64 s[12:13], s[16:17]
; %bb.622:
	v_xor_b32_e32 v23, 0x80000000, v21
	ds_write_b32 v22, v23
; %bb.623:
	s_or_b64 exec, exec, s[12:13]
	v_cmp_eq_u32_e64 s[12:13], 0, v19
	s_and_b64 s[12:13], s[12:13], s[88:89]
	s_waitcnt lgkmcnt(0)
	s_barrier
	s_and_saveexec_b64 s[16:17], s[12:13]
	s_cbranch_execz .LBB109_625
; %bb.624:
	v_mov_b32_e32 v23, 0
	ds_read_b32 v23, v23 offset:256
	ds_read_b32 v24, v22
	s_waitcnt lgkmcnt(0)
	v_fma_f32 v21, -v23, v24, v21
.LBB109_625:
	s_or_b64 exec, exec, s[16:17]
	s_barrier
	s_and_saveexec_b64 s[16:17], s[12:13]
; %bb.626:
	v_xor_b32_e32 v23, 0x80000000, v21
	ds_write_b32 v22, v23
; %bb.627:
	s_or_b64 exec, exec, s[16:17]
	s_waitcnt lgkmcnt(0)
	s_barrier
	s_barrier
	s_and_saveexec_b64 s[12:13], s[10:11]
; %bb.628:
	v_lshlrev_b32_e32 v19, 2, v19
	v_lshl_or_b32 v19, v20, 8, v19
	ds_write_b32 v19, v21 offset:8192
; %bb.629:
	s_or_b64 exec, exec, s[12:13]
	s_waitcnt lgkmcnt(0)
	s_barrier
	s_barrier
	s_and_saveexec_b64 s[10:11], vcc
; %bb.630:
	s_movk_i32 s12, 0x1c00
	v_mov_b32_e32 v19, 1.0
	v_add_u32_e64 v20, s12, 0
	ds_write2_b32 v20, v19, v19 offset0:158 offset1:223
; %bb.631:
	s_or_b64 exec, exec, s[10:11]
	v_mov_b32_e32 v19, 0
	s_waitcnt lgkmcnt(0)
	s_barrier
	buffer_wbinvl1_vol
	s_and_saveexec_b64 s[12:13], s[0:1]
	s_cbranch_execz .LBB109_635
; %bb.632:
	v_lshlrev_b32_e32 v19, 8, v3
	v_lshlrev_b32_e32 v20, 2, v2
	ds_read_b32 v21, v20 offset:7792
	ds_read_b32 v19, v19 offset:7800
	v_mov_b32_e32 v20, 0
	v_cmp_gt_u32_e64 s[10:11], 2, v9
	s_waitcnt lgkmcnt(0)
	v_fma_f32 v19, v21, v19, 0
	s_and_saveexec_b64 s[16:17], s[10:11]
	s_cbranch_execz .LBB109_634
; %bb.633:
	v_lshlrev_b32_e32 v21, 2, v0
	ds_read_b32 v21, v21 offset:8048
	ds_read_b32 v20, v20 offset:8060
	s_waitcnt lgkmcnt(0)
	v_fmac_f32_e32 v19, v21, v20
.LBB109_634:
	s_or_b64 exec, exec, s[16:17]
.LBB109_635:
	s_or_b64 exec, exec, s[12:13]
	s_and_saveexec_b64 s[10:11], s[38:39]
; %bb.636:
	v_xor_b32_e32 v20, 0x80000000, v19
	ds_write_b32 v8, v20
; %bb.637:
	s_or_b64 exec, exec, s[10:11]
	s_waitcnt lgkmcnt(0)
	s_barrier
	s_and_saveexec_b64 s[10:11], s[36:37]
	s_cbranch_execz .LBB109_639
; %bb.638:
	v_mov_b32_e32 v20, 0
	ds_read_b32 v20, v20 offset:7536
	ds_read_b32 v21, v8
	s_waitcnt lgkmcnt(0)
	v_fma_f32 v19, -v20, v21, v19
.LBB109_639:
	s_or_b64 exec, exec, s[10:11]
	s_barrier
	s_and_saveexec_b64 s[10:11], s[36:37]
; %bb.640:
	v_xor_b32_e32 v20, 0x80000000, v19
	ds_write_b32 v8, v20
; %bb.641:
	s_or_b64 exec, exec, s[10:11]
	s_waitcnt lgkmcnt(0)
	s_barrier
	s_barrier
	s_and_saveexec_b64 s[10:11], s[0:1]
; %bb.642:
	v_lshlrev_b32_e32 v20, 2, v2
	v_lshl_or_b32 v20, v3, 8, v20
	ds_write_b32 v20, v19 offset:7792
; %bb.643:
	s_or_b64 exec, exec, s[10:11]
	s_waitcnt lgkmcnt(0)
	s_barrier
	s_barrier
	s_and_saveexec_b64 s[10:11], vcc
; %bb.644:
	s_movk_i32 s12, 0x1c00
	v_mov_b32_e32 v19, 1.0
	v_add_u32_e64 v20, s12, 0
	ds_write2_b32 v20, v19, v19 offset0:28 offset1:93
; %bb.645:
	s_or_b64 exec, exec, s[10:11]
	v_mov_b32_e32 v19, 0
	s_waitcnt lgkmcnt(0)
	s_barrier
	buffer_wbinvl1_vol
	s_and_saveexec_b64 s[12:13], s[2:3]
	s_cbranch_execz .LBB109_651
; %bb.646:
	v_lshlrev_b32_e32 v21, 2, v10
	v_lshlrev_b32_e32 v20, 8, v11
	ds_read_b32 v19, v21 offset:7264
	ds_read_b32 v22, v20 offset:7280
	v_cmp_gt_u32_e64 s[10:11], 12, v9
	s_waitcnt lgkmcnt(0)
	v_fma_f32 v19, v19, v22, 0
	s_and_saveexec_b64 s[16:17], s[10:11]
	s_cbranch_execnz .LBB109_1134
; %bb.647:
	s_or_b64 exec, exec, s[16:17]
	v_cmp_gt_u32_e64 s[10:11], 8, v9
	s_and_saveexec_b64 s[16:17], s[10:11]
	s_cbranch_execnz .LBB109_1135
.LBB109_648:
	s_or_b64 exec, exec, s[16:17]
	v_cmp_gt_u32_e64 s[10:11], 4, v9
	s_and_saveexec_b64 s[16:17], s[10:11]
	s_cbranch_execz .LBB109_650
.LBB109_649:
	v_lshlrev_b32_e32 v20, 2, v0
	v_mov_b32_e32 v21, 0
	ds_read_b32 v20, v20 offset:8032
	ds_read_b32 v21, v21 offset:8060
	s_waitcnt lgkmcnt(0)
	v_fmac_f32_e32 v19, v20, v21
.LBB109_650:
	s_or_b64 exec, exec, s[16:17]
.LBB109_651:
	s_or_b64 exec, exec, s[12:13]
	s_and_saveexec_b64 s[10:11], s[42:43]
; %bb.652:
	v_xor_b32_e32 v20, 0x80000000, v19
	ds_write_b32 v12, v20
; %bb.653:
	s_or_b64 exec, exec, s[10:11]
	s_waitcnt lgkmcnt(0)
	s_barrier
	s_and_saveexec_b64 s[10:11], s[44:45]
	s_cbranch_execz .LBB109_655
; %bb.654:
	v_lshlrev_b32_e32 v20, 2, v10
	ds_read_b32 v20, v20 offset:7008
	ds_read_b32 v21, v12
	s_waitcnt lgkmcnt(0)
	v_fma_f32 v19, -v20, v21, v19
.LBB109_655:
	s_or_b64 exec, exec, s[10:11]
	s_barrier
	s_and_saveexec_b64 s[10:11], s[46:47]
; %bb.656:
	v_xor_b32_e32 v20, 0x80000000, v19
	ds_write_b32 v12, v20
; %bb.657:
	s_or_b64 exec, exec, s[10:11]
	s_waitcnt lgkmcnt(0)
	s_barrier
	s_and_saveexec_b64 s[10:11], s[48:49]
	s_cbranch_execz .LBB109_659
; %bb.658:
	v_lshlrev_b32_e32 v20, 2, v10
	ds_read_b32 v20, v20 offset:6752
	ds_read_b32 v21, v12
	s_waitcnt lgkmcnt(0)
	v_fma_f32 v19, -v20, v21, v19
.LBB109_659:
	s_or_b64 exec, exec, s[10:11]
	s_barrier
	s_and_saveexec_b64 s[10:11], s[50:51]
; %bb.660:
	v_xor_b32_e32 v20, 0x80000000, v19
	ds_write_b32 v12, v20
; %bb.661:
	s_or_b64 exec, exec, s[10:11]
	s_waitcnt lgkmcnt(0)
	s_barrier
	s_and_saveexec_b64 s[10:11], s[40:41]
	s_cbranch_execz .LBB109_663
; %bb.662:
	v_mov_b32_e32 v20, 0
	ds_read_b32 v20, v20 offset:6496
	ds_read_b32 v21, v12
	s_waitcnt lgkmcnt(0)
	v_fma_f32 v19, -v20, v21, v19
.LBB109_663:
	s_or_b64 exec, exec, s[10:11]
	s_barrier
	s_and_saveexec_b64 s[10:11], s[40:41]
; %bb.664:
	v_xor_b32_e32 v20, 0x80000000, v19
	ds_write_b32 v12, v20
; %bb.665:
	s_or_b64 exec, exec, s[10:11]
	s_waitcnt lgkmcnt(0)
	s_barrier
	s_barrier
	s_and_saveexec_b64 s[10:11], s[2:3]
; %bb.666:
	v_lshlrev_b32_e32 v20, 2, v10
	v_lshl_or_b32 v20, v11, 8, v20
	ds_write_b32 v20, v19 offset:7264
; %bb.667:
	s_or_b64 exec, exec, s[10:11]
	s_waitcnt lgkmcnt(0)
	s_barrier
	s_barrier
	s_and_saveexec_b64 s[10:11], vcc
; %bb.668:
	s_movk_i32 s12, 0x1800
	v_mov_b32_e32 v19, 1.0
	v_add_u32_e64 v20, s12, 0
	ds_write2_b32 v20, v19, v19 offset0:154 offset1:219
; %bb.669:
	s_or_b64 exec, exec, s[10:11]
	v_mov_b32_e32 v19, 0
	s_waitcnt lgkmcnt(0)
	s_barrier
	buffer_wbinvl1_vol
	s_and_saveexec_b64 s[12:13], s[0:1]
	s_cbranch_execz .LBB109_673
; %bb.670:
	v_lshlrev_b32_e32 v19, 8, v3
	v_lshlrev_b32_e32 v20, 2, v2
	ds_read_b32 v21, v20 offset:6752
	ds_read_b32 v19, v19 offset:6760
	v_mov_b32_e32 v20, 0
	v_cmp_gt_u32_e64 s[10:11], 2, v9
	s_waitcnt lgkmcnt(0)
	v_fma_f32 v19, v21, v19, 0
	s_and_saveexec_b64 s[16:17], s[10:11]
	s_cbranch_execz .LBB109_672
; %bb.671:
	v_lshlrev_b32_e32 v21, 2, v0
	ds_read_b32 v21, v21 offset:7008
	ds_read_b32 v20, v20 offset:7020
	s_waitcnt lgkmcnt(0)
	v_fmac_f32_e32 v19, v21, v20
.LBB109_672:
	s_or_b64 exec, exec, s[16:17]
.LBB109_673:
	s_or_b64 exec, exec, s[12:13]
	s_and_saveexec_b64 s[10:11], s[38:39]
; %bb.674:
	v_xor_b32_e32 v20, 0x80000000, v19
	ds_write_b32 v8, v20
; %bb.675:
	s_or_b64 exec, exec, s[10:11]
	s_waitcnt lgkmcnt(0)
	s_barrier
	s_and_saveexec_b64 s[10:11], s[36:37]
	s_cbranch_execz .LBB109_677
; %bb.676:
	v_mov_b32_e32 v20, 0
	ds_read_b32 v20, v20 offset:6496
	ds_read_b32 v21, v8
	s_waitcnt lgkmcnt(0)
	v_fma_f32 v19, -v20, v21, v19
.LBB109_677:
	s_or_b64 exec, exec, s[10:11]
	s_barrier
	s_and_saveexec_b64 s[10:11], s[36:37]
; %bb.678:
	v_xor_b32_e32 v20, 0x80000000, v19
	ds_write_b32 v8, v20
; %bb.679:
	s_or_b64 exec, exec, s[10:11]
	s_waitcnt lgkmcnt(0)
	s_barrier
	s_barrier
	s_and_saveexec_b64 s[10:11], s[0:1]
; %bb.680:
	v_lshlrev_b32_e32 v20, 2, v2
	v_lshl_or_b32 v20, v3, 8, v20
	ds_write_b32 v20, v19 offset:6752
; %bb.681:
	s_or_b64 exec, exec, s[10:11]
	s_waitcnt lgkmcnt(0)
	s_barrier
	s_barrier
	s_and_saveexec_b64 s[10:11], vcc
; %bb.682:
	s_movk_i32 s12, 0x1800
	v_mov_b32_e32 v19, 1.0
	v_add_u32_e64 v20, s12, 0
	ds_write2_b32 v20, v19, v19 offset0:24 offset1:89
; %bb.683:
	s_or_b64 exec, exec, s[10:11]
	v_mov_b32_e32 v19, 0
	s_waitcnt lgkmcnt(0)
	s_barrier
	buffer_wbinvl1_vol
	s_and_saveexec_b64 s[12:13], s[14:15]
	s_cbranch_execz .LBB109_693
; %bb.684:
	v_lshlrev_b32_e32 v21, 2, v13
	v_lshlrev_b32_e32 v20, 8, v14
	ds_read_b32 v19, v21 offset:6208
	ds_read_b32 v22, v20 offset:6240
	v_cmp_gt_u32_e64 s[10:11], 56, v9
	s_waitcnt lgkmcnt(0)
	v_fma_f32 v19, v19, v22, 0
	s_and_saveexec_b64 s[16:17], s[10:11]
	s_cbranch_execnz .LBB109_1136
; %bb.685:
	s_or_b64 exec, exec, s[16:17]
	v_cmp_gt_u32_e64 s[10:11], 48, v9
	s_and_saveexec_b64 s[16:17], s[10:11]
	s_cbranch_execnz .LBB109_1137
.LBB109_686:
	s_or_b64 exec, exec, s[16:17]
	v_cmp_gt_u32_e64 s[10:11], 40, v9
	s_and_saveexec_b64 s[16:17], s[10:11]
	s_cbranch_execnz .LBB109_1138
.LBB109_687:
	s_or_b64 exec, exec, s[16:17]
	v_cmp_gt_u32_e64 s[10:11], 32, v9
	s_and_saveexec_b64 s[16:17], s[10:11]
	s_cbranch_execnz .LBB109_1139
.LBB109_688:
	s_or_b64 exec, exec, s[16:17]
	v_cmp_gt_u32_e64 s[10:11], 24, v9
	s_and_saveexec_b64 s[16:17], s[10:11]
	s_cbranch_execnz .LBB109_1140
.LBB109_689:
	s_or_b64 exec, exec, s[16:17]
	s_and_saveexec_b64 s[10:11], s[2:3]
	s_cbranch_execnz .LBB109_1141
.LBB109_690:
	s_or_b64 exec, exec, s[10:11]
	v_cmp_gt_u32_e64 s[10:11], 8, v9
	s_and_saveexec_b64 s[16:17], s[10:11]
	s_cbranch_execz .LBB109_692
.LBB109_691:
	v_lshlrev_b32_e32 v20, 2, v0
	v_mov_b32_e32 v21, 0
	ds_read_b32 v20, v20 offset:8000
	ds_read_b32 v21, v21 offset:8060
	s_waitcnt lgkmcnt(0)
	v_fmac_f32_e32 v19, v20, v21
.LBB109_692:
	s_or_b64 exec, exec, s[16:17]
.LBB109_693:
	s_or_b64 exec, exec, s[12:13]
	s_and_saveexec_b64 s[10:11], s[52:53]
; %bb.694:
	v_xor_b32_e32 v20, 0x80000000, v19
	ds_write_b32 v15, v20
; %bb.695:
	s_or_b64 exec, exec, s[10:11]
	s_waitcnt lgkmcnt(0)
	s_barrier
	s_and_saveexec_b64 s[10:11], s[54:55]
	s_cbranch_execz .LBB109_697
; %bb.696:
	v_lshlrev_b32_e32 v20, 2, v13
	ds_read_b32 v20, v20 offset:5952
	ds_read_b32 v21, v15
	s_waitcnt lgkmcnt(0)
	v_fma_f32 v19, -v20, v21, v19
.LBB109_697:
	s_or_b64 exec, exec, s[10:11]
	s_barrier
	s_and_saveexec_b64 s[10:11], s[56:57]
; %bb.698:
	v_xor_b32_e32 v20, 0x80000000, v19
	ds_write_b32 v15, v20
; %bb.699:
	s_or_b64 exec, exec, s[10:11]
	s_waitcnt lgkmcnt(0)
	s_barrier
	s_and_saveexec_b64 s[10:11], s[58:59]
	s_cbranch_execz .LBB109_701
; %bb.700:
	v_lshlrev_b32_e32 v20, 2, v13
	ds_read_b32 v20, v20 offset:5696
	ds_read_b32 v21, v15
	s_waitcnt lgkmcnt(0)
	v_fma_f32 v19, -v20, v21, v19
.LBB109_701:
	s_or_b64 exec, exec, s[10:11]
	s_barrier
	;; [unrolled: 19-line block ×6, first 2 shown]
	s_and_saveexec_b64 s[10:11], s[78:79]
; %bb.718:
	v_xor_b32_e32 v20, 0x80000000, v19
	ds_write_b32 v15, v20
; %bb.719:
	s_or_b64 exec, exec, s[10:11]
	s_waitcnt lgkmcnt(0)
	s_barrier
	s_and_saveexec_b64 s[10:11], s[62:63]
	s_cbranch_execz .LBB109_721
; %bb.720:
	v_mov_b32_e32 v20, 0
	ds_read_b32 v20, v20 offset:4416
	ds_read_b32 v21, v15
	s_waitcnt lgkmcnt(0)
	v_fma_f32 v19, -v20, v21, v19
.LBB109_721:
	s_or_b64 exec, exec, s[10:11]
	s_barrier
	s_and_saveexec_b64 s[10:11], s[62:63]
; %bb.722:
	v_xor_b32_e32 v20, 0x80000000, v19
	ds_write_b32 v15, v20
; %bb.723:
	s_or_b64 exec, exec, s[10:11]
	s_waitcnt lgkmcnt(0)
	s_barrier
	s_barrier
	s_and_saveexec_b64 s[10:11], s[14:15]
; %bb.724:
	v_lshlrev_b32_e32 v20, 2, v13
	v_lshl_or_b32 v20, v14, 8, v20
	ds_write_b32 v20, v19 offset:6208
; %bb.725:
	s_or_b64 exec, exec, s[10:11]
	s_waitcnt lgkmcnt(0)
	s_barrier
	s_barrier
	s_and_saveexec_b64 s[10:11], vcc
; %bb.726:
	s_movk_i32 s12, 0x1400
	v_mov_b32_e32 v19, 1.0
	v_add_u32_e64 v20, s12, 0
	ds_write2_b32 v20, v19, v19 offset0:150 offset1:215
; %bb.727:
	s_or_b64 exec, exec, s[10:11]
	v_mov_b32_e32 v19, 0
	s_waitcnt lgkmcnt(0)
	s_barrier
	buffer_wbinvl1_vol
	s_and_saveexec_b64 s[12:13], s[0:1]
	s_cbranch_execz .LBB109_731
; %bb.728:
	v_lshlrev_b32_e32 v19, 8, v3
	v_lshlrev_b32_e32 v20, 2, v2
	ds_read_b32 v21, v20 offset:5712
	ds_read_b32 v19, v19 offset:5720
	v_mov_b32_e32 v20, 0
	v_cmp_gt_u32_e64 s[10:11], 2, v9
	s_waitcnt lgkmcnt(0)
	v_fma_f32 v19, v21, v19, 0
	s_and_saveexec_b64 s[16:17], s[10:11]
	s_cbranch_execz .LBB109_730
; %bb.729:
	v_lshlrev_b32_e32 v21, 2, v0
	ds_read_b32 v21, v21 offset:5968
	ds_read_b32 v20, v20 offset:5980
	s_waitcnt lgkmcnt(0)
	v_fmac_f32_e32 v19, v21, v20
.LBB109_730:
	s_or_b64 exec, exec, s[16:17]
.LBB109_731:
	s_or_b64 exec, exec, s[12:13]
	s_and_saveexec_b64 s[10:11], s[38:39]
; %bb.732:
	v_xor_b32_e32 v20, 0x80000000, v19
	ds_write_b32 v8, v20
; %bb.733:
	s_or_b64 exec, exec, s[10:11]
	s_waitcnt lgkmcnt(0)
	s_barrier
	s_and_saveexec_b64 s[10:11], s[36:37]
	s_cbranch_execz .LBB109_735
; %bb.734:
	v_mov_b32_e32 v20, 0
	ds_read_b32 v20, v20 offset:5456
	ds_read_b32 v21, v8
	s_waitcnt lgkmcnt(0)
	v_fma_f32 v19, -v20, v21, v19
.LBB109_735:
	s_or_b64 exec, exec, s[10:11]
	s_barrier
	s_and_saveexec_b64 s[10:11], s[36:37]
; %bb.736:
	v_xor_b32_e32 v20, 0x80000000, v19
	ds_write_b32 v8, v20
; %bb.737:
	s_or_b64 exec, exec, s[10:11]
	s_waitcnt lgkmcnt(0)
	s_barrier
	s_barrier
	s_and_saveexec_b64 s[10:11], s[0:1]
; %bb.738:
	v_lshlrev_b32_e32 v20, 2, v2
	v_lshl_or_b32 v20, v3, 8, v20
	ds_write_b32 v20, v19 offset:5712
; %bb.739:
	s_or_b64 exec, exec, s[10:11]
	s_waitcnt lgkmcnt(0)
	s_barrier
	s_barrier
	s_and_saveexec_b64 s[10:11], vcc
; %bb.740:
	s_movk_i32 s12, 0x1400
	v_mov_b32_e32 v19, 1.0
	v_add_u32_e64 v20, s12, 0
	ds_write2_b32 v20, v19, v19 offset0:20 offset1:85
; %bb.741:
	s_or_b64 exec, exec, s[10:11]
	v_mov_b32_e32 v19, 0
	s_waitcnt lgkmcnt(0)
	s_barrier
	buffer_wbinvl1_vol
	s_and_saveexec_b64 s[12:13], s[2:3]
	s_cbranch_execz .LBB109_747
; %bb.742:
	v_lshlrev_b32_e32 v21, 2, v10
	v_lshlrev_b32_e32 v20, 8, v11
	ds_read_b32 v19, v21 offset:5184
	ds_read_b32 v22, v20 offset:5200
	v_cmp_gt_u32_e64 s[10:11], 12, v9
	s_waitcnt lgkmcnt(0)
	v_fma_f32 v19, v19, v22, 0
	s_and_saveexec_b64 s[16:17], s[10:11]
	s_cbranch_execnz .LBB109_1142
; %bb.743:
	s_or_b64 exec, exec, s[16:17]
	v_cmp_gt_u32_e64 s[10:11], 8, v9
	s_and_saveexec_b64 s[16:17], s[10:11]
	s_cbranch_execnz .LBB109_1143
.LBB109_744:
	s_or_b64 exec, exec, s[16:17]
	v_cmp_gt_u32_e64 s[10:11], 4, v9
	s_and_saveexec_b64 s[16:17], s[10:11]
	s_cbranch_execz .LBB109_746
.LBB109_745:
	v_lshlrev_b32_e32 v20, 2, v0
	v_mov_b32_e32 v21, 0
	ds_read_b32 v20, v20 offset:5952
	ds_read_b32 v21, v21 offset:5980
	s_waitcnt lgkmcnt(0)
	v_fmac_f32_e32 v19, v20, v21
.LBB109_746:
	s_or_b64 exec, exec, s[16:17]
.LBB109_747:
	s_or_b64 exec, exec, s[12:13]
	s_and_saveexec_b64 s[10:11], s[42:43]
; %bb.748:
	v_xor_b32_e32 v20, 0x80000000, v19
	ds_write_b32 v12, v20
; %bb.749:
	s_or_b64 exec, exec, s[10:11]
	s_waitcnt lgkmcnt(0)
	s_barrier
	s_and_saveexec_b64 s[10:11], s[44:45]
	s_cbranch_execz .LBB109_751
; %bb.750:
	v_lshlrev_b32_e32 v20, 2, v10
	ds_read_b32 v20, v20 offset:4928
	ds_read_b32 v21, v12
	s_waitcnt lgkmcnt(0)
	v_fma_f32 v19, -v20, v21, v19
.LBB109_751:
	s_or_b64 exec, exec, s[10:11]
	s_barrier
	s_and_saveexec_b64 s[10:11], s[46:47]
; %bb.752:
	v_xor_b32_e32 v20, 0x80000000, v19
	ds_write_b32 v12, v20
; %bb.753:
	s_or_b64 exec, exec, s[10:11]
	s_waitcnt lgkmcnt(0)
	s_barrier
	s_and_saveexec_b64 s[10:11], s[48:49]
	s_cbranch_execz .LBB109_755
; %bb.754:
	v_lshlrev_b32_e32 v20, 2, v10
	ds_read_b32 v20, v20 offset:4672
	ds_read_b32 v21, v12
	s_waitcnt lgkmcnt(0)
	v_fma_f32 v19, -v20, v21, v19
.LBB109_755:
	s_or_b64 exec, exec, s[10:11]
	s_barrier
	s_and_saveexec_b64 s[10:11], s[50:51]
; %bb.756:
	v_xor_b32_e32 v20, 0x80000000, v19
	ds_write_b32 v12, v20
; %bb.757:
	s_or_b64 exec, exec, s[10:11]
	s_waitcnt lgkmcnt(0)
	s_barrier
	s_and_saveexec_b64 s[10:11], s[40:41]
	s_cbranch_execz .LBB109_759
; %bb.758:
	v_mov_b32_e32 v20, 0
	ds_read_b32 v20, v20 offset:4416
	ds_read_b32 v21, v12
	s_waitcnt lgkmcnt(0)
	v_fma_f32 v19, -v20, v21, v19
.LBB109_759:
	s_or_b64 exec, exec, s[10:11]
	s_barrier
	s_and_saveexec_b64 s[10:11], s[40:41]
; %bb.760:
	v_xor_b32_e32 v20, 0x80000000, v19
	ds_write_b32 v12, v20
; %bb.761:
	s_or_b64 exec, exec, s[10:11]
	s_waitcnt lgkmcnt(0)
	s_barrier
	s_barrier
	s_and_saveexec_b64 s[10:11], s[2:3]
; %bb.762:
	v_lshlrev_b32_e32 v20, 2, v10
	v_lshl_or_b32 v20, v11, 8, v20
	ds_write_b32 v20, v19 offset:5184
; %bb.763:
	s_or_b64 exec, exec, s[10:11]
	s_waitcnt lgkmcnt(0)
	s_barrier
	s_barrier
	s_and_saveexec_b64 s[10:11], vcc
; %bb.764:
	s_movk_i32 s12, 0x1000
	v_mov_b32_e32 v19, 1.0
	v_add_u32_e64 v20, s12, 0
	ds_write2_b32 v20, v19, v19 offset0:146 offset1:211
; %bb.765:
	s_or_b64 exec, exec, s[10:11]
	v_mov_b32_e32 v19, 0
	s_waitcnt lgkmcnt(0)
	s_barrier
	buffer_wbinvl1_vol
	s_and_saveexec_b64 s[12:13], s[0:1]
	s_cbranch_execz .LBB109_769
; %bb.766:
	v_lshlrev_b32_e32 v19, 8, v3
	v_lshlrev_b32_e32 v20, 2, v2
	ds_read_b32 v21, v20 offset:4672
	ds_read_b32 v19, v19 offset:4680
	v_mov_b32_e32 v20, 0
	v_cmp_gt_u32_e64 s[10:11], 2, v9
	s_waitcnt lgkmcnt(0)
	v_fma_f32 v19, v21, v19, 0
	s_and_saveexec_b64 s[16:17], s[10:11]
	s_cbranch_execz .LBB109_768
; %bb.767:
	v_lshlrev_b32_e32 v21, 2, v0
	ds_read_b32 v21, v21 offset:4928
	ds_read_b32 v20, v20 offset:4940
	s_waitcnt lgkmcnt(0)
	v_fmac_f32_e32 v19, v21, v20
.LBB109_768:
	s_or_b64 exec, exec, s[16:17]
.LBB109_769:
	s_or_b64 exec, exec, s[12:13]
	s_and_saveexec_b64 s[10:11], s[38:39]
; %bb.770:
	v_xor_b32_e32 v20, 0x80000000, v19
	ds_write_b32 v8, v20
; %bb.771:
	s_or_b64 exec, exec, s[10:11]
	s_waitcnt lgkmcnt(0)
	s_barrier
	s_and_saveexec_b64 s[10:11], s[36:37]
	s_cbranch_execz .LBB109_773
; %bb.772:
	v_mov_b32_e32 v20, 0
	ds_read_b32 v20, v20 offset:4416
	ds_read_b32 v21, v8
	s_waitcnt lgkmcnt(0)
	v_fma_f32 v19, -v20, v21, v19
.LBB109_773:
	s_or_b64 exec, exec, s[10:11]
	s_barrier
	s_and_saveexec_b64 s[10:11], s[36:37]
; %bb.774:
	v_xor_b32_e32 v20, 0x80000000, v19
	ds_write_b32 v8, v20
; %bb.775:
	s_or_b64 exec, exec, s[10:11]
	s_waitcnt lgkmcnt(0)
	s_barrier
	s_barrier
	s_and_saveexec_b64 s[10:11], s[0:1]
; %bb.776:
	v_lshlrev_b32_e32 v20, 2, v2
	v_lshl_or_b32 v20, v3, 8, v20
	ds_write_b32 v20, v19 offset:4672
; %bb.777:
	s_or_b64 exec, exec, s[10:11]
	s_waitcnt lgkmcnt(0)
	s_barrier
	s_barrier
	s_and_saveexec_b64 s[10:11], vcc
; %bb.778:
	s_movk_i32 s12, 0x1000
	v_mov_b32_e32 v19, 1.0
	v_add_u32_e64 v20, s12, 0
	ds_write2_b32 v20, v19, v19 offset0:16 offset1:81
; %bb.779:
	s_or_b64 exec, exec, s[10:11]
	v_mov_b32_e32 v19, 0
	s_waitcnt lgkmcnt(0)
	s_barrier
	buffer_wbinvl1_vol
	s_and_saveexec_b64 s[12:13], s[8:9]
	s_cbranch_execz .LBB109_807
; %bb.780:
	v_lshlrev_b32_e32 v21, 2, v16
	v_lshlrev_b32_e32 v20, 8, v17
	ds_read_b32 v19, v21 offset:4096
	ds_read_b32 v22, v20 offset:4160
	s_movk_i32 s10, 0xf0
	v_cmp_gt_u32_e64 s[10:11], s10, v9
	s_waitcnt lgkmcnt(0)
	v_fma_f32 v19, v19, v22, 0
	s_and_saveexec_b64 s[16:17], s[10:11]
	s_cbranch_execz .LBB109_782
; %bb.781:
	ds_read_b32 v22, v21 offset:4352
	ds_read_b32 v23, v20 offset:4164
	s_waitcnt lgkmcnt(0)
	v_fmac_f32_e32 v19, v22, v23
.LBB109_782:
	s_or_b64 exec, exec, s[16:17]
	s_movk_i32 s10, 0xe0
	v_cmp_gt_u32_e64 s[10:11], s10, v9
	s_and_saveexec_b64 s[16:17], s[10:11]
	s_cbranch_execz .LBB109_784
; %bb.783:
	ds_read_b32 v22, v21 offset:4608
	ds_read_b32 v23, v20 offset:4168
	s_waitcnt lgkmcnt(0)
	v_fmac_f32_e32 v19, v22, v23
.LBB109_784:
	s_or_b64 exec, exec, s[16:17]
	s_movk_i32 s10, 0xd0
	v_cmp_gt_u32_e64 s[10:11], s10, v9
	;; [unrolled: 11-line block ×10, first 2 shown]
	s_and_saveexec_b64 s[16:17], s[10:11]
	s_cbranch_execnz .LBB109_1144
; %bb.801:
	s_or_b64 exec, exec, s[16:17]
	s_and_saveexec_b64 s[10:11], s[14:15]
	s_cbranch_execnz .LBB109_1145
.LBB109_802:
	s_or_b64 exec, exec, s[10:11]
	v_cmp_gt_u32_e64 s[10:11], 48, v9
	s_and_saveexec_b64 s[16:17], s[10:11]
	s_cbranch_execnz .LBB109_1146
.LBB109_803:
	s_or_b64 exec, exec, s[16:17]
	v_cmp_gt_u32_e64 s[10:11], 32, v9
	s_and_saveexec_b64 s[16:17], s[10:11]
	s_cbranch_execnz .LBB109_1147
.LBB109_804:
	s_or_b64 exec, exec, s[16:17]
	v_cmp_gt_u32_e64 s[10:11], 16, v9
	s_and_saveexec_b64 s[16:17], s[10:11]
	s_cbranch_execz .LBB109_806
.LBB109_805:
	v_lshlrev_b32_e32 v20, 2, v0
	v_mov_b32_e32 v21, 0
	ds_read_b32 v20, v20 offset:7936
	ds_read_b32 v21, v21 offset:8060
	s_waitcnt lgkmcnt(0)
	v_fmac_f32_e32 v19, v20, v21
.LBB109_806:
	s_or_b64 exec, exec, s[16:17]
.LBB109_807:
	s_or_b64 exec, exec, s[12:13]
	s_mov_b64 s[10:11], exec
	v_readlane_b32 s12, v27, 0
	v_readlane_b32 s13, v27, 1
	s_and_b64 s[12:13], s[10:11], s[12:13]
	s_mov_b64 exec, s[12:13]
; %bb.808:
	v_xor_b32_e32 v20, 0x80000000, v19
	ds_write_b32 v18, v20
; %bb.809:
	s_or_b64 exec, exec, s[10:11]
	s_waitcnt lgkmcnt(0)
	s_barrier
	s_mov_b64 s[10:11], exec
	v_readlane_b32 s12, v27, 2
	v_readlane_b32 s13, v27, 3
	s_and_b64 s[12:13], s[10:11], s[12:13]
	s_mov_b64 exec, s[12:13]
	s_cbranch_execz .LBB109_811
; %bb.810:
	v_lshlrev_b32_e32 v20, 2, v16
	ds_read_b32 v20, v20 offset:3840
	ds_read_b32 v21, v18
	s_waitcnt lgkmcnt(0)
	v_fma_f32 v19, -v20, v21, v19
.LBB109_811:
	s_or_b64 exec, exec, s[10:11]
	s_barrier
	s_mov_b64 s[10:11], exec
	v_readlane_b32 s12, v27, 4
	v_readlane_b32 s13, v27, 5
	s_and_b64 s[12:13], s[10:11], s[12:13]
	s_mov_b64 exec, s[12:13]
; %bb.812:
	v_xor_b32_e32 v20, 0x80000000, v19
	ds_write_b32 v18, v20
; %bb.813:
	s_or_b64 exec, exec, s[10:11]
	s_waitcnt lgkmcnt(0)
	s_barrier
	s_mov_b64 s[10:11], exec
	v_readlane_b32 s12, v27, 6
	v_readlane_b32 s13, v27, 7
	s_and_b64 s[12:13], s[10:11], s[12:13]
	s_mov_b64 exec, s[12:13]
	s_cbranch_execz .LBB109_815
; %bb.814:
	v_lshlrev_b32_e32 v20, 2, v16
	ds_read_b32 v20, v20 offset:3584
	ds_read_b32 v21, v18
	s_waitcnt lgkmcnt(0)
	v_fma_f32 v19, -v20, v21, v19
.LBB109_815:
	s_or_b64 exec, exec, s[10:11]
	s_barrier
	;; [unrolled: 27-line block ×12, first 2 shown]
	s_mov_b64 s[10:11], exec
	v_readlane_b32 s12, v27, 48
	v_readlane_b32 s13, v27, 49
	s_and_b64 s[12:13], s[10:11], s[12:13]
	s_mov_b64 exec, s[12:13]
; %bb.856:
	v_xor_b32_e32 v20, 0x80000000, v19
	ds_write_b32 v18, v20
; %bb.857:
	s_or_b64 exec, exec, s[10:11]
	s_waitcnt lgkmcnt(0)
	s_barrier
	s_and_saveexec_b64 s[10:11], s[18:19]
	s_cbranch_execz .LBB109_859
; %bb.858:
	v_lshlrev_b32_e32 v20, 2, v16
	ds_read_b32 v20, v20 offset:768
	ds_read_b32 v21, v18
	s_waitcnt lgkmcnt(0)
	v_fma_f32 v19, -v20, v21, v19
.LBB109_859:
	s_or_b64 exec, exec, s[10:11]
	s_barrier
	s_and_saveexec_b64 s[10:11], s[80:81]
; %bb.860:
	v_xor_b32_e32 v20, 0x80000000, v19
	ds_write_b32 v18, v20
; %bb.861:
	s_or_b64 exec, exec, s[10:11]
	s_waitcnt lgkmcnt(0)
	s_barrier
	s_and_saveexec_b64 s[10:11], s[82:83]
	s_cbranch_execz .LBB109_863
; %bb.862:
	v_lshlrev_b32_e32 v20, 2, v16
	ds_read_b32 v20, v20 offset:512
	ds_read_b32 v21, v18
	s_waitcnt lgkmcnt(0)
	v_fma_f32 v19, -v20, v21, v19
.LBB109_863:
	s_or_b64 exec, exec, s[10:11]
	s_barrier
	s_and_saveexec_b64 s[10:11], s[84:85]
; %bb.864:
	v_xor_b32_e32 v20, 0x80000000, v19
	ds_write_b32 v18, v20
; %bb.865:
	s_or_b64 exec, exec, s[10:11]
	s_waitcnt lgkmcnt(0)
	s_barrier
	s_and_saveexec_b64 s[10:11], s[86:87]
	s_cbranch_execz .LBB109_867
; %bb.866:
	v_mov_b32_e32 v20, 0
	ds_read_b32 v20, v20 offset:256
	ds_read_b32 v21, v18
	s_waitcnt lgkmcnt(0)
	v_fma_f32 v19, -v20, v21, v19
.LBB109_867:
	s_or_b64 exec, exec, s[10:11]
	s_barrier
	s_and_saveexec_b64 s[10:11], s[86:87]
; %bb.868:
	v_xor_b32_e32 v20, 0x80000000, v19
	ds_write_b32 v18, v20
; %bb.869:
	s_or_b64 exec, exec, s[10:11]
	s_waitcnt lgkmcnt(0)
	s_barrier
	s_barrier
	s_and_saveexec_b64 s[10:11], s[8:9]
; %bb.870:
	v_lshlrev_b32_e32 v16, 2, v16
	v_lshl_or_b32 v16, v17, 8, v16
	ds_write_b32 v16, v19 offset:4096
; %bb.871:
	s_or_b64 exec, exec, s[10:11]
	s_waitcnt lgkmcnt(0)
	s_barrier
	s_barrier
	s_and_saveexec_b64 s[8:9], vcc
; %bb.872:
	s_movk_i32 s10, 0xc00
	v_mov_b32_e32 v16, 1.0
	v_add_u32_e64 v17, s10, 0
	ds_write2_b32 v17, v16, v16 offset0:142 offset1:207
; %bb.873:
	s_or_b64 exec, exec, s[8:9]
	v_mov_b32_e32 v16, 0
	s_waitcnt lgkmcnt(0)
	s_barrier
	buffer_wbinvl1_vol
	s_and_saveexec_b64 s[10:11], s[0:1]
	s_cbranch_execz .LBB109_877
; %bb.874:
	v_lshlrev_b32_e32 v16, 8, v3
	v_lshlrev_b32_e32 v17, 2, v2
	ds_read_b32 v18, v17 offset:3632
	ds_read_b32 v16, v16 offset:3640
	v_mov_b32_e32 v17, 0
	v_cmp_gt_u32_e64 s[8:9], 2, v9
	s_waitcnt lgkmcnt(0)
	v_fma_f32 v16, v18, v16, 0
	s_and_saveexec_b64 s[12:13], s[8:9]
	s_cbranch_execz .LBB109_876
; %bb.875:
	v_lshlrev_b32_e32 v18, 2, v0
	ds_read_b32 v18, v18 offset:3888
	ds_read_b32 v17, v17 offset:3900
	s_waitcnt lgkmcnt(0)
	v_fmac_f32_e32 v16, v18, v17
.LBB109_876:
	s_or_b64 exec, exec, s[12:13]
.LBB109_877:
	s_or_b64 exec, exec, s[10:11]
	s_and_saveexec_b64 s[8:9], s[38:39]
; %bb.878:
	v_xor_b32_e32 v17, 0x80000000, v16
	ds_write_b32 v8, v17
; %bb.879:
	s_or_b64 exec, exec, s[8:9]
	s_waitcnt lgkmcnt(0)
	s_barrier
	s_and_saveexec_b64 s[8:9], s[36:37]
	s_cbranch_execz .LBB109_881
; %bb.880:
	v_mov_b32_e32 v17, 0
	ds_read_b32 v17, v17 offset:3376
	ds_read_b32 v18, v8
	s_waitcnt lgkmcnt(0)
	v_fma_f32 v16, -v17, v18, v16
.LBB109_881:
	s_or_b64 exec, exec, s[8:9]
	s_barrier
	s_and_saveexec_b64 s[8:9], s[36:37]
; %bb.882:
	v_xor_b32_e32 v17, 0x80000000, v16
	ds_write_b32 v8, v17
; %bb.883:
	s_or_b64 exec, exec, s[8:9]
	s_waitcnt lgkmcnt(0)
	s_barrier
	s_barrier
	s_and_saveexec_b64 s[8:9], s[0:1]
; %bb.884:
	v_lshlrev_b32_e32 v17, 2, v2
	v_lshl_or_b32 v17, v3, 8, v17
	ds_write_b32 v17, v16 offset:3632
; %bb.885:
	s_or_b64 exec, exec, s[8:9]
	s_waitcnt lgkmcnt(0)
	s_barrier
	s_barrier
	s_and_saveexec_b64 s[8:9], vcc
; %bb.886:
	s_movk_i32 s10, 0xc00
	v_mov_b32_e32 v16, 1.0
	v_add_u32_e64 v17, s10, 0
	ds_write2_b32 v17, v16, v16 offset0:12 offset1:77
; %bb.887:
	s_or_b64 exec, exec, s[8:9]
	v_mov_b32_e32 v16, 0
	s_waitcnt lgkmcnt(0)
	s_barrier
	buffer_wbinvl1_vol
	s_and_saveexec_b64 s[10:11], s[2:3]
	s_cbranch_execz .LBB109_893
; %bb.888:
	v_lshlrev_b32_e32 v18, 2, v10
	v_lshlrev_b32_e32 v17, 8, v11
	ds_read_b32 v16, v18 offset:3104
	ds_read_b32 v19, v17 offset:3120
	v_cmp_gt_u32_e64 s[8:9], 12, v9
	s_waitcnt lgkmcnt(0)
	v_fma_f32 v16, v16, v19, 0
	s_and_saveexec_b64 s[12:13], s[8:9]
	s_cbranch_execnz .LBB109_1148
; %bb.889:
	s_or_b64 exec, exec, s[12:13]
	v_cmp_gt_u32_e64 s[8:9], 8, v9
	s_and_saveexec_b64 s[12:13], s[8:9]
	s_cbranch_execnz .LBB109_1149
.LBB109_890:
	s_or_b64 exec, exec, s[12:13]
	v_cmp_gt_u32_e64 s[8:9], 4, v9
	s_and_saveexec_b64 s[12:13], s[8:9]
	s_cbranch_execz .LBB109_892
.LBB109_891:
	v_lshlrev_b32_e32 v17, 2, v0
	v_mov_b32_e32 v18, 0
	ds_read_b32 v17, v17 offset:3872
	ds_read_b32 v18, v18 offset:3900
	s_waitcnt lgkmcnt(0)
	v_fmac_f32_e32 v16, v17, v18
.LBB109_892:
	s_or_b64 exec, exec, s[12:13]
.LBB109_893:
	s_or_b64 exec, exec, s[10:11]
	s_and_saveexec_b64 s[8:9], s[42:43]
; %bb.894:
	v_xor_b32_e32 v17, 0x80000000, v16
	ds_write_b32 v12, v17
; %bb.895:
	s_or_b64 exec, exec, s[8:9]
	s_waitcnt lgkmcnt(0)
	s_barrier
	s_and_saveexec_b64 s[8:9], s[44:45]
	s_cbranch_execz .LBB109_897
; %bb.896:
	v_lshlrev_b32_e32 v17, 2, v10
	ds_read_b32 v17, v17 offset:2848
	ds_read_b32 v18, v12
	s_waitcnt lgkmcnt(0)
	v_fma_f32 v16, -v17, v18, v16
.LBB109_897:
	s_or_b64 exec, exec, s[8:9]
	s_barrier
	s_and_saveexec_b64 s[8:9], s[46:47]
; %bb.898:
	v_xor_b32_e32 v17, 0x80000000, v16
	ds_write_b32 v12, v17
; %bb.899:
	s_or_b64 exec, exec, s[8:9]
	s_waitcnt lgkmcnt(0)
	s_barrier
	s_and_saveexec_b64 s[8:9], s[48:49]
	s_cbranch_execz .LBB109_901
; %bb.900:
	v_lshlrev_b32_e32 v17, 2, v10
	ds_read_b32 v17, v17 offset:2592
	ds_read_b32 v18, v12
	s_waitcnt lgkmcnt(0)
	v_fma_f32 v16, -v17, v18, v16
.LBB109_901:
	s_or_b64 exec, exec, s[8:9]
	s_barrier
	s_and_saveexec_b64 s[8:9], s[50:51]
; %bb.902:
	v_xor_b32_e32 v17, 0x80000000, v16
	ds_write_b32 v12, v17
; %bb.903:
	s_or_b64 exec, exec, s[8:9]
	s_waitcnt lgkmcnt(0)
	s_barrier
	s_and_saveexec_b64 s[8:9], s[40:41]
	s_cbranch_execz .LBB109_905
; %bb.904:
	v_mov_b32_e32 v17, 0
	ds_read_b32 v17, v17 offset:2336
	ds_read_b32 v18, v12
	s_waitcnt lgkmcnt(0)
	v_fma_f32 v16, -v17, v18, v16
.LBB109_905:
	s_or_b64 exec, exec, s[8:9]
	s_barrier
	s_and_saveexec_b64 s[8:9], s[40:41]
; %bb.906:
	v_xor_b32_e32 v17, 0x80000000, v16
	ds_write_b32 v12, v17
; %bb.907:
	s_or_b64 exec, exec, s[8:9]
	s_waitcnt lgkmcnt(0)
	s_barrier
	s_barrier
	s_and_saveexec_b64 s[8:9], s[2:3]
; %bb.908:
	v_lshlrev_b32_e32 v17, 2, v10
	v_lshl_or_b32 v17, v11, 8, v17
	ds_write_b32 v17, v16 offset:3104
; %bb.909:
	s_or_b64 exec, exec, s[8:9]
	s_waitcnt lgkmcnt(0)
	s_barrier
	s_barrier
	s_and_saveexec_b64 s[8:9], vcc
; %bb.910:
	s_movk_i32 s10, 0x800
	v_mov_b32_e32 v16, 1.0
	v_add_u32_e64 v17, s10, 0
	ds_write2_b32 v17, v16, v16 offset0:138 offset1:203
; %bb.911:
	s_or_b64 exec, exec, s[8:9]
	v_mov_b32_e32 v16, 0
	s_waitcnt lgkmcnt(0)
	s_barrier
	buffer_wbinvl1_vol
	s_and_saveexec_b64 s[10:11], s[0:1]
	s_cbranch_execz .LBB109_915
; %bb.912:
	v_lshlrev_b32_e32 v16, 8, v3
	v_lshlrev_b32_e32 v17, 2, v2
	ds_read_b32 v18, v17 offset:2592
	ds_read_b32 v16, v16 offset:2600
	v_mov_b32_e32 v17, 0
	v_cmp_gt_u32_e64 s[8:9], 2, v9
	s_waitcnt lgkmcnt(0)
	v_fma_f32 v16, v18, v16, 0
	s_and_saveexec_b64 s[12:13], s[8:9]
	s_cbranch_execz .LBB109_914
; %bb.913:
	v_lshlrev_b32_e32 v18, 2, v0
	ds_read_b32 v18, v18 offset:2848
	ds_read_b32 v17, v17 offset:2860
	s_waitcnt lgkmcnt(0)
	v_fmac_f32_e32 v16, v18, v17
.LBB109_914:
	s_or_b64 exec, exec, s[12:13]
.LBB109_915:
	s_or_b64 exec, exec, s[10:11]
	s_and_saveexec_b64 s[8:9], s[38:39]
; %bb.916:
	v_xor_b32_e32 v17, 0x80000000, v16
	ds_write_b32 v8, v17
; %bb.917:
	s_or_b64 exec, exec, s[8:9]
	s_waitcnt lgkmcnt(0)
	s_barrier
	s_and_saveexec_b64 s[8:9], s[36:37]
	s_cbranch_execz .LBB109_919
; %bb.918:
	v_mov_b32_e32 v17, 0
	ds_read_b32 v17, v17 offset:2336
	ds_read_b32 v18, v8
	s_waitcnt lgkmcnt(0)
	v_fma_f32 v16, -v17, v18, v16
.LBB109_919:
	s_or_b64 exec, exec, s[8:9]
	s_barrier
	s_and_saveexec_b64 s[8:9], s[36:37]
; %bb.920:
	v_xor_b32_e32 v17, 0x80000000, v16
	ds_write_b32 v8, v17
; %bb.921:
	s_or_b64 exec, exec, s[8:9]
	s_waitcnt lgkmcnt(0)
	s_barrier
	s_barrier
	s_and_saveexec_b64 s[8:9], s[0:1]
; %bb.922:
	v_lshlrev_b32_e32 v17, 2, v2
	v_lshl_or_b32 v17, v3, 8, v17
	ds_write_b32 v17, v16 offset:2592
; %bb.923:
	s_or_b64 exec, exec, s[8:9]
	s_waitcnt lgkmcnt(0)
	s_barrier
	s_barrier
	s_and_saveexec_b64 s[8:9], vcc
; %bb.924:
	s_movk_i32 s10, 0x800
	v_mov_b32_e32 v16, 1.0
	v_add_u32_e64 v17, s10, 0
	ds_write2_b32 v17, v16, v16 offset0:8 offset1:73
; %bb.925:
	s_or_b64 exec, exec, s[8:9]
	v_mov_b32_e32 v16, 0
	s_waitcnt lgkmcnt(0)
	s_barrier
	buffer_wbinvl1_vol
	s_and_saveexec_b64 s[10:11], s[14:15]
	s_cbranch_execz .LBB109_935
; %bb.926:
	v_lshlrev_b32_e32 v18, 2, v13
	v_lshlrev_b32_e32 v17, 8, v14
	ds_read_b32 v16, v18 offset:2048
	ds_read_b32 v19, v17 offset:2080
	v_cmp_gt_u32_e64 s[8:9], 56, v9
	s_waitcnt lgkmcnt(0)
	v_fma_f32 v16, v16, v19, 0
	s_and_saveexec_b64 s[12:13], s[8:9]
	s_cbranch_execnz .LBB109_1150
; %bb.927:
	s_or_b64 exec, exec, s[12:13]
	v_cmp_gt_u32_e64 s[8:9], 48, v9
	s_and_saveexec_b64 s[12:13], s[8:9]
	s_cbranch_execnz .LBB109_1151
.LBB109_928:
	s_or_b64 exec, exec, s[12:13]
	v_cmp_gt_u32_e64 s[8:9], 40, v9
	s_and_saveexec_b64 s[12:13], s[8:9]
	s_cbranch_execnz .LBB109_1152
.LBB109_929:
	s_or_b64 exec, exec, s[12:13]
	v_cmp_gt_u32_e64 s[8:9], 32, v9
	s_and_saveexec_b64 s[12:13], s[8:9]
	s_cbranch_execnz .LBB109_1153
.LBB109_930:
	s_or_b64 exec, exec, s[12:13]
	v_cmp_gt_u32_e64 s[8:9], 24, v9
	s_and_saveexec_b64 s[12:13], s[8:9]
	s_cbranch_execnz .LBB109_1154
.LBB109_931:
	s_or_b64 exec, exec, s[12:13]
	s_and_saveexec_b64 s[8:9], s[2:3]
	s_cbranch_execnz .LBB109_1155
.LBB109_932:
	s_or_b64 exec, exec, s[8:9]
	v_cmp_gt_u32_e64 s[8:9], 8, v9
	s_and_saveexec_b64 s[12:13], s[8:9]
	s_cbranch_execz .LBB109_934
.LBB109_933:
	v_lshlrev_b32_e32 v17, 2, v0
	v_mov_b32_e32 v18, 0
	ds_read_b32 v17, v17 offset:3840
	ds_read_b32 v18, v18 offset:3900
	s_waitcnt lgkmcnt(0)
	v_fmac_f32_e32 v16, v17, v18
.LBB109_934:
	s_or_b64 exec, exec, s[12:13]
.LBB109_935:
	s_or_b64 exec, exec, s[10:11]
	s_and_saveexec_b64 s[8:9], s[52:53]
; %bb.936:
	v_xor_b32_e32 v17, 0x80000000, v16
	ds_write_b32 v15, v17
; %bb.937:
	s_or_b64 exec, exec, s[8:9]
	s_waitcnt lgkmcnt(0)
	s_barrier
	s_and_saveexec_b64 s[8:9], s[54:55]
	s_cbranch_execz .LBB109_939
; %bb.938:
	v_lshlrev_b32_e32 v17, 2, v13
	ds_read_b32 v17, v17 offset:1792
	ds_read_b32 v18, v15
	s_waitcnt lgkmcnt(0)
	v_fma_f32 v16, -v17, v18, v16
.LBB109_939:
	s_or_b64 exec, exec, s[8:9]
	s_barrier
	s_and_saveexec_b64 s[8:9], s[56:57]
; %bb.940:
	v_xor_b32_e32 v17, 0x80000000, v16
	ds_write_b32 v15, v17
; %bb.941:
	s_or_b64 exec, exec, s[8:9]
	s_waitcnt lgkmcnt(0)
	s_barrier
	s_and_saveexec_b64 s[8:9], s[58:59]
	s_cbranch_execz .LBB109_943
; %bb.942:
	v_lshlrev_b32_e32 v17, 2, v13
	ds_read_b32 v17, v17 offset:1536
	ds_read_b32 v18, v15
	s_waitcnt lgkmcnt(0)
	v_fma_f32 v16, -v17, v18, v16
.LBB109_943:
	s_or_b64 exec, exec, s[8:9]
	s_barrier
	;; [unrolled: 19-line block ×6, first 2 shown]
	s_and_saveexec_b64 s[8:9], s[78:79]
; %bb.960:
	v_xor_b32_e32 v17, 0x80000000, v16
	ds_write_b32 v15, v17
; %bb.961:
	s_or_b64 exec, exec, s[8:9]
	s_waitcnt lgkmcnt(0)
	s_barrier
	s_and_saveexec_b64 s[8:9], s[62:63]
	s_cbranch_execz .LBB109_963
; %bb.962:
	v_mov_b32_e32 v17, 0
	ds_read_b32 v17, v17 offset:256
	ds_read_b32 v18, v15
	s_waitcnt lgkmcnt(0)
	v_fma_f32 v16, -v17, v18, v16
.LBB109_963:
	s_or_b64 exec, exec, s[8:9]
	s_barrier
	s_and_saveexec_b64 s[8:9], s[62:63]
; %bb.964:
	v_xor_b32_e32 v17, 0x80000000, v16
	ds_write_b32 v15, v17
; %bb.965:
	s_or_b64 exec, exec, s[8:9]
	s_waitcnt lgkmcnt(0)
	s_barrier
	s_barrier
	s_and_saveexec_b64 s[8:9], s[14:15]
; %bb.966:
	v_lshlrev_b32_e32 v13, 2, v13
	v_lshl_or_b32 v13, v14, 8, v13
	ds_write_b32 v13, v16 offset:2048
; %bb.967:
	s_or_b64 exec, exec, s[8:9]
	s_waitcnt lgkmcnt(0)
	s_barrier
	s_barrier
	s_and_saveexec_b64 s[8:9], vcc
; %bb.968:
	s_movk_i32 s10, 0x400
	v_mov_b32_e32 v13, 1.0
	v_add_u32_e64 v14, s10, 0
	ds_write2_b32 v14, v13, v13 offset0:134 offset1:199
; %bb.969:
	s_or_b64 exec, exec, s[8:9]
	v_mov_b32_e32 v13, 0
	s_waitcnt lgkmcnt(0)
	s_barrier
	buffer_wbinvl1_vol
	s_and_saveexec_b64 s[10:11], s[0:1]
	s_cbranch_execz .LBB109_973
; %bb.970:
	v_lshlrev_b32_e32 v13, 8, v3
	v_lshlrev_b32_e32 v14, 2, v2
	ds_read_b32 v15, v14 offset:1552
	ds_read_b32 v13, v13 offset:1560
	v_mov_b32_e32 v14, 0
	v_cmp_gt_u32_e64 s[8:9], 2, v9
	s_waitcnt lgkmcnt(0)
	v_fma_f32 v13, v15, v13, 0
	s_and_saveexec_b64 s[12:13], s[8:9]
	s_cbranch_execz .LBB109_972
; %bb.971:
	v_lshlrev_b32_e32 v15, 2, v0
	ds_read_b32 v15, v15 offset:1808
	ds_read_b32 v14, v14 offset:1820
	s_waitcnt lgkmcnt(0)
	v_fmac_f32_e32 v13, v15, v14
.LBB109_972:
	s_or_b64 exec, exec, s[12:13]
.LBB109_973:
	s_or_b64 exec, exec, s[10:11]
	s_and_saveexec_b64 s[8:9], s[38:39]
; %bb.974:
	v_xor_b32_e32 v14, 0x80000000, v13
	ds_write_b32 v8, v14
; %bb.975:
	s_or_b64 exec, exec, s[8:9]
	s_waitcnt lgkmcnt(0)
	s_barrier
	s_and_saveexec_b64 s[8:9], s[36:37]
	s_cbranch_execz .LBB109_977
; %bb.976:
	v_mov_b32_e32 v14, 0
	ds_read_b32 v14, v14 offset:1296
	ds_read_b32 v15, v8
	s_waitcnt lgkmcnt(0)
	v_fma_f32 v13, -v14, v15, v13
.LBB109_977:
	s_or_b64 exec, exec, s[8:9]
	s_barrier
	s_and_saveexec_b64 s[8:9], s[36:37]
; %bb.978:
	v_xor_b32_e32 v14, 0x80000000, v13
	ds_write_b32 v8, v14
; %bb.979:
	s_or_b64 exec, exec, s[8:9]
	s_waitcnt lgkmcnt(0)
	s_barrier
	s_barrier
	s_and_saveexec_b64 s[8:9], s[0:1]
; %bb.980:
	v_lshlrev_b32_e32 v14, 2, v2
	v_lshl_or_b32 v14, v3, 8, v14
	ds_write_b32 v14, v13 offset:1552
; %bb.981:
	s_or_b64 exec, exec, s[8:9]
	s_waitcnt lgkmcnt(0)
	s_barrier
	s_barrier
	s_and_saveexec_b64 s[8:9], vcc
; %bb.982:
	s_movk_i32 s10, 0x400
	v_mov_b32_e32 v13, 1.0
	v_add_u32_e64 v14, s10, 0
	ds_write2_b32 v14, v13, v13 offset0:4 offset1:69
; %bb.983:
	s_or_b64 exec, exec, s[8:9]
	v_mov_b32_e32 v13, 0
	s_waitcnt lgkmcnt(0)
	s_barrier
	buffer_wbinvl1_vol
	s_and_saveexec_b64 s[10:11], s[2:3]
	s_cbranch_execz .LBB109_989
; %bb.984:
	v_lshlrev_b32_e32 v15, 2, v10
	v_lshlrev_b32_e32 v14, 8, v11
	ds_read_b32 v13, v15 offset:1024
	ds_read_b32 v16, v14 offset:1040
	v_cmp_gt_u32_e64 s[8:9], 12, v9
	s_waitcnt lgkmcnt(0)
	v_fma_f32 v13, v13, v16, 0
	s_and_saveexec_b64 s[12:13], s[8:9]
	s_cbranch_execnz .LBB109_1156
; %bb.985:
	s_or_b64 exec, exec, s[12:13]
	v_cmp_gt_u32_e64 s[8:9], 8, v9
	s_and_saveexec_b64 s[12:13], s[8:9]
	s_cbranch_execnz .LBB109_1157
.LBB109_986:
	s_or_b64 exec, exec, s[12:13]
	v_cmp_gt_u32_e64 s[8:9], 4, v9
	s_and_saveexec_b64 s[12:13], s[8:9]
	s_cbranch_execz .LBB109_988
.LBB109_987:
	v_lshlrev_b32_e32 v14, 2, v0
	v_mov_b32_e32 v15, 0
	ds_read_b32 v14, v14 offset:1792
	ds_read_b32 v15, v15 offset:1820
	s_waitcnt lgkmcnt(0)
	v_fmac_f32_e32 v13, v14, v15
.LBB109_988:
	s_or_b64 exec, exec, s[12:13]
.LBB109_989:
	s_or_b64 exec, exec, s[10:11]
	s_and_saveexec_b64 s[8:9], s[42:43]
; %bb.990:
	v_xor_b32_e32 v14, 0x80000000, v13
	ds_write_b32 v12, v14
; %bb.991:
	s_or_b64 exec, exec, s[8:9]
	s_waitcnt lgkmcnt(0)
	s_barrier
	s_and_saveexec_b64 s[8:9], s[44:45]
	s_cbranch_execz .LBB109_993
; %bb.992:
	v_lshlrev_b32_e32 v14, 2, v10
	ds_read_b32 v14, v14 offset:768
	ds_read_b32 v15, v12
	s_waitcnt lgkmcnt(0)
	v_fma_f32 v13, -v14, v15, v13
.LBB109_993:
	s_or_b64 exec, exec, s[8:9]
	s_barrier
	s_and_saveexec_b64 s[8:9], s[46:47]
; %bb.994:
	v_xor_b32_e32 v14, 0x80000000, v13
	ds_write_b32 v12, v14
; %bb.995:
	s_or_b64 exec, exec, s[8:9]
	s_waitcnt lgkmcnt(0)
	s_barrier
	s_and_saveexec_b64 s[8:9], s[48:49]
	s_cbranch_execz .LBB109_997
; %bb.996:
	v_lshlrev_b32_e32 v14, 2, v10
	ds_read_b32 v14, v14 offset:512
	ds_read_b32 v15, v12
	s_waitcnt lgkmcnt(0)
	v_fma_f32 v13, -v14, v15, v13
.LBB109_997:
	s_or_b64 exec, exec, s[8:9]
	s_barrier
	s_and_saveexec_b64 s[8:9], s[50:51]
; %bb.998:
	v_xor_b32_e32 v14, 0x80000000, v13
	ds_write_b32 v12, v14
; %bb.999:
	s_or_b64 exec, exec, s[8:9]
	s_waitcnt lgkmcnt(0)
	s_barrier
	s_and_saveexec_b64 s[8:9], s[40:41]
	s_cbranch_execz .LBB109_1001
; %bb.1000:
	v_mov_b32_e32 v14, 0
	ds_read_b32 v14, v14 offset:256
	ds_read_b32 v15, v12
	s_waitcnt lgkmcnt(0)
	v_fma_f32 v13, -v14, v15, v13
.LBB109_1001:
	s_or_b64 exec, exec, s[8:9]
	s_barrier
	s_and_saveexec_b64 s[8:9], s[40:41]
; %bb.1002:
	v_xor_b32_e32 v14, 0x80000000, v13
	ds_write_b32 v12, v14
; %bb.1003:
	s_or_b64 exec, exec, s[8:9]
	s_waitcnt lgkmcnt(0)
	s_barrier
	s_barrier
	s_and_saveexec_b64 s[8:9], s[2:3]
; %bb.1004:
	v_lshlrev_b32_e32 v10, 2, v10
	v_lshl_or_b32 v10, v11, 8, v10
	ds_write_b32 v10, v13 offset:1024
; %bb.1005:
	s_or_b64 exec, exec, s[8:9]
	s_waitcnt lgkmcnt(0)
	s_barrier
	s_barrier
	s_and_saveexec_b64 s[2:3], vcc
; %bb.1006:
	v_mov_b32_e32 v10, 1.0
	v_mov_b32_e32 v11, 0
	ds_write2_b32 v11, v10, v10 offset0:130 offset1:195
; %bb.1007:
	s_or_b64 exec, exec, s[2:3]
	v_mov_b32_e32 v10, 0
	s_waitcnt lgkmcnt(0)
	s_barrier
	buffer_wbinvl1_vol
	s_and_saveexec_b64 s[8:9], s[0:1]
	s_cbranch_execz .LBB109_1011
; %bb.1008:
	v_lshlrev_b32_e32 v10, 8, v3
	v_lshlrev_b32_e32 v11, 2, v2
	ds_read_b32 v12, v11 offset:512
	ds_read_b32 v10, v10 offset:520
	v_mov_b32_e32 v11, 0
	v_cmp_gt_u32_e64 s[2:3], 2, v9
	s_waitcnt lgkmcnt(0)
	v_fma_f32 v10, v12, v10, 0
	s_and_saveexec_b64 s[10:11], s[2:3]
	s_cbranch_execz .LBB109_1010
; %bb.1009:
	v_lshlrev_b32_e32 v9, 2, v0
	ds_read_b32 v9, v9 offset:768
	ds_read_b32 v11, v11 offset:780
	s_waitcnt lgkmcnt(0)
	v_fmac_f32_e32 v10, v9, v11
.LBB109_1010:
	s_or_b64 exec, exec, s[10:11]
.LBB109_1011:
	s_or_b64 exec, exec, s[8:9]
	s_and_saveexec_b64 s[2:3], s[38:39]
; %bb.1012:
	v_xor_b32_e32 v9, 0x80000000, v10
	ds_write_b32 v8, v9
; %bb.1013:
	s_or_b64 exec, exec, s[2:3]
	s_waitcnt lgkmcnt(0)
	s_barrier
	s_and_saveexec_b64 s[2:3], s[36:37]
	s_cbranch_execz .LBB109_1015
; %bb.1014:
	v_mov_b32_e32 v9, 0
	ds_read_b32 v9, v9 offset:256
	ds_read_b32 v11, v8
	s_waitcnt lgkmcnt(0)
	v_fma_f32 v10, -v9, v11, v10
.LBB109_1015:
	s_or_b64 exec, exec, s[2:3]
	s_barrier
	s_and_saveexec_b64 s[2:3], s[36:37]
; %bb.1016:
	v_xor_b32_e32 v9, 0x80000000, v10
	ds_write_b32 v8, v9
; %bb.1017:
	s_or_b64 exec, exec, s[2:3]
	s_waitcnt lgkmcnt(0)
	s_barrier
	s_barrier
	s_and_saveexec_b64 s[2:3], s[0:1]
; %bb.1018:
	v_lshlrev_b32_e32 v2, 2, v2
	v_lshl_or_b32 v2, v3, 8, v2
	ds_write_b32 v2, v10 offset:512
; %bb.1019:
	s_or_b64 exec, exec, s[2:3]
	s_waitcnt lgkmcnt(0)
	s_barrier
	s_barrier
	s_and_saveexec_b64 s[0:1], vcc
; %bb.1020:
	v_mov_b32_e32 v2, 1.0
	v_mov_b32_e32 v3, 0
	ds_write2_b32 v3, v2, v2 offset1:65
; %bb.1021:
	s_or_b64 exec, exec, s[0:1]
.LBB109_1022:
	s_load_dwordx4 s[0:3], s[4:5], 0x30
	v_cmp_le_i32_e32 vcc, s92, v0
	v_mov_b32_e32 v9, 0
	v_lshl_add_u32 v2, s33, 6, v0
	s_waitcnt lgkmcnt(0)
	s_lshl_b64 s[0:1], s[2:3], 2
	s_add_u32 s38, s30, s0
	s_addc_u32 s39, s31, s1
	s_and_b64 s[14:15], vcc, s[28:29]
	v_cmp_eq_u32_e64 s[0:1], 0, v1
	s_xor_b64 s[2:3], s[14:15], -1
	s_and_b64 s[8:9], s[0:1], s[2:3]
	s_barrier
	s_and_saveexec_b64 s[2:3], s[8:9]
	s_cbranch_execz .LBB109_1024
; %bb.1023:
	v_ashrrev_i32_e32 v3, 31, v2
	v_mul_lo_u32 v10, s23, v2
	v_mad_u64_u32 v[8:9], s[8:9], s22, v2, 0
	v_mul_lo_u32 v3, s22, v3
	s_load_dword s8, s[4:5], 0x28
	v_add3_u32 v9, v9, v3, v10
	v_lshlrev_b64 v[8:9], 2, v[8:9]
	v_mov_b32_e32 v3, s39
	v_add_co_u32_e32 v8, vcc, s38, v8
	v_addc_co_u32_e32 v9, vcc, v3, v9, vcc
	flat_load_dword v3, v[8:9]
	s_waitcnt vmcnt(0) lgkmcnt(0)
	v_mul_f32_e64 v9, v3, -s8
.LBB109_1024:
	s_or_b64 exec, exec, s[2:3]
	s_load_dwordx2 s[12:13], s[4:5], 0x50
	s_and_b32 s2, 0xffff, s95
	v_mad_u32_u24 v8, v1, s2, v0
	s_cmp_lt_i32 s6, 1
	v_cmp_eq_u32_e64 s[2:3], 0, v8
	s_cbranch_scc1 .LBB109_1050
; %bb.1025:
	v_ashrrev_i32_e32 v3, 31, v2
	v_cmp_gt_i32_e64 s[10:11], s24, v2
	v_lshlrev_b64 v[2:3], 2, v[2:3]
	s_lshl_b64 s[4:5], s[20:21], 2
	s_waitcnt lgkmcnt(0)
	s_add_u32 s16, s12, s4
	v_mov_b32_e32 v11, 0x5000
	v_mov_b32_e32 v13, s94
	v_add_co_u32_e32 v12, vcc, s93, v2
	s_mul_i32 s8, s27, 0xc0
	s_mul_hi_u32 s9, s26, 0xc0
	s_mov_b32 s40, 0
	s_addc_u32 s17, s13, s5
	v_cmp_gt_u32_e64 s[4:5], 64, v8
	v_lshl_add_u32 v10, v8, 2, v11
	v_lshl_or_b32 v11, v1, 2, v11
	s_add_i32 s41, s33, 1
	v_addc_co_u32_e32 v13, vcc, v13, v3, vcc
	s_lshl_b64 s[18:19], s[26:27], 6
	s_lshl_b64 s[30:31], s[26:27], 7
	s_add_i32 s42, s9, s8
	s_mul_i32 s43, s26, 0xc0
	v_mov_b32_e32 v15, -1
	v_mov_b32_e32 v14, 0
	s_branch .LBB109_1028
.LBB109_1026:                           ;   in Loop: Header=BB109_1028 Depth=1
	ds_read_b32 v2, v11 offset:192
	s_waitcnt vmcnt(0) lgkmcnt(0)
	v_fmac_f32_e32 v9, v16, v2
.LBB109_1027:                           ;   in Loop: Header=BB109_1028 Depth=1
	s_or_b64 exec, exec, s[36:37]
	s_add_i32 s40, s40, 1
	s_cmp_eq_u32 s40, s6
	s_cbranch_scc1 .LBB109_1050
.LBB109_1028:                           ; =>This Loop Header: Depth=1
                                        ;     Child Loop BB109_1030 Depth 2
	v_cmp_gt_i32_e32 vcc, s40, v15
	s_and_b64 s[36:37], s[2:3], vcc
	s_and_saveexec_b64 s[8:9], s[36:37]
	s_cbranch_execz .LBB109_1031
; %bb.1029:                             ;   in Loop: Header=BB109_1028 Depth=1
	global_load_dword v15, v14, s[16:17]
	s_waitcnt vmcnt(0)
	v_cmp_le_i32_e32 vcc, s40, v15
	s_cbranch_vccnz .LBB109_1031
.LBB109_1030:                           ;   Parent Loop BB109_1028 Depth=1
                                        ; =>  This Inner Loop Header: Depth=2
	buffer_wbinvl1_vol
	global_load_dword v15, v14, s[16:17]
	s_waitcnt vmcnt(0)
	v_cmp_gt_i32_e32 vcc, s40, v15
	s_cbranch_vccnz .LBB109_1030
.LBB109_1031:                           ;   in Loop: Header=BB109_1028 Depth=1
	s_or_b64 exec, exec, s[8:9]
	s_sub_i32 s44, s7, s40
	s_lshl_b32 s45, s44, 6
	buffer_wbinvl1_vol
	s_barrier
	s_and_saveexec_b64 s[8:9], s[4:5]
	s_cbranch_execz .LBB109_1035
; %bb.1032:                             ;   in Loop: Header=BB109_1028 Depth=1
	s_ashr_i32 s36, s45, 31
	v_mov_b32_e32 v3, s36
	v_or_b32_e32 v2, s45, v8
	v_cmp_gt_i64_e32 vcc, s[24:25], v[2:3]
	v_mov_b32_e32 v16, 0
	s_and_saveexec_b64 s[36:37], vcc
	s_cbranch_execz .LBB109_1034
; %bb.1033:                             ;   in Loop: Header=BB109_1028 Depth=1
	v_mul_lo_u32 v16, v3, s22
	v_mul_lo_u32 v17, v2, s23
	v_mad_u64_u32 v[2:3], s[46:47], v2, s22, 0
	v_add3_u32 v3, v3, v17, v16
	v_lshlrev_b64 v[2:3], 2, v[2:3]
	v_mov_b32_e32 v16, s39
	v_add_co_u32_e32 v2, vcc, s38, v2
	v_addc_co_u32_e32 v3, vcc, v16, v3, vcc
	flat_load_dword v16, v[2:3]
.LBB109_1034:                           ;   in Loop: Header=BB109_1028 Depth=1
	s_or_b64 exec, exec, s[36:37]
	s_waitcnt vmcnt(0) lgkmcnt(0)
	ds_write_b32 v10, v16
.LBB109_1035:                           ;   in Loop: Header=BB109_1028 Depth=1
	s_or_b64 exec, exec, s[8:9]
	v_add_u32_e32 v16, s45, v1
	v_ashrrev_i32_e32 v17, 31, v16
	v_mul_lo_u32 v18, s27, v16
	v_mad_u64_u32 v[2:3], s[8:9], s26, v16, 0
	v_mul_lo_u32 v17, s26, v17
	s_cmp_lg_u32 s44, s41
	s_cselect_b64 s[8:9], -1, 0
	s_waitcnt lgkmcnt(0)
	v_add3_u32 v3, v3, v17, v18
	v_lshlrev_b64 v[2:3], 2, v[2:3]
	v_cndmask_b32_e64 v17, 0, 1, s[8:9]
	v_add_co_u32_e32 v2, vcc, v12, v2
	v_addc_co_u32_e32 v3, vcc, v13, v3, vcc
	v_cmp_gt_i32_e32 vcc, s24, v16
	s_and_b64 s[44:45], s[10:11], vcc
	v_cmp_ne_u32_e64 s[8:9], 1, v17
	s_barrier
	s_and_saveexec_b64 s[36:37], s[44:45]
	s_cbranch_execz .LBB109_1039
; %bb.1036:                             ;   in Loop: Header=BB109_1028 Depth=1
	s_and_b64 vcc, exec, s[8:9]
	v_mov_b32_e32 v17, v4
	s_cbranch_vccnz .LBB109_1038
; %bb.1037:                             ;   in Loop: Header=BB109_1028 Depth=1
	flat_load_dword v17, v[2:3]
.LBB109_1038:                           ;   in Loop: Header=BB109_1028 Depth=1
	ds_read_b32 v18, v11
	s_waitcnt vmcnt(0) lgkmcnt(0)
	v_fmac_f32_e32 v9, v17, v18
.LBB109_1039:                           ;   in Loop: Header=BB109_1028 Depth=1
	s_or_b64 exec, exec, s[36:37]
	v_add_u32_e32 v17, 16, v16
	v_cmp_gt_i32_e32 vcc, s24, v17
	s_and_b64 s[44:45], s[10:11], vcc
	s_and_saveexec_b64 s[36:37], s[44:45]
	s_cbranch_execz .LBB109_1043
; %bb.1040:                             ;   in Loop: Header=BB109_1028 Depth=1
	s_and_b64 vcc, exec, s[8:9]
	v_mov_b32_e32 v17, v5
	s_cbranch_vccnz .LBB109_1042
; %bb.1041:                             ;   in Loop: Header=BB109_1028 Depth=1
	v_mov_b32_e32 v18, s19
	v_add_co_u32_e32 v17, vcc, s18, v2
	v_addc_co_u32_e32 v18, vcc, v3, v18, vcc
	flat_load_dword v17, v[17:18]
.LBB109_1042:                           ;   in Loop: Header=BB109_1028 Depth=1
	ds_read_b32 v18, v11 offset:64
	s_waitcnt vmcnt(0) lgkmcnt(0)
	v_fmac_f32_e32 v9, v17, v18
.LBB109_1043:                           ;   in Loop: Header=BB109_1028 Depth=1
	s_or_b64 exec, exec, s[36:37]
	v_add_u32_e32 v17, 32, v16
	v_cmp_gt_i32_e32 vcc, s24, v17
	s_and_b64 s[44:45], s[10:11], vcc
	s_and_saveexec_b64 s[36:37], s[44:45]
	s_cbranch_execz .LBB109_1047
; %bb.1044:                             ;   in Loop: Header=BB109_1028 Depth=1
	s_and_b64 vcc, exec, s[8:9]
	v_mov_b32_e32 v17, v7
	s_cbranch_vccnz .LBB109_1046
; %bb.1045:                             ;   in Loop: Header=BB109_1028 Depth=1
	v_mov_b32_e32 v18, s31
	v_add_co_u32_e32 v17, vcc, s30, v2
	v_addc_co_u32_e32 v18, vcc, v3, v18, vcc
	flat_load_dword v17, v[17:18]
.LBB109_1046:                           ;   in Loop: Header=BB109_1028 Depth=1
	ds_read_b32 v18, v11 offset:128
	s_waitcnt vmcnt(0) lgkmcnt(0)
	v_fmac_f32_e32 v9, v17, v18
.LBB109_1047:                           ;   in Loop: Header=BB109_1028 Depth=1
	s_or_b64 exec, exec, s[36:37]
	v_add_u32_e32 v16, 48, v16
	v_cmp_gt_i32_e32 vcc, s24, v16
	s_and_b64 s[44:45], s[10:11], vcc
	s_and_saveexec_b64 s[36:37], s[44:45]
	s_cbranch_execz .LBB109_1027
; %bb.1048:                             ;   in Loop: Header=BB109_1028 Depth=1
	s_and_b64 vcc, exec, s[8:9]
	v_mov_b32_e32 v16, v6
	s_cbranch_vccnz .LBB109_1026
; %bb.1049:                             ;   in Loop: Header=BB109_1028 Depth=1
	v_mov_b32_e32 v16, s42
	v_add_co_u32_e32 v2, vcc, s43, v2
	v_addc_co_u32_e32 v3, vcc, v3, v16, vcc
	flat_load_dword v16, v[2:3]
	s_branch .LBB109_1026
.LBB109_1050:
	v_lshl_add_u32 v2, v1, 6, v0
	s_xor_b64 s[2:3], s[28:29], -1
	s_xor_b64 s[4:5], s[34:35], -1
	v_lshlrev_b32_e32 v2, 2, v2
	ds_write_b32 v2, v9 offset:16384
	s_waitcnt lgkmcnt(0)
	s_barrier
	s_and_saveexec_b64 s[6:7], s[0:1]
	s_cbranch_execz .LBB109_1052
; %bb.1051:
	v_lshlrev_b32_e32 v7, 2, v0
	ds_read2st64_b32 v[3:4], v7 offset0:65 offset1:66
	ds_read2st64_b32 v[5:6], v7 offset0:67 offset1:68
	;; [unrolled: 1-line block ×5, first 2 shown]
	s_waitcnt lgkmcnt(4)
	v_add_f32_e32 v3, v9, v3
	v_add_f32_e32 v3, v3, v4
	s_waitcnt lgkmcnt(3)
	v_add_f32_e32 v3, v3, v5
	v_add_f32_e32 v3, v3, v6
	;; [unrolled: 3-line block ×4, first 2 shown]
	ds_read2st64_b32 v[3:4], v7 offset0:75 offset1:76
	ds_read2st64_b32 v[5:6], v7 offset0:77 offset1:78
	ds_read_b32 v7, v7 offset:20224
	s_waitcnt lgkmcnt(3)
	v_add_f32_e32 v9, v9, v14
	v_add_f32_e32 v9, v9, v15
	s_waitcnt lgkmcnt(2)
	v_add_f32_e32 v3, v9, v3
	v_add_f32_e32 v3, v3, v4
	;; [unrolled: 3-line block ×3, first 2 shown]
	s_waitcnt lgkmcnt(0)
	v_add_f32_e32 v3, v3, v7
	v_cndmask_b32_e64 v9, -v3, 0, s[14:15]
.LBB109_1052:
	s_or_b64 exec, exec, s[6:7]
	s_andn2_b64 vcc, exec, s[4:5]
	s_cbranch_vccnz .LBB109_1066
; %bb.1053:
	v_mov_b32_e32 v3, 0x5000
	v_lshl_or_b32 v4, v1, 2, v3
	s_and_saveexec_b64 s[4:5], s[0:1]
; %bb.1054:
	v_lshl_add_u32 v3, v0, 2, v4
	ds_write_b32 v3, v9
; %bb.1055:
	s_or_b64 exec, exec, s[4:5]
	v_cmp_le_u32_e32 vcc, v0, v1
	v_mov_b32_e32 v3, 0
	s_waitcnt lgkmcnt(0)
	s_barrier
	s_and_saveexec_b64 s[4:5], vcc
	s_cbranch_execz .LBB109_1057
; %bb.1056:
	ds_read_b32 v3, v2
	ds_read_b32 v5, v4
	s_waitcnt lgkmcnt(0)
	v_fma_f32 v3, v3, v5, 0
.LBB109_1057:
	s_or_b64 exec, exec, s[4:5]
	v_add_u32_e32 v5, 16, v1
	v_cmp_le_u32_e32 vcc, v0, v5
	s_and_saveexec_b64 s[4:5], vcc
	s_cbranch_execz .LBB109_1059
; %bb.1058:
	ds_read_b32 v5, v2 offset:4096
	ds_read_b32 v6, v4 offset:64
	s_waitcnt lgkmcnt(0)
	v_fmac_f32_e32 v3, v5, v6
.LBB109_1059:
	s_or_b64 exec, exec, s[4:5]
	v_add_u32_e32 v5, 32, v1
	v_cmp_le_u32_e32 vcc, v0, v5
	s_and_saveexec_b64 s[4:5], vcc
	s_cbranch_execz .LBB109_1061
; %bb.1060:
	ds_read_b32 v5, v2 offset:8192
	ds_read_b32 v6, v4 offset:128
	s_waitcnt lgkmcnt(0)
	v_fmac_f32_e32 v3, v5, v6
.LBB109_1061:
	s_or_b64 exec, exec, s[4:5]
	v_add_u32_e32 v1, 48, v1
	v_add_u32_e32 v5, 0x4000, v2
	v_cmp_le_u32_e32 vcc, v0, v1
	s_and_saveexec_b64 s[4:5], vcc
	s_cbranch_execz .LBB109_1063
; %bb.1062:
	ds_read_b32 v1, v2 offset:12288
	ds_read_b32 v2, v4 offset:192
	s_waitcnt lgkmcnt(0)
	v_fmac_f32_e32 v3, v1, v2
.LBB109_1063:
	s_or_b64 exec, exec, s[4:5]
	s_mov_b64 s[6:7], 0
	s_mov_b64 s[4:5], 0
	ds_write_b32 v5, v3
	s_waitcnt lgkmcnt(0)
	s_barrier
                                        ; implicit-def: $vgpr1
	s_and_saveexec_b64 s[8:9], s[0:1]
	s_cbranch_execz .LBB109_1104
; %bb.1064:
	v_lshlrev_b32_e32 v12, 2, v0
	ds_read2st64_b32 v[1:2], v12 offset0:65 offset1:66
	ds_read2st64_b32 v[4:5], v12 offset0:67 offset1:68
	;; [unrolled: 1-line block ×4, first 2 shown]
	s_mov_b64 s[4:5], exec
	s_waitcnt lgkmcnt(3)
	v_add_f32_e32 v1, v3, v1
	v_add_f32_e32 v1, v2, v1
	s_waitcnt lgkmcnt(2)
	v_add_f32_e32 v1, v4, v1
	v_add_f32_e32 v1, v5, v1
	;; [unrolled: 3-line block ×3, first 2 shown]
	s_waitcnt lgkmcnt(0)
	v_add_f32_e32 v3, v10, v1
	ds_read2st64_b32 v[1:2], v12 offset0:73 offset1:74
	v_add_f32_e32 v7, v11, v3
	ds_read2st64_b32 v[3:4], v12 offset0:75 offset1:76
	ds_read2st64_b32 v[5:6], v12 offset0:77 offset1:78
	ds_read_b32 v10, v12 offset:20224
	s_waitcnt lgkmcnt(3)
	v_add_f32_e32 v1, v1, v7
	v_add_f32_e32 v1, v2, v1
	s_waitcnt lgkmcnt(2)
	v_add_f32_e32 v1, v3, v1
	v_add_f32_e32 v1, v4, v1
	;; [unrolled: 3-line block ×3, first 2 shown]
	s_waitcnt lgkmcnt(0)
	v_add_f32_e32 v1, v10, v1
	s_or_b64 exec, exec, s[8:9]
	s_and_b64 vcc, exec, s[6:7]
	s_cbranch_vccnz .LBB109_1067
	s_branch .LBB109_1105
.LBB109_1065:
	v_mad_u64_u32 v[10:11], s[0:1], s26, v8, 0
	s_or_b64 s[8:9], s[8:9], exec
	v_mad_u64_u32 v[11:12], s[0:1], s27, v8, v[11:12]
	v_lshlrev_b64 v[10:11], 2, v[10:11]
	v_add_co_u32_e32 v2, vcc, v2, v10
	v_addc_co_u32_e32 v3, vcc, v3, v11, vcc
	flat_load_dword v2, v[2:3]
	s_waitcnt vmcnt(0) lgkmcnt(0)
	v_xor_b32_e32 v10, 0x80000000, v2
	s_or_b64 exec, exec, s[2:3]
	s_and_saveexec_b64 s[0:1], s[8:9]
	s_cbranch_execnz .LBB109_45
	s_branch .LBB109_46
.LBB109_1066:
	s_mov_b64 s[4:5], 0
                                        ; implicit-def: $vgpr1
	s_cbranch_execz .LBB109_1105
.LBB109_1067:
	v_mov_b32_e32 v1, 0x3c00
	v_lshl_add_u32 v1, v0, 2, v1
	v_mov_b32_e32 v3, 63
	v_mov_b32_e32 v2, 0
	s_branch .LBB109_1069
.LBB109_1068:                           ;   in Loop: Header=BB109_1069 Depth=1
	s_or_b64 exec, exec, s[6:7]
	v_subrev_co_u32_e32 v3, vcc, 1, v3
	s_andn2_b64 vcc, exec, vcc
	v_add_u32_e32 v1, 0xfffffc00, v1
	s_barrier
	s_cbranch_vccz .LBB109_1085
.LBB109_1069:                           ; =>This Inner Loop Header: Depth=1
	v_cmp_eq_u32_e32 vcc, v0, v3
	s_and_b64 s[8:9], s[0:1], vcc
	s_and_saveexec_b64 s[6:7], s[8:9]
; %bb.1070:                             ;   in Loop: Header=BB109_1069 Depth=1
	ds_write_b32 v2, v9 offset:20736
; %bb.1071:                             ;   in Loop: Header=BB109_1069 Depth=1
	s_or_b64 exec, exec, s[6:7]
	v_cmp_lt_u32_e32 vcc, v0, v3
	s_and_b64 s[8:9], s[0:1], vcc
	s_waitcnt lgkmcnt(0)
	s_barrier
	s_and_saveexec_b64 s[6:7], s[8:9]
	s_cbranch_execz .LBB109_1073
; %bb.1072:                             ;   in Loop: Header=BB109_1069 Depth=1
	ds_read_b32 v4, v1 offset:768
	ds_read_b32 v5, v2 offset:20736
	s_waitcnt lgkmcnt(0)
	v_fmac_f32_e32 v9, v4, v5
.LBB109_1073:                           ;   in Loop: Header=BB109_1069 Depth=1
	s_or_b64 exec, exec, s[6:7]
	v_add_u32_e32 v3, -1, v3
	v_cmp_eq_u32_e32 vcc, v0, v3
	s_and_b64 s[8:9], s[0:1], vcc
	s_barrier
	s_and_saveexec_b64 s[6:7], s[8:9]
; %bb.1074:                             ;   in Loop: Header=BB109_1069 Depth=1
	ds_write_b32 v2, v9 offset:20736
; %bb.1075:                             ;   in Loop: Header=BB109_1069 Depth=1
	s_or_b64 exec, exec, s[6:7]
	v_cmp_lt_u32_e32 vcc, v0, v3
	s_and_b64 s[8:9], s[0:1], vcc
	s_waitcnt lgkmcnt(0)
	s_barrier
	s_and_saveexec_b64 s[6:7], s[8:9]
	s_cbranch_execz .LBB109_1077
; %bb.1076:                             ;   in Loop: Header=BB109_1069 Depth=1
	ds_read_b32 v4, v1 offset:512
	ds_read_b32 v5, v2 offset:20736
	s_waitcnt lgkmcnt(0)
	v_fmac_f32_e32 v9, v4, v5
.LBB109_1077:                           ;   in Loop: Header=BB109_1069 Depth=1
	s_or_b64 exec, exec, s[6:7]
	v_add_u32_e32 v3, -1, v3
	v_cmp_eq_u32_e32 vcc, v0, v3
	s_and_b64 s[8:9], s[0:1], vcc
	s_barrier
	;; [unrolled: 22-line block ×3, first 2 shown]
	s_and_saveexec_b64 s[6:7], s[8:9]
; %bb.1082:                             ;   in Loop: Header=BB109_1069 Depth=1
	ds_write_b32 v2, v9 offset:20736
; %bb.1083:                             ;   in Loop: Header=BB109_1069 Depth=1
	s_or_b64 exec, exec, s[6:7]
	v_cmp_lt_u32_e32 vcc, v0, v3
	s_and_b64 s[8:9], s[0:1], vcc
	s_waitcnt lgkmcnt(0)
	s_barrier
	s_and_saveexec_b64 s[6:7], s[8:9]
	s_cbranch_execz .LBB109_1068
; %bb.1084:                             ;   in Loop: Header=BB109_1069 Depth=1
	ds_read_b32 v4, v1
	ds_read_b32 v5, v2 offset:20736
	s_waitcnt lgkmcnt(0)
	v_fmac_f32_e32 v9, v4, v5
	s_branch .LBB109_1068
.LBB109_1085:
	s_mov_b64 s[6:7], -1
	s_and_b64 vcc, exec, s[2:3]
	s_cbranch_vccnz .LBB109_1106
; %bb.1086:
	s_andn2_b64 vcc, exec, s[6:7]
	s_cbranch_vccz .LBB109_1107
.LBB109_1087:
	s_and_saveexec_b64 s[0:1], s[4:5]
	s_cbranch_execz .LBB109_1089
.LBB109_1088:
	s_lshl_b32 s2, s33, 6
	s_ashr_i32 s3, s2, 31
	v_mov_b32_e32 v0, s3
	v_add_co_u32_e32 v1, vcc, s2, v8
	v_addc_co_u32_e32 v0, vcc, 0, v0, vcc
	v_mul_lo_u32 v2, v0, s22
	v_mul_lo_u32 v3, v1, s23
	v_mad_u64_u32 v[0:1], s[2:3], v1, s22, 0
	v_add3_u32 v1, v1, v3, v2
	v_lshlrev_b64 v[0:1], 2, v[0:1]
	v_mov_b32_e32 v2, s39
	v_add_co_u32_e32 v0, vcc, s38, v0
	v_addc_co_u32_e32 v1, vcc, v2, v1, vcc
	flat_store_dword v[0:1], v9
.LBB109_1089:
	s_or_b64 exec, exec, s[0:1]
	v_cmp_eq_u32_e32 vcc, 0, v8
	s_waitcnt vmcnt(0) lgkmcnt(0)
	buffer_wbinvl1_vol
	s_barrier
	s_and_saveexec_b64 s[0:1], vcc
	s_cbranch_execz .LBB109_1091
; %bb.1090:
	s_lshl_b64 s[2:3], s[20:21], 2
	s_add_u32 s2, s12, s2
	s_addc_u32 s3, s13, s3
	v_mov_b32_e32 v0, 0
	global_load_dword v1, v0, s[2:3]
	s_waitcnt vmcnt(0)
	v_add_u32_e32 v1, 1, v1
	global_store_dword v0, v1, s[2:3]
.LBB109_1091:
	s_or_b64 exec, exec, s[0:1]
	s_waitcnt vmcnt(0)
	buffer_wbinvl1_vol
	s_endpgm
.LBB109_1092:
	v_or_b32_e32 v10, v1, v0
	v_cmp_gt_u32_e32 vcc, 64, v10
	s_and_b64 s[2:3], vcc, exec
	s_andn2_saveexec_b64 s[0:1], s[0:1]
	s_cbranch_execz .LBB109_14
.LBB109_1093:
	v_mad_u64_u32 v[9:10], s[8:9], s26, v1, 0
	s_or_b64 s[2:3], s[2:3], exec
	v_mad_u64_u32 v[10:11], s[8:9], s27, v1, v[10:11]
	v_lshlrev_b64 v[9:10], 2, v[9:10]
	v_add_co_u32_e32 v9, vcc, v2, v9
	v_addc_co_u32_e32 v10, vcc, v3, v10, vcc
	flat_load_dword v9, v[9:10]
	s_waitcnt vmcnt(0) lgkmcnt(0)
	v_xor_b32_e32 v9, 0x80000000, v9
	s_or_b64 exec, exec, s[0:1]
	s_and_saveexec_b64 s[0:1], s[2:3]
	s_cbranch_execnz .LBB109_15
	s_branch .LBB109_16
.LBB109_1094:
	v_or_b32_e32 v10, v9, v0
	v_cmp_gt_u32_e32 vcc, 64, v10
	s_and_b64 s[0:1], vcc, exec
	s_or_saveexec_b64 s[2:3], s[2:3]
	v_mov_b32_e32 v10, 0
	s_xor_b64 exec, exec, s[2:3]
	s_cbranch_execz .LBB109_18
.LBB109_1095:
	v_mad_u64_u32 v[10:11], s[8:9], s26, v9, 0
	s_or_b64 s[0:1], s[0:1], exec
	v_mad_u64_u32 v[11:12], s[8:9], s27, v9, v[11:12]
	v_lshlrev_b64 v[10:11], 2, v[10:11]
	v_add_co_u32_e32 v10, vcc, v2, v10
	v_addc_co_u32_e32 v11, vcc, v3, v11, vcc
	flat_load_dword v10, v[10:11]
	s_waitcnt vmcnt(0) lgkmcnt(0)
	v_xor_b32_e32 v10, 0x80000000, v10
	s_or_b64 exec, exec, s[2:3]
	s_and_saveexec_b64 s[2:3], s[0:1]
	s_cbranch_execnz .LBB109_19
	s_branch .LBB109_20
.LBB109_1096:
	v_or_b32_e32 v10, v9, v0
	v_cmp_gt_u32_e32 vcc, 64, v10
	s_and_b64 s[0:1], vcc, exec
	s_or_saveexec_b64 s[2:3], s[2:3]
	v_mov_b32_e32 v10, 0
	s_xor_b64 exec, exec, s[2:3]
	s_cbranch_execz .LBB109_22
.LBB109_1097:
	v_mad_u64_u32 v[10:11], s[8:9], s26, v9, 0
	s_or_b64 s[0:1], s[0:1], exec
	v_mad_u64_u32 v[11:12], s[8:9], s27, v9, v[11:12]
	v_lshlrev_b64 v[10:11], 2, v[10:11]
	v_add_co_u32_e32 v10, vcc, v2, v10
	v_addc_co_u32_e32 v11, vcc, v3, v11, vcc
	flat_load_dword v10, v[10:11]
	s_waitcnt vmcnt(0) lgkmcnt(0)
	v_xor_b32_e32 v10, 0x80000000, v10
	s_or_b64 exec, exec, s[2:3]
	s_and_saveexec_b64 s[2:3], s[0:1]
	s_cbranch_execnz .LBB109_23
	s_branch .LBB109_24
.LBB109_1098:
	v_or_b32_e32 v10, v1, v0
	v_cmp_gt_u32_e64 s[0:1], 64, v10
	s_and_b64 s[2:3], s[0:1], exec
	s_andn2_saveexec_b64 s[10:11], s[10:11]
	s_cbranch_execz .LBB109_30
.LBB109_1099:
	v_mad_u64_u32 v[9:10], s[0:1], s26, v1, 0
	s_or_b64 s[2:3], s[2:3], exec
	v_mad_u64_u32 v[10:11], s[0:1], s27, v1, v[10:11]
	v_lshlrev_b64 v[9:10], 2, v[9:10]
	v_add_co_u32_e64 v9, s[0:1], v2, v9
	v_addc_co_u32_e64 v10, s[0:1], v3, v10, s[0:1]
	flat_load_dword v9, v[9:10]
	s_waitcnt vmcnt(0) lgkmcnt(0)
	v_xor_b32_e32 v9, 0x80000000, v9
	s_or_b64 exec, exec, s[10:11]
	s_and_saveexec_b64 s[0:1], s[2:3]
	s_cbranch_execnz .LBB109_31
	s_branch .LBB109_32
.LBB109_1100:
	v_or_b32_e32 v10, v9, v0
	v_cmp_gt_u32_e64 s[0:1], 64, v10
	s_and_b64 s[2:3], s[0:1], exec
	s_or_saveexec_b64 s[10:11], s[10:11]
	v_mov_b32_e32 v10, 0
	s_xor_b64 exec, exec, s[10:11]
	s_cbranch_execz .LBB109_34
.LBB109_1101:
	v_mad_u64_u32 v[10:11], s[0:1], s26, v9, 0
	s_or_b64 s[2:3], s[2:3], exec
	v_mad_u64_u32 v[11:12], s[0:1], s27, v9, v[11:12]
	v_lshlrev_b64 v[10:11], 2, v[10:11]
	v_add_co_u32_e64 v10, s[0:1], v2, v10
	v_addc_co_u32_e64 v11, s[0:1], v3, v11, s[0:1]
	flat_load_dword v10, v[10:11]
	s_waitcnt vmcnt(0) lgkmcnt(0)
	v_xor_b32_e32 v10, 0x80000000, v10
	s_or_b64 exec, exec, s[10:11]
	s_and_saveexec_b64 s[0:1], s[2:3]
	s_cbranch_execnz .LBB109_35
	s_branch .LBB109_36
.LBB109_1102:
	v_or_b32_e32 v10, v9, v0
	v_cmp_gt_u32_e64 s[0:1], 64, v10
	s_and_b64 s[2:3], s[0:1], exec
	s_or_saveexec_b64 s[10:11], s[10:11]
	v_mov_b32_e32 v10, 0
	s_xor_b64 exec, exec, s[10:11]
	s_cbranch_execz .LBB109_38
.LBB109_1103:
	v_mad_u64_u32 v[10:11], s[0:1], s26, v9, 0
	s_or_b64 s[2:3], s[2:3], exec
	v_mad_u64_u32 v[11:12], s[0:1], s27, v9, v[11:12]
	v_lshlrev_b64 v[10:11], 2, v[10:11]
	v_add_co_u32_e64 v10, s[0:1], v2, v10
	v_addc_co_u32_e64 v11, s[0:1], v3, v11, s[0:1]
	flat_load_dword v10, v[10:11]
	s_waitcnt vmcnt(0) lgkmcnt(0)
	v_xor_b32_e32 v10, 0x80000000, v10
	s_or_b64 exec, exec, s[10:11]
	s_and_saveexec_b64 s[0:1], s[2:3]
	s_cbranch_execnz .LBB109_39
	s_branch .LBB109_40
.LBB109_1104:
	s_or_b64 exec, exec, s[8:9]
	s_and_b64 vcc, exec, s[6:7]
	s_cbranch_vccnz .LBB109_1067
.LBB109_1105:
	v_mov_b32_e32 v9, v1
	s_and_saveexec_b64 s[0:1], s[4:5]
	s_cbranch_execnz .LBB109_1088
	s_branch .LBB109_1089
.LBB109_1106:
	s_andn2_b64 s[2:3], s[4:5], exec
	s_and_b64 s[4:5], s[0:1], exec
	s_or_b64 s[4:5], s[2:3], s[4:5]
	s_cbranch_execnz .LBB109_1087
.LBB109_1107:
	v_cmp_gt_i32_e32 vcc, s92, v0
	s_and_b64 s[0:1], s[0:1], vcc
	s_andn2_b64 s[2:3], s[4:5], exec
	s_and_b64 s[0:1], s[0:1], exec
	s_or_b64 s[4:5], s[2:3], s[0:1]
	s_and_saveexec_b64 s[0:1], s[4:5]
	s_cbranch_execnz .LBB109_1088
	s_branch .LBB109_1089
.LBB109_1108:
	ds_read_b32 v16, v15 offset:15840
	ds_read_b32 v17, v14 offset:15604
	s_waitcnt lgkmcnt(0)
	v_fmac_f32_e32 v13, v16, v17
	s_or_b64 exec, exec, s[14:15]
	v_cmp_gt_u32_e64 s[10:11], 8, v9
	s_and_saveexec_b64 s[14:15], s[10:11]
	s_cbranch_execz .LBB109_66
.LBB109_1109:
	ds_read_b32 v15, v15 offset:16096
	ds_read_b32 v14, v14 offset:15608
	s_waitcnt lgkmcnt(0)
	v_fmac_f32_e32 v13, v15, v14
	s_or_b64 exec, exec, s[14:15]
	v_cmp_gt_u32_e64 s[10:11], 4, v9
	s_and_saveexec_b64 s[14:15], s[10:11]
	s_cbranch_execnz .LBB109_67
	s_branch .LBB109_68
.LBB109_1110:
	ds_read_b32 v19, v18 offset:14784
	ds_read_b32 v20, v17 offset:14564
	s_waitcnt lgkmcnt(0)
	v_fmac_f32_e32 v16, v19, v20
	s_or_b64 exec, exec, s[16:17]
	v_cmp_gt_u32_e64 s[10:11], 48, v9
	s_and_saveexec_b64 s[16:17], s[10:11]
	s_cbranch_execz .LBB109_104
.LBB109_1111:
	ds_read_b32 v19, v18 offset:15040
	ds_read_b32 v20, v17 offset:14568
	s_waitcnt lgkmcnt(0)
	v_fmac_f32_e32 v16, v19, v20
	s_or_b64 exec, exec, s[16:17]
	v_cmp_gt_u32_e64 s[10:11], 40, v9
	s_and_saveexec_b64 s[16:17], s[10:11]
	s_cbranch_execz .LBB109_105
.LBB109_1112:
	ds_read_b32 v19, v18 offset:15296
	ds_read_b32 v20, v17 offset:14572
	s_waitcnt lgkmcnt(0)
	v_fmac_f32_e32 v16, v19, v20
	s_or_b64 exec, exec, s[16:17]
	v_cmp_gt_u32_e64 s[10:11], 32, v9
	s_and_saveexec_b64 s[16:17], s[10:11]
	s_cbranch_execz .LBB109_106
.LBB109_1113:
	ds_read_b32 v19, v18 offset:15552
	ds_read_b32 v20, v17 offset:14576
	s_waitcnt lgkmcnt(0)
	v_fmac_f32_e32 v16, v19, v20
	s_or_b64 exec, exec, s[16:17]
	v_cmp_gt_u32_e64 s[10:11], 24, v9
	s_and_saveexec_b64 s[16:17], s[10:11]
	s_cbranch_execz .LBB109_107
.LBB109_1114:
	ds_read_b32 v19, v18 offset:15808
	ds_read_b32 v20, v17 offset:14580
	s_waitcnt lgkmcnt(0)
	v_fmac_f32_e32 v16, v19, v20
	s_or_b64 exec, exec, s[16:17]
	s_and_saveexec_b64 s[10:11], s[2:3]
	s_cbranch_execz .LBB109_108
.LBB109_1115:
	ds_read_b32 v18, v18 offset:16064
	ds_read_b32 v17, v17 offset:14584
	s_waitcnt lgkmcnt(0)
	v_fmac_f32_e32 v16, v18, v17
	s_or_b64 exec, exec, s[10:11]
	v_cmp_gt_u32_e64 s[10:11], 8, v9
	s_and_saveexec_b64 s[16:17], s[10:11]
	s_cbranch_execnz .LBB109_109
	s_branch .LBB109_110
.LBB109_1116:
	ds_read_b32 v19, v18 offset:13760
	ds_read_b32 v20, v17 offset:13524
	s_waitcnt lgkmcnt(0)
	v_fmac_f32_e32 v16, v19, v20
	s_or_b64 exec, exec, s[12:13]
	v_cmp_gt_u32_e64 s[8:9], 8, v9
	s_and_saveexec_b64 s[12:13], s[8:9]
	s_cbranch_execz .LBB109_162
.LBB109_1117:
	ds_read_b32 v18, v18 offset:14016
	ds_read_b32 v17, v17 offset:13528
	s_waitcnt lgkmcnt(0)
	v_fmac_f32_e32 v16, v18, v17
	s_or_b64 exec, exec, s[12:13]
	v_cmp_gt_u32_e64 s[8:9], 4, v9
	s_and_saveexec_b64 s[12:13], s[8:9]
	s_cbranch_execnz .LBB109_163
	s_branch .LBB109_164
.LBB109_1118:
	ds_read_b32 v22, v21 offset:15232
	ds_read_b32 v23, v20 offset:12524
	s_waitcnt lgkmcnt(0)
	v_fmac_f32_e32 v19, v22, v23
	s_or_b64 exec, exec, s[18:19]
	s_and_saveexec_b64 s[12:13], s[14:15]
	s_cbranch_execz .LBB109_220
.LBB109_1119:
	ds_read_b32 v22, v21 offset:15488
	ds_read_b32 v23, v20 offset:12528
	s_waitcnt lgkmcnt(0)
	v_fmac_f32_e32 v19, v22, v23
	s_or_b64 exec, exec, s[12:13]
	v_cmp_gt_u32_e64 s[12:13], 48, v9
	s_and_saveexec_b64 s[18:19], s[12:13]
	s_cbranch_execz .LBB109_221
.LBB109_1120:
	ds_read_b32 v22, v21 offset:15744
	ds_read_b32 v23, v20 offset:12532
	s_waitcnt lgkmcnt(0)
	v_fmac_f32_e32 v19, v22, v23
	s_or_b64 exec, exec, s[18:19]
	v_cmp_gt_u32_e64 s[12:13], 32, v9
	s_and_saveexec_b64 s[18:19], s[12:13]
	s_cbranch_execz .LBB109_222
.LBB109_1121:
	ds_read_b32 v21, v21 offset:16000
	ds_read_b32 v20, v20 offset:12536
	s_waitcnt lgkmcnt(0)
	v_fmac_f32_e32 v19, v21, v20
	s_or_b64 exec, exec, s[18:19]
	v_cmp_gt_u32_e64 s[12:13], 16, v9
	s_and_saveexec_b64 s[18:19], s[12:13]
	s_cbranch_execnz .LBB109_223
	s_branch .LBB109_224
.LBB109_1122:
	ds_read_b32 v22, v21 offset:11680
	ds_read_b32 v23, v20 offset:11444
	s_waitcnt lgkmcnt(0)
	v_fmac_f32_e32 v19, v22, v23
	s_or_b64 exec, exec, s[16:17]
	v_cmp_gt_u32_e64 s[10:11], 8, v9
	s_and_saveexec_b64 s[16:17], s[10:11]
	s_cbranch_execz .LBB109_308
.LBB109_1123:
	ds_read_b32 v21, v21 offset:11936
	ds_read_b32 v20, v20 offset:11448
	s_waitcnt lgkmcnt(0)
	v_fmac_f32_e32 v19, v21, v20
	s_or_b64 exec, exec, s[16:17]
	v_cmp_gt_u32_e64 s[10:11], 4, v9
	s_and_saveexec_b64 s[16:17], s[10:11]
	s_cbranch_execnz .LBB109_309
	s_branch .LBB109_310
.LBB109_1124:
	ds_read_b32 v22, v21 offset:10624
	ds_read_b32 v23, v20 offset:10404
	s_waitcnt lgkmcnt(0)
	v_fmac_f32_e32 v19, v22, v23
	s_or_b64 exec, exec, s[16:17]
	v_cmp_gt_u32_e64 s[10:11], 48, v9
	s_and_saveexec_b64 s[16:17], s[10:11]
	s_cbranch_execz .LBB109_346
.LBB109_1125:
	ds_read_b32 v22, v21 offset:10880
	ds_read_b32 v23, v20 offset:10408
	s_waitcnt lgkmcnt(0)
	v_fmac_f32_e32 v19, v22, v23
	s_or_b64 exec, exec, s[16:17]
	v_cmp_gt_u32_e64 s[10:11], 40, v9
	s_and_saveexec_b64 s[16:17], s[10:11]
	s_cbranch_execz .LBB109_347
.LBB109_1126:
	ds_read_b32 v22, v21 offset:11136
	ds_read_b32 v23, v20 offset:10412
	s_waitcnt lgkmcnt(0)
	v_fmac_f32_e32 v19, v22, v23
	s_or_b64 exec, exec, s[16:17]
	v_cmp_gt_u32_e64 s[10:11], 32, v9
	s_and_saveexec_b64 s[16:17], s[10:11]
	s_cbranch_execz .LBB109_348
.LBB109_1127:
	ds_read_b32 v22, v21 offset:11392
	ds_read_b32 v23, v20 offset:10416
	s_waitcnt lgkmcnt(0)
	v_fmac_f32_e32 v19, v22, v23
	s_or_b64 exec, exec, s[16:17]
	v_cmp_gt_u32_e64 s[10:11], 24, v9
	s_and_saveexec_b64 s[16:17], s[10:11]
	s_cbranch_execz .LBB109_349
.LBB109_1128:
	ds_read_b32 v22, v21 offset:11648
	ds_read_b32 v23, v20 offset:10420
	s_waitcnt lgkmcnt(0)
	v_fmac_f32_e32 v19, v22, v23
	s_or_b64 exec, exec, s[16:17]
	s_and_saveexec_b64 s[10:11], s[2:3]
	s_cbranch_execz .LBB109_350
.LBB109_1129:
	ds_read_b32 v21, v21 offset:11904
	ds_read_b32 v20, v20 offset:10424
	s_waitcnt lgkmcnt(0)
	v_fmac_f32_e32 v19, v21, v20
	s_or_b64 exec, exec, s[10:11]
	v_cmp_gt_u32_e64 s[10:11], 8, v9
	s_and_saveexec_b64 s[16:17], s[10:11]
	s_cbranch_execnz .LBB109_351
	s_branch .LBB109_352
.LBB109_1130:
	ds_read_b32 v22, v21 offset:9600
	ds_read_b32 v23, v20 offset:9364
	s_waitcnt lgkmcnt(0)
	v_fmac_f32_e32 v19, v22, v23
	s_or_b64 exec, exec, s[16:17]
	v_cmp_gt_u32_e64 s[10:11], 8, v9
	s_and_saveexec_b64 s[16:17], s[10:11]
	s_cbranch_execz .LBB109_404
.LBB109_1131:
	ds_read_b32 v21, v21 offset:9856
	ds_read_b32 v20, v20 offset:9368
	s_waitcnt lgkmcnt(0)
	v_fmac_f32_e32 v19, v21, v20
	s_or_b64 exec, exec, s[16:17]
	v_cmp_gt_u32_e64 s[10:11], 4, v9
	s_and_saveexec_b64 s[16:17], s[10:11]
	s_cbranch_execnz .LBB109_405
	s_branch .LBB109_406
.LBB109_1132:
	ds_read_b32 v25, v24 offset:15616
	ds_read_b32 v26, v23 offset:8436
	s_waitcnt lgkmcnt(0)
	v_fmac_f32_e32 v21, v25, v26
	s_or_b64 exec, exec, s[90:91]
	s_and_saveexec_b64 s[16:17], s[14:15]
	s_cbranch_execz .LBB109_498
.LBB109_1133:
	ds_read_b32 v24, v24 offset:15872
	ds_read_b32 v23, v23 offset:8440
	s_waitcnt lgkmcnt(0)
	v_fmac_f32_e32 v21, v24, v23
	s_or_b64 exec, exec, s[16:17]
	v_cmp_gt_u32_e64 s[16:17], 32, v9
	s_and_saveexec_b64 s[90:91], s[16:17]
	s_cbranch_execnz .LBB109_499
	s_branch .LBB109_500
.LBB109_1134:
	ds_read_b32 v22, v21 offset:7520
	ds_read_b32 v23, v20 offset:7284
	s_waitcnt lgkmcnt(0)
	v_fmac_f32_e32 v19, v22, v23
	s_or_b64 exec, exec, s[16:17]
	v_cmp_gt_u32_e64 s[10:11], 8, v9
	s_and_saveexec_b64 s[16:17], s[10:11]
	s_cbranch_execz .LBB109_648
.LBB109_1135:
	ds_read_b32 v21, v21 offset:7776
	ds_read_b32 v20, v20 offset:7288
	s_waitcnt lgkmcnt(0)
	v_fmac_f32_e32 v19, v21, v20
	s_or_b64 exec, exec, s[16:17]
	v_cmp_gt_u32_e64 s[10:11], 4, v9
	s_and_saveexec_b64 s[16:17], s[10:11]
	s_cbranch_execnz .LBB109_649
	s_branch .LBB109_650
.LBB109_1136:
	ds_read_b32 v22, v21 offset:6464
	ds_read_b32 v23, v20 offset:6244
	s_waitcnt lgkmcnt(0)
	v_fmac_f32_e32 v19, v22, v23
	s_or_b64 exec, exec, s[16:17]
	v_cmp_gt_u32_e64 s[10:11], 48, v9
	s_and_saveexec_b64 s[16:17], s[10:11]
	s_cbranch_execz .LBB109_686
.LBB109_1137:
	ds_read_b32 v22, v21 offset:6720
	ds_read_b32 v23, v20 offset:6248
	s_waitcnt lgkmcnt(0)
	v_fmac_f32_e32 v19, v22, v23
	s_or_b64 exec, exec, s[16:17]
	v_cmp_gt_u32_e64 s[10:11], 40, v9
	s_and_saveexec_b64 s[16:17], s[10:11]
	s_cbranch_execz .LBB109_687
.LBB109_1138:
	ds_read_b32 v22, v21 offset:6976
	ds_read_b32 v23, v20 offset:6252
	s_waitcnt lgkmcnt(0)
	v_fmac_f32_e32 v19, v22, v23
	s_or_b64 exec, exec, s[16:17]
	v_cmp_gt_u32_e64 s[10:11], 32, v9
	s_and_saveexec_b64 s[16:17], s[10:11]
	s_cbranch_execz .LBB109_688
.LBB109_1139:
	ds_read_b32 v22, v21 offset:7232
	ds_read_b32 v23, v20 offset:6256
	s_waitcnt lgkmcnt(0)
	v_fmac_f32_e32 v19, v22, v23
	s_or_b64 exec, exec, s[16:17]
	v_cmp_gt_u32_e64 s[10:11], 24, v9
	s_and_saveexec_b64 s[16:17], s[10:11]
	s_cbranch_execz .LBB109_689
.LBB109_1140:
	ds_read_b32 v22, v21 offset:7488
	ds_read_b32 v23, v20 offset:6260
	s_waitcnt lgkmcnt(0)
	v_fmac_f32_e32 v19, v22, v23
	s_or_b64 exec, exec, s[16:17]
	s_and_saveexec_b64 s[10:11], s[2:3]
	s_cbranch_execz .LBB109_690
.LBB109_1141:
	ds_read_b32 v21, v21 offset:7744
	ds_read_b32 v20, v20 offset:6264
	s_waitcnt lgkmcnt(0)
	v_fmac_f32_e32 v19, v21, v20
	s_or_b64 exec, exec, s[10:11]
	v_cmp_gt_u32_e64 s[10:11], 8, v9
	s_and_saveexec_b64 s[16:17], s[10:11]
	s_cbranch_execnz .LBB109_691
	s_branch .LBB109_692
.LBB109_1142:
	ds_read_b32 v22, v21 offset:5440
	ds_read_b32 v23, v20 offset:5204
	s_waitcnt lgkmcnt(0)
	v_fmac_f32_e32 v19, v22, v23
	s_or_b64 exec, exec, s[16:17]
	v_cmp_gt_u32_e64 s[10:11], 8, v9
	s_and_saveexec_b64 s[16:17], s[10:11]
	s_cbranch_execz .LBB109_744
.LBB109_1143:
	ds_read_b32 v21, v21 offset:5696
	ds_read_b32 v20, v20 offset:5208
	s_waitcnt lgkmcnt(0)
	v_fmac_f32_e32 v19, v21, v20
	s_or_b64 exec, exec, s[16:17]
	v_cmp_gt_u32_e64 s[10:11], 4, v9
	s_and_saveexec_b64 s[16:17], s[10:11]
	s_cbranch_execnz .LBB109_745
	s_branch .LBB109_746
.LBB109_1144:
	ds_read_b32 v22, v21 offset:6912
	ds_read_b32 v23, v20 offset:4204
	s_waitcnt lgkmcnt(0)
	v_fmac_f32_e32 v19, v22, v23
	s_or_b64 exec, exec, s[16:17]
	s_and_saveexec_b64 s[10:11], s[14:15]
	s_cbranch_execz .LBB109_802
.LBB109_1145:
	ds_read_b32 v22, v21 offset:7168
	ds_read_b32 v23, v20 offset:4208
	s_waitcnt lgkmcnt(0)
	v_fmac_f32_e32 v19, v22, v23
	s_or_b64 exec, exec, s[10:11]
	v_cmp_gt_u32_e64 s[10:11], 48, v9
	s_and_saveexec_b64 s[16:17], s[10:11]
	s_cbranch_execz .LBB109_803
.LBB109_1146:
	ds_read_b32 v22, v21 offset:7424
	ds_read_b32 v23, v20 offset:4212
	s_waitcnt lgkmcnt(0)
	v_fmac_f32_e32 v19, v22, v23
	s_or_b64 exec, exec, s[16:17]
	v_cmp_gt_u32_e64 s[10:11], 32, v9
	s_and_saveexec_b64 s[16:17], s[10:11]
	s_cbranch_execz .LBB109_804
.LBB109_1147:
	ds_read_b32 v21, v21 offset:7680
	ds_read_b32 v20, v20 offset:4216
	s_waitcnt lgkmcnt(0)
	v_fmac_f32_e32 v19, v21, v20
	s_or_b64 exec, exec, s[16:17]
	v_cmp_gt_u32_e64 s[10:11], 16, v9
	s_and_saveexec_b64 s[16:17], s[10:11]
	s_cbranch_execnz .LBB109_805
	s_branch .LBB109_806
.LBB109_1148:
	ds_read_b32 v19, v18 offset:3360
	ds_read_b32 v20, v17 offset:3124
	s_waitcnt lgkmcnt(0)
	v_fmac_f32_e32 v16, v19, v20
	s_or_b64 exec, exec, s[12:13]
	v_cmp_gt_u32_e64 s[8:9], 8, v9
	s_and_saveexec_b64 s[12:13], s[8:9]
	s_cbranch_execz .LBB109_890
.LBB109_1149:
	ds_read_b32 v18, v18 offset:3616
	ds_read_b32 v17, v17 offset:3128
	s_waitcnt lgkmcnt(0)
	v_fmac_f32_e32 v16, v18, v17
	s_or_b64 exec, exec, s[12:13]
	v_cmp_gt_u32_e64 s[8:9], 4, v9
	s_and_saveexec_b64 s[12:13], s[8:9]
	s_cbranch_execnz .LBB109_891
	s_branch .LBB109_892
.LBB109_1150:
	ds_read_b32 v19, v18 offset:2304
	ds_read_b32 v20, v17 offset:2084
	s_waitcnt lgkmcnt(0)
	v_fmac_f32_e32 v16, v19, v20
	s_or_b64 exec, exec, s[12:13]
	v_cmp_gt_u32_e64 s[8:9], 48, v9
	s_and_saveexec_b64 s[12:13], s[8:9]
	s_cbranch_execz .LBB109_928
.LBB109_1151:
	ds_read_b32 v19, v18 offset:2560
	ds_read_b32 v20, v17 offset:2088
	s_waitcnt lgkmcnt(0)
	v_fmac_f32_e32 v16, v19, v20
	s_or_b64 exec, exec, s[12:13]
	v_cmp_gt_u32_e64 s[8:9], 40, v9
	s_and_saveexec_b64 s[12:13], s[8:9]
	s_cbranch_execz .LBB109_929
.LBB109_1152:
	ds_read_b32 v19, v18 offset:2816
	ds_read_b32 v20, v17 offset:2092
	s_waitcnt lgkmcnt(0)
	v_fmac_f32_e32 v16, v19, v20
	s_or_b64 exec, exec, s[12:13]
	v_cmp_gt_u32_e64 s[8:9], 32, v9
	s_and_saveexec_b64 s[12:13], s[8:9]
	s_cbranch_execz .LBB109_930
.LBB109_1153:
	ds_read_b32 v19, v18 offset:3072
	ds_read_b32 v20, v17 offset:2096
	s_waitcnt lgkmcnt(0)
	v_fmac_f32_e32 v16, v19, v20
	s_or_b64 exec, exec, s[12:13]
	v_cmp_gt_u32_e64 s[8:9], 24, v9
	s_and_saveexec_b64 s[12:13], s[8:9]
	s_cbranch_execz .LBB109_931
.LBB109_1154:
	ds_read_b32 v19, v18 offset:3328
	ds_read_b32 v20, v17 offset:2100
	s_waitcnt lgkmcnt(0)
	v_fmac_f32_e32 v16, v19, v20
	s_or_b64 exec, exec, s[12:13]
	s_and_saveexec_b64 s[8:9], s[2:3]
	s_cbranch_execz .LBB109_932
.LBB109_1155:
	ds_read_b32 v18, v18 offset:3584
	ds_read_b32 v17, v17 offset:2104
	s_waitcnt lgkmcnt(0)
	v_fmac_f32_e32 v16, v18, v17
	s_or_b64 exec, exec, s[8:9]
	v_cmp_gt_u32_e64 s[8:9], 8, v9
	s_and_saveexec_b64 s[12:13], s[8:9]
	s_cbranch_execnz .LBB109_933
	s_branch .LBB109_934
.LBB109_1156:
	ds_read_b32 v16, v15 offset:1280
	ds_read_b32 v17, v14 offset:1044
	s_waitcnt lgkmcnt(0)
	v_fmac_f32_e32 v13, v16, v17
	s_or_b64 exec, exec, s[12:13]
	v_cmp_gt_u32_e64 s[8:9], 8, v9
	s_and_saveexec_b64 s[12:13], s[8:9]
	s_cbranch_execz .LBB109_986
.LBB109_1157:
	ds_read_b32 v15, v15 offset:1536
	ds_read_b32 v14, v14 offset:1048
	s_waitcnt lgkmcnt(0)
	v_fmac_f32_e32 v13, v15, v14
	s_or_b64 exec, exec, s[12:13]
	v_cmp_gt_u32_e64 s[8:9], 4, v9
	s_and_saveexec_b64 s[12:13], s[8:9]
	s_cbranch_execnz .LBB109_987
	s_branch .LBB109_988
	.section	.rodata,"a",@progbits
	.p2align	6, 0x0
	.amdhsa_kernel _ZL19rocblas_trsv_deviceILi64ELi16ELb0ELb0ELb0ELb1EffPKPKfPKPfEviT7_lllT6_T8_lllPii
		.amdhsa_group_segment_fixed_size 20740
		.amdhsa_private_segment_fixed_size 0
		.amdhsa_kernarg_size 352
		.amdhsa_user_sgpr_count 6
		.amdhsa_user_sgpr_private_segment_buffer 1
		.amdhsa_user_sgpr_dispatch_ptr 0
		.amdhsa_user_sgpr_queue_ptr 0
		.amdhsa_user_sgpr_kernarg_segment_ptr 1
		.amdhsa_user_sgpr_dispatch_id 0
		.amdhsa_user_sgpr_flat_scratch_init 0
		.amdhsa_user_sgpr_private_segment_size 0
		.amdhsa_uses_dynamic_stack 0
		.amdhsa_system_sgpr_private_segment_wavefront_offset 0
		.amdhsa_system_sgpr_workgroup_id_x 1
		.amdhsa_system_sgpr_workgroup_id_y 0
		.amdhsa_system_sgpr_workgroup_id_z 1
		.amdhsa_system_sgpr_workgroup_info 0
		.amdhsa_system_vgpr_workitem_id 1
		.amdhsa_next_free_vgpr 29
		.amdhsa_next_free_sgpr 96
		.amdhsa_reserve_vcc 1
		.amdhsa_reserve_flat_scratch 0
		.amdhsa_float_round_mode_32 0
		.amdhsa_float_round_mode_16_64 0
		.amdhsa_float_denorm_mode_32 3
		.amdhsa_float_denorm_mode_16_64 3
		.amdhsa_dx10_clamp 1
		.amdhsa_ieee_mode 1
		.amdhsa_fp16_overflow 0
		.amdhsa_exception_fp_ieee_invalid_op 0
		.amdhsa_exception_fp_denorm_src 0
		.amdhsa_exception_fp_ieee_div_zero 0
		.amdhsa_exception_fp_ieee_overflow 0
		.amdhsa_exception_fp_ieee_underflow 0
		.amdhsa_exception_fp_ieee_inexact 0
		.amdhsa_exception_int_div_zero 0
	.end_amdhsa_kernel
	.section	.text._ZL19rocblas_trsv_deviceILi64ELi16ELb0ELb0ELb0ELb1EffPKPKfPKPfEviT7_lllT6_T8_lllPii,"axG",@progbits,_ZL19rocblas_trsv_deviceILi64ELi16ELb0ELb0ELb0ELb1EffPKPKfPKPfEviT7_lllT6_T8_lllPii,comdat
.Lfunc_end109:
	.size	_ZL19rocblas_trsv_deviceILi64ELi16ELb0ELb0ELb0ELb1EffPKPKfPKPfEviT7_lllT6_T8_lllPii, .Lfunc_end109-_ZL19rocblas_trsv_deviceILi64ELi16ELb0ELb0ELb0ELb1EffPKPKfPKPfEviT7_lllT6_T8_lllPii
                                        ; -- End function
	.set _ZL19rocblas_trsv_deviceILi64ELi16ELb0ELb0ELb0ELb1EffPKPKfPKPfEviT7_lllT6_T8_lllPii.num_vgpr, 28
	.set _ZL19rocblas_trsv_deviceILi64ELi16ELb0ELb0ELb0ELb1EffPKPKfPKPfEviT7_lllT6_T8_lllPii.num_agpr, 0
	.set _ZL19rocblas_trsv_deviceILi64ELi16ELb0ELb0ELb0ELb1EffPKPKfPKPfEviT7_lllT6_T8_lllPii.numbered_sgpr, 96
	.set _ZL19rocblas_trsv_deviceILi64ELi16ELb0ELb0ELb0ELb1EffPKPKfPKPfEviT7_lllT6_T8_lllPii.num_named_barrier, 0
	.set _ZL19rocblas_trsv_deviceILi64ELi16ELb0ELb0ELb0ELb1EffPKPKfPKPfEviT7_lllT6_T8_lllPii.private_seg_size, 0
	.set _ZL19rocblas_trsv_deviceILi64ELi16ELb0ELb0ELb0ELb1EffPKPKfPKPfEviT7_lllT6_T8_lllPii.uses_vcc, 1
	.set _ZL19rocblas_trsv_deviceILi64ELi16ELb0ELb0ELb0ELb1EffPKPKfPKPfEviT7_lllT6_T8_lllPii.uses_flat_scratch, 0
	.set _ZL19rocblas_trsv_deviceILi64ELi16ELb0ELb0ELb0ELb1EffPKPKfPKPfEviT7_lllT6_T8_lllPii.has_dyn_sized_stack, 0
	.set _ZL19rocblas_trsv_deviceILi64ELi16ELb0ELb0ELb0ELb1EffPKPKfPKPfEviT7_lllT6_T8_lllPii.has_recursion, 0
	.set _ZL19rocblas_trsv_deviceILi64ELi16ELb0ELb0ELb0ELb1EffPKPKfPKPfEviT7_lllT6_T8_lllPii.has_indirect_call, 0
	.section	.AMDGPU.csdata,"",@progbits
; Kernel info:
; codeLenInByte = 30080
; TotalNumSgprs: 100
; NumVgprs: 28
; ScratchSize: 0
; MemoryBound: 0
; FloatMode: 240
; IeeeMode: 1
; LDSByteSize: 20740 bytes/workgroup (compile time only)
; SGPRBlocks: 12
; VGPRBlocks: 7
; NumSGPRsForWavesPerEU: 100
; NumVGPRsForWavesPerEU: 29
; Occupancy: 8
; WaveLimiterHint : 1
; COMPUTE_PGM_RSRC2:SCRATCH_EN: 0
; COMPUTE_PGM_RSRC2:USER_SGPR: 6
; COMPUTE_PGM_RSRC2:TRAP_HANDLER: 0
; COMPUTE_PGM_RSRC2:TGID_X_EN: 1
; COMPUTE_PGM_RSRC2:TGID_Y_EN: 0
; COMPUTE_PGM_RSRC2:TGID_Z_EN: 1
; COMPUTE_PGM_RSRC2:TIDIG_COMP_CNT: 1
	.section	.text._ZL19rocblas_trsv_deviceILi64ELi16ELb0ELb1ELb0ELb1EffPKPKfPKPfEviT7_lllT6_T8_lllPii,"axG",@progbits,_ZL19rocblas_trsv_deviceILi64ELi16ELb0ELb1ELb0ELb1EffPKPKfPKPfEviT7_lllT6_T8_lllPii,comdat
	.globl	_ZL19rocblas_trsv_deviceILi64ELi16ELb0ELb1ELb0ELb1EffPKPKfPKPfEviT7_lllT6_T8_lllPii ; -- Begin function _ZL19rocblas_trsv_deviceILi64ELi16ELb0ELb1ELb0ELb1EffPKPKfPKPfEviT7_lllT6_T8_lllPii
	.p2align	8
	.type	_ZL19rocblas_trsv_deviceILi64ELi16ELb0ELb1ELb0ELb1EffPKPKfPKPfEviT7_lllT6_T8_lllPii,@function
_ZL19rocblas_trsv_deviceILi64ELi16ELb0ELb1ELb0ELb1EffPKPKfPKPfEviT7_lllT6_T8_lllPii: ; @_ZL19rocblas_trsv_deviceILi64ELi16ELb0ELb1ELb0ELb1EffPKPKfPKPfEviT7_lllT6_T8_lllPii
; %bb.0:
	s_load_dwordx4 s[0:3], s[4:5], 0x8
	s_mov_b32 s24, s7
	s_mov_b32 s25, 0
	s_lshl_b64 s[8:9], s[24:25], 3
	s_waitcnt lgkmcnt(0)
	s_add_u32 s0, s0, s8
	s_addc_u32 s1, s1, s9
	s_load_dwordx2 s[10:11], s[0:1], 0x0
	s_load_dword s33, s[4:5], 0x0
	s_load_dwordx4 s[12:15], s[4:5], 0x30
	s_load_dwordx2 s[30:31], s[4:5], 0x18
	s_lshl_b64 s[0:1], s[2:3], 2
	s_waitcnt lgkmcnt(0)
	s_add_u32 s88, s10, s0
	s_addc_u32 s89, s11, s1
	s_add_u32 s0, s12, s8
	s_addc_u32 s1, s13, s9
	s_load_dwordx2 s[34:35], s[0:1], 0x0
	s_load_dwordx2 s[26:27], s[4:5], 0x40
	s_load_dword s16, s[4:5], 0x6c
	s_cmp_eq_u32 s6, 0
	s_cbranch_scc1 .LBB110_10
; %bb.1:
	s_lshl_b32 s2, s6, 6
	v_add_u32_e32 v6, s2, v0
	v_ashrrev_i32_e32 v2, 31, v6
	v_mul_lo_u32 v7, s30, v2
	v_mul_lo_u32 v8, s31, v6
	v_mad_u64_u32 v[4:5], s[0:1], s30, v6, 0
	v_add_u32_e32 v2, s2, v1
	v_subrev_u32_e32 v2, 64, v2
	v_add3_u32 v5, v5, v7, v8
	v_lshlrev_b64 v[4:5], 2, v[4:5]
	v_ashrrev_i32_e32 v3, 31, v2
	v_cmp_gt_i32_e32 vcc, s33, v6
	v_mov_b32_e32 v6, s89
	v_add_co_u32_e64 v7, s[0:1], s88, v4
	v_lshlrev_b64 v[3:4], 2, v[2:3]
	v_addc_co_u32_e64 v5, s[0:1], v6, v5, s[0:1]
	v_add_co_u32_e64 v3, s[0:1], v7, v3
	v_addc_co_u32_e64 v4, s[0:1], v5, v4, s[0:1]
	v_cmp_gt_i32_e64 s[0:1], s33, v2
	s_and_b64 s[2:3], s[0:1], vcc
	v_mov_b32_e32 v7, 0
	v_mov_b32_e32 v8, 0
	s_waitcnt lgkmcnt(0)
	s_barrier
	s_and_saveexec_b64 s[0:1], s[2:3]
	s_cbranch_execz .LBB110_3
; %bb.2:
	flat_load_dword v8, v[3:4]
.LBB110_3:
	s_or_b64 exec, exec, s[0:1]
	v_add_u32_e32 v5, 16, v2
	v_cmp_gt_i32_e64 s[0:1], s33, v5
	s_and_b64 s[2:3], s[0:1], vcc
	s_waitcnt vmcnt(0) lgkmcnt(0)
	s_barrier
	s_and_saveexec_b64 s[0:1], s[2:3]
	s_cbranch_execz .LBB110_5
; %bb.4:
	flat_load_dword v7, v[3:4] offset:64
.LBB110_5:
	s_or_b64 exec, exec, s[0:1]
	v_add_u32_e32 v5, 32, v2
	v_cmp_gt_i32_e64 s[0:1], s33, v5
	s_and_b64 s[2:3], s[0:1], vcc
	v_mov_b32_e32 v9, 0
	v_mov_b32_e32 v10, 0
	s_waitcnt vmcnt(0) lgkmcnt(0)
	s_barrier
	s_and_saveexec_b64 s[0:1], s[2:3]
	s_cbranch_execz .LBB110_7
; %bb.6:
	flat_load_dword v10, v[3:4] offset:128
.LBB110_7:
	s_or_b64 exec, exec, s[0:1]
	v_add_u32_e32 v2, 48, v2
	v_cmp_gt_i32_e64 s[0:1], s33, v2
	s_and_b64 s[2:3], s[0:1], vcc
	s_waitcnt vmcnt(0) lgkmcnt(0)
	s_barrier
	s_and_saveexec_b64 s[0:1], s[2:3]
	s_cbranch_execz .LBB110_9
; %bb.8:
	flat_load_dword v9, v[3:4] offset:192
.LBB110_9:
	s_or_b64 exec, exec, s[0:1]
	s_branch .LBB110_11
.LBB110_10:
                                        ; implicit-def: $vgpr9
                                        ; implicit-def: $vgpr10
                                        ; implicit-def: $vgpr7
                                        ; implicit-def: $vgpr8
.LBB110_11:
	s_ashr_i32 s0, s33, 31
	s_lshr_b32 s0, s0, 26
	s_add_i32 s0, s33, s0
	s_andn2_b32 s0, s0, 63
	s_sub_i32 s7, s33, s0
	s_add_i32 s0, s33, -1
	s_ashr_i32 s1, s0, 31
	s_lshr_b32 s1, s1, 26
	s_add_i32 s0, s0, s1
	s_ashr_i32 s0, s0, 6
	s_cmp_eq_u32 s0, s6
	s_cselect_b64 s[0:1], -1, 0
	s_cmp_lg_u32 s7, 0
	s_cselect_b64 s[2:3], -1, 0
	s_and_b64 s[28:29], s[2:3], s[0:1]
	s_cmp_lt_i32 s6, 5
	s_cselect_b64 s[2:3], -1, 0
	s_mov_b64 s[12:13], -1
	s_or_b64 s[0:1], s[2:3], s[28:29]
	v_lshlrev_b32_e32 v4, 6, v0
	s_and_b64 vcc, exec, s[28:29]
	v_cmp_le_u32_e64 s[8:9], v1, v0
	v_lshlrev_b32_e32 v6, 2, v0
	s_cbranch_vccnz .LBB110_27
; %bb.12:
	s_add_u32 s10, s30, 1
	s_addc_u32 s11, s31, 0
	s_lshl_b32 s12, s6, 6
	s_ashr_i32 s13, s12, 31
	s_mul_hi_u32 s14, s10, s12
	s_mul_i32 s13, s10, s13
	s_add_i32 s13, s14, s13
	s_mul_i32 s11, s11, s12
	s_add_i32 s11, s13, s11
	s_mul_i32 s10, s10, s12
	s_lshl_b64 s[10:11], s[10:11], 2
	s_add_u32 s10, s88, s10
	s_addc_u32 s11, s89, s11
	v_lshlrev_b32_e32 v2, 2, v0
	v_mov_b32_e32 v3, s11
	v_add_co_u32_e32 v2, vcc, s10, v2
	v_mov_b32_e32 v5, 0
	v_addc_co_u32_e32 v3, vcc, 0, v3, vcc
	s_mov_b64 s[10:11], 0
	s_and_saveexec_b64 s[12:13], s[8:9]
	s_xor_b64 s[8:9], exec, s[12:13]
	s_cbranch_execnz .LBB110_1149
; %bb.13:
	s_andn2_saveexec_b64 s[8:9], s[8:9]
	s_cbranch_execnz .LBB110_1150
.LBB110_14:
	s_or_b64 exec, exec, s[8:9]
	s_and_saveexec_b64 s[8:9], s[10:11]
.LBB110_15:
	v_add_u32_e32 v11, v1, v4
	v_lshl_add_u32 v12, v1, 6, v0
	v_cndmask_b32_e64 v11, v12, v11, s[2:3]
	v_lshlrev_b32_e32 v11, 2, v11
	ds_write_b32 v11, v5
.LBB110_16:
	s_or_b64 exec, exec, s[8:9]
	v_add_u32_e32 v5, 16, v1
	v_cmp_le_u32_e32 vcc, v5, v0
	s_mov_b64 s[2:3], 0
	s_and_saveexec_b64 s[8:9], vcc
	s_xor_b64 s[8:9], exec, s[8:9]
	s_cbranch_execnz .LBB110_1151
; %bb.17:
	s_or_saveexec_b64 s[8:9], s[8:9]
	v_mov_b32_e32 v11, 0
	s_xor_b64 exec, exec, s[8:9]
	s_cbranch_execnz .LBB110_1152
.LBB110_18:
	s_or_b64 exec, exec, s[8:9]
	s_and_saveexec_b64 s[8:9], s[2:3]
.LBB110_19:
	v_add_u32_e32 v12, v5, v4
	v_lshl_add_u32 v5, v5, 6, v0
	v_cndmask_b32_e64 v5, v5, v12, s[0:1]
	v_lshlrev_b32_e32 v5, 2, v5
	ds_write_b32 v5, v11
.LBB110_20:
	s_or_b64 exec, exec, s[8:9]
	v_add_u32_e32 v5, 32, v1
	v_cmp_le_u32_e32 vcc, v5, v0
	s_mov_b64 s[2:3], 0
	s_and_saveexec_b64 s[8:9], vcc
	s_xor_b64 s[8:9], exec, s[8:9]
	s_cbranch_execnz .LBB110_1153
; %bb.21:
	s_or_saveexec_b64 s[8:9], s[8:9]
	v_mov_b32_e32 v11, 0
	s_xor_b64 exec, exec, s[8:9]
	s_cbranch_execnz .LBB110_1154
.LBB110_22:
	s_or_b64 exec, exec, s[8:9]
	s_and_saveexec_b64 s[8:9], s[2:3]
.LBB110_23:
	v_add_u32_e32 v12, v5, v4
	v_lshl_add_u32 v5, v5, 6, v0
	v_cndmask_b32_e64 v5, v5, v12, s[0:1]
	v_lshlrev_b32_e32 v5, 2, v5
	ds_write_b32 v5, v11
.LBB110_24:
	s_or_b64 exec, exec, s[8:9]
	v_add_u32_e32 v5, 48, v1
	v_add_u32_e32 v11, v5, v4
	v_lshl_add_u32 v12, v5, 6, v0
	v_cmp_le_u32_e32 vcc, v5, v0
	s_mov_b64 s[2:3], -1
	s_mov_b64 s[12:13], 0
	s_mov_b64 s[10:11], 0
	s_and_saveexec_b64 s[8:9], vcc
	s_xor_b64 s[8:9], exec, s[8:9]
; %bb.25:
	v_or_b32_e32 v13, v5, v0
	v_cmp_gt_u32_e32 vcc, 64, v13
	s_and_b64 s[10:11], vcc, exec
	s_xor_b64 s[2:3], exec, -1
; %bb.26:
	s_or_b64 exec, exec, s[8:9]
	v_cndmask_b32_e64 v11, v12, v11, s[0:1]
	s_and_b64 vcc, exec, s[12:13]
	s_cbranch_vccnz .LBB110_28
	s_branch .LBB110_43
.LBB110_27:
	s_mov_b64 s[2:3], 0
	s_mov_b64 s[10:11], 0
                                        ; implicit-def: $vgpr11
                                        ; implicit-def: $vgpr2_vgpr3
                                        ; implicit-def: $vgpr5
	s_and_b64 vcc, exec, s[12:13]
	s_cbranch_vccz .LBB110_43
.LBB110_28:
	s_add_u32 s2, s30, 1
	s_addc_u32 s3, s31, 0
	s_lshl_b32 s8, s6, 6
	s_ashr_i32 s9, s8, 31
	s_mul_hi_u32 s12, s2, s8
	s_mul_i32 s9, s2, s9
	s_add_i32 s9, s12, s9
	s_mul_i32 s3, s3, s8
	s_add_i32 s3, s9, s3
	s_mul_i32 s2, s2, s8
	s_lshl_b64 s[2:3], s[2:3], 2
	s_add_u32 s2, s88, s2
	s_addc_u32 s3, s89, s3
	v_lshlrev_b32_e32 v2, 2, v0
	v_mov_b32_e32 v3, s3
	v_add_co_u32_e64 v2, s[2:3], s2, v2
	v_addc_co_u32_e64 v3, s[2:3], 0, v3, s[2:3]
	v_max_i32_e32 v11, v1, v0
	v_cmp_le_u32_e64 s[2:3], v1, v0
	v_cmp_le_i32_e64 s[8:9], s7, v11
	v_cmp_gt_i32_e32 vcc, s7, v0
	v_mov_b32_e32 v5, 0
	s_or_b64 s[2:3], s[8:9], s[2:3]
	s_mov_b64 s[8:9], 0
	s_and_saveexec_b64 s[12:13], s[2:3]
	s_xor_b64 s[12:13], exec, s[12:13]
	s_cbranch_execnz .LBB110_1155
; %bb.29:
	s_andn2_saveexec_b64 s[12:13], s[12:13]
	s_cbranch_execnz .LBB110_1156
.LBB110_30:
	s_or_b64 exec, exec, s[12:13]
	s_and_saveexec_b64 s[2:3], s[8:9]
.LBB110_31:
	v_lshlrev_b32_e32 v11, 2, v4
	v_lshl_add_u32 v11, v1, 2, v11
	ds_write_b32 v11, v5
.LBB110_32:
	s_or_b64 exec, exec, s[2:3]
	v_add_u32_e32 v5, 16, v1
	v_cmp_gt_u32_e64 s[2:3], v5, v0
	v_cmp_gt_i32_e64 s[8:9], s7, v5
	s_and_b64 s[2:3], s[2:3], s[8:9]
	s_and_b64 s[2:3], s[2:3], vcc
	s_xor_b64 s[2:3], s[2:3], -1
	s_mov_b64 s[8:9], 0
	s_and_saveexec_b64 s[12:13], s[2:3]
	s_xor_b64 s[12:13], exec, s[12:13]
	s_cbranch_execnz .LBB110_1157
; %bb.33:
	s_or_saveexec_b64 s[12:13], s[12:13]
	v_mov_b32_e32 v11, 0
	s_xor_b64 exec, exec, s[12:13]
	s_cbranch_execnz .LBB110_1158
.LBB110_34:
	s_or_b64 exec, exec, s[12:13]
	s_and_saveexec_b64 s[2:3], s[8:9]
.LBB110_35:
	v_add_u32_e32 v12, v5, v4
	v_lshl_add_u32 v5, v5, 6, v0
	v_cndmask_b32_e64 v5, v5, v12, s[0:1]
	v_lshlrev_b32_e32 v5, 2, v5
	ds_write_b32 v5, v11
.LBB110_36:
	s_or_b64 exec, exec, s[2:3]
	v_add_u32_e32 v5, 32, v1
	v_cmp_gt_u32_e64 s[2:3], v5, v0
	v_cmp_gt_i32_e64 s[8:9], s7, v5
	s_and_b64 s[2:3], s[2:3], s[8:9]
	s_and_b64 s[2:3], s[2:3], vcc
	s_xor_b64 s[2:3], s[2:3], -1
	s_mov_b64 s[8:9], 0
	s_and_saveexec_b64 s[12:13], s[2:3]
	s_xor_b64 s[12:13], exec, s[12:13]
	s_cbranch_execnz .LBB110_1159
; %bb.37:
	s_or_saveexec_b64 s[12:13], s[12:13]
	v_mov_b32_e32 v11, 0
	s_xor_b64 exec, exec, s[12:13]
	s_cbranch_execnz .LBB110_1160
.LBB110_38:
	s_or_b64 exec, exec, s[12:13]
	s_and_saveexec_b64 s[2:3], s[8:9]
.LBB110_39:
	v_add_u32_e32 v12, v5, v4
	v_lshl_add_u32 v5, v5, 6, v0
	v_cndmask_b32_e64 v5, v5, v12, s[0:1]
	v_lshlrev_b32_e32 v5, 2, v5
	ds_write_b32 v5, v11
.LBB110_40:
	s_or_b64 exec, exec, s[2:3]
	v_add_u32_e32 v5, 48, v1
	v_cmp_gt_u32_e64 s[2:3], v5, v0
	v_cmp_gt_i32_e64 s[8:9], s7, v5
	s_and_b64 s[2:3], s[2:3], s[8:9]
	s_and_b64 s[8:9], s[2:3], vcc
	v_add_u32_e32 v4, v5, v4
	v_lshl_add_u32 v11, v5, 6, v0
	s_mov_b64 s[2:3], -1
	s_xor_b64 s[12:13], s[8:9], -1
	s_and_saveexec_b64 s[8:9], s[12:13]
; %bb.41:
	v_or_b32_e32 v12, v5, v0
	v_cmp_gt_u32_e32 vcc, 64, v12
	s_andn2_b64 s[2:3], s[10:11], exec
	s_and_b64 s[10:11], vcc, exec
	s_or_b64 s[10:11], s[2:3], s[10:11]
	s_xor_b64 s[2:3], exec, -1
; %bb.42:
	s_or_b64 exec, exec, s[8:9]
	v_cndmask_b32_e64 v11, v11, v4, s[0:1]
.LBB110_43:
	v_mov_b32_e32 v4, 0
	s_and_saveexec_b64 s[8:9], s[2:3]
	s_cbranch_execnz .LBB110_1127
; %bb.44:
	s_or_b64 exec, exec, s[8:9]
	s_xor_b64 s[0:1], s[0:1], -1
	s_and_saveexec_b64 s[2:3], s[10:11]
.LBB110_45:
	v_lshlrev_b32_e32 v2, 2, v11
	ds_write_b32 v2, v4
.LBB110_46:
	s_or_b64 exec, exec, s[2:3]
	v_cndmask_b32_e64 v2, 0, 1, s[0:1]
	v_cmp_ne_u32_e64 s[44:45], 1, v2
	s_andn2_b64 vcc, exec, s[0:1]
	s_waitcnt vmcnt(0) lgkmcnt(0)
	s_barrier
	s_cbranch_vccnz .LBB110_1084
; %bb.47:
	v_or_b32_e32 v2, v0, v1
	v_cmp_eq_u32_e32 vcc, 0, v2
	s_and_saveexec_b64 s[0:1], vcc
	s_cbranch_execz .LBB110_49
; %bb.48:
	v_mov_b32_e32 v4, 0
	ds_read_b32 v3, v4 offset:16376
	v_mov_b32_e32 v2, 1.0
	ds_write_b32 v4, v2 offset:16380
	s_waitcnt lgkmcnt(1)
	ds_write_b64 v4, v[2:3] offset:16120
.LBB110_49:
	s_or_b64 exec, exec, s[0:1]
	v_lshlrev_b32_e32 v3, 6, v1
	v_add_u32_e32 v5, v3, v0
	v_and_b32_e32 v4, v3, v0
	v_xor_b32_e32 v3, v3, v0
	v_lshrrev_b16_e32 v3, 1, v3
	v_add_u16_e32 v4, v4, v3
	v_and_b32_e32 v2, 1, v0
	v_sub_u32_e32 v3, 1, v4
	v_cmp_lt_u32_e64 s[8:9], 3, v5
	v_cmp_gt_u32_e64 s[2:3], 4, v5
	v_mov_b32_e32 v11, 0
	s_waitcnt lgkmcnt(0)
	s_barrier
	buffer_wbinvl1_vol
	s_and_saveexec_b64 s[0:1], s[2:3]
	s_cbranch_execz .LBB110_53
; %bb.50:
	v_lshlrev_b32_e32 v11, 8, v3
	v_lshlrev_b32_e32 v12, 2, v2
	ds_read_b32 v13, v12 offset:16112
	ds_read_b32 v11, v11 offset:16120
	v_mov_b32_e32 v12, 0
	v_cmp_gt_u32_e64 s[10:11], 2, v5
	s_waitcnt lgkmcnt(0)
	v_fma_f32 v11, v13, v11, 0
	s_and_saveexec_b64 s[12:13], s[10:11]
	s_cbranch_execz .LBB110_52
; %bb.51:
	v_lshlrev_b32_e32 v13, 2, v0
	ds_read_b32 v13, v13 offset:16368
	ds_read_b32 v12, v12 offset:16380
	s_waitcnt lgkmcnt(0)
	v_fmac_f32_e32 v11, v13, v12
.LBB110_52:
	s_or_b64 exec, exec, s[12:13]
.LBB110_53:
	s_or_b64 exec, exec, s[0:1]
	v_mov_b32_e32 v12, 0x4000
	v_cmp_ne_u32_e64 s[10:11], 0, v2
	s_xor_b64 s[0:1], s[8:9], -1
	v_lshl_add_u32 v4, v4, 2, v12
	s_and_b64 s[38:39], s[10:11], s[0:1]
	s_and_saveexec_b64 s[8:9], s[38:39]
; %bb.54:
	v_xor_b32_e32 v12, 0x80000000, v11
	ds_write_b32 v4, v12
; %bb.55:
	s_or_b64 exec, exec, s[8:9]
	v_cmp_eq_u32_e64 s[8:9], 0, v2
	s_and_b64 s[36:37], s[8:9], s[0:1]
	s_waitcnt lgkmcnt(0)
	s_barrier
	s_and_saveexec_b64 s[0:1], s[36:37]
	s_cbranch_execz .LBB110_57
; %bb.56:
	v_mov_b32_e32 v12, 0
	ds_read_b32 v12, v12 offset:15856
	ds_read_b32 v13, v4
	s_waitcnt lgkmcnt(0)
	v_fma_f32 v11, -v12, v13, v11
.LBB110_57:
	s_or_b64 exec, exec, s[0:1]
	s_barrier
	s_and_saveexec_b64 s[0:1], s[36:37]
; %bb.58:
	v_xor_b32_e32 v12, 0x80000000, v11
	ds_write_b32 v4, v12
; %bb.59:
	s_or_b64 exec, exec, s[0:1]
	s_waitcnt lgkmcnt(0)
	s_barrier
	s_barrier
	s_and_saveexec_b64 s[0:1], s[2:3]
; %bb.60:
	v_lshlrev_b32_e32 v12, 2, v2
	v_lshl_or_b32 v12, v3, 8, v12
	ds_write_b32 v12, v11 offset:16112
; %bb.61:
	s_or_b64 exec, exec, s[0:1]
	v_cmp_eq_u32_e64 s[12:13], 0, v1
	v_cmp_gt_u32_e64 s[8:9], 2, v0
	s_and_b64 s[40:41], s[12:13], s[8:9]
	s_waitcnt lgkmcnt(0)
	s_barrier
	s_barrier
	s_and_saveexec_b64 s[0:1], s[40:41]
	s_cbranch_execz .LBB110_63
; %bb.62:
	v_lshlrev_b32_e32 v11, 2, v0
	s_movk_i32 s8, 0xfc
	v_mad_u32_u24 v12, v0, s8, v11
	ds_read_b32 v13, v12 offset:16112
	s_waitcnt lgkmcnt(0)
	ds_write_b32 v11, v13 offset:15608
	ds_read_b32 v12, v12 offset:16116
	s_waitcnt lgkmcnt(0)
	ds_write_b32 v11, v12 offset:15864
.LBB110_63:
	s_or_b64 exec, exec, s[0:1]
	s_waitcnt lgkmcnt(0)
	s_barrier
	s_and_saveexec_b64 s[0:1], vcc
	s_cbranch_execz .LBB110_65
; %bb.64:
	v_mov_b32_e32 v13, 0
	ds_read_b32 v12, v13 offset:15856
	v_mov_b32_e32 v11, 1.0
	ds_write_b32 v13, v11 offset:15860
	s_waitcnt lgkmcnt(1)
	ds_write_b64 v13, v[11:12] offset:15600
.LBB110_65:
	s_or_b64 exec, exec, s[0:1]
	v_lshrrev_b32_e32 v13, 2, v5
	v_and_b32_e32 v11, 3, v0
	v_sub_u32_e32 v12, 3, v13
	v_cmp_lt_u32_e64 s[8:9], 15, v5
	v_cmp_gt_u32_e64 s[18:19], 16, v5
	v_mov_b32_e32 v14, 0
	s_waitcnt lgkmcnt(0)
	s_barrier
	buffer_wbinvl1_vol
	s_and_saveexec_b64 s[0:1], s[18:19]
	s_cbranch_execz .LBB110_71
; %bb.66:
	v_lshlrev_b32_e32 v16, 2, v11
	v_lshlrev_b32_e32 v15, 8, v12
	ds_read_b32 v14, v16 offset:15584
	ds_read_b32 v17, v15 offset:15600
	v_cmp_gt_u32_e64 s[10:11], 12, v5
	s_waitcnt lgkmcnt(0)
	v_fma_f32 v14, v14, v17, 0
	s_and_saveexec_b64 s[14:15], s[10:11]
	s_cbranch_execnz .LBB110_1172
; %bb.67:
	s_or_b64 exec, exec, s[14:15]
	v_cmp_gt_u32_e64 s[10:11], 8, v5
	s_and_saveexec_b64 s[14:15], s[10:11]
	s_cbranch_execnz .LBB110_1173
.LBB110_68:
	s_or_b64 exec, exec, s[14:15]
	v_cmp_gt_u32_e64 s[10:11], 4, v5
	s_and_saveexec_b64 s[14:15], s[10:11]
	s_cbranch_execz .LBB110_70
.LBB110_69:
	v_lshlrev_b32_e32 v15, 2, v0
	v_mov_b32_e32 v16, 0
	ds_read_b32 v15, v15 offset:16352
	ds_read_b32 v16, v16 offset:16380
	s_waitcnt lgkmcnt(0)
	v_fmac_f32_e32 v14, v15, v16
.LBB110_70:
	s_or_b64 exec, exec, s[14:15]
.LBB110_71:
                                        ; implicit-def: $vgpr28 : SGPR spill to VGPR lane
	v_writelane_b32 v28, s44, 0
	v_writelane_b32 v28, s45, 1
	s_or_b64 exec, exec, s[0:1]
	v_mov_b32_e32 v15, 0x4000
	v_cmp_eq_u32_e64 s[10:11], 3, v11
	s_xor_b64 s[0:1], s[8:9], -1
	v_lshl_add_u32 v13, v13, 2, v15
	s_and_b64 s[44:45], s[10:11], s[0:1]
	s_and_saveexec_b64 s[8:9], s[44:45]
; %bb.72:
	v_xor_b32_e32 v15, 0x80000000, v14
	ds_write_b32 v13, v15
; %bb.73:
	s_or_b64 exec, exec, s[8:9]
	v_cmp_ne_u32_e64 s[8:9], 3, v11
	s_and_b64 s[46:47], s[8:9], s[0:1]
	s_waitcnt lgkmcnt(0)
	s_barrier
	s_and_saveexec_b64 s[8:9], s[46:47]
	s_cbranch_execz .LBB110_75
; %bb.74:
	v_lshlrev_b32_e32 v15, 2, v11
	ds_read_b32 v15, v15 offset:15328
	ds_read_b32 v16, v13
	s_waitcnt lgkmcnt(0)
	v_fma_f32 v14, -v15, v16, v14
.LBB110_75:
	s_or_b64 exec, exec, s[8:9]
	v_cmp_eq_u32_e64 s[8:9], 2, v11
	s_and_b64 s[48:49], s[8:9], s[0:1]
	s_barrier
	s_and_saveexec_b64 s[8:9], s[48:49]
; %bb.76:
	v_xor_b32_e32 v15, 0x80000000, v14
	ds_write_b32 v13, v15
; %bb.77:
	s_or_b64 exec, exec, s[8:9]
	v_cmp_gt_u32_e64 s[8:9], 2, v11
	s_and_b64 s[50:51], s[8:9], s[0:1]
	s_waitcnt lgkmcnt(0)
	s_barrier
	s_and_saveexec_b64 s[8:9], s[50:51]
	s_cbranch_execz .LBB110_79
; %bb.78:
	v_lshlrev_b32_e32 v15, 2, v11
	ds_read_b32 v15, v15 offset:15072
	ds_read_b32 v16, v13
	s_waitcnt lgkmcnt(0)
	v_fma_f32 v14, -v15, v16, v14
.LBB110_79:
	s_or_b64 exec, exec, s[8:9]
	v_cmp_eq_u32_e64 s[8:9], 1, v11
	s_and_b64 s[52:53], s[8:9], s[0:1]
	s_barrier
	s_and_saveexec_b64 s[8:9], s[52:53]
; %bb.80:
	v_xor_b32_e32 v15, 0x80000000, v14
	ds_write_b32 v13, v15
; %bb.81:
	s_or_b64 exec, exec, s[8:9]
	v_cmp_eq_u32_e64 s[8:9], 0, v11
	s_and_b64 s[42:43], s[8:9], s[0:1]
	s_waitcnt lgkmcnt(0)
	s_barrier
	s_and_saveexec_b64 s[0:1], s[42:43]
	s_cbranch_execz .LBB110_83
; %bb.82:
	v_mov_b32_e32 v15, 0
	ds_read_b32 v15, v15 offset:14816
	ds_read_b32 v16, v13
	s_waitcnt lgkmcnt(0)
	v_fma_f32 v14, -v15, v16, v14
.LBB110_83:
	s_or_b64 exec, exec, s[0:1]
	s_barrier
	s_and_saveexec_b64 s[0:1], s[42:43]
; %bb.84:
	v_xor_b32_e32 v15, 0x80000000, v14
	ds_write_b32 v13, v15
; %bb.85:
	s_or_b64 exec, exec, s[0:1]
	s_waitcnt lgkmcnt(0)
	s_barrier
	s_barrier
	s_and_saveexec_b64 s[0:1], s[18:19]
; %bb.86:
	v_lshlrev_b32_e32 v15, 2, v11
	v_lshl_or_b32 v15, v12, 8, v15
	ds_write_b32 v15, v14 offset:15584
; %bb.87:
	s_or_b64 exec, exec, s[0:1]
	v_cmp_gt_u32_e64 s[8:9], 4, v0
	s_and_b64 s[54:55], s[12:13], s[8:9]
	s_waitcnt lgkmcnt(0)
	s_barrier
	s_barrier
	s_and_saveexec_b64 s[0:1], s[54:55]
	s_cbranch_execz .LBB110_89
; %bb.88:
	v_lshlrev_b32_e32 v14, 8, v0
	ds_read_b32 v15, v14 offset:15584
	s_movk_i32 s8, 0xff04
	v_mad_i32_i24 v16, v0, s8, v14
	s_waitcnt lgkmcnt(0)
	ds_write_b32 v16, v15 offset:14576
	ds_read_b32 v15, v14 offset:15588
	s_waitcnt lgkmcnt(0)
	ds_write_b32 v16, v15 offset:14832
	ds_read_b32 v15, v14 offset:15592
	;; [unrolled: 3-line block ×3, first 2 shown]
	s_waitcnt lgkmcnt(0)
	ds_write_b32 v16, v14 offset:15344
.LBB110_89:
	s_or_b64 exec, exec, s[0:1]
	s_waitcnt lgkmcnt(0)
	s_barrier
	s_and_saveexec_b64 s[0:1], vcc
	s_cbranch_execz .LBB110_91
; %bb.90:
	v_mov_b32_e32 v16, 0
	ds_read_b32 v15, v16 offset:15336
	v_mov_b32_e32 v14, 1.0
	ds_write_b32 v16, v14 offset:15340
	s_waitcnt lgkmcnt(1)
	ds_write_b64 v16, v[14:15] offset:15080
.LBB110_91:
	s_or_b64 exec, exec, s[0:1]
	v_mov_b32_e32 v14, 0
	s_waitcnt lgkmcnt(0)
	s_barrier
	buffer_wbinvl1_vol
	s_and_saveexec_b64 s[0:1], s[2:3]
	s_cbranch_execz .LBB110_95
; %bb.92:
	v_lshlrev_b32_e32 v14, 8, v3
	v_lshlrev_b32_e32 v15, 2, v2
	ds_read_b32 v16, v15 offset:15072
	ds_read_b32 v14, v14 offset:15080
	v_mov_b32_e32 v15, 0
	v_cmp_gt_u32_e64 s[8:9], 2, v5
	s_waitcnt lgkmcnt(0)
	v_fma_f32 v14, v16, v14, 0
	s_and_saveexec_b64 s[10:11], s[8:9]
	s_cbranch_execz .LBB110_94
; %bb.93:
	v_lshlrev_b32_e32 v16, 2, v0
	ds_read_b32 v16, v16 offset:15328
	ds_read_b32 v15, v15 offset:15340
	s_waitcnt lgkmcnt(0)
	v_fmac_f32_e32 v14, v16, v15
.LBB110_94:
	s_or_b64 exec, exec, s[10:11]
.LBB110_95:
	s_or_b64 exec, exec, s[0:1]
	s_and_saveexec_b64 s[0:1], s[38:39]
; %bb.96:
	v_xor_b32_e32 v15, 0x80000000, v14
	ds_write_b32 v4, v15
; %bb.97:
	s_or_b64 exec, exec, s[0:1]
	s_waitcnt lgkmcnt(0)
	s_barrier
	s_and_saveexec_b64 s[0:1], s[36:37]
	s_cbranch_execz .LBB110_99
; %bb.98:
	v_mov_b32_e32 v15, 0
	ds_read_b32 v15, v15 offset:14816
	ds_read_b32 v16, v4
	s_waitcnt lgkmcnt(0)
	v_fma_f32 v14, -v15, v16, v14
.LBB110_99:
	s_or_b64 exec, exec, s[0:1]
	s_barrier
	s_and_saveexec_b64 s[0:1], s[36:37]
; %bb.100:
	v_xor_b32_e32 v15, 0x80000000, v14
	ds_write_b32 v4, v15
; %bb.101:
	s_or_b64 exec, exec, s[0:1]
	s_waitcnt lgkmcnt(0)
	s_barrier
	s_barrier
	s_and_saveexec_b64 s[0:1], s[2:3]
; %bb.102:
	v_lshlrev_b32_e32 v15, 2, v2
	v_lshl_or_b32 v15, v3, 8, v15
	ds_write_b32 v15, v14 offset:15072
; %bb.103:
	s_or_b64 exec, exec, s[0:1]
	s_waitcnt lgkmcnt(0)
	s_barrier
	s_barrier
	s_and_saveexec_b64 s[0:1], s[40:41]
	s_cbranch_execz .LBB110_105
; %bb.104:
	v_lshlrev_b32_e32 v14, 2, v0
	s_movk_i32 s8, 0xfc
	v_mad_u32_u24 v15, v0, s8, v14
	ds_read_b32 v16, v15 offset:15072
	s_waitcnt lgkmcnt(0)
	ds_write_b32 v14, v16 offset:14568
	ds_read_b32 v15, v15 offset:15076
	s_waitcnt lgkmcnt(0)
	ds_write_b32 v14, v15 offset:14824
.LBB110_105:
	s_or_b64 exec, exec, s[0:1]
	s_waitcnt lgkmcnt(0)
	s_barrier
	s_and_saveexec_b64 s[0:1], vcc
	s_cbranch_execz .LBB110_107
; %bb.106:
	v_mov_b32_e32 v16, 0
	ds_read_b32 v15, v16 offset:14816
	v_mov_b32_e32 v14, 1.0
	ds_write_b32 v16, v14 offset:14820
	s_waitcnt lgkmcnt(1)
	ds_write_b64 v16, v[14:15] offset:14560
.LBB110_107:
	s_or_b64 exec, exec, s[0:1]
	v_lshrrev_b32_e32 v16, 3, v5
	v_and_b32_e32 v14, 7, v0
	v_sub_u32_e32 v15, 7, v16
	v_cmp_lt_u32_e64 s[10:11], 63, v5
	v_cmp_gt_u32_e64 s[8:9], 64, v5
	v_mov_b32_e32 v17, 0
	s_waitcnt lgkmcnt(0)
	s_barrier
	buffer_wbinvl1_vol
	s_and_saveexec_b64 s[0:1], s[8:9]
	s_cbranch_execz .LBB110_117
; %bb.108:
	v_lshlrev_b32_e32 v19, 2, v14
	v_lshlrev_b32_e32 v18, 8, v15
	ds_read_b32 v17, v19 offset:14528
	ds_read_b32 v20, v18 offset:14560
	v_cmp_gt_u32_e64 s[14:15], 56, v5
	s_waitcnt lgkmcnt(0)
	v_fma_f32 v17, v17, v20, 0
	s_and_saveexec_b64 s[16:17], s[14:15]
	s_cbranch_execnz .LBB110_1174
; %bb.109:
	s_or_b64 exec, exec, s[16:17]
	v_cmp_gt_u32_e64 s[14:15], 48, v5
	s_and_saveexec_b64 s[16:17], s[14:15]
	s_cbranch_execnz .LBB110_1175
.LBB110_110:
	s_or_b64 exec, exec, s[16:17]
	v_cmp_gt_u32_e64 s[14:15], 40, v5
	s_and_saveexec_b64 s[16:17], s[14:15]
	s_cbranch_execnz .LBB110_1176
.LBB110_111:
	s_or_b64 exec, exec, s[16:17]
	v_cmp_gt_u32_e64 s[14:15], 32, v5
	s_and_saveexec_b64 s[16:17], s[14:15]
	s_cbranch_execnz .LBB110_1177
.LBB110_112:
	s_or_b64 exec, exec, s[16:17]
	v_cmp_gt_u32_e64 s[14:15], 24, v5
	s_and_saveexec_b64 s[16:17], s[14:15]
	s_cbranch_execnz .LBB110_1178
.LBB110_113:
	s_or_b64 exec, exec, s[16:17]
	s_and_saveexec_b64 s[14:15], s[18:19]
	s_cbranch_execnz .LBB110_1179
.LBB110_114:
	s_or_b64 exec, exec, s[14:15]
	v_cmp_gt_u32_e64 s[14:15], 8, v5
	s_and_saveexec_b64 s[16:17], s[14:15]
	s_cbranch_execz .LBB110_116
.LBB110_115:
	v_lshlrev_b32_e32 v18, 2, v0
	v_mov_b32_e32 v19, 0
	ds_read_b32 v18, v18 offset:16320
	ds_read_b32 v19, v19 offset:16380
	s_waitcnt lgkmcnt(0)
	v_fmac_f32_e32 v17, v18, v19
.LBB110_116:
	s_or_b64 exec, exec, s[16:17]
.LBB110_117:
	s_or_b64 exec, exec, s[0:1]
	v_mov_b32_e32 v18, 0x4000
	v_cmp_eq_u32_e64 s[14:15], 7, v14
	s_xor_b64 s[0:1], s[10:11], -1
	v_lshl_add_u32 v16, v16, 2, v18
	s_and_b64 s[56:57], s[14:15], s[0:1]
	s_and_saveexec_b64 s[10:11], s[56:57]
; %bb.118:
	v_xor_b32_e32 v18, 0x80000000, v17
	ds_write_b32 v16, v18
; %bb.119:
	s_or_b64 exec, exec, s[10:11]
	v_cmp_ne_u32_e64 s[10:11], 7, v14
	s_and_b64 s[58:59], s[10:11], s[0:1]
	s_waitcnt lgkmcnt(0)
	s_barrier
	s_and_saveexec_b64 s[10:11], s[58:59]
	s_cbranch_execz .LBB110_121
; %bb.120:
	v_lshlrev_b32_e32 v18, 2, v14
	ds_read_b32 v18, v18 offset:14272
	ds_read_b32 v19, v16
	s_waitcnt lgkmcnt(0)
	v_fma_f32 v17, -v18, v19, v17
.LBB110_121:
	s_or_b64 exec, exec, s[10:11]
	v_cmp_eq_u32_e64 s[10:11], 6, v14
	s_and_b64 s[60:61], s[10:11], s[0:1]
	s_barrier
	s_and_saveexec_b64 s[10:11], s[60:61]
; %bb.122:
	v_xor_b32_e32 v18, 0x80000000, v17
	ds_write_b32 v16, v18
; %bb.123:
	s_or_b64 exec, exec, s[10:11]
	v_cmp_gt_u32_e64 s[10:11], 6, v14
	s_and_b64 s[62:63], s[10:11], s[0:1]
	s_waitcnt lgkmcnt(0)
	s_barrier
	s_and_saveexec_b64 s[10:11], s[62:63]
	s_cbranch_execz .LBB110_125
; %bb.124:
	v_lshlrev_b32_e32 v18, 2, v14
	ds_read_b32 v18, v18 offset:14016
	ds_read_b32 v19, v16
	s_waitcnt lgkmcnt(0)
	v_fma_f32 v17, -v18, v19, v17
.LBB110_125:
	s_or_b64 exec, exec, s[10:11]
	v_cmp_eq_u32_e64 s[10:11], 5, v14
	s_and_b64 s[64:65], s[10:11], s[0:1]
	s_barrier
	s_and_saveexec_b64 s[10:11], s[64:65]
; %bb.126:
	v_xor_b32_e32 v18, 0x80000000, v17
	ds_write_b32 v16, v18
; %bb.127:
	s_or_b64 exec, exec, s[10:11]
	v_cmp_gt_u32_e64 s[10:11], 5, v14
	;; [unrolled: 23-line block ×5, first 2 shown]
	s_and_b64 s[80:81], s[10:11], s[0:1]
	s_waitcnt lgkmcnt(0)
	s_barrier
	s_and_saveexec_b64 s[10:11], s[80:81]
	s_cbranch_execz .LBB110_141
; %bb.140:
	v_lshlrev_b32_e32 v18, 2, v14
	ds_read_b32 v18, v18 offset:12992
	ds_read_b32 v19, v16
	s_waitcnt lgkmcnt(0)
	v_fma_f32 v17, -v18, v19, v17
.LBB110_141:
	s_or_b64 exec, exec, s[10:11]
	v_cmp_eq_u32_e64 s[10:11], 1, v14
	s_and_b64 s[82:83], s[10:11], s[0:1]
	s_barrier
	s_and_saveexec_b64 s[10:11], s[82:83]
; %bb.142:
	v_xor_b32_e32 v18, 0x80000000, v17
	ds_write_b32 v16, v18
; %bb.143:
	s_or_b64 exec, exec, s[10:11]
	v_cmp_eq_u32_e64 s[10:11], 0, v14
	s_and_b64 s[66:67], s[10:11], s[0:1]
	s_waitcnt lgkmcnt(0)
	s_barrier
	s_and_saveexec_b64 s[0:1], s[66:67]
	s_cbranch_execz .LBB110_145
; %bb.144:
	v_mov_b32_e32 v18, 0
	ds_read_b32 v18, v18 offset:12736
	ds_read_b32 v19, v16
	s_waitcnt lgkmcnt(0)
	v_fma_f32 v17, -v18, v19, v17
.LBB110_145:
	s_or_b64 exec, exec, s[0:1]
	s_barrier
	s_and_saveexec_b64 s[0:1], s[66:67]
; %bb.146:
	v_xor_b32_e32 v18, 0x80000000, v17
	ds_write_b32 v16, v18
; %bb.147:
	s_or_b64 exec, exec, s[0:1]
	s_waitcnt lgkmcnt(0)
	s_barrier
	s_barrier
	s_and_saveexec_b64 s[0:1], s[8:9]
; %bb.148:
	v_lshlrev_b32_e32 v18, 2, v14
	v_lshl_or_b32 v18, v15, 8, v18
	ds_write_b32 v18, v17 offset:14528
; %bb.149:
	s_or_b64 exec, exec, s[0:1]
	v_cmp_gt_u32_e64 s[10:11], 8, v0
	s_and_b64 s[84:85], s[12:13], s[10:11]
	s_waitcnt lgkmcnt(0)
	s_barrier
	s_barrier
	s_and_saveexec_b64 s[0:1], s[84:85]
	s_cbranch_execz .LBB110_151
; %bb.150:
	v_lshlrev_b32_e32 v17, 8, v0
	ds_read_b32 v18, v17 offset:14528
	s_movk_i32 s10, 0xff04
	v_mad_i32_i24 v19, v0, s10, v17
	s_waitcnt lgkmcnt(0)
	ds_write_b32 v19, v18 offset:12512
	ds_read_b32 v18, v17 offset:14532
	s_waitcnt lgkmcnt(0)
	ds_write_b32 v19, v18 offset:12768
	ds_read_b32 v18, v17 offset:14536
	;; [unrolled: 3-line block ×7, first 2 shown]
	s_waitcnt lgkmcnt(0)
	ds_write_b32 v19, v17 offset:14304
.LBB110_151:
	s_or_b64 exec, exec, s[0:1]
	s_waitcnt lgkmcnt(0)
	s_barrier
	s_and_saveexec_b64 s[0:1], vcc
	s_cbranch_execz .LBB110_153
; %bb.152:
	v_mov_b32_e32 v19, 0
	ds_read_b32 v18, v19 offset:14296
	v_mov_b32_e32 v17, 1.0
	ds_write_b32 v19, v17 offset:14300
	s_waitcnt lgkmcnt(1)
	ds_write_b64 v19, v[17:18] offset:14040
.LBB110_153:
	s_or_b64 exec, exec, s[0:1]
	v_mov_b32_e32 v17, 0
	s_waitcnt lgkmcnt(0)
	s_barrier
	buffer_wbinvl1_vol
	s_and_saveexec_b64 s[0:1], s[2:3]
	s_cbranch_execz .LBB110_157
; %bb.154:
	v_lshlrev_b32_e32 v17, 8, v3
	v_lshlrev_b32_e32 v18, 2, v2
	ds_read_b32 v19, v18 offset:14032
	ds_read_b32 v17, v17 offset:14040
	v_mov_b32_e32 v18, 0
	v_cmp_gt_u32_e64 s[10:11], 2, v5
	s_waitcnt lgkmcnt(0)
	v_fma_f32 v17, v19, v17, 0
	s_and_saveexec_b64 s[14:15], s[10:11]
	s_cbranch_execz .LBB110_156
; %bb.155:
	v_lshlrev_b32_e32 v19, 2, v0
	ds_read_b32 v19, v19 offset:14288
	ds_read_b32 v18, v18 offset:14300
	s_waitcnt lgkmcnt(0)
	v_fmac_f32_e32 v17, v19, v18
.LBB110_156:
	s_or_b64 exec, exec, s[14:15]
.LBB110_157:
	s_or_b64 exec, exec, s[0:1]
	s_and_saveexec_b64 s[0:1], s[38:39]
; %bb.158:
	v_xor_b32_e32 v18, 0x80000000, v17
	ds_write_b32 v4, v18
; %bb.159:
	s_or_b64 exec, exec, s[0:1]
	s_waitcnt lgkmcnt(0)
	s_barrier
	s_and_saveexec_b64 s[0:1], s[36:37]
	s_cbranch_execz .LBB110_161
; %bb.160:
	v_mov_b32_e32 v18, 0
	ds_read_b32 v18, v18 offset:13776
	ds_read_b32 v19, v4
	s_waitcnt lgkmcnt(0)
	v_fma_f32 v17, -v18, v19, v17
.LBB110_161:
	s_or_b64 exec, exec, s[0:1]
	s_barrier
	s_and_saveexec_b64 s[0:1], s[36:37]
; %bb.162:
	v_xor_b32_e32 v18, 0x80000000, v17
	ds_write_b32 v4, v18
; %bb.163:
	s_or_b64 exec, exec, s[0:1]
	s_waitcnt lgkmcnt(0)
	s_barrier
	s_barrier
	s_and_saveexec_b64 s[0:1], s[2:3]
; %bb.164:
	v_lshlrev_b32_e32 v18, 2, v2
	v_lshl_or_b32 v18, v3, 8, v18
	ds_write_b32 v18, v17 offset:14032
; %bb.165:
	s_or_b64 exec, exec, s[0:1]
	s_waitcnt lgkmcnt(0)
	s_barrier
	s_barrier
	s_and_saveexec_b64 s[0:1], s[40:41]
	s_cbranch_execz .LBB110_167
; %bb.166:
	v_lshlrev_b32_e32 v17, 2, v0
	s_movk_i32 s10, 0xfc
	v_mad_u32_u24 v18, v0, s10, v17
	ds_read_b32 v19, v18 offset:14032
	s_waitcnt lgkmcnt(0)
	ds_write_b32 v17, v19 offset:13528
	ds_read_b32 v18, v18 offset:14036
	s_waitcnt lgkmcnt(0)
	ds_write_b32 v17, v18 offset:13784
.LBB110_167:
	s_or_b64 exec, exec, s[0:1]
	s_waitcnt lgkmcnt(0)
	s_barrier
	s_and_saveexec_b64 s[0:1], vcc
	s_cbranch_execz .LBB110_169
; %bb.168:
	v_mov_b32_e32 v19, 0
	ds_read_b32 v18, v19 offset:13776
	v_mov_b32_e32 v17, 1.0
	ds_write_b32 v19, v17 offset:13780
	s_waitcnt lgkmcnt(1)
	ds_write_b64 v19, v[17:18] offset:13520
.LBB110_169:
	s_or_b64 exec, exec, s[0:1]
	v_mov_b32_e32 v17, 0
	s_waitcnt lgkmcnt(0)
	s_barrier
	buffer_wbinvl1_vol
	s_and_saveexec_b64 s[0:1], s[18:19]
	s_cbranch_execz .LBB110_175
; %bb.170:
	v_lshlrev_b32_e32 v19, 2, v11
	v_lshlrev_b32_e32 v18, 8, v12
	ds_read_b32 v17, v19 offset:13504
	ds_read_b32 v20, v18 offset:13520
	v_cmp_gt_u32_e64 s[10:11], 12, v5
	s_waitcnt lgkmcnt(0)
	v_fma_f32 v17, v17, v20, 0
	s_and_saveexec_b64 s[14:15], s[10:11]
	s_cbranch_execnz .LBB110_1180
; %bb.171:
	s_or_b64 exec, exec, s[14:15]
	v_cmp_gt_u32_e64 s[10:11], 8, v5
	s_and_saveexec_b64 s[14:15], s[10:11]
	s_cbranch_execnz .LBB110_1181
.LBB110_172:
	s_or_b64 exec, exec, s[14:15]
	v_cmp_gt_u32_e64 s[10:11], 4, v5
	s_and_saveexec_b64 s[14:15], s[10:11]
	s_cbranch_execz .LBB110_174
.LBB110_173:
	v_lshlrev_b32_e32 v18, 2, v0
	v_mov_b32_e32 v19, 0
	ds_read_b32 v18, v18 offset:14272
	ds_read_b32 v19, v19 offset:14300
	s_waitcnt lgkmcnt(0)
	v_fmac_f32_e32 v17, v18, v19
.LBB110_174:
	s_or_b64 exec, exec, s[14:15]
.LBB110_175:
	s_or_b64 exec, exec, s[0:1]
	s_and_saveexec_b64 s[0:1], s[44:45]
; %bb.176:
	v_xor_b32_e32 v18, 0x80000000, v17
	ds_write_b32 v13, v18
; %bb.177:
	s_or_b64 exec, exec, s[0:1]
	s_waitcnt lgkmcnt(0)
	s_barrier
	s_and_saveexec_b64 s[0:1], s[46:47]
	s_cbranch_execz .LBB110_179
; %bb.178:
	v_lshlrev_b32_e32 v18, 2, v11
	ds_read_b32 v18, v18 offset:13248
	ds_read_b32 v19, v13
	s_waitcnt lgkmcnt(0)
	v_fma_f32 v17, -v18, v19, v17
.LBB110_179:
	s_or_b64 exec, exec, s[0:1]
	s_barrier
	s_and_saveexec_b64 s[0:1], s[48:49]
; %bb.180:
	v_xor_b32_e32 v18, 0x80000000, v17
	ds_write_b32 v13, v18
; %bb.181:
	s_or_b64 exec, exec, s[0:1]
	s_waitcnt lgkmcnt(0)
	s_barrier
	s_and_saveexec_b64 s[0:1], s[50:51]
	s_cbranch_execz .LBB110_183
; %bb.182:
	v_lshlrev_b32_e32 v18, 2, v11
	ds_read_b32 v18, v18 offset:12992
	ds_read_b32 v19, v13
	s_waitcnt lgkmcnt(0)
	v_fma_f32 v17, -v18, v19, v17
.LBB110_183:
	s_or_b64 exec, exec, s[0:1]
	s_barrier
	s_and_saveexec_b64 s[0:1], s[52:53]
; %bb.184:
	v_xor_b32_e32 v18, 0x80000000, v17
	ds_write_b32 v13, v18
; %bb.185:
	s_or_b64 exec, exec, s[0:1]
	s_waitcnt lgkmcnt(0)
	s_barrier
	s_and_saveexec_b64 s[0:1], s[42:43]
	s_cbranch_execz .LBB110_187
; %bb.186:
	v_mov_b32_e32 v18, 0
	ds_read_b32 v18, v18 offset:12736
	ds_read_b32 v19, v13
	s_waitcnt lgkmcnt(0)
	v_fma_f32 v17, -v18, v19, v17
.LBB110_187:
	s_or_b64 exec, exec, s[0:1]
	s_barrier
	s_and_saveexec_b64 s[0:1], s[42:43]
; %bb.188:
	v_xor_b32_e32 v18, 0x80000000, v17
	ds_write_b32 v13, v18
; %bb.189:
	s_or_b64 exec, exec, s[0:1]
	s_waitcnt lgkmcnt(0)
	s_barrier
	s_barrier
	s_and_saveexec_b64 s[0:1], s[18:19]
; %bb.190:
	v_lshlrev_b32_e32 v18, 2, v11
	v_lshl_or_b32 v18, v12, 8, v18
	ds_write_b32 v18, v17 offset:13504
; %bb.191:
	s_or_b64 exec, exec, s[0:1]
	s_waitcnt lgkmcnt(0)
	s_barrier
	s_barrier
	s_and_saveexec_b64 s[0:1], s[54:55]
	s_cbranch_execz .LBB110_193
; %bb.192:
	v_lshlrev_b32_e32 v17, 8, v0
	ds_read_b32 v18, v17 offset:13504
	s_movk_i32 s10, 0xff04
	v_mad_i32_i24 v19, v0, s10, v17
	s_waitcnt lgkmcnt(0)
	ds_write_b32 v19, v18 offset:12496
	ds_read_b32 v18, v17 offset:13508
	s_waitcnt lgkmcnt(0)
	ds_write_b32 v19, v18 offset:12752
	ds_read_b32 v18, v17 offset:13512
	;; [unrolled: 3-line block ×3, first 2 shown]
	s_waitcnt lgkmcnt(0)
	ds_write_b32 v19, v17 offset:13264
.LBB110_193:
	s_or_b64 exec, exec, s[0:1]
	s_waitcnt lgkmcnt(0)
	s_barrier
	s_and_saveexec_b64 s[0:1], vcc
	s_cbranch_execz .LBB110_195
; %bb.194:
	v_mov_b32_e32 v19, 0
	ds_read_b32 v18, v19 offset:13256
	v_mov_b32_e32 v17, 1.0
	ds_write_b32 v19, v17 offset:13260
	s_waitcnt lgkmcnt(1)
	ds_write_b64 v19, v[17:18] offset:13000
.LBB110_195:
	s_or_b64 exec, exec, s[0:1]
	v_mov_b32_e32 v17, 0
	s_waitcnt lgkmcnt(0)
	s_barrier
	buffer_wbinvl1_vol
	s_and_saveexec_b64 s[0:1], s[2:3]
	s_cbranch_execz .LBB110_199
; %bb.196:
	v_lshlrev_b32_e32 v17, 8, v3
	v_lshlrev_b32_e32 v18, 2, v2
	ds_read_b32 v19, v18 offset:12992
	ds_read_b32 v17, v17 offset:13000
	v_mov_b32_e32 v18, 0
	v_cmp_gt_u32_e64 s[10:11], 2, v5
	s_waitcnt lgkmcnt(0)
	v_fma_f32 v17, v19, v17, 0
	s_and_saveexec_b64 s[14:15], s[10:11]
	s_cbranch_execz .LBB110_198
; %bb.197:
	v_lshlrev_b32_e32 v19, 2, v0
	ds_read_b32 v19, v19 offset:13248
	ds_read_b32 v18, v18 offset:13260
	s_waitcnt lgkmcnt(0)
	v_fmac_f32_e32 v17, v19, v18
.LBB110_198:
	s_or_b64 exec, exec, s[14:15]
.LBB110_199:
	s_or_b64 exec, exec, s[0:1]
	s_and_saveexec_b64 s[0:1], s[38:39]
; %bb.200:
	v_xor_b32_e32 v18, 0x80000000, v17
	ds_write_b32 v4, v18
; %bb.201:
	s_or_b64 exec, exec, s[0:1]
	s_waitcnt lgkmcnt(0)
	s_barrier
	s_and_saveexec_b64 s[0:1], s[36:37]
	s_cbranch_execz .LBB110_203
; %bb.202:
	v_mov_b32_e32 v18, 0
	ds_read_b32 v18, v18 offset:12736
	ds_read_b32 v19, v4
	s_waitcnt lgkmcnt(0)
	v_fma_f32 v17, -v18, v19, v17
.LBB110_203:
	s_or_b64 exec, exec, s[0:1]
	s_barrier
	s_and_saveexec_b64 s[0:1], s[36:37]
; %bb.204:
	v_xor_b32_e32 v18, 0x80000000, v17
	ds_write_b32 v4, v18
; %bb.205:
	s_or_b64 exec, exec, s[0:1]
	s_waitcnt lgkmcnt(0)
	s_barrier
	s_barrier
	s_and_saveexec_b64 s[0:1], s[2:3]
; %bb.206:
	v_lshlrev_b32_e32 v18, 2, v2
	v_lshl_or_b32 v18, v3, 8, v18
	ds_write_b32 v18, v17 offset:12992
; %bb.207:
	s_or_b64 exec, exec, s[0:1]
	s_waitcnt lgkmcnt(0)
	s_barrier
	s_barrier
	s_and_saveexec_b64 s[0:1], s[40:41]
	s_cbranch_execz .LBB110_209
; %bb.208:
	v_lshlrev_b32_e32 v17, 2, v0
	s_movk_i32 s10, 0xfc
	v_mad_u32_u24 v18, v0, s10, v17
	ds_read_b32 v19, v18 offset:12992
	s_waitcnt lgkmcnt(0)
	ds_write_b32 v17, v19 offset:12488
	ds_read_b32 v18, v18 offset:12996
	s_waitcnt lgkmcnt(0)
	ds_write_b32 v17, v18 offset:12744
.LBB110_209:
	s_or_b64 exec, exec, s[0:1]
	s_waitcnt lgkmcnt(0)
	s_barrier
	s_and_saveexec_b64 s[0:1], vcc
	s_cbranch_execz .LBB110_211
; %bb.210:
	v_mov_b32_e32 v19, 0
	ds_read_b32 v18, v19 offset:12736
	v_mov_b32_e32 v17, 1.0
	ds_write_b32 v19, v17 offset:12740
	s_waitcnt lgkmcnt(1)
	ds_write_b64 v19, v[17:18] offset:12480
.LBB110_211:
	s_or_b64 exec, exec, s[0:1]
	s_movk_i32 s0, 0xff
	v_lshrrev_b32_e32 v19, 4, v5
	v_cmp_lt_u32_e64 s[14:15], s0, v5
	s_movk_i32 s0, 0x100
	v_and_b32_e32 v17, 15, v0
	v_sub_u32_e32 v18, 15, v19
	v_cmp_gt_u32_e64 s[10:11], s0, v5
	v_mov_b32_e32 v20, 0
	s_waitcnt lgkmcnt(0)
	s_barrier
	buffer_wbinvl1_vol
	s_and_saveexec_b64 s[0:1], s[10:11]
	s_cbranch_execz .LBB110_239
; %bb.212:
	v_lshlrev_b32_e32 v22, 2, v17
	v_lshlrev_b32_e32 v21, 8, v18
	ds_read_b32 v20, v22 offset:12416
	ds_read_b32 v23, v21 offset:12480
	s_movk_i32 s16, 0xf0
	v_cmp_gt_u32_e64 s[16:17], s16, v5
	s_waitcnt lgkmcnt(0)
	v_fma_f32 v20, v20, v23, 0
	s_and_saveexec_b64 s[20:21], s[16:17]
	s_cbranch_execz .LBB110_214
; %bb.213:
	ds_read_b32 v23, v22 offset:12672
	ds_read_b32 v24, v21 offset:12484
	s_waitcnt lgkmcnt(0)
	v_fmac_f32_e32 v20, v23, v24
.LBB110_214:
	s_or_b64 exec, exec, s[20:21]
	s_movk_i32 s16, 0xe0
	v_cmp_gt_u32_e64 s[16:17], s16, v5
	s_and_saveexec_b64 s[20:21], s[16:17]
	s_cbranch_execz .LBB110_216
; %bb.215:
	ds_read_b32 v23, v22 offset:12928
	ds_read_b32 v24, v21 offset:12488
	s_waitcnt lgkmcnt(0)
	v_fmac_f32_e32 v20, v23, v24
.LBB110_216:
	s_or_b64 exec, exec, s[20:21]
	s_movk_i32 s16, 0xd0
	v_cmp_gt_u32_e64 s[16:17], s16, v5
	;; [unrolled: 11-line block ×10, first 2 shown]
	s_and_saveexec_b64 s[20:21], s[16:17]
	s_cbranch_execnz .LBB110_1182
; %bb.233:
	s_or_b64 exec, exec, s[20:21]
	s_and_saveexec_b64 s[16:17], s[8:9]
	s_cbranch_execnz .LBB110_1183
.LBB110_234:
	s_or_b64 exec, exec, s[16:17]
	v_cmp_gt_u32_e64 s[16:17], 48, v5
	s_and_saveexec_b64 s[20:21], s[16:17]
	s_cbranch_execnz .LBB110_1184
.LBB110_235:
	s_or_b64 exec, exec, s[20:21]
	v_cmp_gt_u32_e64 s[16:17], 32, v5
	s_and_saveexec_b64 s[20:21], s[16:17]
	s_cbranch_execnz .LBB110_1185
.LBB110_236:
	s_or_b64 exec, exec, s[20:21]
	v_cmp_gt_u32_e64 s[16:17], 16, v5
	s_and_saveexec_b64 s[20:21], s[16:17]
	s_cbranch_execz .LBB110_238
.LBB110_237:
	v_lshlrev_b32_e32 v21, 2, v0
	v_mov_b32_e32 v22, 0
	ds_read_b32 v21, v21 offset:16256
	ds_read_b32 v22, v22 offset:16380
	s_waitcnt lgkmcnt(0)
	v_fmac_f32_e32 v20, v21, v22
.LBB110_238:
	s_or_b64 exec, exec, s[20:21]
.LBB110_239:
	s_or_b64 exec, exec, s[0:1]
	v_mov_b32_e32 v21, 0x4000
	v_lshl_add_u32 v19, v19, 2, v21
	v_cmp_eq_u32_e64 s[16:17], 15, v17
	s_xor_b64 s[20:21], s[14:15], -1
	s_and_b64 s[14:15], s[16:17], s[20:21]
	s_mov_b64 s[0:1], exec
	v_writelane_b32 v28, s14, 2
	v_writelane_b32 v28, s15, 3
	s_and_b64 s[14:15], s[0:1], s[14:15]
	s_mov_b64 exec, s[14:15]
; %bb.240:
	v_xor_b32_e32 v21, 0x80000000, v20
	ds_write_b32 v19, v21
; %bb.241:
	s_or_b64 exec, exec, s[0:1]
	v_cmp_ne_u32_e64 s[14:15], 15, v17
	s_waitcnt lgkmcnt(0)
	s_barrier
	s_and_b64 s[14:15], s[14:15], s[20:21]
	s_mov_b64 s[0:1], exec
	v_writelane_b32 v28, s14, 4
	v_writelane_b32 v28, s15, 5
	s_and_b64 s[14:15], s[0:1], s[14:15]
	s_mov_b64 exec, s[14:15]
	s_cbranch_execz .LBB110_243
; %bb.242:
	v_lshlrev_b32_e32 v21, 2, v17
	ds_read_b32 v21, v21 offset:12160
	ds_read_b32 v22, v19
	s_waitcnt lgkmcnt(0)
	v_fma_f32 v20, -v21, v22, v20
.LBB110_243:
	s_or_b64 exec, exec, s[0:1]
	v_cmp_eq_u32_e64 s[14:15], 14, v17
	s_barrier
	s_and_b64 s[14:15], s[14:15], s[20:21]
	s_mov_b64 s[0:1], exec
	v_writelane_b32 v28, s14, 6
	v_writelane_b32 v28, s15, 7
	s_and_b64 s[14:15], s[0:1], s[14:15]
	s_mov_b64 exec, s[14:15]
; %bb.244:
	v_xor_b32_e32 v21, 0x80000000, v20
	ds_write_b32 v19, v21
; %bb.245:
	s_or_b64 exec, exec, s[0:1]
	v_cmp_gt_u32_e64 s[14:15], 14, v17
	s_waitcnt lgkmcnt(0)
	s_barrier
	s_and_b64 s[14:15], s[14:15], s[20:21]
	s_mov_b64 s[0:1], exec
	v_writelane_b32 v28, s14, 8
	v_writelane_b32 v28, s15, 9
	s_and_b64 s[14:15], s[0:1], s[14:15]
	s_mov_b64 exec, s[14:15]
	s_cbranch_execz .LBB110_247
; %bb.246:
	v_lshlrev_b32_e32 v21, 2, v17
	ds_read_b32 v21, v21 offset:11904
	ds_read_b32 v22, v19
	s_waitcnt lgkmcnt(0)
	v_fma_f32 v20, -v21, v22, v20
.LBB110_247:
	s_or_b64 exec, exec, s[0:1]
	v_cmp_eq_u32_e64 s[14:15], 13, v17
	s_barrier
	s_and_b64 s[14:15], s[14:15], s[20:21]
	s_mov_b64 s[0:1], exec
	v_writelane_b32 v28, s14, 10
	v_writelane_b32 v28, s15, 11
	s_and_b64 s[14:15], s[0:1], s[14:15]
	s_mov_b64 exec, s[14:15]
; %bb.248:
	v_xor_b32_e32 v21, 0x80000000, v20
	ds_write_b32 v19, v21
; %bb.249:
	s_or_b64 exec, exec, s[0:1]
	v_cmp_gt_u32_e64 s[14:15], 13, v17
	;; [unrolled: 31-line block ×12, first 2 shown]
	s_waitcnt lgkmcnt(0)
	s_barrier
	s_and_b64 s[14:15], s[14:15], s[20:21]
	s_mov_b64 s[0:1], exec
	v_writelane_b32 v28, s14, 52
	v_writelane_b32 v28, s15, 53
	s_and_b64 s[14:15], s[0:1], s[14:15]
	s_mov_b64 exec, s[14:15]
	s_cbranch_execz .LBB110_291
; %bb.290:
	v_lshlrev_b32_e32 v21, 2, v17
	ds_read_b32 v21, v21 offset:9088
	ds_read_b32 v22, v19
	s_waitcnt lgkmcnt(0)
	v_fma_f32 v20, -v21, v22, v20
.LBB110_291:
	s_or_b64 exec, exec, s[0:1]
	v_cmp_eq_u32_e64 s[14:15], 2, v17
	s_and_b64 s[0:1], s[14:15], s[20:21]
	s_barrier
	s_and_saveexec_b64 s[14:15], s[0:1]
; %bb.292:
	v_xor_b32_e32 v21, 0x80000000, v20
	ds_write_b32 v19, v21
; %bb.293:
	s_or_b64 exec, exec, s[14:15]
	v_cmp_gt_u32_e64 s[14:15], 2, v17
	s_waitcnt lgkmcnt(0)
	s_barrier
	s_and_b64 s[16:17], s[14:15], s[20:21]
	s_mov_b64 s[14:15], exec
	v_writelane_b32 v28, s16, 54
	v_writelane_b32 v28, s17, 55
	s_and_b64 s[16:17], s[14:15], s[16:17]
	s_mov_b64 exec, s[16:17]
	s_cbranch_execz .LBB110_295
; %bb.294:
	v_lshlrev_b32_e32 v21, 2, v17
	ds_read_b32 v21, v21 offset:8832
	ds_read_b32 v22, v19
	s_waitcnt lgkmcnt(0)
	v_fma_f32 v20, -v21, v22, v20
.LBB110_295:
	s_or_b64 exec, exec, s[14:15]
	v_cmp_eq_u32_e64 s[14:15], 1, v17
	s_and_b64 s[90:91], s[14:15], s[20:21]
	s_barrier
	s_and_saveexec_b64 s[14:15], s[90:91]
; %bb.296:
	v_xor_b32_e32 v21, 0x80000000, v20
	ds_write_b32 v19, v21
; %bb.297:
	s_or_b64 exec, exec, s[14:15]
	v_cmp_eq_u32_e64 s[14:15], 0, v17
	s_and_b64 s[86:87], s[14:15], s[20:21]
	s_waitcnt lgkmcnt(0)
	s_barrier
	s_and_saveexec_b64 s[14:15], s[86:87]
	s_cbranch_execz .LBB110_299
; %bb.298:
	v_mov_b32_e32 v21, 0
	ds_read_b32 v21, v21 offset:8576
	ds_read_b32 v22, v19
	s_waitcnt lgkmcnt(0)
	v_fma_f32 v20, -v21, v22, v20
.LBB110_299:
	s_or_b64 exec, exec, s[14:15]
	s_barrier
	s_and_saveexec_b64 s[14:15], s[86:87]
; %bb.300:
	v_xor_b32_e32 v21, 0x80000000, v20
	ds_write_b32 v19, v21
; %bb.301:
	s_or_b64 exec, exec, s[14:15]
	s_waitcnt lgkmcnt(0)
	s_barrier
	s_barrier
	s_and_saveexec_b64 s[14:15], s[10:11]
; %bb.302:
	v_lshlrev_b32_e32 v21, 2, v17
	v_lshl_or_b32 v21, v18, 8, v21
	ds_write_b32 v21, v20 offset:12416
; %bb.303:
	s_or_b64 exec, exec, s[14:15]
	v_cmp_gt_u32_e64 s[14:15], 16, v0
	s_and_b64 s[92:93], s[12:13], s[14:15]
	s_waitcnt lgkmcnt(0)
	s_barrier
	s_barrier
	s_and_saveexec_b64 s[14:15], s[92:93]
	s_cbranch_execz .LBB110_305
; %bb.304:
	v_lshlrev_b32_e32 v20, 8, v0
	ds_read_b32 v21, v20 offset:12416
	s_movk_i32 s16, 0xff04
	v_mad_i32_i24 v22, v0, s16, v20
	s_waitcnt lgkmcnt(0)
	ds_write_b32 v22, v21 offset:8384
	ds_read_b32 v21, v20 offset:12420
	s_waitcnt lgkmcnt(0)
	ds_write_b32 v22, v21 offset:8640
	ds_read_b32 v21, v20 offset:12424
	;; [unrolled: 3-line block ×15, first 2 shown]
	s_waitcnt lgkmcnt(0)
	ds_write_b32 v22, v20 offset:12224
.LBB110_305:
	s_or_b64 exec, exec, s[14:15]
	s_waitcnt lgkmcnt(0)
	s_barrier
	s_and_saveexec_b64 s[14:15], vcc
	s_cbranch_execz .LBB110_307
; %bb.306:
	v_mov_b32_e32 v22, 0
	ds_read_b32 v21, v22 offset:12216
	v_mov_b32_e32 v20, 1.0
	ds_write_b32 v22, v20 offset:12220
	s_waitcnt lgkmcnt(1)
	ds_write_b64 v22, v[20:21] offset:11960
.LBB110_307:
	s_or_b64 exec, exec, s[14:15]
	v_mov_b32_e32 v20, 0
	s_waitcnt lgkmcnt(0)
	s_barrier
	buffer_wbinvl1_vol
	s_and_saveexec_b64 s[16:17], s[2:3]
	s_cbranch_execz .LBB110_311
; %bb.308:
	v_lshlrev_b32_e32 v20, 8, v3
	v_lshlrev_b32_e32 v21, 2, v2
	ds_read_b32 v22, v21 offset:11952
	ds_read_b32 v20, v20 offset:11960
	v_mov_b32_e32 v21, 0
	v_cmp_gt_u32_e64 s[14:15], 2, v5
	s_waitcnt lgkmcnt(0)
	v_fma_f32 v20, v22, v20, 0
	s_and_saveexec_b64 s[20:21], s[14:15]
	s_cbranch_execz .LBB110_310
; %bb.309:
	v_lshlrev_b32_e32 v22, 2, v0
	ds_read_b32 v22, v22 offset:12208
	ds_read_b32 v21, v21 offset:12220
	s_waitcnt lgkmcnt(0)
	v_fmac_f32_e32 v20, v22, v21
.LBB110_310:
	s_or_b64 exec, exec, s[20:21]
.LBB110_311:
	s_or_b64 exec, exec, s[16:17]
	s_and_saveexec_b64 s[14:15], s[38:39]
; %bb.312:
	v_xor_b32_e32 v21, 0x80000000, v20
	ds_write_b32 v4, v21
; %bb.313:
	s_or_b64 exec, exec, s[14:15]
	s_waitcnt lgkmcnt(0)
	s_barrier
	s_and_saveexec_b64 s[14:15], s[36:37]
	s_cbranch_execz .LBB110_315
; %bb.314:
	v_mov_b32_e32 v21, 0
	ds_read_b32 v21, v21 offset:11696
	ds_read_b32 v22, v4
	s_waitcnt lgkmcnt(0)
	v_fma_f32 v20, -v21, v22, v20
.LBB110_315:
	s_or_b64 exec, exec, s[14:15]
	s_barrier
	s_and_saveexec_b64 s[14:15], s[36:37]
; %bb.316:
	v_xor_b32_e32 v21, 0x80000000, v20
	ds_write_b32 v4, v21
; %bb.317:
	s_or_b64 exec, exec, s[14:15]
	s_waitcnt lgkmcnt(0)
	s_barrier
	s_barrier
	s_and_saveexec_b64 s[14:15], s[2:3]
; %bb.318:
	v_lshlrev_b32_e32 v21, 2, v2
	v_lshl_or_b32 v21, v3, 8, v21
	ds_write_b32 v21, v20 offset:11952
; %bb.319:
	s_or_b64 exec, exec, s[14:15]
	s_waitcnt lgkmcnt(0)
	s_barrier
	s_barrier
	s_and_saveexec_b64 s[14:15], s[40:41]
	s_cbranch_execz .LBB110_321
; %bb.320:
	v_lshlrev_b32_e32 v20, 2, v0
	s_movk_i32 s16, 0xfc
	v_mad_u32_u24 v21, v0, s16, v20
	ds_read_b32 v22, v21 offset:11952
	s_waitcnt lgkmcnt(0)
	ds_write_b32 v20, v22 offset:11448
	ds_read_b32 v21, v21 offset:11956
	s_waitcnt lgkmcnt(0)
	ds_write_b32 v20, v21 offset:11704
.LBB110_321:
	s_or_b64 exec, exec, s[14:15]
	s_waitcnt lgkmcnt(0)
	s_barrier
	s_and_saveexec_b64 s[14:15], vcc
	s_cbranch_execz .LBB110_323
; %bb.322:
	v_mov_b32_e32 v22, 0
	ds_read_b32 v21, v22 offset:11696
	v_mov_b32_e32 v20, 1.0
	ds_write_b32 v22, v20 offset:11700
	s_waitcnt lgkmcnt(1)
	ds_write_b64 v22, v[20:21] offset:11440
.LBB110_323:
	s_or_b64 exec, exec, s[14:15]
	v_mov_b32_e32 v20, 0
	s_waitcnt lgkmcnt(0)
	s_barrier
	buffer_wbinvl1_vol
	s_and_saveexec_b64 s[16:17], s[18:19]
	s_cbranch_execz .LBB110_329
; %bb.324:
	v_lshlrev_b32_e32 v22, 2, v11
	v_lshlrev_b32_e32 v21, 8, v12
	ds_read_b32 v20, v22 offset:11424
	ds_read_b32 v23, v21 offset:11440
	v_cmp_gt_u32_e64 s[14:15], 12, v5
	s_waitcnt lgkmcnt(0)
	v_fma_f32 v20, v20, v23, 0
	s_and_saveexec_b64 s[20:21], s[14:15]
	s_cbranch_execnz .LBB110_1186
; %bb.325:
	s_or_b64 exec, exec, s[20:21]
	v_cmp_gt_u32_e64 s[14:15], 8, v5
	s_and_saveexec_b64 s[20:21], s[14:15]
	s_cbranch_execnz .LBB110_1187
.LBB110_326:
	s_or_b64 exec, exec, s[20:21]
	v_cmp_gt_u32_e64 s[14:15], 4, v5
	s_and_saveexec_b64 s[20:21], s[14:15]
	s_cbranch_execz .LBB110_328
.LBB110_327:
	v_lshlrev_b32_e32 v21, 2, v0
	v_mov_b32_e32 v22, 0
	ds_read_b32 v21, v21 offset:12192
	ds_read_b32 v22, v22 offset:12220
	s_waitcnt lgkmcnt(0)
	v_fmac_f32_e32 v20, v21, v22
.LBB110_328:
	s_or_b64 exec, exec, s[20:21]
.LBB110_329:
	s_or_b64 exec, exec, s[16:17]
	s_and_saveexec_b64 s[14:15], s[44:45]
; %bb.330:
	v_xor_b32_e32 v21, 0x80000000, v20
	ds_write_b32 v13, v21
; %bb.331:
	s_or_b64 exec, exec, s[14:15]
	s_waitcnt lgkmcnt(0)
	s_barrier
	s_and_saveexec_b64 s[14:15], s[46:47]
	s_cbranch_execz .LBB110_333
; %bb.332:
	v_lshlrev_b32_e32 v21, 2, v11
	ds_read_b32 v21, v21 offset:11168
	ds_read_b32 v22, v13
	s_waitcnt lgkmcnt(0)
	v_fma_f32 v20, -v21, v22, v20
.LBB110_333:
	s_or_b64 exec, exec, s[14:15]
	s_barrier
	s_and_saveexec_b64 s[14:15], s[48:49]
; %bb.334:
	v_xor_b32_e32 v21, 0x80000000, v20
	ds_write_b32 v13, v21
; %bb.335:
	s_or_b64 exec, exec, s[14:15]
	s_waitcnt lgkmcnt(0)
	s_barrier
	s_and_saveexec_b64 s[14:15], s[50:51]
	s_cbranch_execz .LBB110_337
; %bb.336:
	v_lshlrev_b32_e32 v21, 2, v11
	ds_read_b32 v21, v21 offset:10912
	ds_read_b32 v22, v13
	s_waitcnt lgkmcnt(0)
	v_fma_f32 v20, -v21, v22, v20
.LBB110_337:
	s_or_b64 exec, exec, s[14:15]
	s_barrier
	s_and_saveexec_b64 s[14:15], s[52:53]
; %bb.338:
	v_xor_b32_e32 v21, 0x80000000, v20
	ds_write_b32 v13, v21
; %bb.339:
	s_or_b64 exec, exec, s[14:15]
	s_waitcnt lgkmcnt(0)
	s_barrier
	s_and_saveexec_b64 s[14:15], s[42:43]
	s_cbranch_execz .LBB110_341
; %bb.340:
	v_mov_b32_e32 v21, 0
	ds_read_b32 v21, v21 offset:10656
	ds_read_b32 v22, v13
	s_waitcnt lgkmcnt(0)
	v_fma_f32 v20, -v21, v22, v20
.LBB110_341:
	s_or_b64 exec, exec, s[14:15]
	s_barrier
	s_and_saveexec_b64 s[14:15], s[42:43]
; %bb.342:
	v_xor_b32_e32 v21, 0x80000000, v20
	ds_write_b32 v13, v21
; %bb.343:
	s_or_b64 exec, exec, s[14:15]
	s_waitcnt lgkmcnt(0)
	s_barrier
	s_barrier
	s_and_saveexec_b64 s[14:15], s[18:19]
; %bb.344:
	v_lshlrev_b32_e32 v21, 2, v11
	v_lshl_or_b32 v21, v12, 8, v21
	ds_write_b32 v21, v20 offset:11424
; %bb.345:
	s_or_b64 exec, exec, s[14:15]
	s_waitcnt lgkmcnt(0)
	s_barrier
	s_barrier
	s_and_saveexec_b64 s[14:15], s[54:55]
	s_cbranch_execz .LBB110_347
; %bb.346:
	v_lshlrev_b32_e32 v20, 8, v0
	ds_read_b32 v21, v20 offset:11424
	s_movk_i32 s16, 0xff04
	v_mad_i32_i24 v22, v0, s16, v20
	s_waitcnt lgkmcnt(0)
	ds_write_b32 v22, v21 offset:10416
	ds_read_b32 v21, v20 offset:11428
	s_waitcnt lgkmcnt(0)
	ds_write_b32 v22, v21 offset:10672
	ds_read_b32 v21, v20 offset:11432
	;; [unrolled: 3-line block ×3, first 2 shown]
	s_waitcnt lgkmcnt(0)
	ds_write_b32 v22, v20 offset:11184
.LBB110_347:
	s_or_b64 exec, exec, s[14:15]
	s_waitcnt lgkmcnt(0)
	s_barrier
	s_and_saveexec_b64 s[14:15], vcc
	s_cbranch_execz .LBB110_349
; %bb.348:
	v_mov_b32_e32 v22, 0
	ds_read_b32 v21, v22 offset:11176
	v_mov_b32_e32 v20, 1.0
	ds_write_b32 v22, v20 offset:11180
	s_waitcnt lgkmcnt(1)
	ds_write_b64 v22, v[20:21] offset:10920
.LBB110_349:
	s_or_b64 exec, exec, s[14:15]
	v_mov_b32_e32 v20, 0
	s_waitcnt lgkmcnt(0)
	s_barrier
	buffer_wbinvl1_vol
	s_and_saveexec_b64 s[16:17], s[2:3]
	s_cbranch_execz .LBB110_353
; %bb.350:
	v_lshlrev_b32_e32 v20, 8, v3
	v_lshlrev_b32_e32 v21, 2, v2
	ds_read_b32 v22, v21 offset:10912
	ds_read_b32 v20, v20 offset:10920
	v_mov_b32_e32 v21, 0
	v_cmp_gt_u32_e64 s[14:15], 2, v5
	s_waitcnt lgkmcnt(0)
	v_fma_f32 v20, v22, v20, 0
	s_and_saveexec_b64 s[20:21], s[14:15]
	s_cbranch_execz .LBB110_352
; %bb.351:
	v_lshlrev_b32_e32 v22, 2, v0
	ds_read_b32 v22, v22 offset:11168
	ds_read_b32 v21, v21 offset:11180
	s_waitcnt lgkmcnt(0)
	v_fmac_f32_e32 v20, v22, v21
.LBB110_352:
	s_or_b64 exec, exec, s[20:21]
.LBB110_353:
	s_or_b64 exec, exec, s[16:17]
	s_and_saveexec_b64 s[14:15], s[38:39]
; %bb.354:
	v_xor_b32_e32 v21, 0x80000000, v20
	ds_write_b32 v4, v21
; %bb.355:
	s_or_b64 exec, exec, s[14:15]
	s_waitcnt lgkmcnt(0)
	s_barrier
	s_and_saveexec_b64 s[14:15], s[36:37]
	s_cbranch_execz .LBB110_357
; %bb.356:
	v_mov_b32_e32 v21, 0
	ds_read_b32 v21, v21 offset:10656
	ds_read_b32 v22, v4
	s_waitcnt lgkmcnt(0)
	v_fma_f32 v20, -v21, v22, v20
.LBB110_357:
	s_or_b64 exec, exec, s[14:15]
	s_barrier
	s_and_saveexec_b64 s[14:15], s[36:37]
; %bb.358:
	v_xor_b32_e32 v21, 0x80000000, v20
	ds_write_b32 v4, v21
; %bb.359:
	s_or_b64 exec, exec, s[14:15]
	s_waitcnt lgkmcnt(0)
	s_barrier
	s_barrier
	s_and_saveexec_b64 s[14:15], s[2:3]
; %bb.360:
	v_lshlrev_b32_e32 v21, 2, v2
	v_lshl_or_b32 v21, v3, 8, v21
	ds_write_b32 v21, v20 offset:10912
; %bb.361:
	s_or_b64 exec, exec, s[14:15]
	s_waitcnt lgkmcnt(0)
	s_barrier
	s_barrier
	s_and_saveexec_b64 s[14:15], s[40:41]
	s_cbranch_execz .LBB110_363
; %bb.362:
	v_lshlrev_b32_e32 v20, 2, v0
	s_movk_i32 s16, 0xfc
	v_mad_u32_u24 v21, v0, s16, v20
	ds_read_b32 v22, v21 offset:10912
	s_waitcnt lgkmcnt(0)
	ds_write_b32 v20, v22 offset:10408
	ds_read_b32 v21, v21 offset:10916
	s_waitcnt lgkmcnt(0)
	ds_write_b32 v20, v21 offset:10664
.LBB110_363:
	s_or_b64 exec, exec, s[14:15]
	s_waitcnt lgkmcnt(0)
	s_barrier
	s_and_saveexec_b64 s[14:15], vcc
	s_cbranch_execz .LBB110_365
; %bb.364:
	v_mov_b32_e32 v22, 0
	ds_read_b32 v21, v22 offset:10656
	v_mov_b32_e32 v20, 1.0
	ds_write_b32 v22, v20 offset:10660
	s_waitcnt lgkmcnt(1)
	ds_write_b64 v22, v[20:21] offset:10400
.LBB110_365:
	s_or_b64 exec, exec, s[14:15]
	v_mov_b32_e32 v20, 0
	s_waitcnt lgkmcnt(0)
	s_barrier
	buffer_wbinvl1_vol
	s_and_saveexec_b64 s[16:17], s[8:9]
	s_cbranch_execz .LBB110_375
; %bb.366:
	v_lshlrev_b32_e32 v22, 2, v14
	v_lshlrev_b32_e32 v21, 8, v15
	ds_read_b32 v20, v22 offset:10368
	ds_read_b32 v23, v21 offset:10400
	v_cmp_gt_u32_e64 s[14:15], 56, v5
	s_waitcnt lgkmcnt(0)
	v_fma_f32 v20, v20, v23, 0
	s_and_saveexec_b64 s[20:21], s[14:15]
	s_cbranch_execnz .LBB110_1188
; %bb.367:
	s_or_b64 exec, exec, s[20:21]
	v_cmp_gt_u32_e64 s[14:15], 48, v5
	s_and_saveexec_b64 s[20:21], s[14:15]
	s_cbranch_execnz .LBB110_1189
.LBB110_368:
	s_or_b64 exec, exec, s[20:21]
	v_cmp_gt_u32_e64 s[14:15], 40, v5
	s_and_saveexec_b64 s[20:21], s[14:15]
	s_cbranch_execnz .LBB110_1190
.LBB110_369:
	s_or_b64 exec, exec, s[20:21]
	v_cmp_gt_u32_e64 s[14:15], 32, v5
	s_and_saveexec_b64 s[20:21], s[14:15]
	s_cbranch_execnz .LBB110_1191
.LBB110_370:
	s_or_b64 exec, exec, s[20:21]
	v_cmp_gt_u32_e64 s[14:15], 24, v5
	s_and_saveexec_b64 s[20:21], s[14:15]
	s_cbranch_execnz .LBB110_1192
.LBB110_371:
	s_or_b64 exec, exec, s[20:21]
	s_and_saveexec_b64 s[14:15], s[18:19]
	s_cbranch_execnz .LBB110_1193
.LBB110_372:
	s_or_b64 exec, exec, s[14:15]
	v_cmp_gt_u32_e64 s[14:15], 8, v5
	s_and_saveexec_b64 s[20:21], s[14:15]
	s_cbranch_execz .LBB110_374
.LBB110_373:
	v_lshlrev_b32_e32 v21, 2, v0
	v_mov_b32_e32 v22, 0
	ds_read_b32 v21, v21 offset:12160
	ds_read_b32 v22, v22 offset:12220
	s_waitcnt lgkmcnt(0)
	v_fmac_f32_e32 v20, v21, v22
.LBB110_374:
	s_or_b64 exec, exec, s[20:21]
.LBB110_375:
	s_or_b64 exec, exec, s[16:17]
	s_and_saveexec_b64 s[14:15], s[56:57]
; %bb.376:
	v_xor_b32_e32 v21, 0x80000000, v20
	ds_write_b32 v16, v21
; %bb.377:
	s_or_b64 exec, exec, s[14:15]
	s_waitcnt lgkmcnt(0)
	s_barrier
	s_and_saveexec_b64 s[14:15], s[58:59]
	s_cbranch_execz .LBB110_379
; %bb.378:
	v_lshlrev_b32_e32 v21, 2, v14
	ds_read_b32 v21, v21 offset:10112
	ds_read_b32 v22, v16
	s_waitcnt lgkmcnt(0)
	v_fma_f32 v20, -v21, v22, v20
.LBB110_379:
	s_or_b64 exec, exec, s[14:15]
	s_barrier
	s_and_saveexec_b64 s[14:15], s[60:61]
; %bb.380:
	v_xor_b32_e32 v21, 0x80000000, v20
	ds_write_b32 v16, v21
; %bb.381:
	s_or_b64 exec, exec, s[14:15]
	s_waitcnt lgkmcnt(0)
	s_barrier
	s_and_saveexec_b64 s[14:15], s[62:63]
	s_cbranch_execz .LBB110_383
; %bb.382:
	v_lshlrev_b32_e32 v21, 2, v14
	ds_read_b32 v21, v21 offset:9856
	ds_read_b32 v22, v16
	s_waitcnt lgkmcnt(0)
	v_fma_f32 v20, -v21, v22, v20
.LBB110_383:
	s_or_b64 exec, exec, s[14:15]
	s_barrier
	;; [unrolled: 19-line block ×6, first 2 shown]
	s_and_saveexec_b64 s[14:15], s[82:83]
; %bb.400:
	v_xor_b32_e32 v21, 0x80000000, v20
	ds_write_b32 v16, v21
; %bb.401:
	s_or_b64 exec, exec, s[14:15]
	s_waitcnt lgkmcnt(0)
	s_barrier
	s_and_saveexec_b64 s[14:15], s[66:67]
	s_cbranch_execz .LBB110_403
; %bb.402:
	v_mov_b32_e32 v21, 0
	ds_read_b32 v21, v21 offset:8576
	ds_read_b32 v22, v16
	s_waitcnt lgkmcnt(0)
	v_fma_f32 v20, -v21, v22, v20
.LBB110_403:
	s_or_b64 exec, exec, s[14:15]
	s_barrier
	s_and_saveexec_b64 s[14:15], s[66:67]
; %bb.404:
	v_xor_b32_e32 v21, 0x80000000, v20
	ds_write_b32 v16, v21
; %bb.405:
	s_or_b64 exec, exec, s[14:15]
	s_waitcnt lgkmcnt(0)
	s_barrier
	s_barrier
	s_and_saveexec_b64 s[14:15], s[8:9]
; %bb.406:
	v_lshlrev_b32_e32 v21, 2, v14
	v_lshl_or_b32 v21, v15, 8, v21
	ds_write_b32 v21, v20 offset:10368
; %bb.407:
	s_or_b64 exec, exec, s[14:15]
	s_waitcnt lgkmcnt(0)
	s_barrier
	s_barrier
	s_and_saveexec_b64 s[14:15], s[84:85]
	s_cbranch_execz .LBB110_409
; %bb.408:
	v_lshlrev_b32_e32 v20, 8, v0
	ds_read_b32 v21, v20 offset:10368
	s_movk_i32 s16, 0xff04
	v_mad_i32_i24 v22, v0, s16, v20
	s_waitcnt lgkmcnt(0)
	ds_write_b32 v22, v21 offset:8352
	ds_read_b32 v21, v20 offset:10372
	s_waitcnt lgkmcnt(0)
	ds_write_b32 v22, v21 offset:8608
	ds_read_b32 v21, v20 offset:10376
	;; [unrolled: 3-line block ×7, first 2 shown]
	s_waitcnt lgkmcnt(0)
	ds_write_b32 v22, v20 offset:10144
.LBB110_409:
	s_or_b64 exec, exec, s[14:15]
	s_waitcnt lgkmcnt(0)
	s_barrier
	s_and_saveexec_b64 s[14:15], vcc
	s_cbranch_execz .LBB110_411
; %bb.410:
	v_mov_b32_e32 v22, 0
	ds_read_b32 v21, v22 offset:10136
	v_mov_b32_e32 v20, 1.0
	ds_write_b32 v22, v20 offset:10140
	s_waitcnt lgkmcnt(1)
	ds_write_b64 v22, v[20:21] offset:9880
.LBB110_411:
	s_or_b64 exec, exec, s[14:15]
	v_mov_b32_e32 v20, 0
	s_waitcnt lgkmcnt(0)
	s_barrier
	buffer_wbinvl1_vol
	s_and_saveexec_b64 s[16:17], s[2:3]
	s_cbranch_execz .LBB110_415
; %bb.412:
	v_lshlrev_b32_e32 v20, 8, v3
	v_lshlrev_b32_e32 v21, 2, v2
	ds_read_b32 v22, v21 offset:9872
	ds_read_b32 v20, v20 offset:9880
	v_mov_b32_e32 v21, 0
	v_cmp_gt_u32_e64 s[14:15], 2, v5
	s_waitcnt lgkmcnt(0)
	v_fma_f32 v20, v22, v20, 0
	s_and_saveexec_b64 s[20:21], s[14:15]
	s_cbranch_execz .LBB110_414
; %bb.413:
	v_lshlrev_b32_e32 v22, 2, v0
	ds_read_b32 v22, v22 offset:10128
	ds_read_b32 v21, v21 offset:10140
	s_waitcnt lgkmcnt(0)
	v_fmac_f32_e32 v20, v22, v21
.LBB110_414:
	s_or_b64 exec, exec, s[20:21]
.LBB110_415:
	s_or_b64 exec, exec, s[16:17]
	s_and_saveexec_b64 s[14:15], s[38:39]
; %bb.416:
	v_xor_b32_e32 v21, 0x80000000, v20
	ds_write_b32 v4, v21
; %bb.417:
	s_or_b64 exec, exec, s[14:15]
	s_waitcnt lgkmcnt(0)
	s_barrier
	s_and_saveexec_b64 s[14:15], s[36:37]
	s_cbranch_execz .LBB110_419
; %bb.418:
	v_mov_b32_e32 v21, 0
	ds_read_b32 v21, v21 offset:9616
	ds_read_b32 v22, v4
	s_waitcnt lgkmcnt(0)
	v_fma_f32 v20, -v21, v22, v20
.LBB110_419:
	s_or_b64 exec, exec, s[14:15]
	s_barrier
	s_and_saveexec_b64 s[14:15], s[36:37]
; %bb.420:
	v_xor_b32_e32 v21, 0x80000000, v20
	ds_write_b32 v4, v21
; %bb.421:
	s_or_b64 exec, exec, s[14:15]
	s_waitcnt lgkmcnt(0)
	s_barrier
	s_barrier
	s_and_saveexec_b64 s[14:15], s[2:3]
; %bb.422:
	v_lshlrev_b32_e32 v21, 2, v2
	v_lshl_or_b32 v21, v3, 8, v21
	ds_write_b32 v21, v20 offset:9872
; %bb.423:
	s_or_b64 exec, exec, s[14:15]
	s_waitcnt lgkmcnt(0)
	s_barrier
	s_barrier
	s_and_saveexec_b64 s[14:15], s[40:41]
	s_cbranch_execz .LBB110_425
; %bb.424:
	v_lshlrev_b32_e32 v20, 2, v0
	s_movk_i32 s16, 0xfc
	v_mad_u32_u24 v21, v0, s16, v20
	ds_read_b32 v22, v21 offset:9872
	s_waitcnt lgkmcnt(0)
	ds_write_b32 v20, v22 offset:9368
	ds_read_b32 v21, v21 offset:9876
	s_waitcnt lgkmcnt(0)
	ds_write_b32 v20, v21 offset:9624
.LBB110_425:
	s_or_b64 exec, exec, s[14:15]
	s_waitcnt lgkmcnt(0)
	s_barrier
	s_and_saveexec_b64 s[14:15], vcc
	s_cbranch_execz .LBB110_427
; %bb.426:
	v_mov_b32_e32 v22, 0
	ds_read_b32 v21, v22 offset:9616
	v_mov_b32_e32 v20, 1.0
	ds_write_b32 v22, v20 offset:9620
	s_waitcnt lgkmcnt(1)
	ds_write_b64 v22, v[20:21] offset:9360
.LBB110_427:
	s_or_b64 exec, exec, s[14:15]
	v_mov_b32_e32 v20, 0
	s_waitcnt lgkmcnt(0)
	s_barrier
	buffer_wbinvl1_vol
	s_and_saveexec_b64 s[16:17], s[18:19]
	s_cbranch_execz .LBB110_433
; %bb.428:
	v_lshlrev_b32_e32 v22, 2, v11
	v_lshlrev_b32_e32 v21, 8, v12
	ds_read_b32 v20, v22 offset:9344
	ds_read_b32 v23, v21 offset:9360
	v_cmp_gt_u32_e64 s[14:15], 12, v5
	s_waitcnt lgkmcnt(0)
	v_fma_f32 v20, v20, v23, 0
	s_and_saveexec_b64 s[20:21], s[14:15]
	s_cbranch_execnz .LBB110_1194
; %bb.429:
	s_or_b64 exec, exec, s[20:21]
	v_cmp_gt_u32_e64 s[14:15], 8, v5
	s_and_saveexec_b64 s[20:21], s[14:15]
	s_cbranch_execnz .LBB110_1195
.LBB110_430:
	s_or_b64 exec, exec, s[20:21]
	v_cmp_gt_u32_e64 s[14:15], 4, v5
	s_and_saveexec_b64 s[20:21], s[14:15]
	s_cbranch_execz .LBB110_432
.LBB110_431:
	v_lshlrev_b32_e32 v21, 2, v0
	v_mov_b32_e32 v22, 0
	ds_read_b32 v21, v21 offset:10112
	ds_read_b32 v22, v22 offset:10140
	s_waitcnt lgkmcnt(0)
	v_fmac_f32_e32 v20, v21, v22
.LBB110_432:
	s_or_b64 exec, exec, s[20:21]
.LBB110_433:
	s_or_b64 exec, exec, s[16:17]
	s_and_saveexec_b64 s[14:15], s[44:45]
; %bb.434:
	v_xor_b32_e32 v21, 0x80000000, v20
	ds_write_b32 v13, v21
; %bb.435:
	s_or_b64 exec, exec, s[14:15]
	s_waitcnt lgkmcnt(0)
	s_barrier
	s_and_saveexec_b64 s[14:15], s[46:47]
	s_cbranch_execz .LBB110_437
; %bb.436:
	v_lshlrev_b32_e32 v21, 2, v11
	ds_read_b32 v21, v21 offset:9088
	ds_read_b32 v22, v13
	s_waitcnt lgkmcnt(0)
	v_fma_f32 v20, -v21, v22, v20
.LBB110_437:
	s_or_b64 exec, exec, s[14:15]
	s_barrier
	s_and_saveexec_b64 s[14:15], s[48:49]
; %bb.438:
	v_xor_b32_e32 v21, 0x80000000, v20
	ds_write_b32 v13, v21
; %bb.439:
	s_or_b64 exec, exec, s[14:15]
	s_waitcnt lgkmcnt(0)
	s_barrier
	s_and_saveexec_b64 s[14:15], s[50:51]
	s_cbranch_execz .LBB110_441
; %bb.440:
	v_lshlrev_b32_e32 v21, 2, v11
	ds_read_b32 v21, v21 offset:8832
	ds_read_b32 v22, v13
	s_waitcnt lgkmcnt(0)
	v_fma_f32 v20, -v21, v22, v20
.LBB110_441:
	s_or_b64 exec, exec, s[14:15]
	s_barrier
	s_and_saveexec_b64 s[14:15], s[52:53]
; %bb.442:
	v_xor_b32_e32 v21, 0x80000000, v20
	ds_write_b32 v13, v21
; %bb.443:
	s_or_b64 exec, exec, s[14:15]
	s_waitcnt lgkmcnt(0)
	s_barrier
	s_and_saveexec_b64 s[14:15], s[42:43]
	s_cbranch_execz .LBB110_445
; %bb.444:
	v_mov_b32_e32 v21, 0
	ds_read_b32 v21, v21 offset:8576
	ds_read_b32 v22, v13
	s_waitcnt lgkmcnt(0)
	v_fma_f32 v20, -v21, v22, v20
.LBB110_445:
	s_or_b64 exec, exec, s[14:15]
	s_barrier
	s_and_saveexec_b64 s[14:15], s[42:43]
; %bb.446:
	v_xor_b32_e32 v21, 0x80000000, v20
	ds_write_b32 v13, v21
; %bb.447:
	s_or_b64 exec, exec, s[14:15]
	s_waitcnt lgkmcnt(0)
	s_barrier
	s_barrier
	s_and_saveexec_b64 s[14:15], s[18:19]
; %bb.448:
	v_lshlrev_b32_e32 v21, 2, v11
	v_lshl_or_b32 v21, v12, 8, v21
	ds_write_b32 v21, v20 offset:9344
; %bb.449:
	s_or_b64 exec, exec, s[14:15]
	s_waitcnt lgkmcnt(0)
	s_barrier
	s_barrier
	s_and_saveexec_b64 s[14:15], s[54:55]
	s_cbranch_execz .LBB110_451
; %bb.450:
	v_lshlrev_b32_e32 v20, 8, v0
	ds_read_b32 v21, v20 offset:9344
	s_movk_i32 s16, 0xff04
	v_mad_i32_i24 v22, v0, s16, v20
	s_waitcnt lgkmcnt(0)
	ds_write_b32 v22, v21 offset:8336
	ds_read_b32 v21, v20 offset:9348
	s_waitcnt lgkmcnt(0)
	ds_write_b32 v22, v21 offset:8592
	ds_read_b32 v21, v20 offset:9352
	;; [unrolled: 3-line block ×3, first 2 shown]
	s_waitcnt lgkmcnt(0)
	ds_write_b32 v22, v20 offset:9104
.LBB110_451:
	s_or_b64 exec, exec, s[14:15]
	s_waitcnt lgkmcnt(0)
	s_barrier
	s_and_saveexec_b64 s[14:15], vcc
	s_cbranch_execz .LBB110_453
; %bb.452:
	v_mov_b32_e32 v22, 0
	ds_read_b32 v21, v22 offset:9096
	v_mov_b32_e32 v20, 1.0
	ds_write_b32 v22, v20 offset:9100
	s_waitcnt lgkmcnt(1)
	ds_write_b64 v22, v[20:21] offset:8840
.LBB110_453:
	s_or_b64 exec, exec, s[14:15]
	v_mov_b32_e32 v20, 0
	s_waitcnt lgkmcnt(0)
	s_barrier
	buffer_wbinvl1_vol
	s_and_saveexec_b64 s[16:17], s[2:3]
	s_cbranch_execz .LBB110_457
; %bb.454:
	v_lshlrev_b32_e32 v20, 8, v3
	v_lshlrev_b32_e32 v21, 2, v2
	ds_read_b32 v22, v21 offset:8832
	ds_read_b32 v20, v20 offset:8840
	v_mov_b32_e32 v21, 0
	v_cmp_gt_u32_e64 s[14:15], 2, v5
	s_waitcnt lgkmcnt(0)
	v_fma_f32 v20, v22, v20, 0
	s_and_saveexec_b64 s[20:21], s[14:15]
	s_cbranch_execz .LBB110_456
; %bb.455:
	v_lshlrev_b32_e32 v22, 2, v0
	ds_read_b32 v22, v22 offset:9088
	ds_read_b32 v21, v21 offset:9100
	s_waitcnt lgkmcnt(0)
	v_fmac_f32_e32 v20, v22, v21
.LBB110_456:
	s_or_b64 exec, exec, s[20:21]
.LBB110_457:
	s_or_b64 exec, exec, s[16:17]
	s_and_saveexec_b64 s[14:15], s[38:39]
; %bb.458:
	v_xor_b32_e32 v21, 0x80000000, v20
	ds_write_b32 v4, v21
; %bb.459:
	s_or_b64 exec, exec, s[14:15]
	s_waitcnt lgkmcnt(0)
	s_barrier
	s_and_saveexec_b64 s[14:15], s[36:37]
	s_cbranch_execz .LBB110_461
; %bb.460:
	v_mov_b32_e32 v21, 0
	ds_read_b32 v21, v21 offset:8576
	ds_read_b32 v22, v4
	s_waitcnt lgkmcnt(0)
	v_fma_f32 v20, -v21, v22, v20
.LBB110_461:
	s_or_b64 exec, exec, s[14:15]
	s_barrier
	s_and_saveexec_b64 s[14:15], s[36:37]
; %bb.462:
	v_xor_b32_e32 v21, 0x80000000, v20
	ds_write_b32 v4, v21
; %bb.463:
	s_or_b64 exec, exec, s[14:15]
	s_waitcnt lgkmcnt(0)
	s_barrier
	s_barrier
	s_and_saveexec_b64 s[14:15], s[2:3]
; %bb.464:
	v_lshlrev_b32_e32 v21, 2, v2
	v_lshl_or_b32 v21, v3, 8, v21
	ds_write_b32 v21, v20 offset:8832
; %bb.465:
	s_or_b64 exec, exec, s[14:15]
	s_waitcnt lgkmcnt(0)
	s_barrier
	s_barrier
	s_and_saveexec_b64 s[14:15], s[40:41]
	s_cbranch_execz .LBB110_467
; %bb.466:
	v_lshlrev_b32_e32 v20, 2, v0
	s_movk_i32 s16, 0xfc
	v_mad_u32_u24 v21, v0, s16, v20
	ds_read_b32 v22, v21 offset:8832
	s_waitcnt lgkmcnt(0)
	ds_write_b32 v20, v22 offset:8328
	ds_read_b32 v21, v21 offset:8836
	s_waitcnt lgkmcnt(0)
	ds_write_b32 v20, v21 offset:8584
.LBB110_467:
	s_or_b64 exec, exec, s[14:15]
	s_waitcnt lgkmcnt(0)
	s_barrier
	s_and_saveexec_b64 s[14:15], vcc
	s_cbranch_execz .LBB110_469
; %bb.468:
	v_mov_b32_e32 v22, 0
	ds_read_b32 v21, v22 offset:8576
	v_mov_b32_e32 v20, 1.0
	ds_write_b32 v22, v20 offset:8580
	s_waitcnt lgkmcnt(1)
	ds_write_b64 v22, v[20:21] offset:8320
.LBB110_469:
	s_or_b64 exec, exec, s[14:15]
	s_movk_i32 s14, 0x3ff
	v_lshrrev_b32_e32 v23, 5, v5
	v_cmp_lt_u32_e64 s[16:17], s14, v5
	s_movk_i32 s14, 0x400
	v_and_b32_e32 v20, 31, v0
	v_sub_u32_e32 v21, 31, v23
	v_cmp_gt_u32_e64 s[14:15], s14, v5
	v_mov_b32_e32 v22, 0
	s_waitcnt lgkmcnt(0)
	s_barrier
	buffer_wbinvl1_vol
	s_and_saveexec_b64 s[94:95], s[14:15]
	s_cbranch_execz .LBB110_531
; %bb.470:
	v_lshlrev_b32_e32 v25, 2, v20
	v_lshlrev_b32_e32 v24, 8, v21
	ds_read_b32 v22, v25 offset:8192
	ds_read_b32 v26, v24 offset:8320
	s_movk_i32 s20, 0x3e0
	v_cmp_gt_u32_e64 s[20:21], s20, v5
	s_waitcnt lgkmcnt(0)
	v_fma_f32 v22, v22, v26, 0
	s_and_saveexec_b64 s[22:23], s[20:21]
	s_cbranch_execz .LBB110_472
; %bb.471:
	ds_read_b32 v26, v25 offset:8448
	ds_read_b32 v27, v24 offset:8324
	s_waitcnt lgkmcnt(0)
	v_fmac_f32_e32 v22, v26, v27
.LBB110_472:
	s_or_b64 exec, exec, s[22:23]
	s_movk_i32 s20, 0x3c0
	v_cmp_gt_u32_e64 s[20:21], s20, v5
	s_and_saveexec_b64 s[22:23], s[20:21]
	s_cbranch_execz .LBB110_474
; %bb.473:
	ds_read_b32 v26, v25 offset:8704
	ds_read_b32 v27, v24 offset:8328
	s_waitcnt lgkmcnt(0)
	v_fmac_f32_e32 v22, v26, v27
.LBB110_474:
	s_or_b64 exec, exec, s[22:23]
	s_movk_i32 s20, 0x3a0
	v_cmp_gt_u32_e64 s[20:21], s20, v5
	;; [unrolled: 11-line block ×22, first 2 shown]
	s_and_saveexec_b64 s[22:23], s[20:21]
	s_cbranch_execz .LBB110_516
; %bb.515:
	ds_read_b32 v26, v25 offset:14080
	ds_read_b32 v27, v24 offset:8412
	s_waitcnt lgkmcnt(0)
	v_fmac_f32_e32 v22, v26, v27
.LBB110_516:
	s_or_b64 exec, exec, s[22:23]
	s_and_saveexec_b64 s[20:21], s[10:11]
	s_cbranch_execz .LBB110_518
; %bb.517:
	ds_read_b32 v26, v25 offset:14336
	ds_read_b32 v27, v24 offset:8416
	s_waitcnt lgkmcnt(0)
	v_fmac_f32_e32 v22, v26, v27
.LBB110_518:
	s_or_b64 exec, exec, s[20:21]
	s_movk_i32 s20, 0xe0
	v_cmp_gt_u32_e64 s[20:21], s20, v5
	s_and_saveexec_b64 s[22:23], s[20:21]
	s_cbranch_execz .LBB110_520
; %bb.519:
	ds_read_b32 v26, v25 offset:14592
	ds_read_b32 v27, v24 offset:8420
	s_waitcnt lgkmcnt(0)
	v_fmac_f32_e32 v22, v26, v27
.LBB110_520:
	s_or_b64 exec, exec, s[22:23]
	s_movk_i32 s20, 0xc0
	v_cmp_gt_u32_e64 s[20:21], s20, v5
	;; [unrolled: 11-line block ×5, first 2 shown]
	s_and_saveexec_b64 s[22:23], s[20:21]
	s_cbranch_execnz .LBB110_1196
; %bb.527:
	s_or_b64 exec, exec, s[22:23]
	s_and_saveexec_b64 s[20:21], s[8:9]
	s_cbranch_execnz .LBB110_1197
.LBB110_528:
	s_or_b64 exec, exec, s[20:21]
	v_cmp_gt_u32_e64 s[20:21], 32, v5
	s_and_saveexec_b64 s[22:23], s[20:21]
	s_cbranch_execz .LBB110_530
.LBB110_529:
	v_lshlrev_b32_e32 v24, 2, v0
	v_mov_b32_e32 v25, 0
	ds_read_b32 v24, v24 offset:16128
	ds_read_b32 v25, v25 offset:16380
	s_waitcnt lgkmcnt(0)
	v_fmac_f32_e32 v22, v24, v25
.LBB110_530:
	s_or_b64 exec, exec, s[22:23]
.LBB110_531:
	s_or_b64 exec, exec, s[94:95]
	v_mov_b32_e32 v24, 0x4000
	v_cmp_eq_u32_e64 s[20:21], 31, v20
	s_xor_b64 s[94:95], s[16:17], -1
	v_lshl_add_u32 v23, v23, 2, v24
	s_and_b64 s[20:21], s[20:21], s[94:95]
	s_and_saveexec_b64 s[16:17], s[20:21]
; %bb.532:
	v_xor_b32_e32 v24, 0x80000000, v22
	ds_write_b32 v23, v24
; %bb.533:
	s_or_b64 exec, exec, s[16:17]
	v_cmp_ne_u32_e64 s[16:17], 31, v20
	s_and_b64 s[20:21], s[16:17], s[94:95]
	s_waitcnt lgkmcnt(0)
	s_barrier
	s_and_saveexec_b64 s[16:17], s[20:21]
	s_cbranch_execz .LBB110_535
; %bb.534:
	v_lshlrev_b32_e32 v24, 2, v20
	ds_read_b32 v24, v24 offset:7936
	ds_read_b32 v25, v23
	s_waitcnt lgkmcnt(0)
	v_fma_f32 v22, -v24, v25, v22
.LBB110_535:
	s_or_b64 exec, exec, s[16:17]
	v_cmp_eq_u32_e64 s[16:17], 30, v20
	s_and_b64 s[20:21], s[16:17], s[94:95]
	s_barrier
	s_and_saveexec_b64 s[16:17], s[20:21]
; %bb.536:
	v_xor_b32_e32 v24, 0x80000000, v22
	ds_write_b32 v23, v24
; %bb.537:
	s_or_b64 exec, exec, s[16:17]
	v_cmp_gt_u32_e64 s[16:17], 30, v20
	s_and_b64 s[20:21], s[16:17], s[94:95]
	s_waitcnt lgkmcnt(0)
	s_barrier
	s_and_saveexec_b64 s[16:17], s[20:21]
	s_cbranch_execz .LBB110_539
; %bb.538:
	v_lshlrev_b32_e32 v24, 2, v20
	ds_read_b32 v24, v24 offset:7680
	ds_read_b32 v25, v23
	s_waitcnt lgkmcnt(0)
	v_fma_f32 v22, -v24, v25, v22
.LBB110_539:
	s_or_b64 exec, exec, s[16:17]
	v_cmp_eq_u32_e64 s[16:17], 29, v20
	s_and_b64 s[20:21], s[16:17], s[94:95]
	s_barrier
	s_and_saveexec_b64 s[16:17], s[20:21]
; %bb.540:
	v_xor_b32_e32 v24, 0x80000000, v22
	ds_write_b32 v23, v24
; %bb.541:
	s_or_b64 exec, exec, s[16:17]
	v_cmp_gt_u32_e64 s[16:17], 29, v20
	;; [unrolled: 23-line block ×29, first 2 shown]
	s_and_b64 s[20:21], s[16:17], s[94:95]
	s_waitcnt lgkmcnt(0)
	s_barrier
	s_and_saveexec_b64 s[16:17], s[20:21]
	s_cbranch_execz .LBB110_651
; %bb.650:
	v_lshlrev_b32_e32 v24, 2, v20
	ds_read_b32 v24, v24 offset:512
	ds_read_b32 v25, v23
	s_waitcnt lgkmcnt(0)
	v_fma_f32 v22, -v24, v25, v22
.LBB110_651:
	s_or_b64 exec, exec, s[16:17]
	v_cmp_eq_u32_e64 s[16:17], 1, v20
	s_and_b64 s[20:21], s[16:17], s[94:95]
	s_barrier
	s_and_saveexec_b64 s[16:17], s[20:21]
; %bb.652:
	v_xor_b32_e32 v24, 0x80000000, v22
	ds_write_b32 v23, v24
; %bb.653:
	s_or_b64 exec, exec, s[16:17]
	v_cmp_eq_u32_e64 s[16:17], 0, v20
	s_and_b64 s[16:17], s[16:17], s[94:95]
	s_waitcnt lgkmcnt(0)
	s_barrier
	s_and_saveexec_b64 s[20:21], s[16:17]
	s_cbranch_execz .LBB110_655
; %bb.654:
	v_mov_b32_e32 v24, 0
	ds_read_b32 v24, v24 offset:256
	ds_read_b32 v25, v23
	s_waitcnt lgkmcnt(0)
	v_fma_f32 v22, -v24, v25, v22
.LBB110_655:
	s_or_b64 exec, exec, s[20:21]
	s_barrier
	s_and_saveexec_b64 s[20:21], s[16:17]
; %bb.656:
	v_xor_b32_e32 v24, 0x80000000, v22
	ds_write_b32 v23, v24
; %bb.657:
	s_or_b64 exec, exec, s[20:21]
	s_waitcnt lgkmcnt(0)
	s_barrier
	s_barrier
	s_and_saveexec_b64 s[16:17], s[14:15]
; %bb.658:
	v_lshlrev_b32_e32 v20, 2, v20
	v_lshl_or_b32 v20, v21, 8, v20
	ds_write_b32 v20, v22 offset:8192
; %bb.659:
	s_or_b64 exec, exec, s[16:17]
	v_cmp_gt_u32_e64 s[14:15], 32, v0
	s_and_b64 s[14:15], s[12:13], s[14:15]
	s_waitcnt lgkmcnt(0)
	s_barrier
	s_barrier
	s_and_saveexec_b64 s[12:13], s[14:15]
	s_cbranch_execz .LBB110_661
; %bb.660:
	v_lshlrev_b32_e32 v20, 8, v0
	ds_read_b32 v21, v20 offset:8192
	s_movk_i32 s14, 0xff04
	v_mad_i32_i24 v22, v0, s14, v20
	s_waitcnt lgkmcnt(0)
	ds_write_b32 v22, v21 offset:128
	ds_read_b32 v21, v20 offset:8196
	s_waitcnt lgkmcnt(0)
	ds_write_b32 v22, v21 offset:384
	ds_read_b32 v21, v20 offset:8200
	s_waitcnt lgkmcnt(0)
	ds_write_b32 v22, v21 offset:640
	ds_read_b32 v21, v20 offset:8204
	s_waitcnt lgkmcnt(0)
	ds_write_b32 v22, v21 offset:896
	ds_read_b32 v21, v20 offset:8208
	s_waitcnt lgkmcnt(0)
	ds_write_b32 v22, v21 offset:1152
	ds_read_b32 v21, v20 offset:8212
	s_waitcnt lgkmcnt(0)
	ds_write_b32 v22, v21 offset:1408
	ds_read_b32 v21, v20 offset:8216
	s_waitcnt lgkmcnt(0)
	ds_write_b32 v22, v21 offset:1664
	ds_read_b32 v21, v20 offset:8220
	s_waitcnt lgkmcnt(0)
	ds_write_b32 v22, v21 offset:1920
	ds_read_b32 v21, v20 offset:8224
	s_waitcnt lgkmcnt(0)
	ds_write_b32 v22, v21 offset:2176
	ds_read_b32 v21, v20 offset:8228
	s_waitcnt lgkmcnt(0)
	ds_write_b32 v22, v21 offset:2432
	ds_read_b32 v21, v20 offset:8232
	s_waitcnt lgkmcnt(0)
	ds_write_b32 v22, v21 offset:2688
	ds_read_b32 v21, v20 offset:8236
	s_waitcnt lgkmcnt(0)
	ds_write_b32 v22, v21 offset:2944
	ds_read_b32 v21, v20 offset:8240
	s_waitcnt lgkmcnt(0)
	ds_write_b32 v22, v21 offset:3200
	ds_read_b32 v21, v20 offset:8244
	s_waitcnt lgkmcnt(0)
	ds_write_b32 v22, v21 offset:3456
	ds_read_b32 v21, v20 offset:8248
	s_waitcnt lgkmcnt(0)
	ds_write_b32 v22, v21 offset:3712
	ds_read_b32 v21, v20 offset:8252
	s_waitcnt lgkmcnt(0)
	ds_write_b32 v22, v21 offset:3968
	ds_read_b32 v21, v20 offset:8256
	s_waitcnt lgkmcnt(0)
	ds_write_b32 v22, v21 offset:4224
	ds_read_b32 v21, v20 offset:8260
	s_waitcnt lgkmcnt(0)
	ds_write_b32 v22, v21 offset:4480
	ds_read_b32 v21, v20 offset:8264
	s_waitcnt lgkmcnt(0)
	ds_write_b32 v22, v21 offset:4736
	ds_read_b32 v21, v20 offset:8268
	s_waitcnt lgkmcnt(0)
	ds_write_b32 v22, v21 offset:4992
	ds_read_b32 v21, v20 offset:8272
	s_waitcnt lgkmcnt(0)
	ds_write_b32 v22, v21 offset:5248
	ds_read_b32 v21, v20 offset:8276
	s_waitcnt lgkmcnt(0)
	ds_write_b32 v22, v21 offset:5504
	ds_read_b32 v21, v20 offset:8280
	s_waitcnt lgkmcnt(0)
	ds_write_b32 v22, v21 offset:5760
	ds_read_b32 v21, v20 offset:8284
	s_waitcnt lgkmcnt(0)
	ds_write_b32 v22, v21 offset:6016
	ds_read_b32 v21, v20 offset:8288
	s_waitcnt lgkmcnt(0)
	ds_write_b32 v22, v21 offset:6272
	ds_read_b32 v21, v20 offset:8292
	s_waitcnt lgkmcnt(0)
	ds_write_b32 v22, v21 offset:6528
	ds_read_b32 v21, v20 offset:8296
	s_waitcnt lgkmcnt(0)
	ds_write_b32 v22, v21 offset:6784
	ds_read_b32 v21, v20 offset:8300
	s_waitcnt lgkmcnt(0)
	ds_write_b32 v22, v21 offset:7040
	ds_read_b32 v21, v20 offset:8304
	s_waitcnt lgkmcnt(0)
	ds_write_b32 v22, v21 offset:7296
	ds_read_b32 v21, v20 offset:8308
	s_waitcnt lgkmcnt(0)
	ds_write_b32 v22, v21 offset:7552
	ds_read_b32 v21, v20 offset:8312
	s_waitcnt lgkmcnt(0)
	ds_write_b32 v22, v21 offset:7808
	ds_read_b32 v20, v20 offset:8316
	s_waitcnt lgkmcnt(0)
	ds_write_b32 v22, v20 offset:8064
.LBB110_661:
	s_or_b64 exec, exec, s[12:13]
	s_waitcnt lgkmcnt(0)
	s_barrier
	s_and_saveexec_b64 s[12:13], vcc
	s_cbranch_execz .LBB110_663
; %bb.662:
	v_mov_b32_e32 v22, 0
	ds_read_b32 v21, v22 offset:8056
	v_mov_b32_e32 v20, 1.0
	ds_write_b32 v22, v20 offset:8060
	s_waitcnt lgkmcnt(1)
	ds_write_b64 v22, v[20:21] offset:7800
.LBB110_663:
	s_or_b64 exec, exec, s[12:13]
	v_mov_b32_e32 v20, 0
	s_waitcnt lgkmcnt(0)
	s_barrier
	buffer_wbinvl1_vol
	s_and_saveexec_b64 s[14:15], s[2:3]
	s_cbranch_execz .LBB110_667
; %bb.664:
	v_lshlrev_b32_e32 v20, 8, v3
	v_lshlrev_b32_e32 v21, 2, v2
	ds_read_b32 v22, v21 offset:7792
	ds_read_b32 v20, v20 offset:7800
	v_mov_b32_e32 v21, 0
	v_cmp_gt_u32_e64 s[12:13], 2, v5
	s_waitcnt lgkmcnt(0)
	v_fma_f32 v20, v22, v20, 0
	s_and_saveexec_b64 s[16:17], s[12:13]
	s_cbranch_execz .LBB110_666
; %bb.665:
	v_lshlrev_b32_e32 v22, 2, v0
	ds_read_b32 v22, v22 offset:8048
	ds_read_b32 v21, v21 offset:8060
	s_waitcnt lgkmcnt(0)
	v_fmac_f32_e32 v20, v22, v21
.LBB110_666:
	s_or_b64 exec, exec, s[16:17]
.LBB110_667:
	s_or_b64 exec, exec, s[14:15]
	s_and_saveexec_b64 s[12:13], s[38:39]
; %bb.668:
	v_xor_b32_e32 v21, 0x80000000, v20
	ds_write_b32 v4, v21
; %bb.669:
	s_or_b64 exec, exec, s[12:13]
	s_waitcnt lgkmcnt(0)
	s_barrier
	s_and_saveexec_b64 s[12:13], s[36:37]
	s_cbranch_execz .LBB110_671
; %bb.670:
	v_mov_b32_e32 v21, 0
	ds_read_b32 v21, v21 offset:7536
	ds_read_b32 v22, v4
	s_waitcnt lgkmcnt(0)
	v_fma_f32 v20, -v21, v22, v20
.LBB110_671:
	s_or_b64 exec, exec, s[12:13]
	s_barrier
	s_and_saveexec_b64 s[12:13], s[36:37]
; %bb.672:
	v_xor_b32_e32 v21, 0x80000000, v20
	ds_write_b32 v4, v21
; %bb.673:
	s_or_b64 exec, exec, s[12:13]
	s_waitcnt lgkmcnt(0)
	s_barrier
	s_barrier
	s_and_saveexec_b64 s[12:13], s[2:3]
; %bb.674:
	v_lshlrev_b32_e32 v21, 2, v2
	v_lshl_or_b32 v21, v3, 8, v21
	ds_write_b32 v21, v20 offset:7792
; %bb.675:
	s_or_b64 exec, exec, s[12:13]
	s_waitcnt lgkmcnt(0)
	s_barrier
	s_barrier
	s_and_saveexec_b64 s[12:13], s[40:41]
	s_cbranch_execz .LBB110_677
; %bb.676:
	v_lshlrev_b32_e32 v20, 2, v0
	s_movk_i32 s14, 0xfc
	v_mad_u32_u24 v21, v0, s14, v20
	ds_read_b32 v22, v21 offset:7792
	s_waitcnt lgkmcnt(0)
	ds_write_b32 v20, v22 offset:7288
	ds_read_b32 v21, v21 offset:7796
	s_waitcnt lgkmcnt(0)
	ds_write_b32 v20, v21 offset:7544
.LBB110_677:
	s_or_b64 exec, exec, s[12:13]
	s_waitcnt lgkmcnt(0)
	s_barrier
	s_and_saveexec_b64 s[12:13], vcc
	s_cbranch_execz .LBB110_679
; %bb.678:
	v_mov_b32_e32 v22, 0
	ds_read_b32 v21, v22 offset:7536
	v_mov_b32_e32 v20, 1.0
	ds_write_b32 v22, v20 offset:7540
	s_waitcnt lgkmcnt(1)
	ds_write_b64 v22, v[20:21] offset:7280
.LBB110_679:
	s_or_b64 exec, exec, s[12:13]
	v_mov_b32_e32 v20, 0
	s_waitcnt lgkmcnt(0)
	s_barrier
	buffer_wbinvl1_vol
	s_and_saveexec_b64 s[14:15], s[18:19]
	s_cbranch_execz .LBB110_685
; %bb.680:
	v_lshlrev_b32_e32 v22, 2, v11
	v_lshlrev_b32_e32 v21, 8, v12
	ds_read_b32 v20, v22 offset:7264
	ds_read_b32 v23, v21 offset:7280
	v_cmp_gt_u32_e64 s[12:13], 12, v5
	s_waitcnt lgkmcnt(0)
	v_fma_f32 v20, v20, v23, 0
	s_and_saveexec_b64 s[16:17], s[12:13]
	s_cbranch_execnz .LBB110_1198
; %bb.681:
	s_or_b64 exec, exec, s[16:17]
	v_cmp_gt_u32_e64 s[12:13], 8, v5
	s_and_saveexec_b64 s[16:17], s[12:13]
	s_cbranch_execnz .LBB110_1199
.LBB110_682:
	s_or_b64 exec, exec, s[16:17]
	v_cmp_gt_u32_e64 s[12:13], 4, v5
	s_and_saveexec_b64 s[16:17], s[12:13]
	s_cbranch_execz .LBB110_684
.LBB110_683:
	v_lshlrev_b32_e32 v21, 2, v0
	v_mov_b32_e32 v22, 0
	ds_read_b32 v21, v21 offset:8032
	ds_read_b32 v22, v22 offset:8060
	s_waitcnt lgkmcnt(0)
	v_fmac_f32_e32 v20, v21, v22
.LBB110_684:
	s_or_b64 exec, exec, s[16:17]
.LBB110_685:
	s_or_b64 exec, exec, s[14:15]
	s_and_saveexec_b64 s[12:13], s[44:45]
; %bb.686:
	v_xor_b32_e32 v21, 0x80000000, v20
	ds_write_b32 v13, v21
; %bb.687:
	s_or_b64 exec, exec, s[12:13]
	s_waitcnt lgkmcnt(0)
	s_barrier
	s_and_saveexec_b64 s[12:13], s[46:47]
	s_cbranch_execz .LBB110_689
; %bb.688:
	v_lshlrev_b32_e32 v21, 2, v11
	ds_read_b32 v21, v21 offset:7008
	ds_read_b32 v22, v13
	s_waitcnt lgkmcnt(0)
	v_fma_f32 v20, -v21, v22, v20
.LBB110_689:
	s_or_b64 exec, exec, s[12:13]
	s_barrier
	s_and_saveexec_b64 s[12:13], s[48:49]
; %bb.690:
	v_xor_b32_e32 v21, 0x80000000, v20
	ds_write_b32 v13, v21
; %bb.691:
	s_or_b64 exec, exec, s[12:13]
	s_waitcnt lgkmcnt(0)
	s_barrier
	s_and_saveexec_b64 s[12:13], s[50:51]
	s_cbranch_execz .LBB110_693
; %bb.692:
	v_lshlrev_b32_e32 v21, 2, v11
	ds_read_b32 v21, v21 offset:6752
	ds_read_b32 v22, v13
	s_waitcnt lgkmcnt(0)
	v_fma_f32 v20, -v21, v22, v20
.LBB110_693:
	s_or_b64 exec, exec, s[12:13]
	s_barrier
	s_and_saveexec_b64 s[12:13], s[52:53]
; %bb.694:
	v_xor_b32_e32 v21, 0x80000000, v20
	ds_write_b32 v13, v21
; %bb.695:
	s_or_b64 exec, exec, s[12:13]
	s_waitcnt lgkmcnt(0)
	s_barrier
	s_and_saveexec_b64 s[12:13], s[42:43]
	s_cbranch_execz .LBB110_697
; %bb.696:
	v_mov_b32_e32 v21, 0
	ds_read_b32 v21, v21 offset:6496
	ds_read_b32 v22, v13
	s_waitcnt lgkmcnt(0)
	v_fma_f32 v20, -v21, v22, v20
.LBB110_697:
	s_or_b64 exec, exec, s[12:13]
	s_barrier
	s_and_saveexec_b64 s[12:13], s[42:43]
; %bb.698:
	v_xor_b32_e32 v21, 0x80000000, v20
	ds_write_b32 v13, v21
; %bb.699:
	s_or_b64 exec, exec, s[12:13]
	s_waitcnt lgkmcnt(0)
	s_barrier
	s_barrier
	s_and_saveexec_b64 s[12:13], s[18:19]
; %bb.700:
	v_lshlrev_b32_e32 v21, 2, v11
	v_lshl_or_b32 v21, v12, 8, v21
	ds_write_b32 v21, v20 offset:7264
; %bb.701:
	s_or_b64 exec, exec, s[12:13]
	s_waitcnt lgkmcnt(0)
	s_barrier
	s_barrier
	s_and_saveexec_b64 s[12:13], s[54:55]
	s_cbranch_execz .LBB110_703
; %bb.702:
	v_lshlrev_b32_e32 v20, 8, v0
	ds_read_b32 v21, v20 offset:7264
	s_movk_i32 s14, 0xff04
	v_mad_i32_i24 v22, v0, s14, v20
	s_waitcnt lgkmcnt(0)
	ds_write_b32 v22, v21 offset:6256
	ds_read_b32 v21, v20 offset:7268
	s_waitcnt lgkmcnt(0)
	ds_write_b32 v22, v21 offset:6512
	ds_read_b32 v21, v20 offset:7272
	;; [unrolled: 3-line block ×3, first 2 shown]
	s_waitcnt lgkmcnt(0)
	ds_write_b32 v22, v20 offset:7024
.LBB110_703:
	s_or_b64 exec, exec, s[12:13]
	s_waitcnt lgkmcnt(0)
	s_barrier
	s_and_saveexec_b64 s[12:13], vcc
	s_cbranch_execz .LBB110_705
; %bb.704:
	v_mov_b32_e32 v22, 0
	ds_read_b32 v21, v22 offset:7016
	v_mov_b32_e32 v20, 1.0
	ds_write_b32 v22, v20 offset:7020
	s_waitcnt lgkmcnt(1)
	ds_write_b64 v22, v[20:21] offset:6760
.LBB110_705:
	s_or_b64 exec, exec, s[12:13]
	v_mov_b32_e32 v20, 0
	s_waitcnt lgkmcnt(0)
	s_barrier
	buffer_wbinvl1_vol
	s_and_saveexec_b64 s[14:15], s[2:3]
	s_cbranch_execz .LBB110_709
; %bb.706:
	v_lshlrev_b32_e32 v20, 8, v3
	v_lshlrev_b32_e32 v21, 2, v2
	ds_read_b32 v22, v21 offset:6752
	ds_read_b32 v20, v20 offset:6760
	v_mov_b32_e32 v21, 0
	v_cmp_gt_u32_e64 s[12:13], 2, v5
	s_waitcnt lgkmcnt(0)
	v_fma_f32 v20, v22, v20, 0
	s_and_saveexec_b64 s[16:17], s[12:13]
	s_cbranch_execz .LBB110_708
; %bb.707:
	v_lshlrev_b32_e32 v22, 2, v0
	ds_read_b32 v22, v22 offset:7008
	ds_read_b32 v21, v21 offset:7020
	s_waitcnt lgkmcnt(0)
	v_fmac_f32_e32 v20, v22, v21
.LBB110_708:
	s_or_b64 exec, exec, s[16:17]
.LBB110_709:
	s_or_b64 exec, exec, s[14:15]
	s_and_saveexec_b64 s[12:13], s[38:39]
; %bb.710:
	v_xor_b32_e32 v21, 0x80000000, v20
	ds_write_b32 v4, v21
; %bb.711:
	s_or_b64 exec, exec, s[12:13]
	s_waitcnt lgkmcnt(0)
	s_barrier
	s_and_saveexec_b64 s[12:13], s[36:37]
	s_cbranch_execz .LBB110_713
; %bb.712:
	v_mov_b32_e32 v21, 0
	ds_read_b32 v21, v21 offset:6496
	ds_read_b32 v22, v4
	s_waitcnt lgkmcnt(0)
	v_fma_f32 v20, -v21, v22, v20
.LBB110_713:
	s_or_b64 exec, exec, s[12:13]
	s_barrier
	s_and_saveexec_b64 s[12:13], s[36:37]
; %bb.714:
	v_xor_b32_e32 v21, 0x80000000, v20
	ds_write_b32 v4, v21
; %bb.715:
	s_or_b64 exec, exec, s[12:13]
	s_waitcnt lgkmcnt(0)
	s_barrier
	s_barrier
	s_and_saveexec_b64 s[12:13], s[2:3]
; %bb.716:
	v_lshlrev_b32_e32 v21, 2, v2
	v_lshl_or_b32 v21, v3, 8, v21
	ds_write_b32 v21, v20 offset:6752
; %bb.717:
	s_or_b64 exec, exec, s[12:13]
	s_waitcnt lgkmcnt(0)
	s_barrier
	s_barrier
	s_and_saveexec_b64 s[12:13], s[40:41]
	s_cbranch_execz .LBB110_719
; %bb.718:
	v_lshlrev_b32_e32 v20, 2, v0
	s_movk_i32 s14, 0xfc
	v_mad_u32_u24 v21, v0, s14, v20
	ds_read_b32 v22, v21 offset:6752
	s_waitcnt lgkmcnt(0)
	ds_write_b32 v20, v22 offset:6248
	ds_read_b32 v21, v21 offset:6756
	s_waitcnt lgkmcnt(0)
	ds_write_b32 v20, v21 offset:6504
.LBB110_719:
	s_or_b64 exec, exec, s[12:13]
	s_waitcnt lgkmcnt(0)
	s_barrier
	s_and_saveexec_b64 s[12:13], vcc
	s_cbranch_execz .LBB110_721
; %bb.720:
	v_mov_b32_e32 v22, 0
	ds_read_b32 v21, v22 offset:6496
	v_mov_b32_e32 v20, 1.0
	ds_write_b32 v22, v20 offset:6500
	s_waitcnt lgkmcnt(1)
	ds_write_b64 v22, v[20:21] offset:6240
.LBB110_721:
	s_or_b64 exec, exec, s[12:13]
	v_mov_b32_e32 v20, 0
	s_waitcnt lgkmcnt(0)
	s_barrier
	buffer_wbinvl1_vol
	s_and_saveexec_b64 s[14:15], s[8:9]
	s_cbranch_execz .LBB110_731
; %bb.722:
	v_lshlrev_b32_e32 v22, 2, v14
	v_lshlrev_b32_e32 v21, 8, v15
	ds_read_b32 v20, v22 offset:6208
	ds_read_b32 v23, v21 offset:6240
	v_cmp_gt_u32_e64 s[12:13], 56, v5
	s_waitcnt lgkmcnt(0)
	v_fma_f32 v20, v20, v23, 0
	s_and_saveexec_b64 s[16:17], s[12:13]
	s_cbranch_execnz .LBB110_1200
; %bb.723:
	s_or_b64 exec, exec, s[16:17]
	v_cmp_gt_u32_e64 s[12:13], 48, v5
	s_and_saveexec_b64 s[16:17], s[12:13]
	s_cbranch_execnz .LBB110_1201
.LBB110_724:
	s_or_b64 exec, exec, s[16:17]
	v_cmp_gt_u32_e64 s[12:13], 40, v5
	s_and_saveexec_b64 s[16:17], s[12:13]
	s_cbranch_execnz .LBB110_1202
.LBB110_725:
	s_or_b64 exec, exec, s[16:17]
	v_cmp_gt_u32_e64 s[12:13], 32, v5
	s_and_saveexec_b64 s[16:17], s[12:13]
	s_cbranch_execnz .LBB110_1203
.LBB110_726:
	s_or_b64 exec, exec, s[16:17]
	v_cmp_gt_u32_e64 s[12:13], 24, v5
	s_and_saveexec_b64 s[16:17], s[12:13]
	s_cbranch_execnz .LBB110_1204
.LBB110_727:
	s_or_b64 exec, exec, s[16:17]
	s_and_saveexec_b64 s[12:13], s[18:19]
	s_cbranch_execnz .LBB110_1205
.LBB110_728:
	s_or_b64 exec, exec, s[12:13]
	v_cmp_gt_u32_e64 s[12:13], 8, v5
	s_and_saveexec_b64 s[16:17], s[12:13]
	s_cbranch_execz .LBB110_730
.LBB110_729:
	v_lshlrev_b32_e32 v21, 2, v0
	v_mov_b32_e32 v22, 0
	ds_read_b32 v21, v21 offset:8000
	ds_read_b32 v22, v22 offset:8060
	s_waitcnt lgkmcnt(0)
	v_fmac_f32_e32 v20, v21, v22
.LBB110_730:
	s_or_b64 exec, exec, s[16:17]
.LBB110_731:
	s_or_b64 exec, exec, s[14:15]
	s_and_saveexec_b64 s[12:13], s[56:57]
; %bb.732:
	v_xor_b32_e32 v21, 0x80000000, v20
	ds_write_b32 v16, v21
; %bb.733:
	s_or_b64 exec, exec, s[12:13]
	s_waitcnt lgkmcnt(0)
	s_barrier
	s_and_saveexec_b64 s[12:13], s[58:59]
	s_cbranch_execz .LBB110_735
; %bb.734:
	v_lshlrev_b32_e32 v21, 2, v14
	ds_read_b32 v21, v21 offset:5952
	ds_read_b32 v22, v16
	s_waitcnt lgkmcnt(0)
	v_fma_f32 v20, -v21, v22, v20
.LBB110_735:
	s_or_b64 exec, exec, s[12:13]
	s_barrier
	s_and_saveexec_b64 s[12:13], s[60:61]
; %bb.736:
	v_xor_b32_e32 v21, 0x80000000, v20
	ds_write_b32 v16, v21
; %bb.737:
	s_or_b64 exec, exec, s[12:13]
	s_waitcnt lgkmcnt(0)
	s_barrier
	s_and_saveexec_b64 s[12:13], s[62:63]
	s_cbranch_execz .LBB110_739
; %bb.738:
	v_lshlrev_b32_e32 v21, 2, v14
	ds_read_b32 v21, v21 offset:5696
	ds_read_b32 v22, v16
	s_waitcnt lgkmcnt(0)
	v_fma_f32 v20, -v21, v22, v20
.LBB110_739:
	s_or_b64 exec, exec, s[12:13]
	s_barrier
	;; [unrolled: 19-line block ×6, first 2 shown]
	s_and_saveexec_b64 s[12:13], s[82:83]
; %bb.756:
	v_xor_b32_e32 v21, 0x80000000, v20
	ds_write_b32 v16, v21
; %bb.757:
	s_or_b64 exec, exec, s[12:13]
	s_waitcnt lgkmcnt(0)
	s_barrier
	s_and_saveexec_b64 s[12:13], s[66:67]
	s_cbranch_execz .LBB110_759
; %bb.758:
	v_mov_b32_e32 v21, 0
	ds_read_b32 v21, v21 offset:4416
	ds_read_b32 v22, v16
	s_waitcnt lgkmcnt(0)
	v_fma_f32 v20, -v21, v22, v20
.LBB110_759:
	s_or_b64 exec, exec, s[12:13]
	s_barrier
	s_and_saveexec_b64 s[12:13], s[66:67]
; %bb.760:
	v_xor_b32_e32 v21, 0x80000000, v20
	ds_write_b32 v16, v21
; %bb.761:
	s_or_b64 exec, exec, s[12:13]
	s_waitcnt lgkmcnt(0)
	s_barrier
	s_barrier
	s_and_saveexec_b64 s[12:13], s[8:9]
; %bb.762:
	v_lshlrev_b32_e32 v21, 2, v14
	v_lshl_or_b32 v21, v15, 8, v21
	ds_write_b32 v21, v20 offset:6208
; %bb.763:
	s_or_b64 exec, exec, s[12:13]
	s_waitcnt lgkmcnt(0)
	s_barrier
	s_barrier
	s_and_saveexec_b64 s[12:13], s[84:85]
	s_cbranch_execz .LBB110_765
; %bb.764:
	v_lshlrev_b32_e32 v20, 8, v0
	ds_read_b32 v21, v20 offset:6208
	s_movk_i32 s14, 0xff04
	v_mad_i32_i24 v22, v0, s14, v20
	s_waitcnt lgkmcnt(0)
	ds_write_b32 v22, v21 offset:4192
	ds_read_b32 v21, v20 offset:6212
	s_waitcnt lgkmcnt(0)
	ds_write_b32 v22, v21 offset:4448
	ds_read_b32 v21, v20 offset:6216
	;; [unrolled: 3-line block ×7, first 2 shown]
	s_waitcnt lgkmcnt(0)
	ds_write_b32 v22, v20 offset:5984
.LBB110_765:
	s_or_b64 exec, exec, s[12:13]
	s_waitcnt lgkmcnt(0)
	s_barrier
	s_and_saveexec_b64 s[12:13], vcc
	s_cbranch_execz .LBB110_767
; %bb.766:
	v_mov_b32_e32 v22, 0
	ds_read_b32 v21, v22 offset:5976
	v_mov_b32_e32 v20, 1.0
	ds_write_b32 v22, v20 offset:5980
	s_waitcnt lgkmcnt(1)
	ds_write_b64 v22, v[20:21] offset:5720
.LBB110_767:
	s_or_b64 exec, exec, s[12:13]
	v_mov_b32_e32 v20, 0
	s_waitcnt lgkmcnt(0)
	s_barrier
	buffer_wbinvl1_vol
	s_and_saveexec_b64 s[14:15], s[2:3]
	s_cbranch_execz .LBB110_771
; %bb.768:
	v_lshlrev_b32_e32 v20, 8, v3
	v_lshlrev_b32_e32 v21, 2, v2
	ds_read_b32 v22, v21 offset:5712
	ds_read_b32 v20, v20 offset:5720
	v_mov_b32_e32 v21, 0
	v_cmp_gt_u32_e64 s[12:13], 2, v5
	s_waitcnt lgkmcnt(0)
	v_fma_f32 v20, v22, v20, 0
	s_and_saveexec_b64 s[16:17], s[12:13]
	s_cbranch_execz .LBB110_770
; %bb.769:
	v_lshlrev_b32_e32 v22, 2, v0
	ds_read_b32 v22, v22 offset:5968
	ds_read_b32 v21, v21 offset:5980
	s_waitcnt lgkmcnt(0)
	v_fmac_f32_e32 v20, v22, v21
.LBB110_770:
	s_or_b64 exec, exec, s[16:17]
.LBB110_771:
	s_or_b64 exec, exec, s[14:15]
	s_and_saveexec_b64 s[12:13], s[38:39]
; %bb.772:
	v_xor_b32_e32 v21, 0x80000000, v20
	ds_write_b32 v4, v21
; %bb.773:
	s_or_b64 exec, exec, s[12:13]
	s_waitcnt lgkmcnt(0)
	s_barrier
	s_and_saveexec_b64 s[12:13], s[36:37]
	s_cbranch_execz .LBB110_775
; %bb.774:
	v_mov_b32_e32 v21, 0
	ds_read_b32 v21, v21 offset:5456
	ds_read_b32 v22, v4
	s_waitcnt lgkmcnt(0)
	v_fma_f32 v20, -v21, v22, v20
.LBB110_775:
	s_or_b64 exec, exec, s[12:13]
	s_barrier
	s_and_saveexec_b64 s[12:13], s[36:37]
; %bb.776:
	v_xor_b32_e32 v21, 0x80000000, v20
	ds_write_b32 v4, v21
; %bb.777:
	s_or_b64 exec, exec, s[12:13]
	s_waitcnt lgkmcnt(0)
	s_barrier
	s_barrier
	s_and_saveexec_b64 s[12:13], s[2:3]
; %bb.778:
	v_lshlrev_b32_e32 v21, 2, v2
	v_lshl_or_b32 v21, v3, 8, v21
	ds_write_b32 v21, v20 offset:5712
; %bb.779:
	s_or_b64 exec, exec, s[12:13]
	s_waitcnt lgkmcnt(0)
	s_barrier
	s_barrier
	s_and_saveexec_b64 s[12:13], s[40:41]
	s_cbranch_execz .LBB110_781
; %bb.780:
	v_lshlrev_b32_e32 v20, 2, v0
	s_movk_i32 s14, 0xfc
	v_mad_u32_u24 v21, v0, s14, v20
	ds_read_b32 v22, v21 offset:5712
	s_waitcnt lgkmcnt(0)
	ds_write_b32 v20, v22 offset:5208
	ds_read_b32 v21, v21 offset:5716
	s_waitcnt lgkmcnt(0)
	ds_write_b32 v20, v21 offset:5464
.LBB110_781:
	s_or_b64 exec, exec, s[12:13]
	s_waitcnt lgkmcnt(0)
	s_barrier
	s_and_saveexec_b64 s[12:13], vcc
	s_cbranch_execz .LBB110_783
; %bb.782:
	v_mov_b32_e32 v22, 0
	ds_read_b32 v21, v22 offset:5456
	v_mov_b32_e32 v20, 1.0
	ds_write_b32 v22, v20 offset:5460
	s_waitcnt lgkmcnt(1)
	ds_write_b64 v22, v[20:21] offset:5200
.LBB110_783:
	s_or_b64 exec, exec, s[12:13]
	v_mov_b32_e32 v20, 0
	s_waitcnt lgkmcnt(0)
	s_barrier
	buffer_wbinvl1_vol
	s_and_saveexec_b64 s[14:15], s[18:19]
	s_cbranch_execz .LBB110_789
; %bb.784:
	v_lshlrev_b32_e32 v22, 2, v11
	v_lshlrev_b32_e32 v21, 8, v12
	ds_read_b32 v20, v22 offset:5184
	ds_read_b32 v23, v21 offset:5200
	v_cmp_gt_u32_e64 s[12:13], 12, v5
	s_waitcnt lgkmcnt(0)
	v_fma_f32 v20, v20, v23, 0
	s_and_saveexec_b64 s[16:17], s[12:13]
	s_cbranch_execnz .LBB110_1206
; %bb.785:
	s_or_b64 exec, exec, s[16:17]
	v_cmp_gt_u32_e64 s[12:13], 8, v5
	s_and_saveexec_b64 s[16:17], s[12:13]
	s_cbranch_execnz .LBB110_1207
.LBB110_786:
	s_or_b64 exec, exec, s[16:17]
	v_cmp_gt_u32_e64 s[12:13], 4, v5
	s_and_saveexec_b64 s[16:17], s[12:13]
	s_cbranch_execz .LBB110_788
.LBB110_787:
	v_lshlrev_b32_e32 v21, 2, v0
	v_mov_b32_e32 v22, 0
	ds_read_b32 v21, v21 offset:5952
	ds_read_b32 v22, v22 offset:5980
	s_waitcnt lgkmcnt(0)
	v_fmac_f32_e32 v20, v21, v22
.LBB110_788:
	s_or_b64 exec, exec, s[16:17]
.LBB110_789:
	s_or_b64 exec, exec, s[14:15]
	s_and_saveexec_b64 s[12:13], s[44:45]
; %bb.790:
	v_xor_b32_e32 v21, 0x80000000, v20
	ds_write_b32 v13, v21
; %bb.791:
	s_or_b64 exec, exec, s[12:13]
	s_waitcnt lgkmcnt(0)
	s_barrier
	s_and_saveexec_b64 s[12:13], s[46:47]
	s_cbranch_execz .LBB110_793
; %bb.792:
	v_lshlrev_b32_e32 v21, 2, v11
	ds_read_b32 v21, v21 offset:4928
	ds_read_b32 v22, v13
	s_waitcnt lgkmcnt(0)
	v_fma_f32 v20, -v21, v22, v20
.LBB110_793:
	s_or_b64 exec, exec, s[12:13]
	s_barrier
	s_and_saveexec_b64 s[12:13], s[48:49]
; %bb.794:
	v_xor_b32_e32 v21, 0x80000000, v20
	ds_write_b32 v13, v21
; %bb.795:
	s_or_b64 exec, exec, s[12:13]
	s_waitcnt lgkmcnt(0)
	s_barrier
	s_and_saveexec_b64 s[12:13], s[50:51]
	s_cbranch_execz .LBB110_797
; %bb.796:
	v_lshlrev_b32_e32 v21, 2, v11
	ds_read_b32 v21, v21 offset:4672
	ds_read_b32 v22, v13
	s_waitcnt lgkmcnt(0)
	v_fma_f32 v20, -v21, v22, v20
.LBB110_797:
	s_or_b64 exec, exec, s[12:13]
	s_barrier
	s_and_saveexec_b64 s[12:13], s[52:53]
; %bb.798:
	v_xor_b32_e32 v21, 0x80000000, v20
	ds_write_b32 v13, v21
; %bb.799:
	s_or_b64 exec, exec, s[12:13]
	s_waitcnt lgkmcnt(0)
	s_barrier
	s_and_saveexec_b64 s[12:13], s[42:43]
	s_cbranch_execz .LBB110_801
; %bb.800:
	v_mov_b32_e32 v21, 0
	ds_read_b32 v21, v21 offset:4416
	ds_read_b32 v22, v13
	s_waitcnt lgkmcnt(0)
	v_fma_f32 v20, -v21, v22, v20
.LBB110_801:
	s_or_b64 exec, exec, s[12:13]
	s_barrier
	s_and_saveexec_b64 s[12:13], s[42:43]
; %bb.802:
	v_xor_b32_e32 v21, 0x80000000, v20
	ds_write_b32 v13, v21
; %bb.803:
	s_or_b64 exec, exec, s[12:13]
	s_waitcnt lgkmcnt(0)
	s_barrier
	s_barrier
	s_and_saveexec_b64 s[12:13], s[18:19]
; %bb.804:
	v_lshlrev_b32_e32 v21, 2, v11
	v_lshl_or_b32 v21, v12, 8, v21
	ds_write_b32 v21, v20 offset:5184
; %bb.805:
	s_or_b64 exec, exec, s[12:13]
	s_waitcnt lgkmcnt(0)
	s_barrier
	s_barrier
	s_and_saveexec_b64 s[12:13], s[54:55]
	s_cbranch_execz .LBB110_807
; %bb.806:
	v_lshlrev_b32_e32 v20, 8, v0
	ds_read_b32 v21, v20 offset:5184
	s_movk_i32 s14, 0xff04
	v_mad_i32_i24 v22, v0, s14, v20
	s_waitcnt lgkmcnt(0)
	ds_write_b32 v22, v21 offset:4176
	ds_read_b32 v21, v20 offset:5188
	s_waitcnt lgkmcnt(0)
	ds_write_b32 v22, v21 offset:4432
	ds_read_b32 v21, v20 offset:5192
	;; [unrolled: 3-line block ×3, first 2 shown]
	s_waitcnt lgkmcnt(0)
	ds_write_b32 v22, v20 offset:4944
.LBB110_807:
	s_or_b64 exec, exec, s[12:13]
	s_waitcnt lgkmcnt(0)
	s_barrier
	s_and_saveexec_b64 s[12:13], vcc
	s_cbranch_execz .LBB110_809
; %bb.808:
	v_mov_b32_e32 v22, 0
	ds_read_b32 v21, v22 offset:4936
	v_mov_b32_e32 v20, 1.0
	ds_write_b32 v22, v20 offset:4940
	s_waitcnt lgkmcnt(1)
	ds_write_b64 v22, v[20:21] offset:4680
.LBB110_809:
	s_or_b64 exec, exec, s[12:13]
	v_mov_b32_e32 v20, 0
	s_waitcnt lgkmcnt(0)
	s_barrier
	buffer_wbinvl1_vol
	s_and_saveexec_b64 s[14:15], s[2:3]
	s_cbranch_execz .LBB110_813
; %bb.810:
	v_lshlrev_b32_e32 v20, 8, v3
	v_lshlrev_b32_e32 v21, 2, v2
	ds_read_b32 v22, v21 offset:4672
	ds_read_b32 v20, v20 offset:4680
	v_mov_b32_e32 v21, 0
	v_cmp_gt_u32_e64 s[12:13], 2, v5
	s_waitcnt lgkmcnt(0)
	v_fma_f32 v20, v22, v20, 0
	s_and_saveexec_b64 s[16:17], s[12:13]
	s_cbranch_execz .LBB110_812
; %bb.811:
	v_lshlrev_b32_e32 v22, 2, v0
	ds_read_b32 v22, v22 offset:4928
	ds_read_b32 v21, v21 offset:4940
	s_waitcnt lgkmcnt(0)
	v_fmac_f32_e32 v20, v22, v21
.LBB110_812:
	s_or_b64 exec, exec, s[16:17]
.LBB110_813:
	s_or_b64 exec, exec, s[14:15]
	s_and_saveexec_b64 s[12:13], s[38:39]
; %bb.814:
	v_xor_b32_e32 v21, 0x80000000, v20
	ds_write_b32 v4, v21
; %bb.815:
	s_or_b64 exec, exec, s[12:13]
	s_waitcnt lgkmcnt(0)
	s_barrier
	s_and_saveexec_b64 s[12:13], s[36:37]
	s_cbranch_execz .LBB110_817
; %bb.816:
	v_mov_b32_e32 v21, 0
	ds_read_b32 v21, v21 offset:4416
	ds_read_b32 v22, v4
	s_waitcnt lgkmcnt(0)
	v_fma_f32 v20, -v21, v22, v20
.LBB110_817:
	s_or_b64 exec, exec, s[12:13]
	s_barrier
	s_and_saveexec_b64 s[12:13], s[36:37]
; %bb.818:
	v_xor_b32_e32 v21, 0x80000000, v20
	ds_write_b32 v4, v21
; %bb.819:
	s_or_b64 exec, exec, s[12:13]
	s_waitcnt lgkmcnt(0)
	s_barrier
	s_barrier
	s_and_saveexec_b64 s[12:13], s[2:3]
; %bb.820:
	v_lshlrev_b32_e32 v21, 2, v2
	v_lshl_or_b32 v21, v3, 8, v21
	ds_write_b32 v21, v20 offset:4672
; %bb.821:
	s_or_b64 exec, exec, s[12:13]
	s_waitcnt lgkmcnt(0)
	s_barrier
	s_barrier
	s_and_saveexec_b64 s[12:13], s[40:41]
	s_cbranch_execz .LBB110_823
; %bb.822:
	v_lshlrev_b32_e32 v20, 2, v0
	s_movk_i32 s14, 0xfc
	v_mad_u32_u24 v21, v0, s14, v20
	ds_read_b32 v22, v21 offset:4672
	s_waitcnt lgkmcnt(0)
	ds_write_b32 v20, v22 offset:4168
	ds_read_b32 v21, v21 offset:4676
	s_waitcnt lgkmcnt(0)
	ds_write_b32 v20, v21 offset:4424
.LBB110_823:
	s_or_b64 exec, exec, s[12:13]
	s_waitcnt lgkmcnt(0)
	s_barrier
	s_and_saveexec_b64 s[12:13], vcc
	s_cbranch_execz .LBB110_825
; %bb.824:
	v_mov_b32_e32 v22, 0
	ds_read_b32 v21, v22 offset:4416
	v_mov_b32_e32 v20, 1.0
	ds_write_b32 v22, v20 offset:4420
	s_waitcnt lgkmcnt(1)
	ds_write_b64 v22, v[20:21] offset:4160
.LBB110_825:
	s_or_b64 exec, exec, s[12:13]
	v_mov_b32_e32 v20, 0
	s_waitcnt lgkmcnt(0)
	s_barrier
	buffer_wbinvl1_vol
	s_and_saveexec_b64 s[14:15], s[10:11]
	s_cbranch_execz .LBB110_853
; %bb.826:
	v_lshlrev_b32_e32 v22, 2, v17
	v_lshlrev_b32_e32 v21, 8, v18
	ds_read_b32 v20, v22 offset:4096
	ds_read_b32 v23, v21 offset:4160
	s_movk_i32 s12, 0xf0
	v_cmp_gt_u32_e64 s[12:13], s12, v5
	s_waitcnt lgkmcnt(0)
	v_fma_f32 v20, v20, v23, 0
	s_and_saveexec_b64 s[16:17], s[12:13]
	s_cbranch_execz .LBB110_828
; %bb.827:
	ds_read_b32 v23, v22 offset:4352
	ds_read_b32 v24, v21 offset:4164
	s_waitcnt lgkmcnt(0)
	v_fmac_f32_e32 v20, v23, v24
.LBB110_828:
	s_or_b64 exec, exec, s[16:17]
	s_movk_i32 s12, 0xe0
	v_cmp_gt_u32_e64 s[12:13], s12, v5
	s_and_saveexec_b64 s[16:17], s[12:13]
	s_cbranch_execz .LBB110_830
; %bb.829:
	ds_read_b32 v23, v22 offset:4608
	ds_read_b32 v24, v21 offset:4168
	s_waitcnt lgkmcnt(0)
	v_fmac_f32_e32 v20, v23, v24
.LBB110_830:
	s_or_b64 exec, exec, s[16:17]
	s_movk_i32 s12, 0xd0
	v_cmp_gt_u32_e64 s[12:13], s12, v5
	;; [unrolled: 11-line block ×10, first 2 shown]
	s_and_saveexec_b64 s[16:17], s[12:13]
	s_cbranch_execnz .LBB110_1208
; %bb.847:
	s_or_b64 exec, exec, s[16:17]
	s_and_saveexec_b64 s[12:13], s[8:9]
	s_cbranch_execnz .LBB110_1209
.LBB110_848:
	s_or_b64 exec, exec, s[12:13]
	v_cmp_gt_u32_e64 s[12:13], 48, v5
	s_and_saveexec_b64 s[16:17], s[12:13]
	s_cbranch_execnz .LBB110_1210
.LBB110_849:
	s_or_b64 exec, exec, s[16:17]
	v_cmp_gt_u32_e64 s[12:13], 32, v5
	s_and_saveexec_b64 s[16:17], s[12:13]
	s_cbranch_execnz .LBB110_1211
.LBB110_850:
	s_or_b64 exec, exec, s[16:17]
	v_cmp_gt_u32_e64 s[12:13], 16, v5
	s_and_saveexec_b64 s[16:17], s[12:13]
	s_cbranch_execz .LBB110_852
.LBB110_851:
	v_lshlrev_b32_e32 v21, 2, v0
	v_mov_b32_e32 v22, 0
	ds_read_b32 v21, v21 offset:7936
	ds_read_b32 v22, v22 offset:8060
	s_waitcnt lgkmcnt(0)
	v_fmac_f32_e32 v20, v21, v22
.LBB110_852:
	s_or_b64 exec, exec, s[16:17]
.LBB110_853:
	s_or_b64 exec, exec, s[14:15]
	s_mov_b64 s[12:13], exec
	v_readlane_b32 s14, v28, 2
	v_readlane_b32 s15, v28, 3
	s_and_b64 s[14:15], s[12:13], s[14:15]
	s_mov_b64 exec, s[14:15]
; %bb.854:
	v_xor_b32_e32 v21, 0x80000000, v20
	ds_write_b32 v19, v21
; %bb.855:
	s_or_b64 exec, exec, s[12:13]
	s_waitcnt lgkmcnt(0)
	s_barrier
	s_mov_b64 s[12:13], exec
	v_readlane_b32 s14, v28, 4
	v_readlane_b32 s15, v28, 5
	s_and_b64 s[14:15], s[12:13], s[14:15]
	s_mov_b64 exec, s[14:15]
	s_cbranch_execz .LBB110_857
; %bb.856:
	v_lshlrev_b32_e32 v21, 2, v17
	ds_read_b32 v21, v21 offset:3840
	ds_read_b32 v22, v19
	s_waitcnt lgkmcnt(0)
	v_fma_f32 v20, -v21, v22, v20
.LBB110_857:
	s_or_b64 exec, exec, s[12:13]
	s_barrier
	s_mov_b64 s[12:13], exec
	v_readlane_b32 s14, v28, 6
	v_readlane_b32 s15, v28, 7
	s_and_b64 s[14:15], s[12:13], s[14:15]
	s_mov_b64 exec, s[14:15]
; %bb.858:
	v_xor_b32_e32 v21, 0x80000000, v20
	ds_write_b32 v19, v21
; %bb.859:
	s_or_b64 exec, exec, s[12:13]
	s_waitcnt lgkmcnt(0)
	s_barrier
	s_mov_b64 s[12:13], exec
	v_readlane_b32 s14, v28, 8
	v_readlane_b32 s15, v28, 9
	s_and_b64 s[14:15], s[12:13], s[14:15]
	s_mov_b64 exec, s[14:15]
	s_cbranch_execz .LBB110_861
; %bb.860:
	v_lshlrev_b32_e32 v21, 2, v17
	ds_read_b32 v21, v21 offset:3584
	ds_read_b32 v22, v19
	s_waitcnt lgkmcnt(0)
	v_fma_f32 v20, -v21, v22, v20
.LBB110_861:
	s_or_b64 exec, exec, s[12:13]
	s_barrier
	;; [unrolled: 27-line block ×13, first 2 shown]
	s_and_saveexec_b64 s[12:13], s[0:1]
; %bb.906:
	v_xor_b32_e32 v21, 0x80000000, v20
	ds_write_b32 v19, v21
; %bb.907:
	s_or_b64 exec, exec, s[12:13]
	s_waitcnt lgkmcnt(0)
	s_barrier
	s_mov_b64 s[0:1], exec
	v_readlane_b32 s12, v28, 54
	v_readlane_b32 s13, v28, 55
	s_and_b64 s[12:13], s[0:1], s[12:13]
	s_mov_b64 exec, s[12:13]
	s_cbranch_execz .LBB110_909
; %bb.908:
	v_lshlrev_b32_e32 v21, 2, v17
	ds_read_b32 v21, v21 offset:512
	ds_read_b32 v22, v19
	s_waitcnt lgkmcnt(0)
	v_fma_f32 v20, -v21, v22, v20
.LBB110_909:
	s_or_b64 exec, exec, s[0:1]
	s_barrier
	s_and_saveexec_b64 s[0:1], s[90:91]
; %bb.910:
	v_xor_b32_e32 v21, 0x80000000, v20
	ds_write_b32 v19, v21
; %bb.911:
	s_or_b64 exec, exec, s[0:1]
	s_waitcnt lgkmcnt(0)
	s_barrier
	s_and_saveexec_b64 s[0:1], s[86:87]
	s_cbranch_execz .LBB110_913
; %bb.912:
	v_mov_b32_e32 v21, 0
	ds_read_b32 v21, v21 offset:256
	ds_read_b32 v22, v19
	s_waitcnt lgkmcnt(0)
	v_fma_f32 v20, -v21, v22, v20
.LBB110_913:
	s_or_b64 exec, exec, s[0:1]
	s_barrier
	s_and_saveexec_b64 s[0:1], s[86:87]
; %bb.914:
	v_xor_b32_e32 v21, 0x80000000, v20
	ds_write_b32 v19, v21
; %bb.915:
	s_or_b64 exec, exec, s[0:1]
	s_waitcnt lgkmcnt(0)
	s_barrier
	s_barrier
	s_and_saveexec_b64 s[0:1], s[10:11]
; %bb.916:
	v_lshlrev_b32_e32 v17, 2, v17
	v_lshl_or_b32 v17, v18, 8, v17
	ds_write_b32 v17, v20 offset:4096
; %bb.917:
	s_or_b64 exec, exec, s[0:1]
	s_waitcnt lgkmcnt(0)
	s_barrier
	s_barrier
	s_and_saveexec_b64 s[0:1], s[92:93]
	s_cbranch_execz .LBB110_919
; %bb.918:
	v_lshlrev_b32_e32 v17, 8, v0
	ds_read_b32 v18, v17 offset:4096
	s_movk_i32 s10, 0xff04
	v_mad_i32_i24 v19, v0, s10, v17
	s_waitcnt lgkmcnt(0)
	ds_write_b32 v19, v18 offset:64
	ds_read_b32 v18, v17 offset:4100
	s_waitcnt lgkmcnt(0)
	ds_write_b32 v19, v18 offset:320
	ds_read_b32 v18, v17 offset:4104
	;; [unrolled: 3-line block ×15, first 2 shown]
	s_waitcnt lgkmcnt(0)
	ds_write_b32 v19, v17 offset:3904
.LBB110_919:
	s_or_b64 exec, exec, s[0:1]
	s_waitcnt lgkmcnt(0)
	s_barrier
	s_and_saveexec_b64 s[0:1], vcc
	s_cbranch_execz .LBB110_921
; %bb.920:
	v_mov_b32_e32 v19, 0
	ds_read_b32 v18, v19 offset:3896
	v_mov_b32_e32 v17, 1.0
	ds_write_b32 v19, v17 offset:3900
	s_waitcnt lgkmcnt(1)
	ds_write_b64 v19, v[17:18] offset:3640
.LBB110_921:
	s_or_b64 exec, exec, s[0:1]
	v_mov_b32_e32 v17, 0
	s_waitcnt lgkmcnt(0)
	s_barrier
	buffer_wbinvl1_vol
	s_and_saveexec_b64 s[0:1], s[2:3]
	s_cbranch_execz .LBB110_925
; %bb.922:
	v_lshlrev_b32_e32 v17, 8, v3
	v_lshlrev_b32_e32 v18, 2, v2
	ds_read_b32 v19, v18 offset:3632
	ds_read_b32 v17, v17 offset:3640
	v_mov_b32_e32 v18, 0
	v_cmp_gt_u32_e64 s[10:11], 2, v5
	s_waitcnt lgkmcnt(0)
	v_fma_f32 v17, v19, v17, 0
	s_and_saveexec_b64 s[12:13], s[10:11]
	s_cbranch_execz .LBB110_924
; %bb.923:
	v_lshlrev_b32_e32 v19, 2, v0
	ds_read_b32 v19, v19 offset:3888
	ds_read_b32 v18, v18 offset:3900
	s_waitcnt lgkmcnt(0)
	v_fmac_f32_e32 v17, v19, v18
.LBB110_924:
	s_or_b64 exec, exec, s[12:13]
.LBB110_925:
	s_or_b64 exec, exec, s[0:1]
	s_and_saveexec_b64 s[0:1], s[38:39]
; %bb.926:
	v_xor_b32_e32 v18, 0x80000000, v17
	ds_write_b32 v4, v18
; %bb.927:
	s_or_b64 exec, exec, s[0:1]
	s_waitcnt lgkmcnt(0)
	s_barrier
	s_and_saveexec_b64 s[0:1], s[36:37]
	s_cbranch_execz .LBB110_929
; %bb.928:
	v_mov_b32_e32 v18, 0
	ds_read_b32 v18, v18 offset:3376
	ds_read_b32 v19, v4
	s_waitcnt lgkmcnt(0)
	v_fma_f32 v17, -v18, v19, v17
.LBB110_929:
	s_or_b64 exec, exec, s[0:1]
	s_barrier
	s_and_saveexec_b64 s[0:1], s[36:37]
; %bb.930:
	v_xor_b32_e32 v18, 0x80000000, v17
	ds_write_b32 v4, v18
; %bb.931:
	s_or_b64 exec, exec, s[0:1]
	s_waitcnt lgkmcnt(0)
	s_barrier
	s_barrier
	s_and_saveexec_b64 s[0:1], s[2:3]
; %bb.932:
	v_lshlrev_b32_e32 v18, 2, v2
	v_lshl_or_b32 v18, v3, 8, v18
	ds_write_b32 v18, v17 offset:3632
; %bb.933:
	s_or_b64 exec, exec, s[0:1]
	s_waitcnt lgkmcnt(0)
	s_barrier
	s_barrier
	s_and_saveexec_b64 s[0:1], s[40:41]
	s_cbranch_execz .LBB110_935
; %bb.934:
	v_lshlrev_b32_e32 v17, 2, v0
	s_movk_i32 s10, 0xfc
	v_mad_u32_u24 v18, v0, s10, v17
	ds_read_b32 v19, v18 offset:3632
	s_waitcnt lgkmcnt(0)
	ds_write_b32 v17, v19 offset:3128
	ds_read_b32 v18, v18 offset:3636
	s_waitcnt lgkmcnt(0)
	ds_write_b32 v17, v18 offset:3384
.LBB110_935:
	s_or_b64 exec, exec, s[0:1]
	s_waitcnt lgkmcnt(0)
	s_barrier
	s_and_saveexec_b64 s[0:1], vcc
	s_cbranch_execz .LBB110_937
; %bb.936:
	v_mov_b32_e32 v19, 0
	ds_read_b32 v18, v19 offset:3376
	v_mov_b32_e32 v17, 1.0
	ds_write_b32 v19, v17 offset:3380
	s_waitcnt lgkmcnt(1)
	ds_write_b64 v19, v[17:18] offset:3120
.LBB110_937:
	s_or_b64 exec, exec, s[0:1]
	v_mov_b32_e32 v17, 0
	s_waitcnt lgkmcnt(0)
	s_barrier
	buffer_wbinvl1_vol
	s_and_saveexec_b64 s[0:1], s[18:19]
	s_cbranch_execz .LBB110_943
; %bb.938:
	v_lshlrev_b32_e32 v19, 2, v11
	v_lshlrev_b32_e32 v18, 8, v12
	ds_read_b32 v17, v19 offset:3104
	ds_read_b32 v20, v18 offset:3120
	v_cmp_gt_u32_e64 s[10:11], 12, v5
	s_waitcnt lgkmcnt(0)
	v_fma_f32 v17, v17, v20, 0
	s_and_saveexec_b64 s[12:13], s[10:11]
	s_cbranch_execnz .LBB110_1212
; %bb.939:
	s_or_b64 exec, exec, s[12:13]
	v_cmp_gt_u32_e64 s[10:11], 8, v5
	s_and_saveexec_b64 s[12:13], s[10:11]
	s_cbranch_execnz .LBB110_1213
.LBB110_940:
	s_or_b64 exec, exec, s[12:13]
	v_cmp_gt_u32_e64 s[10:11], 4, v5
	s_and_saveexec_b64 s[12:13], s[10:11]
	s_cbranch_execz .LBB110_942
.LBB110_941:
	v_lshlrev_b32_e32 v18, 2, v0
	v_mov_b32_e32 v19, 0
	ds_read_b32 v18, v18 offset:3872
	ds_read_b32 v19, v19 offset:3900
	s_waitcnt lgkmcnt(0)
	v_fmac_f32_e32 v17, v18, v19
.LBB110_942:
	s_or_b64 exec, exec, s[12:13]
.LBB110_943:
	s_or_b64 exec, exec, s[0:1]
	s_and_saveexec_b64 s[0:1], s[44:45]
; %bb.944:
	v_xor_b32_e32 v18, 0x80000000, v17
	ds_write_b32 v13, v18
; %bb.945:
	s_or_b64 exec, exec, s[0:1]
	s_waitcnt lgkmcnt(0)
	s_barrier
	s_and_saveexec_b64 s[0:1], s[46:47]
	s_cbranch_execz .LBB110_947
; %bb.946:
	v_lshlrev_b32_e32 v18, 2, v11
	ds_read_b32 v18, v18 offset:2848
	ds_read_b32 v19, v13
	s_waitcnt lgkmcnt(0)
	v_fma_f32 v17, -v18, v19, v17
.LBB110_947:
	s_or_b64 exec, exec, s[0:1]
	s_barrier
	s_and_saveexec_b64 s[0:1], s[48:49]
; %bb.948:
	v_xor_b32_e32 v18, 0x80000000, v17
	ds_write_b32 v13, v18
; %bb.949:
	s_or_b64 exec, exec, s[0:1]
	s_waitcnt lgkmcnt(0)
	s_barrier
	s_and_saveexec_b64 s[0:1], s[50:51]
	s_cbranch_execz .LBB110_951
; %bb.950:
	v_lshlrev_b32_e32 v18, 2, v11
	ds_read_b32 v18, v18 offset:2592
	ds_read_b32 v19, v13
	s_waitcnt lgkmcnt(0)
	v_fma_f32 v17, -v18, v19, v17
.LBB110_951:
	s_or_b64 exec, exec, s[0:1]
	s_barrier
	s_and_saveexec_b64 s[0:1], s[52:53]
; %bb.952:
	v_xor_b32_e32 v18, 0x80000000, v17
	ds_write_b32 v13, v18
; %bb.953:
	s_or_b64 exec, exec, s[0:1]
	s_waitcnt lgkmcnt(0)
	s_barrier
	s_and_saveexec_b64 s[0:1], s[42:43]
	s_cbranch_execz .LBB110_955
; %bb.954:
	v_mov_b32_e32 v18, 0
	ds_read_b32 v18, v18 offset:2336
	ds_read_b32 v19, v13
	s_waitcnt lgkmcnt(0)
	v_fma_f32 v17, -v18, v19, v17
.LBB110_955:
	s_or_b64 exec, exec, s[0:1]
	s_barrier
	s_and_saveexec_b64 s[0:1], s[42:43]
; %bb.956:
	v_xor_b32_e32 v18, 0x80000000, v17
	ds_write_b32 v13, v18
; %bb.957:
	s_or_b64 exec, exec, s[0:1]
	s_waitcnt lgkmcnt(0)
	s_barrier
	s_barrier
	s_and_saveexec_b64 s[0:1], s[18:19]
; %bb.958:
	v_lshlrev_b32_e32 v18, 2, v11
	v_lshl_or_b32 v18, v12, 8, v18
	ds_write_b32 v18, v17 offset:3104
; %bb.959:
	s_or_b64 exec, exec, s[0:1]
	s_waitcnt lgkmcnt(0)
	s_barrier
	s_barrier
	s_and_saveexec_b64 s[0:1], s[54:55]
	s_cbranch_execz .LBB110_961
; %bb.960:
	v_lshlrev_b32_e32 v17, 8, v0
	ds_read_b32 v18, v17 offset:3104
	s_movk_i32 s10, 0xff04
	v_mad_i32_i24 v19, v0, s10, v17
	s_waitcnt lgkmcnt(0)
	ds_write_b32 v19, v18 offset:2096
	ds_read_b32 v18, v17 offset:3108
	s_waitcnt lgkmcnt(0)
	ds_write_b32 v19, v18 offset:2352
	ds_read_b32 v18, v17 offset:3112
	;; [unrolled: 3-line block ×3, first 2 shown]
	s_waitcnt lgkmcnt(0)
	ds_write_b32 v19, v17 offset:2864
.LBB110_961:
	s_or_b64 exec, exec, s[0:1]
	s_waitcnt lgkmcnt(0)
	s_barrier
	s_and_saveexec_b64 s[0:1], vcc
	s_cbranch_execz .LBB110_963
; %bb.962:
	v_mov_b32_e32 v19, 0
	ds_read_b32 v18, v19 offset:2856
	v_mov_b32_e32 v17, 1.0
	ds_write_b32 v19, v17 offset:2860
	s_waitcnt lgkmcnt(1)
	ds_write_b64 v19, v[17:18] offset:2600
.LBB110_963:
	s_or_b64 exec, exec, s[0:1]
	v_mov_b32_e32 v17, 0
	s_waitcnt lgkmcnt(0)
	s_barrier
	buffer_wbinvl1_vol
	s_and_saveexec_b64 s[0:1], s[2:3]
	s_cbranch_execz .LBB110_967
; %bb.964:
	v_lshlrev_b32_e32 v17, 8, v3
	v_lshlrev_b32_e32 v18, 2, v2
	ds_read_b32 v19, v18 offset:2592
	ds_read_b32 v17, v17 offset:2600
	v_mov_b32_e32 v18, 0
	v_cmp_gt_u32_e64 s[10:11], 2, v5
	s_waitcnt lgkmcnt(0)
	v_fma_f32 v17, v19, v17, 0
	s_and_saveexec_b64 s[12:13], s[10:11]
	s_cbranch_execz .LBB110_966
; %bb.965:
	v_lshlrev_b32_e32 v19, 2, v0
	ds_read_b32 v19, v19 offset:2848
	ds_read_b32 v18, v18 offset:2860
	s_waitcnt lgkmcnt(0)
	v_fmac_f32_e32 v17, v19, v18
.LBB110_966:
	s_or_b64 exec, exec, s[12:13]
.LBB110_967:
	s_or_b64 exec, exec, s[0:1]
	s_and_saveexec_b64 s[0:1], s[38:39]
; %bb.968:
	v_xor_b32_e32 v18, 0x80000000, v17
	ds_write_b32 v4, v18
; %bb.969:
	s_or_b64 exec, exec, s[0:1]
	s_waitcnt lgkmcnt(0)
	s_barrier
	s_and_saveexec_b64 s[0:1], s[36:37]
	s_cbranch_execz .LBB110_971
; %bb.970:
	v_mov_b32_e32 v18, 0
	ds_read_b32 v18, v18 offset:2336
	ds_read_b32 v19, v4
	s_waitcnt lgkmcnt(0)
	v_fma_f32 v17, -v18, v19, v17
.LBB110_971:
	s_or_b64 exec, exec, s[0:1]
	s_barrier
	s_and_saveexec_b64 s[0:1], s[36:37]
; %bb.972:
	v_xor_b32_e32 v18, 0x80000000, v17
	ds_write_b32 v4, v18
; %bb.973:
	s_or_b64 exec, exec, s[0:1]
	s_waitcnt lgkmcnt(0)
	s_barrier
	s_barrier
	s_and_saveexec_b64 s[0:1], s[2:3]
; %bb.974:
	v_lshlrev_b32_e32 v18, 2, v2
	v_lshl_or_b32 v18, v3, 8, v18
	ds_write_b32 v18, v17 offset:2592
; %bb.975:
	s_or_b64 exec, exec, s[0:1]
	s_waitcnt lgkmcnt(0)
	s_barrier
	s_barrier
	s_and_saveexec_b64 s[0:1], s[40:41]
	s_cbranch_execz .LBB110_977
; %bb.976:
	v_lshlrev_b32_e32 v17, 2, v0
	s_movk_i32 s10, 0xfc
	v_mad_u32_u24 v18, v0, s10, v17
	ds_read_b32 v19, v18 offset:2592
	s_waitcnt lgkmcnt(0)
	ds_write_b32 v17, v19 offset:2088
	ds_read_b32 v18, v18 offset:2596
	s_waitcnt lgkmcnt(0)
	ds_write_b32 v17, v18 offset:2344
.LBB110_977:
	s_or_b64 exec, exec, s[0:1]
	s_waitcnt lgkmcnt(0)
	s_barrier
	s_and_saveexec_b64 s[0:1], vcc
	s_cbranch_execz .LBB110_979
; %bb.978:
	v_mov_b32_e32 v19, 0
	ds_read_b32 v18, v19 offset:2336
	v_mov_b32_e32 v17, 1.0
	ds_write_b32 v19, v17 offset:2340
	s_waitcnt lgkmcnt(1)
	ds_write_b64 v19, v[17:18] offset:2080
.LBB110_979:
	s_or_b64 exec, exec, s[0:1]
	v_mov_b32_e32 v17, 0
	s_waitcnt lgkmcnt(0)
	s_barrier
	buffer_wbinvl1_vol
	s_and_saveexec_b64 s[0:1], s[8:9]
	s_cbranch_execz .LBB110_989
; %bb.980:
	v_lshlrev_b32_e32 v19, 2, v14
	v_lshlrev_b32_e32 v18, 8, v15
	ds_read_b32 v17, v19 offset:2048
	ds_read_b32 v20, v18 offset:2080
	v_cmp_gt_u32_e64 s[10:11], 56, v5
	s_waitcnt lgkmcnt(0)
	v_fma_f32 v17, v17, v20, 0
	s_and_saveexec_b64 s[12:13], s[10:11]
	s_cbranch_execnz .LBB110_1214
; %bb.981:
	s_or_b64 exec, exec, s[12:13]
	v_cmp_gt_u32_e64 s[10:11], 48, v5
	s_and_saveexec_b64 s[12:13], s[10:11]
	s_cbranch_execnz .LBB110_1215
.LBB110_982:
	s_or_b64 exec, exec, s[12:13]
	v_cmp_gt_u32_e64 s[10:11], 40, v5
	s_and_saveexec_b64 s[12:13], s[10:11]
	s_cbranch_execnz .LBB110_1216
.LBB110_983:
	s_or_b64 exec, exec, s[12:13]
	v_cmp_gt_u32_e64 s[10:11], 32, v5
	s_and_saveexec_b64 s[12:13], s[10:11]
	s_cbranch_execnz .LBB110_1217
.LBB110_984:
	s_or_b64 exec, exec, s[12:13]
	v_cmp_gt_u32_e64 s[10:11], 24, v5
	s_and_saveexec_b64 s[12:13], s[10:11]
	s_cbranch_execnz .LBB110_1218
.LBB110_985:
	s_or_b64 exec, exec, s[12:13]
	s_and_saveexec_b64 s[10:11], s[18:19]
	s_cbranch_execnz .LBB110_1219
.LBB110_986:
	s_or_b64 exec, exec, s[10:11]
	v_cmp_gt_u32_e64 s[10:11], 8, v5
	s_and_saveexec_b64 s[12:13], s[10:11]
	s_cbranch_execz .LBB110_988
.LBB110_987:
	v_lshlrev_b32_e32 v18, 2, v0
	v_mov_b32_e32 v19, 0
	ds_read_b32 v18, v18 offset:3840
	ds_read_b32 v19, v19 offset:3900
	s_waitcnt lgkmcnt(0)
	v_fmac_f32_e32 v17, v18, v19
.LBB110_988:
	s_or_b64 exec, exec, s[12:13]
.LBB110_989:
	s_or_b64 exec, exec, s[0:1]
	s_and_saveexec_b64 s[0:1], s[56:57]
; %bb.990:
	v_xor_b32_e32 v18, 0x80000000, v17
	ds_write_b32 v16, v18
; %bb.991:
	s_or_b64 exec, exec, s[0:1]
	s_waitcnt lgkmcnt(0)
	s_barrier
	s_and_saveexec_b64 s[0:1], s[58:59]
	s_cbranch_execz .LBB110_993
; %bb.992:
	v_lshlrev_b32_e32 v18, 2, v14
	ds_read_b32 v18, v18 offset:1792
	ds_read_b32 v19, v16
	s_waitcnt lgkmcnt(0)
	v_fma_f32 v17, -v18, v19, v17
.LBB110_993:
	s_or_b64 exec, exec, s[0:1]
	s_barrier
	s_and_saveexec_b64 s[0:1], s[60:61]
; %bb.994:
	v_xor_b32_e32 v18, 0x80000000, v17
	ds_write_b32 v16, v18
; %bb.995:
	s_or_b64 exec, exec, s[0:1]
	s_waitcnt lgkmcnt(0)
	s_barrier
	s_and_saveexec_b64 s[0:1], s[62:63]
	s_cbranch_execz .LBB110_997
; %bb.996:
	v_lshlrev_b32_e32 v18, 2, v14
	ds_read_b32 v18, v18 offset:1536
	ds_read_b32 v19, v16
	s_waitcnt lgkmcnt(0)
	v_fma_f32 v17, -v18, v19, v17
.LBB110_997:
	s_or_b64 exec, exec, s[0:1]
	s_barrier
	;; [unrolled: 19-line block ×6, first 2 shown]
	s_and_saveexec_b64 s[0:1], s[82:83]
; %bb.1014:
	v_xor_b32_e32 v18, 0x80000000, v17
	ds_write_b32 v16, v18
; %bb.1015:
	s_or_b64 exec, exec, s[0:1]
	s_waitcnt lgkmcnt(0)
	s_barrier
	s_and_saveexec_b64 s[0:1], s[66:67]
	s_cbranch_execz .LBB110_1017
; %bb.1016:
	v_mov_b32_e32 v18, 0
	ds_read_b32 v18, v18 offset:256
	ds_read_b32 v19, v16
	s_waitcnt lgkmcnt(0)
	v_fma_f32 v17, -v18, v19, v17
.LBB110_1017:
	s_or_b64 exec, exec, s[0:1]
	s_barrier
	s_and_saveexec_b64 s[0:1], s[66:67]
; %bb.1018:
	v_xor_b32_e32 v18, 0x80000000, v17
	ds_write_b32 v16, v18
; %bb.1019:
	s_or_b64 exec, exec, s[0:1]
	s_waitcnt lgkmcnt(0)
	s_barrier
	s_barrier
	s_and_saveexec_b64 s[0:1], s[8:9]
; %bb.1020:
	v_lshlrev_b32_e32 v14, 2, v14
	v_lshl_or_b32 v14, v15, 8, v14
	ds_write_b32 v14, v17 offset:2048
; %bb.1021:
	s_or_b64 exec, exec, s[0:1]
	s_waitcnt lgkmcnt(0)
	s_barrier
	s_barrier
	s_and_saveexec_b64 s[0:1], s[84:85]
	s_cbranch_execz .LBB110_1023
; %bb.1022:
	v_lshlrev_b32_e32 v14, 8, v0
	ds_read_b32 v15, v14 offset:2048
	s_movk_i32 s8, 0xff04
	v_mad_i32_i24 v16, v0, s8, v14
	s_waitcnt lgkmcnt(0)
	ds_write_b32 v16, v15 offset:32
	ds_read_b32 v15, v14 offset:2052
	s_waitcnt lgkmcnt(0)
	ds_write_b32 v16, v15 offset:288
	ds_read_b32 v15, v14 offset:2056
	;; [unrolled: 3-line block ×7, first 2 shown]
	s_waitcnt lgkmcnt(0)
	ds_write_b32 v16, v14 offset:1824
.LBB110_1023:
	s_or_b64 exec, exec, s[0:1]
	s_waitcnt lgkmcnt(0)
	s_barrier
	s_and_saveexec_b64 s[0:1], vcc
	s_cbranch_execz .LBB110_1025
; %bb.1024:
	v_mov_b32_e32 v16, 0
	ds_read_b32 v15, v16 offset:1816
	v_mov_b32_e32 v14, 1.0
	ds_write_b32 v16, v14 offset:1820
	s_waitcnt lgkmcnt(1)
	ds_write_b64 v16, v[14:15] offset:1560
.LBB110_1025:
	s_or_b64 exec, exec, s[0:1]
	v_mov_b32_e32 v14, 0
	s_waitcnt lgkmcnt(0)
	s_barrier
	buffer_wbinvl1_vol
	s_and_saveexec_b64 s[0:1], s[2:3]
	s_cbranch_execz .LBB110_1029
; %bb.1026:
	v_lshlrev_b32_e32 v14, 8, v3
	v_lshlrev_b32_e32 v15, 2, v2
	ds_read_b32 v16, v15 offset:1552
	ds_read_b32 v14, v14 offset:1560
	v_mov_b32_e32 v15, 0
	v_cmp_gt_u32_e64 s[8:9], 2, v5
	s_waitcnt lgkmcnt(0)
	v_fma_f32 v14, v16, v14, 0
	s_and_saveexec_b64 s[10:11], s[8:9]
	s_cbranch_execz .LBB110_1028
; %bb.1027:
	v_lshlrev_b32_e32 v16, 2, v0
	ds_read_b32 v16, v16 offset:1808
	ds_read_b32 v15, v15 offset:1820
	s_waitcnt lgkmcnt(0)
	v_fmac_f32_e32 v14, v16, v15
.LBB110_1028:
	s_or_b64 exec, exec, s[10:11]
.LBB110_1029:
	s_or_b64 exec, exec, s[0:1]
	s_and_saveexec_b64 s[0:1], s[38:39]
; %bb.1030:
	v_xor_b32_e32 v15, 0x80000000, v14
	ds_write_b32 v4, v15
; %bb.1031:
	s_or_b64 exec, exec, s[0:1]
	s_waitcnt lgkmcnt(0)
	s_barrier
	s_and_saveexec_b64 s[0:1], s[36:37]
	s_cbranch_execz .LBB110_1033
; %bb.1032:
	v_mov_b32_e32 v15, 0
	ds_read_b32 v15, v15 offset:1296
	ds_read_b32 v16, v4
	s_waitcnt lgkmcnt(0)
	v_fma_f32 v14, -v15, v16, v14
.LBB110_1033:
	s_or_b64 exec, exec, s[0:1]
	s_barrier
	s_and_saveexec_b64 s[0:1], s[36:37]
; %bb.1034:
	v_xor_b32_e32 v15, 0x80000000, v14
	ds_write_b32 v4, v15
; %bb.1035:
	s_or_b64 exec, exec, s[0:1]
	s_waitcnt lgkmcnt(0)
	s_barrier
	s_barrier
	s_and_saveexec_b64 s[0:1], s[2:3]
; %bb.1036:
	v_lshlrev_b32_e32 v15, 2, v2
	v_lshl_or_b32 v15, v3, 8, v15
	ds_write_b32 v15, v14 offset:1552
; %bb.1037:
	s_or_b64 exec, exec, s[0:1]
	s_waitcnt lgkmcnt(0)
	s_barrier
	s_barrier
	s_and_saveexec_b64 s[0:1], s[40:41]
	s_cbranch_execz .LBB110_1039
; %bb.1038:
	v_lshlrev_b32_e32 v14, 2, v0
	s_movk_i32 s8, 0xfc
	v_mad_u32_u24 v15, v0, s8, v14
	ds_read_b32 v16, v15 offset:1552
	s_waitcnt lgkmcnt(0)
	ds_write_b32 v14, v16 offset:1048
	ds_read_b32 v15, v15 offset:1556
	s_waitcnt lgkmcnt(0)
	ds_write_b32 v14, v15 offset:1304
.LBB110_1039:
	s_or_b64 exec, exec, s[0:1]
	s_waitcnt lgkmcnt(0)
	s_barrier
	s_and_saveexec_b64 s[0:1], vcc
	s_cbranch_execz .LBB110_1041
; %bb.1040:
	v_mov_b32_e32 v16, 0
	ds_read_b32 v15, v16 offset:1296
	v_mov_b32_e32 v14, 1.0
	ds_write_b32 v16, v14 offset:1300
	s_waitcnt lgkmcnt(1)
	ds_write_b64 v16, v[14:15] offset:1040
.LBB110_1041:
	s_or_b64 exec, exec, s[0:1]
	v_mov_b32_e32 v14, 0
	s_waitcnt lgkmcnt(0)
	s_barrier
	buffer_wbinvl1_vol
	s_and_saveexec_b64 s[0:1], s[18:19]
	s_cbranch_execz .LBB110_1047
; %bb.1042:
	v_lshlrev_b32_e32 v16, 2, v11
	v_lshlrev_b32_e32 v15, 8, v12
	ds_read_b32 v14, v16 offset:1024
	ds_read_b32 v17, v15 offset:1040
	v_cmp_gt_u32_e64 s[8:9], 12, v5
	s_waitcnt lgkmcnt(0)
	v_fma_f32 v14, v14, v17, 0
	s_and_saveexec_b64 s[10:11], s[8:9]
	s_cbranch_execnz .LBB110_1220
; %bb.1043:
	s_or_b64 exec, exec, s[10:11]
	v_cmp_gt_u32_e64 s[8:9], 8, v5
	s_and_saveexec_b64 s[10:11], s[8:9]
	s_cbranch_execnz .LBB110_1221
.LBB110_1044:
	s_or_b64 exec, exec, s[10:11]
	v_cmp_gt_u32_e64 s[8:9], 4, v5
	s_and_saveexec_b64 s[10:11], s[8:9]
	s_cbranch_execz .LBB110_1046
.LBB110_1045:
	v_lshlrev_b32_e32 v15, 2, v0
	v_mov_b32_e32 v16, 0
	ds_read_b32 v15, v15 offset:1792
	ds_read_b32 v16, v16 offset:1820
	s_waitcnt lgkmcnt(0)
	v_fmac_f32_e32 v14, v15, v16
.LBB110_1046:
	s_or_b64 exec, exec, s[10:11]
.LBB110_1047:
	s_or_b64 exec, exec, s[0:1]
	s_and_saveexec_b64 s[0:1], s[44:45]
; %bb.1048:
	v_xor_b32_e32 v15, 0x80000000, v14
	ds_write_b32 v13, v15
; %bb.1049:
	s_or_b64 exec, exec, s[0:1]
	s_waitcnt lgkmcnt(0)
	s_barrier
	s_and_saveexec_b64 s[0:1], s[46:47]
	s_load_dword s16, s[4:5], 0x6c
	v_readlane_b32 s44, v28, 0
	v_readlane_b32 s45, v28, 1
	s_cbranch_execz .LBB110_1051
; %bb.1050:
	v_lshlrev_b32_e32 v15, 2, v11
	ds_read_b32 v15, v15 offset:768
	ds_read_b32 v16, v13
	s_waitcnt lgkmcnt(0)
	v_fma_f32 v14, -v15, v16, v14
.LBB110_1051:
	s_or_b64 exec, exec, s[0:1]
	s_waitcnt lgkmcnt(0)
	s_barrier
	s_and_saveexec_b64 s[0:1], s[48:49]
; %bb.1052:
	v_xor_b32_e32 v15, 0x80000000, v14
	ds_write_b32 v13, v15
; %bb.1053:
	s_or_b64 exec, exec, s[0:1]
	s_waitcnt lgkmcnt(0)
	s_barrier
	s_and_saveexec_b64 s[0:1], s[50:51]
	s_cbranch_execz .LBB110_1055
; %bb.1054:
	v_lshlrev_b32_e32 v15, 2, v11
	ds_read_b32 v15, v15 offset:512
	ds_read_b32 v16, v13
	s_waitcnt lgkmcnt(0)
	v_fma_f32 v14, -v15, v16, v14
.LBB110_1055:
	s_or_b64 exec, exec, s[0:1]
	s_barrier
	s_and_saveexec_b64 s[0:1], s[52:53]
; %bb.1056:
	v_xor_b32_e32 v15, 0x80000000, v14
	ds_write_b32 v13, v15
; %bb.1057:
	s_or_b64 exec, exec, s[0:1]
	s_waitcnt lgkmcnt(0)
	s_barrier
	s_and_saveexec_b64 s[0:1], s[42:43]
	s_cbranch_execz .LBB110_1059
; %bb.1058:
	v_mov_b32_e32 v15, 0
	ds_read_b32 v15, v15 offset:256
	ds_read_b32 v16, v13
	s_waitcnt lgkmcnt(0)
	v_fma_f32 v14, -v15, v16, v14
.LBB110_1059:
	s_or_b64 exec, exec, s[0:1]
	s_barrier
	s_and_saveexec_b64 s[0:1], s[42:43]
; %bb.1060:
	v_xor_b32_e32 v15, 0x80000000, v14
	ds_write_b32 v13, v15
; %bb.1061:
	s_or_b64 exec, exec, s[0:1]
	s_waitcnt lgkmcnt(0)
	s_barrier
	s_barrier
	s_and_saveexec_b64 s[0:1], s[18:19]
; %bb.1062:
	v_lshlrev_b32_e32 v11, 2, v11
	v_lshl_or_b32 v11, v12, 8, v11
	ds_write_b32 v11, v14 offset:1024
; %bb.1063:
	s_or_b64 exec, exec, s[0:1]
	s_waitcnt lgkmcnt(0)
	s_barrier
	s_barrier
	s_and_saveexec_b64 s[0:1], s[54:55]
	s_cbranch_execz .LBB110_1065
; %bb.1064:
	v_lshlrev_b32_e32 v11, 8, v0
	ds_read_b32 v12, v11 offset:1024
	s_movk_i32 s8, 0xff04
	v_mad_i32_i24 v13, v0, s8, v11
	s_waitcnt lgkmcnt(0)
	ds_write_b32 v13, v12 offset:16
	ds_read_b32 v12, v11 offset:1028
	s_waitcnt lgkmcnt(0)
	ds_write_b32 v13, v12 offset:272
	ds_read_b32 v12, v11 offset:1032
	;; [unrolled: 3-line block ×3, first 2 shown]
	s_waitcnt lgkmcnt(0)
	ds_write_b32 v13, v11 offset:784
.LBB110_1065:
	s_or_b64 exec, exec, s[0:1]
	s_waitcnt lgkmcnt(0)
	s_barrier
	s_and_saveexec_b64 s[0:1], vcc
	s_cbranch_execz .LBB110_1067
; %bb.1066:
	v_mov_b32_e32 v13, 0
	ds_read_b32 v12, v13 offset:776
	v_mov_b32_e32 v11, 1.0
	ds_write_b32 v13, v11 offset:780
	s_waitcnt lgkmcnt(1)
	ds_write_b64 v13, v[11:12] offset:520
.LBB110_1067:
	s_or_b64 exec, exec, s[0:1]
	v_mov_b32_e32 v11, 0
	s_waitcnt lgkmcnt(0)
	s_barrier
	buffer_wbinvl1_vol
	s_and_saveexec_b64 s[0:1], s[2:3]
	s_cbranch_execz .LBB110_1071
; %bb.1068:
	v_lshlrev_b32_e32 v11, 8, v3
	v_lshlrev_b32_e32 v12, 2, v2
	ds_read_b32 v13, v12 offset:512
	ds_read_b32 v11, v11 offset:520
	v_mov_b32_e32 v12, 0
	v_cmp_gt_u32_e64 s[8:9], 2, v5
	s_waitcnt lgkmcnt(0)
	v_fma_f32 v11, v13, v11, 0
	s_and_saveexec_b64 s[10:11], s[8:9]
	s_cbranch_execz .LBB110_1070
; %bb.1069:
	v_lshlrev_b32_e32 v5, 2, v0
	ds_read_b32 v5, v5 offset:768
	ds_read_b32 v12, v12 offset:780
	s_waitcnt lgkmcnt(0)
	v_fmac_f32_e32 v11, v5, v12
.LBB110_1070:
	s_or_b64 exec, exec, s[10:11]
.LBB110_1071:
	s_or_b64 exec, exec, s[0:1]
	s_and_saveexec_b64 s[0:1], s[38:39]
; %bb.1072:
	v_xor_b32_e32 v5, 0x80000000, v11
	ds_write_b32 v4, v5
; %bb.1073:
	s_or_b64 exec, exec, s[0:1]
	s_waitcnt lgkmcnt(0)
	s_barrier
	s_and_saveexec_b64 s[0:1], s[36:37]
	s_cbranch_execz .LBB110_1075
; %bb.1074:
	v_mov_b32_e32 v5, 0
	ds_read_b32 v5, v5 offset:256
	ds_read_b32 v12, v4
	s_waitcnt lgkmcnt(0)
	v_fma_f32 v11, -v5, v12, v11
.LBB110_1075:
	s_or_b64 exec, exec, s[0:1]
	s_barrier
	s_and_saveexec_b64 s[0:1], s[36:37]
; %bb.1076:
	v_xor_b32_e32 v5, 0x80000000, v11
	ds_write_b32 v4, v5
; %bb.1077:
	s_or_b64 exec, exec, s[0:1]
	s_waitcnt lgkmcnt(0)
	s_barrier
	s_barrier
	s_and_saveexec_b64 s[0:1], s[2:3]
; %bb.1078:
	v_lshlrev_b32_e32 v2, 2, v2
	v_lshl_or_b32 v2, v3, 8, v2
	ds_write_b32 v2, v11 offset:512
; %bb.1079:
	s_or_b64 exec, exec, s[0:1]
	s_waitcnt lgkmcnt(0)
	s_barrier
	s_barrier
	s_and_saveexec_b64 s[0:1], s[40:41]
	s_cbranch_execz .LBB110_1081
; %bb.1080:
	v_lshlrev_b32_e32 v2, 2, v0
	s_movk_i32 s2, 0xfc
	v_mad_u32_u24 v3, v0, s2, v2
	ds_read_b32 v4, v3 offset:512
	s_waitcnt lgkmcnt(0)
	ds_write_b32 v2, v4 offset:8
	ds_read_b32 v3, v3 offset:516
	s_waitcnt lgkmcnt(0)
	ds_write_b32 v2, v3 offset:264
.LBB110_1081:
	s_or_b64 exec, exec, s[0:1]
	s_waitcnt lgkmcnt(0)
	s_barrier
	s_and_saveexec_b64 s[0:1], vcc
	s_cbranch_execz .LBB110_1083
; %bb.1082:
	v_mov_b32_e32 v4, 0
	ds_read_b32 v3, v4 offset:256
	v_mov_b32_e32 v2, 1.0
	ds_write_b32 v4, v2 offset:260
	s_waitcnt lgkmcnt(1)
	ds_write_b64 v4, v[2:3]
.LBB110_1083:
	s_or_b64 exec, exec, s[0:1]
.LBB110_1084:
	s_load_dwordx4 s[0:3], s[4:5], 0x30
	v_cmp_le_i32_e32 vcc, s7, v0
	v_mov_b32_e32 v12, 0
	v_lshl_add_u32 v2, s6, 6, v0
	s_waitcnt lgkmcnt(0)
	s_lshl_b64 s[0:1], s[2:3], 2
	s_add_u32 s20, s34, s0
	s_addc_u32 s21, s35, s1
	s_and_b64 s[14:15], vcc, s[28:29]
	v_cmp_eq_u32_e64 s[2:3], 0, v1
	s_xor_b64 s[0:1], s[14:15], -1
	s_and_b64 s[8:9], s[2:3], s[0:1]
	s_barrier
	s_and_saveexec_b64 s[0:1], s[8:9]
	s_cbranch_execz .LBB110_1086
; %bb.1085:
	v_ashrrev_i32_e32 v5, 31, v2
	v_mul_lo_u32 v11, s27, v2
	v_mad_u64_u32 v[3:4], s[8:9], s26, v2, 0
	v_mul_lo_u32 v5, s26, v5
	s_load_dword s8, s[4:5], 0x28
	v_add3_u32 v4, v4, v5, v11
	v_lshlrev_b64 v[3:4], 2, v[3:4]
	v_mov_b32_e32 v5, s21
	v_add_co_u32_e32 v3, vcc, s20, v3
	v_addc_co_u32_e32 v4, vcc, v5, v4, vcc
	flat_load_dword v3, v[3:4]
	s_waitcnt vmcnt(0) lgkmcnt(0)
	v_mul_f32_e64 v12, v3, -s8
.LBB110_1086:
	s_or_b64 exec, exec, s[0:1]
	s_load_dwordx2 s[0:1], s[4:5], 0x50
	s_and_b32 s4, 0xffff, s16
	v_mad_u32_u24 v11, v1, s4, v0
	s_cmp_lt_i32 s6, 1
	v_cmp_eq_u32_e64 s[4:5], 0, v11
	s_cbranch_scc1 .LBB110_1112
; %bb.1087:
	v_mad_u64_u32 v[3:4], s[8:9], s30, v2, 0
	s_mov_b32 s22, 0
	v_cmp_gt_u32_e64 s[12:13], 64, v11
	v_mad_u64_u32 v[4:5], s[8:9], s31, v2, v[4:5]
	s_lshl_b64 s[8:9], s[24:25], 2
	s_waitcnt lgkmcnt(0)
	s_add_u32 s16, s0, s8
	s_addc_u32 s17, s1, s9
	v_cmp_gt_i32_e64 s[8:9], s33, v2
	v_lshlrev_b64 v[2:3], 2, v[3:4]
	v_mov_b32_e32 v5, 0x5000
	v_mov_b32_e32 v4, s89
	v_add_co_u32_e32 v15, vcc, s88, v2
	v_lshl_add_u32 v13, v11, 2, v5
	v_lshl_or_b32 v14, v1, 2, v5
	s_add_i32 s23, s6, -1
	v_addc_co_u32_e32 v16, vcc, v4, v3, vcc
	v_mov_b32_e32 v17, -1
	v_mov_b32_e32 v3, 0
	s_branch .LBB110_1090
.LBB110_1088:                           ;   in Loop: Header=BB110_1090 Depth=1
	ds_read_b32 v4, v14 offset:192
	s_waitcnt vmcnt(0) lgkmcnt(0)
	v_fmac_f32_e32 v12, v2, v4
.LBB110_1089:                           ;   in Loop: Header=BB110_1090 Depth=1
	s_or_b64 exec, exec, s[18:19]
	s_add_i32 s22, s22, 1
	s_cmp_eq_u32 s22, s6
	s_cbranch_scc1 .LBB110_1112
.LBB110_1090:                           ; =>This Loop Header: Depth=1
                                        ;     Child Loop BB110_1092 Depth 2
	v_cmp_gt_i32_e32 vcc, s22, v17
	s_and_b64 s[18:19], s[4:5], vcc
	s_and_saveexec_b64 s[10:11], s[18:19]
	s_cbranch_execz .LBB110_1093
; %bb.1091:                             ;   in Loop: Header=BB110_1090 Depth=1
	global_load_dword v17, v3, s[16:17]
	s_waitcnt vmcnt(0)
	v_cmp_le_i32_e32 vcc, s22, v17
	s_cbranch_vccnz .LBB110_1093
.LBB110_1092:                           ;   Parent Loop BB110_1090 Depth=1
                                        ; =>  This Inner Loop Header: Depth=2
	buffer_wbinvl1_vol
	global_load_dword v17, v3, s[16:17]
	s_waitcnt vmcnt(0)
	v_cmp_gt_i32_e32 vcc, s22, v17
	s_cbranch_vccnz .LBB110_1092
.LBB110_1093:                           ;   in Loop: Header=BB110_1090 Depth=1
	s_or_b64 exec, exec, s[10:11]
	s_lshl_b32 s30, s22, 6
	buffer_wbinvl1_vol
	s_barrier
	s_and_saveexec_b64 s[10:11], s[12:13]
	s_cbranch_execz .LBB110_1097
; %bb.1094:                             ;   in Loop: Header=BB110_1090 Depth=1
	v_or_b32_e32 v4, s30, v11
	v_cmp_gt_i32_e32 vcc, s33, v4
	v_mov_b32_e32 v2, 0
	s_and_saveexec_b64 s[18:19], vcc
	s_cbranch_execz .LBB110_1096
; %bb.1095:                             ;   in Loop: Header=BB110_1090 Depth=1
	v_mad_u64_u32 v[18:19], s[34:35], s26, v4, 0
	v_mov_b32_e32 v2, v19
	v_mad_u64_u32 v[4:5], s[34:35], s27, v4, v[2:3]
	v_mov_b32_e32 v2, s21
	v_mov_b32_e32 v19, v4
	v_lshlrev_b64 v[4:5], 2, v[18:19]
	v_add_co_u32_e32 v4, vcc, s20, v4
	v_addc_co_u32_e32 v5, vcc, v2, v5, vcc
	flat_load_dword v2, v[4:5]
.LBB110_1096:                           ;   in Loop: Header=BB110_1090 Depth=1
	s_or_b64 exec, exec, s[18:19]
	s_waitcnt vmcnt(0) lgkmcnt(0)
	ds_write_b32 v13, v2
.LBB110_1097:                           ;   in Loop: Header=BB110_1090 Depth=1
	s_or_b64 exec, exec, s[10:11]
	v_add_u32_e32 v2, s30, v1
	v_lshlrev_b64 v[4:5], 2, v[2:3]
	s_cmp_lg_u32 s22, s23
	v_add_co_u32_e32 v4, vcc, v15, v4
	s_cselect_b64 s[10:11], -1, 0
	v_addc_co_u32_e32 v5, vcc, v16, v5, vcc
	v_cmp_gt_i32_e32 vcc, s33, v2
	v_cndmask_b32_e64 v18, 0, 1, s[10:11]
	s_and_b64 s[30:31], vcc, s[8:9]
	v_cmp_ne_u32_e64 s[10:11], 1, v18
	s_waitcnt lgkmcnt(0)
	s_barrier
	s_and_saveexec_b64 s[18:19], s[30:31]
	s_cbranch_execz .LBB110_1101
; %bb.1098:                             ;   in Loop: Header=BB110_1090 Depth=1
	s_and_b64 vcc, exec, s[10:11]
	v_mov_b32_e32 v18, v8
	s_cbranch_vccnz .LBB110_1100
; %bb.1099:                             ;   in Loop: Header=BB110_1090 Depth=1
	flat_load_dword v18, v[4:5]
.LBB110_1100:                           ;   in Loop: Header=BB110_1090 Depth=1
	ds_read_b32 v19, v14
	s_waitcnt vmcnt(0) lgkmcnt(0)
	v_fmac_f32_e32 v12, v18, v19
.LBB110_1101:                           ;   in Loop: Header=BB110_1090 Depth=1
	s_or_b64 exec, exec, s[18:19]
	v_add_u32_e32 v18, 16, v2
	v_cmp_gt_i32_e32 vcc, s33, v18
	s_and_b64 s[30:31], vcc, s[8:9]
	s_and_saveexec_b64 s[18:19], s[30:31]
	s_cbranch_execz .LBB110_1105
; %bb.1102:                             ;   in Loop: Header=BB110_1090 Depth=1
	s_and_b64 vcc, exec, s[10:11]
	v_mov_b32_e32 v18, v7
	s_cbranch_vccnz .LBB110_1104
; %bb.1103:                             ;   in Loop: Header=BB110_1090 Depth=1
	flat_load_dword v18, v[4:5] offset:64
.LBB110_1104:                           ;   in Loop: Header=BB110_1090 Depth=1
	ds_read_b32 v19, v14 offset:64
	s_waitcnt vmcnt(0) lgkmcnt(0)
	v_fmac_f32_e32 v12, v18, v19
.LBB110_1105:                           ;   in Loop: Header=BB110_1090 Depth=1
	s_or_b64 exec, exec, s[18:19]
	v_add_u32_e32 v18, 32, v2
	v_cmp_gt_i32_e32 vcc, s33, v18
	s_and_b64 s[30:31], vcc, s[8:9]
	s_and_saveexec_b64 s[18:19], s[30:31]
	s_cbranch_execz .LBB110_1109
; %bb.1106:                             ;   in Loop: Header=BB110_1090 Depth=1
	s_and_b64 vcc, exec, s[10:11]
	v_mov_b32_e32 v18, v10
	s_cbranch_vccnz .LBB110_1108
; %bb.1107:                             ;   in Loop: Header=BB110_1090 Depth=1
	flat_load_dword v18, v[4:5] offset:128
.LBB110_1108:                           ;   in Loop: Header=BB110_1090 Depth=1
	ds_read_b32 v19, v14 offset:128
	s_waitcnt vmcnt(0) lgkmcnt(0)
	v_fmac_f32_e32 v12, v18, v19
.LBB110_1109:                           ;   in Loop: Header=BB110_1090 Depth=1
	s_or_b64 exec, exec, s[18:19]
	v_add_u32_e32 v2, 48, v2
	v_cmp_gt_i32_e32 vcc, s33, v2
	s_and_b64 s[30:31], vcc, s[8:9]
	s_and_saveexec_b64 s[18:19], s[30:31]
	s_cbranch_execz .LBB110_1089
; %bb.1110:                             ;   in Loop: Header=BB110_1090 Depth=1
	s_and_b64 vcc, exec, s[10:11]
	v_mov_b32_e32 v2, v9
	s_cbranch_vccnz .LBB110_1088
; %bb.1111:                             ;   in Loop: Header=BB110_1090 Depth=1
	flat_load_dword v2, v[4:5] offset:192
	s_branch .LBB110_1088
.LBB110_1112:
	v_lshl_add_u32 v2, v1, 6, v0
	s_xor_b64 s[4:5], s[28:29], -1
	v_lshlrev_b32_e32 v2, 2, v2
	ds_write_b32 v2, v12 offset:16384
	s_waitcnt lgkmcnt(0)
	s_barrier
	s_and_saveexec_b64 s[8:9], s[2:3]
	s_cbranch_execz .LBB110_1114
; %bb.1113:
	v_lshlrev_b32_e32 v5, 2, v0
	ds_read2st64_b32 v[3:4], v5 offset0:65 offset1:66
	ds_read2st64_b32 v[7:8], v5 offset0:67 offset1:68
	;; [unrolled: 1-line block ×5, first 2 shown]
	s_waitcnt lgkmcnt(4)
	v_add_f32_e32 v3, v12, v3
	v_add_f32_e32 v3, v3, v4
	s_waitcnt lgkmcnt(3)
	v_add_f32_e32 v3, v3, v7
	v_add_f32_e32 v3, v3, v8
	;; [unrolled: 3-line block ×4, first 2 shown]
	ds_read2st64_b32 v[3:4], v5 offset0:75 offset1:76
	ds_read2st64_b32 v[7:8], v5 offset0:77 offset1:78
	ds_read_b32 v5, v5 offset:20224
	s_waitcnt lgkmcnt(3)
	v_add_f32_e32 v9, v9, v15
	v_add_f32_e32 v9, v9, v16
	s_waitcnt lgkmcnt(2)
	v_add_f32_e32 v3, v9, v3
	v_add_f32_e32 v3, v3, v4
	;; [unrolled: 3-line block ×3, first 2 shown]
	s_waitcnt lgkmcnt(0)
	v_add_f32_e32 v3, v3, v5
	v_cndmask_b32_e64 v12, -v3, 0, s[14:15]
.LBB110_1114:
	s_or_b64 exec, exec, s[8:9]
	s_and_b64 vcc, exec, s[44:45]
	s_cbranch_vccnz .LBB110_1128
; %bb.1115:
	v_mov_b32_e32 v3, 0x5000
	v_lshl_or_b32 v4, v1, 2, v3
	s_and_saveexec_b64 s[8:9], s[2:3]
; %bb.1116:
	v_lshl_add_u32 v3, v0, 2, v4
	ds_write_b32 v3, v12
; %bb.1117:
	s_or_b64 exec, exec, s[8:9]
	v_cmp_le_u32_e32 vcc, v1, v0
	v_mov_b32_e32 v3, 0
	s_waitcnt lgkmcnt(0)
	s_barrier
	s_and_saveexec_b64 s[8:9], vcc
	s_cbranch_execz .LBB110_1119
; %bb.1118:
	ds_read_b32 v3, v2
	ds_read_b32 v5, v4
	s_waitcnt lgkmcnt(0)
	v_fma_f32 v3, v3, v5, 0
.LBB110_1119:
	s_or_b64 exec, exec, s[8:9]
	v_add_u32_e32 v5, 16, v1
	v_cmp_ge_u32_e32 vcc, v0, v5
	s_and_saveexec_b64 s[8:9], vcc
	s_cbranch_execz .LBB110_1121
; %bb.1120:
	ds_read_b32 v5, v2 offset:4096
	ds_read_b32 v7, v4 offset:64
	s_waitcnt lgkmcnt(0)
	v_fmac_f32_e32 v3, v5, v7
.LBB110_1121:
	s_or_b64 exec, exec, s[8:9]
	v_add_u32_e32 v5, 32, v1
	v_cmp_ge_u32_e32 vcc, v0, v5
	s_and_saveexec_b64 s[8:9], vcc
	s_cbranch_execz .LBB110_1123
; %bb.1122:
	ds_read_b32 v5, v2 offset:8192
	ds_read_b32 v7, v4 offset:128
	s_waitcnt lgkmcnt(0)
	v_fmac_f32_e32 v3, v5, v7
.LBB110_1123:
	s_or_b64 exec, exec, s[8:9]
	v_add_u32_e32 v1, 48, v1
	v_add_u32_e32 v5, 0x4000, v2
	v_cmp_ge_u32_e32 vcc, v0, v1
	s_and_saveexec_b64 s[8:9], vcc
	s_cbranch_execz .LBB110_1125
; %bb.1124:
	ds_read_b32 v1, v2 offset:12288
	ds_read_b32 v2, v4 offset:192
	s_waitcnt lgkmcnt(0)
	v_fmac_f32_e32 v3, v1, v2
.LBB110_1125:
	s_or_b64 exec, exec, s[8:9]
	s_mov_b64 s[10:11], 0
	s_mov_b64 s[8:9], 0
	ds_write_b32 v5, v3
	s_waitcnt lgkmcnt(0)
	s_barrier
                                        ; implicit-def: $vgpr4
                                        ; implicit-def: $vgpr1_vgpr2
	s_and_saveexec_b64 s[12:13], s[2:3]
	s_cbranch_execz .LBB110_1161
; %bb.1126:
	v_lshlrev_b32_e32 v13, 2, v0
	ds_read2st64_b32 v[1:2], v13 offset0:65 offset1:66
	ds_read2st64_b32 v[4:5], v13 offset0:67 offset1:68
	;; [unrolled: 1-line block ×4, first 2 shown]
	s_mov_b64 s[8:9], exec
	s_waitcnt lgkmcnt(3)
	v_add_f32_e32 v1, v3, v1
	v_add_f32_e32 v1, v2, v1
	s_waitcnt lgkmcnt(2)
	v_add_f32_e32 v1, v4, v1
	v_add_f32_e32 v1, v5, v1
	ds_read2st64_b32 v[2:3], v13 offset0:73 offset1:74
	s_waitcnt lgkmcnt(2)
	v_add_f32_e32 v1, v7, v1
	v_add_f32_e32 v1, v8, v1
	s_waitcnt lgkmcnt(1)
	v_add_f32_e32 v1, v9, v1
	v_add_f32_e32 v1, v10, v1
	ds_read2st64_b32 v[4:5], v13 offset0:75 offset1:76
	ds_read2st64_b32 v[7:8], v13 offset0:77 offset1:78
	ds_read_b32 v9, v13 offset:20224
	v_lshl_add_u32 v13, s6, 6, v11
	s_waitcnt lgkmcnt(3)
	v_add_f32_e32 v10, v2, v1
	v_mad_u64_u32 v[1:2], s[14:15], s26, v13, 0
	v_add_f32_e32 v3, v3, v10
	s_waitcnt lgkmcnt(2)
	v_add_f32_e32 v3, v4, v3
	v_add_f32_e32 v4, v5, v3
	v_mad_u64_u32 v[2:3], s[14:15], s27, v13, v[2:3]
	s_waitcnt lgkmcnt(1)
	v_add_f32_e32 v3, v7, v4
	v_add_f32_e32 v3, v8, v3
	s_waitcnt lgkmcnt(0)
	v_add_f32_e32 v4, v9, v3
	s_or_b64 exec, exec, s[12:13]
	s_and_b64 vcc, exec, s[10:11]
	s_cbranch_vccnz .LBB110_1129
	s_branch .LBB110_1162
.LBB110_1127:
	v_mad_u64_u32 v[12:13], s[2:3], s30, v5, 0
	s_or_b64 s[10:11], s[10:11], exec
	v_mov_b32_e32 v4, v13
	v_mad_u64_u32 v[4:5], s[2:3], s31, v5, v[4:5]
	v_mov_b32_e32 v13, v4
	v_lshlrev_b64 v[4:5], 2, v[12:13]
	v_add_co_u32_e32 v2, vcc, v2, v4
	v_addc_co_u32_e32 v3, vcc, v3, v5, vcc
	flat_load_dword v2, v[2:3]
	s_waitcnt vmcnt(0) lgkmcnt(0)
	v_xor_b32_e32 v4, 0x80000000, v2
	s_or_b64 exec, exec, s[8:9]
	s_xor_b64 s[0:1], s[0:1], -1
	s_and_saveexec_b64 s[2:3], s[10:11]
	s_cbranch_execnz .LBB110_45
	s_branch .LBB110_46
.LBB110_1128:
	s_mov_b64 s[8:9], 0
                                        ; implicit-def: $vgpr4
                                        ; implicit-def: $vgpr1_vgpr2
	s_cbranch_execz .LBB110_1162
.LBB110_1129:
	s_mov_b32 s12, 0
	v_mov_b32_e32 v1, 0
	v_mov_b32_e32 v2, v0
	s_branch .LBB110_1131
.LBB110_1130:                           ;   in Loop: Header=BB110_1131 Depth=1
	s_or_b64 exec, exec, s[10:11]
	s_add_i32 s12, s12, 4
	v_add_u32_e32 v6, 0x400, v6
	s_cmp_lg_u32 s12, 64
	v_add_u32_e32 v2, -4, v2
	s_barrier
	s_cbranch_scc0 .LBB110_1147
.LBB110_1131:                           ; =>This Inner Loop Header: Depth=1
	v_cmp_eq_u32_e32 vcc, 0, v2
	s_and_b64 s[14:15], s[2:3], vcc
	s_and_saveexec_b64 s[10:11], s[14:15]
; %bb.1132:                             ;   in Loop: Header=BB110_1131 Depth=1
	ds_write_b32 v1, v12 offset:20736
; %bb.1133:                             ;   in Loop: Header=BB110_1131 Depth=1
	s_or_b64 exec, exec, s[10:11]
	v_cmp_lt_u32_e32 vcc, s12, v0
	s_and_b64 s[14:15], s[2:3], vcc
	s_waitcnt lgkmcnt(0)
	s_barrier
	s_and_saveexec_b64 s[10:11], s[14:15]
	s_cbranch_execz .LBB110_1135
; %bb.1134:                             ;   in Loop: Header=BB110_1131 Depth=1
	ds_read_b32 v3, v6
	ds_read_b32 v4, v1 offset:20736
	s_waitcnt lgkmcnt(0)
	v_fmac_f32_e32 v12, v3, v4
.LBB110_1135:                           ;   in Loop: Header=BB110_1131 Depth=1
	s_or_b64 exec, exec, s[10:11]
	s_or_b32 s13, s12, 1
	v_cmp_eq_u32_e32 vcc, s13, v0
	s_and_b64 s[14:15], s[2:3], vcc
	s_barrier
	s_and_saveexec_b64 s[10:11], s[14:15]
; %bb.1136:                             ;   in Loop: Header=BB110_1131 Depth=1
	ds_write_b32 v1, v12 offset:20736
; %bb.1137:                             ;   in Loop: Header=BB110_1131 Depth=1
	s_or_b64 exec, exec, s[10:11]
	v_cmp_lt_u32_e32 vcc, s13, v0
	s_and_b64 s[14:15], s[2:3], vcc
	s_waitcnt lgkmcnt(0)
	s_barrier
	s_and_saveexec_b64 s[10:11], s[14:15]
	s_cbranch_execz .LBB110_1139
; %bb.1138:                             ;   in Loop: Header=BB110_1131 Depth=1
	ds_read_b32 v3, v6 offset:256
	ds_read_b32 v4, v1 offset:20736
	s_waitcnt lgkmcnt(0)
	v_fmac_f32_e32 v12, v3, v4
.LBB110_1139:                           ;   in Loop: Header=BB110_1131 Depth=1
	s_or_b64 exec, exec, s[10:11]
	s_or_b32 s13, s12, 2
	v_cmp_eq_u32_e32 vcc, s13, v0
	s_and_b64 s[14:15], s[2:3], vcc
	s_barrier
	s_and_saveexec_b64 s[10:11], s[14:15]
; %bb.1140:                             ;   in Loop: Header=BB110_1131 Depth=1
	ds_write_b32 v1, v12 offset:20736
; %bb.1141:                             ;   in Loop: Header=BB110_1131 Depth=1
	s_or_b64 exec, exec, s[10:11]
	v_cmp_lt_u32_e32 vcc, s13, v0
	s_and_b64 s[14:15], s[2:3], vcc
	s_waitcnt lgkmcnt(0)
	s_barrier
	s_and_saveexec_b64 s[10:11], s[14:15]
	s_cbranch_execz .LBB110_1143
; %bb.1142:                             ;   in Loop: Header=BB110_1131 Depth=1
	ds_read_b32 v3, v6 offset:512
	ds_read_b32 v4, v1 offset:20736
	s_waitcnt lgkmcnt(0)
	v_fmac_f32_e32 v12, v3, v4
.LBB110_1143:                           ;   in Loop: Header=BB110_1131 Depth=1
	s_or_b64 exec, exec, s[10:11]
	s_or_b32 s13, s12, 3
	v_cmp_eq_u32_e32 vcc, s13, v0
	s_and_b64 s[14:15], s[2:3], vcc
	s_barrier
	s_and_saveexec_b64 s[10:11], s[14:15]
; %bb.1144:                             ;   in Loop: Header=BB110_1131 Depth=1
	ds_write_b32 v1, v12 offset:20736
; %bb.1145:                             ;   in Loop: Header=BB110_1131 Depth=1
	s_or_b64 exec, exec, s[10:11]
	v_cmp_lt_u32_e32 vcc, s13, v0
	s_and_b64 s[14:15], s[2:3], vcc
	s_waitcnt lgkmcnt(0)
	s_barrier
	s_and_saveexec_b64 s[10:11], s[14:15]
	s_cbranch_execz .LBB110_1130
; %bb.1146:                             ;   in Loop: Header=BB110_1131 Depth=1
	ds_read_b32 v3, v6 offset:768
	ds_read_b32 v4, v1 offset:20736
	s_waitcnt lgkmcnt(0)
	v_fmac_f32_e32 v12, v3, v4
	s_branch .LBB110_1130
.LBB110_1147:
	s_and_b64 vcc, exec, s[4:5]
	s_cbranch_vccz .LBB110_1163
; %bb.1148:
	s_and_b64 s[4:5], s[2:3], exec
	s_cbranch_execz .LBB110_1164
	s_branch .LBB110_1165
.LBB110_1149:
	v_or_b32_e32 v11, v1, v0
	v_cmp_gt_u32_e32 vcc, 64, v11
	s_and_b64 s[10:11], vcc, exec
	s_andn2_saveexec_b64 s[8:9], s[8:9]
	s_cbranch_execz .LBB110_14
.LBB110_1150:
	v_mad_u64_u32 v[11:12], s[12:13], s30, v1, 0
	s_or_b64 s[10:11], s[10:11], exec
	v_mov_b32_e32 v5, v12
	v_mad_u64_u32 v[12:13], s[12:13], s31, v1, v[5:6]
	v_lshlrev_b64 v[11:12], 2, v[11:12]
	v_add_co_u32_e32 v11, vcc, v2, v11
	v_addc_co_u32_e32 v12, vcc, v3, v12, vcc
	flat_load_dword v5, v[11:12]
	s_waitcnt vmcnt(0) lgkmcnt(0)
	v_xor_b32_e32 v5, 0x80000000, v5
	s_or_b64 exec, exec, s[8:9]
	s_and_saveexec_b64 s[8:9], s[10:11]
	s_cbranch_execnz .LBB110_15
	s_branch .LBB110_16
.LBB110_1151:
	v_or_b32_e32 v11, v5, v0
	v_cmp_gt_u32_e32 vcc, 64, v11
	s_and_b64 s[2:3], vcc, exec
	s_or_saveexec_b64 s[8:9], s[8:9]
	v_mov_b32_e32 v11, 0
	s_xor_b64 exec, exec, s[8:9]
	s_cbranch_execz .LBB110_18
.LBB110_1152:
	v_mad_u64_u32 v[11:12], s[10:11], s30, v5, 0
	s_or_b64 s[2:3], s[2:3], exec
	v_mad_u64_u32 v[12:13], s[10:11], s31, v5, v[12:13]
	v_lshlrev_b64 v[11:12], 2, v[11:12]
	v_add_co_u32_e32 v11, vcc, v2, v11
	v_addc_co_u32_e32 v12, vcc, v3, v12, vcc
	flat_load_dword v11, v[11:12]
	s_waitcnt vmcnt(0) lgkmcnt(0)
	v_xor_b32_e32 v11, 0x80000000, v11
	s_or_b64 exec, exec, s[8:9]
	s_and_saveexec_b64 s[8:9], s[2:3]
	s_cbranch_execnz .LBB110_19
	s_branch .LBB110_20
.LBB110_1153:
	v_or_b32_e32 v11, v5, v0
	v_cmp_gt_u32_e32 vcc, 64, v11
	s_and_b64 s[2:3], vcc, exec
	s_or_saveexec_b64 s[8:9], s[8:9]
	v_mov_b32_e32 v11, 0
	s_xor_b64 exec, exec, s[8:9]
	s_cbranch_execz .LBB110_22
.LBB110_1154:
	v_mad_u64_u32 v[11:12], s[10:11], s30, v5, 0
	s_or_b64 s[2:3], s[2:3], exec
	v_mad_u64_u32 v[12:13], s[10:11], s31, v5, v[12:13]
	v_lshlrev_b64 v[11:12], 2, v[11:12]
	v_add_co_u32_e32 v11, vcc, v2, v11
	v_addc_co_u32_e32 v12, vcc, v3, v12, vcc
	flat_load_dword v11, v[11:12]
	s_waitcnt vmcnt(0) lgkmcnt(0)
	v_xor_b32_e32 v11, 0x80000000, v11
	s_or_b64 exec, exec, s[8:9]
	s_and_saveexec_b64 s[8:9], s[2:3]
	s_cbranch_execnz .LBB110_23
	s_branch .LBB110_24
.LBB110_1155:
	v_or_b32_e32 v11, v1, v0
	v_cmp_gt_u32_e64 s[2:3], 64, v11
	s_and_b64 s[8:9], s[2:3], exec
	s_andn2_saveexec_b64 s[12:13], s[12:13]
	s_cbranch_execz .LBB110_30
.LBB110_1156:
	v_mad_u64_u32 v[11:12], s[2:3], s30, v1, 0
	s_or_b64 s[8:9], s[8:9], exec
	v_mov_b32_e32 v5, v12
	v_mad_u64_u32 v[12:13], s[2:3], s31, v1, v[5:6]
	v_lshlrev_b64 v[11:12], 2, v[11:12]
	v_add_co_u32_e64 v11, s[2:3], v2, v11
	v_addc_co_u32_e64 v12, s[2:3], v3, v12, s[2:3]
	flat_load_dword v5, v[11:12]
	s_waitcnt vmcnt(0) lgkmcnt(0)
	v_xor_b32_e32 v5, 0x80000000, v5
	s_or_b64 exec, exec, s[12:13]
	s_and_saveexec_b64 s[2:3], s[8:9]
	s_cbranch_execnz .LBB110_31
	s_branch .LBB110_32
.LBB110_1157:
	v_or_b32_e32 v11, v5, v0
	v_cmp_gt_u32_e64 s[2:3], 64, v11
	s_and_b64 s[8:9], s[2:3], exec
	s_or_saveexec_b64 s[12:13], s[12:13]
	v_mov_b32_e32 v11, 0
	s_xor_b64 exec, exec, s[12:13]
	s_cbranch_execz .LBB110_34
.LBB110_1158:
	v_mad_u64_u32 v[11:12], s[2:3], s30, v5, 0
	s_or_b64 s[8:9], s[8:9], exec
	v_mad_u64_u32 v[12:13], s[2:3], s31, v5, v[12:13]
	v_lshlrev_b64 v[11:12], 2, v[11:12]
	v_add_co_u32_e64 v11, s[2:3], v2, v11
	v_addc_co_u32_e64 v12, s[2:3], v3, v12, s[2:3]
	flat_load_dword v11, v[11:12]
	s_waitcnt vmcnt(0) lgkmcnt(0)
	v_xor_b32_e32 v11, 0x80000000, v11
	s_or_b64 exec, exec, s[12:13]
	s_and_saveexec_b64 s[2:3], s[8:9]
	s_cbranch_execnz .LBB110_35
	s_branch .LBB110_36
.LBB110_1159:
	v_or_b32_e32 v11, v5, v0
	v_cmp_gt_u32_e64 s[2:3], 64, v11
	s_and_b64 s[8:9], s[2:3], exec
	s_or_saveexec_b64 s[12:13], s[12:13]
	v_mov_b32_e32 v11, 0
	s_xor_b64 exec, exec, s[12:13]
	s_cbranch_execz .LBB110_38
.LBB110_1160:
	v_mad_u64_u32 v[11:12], s[2:3], s30, v5, 0
	s_or_b64 s[8:9], s[8:9], exec
	v_mad_u64_u32 v[12:13], s[2:3], s31, v5, v[12:13]
	v_lshlrev_b64 v[11:12], 2, v[11:12]
	v_add_co_u32_e64 v11, s[2:3], v2, v11
	v_addc_co_u32_e64 v12, s[2:3], v3, v12, s[2:3]
	flat_load_dword v11, v[11:12]
	s_waitcnt vmcnt(0) lgkmcnt(0)
	v_xor_b32_e32 v11, 0x80000000, v11
	s_or_b64 exec, exec, s[12:13]
	s_and_saveexec_b64 s[2:3], s[8:9]
	s_cbranch_execnz .LBB110_39
	s_branch .LBB110_40
.LBB110_1161:
	s_or_b64 exec, exec, s[12:13]
	s_and_b64 vcc, exec, s[10:11]
	s_cbranch_vccnz .LBB110_1129
.LBB110_1162:
	v_mov_b32_e32 v12, v4
	s_and_saveexec_b64 s[2:3], s[8:9]
	s_cbranch_execnz .LBB110_1168
	s_branch .LBB110_1169
.LBB110_1163:
	s_mov_b64 s[4:5], 0
.LBB110_1164:
	v_cmp_gt_i32_e32 vcc, s7, v0
	s_and_b64 s[2:3], s[2:3], vcc
	s_andn2_b64 s[4:5], s[4:5], exec
	s_and_b64 s[2:3], s[2:3], exec
	s_or_b64 s[4:5], s[4:5], s[2:3]
.LBB110_1165:
                                        ; implicit-def: $vgpr1_vgpr2
	s_and_saveexec_b64 s[2:3], s[4:5]
	s_cbranch_execz .LBB110_1167
; %bb.1166:
	s_lshl_b32 s4, s6, 6
	s_ashr_i32 s5, s4, 31
	v_mov_b32_e32 v0, s5
	v_add_co_u32_e32 v1, vcc, s4, v11
	v_addc_co_u32_e32 v0, vcc, 0, v0, vcc
	v_mul_lo_u32 v0, v0, s26
	v_mul_lo_u32 v3, v1, s27
	v_mad_u64_u32 v[1:2], s[4:5], v1, s26, 0
	s_or_b64 s[8:9], s[8:9], exec
	v_add3_u32 v2, v2, v3, v0
.LBB110_1167:
	s_or_b64 exec, exec, s[2:3]
	s_and_saveexec_b64 s[2:3], s[8:9]
	s_cbranch_execz .LBB110_1169
.LBB110_1168:
	v_lshlrev_b64 v[0:1], 2, v[1:2]
	v_mov_b32_e32 v2, s21
	v_add_co_u32_e32 v0, vcc, s20, v0
	v_addc_co_u32_e32 v1, vcc, v2, v1, vcc
	flat_store_dword v[0:1], v12
.LBB110_1169:
	s_or_b64 exec, exec, s[2:3]
	v_cmp_eq_u32_e32 vcc, 0, v11
	s_waitcnt vmcnt(0) lgkmcnt(0)
	buffer_wbinvl1_vol
	s_barrier
	s_and_saveexec_b64 s[2:3], vcc
	s_cbranch_execz .LBB110_1171
; %bb.1170:
	s_lshl_b64 s[4:5], s[24:25], 2
	s_add_u32 s0, s0, s4
	s_addc_u32 s1, s1, s5
	v_mov_b32_e32 v0, 0
	global_load_dword v1, v0, s[0:1]
	s_waitcnt vmcnt(0)
	v_add_u32_e32 v1, 1, v1
	global_store_dword v0, v1, s[0:1]
.LBB110_1171:
	s_or_b64 exec, exec, s[2:3]
	s_waitcnt vmcnt(0)
	buffer_wbinvl1_vol
	s_endpgm
.LBB110_1172:
	ds_read_b32 v17, v16 offset:15840
	ds_read_b32 v18, v15 offset:15604
	s_waitcnt lgkmcnt(0)
	v_fmac_f32_e32 v14, v17, v18
	s_or_b64 exec, exec, s[14:15]
	v_cmp_gt_u32_e64 s[10:11], 8, v5
	s_and_saveexec_b64 s[14:15], s[10:11]
	s_cbranch_execz .LBB110_68
.LBB110_1173:
	ds_read_b32 v16, v16 offset:16096
	ds_read_b32 v15, v15 offset:15608
	s_waitcnt lgkmcnt(0)
	v_fmac_f32_e32 v14, v16, v15
	s_or_b64 exec, exec, s[14:15]
	v_cmp_gt_u32_e64 s[10:11], 4, v5
	s_and_saveexec_b64 s[14:15], s[10:11]
	s_cbranch_execnz .LBB110_69
	s_branch .LBB110_70
.LBB110_1174:
	ds_read_b32 v20, v19 offset:14784
	ds_read_b32 v21, v18 offset:14564
	s_waitcnt lgkmcnt(0)
	v_fmac_f32_e32 v17, v20, v21
	s_or_b64 exec, exec, s[16:17]
	v_cmp_gt_u32_e64 s[14:15], 48, v5
	s_and_saveexec_b64 s[16:17], s[14:15]
	s_cbranch_execz .LBB110_110
.LBB110_1175:
	ds_read_b32 v20, v19 offset:15040
	ds_read_b32 v21, v18 offset:14568
	s_waitcnt lgkmcnt(0)
	v_fmac_f32_e32 v17, v20, v21
	s_or_b64 exec, exec, s[16:17]
	v_cmp_gt_u32_e64 s[14:15], 40, v5
	s_and_saveexec_b64 s[16:17], s[14:15]
	s_cbranch_execz .LBB110_111
.LBB110_1176:
	ds_read_b32 v20, v19 offset:15296
	ds_read_b32 v21, v18 offset:14572
	s_waitcnt lgkmcnt(0)
	v_fmac_f32_e32 v17, v20, v21
	s_or_b64 exec, exec, s[16:17]
	v_cmp_gt_u32_e64 s[14:15], 32, v5
	s_and_saveexec_b64 s[16:17], s[14:15]
	s_cbranch_execz .LBB110_112
.LBB110_1177:
	ds_read_b32 v20, v19 offset:15552
	ds_read_b32 v21, v18 offset:14576
	s_waitcnt lgkmcnt(0)
	v_fmac_f32_e32 v17, v20, v21
	s_or_b64 exec, exec, s[16:17]
	v_cmp_gt_u32_e64 s[14:15], 24, v5
	s_and_saveexec_b64 s[16:17], s[14:15]
	s_cbranch_execz .LBB110_113
.LBB110_1178:
	ds_read_b32 v20, v19 offset:15808
	ds_read_b32 v21, v18 offset:14580
	s_waitcnt lgkmcnt(0)
	v_fmac_f32_e32 v17, v20, v21
	s_or_b64 exec, exec, s[16:17]
	s_and_saveexec_b64 s[14:15], s[18:19]
	s_cbranch_execz .LBB110_114
.LBB110_1179:
	ds_read_b32 v19, v19 offset:16064
	ds_read_b32 v18, v18 offset:14584
	s_waitcnt lgkmcnt(0)
	v_fmac_f32_e32 v17, v19, v18
	s_or_b64 exec, exec, s[14:15]
	v_cmp_gt_u32_e64 s[14:15], 8, v5
	s_and_saveexec_b64 s[16:17], s[14:15]
	s_cbranch_execnz .LBB110_115
	s_branch .LBB110_116
.LBB110_1180:
	ds_read_b32 v20, v19 offset:13760
	ds_read_b32 v21, v18 offset:13524
	s_waitcnt lgkmcnt(0)
	v_fmac_f32_e32 v17, v20, v21
	s_or_b64 exec, exec, s[14:15]
	v_cmp_gt_u32_e64 s[10:11], 8, v5
	s_and_saveexec_b64 s[14:15], s[10:11]
	s_cbranch_execz .LBB110_172
.LBB110_1181:
	ds_read_b32 v19, v19 offset:14016
	ds_read_b32 v18, v18 offset:13528
	s_waitcnt lgkmcnt(0)
	v_fmac_f32_e32 v17, v19, v18
	s_or_b64 exec, exec, s[14:15]
	v_cmp_gt_u32_e64 s[10:11], 4, v5
	s_and_saveexec_b64 s[14:15], s[10:11]
	s_cbranch_execnz .LBB110_173
	s_branch .LBB110_174
.LBB110_1182:
	ds_read_b32 v23, v22 offset:15232
	ds_read_b32 v24, v21 offset:12524
	s_waitcnt lgkmcnt(0)
	v_fmac_f32_e32 v20, v23, v24
	s_or_b64 exec, exec, s[20:21]
	s_and_saveexec_b64 s[16:17], s[8:9]
	s_cbranch_execz .LBB110_234
.LBB110_1183:
	ds_read_b32 v23, v22 offset:15488
	ds_read_b32 v24, v21 offset:12528
	s_waitcnt lgkmcnt(0)
	v_fmac_f32_e32 v20, v23, v24
	s_or_b64 exec, exec, s[16:17]
	v_cmp_gt_u32_e64 s[16:17], 48, v5
	s_and_saveexec_b64 s[20:21], s[16:17]
	s_cbranch_execz .LBB110_235
.LBB110_1184:
	ds_read_b32 v23, v22 offset:15744
	ds_read_b32 v24, v21 offset:12532
	s_waitcnt lgkmcnt(0)
	v_fmac_f32_e32 v20, v23, v24
	s_or_b64 exec, exec, s[20:21]
	v_cmp_gt_u32_e64 s[16:17], 32, v5
	s_and_saveexec_b64 s[20:21], s[16:17]
	s_cbranch_execz .LBB110_236
.LBB110_1185:
	ds_read_b32 v22, v22 offset:16000
	ds_read_b32 v21, v21 offset:12536
	s_waitcnt lgkmcnt(0)
	v_fmac_f32_e32 v20, v22, v21
	s_or_b64 exec, exec, s[20:21]
	v_cmp_gt_u32_e64 s[16:17], 16, v5
	s_and_saveexec_b64 s[20:21], s[16:17]
	s_cbranch_execnz .LBB110_237
	s_branch .LBB110_238
.LBB110_1186:
	ds_read_b32 v23, v22 offset:11680
	ds_read_b32 v24, v21 offset:11444
	s_waitcnt lgkmcnt(0)
	v_fmac_f32_e32 v20, v23, v24
	s_or_b64 exec, exec, s[20:21]
	v_cmp_gt_u32_e64 s[14:15], 8, v5
	s_and_saveexec_b64 s[20:21], s[14:15]
	s_cbranch_execz .LBB110_326
.LBB110_1187:
	ds_read_b32 v22, v22 offset:11936
	ds_read_b32 v21, v21 offset:11448
	s_waitcnt lgkmcnt(0)
	v_fmac_f32_e32 v20, v22, v21
	s_or_b64 exec, exec, s[20:21]
	v_cmp_gt_u32_e64 s[14:15], 4, v5
	s_and_saveexec_b64 s[20:21], s[14:15]
	s_cbranch_execnz .LBB110_327
	s_branch .LBB110_328
.LBB110_1188:
	ds_read_b32 v23, v22 offset:10624
	ds_read_b32 v24, v21 offset:10404
	s_waitcnt lgkmcnt(0)
	v_fmac_f32_e32 v20, v23, v24
	s_or_b64 exec, exec, s[20:21]
	v_cmp_gt_u32_e64 s[14:15], 48, v5
	s_and_saveexec_b64 s[20:21], s[14:15]
	s_cbranch_execz .LBB110_368
.LBB110_1189:
	ds_read_b32 v23, v22 offset:10880
	ds_read_b32 v24, v21 offset:10408
	s_waitcnt lgkmcnt(0)
	v_fmac_f32_e32 v20, v23, v24
	s_or_b64 exec, exec, s[20:21]
	v_cmp_gt_u32_e64 s[14:15], 40, v5
	s_and_saveexec_b64 s[20:21], s[14:15]
	s_cbranch_execz .LBB110_369
.LBB110_1190:
	ds_read_b32 v23, v22 offset:11136
	ds_read_b32 v24, v21 offset:10412
	s_waitcnt lgkmcnt(0)
	v_fmac_f32_e32 v20, v23, v24
	s_or_b64 exec, exec, s[20:21]
	v_cmp_gt_u32_e64 s[14:15], 32, v5
	s_and_saveexec_b64 s[20:21], s[14:15]
	s_cbranch_execz .LBB110_370
.LBB110_1191:
	ds_read_b32 v23, v22 offset:11392
	ds_read_b32 v24, v21 offset:10416
	s_waitcnt lgkmcnt(0)
	v_fmac_f32_e32 v20, v23, v24
	s_or_b64 exec, exec, s[20:21]
	v_cmp_gt_u32_e64 s[14:15], 24, v5
	s_and_saveexec_b64 s[20:21], s[14:15]
	s_cbranch_execz .LBB110_371
.LBB110_1192:
	ds_read_b32 v23, v22 offset:11648
	ds_read_b32 v24, v21 offset:10420
	s_waitcnt lgkmcnt(0)
	v_fmac_f32_e32 v20, v23, v24
	s_or_b64 exec, exec, s[20:21]
	s_and_saveexec_b64 s[14:15], s[18:19]
	s_cbranch_execz .LBB110_372
.LBB110_1193:
	ds_read_b32 v22, v22 offset:11904
	ds_read_b32 v21, v21 offset:10424
	s_waitcnt lgkmcnt(0)
	v_fmac_f32_e32 v20, v22, v21
	s_or_b64 exec, exec, s[14:15]
	v_cmp_gt_u32_e64 s[14:15], 8, v5
	s_and_saveexec_b64 s[20:21], s[14:15]
	s_cbranch_execnz .LBB110_373
	s_branch .LBB110_374
.LBB110_1194:
	ds_read_b32 v23, v22 offset:9600
	ds_read_b32 v24, v21 offset:9364
	s_waitcnt lgkmcnt(0)
	v_fmac_f32_e32 v20, v23, v24
	s_or_b64 exec, exec, s[20:21]
	v_cmp_gt_u32_e64 s[14:15], 8, v5
	s_and_saveexec_b64 s[20:21], s[14:15]
	s_cbranch_execz .LBB110_430
.LBB110_1195:
	ds_read_b32 v22, v22 offset:9856
	ds_read_b32 v21, v21 offset:9368
	s_waitcnt lgkmcnt(0)
	v_fmac_f32_e32 v20, v22, v21
	s_or_b64 exec, exec, s[20:21]
	v_cmp_gt_u32_e64 s[14:15], 4, v5
	s_and_saveexec_b64 s[20:21], s[14:15]
	s_cbranch_execnz .LBB110_431
	s_branch .LBB110_432
.LBB110_1196:
	ds_read_b32 v26, v25 offset:15616
	ds_read_b32 v27, v24 offset:8436
	s_waitcnt lgkmcnt(0)
	v_fmac_f32_e32 v22, v26, v27
	s_or_b64 exec, exec, s[22:23]
	s_and_saveexec_b64 s[20:21], s[8:9]
	s_cbranch_execz .LBB110_528
.LBB110_1197:
	ds_read_b32 v25, v25 offset:15872
	ds_read_b32 v24, v24 offset:8440
	s_waitcnt lgkmcnt(0)
	v_fmac_f32_e32 v22, v25, v24
	s_or_b64 exec, exec, s[20:21]
	v_cmp_gt_u32_e64 s[20:21], 32, v5
	s_and_saveexec_b64 s[22:23], s[20:21]
	s_cbranch_execnz .LBB110_529
	s_branch .LBB110_530
.LBB110_1198:
	ds_read_b32 v23, v22 offset:7520
	ds_read_b32 v24, v21 offset:7284
	s_waitcnt lgkmcnt(0)
	v_fmac_f32_e32 v20, v23, v24
	s_or_b64 exec, exec, s[16:17]
	v_cmp_gt_u32_e64 s[12:13], 8, v5
	s_and_saveexec_b64 s[16:17], s[12:13]
	s_cbranch_execz .LBB110_682
.LBB110_1199:
	ds_read_b32 v22, v22 offset:7776
	ds_read_b32 v21, v21 offset:7288
	s_waitcnt lgkmcnt(0)
	v_fmac_f32_e32 v20, v22, v21
	s_or_b64 exec, exec, s[16:17]
	v_cmp_gt_u32_e64 s[12:13], 4, v5
	s_and_saveexec_b64 s[16:17], s[12:13]
	s_cbranch_execnz .LBB110_683
	s_branch .LBB110_684
.LBB110_1200:
	ds_read_b32 v23, v22 offset:6464
	ds_read_b32 v24, v21 offset:6244
	s_waitcnt lgkmcnt(0)
	v_fmac_f32_e32 v20, v23, v24
	s_or_b64 exec, exec, s[16:17]
	v_cmp_gt_u32_e64 s[12:13], 48, v5
	s_and_saveexec_b64 s[16:17], s[12:13]
	s_cbranch_execz .LBB110_724
.LBB110_1201:
	ds_read_b32 v23, v22 offset:6720
	ds_read_b32 v24, v21 offset:6248
	s_waitcnt lgkmcnt(0)
	v_fmac_f32_e32 v20, v23, v24
	s_or_b64 exec, exec, s[16:17]
	v_cmp_gt_u32_e64 s[12:13], 40, v5
	s_and_saveexec_b64 s[16:17], s[12:13]
	s_cbranch_execz .LBB110_725
.LBB110_1202:
	ds_read_b32 v23, v22 offset:6976
	ds_read_b32 v24, v21 offset:6252
	s_waitcnt lgkmcnt(0)
	v_fmac_f32_e32 v20, v23, v24
	s_or_b64 exec, exec, s[16:17]
	v_cmp_gt_u32_e64 s[12:13], 32, v5
	s_and_saveexec_b64 s[16:17], s[12:13]
	s_cbranch_execz .LBB110_726
.LBB110_1203:
	ds_read_b32 v23, v22 offset:7232
	ds_read_b32 v24, v21 offset:6256
	s_waitcnt lgkmcnt(0)
	v_fmac_f32_e32 v20, v23, v24
	s_or_b64 exec, exec, s[16:17]
	v_cmp_gt_u32_e64 s[12:13], 24, v5
	s_and_saveexec_b64 s[16:17], s[12:13]
	s_cbranch_execz .LBB110_727
.LBB110_1204:
	ds_read_b32 v23, v22 offset:7488
	ds_read_b32 v24, v21 offset:6260
	s_waitcnt lgkmcnt(0)
	v_fmac_f32_e32 v20, v23, v24
	s_or_b64 exec, exec, s[16:17]
	s_and_saveexec_b64 s[12:13], s[18:19]
	s_cbranch_execz .LBB110_728
.LBB110_1205:
	ds_read_b32 v22, v22 offset:7744
	ds_read_b32 v21, v21 offset:6264
	s_waitcnt lgkmcnt(0)
	v_fmac_f32_e32 v20, v22, v21
	s_or_b64 exec, exec, s[12:13]
	v_cmp_gt_u32_e64 s[12:13], 8, v5
	s_and_saveexec_b64 s[16:17], s[12:13]
	s_cbranch_execnz .LBB110_729
	s_branch .LBB110_730
.LBB110_1206:
	ds_read_b32 v23, v22 offset:5440
	ds_read_b32 v24, v21 offset:5204
	s_waitcnt lgkmcnt(0)
	v_fmac_f32_e32 v20, v23, v24
	s_or_b64 exec, exec, s[16:17]
	v_cmp_gt_u32_e64 s[12:13], 8, v5
	s_and_saveexec_b64 s[16:17], s[12:13]
	s_cbranch_execz .LBB110_786
.LBB110_1207:
	ds_read_b32 v22, v22 offset:5696
	ds_read_b32 v21, v21 offset:5208
	s_waitcnt lgkmcnt(0)
	v_fmac_f32_e32 v20, v22, v21
	s_or_b64 exec, exec, s[16:17]
	v_cmp_gt_u32_e64 s[12:13], 4, v5
	s_and_saveexec_b64 s[16:17], s[12:13]
	s_cbranch_execnz .LBB110_787
	s_branch .LBB110_788
.LBB110_1208:
	ds_read_b32 v23, v22 offset:6912
	ds_read_b32 v24, v21 offset:4204
	s_waitcnt lgkmcnt(0)
	v_fmac_f32_e32 v20, v23, v24
	s_or_b64 exec, exec, s[16:17]
	s_and_saveexec_b64 s[12:13], s[8:9]
	s_cbranch_execz .LBB110_848
.LBB110_1209:
	ds_read_b32 v23, v22 offset:7168
	ds_read_b32 v24, v21 offset:4208
	s_waitcnt lgkmcnt(0)
	v_fmac_f32_e32 v20, v23, v24
	s_or_b64 exec, exec, s[12:13]
	v_cmp_gt_u32_e64 s[12:13], 48, v5
	s_and_saveexec_b64 s[16:17], s[12:13]
	s_cbranch_execz .LBB110_849
.LBB110_1210:
	ds_read_b32 v23, v22 offset:7424
	ds_read_b32 v24, v21 offset:4212
	s_waitcnt lgkmcnt(0)
	v_fmac_f32_e32 v20, v23, v24
	s_or_b64 exec, exec, s[16:17]
	v_cmp_gt_u32_e64 s[12:13], 32, v5
	s_and_saveexec_b64 s[16:17], s[12:13]
	s_cbranch_execz .LBB110_850
.LBB110_1211:
	ds_read_b32 v22, v22 offset:7680
	ds_read_b32 v21, v21 offset:4216
	s_waitcnt lgkmcnt(0)
	v_fmac_f32_e32 v20, v22, v21
	s_or_b64 exec, exec, s[16:17]
	v_cmp_gt_u32_e64 s[12:13], 16, v5
	s_and_saveexec_b64 s[16:17], s[12:13]
	s_cbranch_execnz .LBB110_851
	s_branch .LBB110_852
.LBB110_1212:
	ds_read_b32 v20, v19 offset:3360
	ds_read_b32 v21, v18 offset:3124
	s_waitcnt lgkmcnt(0)
	v_fmac_f32_e32 v17, v20, v21
	s_or_b64 exec, exec, s[12:13]
	v_cmp_gt_u32_e64 s[10:11], 8, v5
	s_and_saveexec_b64 s[12:13], s[10:11]
	s_cbranch_execz .LBB110_940
.LBB110_1213:
	ds_read_b32 v19, v19 offset:3616
	ds_read_b32 v18, v18 offset:3128
	s_waitcnt lgkmcnt(0)
	v_fmac_f32_e32 v17, v19, v18
	s_or_b64 exec, exec, s[12:13]
	v_cmp_gt_u32_e64 s[10:11], 4, v5
	s_and_saveexec_b64 s[12:13], s[10:11]
	s_cbranch_execnz .LBB110_941
	s_branch .LBB110_942
.LBB110_1214:
	ds_read_b32 v20, v19 offset:2304
	ds_read_b32 v21, v18 offset:2084
	s_waitcnt lgkmcnt(0)
	v_fmac_f32_e32 v17, v20, v21
	s_or_b64 exec, exec, s[12:13]
	v_cmp_gt_u32_e64 s[10:11], 48, v5
	s_and_saveexec_b64 s[12:13], s[10:11]
	s_cbranch_execz .LBB110_982
.LBB110_1215:
	ds_read_b32 v20, v19 offset:2560
	ds_read_b32 v21, v18 offset:2088
	s_waitcnt lgkmcnt(0)
	v_fmac_f32_e32 v17, v20, v21
	s_or_b64 exec, exec, s[12:13]
	v_cmp_gt_u32_e64 s[10:11], 40, v5
	s_and_saveexec_b64 s[12:13], s[10:11]
	s_cbranch_execz .LBB110_983
.LBB110_1216:
	ds_read_b32 v20, v19 offset:2816
	ds_read_b32 v21, v18 offset:2092
	s_waitcnt lgkmcnt(0)
	v_fmac_f32_e32 v17, v20, v21
	s_or_b64 exec, exec, s[12:13]
	v_cmp_gt_u32_e64 s[10:11], 32, v5
	s_and_saveexec_b64 s[12:13], s[10:11]
	s_cbranch_execz .LBB110_984
.LBB110_1217:
	ds_read_b32 v20, v19 offset:3072
	ds_read_b32 v21, v18 offset:2096
	s_waitcnt lgkmcnt(0)
	v_fmac_f32_e32 v17, v20, v21
	s_or_b64 exec, exec, s[12:13]
	v_cmp_gt_u32_e64 s[10:11], 24, v5
	s_and_saveexec_b64 s[12:13], s[10:11]
	s_cbranch_execz .LBB110_985
.LBB110_1218:
	ds_read_b32 v20, v19 offset:3328
	ds_read_b32 v21, v18 offset:2100
	s_waitcnt lgkmcnt(0)
	v_fmac_f32_e32 v17, v20, v21
	s_or_b64 exec, exec, s[12:13]
	s_and_saveexec_b64 s[10:11], s[18:19]
	s_cbranch_execz .LBB110_986
.LBB110_1219:
	ds_read_b32 v19, v19 offset:3584
	ds_read_b32 v18, v18 offset:2104
	s_waitcnt lgkmcnt(0)
	v_fmac_f32_e32 v17, v19, v18
	s_or_b64 exec, exec, s[10:11]
	v_cmp_gt_u32_e64 s[10:11], 8, v5
	s_and_saveexec_b64 s[12:13], s[10:11]
	s_cbranch_execnz .LBB110_987
	s_branch .LBB110_988
.LBB110_1220:
	ds_read_b32 v17, v16 offset:1280
	ds_read_b32 v18, v15 offset:1044
	s_waitcnt lgkmcnt(0)
	v_fmac_f32_e32 v14, v17, v18
	s_or_b64 exec, exec, s[10:11]
	v_cmp_gt_u32_e64 s[8:9], 8, v5
	s_and_saveexec_b64 s[10:11], s[8:9]
	s_cbranch_execz .LBB110_1044
.LBB110_1221:
	ds_read_b32 v16, v16 offset:1536
	ds_read_b32 v15, v15 offset:1048
	s_waitcnt lgkmcnt(0)
	v_fmac_f32_e32 v14, v16, v15
	s_or_b64 exec, exec, s[10:11]
	v_cmp_gt_u32_e64 s[8:9], 4, v5
	s_and_saveexec_b64 s[10:11], s[8:9]
	s_cbranch_execnz .LBB110_1045
	s_branch .LBB110_1046
	.section	.rodata,"a",@progbits
	.p2align	6, 0x0
	.amdhsa_kernel _ZL19rocblas_trsv_deviceILi64ELi16ELb0ELb1ELb0ELb1EffPKPKfPKPfEviT7_lllT6_T8_lllPii
		.amdhsa_group_segment_fixed_size 20740
		.amdhsa_private_segment_fixed_size 0
		.amdhsa_kernarg_size 352
		.amdhsa_user_sgpr_count 6
		.amdhsa_user_sgpr_private_segment_buffer 1
		.amdhsa_user_sgpr_dispatch_ptr 0
		.amdhsa_user_sgpr_queue_ptr 0
		.amdhsa_user_sgpr_kernarg_segment_ptr 1
		.amdhsa_user_sgpr_dispatch_id 0
		.amdhsa_user_sgpr_flat_scratch_init 0
		.amdhsa_user_sgpr_private_segment_size 0
		.amdhsa_uses_dynamic_stack 0
		.amdhsa_system_sgpr_private_segment_wavefront_offset 0
		.amdhsa_system_sgpr_workgroup_id_x 1
		.amdhsa_system_sgpr_workgroup_id_y 0
		.amdhsa_system_sgpr_workgroup_id_z 1
		.amdhsa_system_sgpr_workgroup_info 0
		.amdhsa_system_vgpr_workitem_id 1
		.amdhsa_next_free_vgpr 29
		.amdhsa_next_free_sgpr 96
		.amdhsa_reserve_vcc 1
		.amdhsa_reserve_flat_scratch 0
		.amdhsa_float_round_mode_32 0
		.amdhsa_float_round_mode_16_64 0
		.amdhsa_float_denorm_mode_32 3
		.amdhsa_float_denorm_mode_16_64 3
		.amdhsa_dx10_clamp 1
		.amdhsa_ieee_mode 1
		.amdhsa_fp16_overflow 0
		.amdhsa_exception_fp_ieee_invalid_op 0
		.amdhsa_exception_fp_denorm_src 0
		.amdhsa_exception_fp_ieee_div_zero 0
		.amdhsa_exception_fp_ieee_overflow 0
		.amdhsa_exception_fp_ieee_underflow 0
		.amdhsa_exception_fp_ieee_inexact 0
		.amdhsa_exception_int_div_zero 0
	.end_amdhsa_kernel
	.section	.text._ZL19rocblas_trsv_deviceILi64ELi16ELb0ELb1ELb0ELb1EffPKPKfPKPfEviT7_lllT6_T8_lllPii,"axG",@progbits,_ZL19rocblas_trsv_deviceILi64ELi16ELb0ELb1ELb0ELb1EffPKPKfPKPfEviT7_lllT6_T8_lllPii,comdat
.Lfunc_end110:
	.size	_ZL19rocblas_trsv_deviceILi64ELi16ELb0ELb1ELb0ELb1EffPKPKfPKPfEviT7_lllT6_T8_lllPii, .Lfunc_end110-_ZL19rocblas_trsv_deviceILi64ELi16ELb0ELb1ELb0ELb1EffPKPKfPKPfEviT7_lllT6_T8_lllPii
                                        ; -- End function
	.set _ZL19rocblas_trsv_deviceILi64ELi16ELb0ELb1ELb0ELb1EffPKPKfPKPfEviT7_lllT6_T8_lllPii.num_vgpr, 29
	.set _ZL19rocblas_trsv_deviceILi64ELi16ELb0ELb1ELb0ELb1EffPKPKfPKPfEviT7_lllT6_T8_lllPii.num_agpr, 0
	.set _ZL19rocblas_trsv_deviceILi64ELi16ELb0ELb1ELb0ELb1EffPKPKfPKPfEviT7_lllT6_T8_lllPii.numbered_sgpr, 96
	.set _ZL19rocblas_trsv_deviceILi64ELi16ELb0ELb1ELb0ELb1EffPKPKfPKPfEviT7_lllT6_T8_lllPii.num_named_barrier, 0
	.set _ZL19rocblas_trsv_deviceILi64ELi16ELb0ELb1ELb0ELb1EffPKPKfPKPfEviT7_lllT6_T8_lllPii.private_seg_size, 0
	.set _ZL19rocblas_trsv_deviceILi64ELi16ELb0ELb1ELb0ELb1EffPKPKfPKPfEviT7_lllT6_T8_lllPii.uses_vcc, 1
	.set _ZL19rocblas_trsv_deviceILi64ELi16ELb0ELb1ELb0ELb1EffPKPKfPKPfEviT7_lllT6_T8_lllPii.uses_flat_scratch, 0
	.set _ZL19rocblas_trsv_deviceILi64ELi16ELb0ELb1ELb0ELb1EffPKPKfPKPfEviT7_lllT6_T8_lllPii.has_dyn_sized_stack, 0
	.set _ZL19rocblas_trsv_deviceILi64ELi16ELb0ELb1ELb0ELb1EffPKPKfPKPfEviT7_lllT6_T8_lllPii.has_recursion, 0
	.set _ZL19rocblas_trsv_deviceILi64ELi16ELb0ELb1ELb0ELb1EffPKPKfPKPfEviT7_lllT6_T8_lllPii.has_indirect_call, 0
	.section	.AMDGPU.csdata,"",@progbits
; Kernel info:
; codeLenInByte = 35084
; TotalNumSgprs: 100
; NumVgprs: 29
; ScratchSize: 0
; MemoryBound: 0
; FloatMode: 240
; IeeeMode: 1
; LDSByteSize: 20740 bytes/workgroup (compile time only)
; SGPRBlocks: 12
; VGPRBlocks: 7
; NumSGPRsForWavesPerEU: 100
; NumVGPRsForWavesPerEU: 29
; Occupancy: 8
; WaveLimiterHint : 1
; COMPUTE_PGM_RSRC2:SCRATCH_EN: 0
; COMPUTE_PGM_RSRC2:USER_SGPR: 6
; COMPUTE_PGM_RSRC2:TRAP_HANDLER: 0
; COMPUTE_PGM_RSRC2:TGID_X_EN: 1
; COMPUTE_PGM_RSRC2:TGID_Y_EN: 0
; COMPUTE_PGM_RSRC2:TGID_Z_EN: 1
; COMPUTE_PGM_RSRC2:TIDIG_COMP_CNT: 1
	.section	.text._ZL19rocblas_trsv_deviceILi64ELi16ELb0ELb1ELb1ELb1EffPKPKfPKPfEviT7_lllT6_T8_lllPii,"axG",@progbits,_ZL19rocblas_trsv_deviceILi64ELi16ELb0ELb1ELb1ELb1EffPKPKfPKPfEviT7_lllT6_T8_lllPii,comdat
	.globl	_ZL19rocblas_trsv_deviceILi64ELi16ELb0ELb1ELb1ELb1EffPKPKfPKPfEviT7_lllT6_T8_lllPii ; -- Begin function _ZL19rocblas_trsv_deviceILi64ELi16ELb0ELb1ELb1ELb1EffPKPKfPKPfEviT7_lllT6_T8_lllPii
	.p2align	8
	.type	_ZL19rocblas_trsv_deviceILi64ELi16ELb0ELb1ELb1ELb1EffPKPKfPKPfEviT7_lllT6_T8_lllPii,@function
_ZL19rocblas_trsv_deviceILi64ELi16ELb0ELb1ELb1ELb1EffPKPKfPKPfEviT7_lllT6_T8_lllPii: ; @_ZL19rocblas_trsv_deviceILi64ELi16ELb0ELb1ELb1ELb1EffPKPKfPKPfEviT7_lllT6_T8_lllPii
; %bb.0:
	s_load_dwordx4 s[0:3], s[4:5], 0x8
	s_mov_b32 s24, s7
	s_mov_b32 s25, 0
	s_lshl_b64 s[8:9], s[24:25], 3
	s_waitcnt lgkmcnt(0)
	s_add_u32 s0, s0, s8
	s_addc_u32 s1, s1, s9
	s_load_dwordx2 s[10:11], s[0:1], 0x0
	s_load_dword s33, s[4:5], 0x0
	s_load_dwordx4 s[12:15], s[4:5], 0x30
	s_load_dwordx2 s[30:31], s[4:5], 0x18
	s_lshl_b64 s[0:1], s[2:3], 2
	s_waitcnt lgkmcnt(0)
	s_add_u32 s88, s10, s0
	s_addc_u32 s89, s11, s1
	s_add_u32 s0, s12, s8
	s_addc_u32 s1, s13, s9
	s_load_dwordx2 s[34:35], s[0:1], 0x0
	s_load_dwordx2 s[26:27], s[4:5], 0x40
	s_load_dword s16, s[4:5], 0x6c
	s_cmp_eq_u32 s6, 0
	s_cbranch_scc1 .LBB111_10
; %bb.1:
	s_lshl_b32 s2, s6, 6
	v_add_u32_e32 v6, s2, v0
	v_ashrrev_i32_e32 v2, 31, v6
	v_mul_lo_u32 v7, s30, v2
	v_mul_lo_u32 v8, s31, v6
	v_mad_u64_u32 v[4:5], s[0:1], s30, v6, 0
	v_add_u32_e32 v2, s2, v1
	v_subrev_u32_e32 v2, 64, v2
	v_add3_u32 v5, v5, v7, v8
	v_lshlrev_b64 v[4:5], 2, v[4:5]
	v_ashrrev_i32_e32 v3, 31, v2
	v_cmp_gt_i32_e32 vcc, s33, v6
	v_mov_b32_e32 v6, s89
	v_add_co_u32_e64 v7, s[0:1], s88, v4
	v_lshlrev_b64 v[3:4], 2, v[2:3]
	v_addc_co_u32_e64 v5, s[0:1], v6, v5, s[0:1]
	v_add_co_u32_e64 v3, s[0:1], v7, v3
	v_addc_co_u32_e64 v4, s[0:1], v5, v4, s[0:1]
	v_cmp_gt_i32_e64 s[0:1], s33, v2
	s_and_b64 s[2:3], s[0:1], vcc
	v_mov_b32_e32 v7, 0
	v_mov_b32_e32 v8, 0
	s_waitcnt lgkmcnt(0)
	s_barrier
	s_and_saveexec_b64 s[0:1], s[2:3]
	s_cbranch_execz .LBB111_3
; %bb.2:
	flat_load_dword v8, v[3:4]
.LBB111_3:
	s_or_b64 exec, exec, s[0:1]
	v_add_u32_e32 v5, 16, v2
	v_cmp_gt_i32_e64 s[0:1], s33, v5
	s_and_b64 s[2:3], s[0:1], vcc
	s_waitcnt vmcnt(0) lgkmcnt(0)
	s_barrier
	s_and_saveexec_b64 s[0:1], s[2:3]
	s_cbranch_execz .LBB111_5
; %bb.4:
	flat_load_dword v7, v[3:4] offset:64
.LBB111_5:
	s_or_b64 exec, exec, s[0:1]
	v_add_u32_e32 v5, 32, v2
	v_cmp_gt_i32_e64 s[0:1], s33, v5
	s_and_b64 s[2:3], s[0:1], vcc
	v_mov_b32_e32 v9, 0
	v_mov_b32_e32 v10, 0
	s_waitcnt vmcnt(0) lgkmcnt(0)
	s_barrier
	s_and_saveexec_b64 s[0:1], s[2:3]
	s_cbranch_execz .LBB111_7
; %bb.6:
	flat_load_dword v10, v[3:4] offset:128
.LBB111_7:
	s_or_b64 exec, exec, s[0:1]
	v_add_u32_e32 v2, 48, v2
	v_cmp_gt_i32_e64 s[0:1], s33, v2
	s_and_b64 s[2:3], s[0:1], vcc
	s_waitcnt vmcnt(0) lgkmcnt(0)
	s_barrier
	s_and_saveexec_b64 s[0:1], s[2:3]
	s_cbranch_execz .LBB111_9
; %bb.8:
	flat_load_dword v9, v[3:4] offset:192
.LBB111_9:
	s_or_b64 exec, exec, s[0:1]
	s_branch .LBB111_11
.LBB111_10:
                                        ; implicit-def: $vgpr9
                                        ; implicit-def: $vgpr10
                                        ; implicit-def: $vgpr7
                                        ; implicit-def: $vgpr8
.LBB111_11:
	s_ashr_i32 s0, s33, 31
	s_lshr_b32 s0, s0, 26
	s_add_i32 s0, s33, s0
	s_andn2_b32 s0, s0, 63
	s_sub_i32 s7, s33, s0
	s_add_i32 s0, s33, -1
	s_ashr_i32 s1, s0, 31
	s_lshr_b32 s1, s1, 26
	s_add_i32 s0, s0, s1
	s_ashr_i32 s0, s0, 6
	s_cmp_eq_u32 s0, s6
	s_cselect_b64 s[0:1], -1, 0
	s_cmp_lg_u32 s7, 0
	s_cselect_b64 s[2:3], -1, 0
	s_and_b64 s[28:29], s[2:3], s[0:1]
	s_cmp_lt_i32 s6, 5
	s_cselect_b64 s[2:3], -1, 0
	s_mov_b64 s[12:13], -1
	s_or_b64 s[0:1], s[2:3], s[28:29]
	v_lshlrev_b32_e32 v4, 6, v0
	s_and_b64 vcc, exec, s[28:29]
	v_cmp_le_u32_e64 s[8:9], v1, v0
	v_lshlrev_b32_e32 v6, 2, v0
	s_cbranch_vccnz .LBB111_27
; %bb.12:
	s_add_u32 s10, s30, 1
	s_addc_u32 s11, s31, 0
	s_lshl_b32 s12, s6, 6
	s_ashr_i32 s13, s12, 31
	s_mul_hi_u32 s14, s10, s12
	s_mul_i32 s13, s10, s13
	s_add_i32 s13, s14, s13
	s_mul_i32 s11, s11, s12
	s_add_i32 s11, s13, s11
	s_mul_i32 s10, s10, s12
	s_lshl_b64 s[10:11], s[10:11], 2
	s_add_u32 s10, s88, s10
	s_addc_u32 s11, s89, s11
	v_lshlrev_b32_e32 v2, 2, v0
	v_mov_b32_e32 v3, s11
	v_add_co_u32_e32 v2, vcc, s10, v2
	v_mov_b32_e32 v5, 0
	v_addc_co_u32_e32 v3, vcc, 0, v3, vcc
	s_mov_b64 s[10:11], 0
	s_and_saveexec_b64 s[12:13], s[8:9]
	s_xor_b64 s[8:9], exec, s[12:13]
	s_cbranch_execnz .LBB111_1149
; %bb.13:
	s_andn2_saveexec_b64 s[8:9], s[8:9]
	s_cbranch_execnz .LBB111_1150
.LBB111_14:
	s_or_b64 exec, exec, s[8:9]
	s_and_saveexec_b64 s[8:9], s[10:11]
.LBB111_15:
	v_add_u32_e32 v11, v1, v4
	v_lshl_add_u32 v12, v1, 6, v0
	v_cndmask_b32_e64 v11, v12, v11, s[2:3]
	v_lshlrev_b32_e32 v11, 2, v11
	ds_write_b32 v11, v5
.LBB111_16:
	s_or_b64 exec, exec, s[8:9]
	v_add_u32_e32 v5, 16, v1
	v_cmp_le_u32_e32 vcc, v5, v0
	s_mov_b64 s[2:3], 0
	s_and_saveexec_b64 s[8:9], vcc
	s_xor_b64 s[8:9], exec, s[8:9]
	s_cbranch_execnz .LBB111_1151
; %bb.17:
	s_or_saveexec_b64 s[8:9], s[8:9]
	v_mov_b32_e32 v11, 0
	s_xor_b64 exec, exec, s[8:9]
	s_cbranch_execnz .LBB111_1152
.LBB111_18:
	s_or_b64 exec, exec, s[8:9]
	s_and_saveexec_b64 s[8:9], s[2:3]
.LBB111_19:
	v_add_u32_e32 v12, v5, v4
	v_lshl_add_u32 v5, v5, 6, v0
	v_cndmask_b32_e64 v5, v5, v12, s[0:1]
	v_lshlrev_b32_e32 v5, 2, v5
	ds_write_b32 v5, v11
.LBB111_20:
	s_or_b64 exec, exec, s[8:9]
	v_add_u32_e32 v5, 32, v1
	v_cmp_le_u32_e32 vcc, v5, v0
	s_mov_b64 s[2:3], 0
	s_and_saveexec_b64 s[8:9], vcc
	s_xor_b64 s[8:9], exec, s[8:9]
	s_cbranch_execnz .LBB111_1153
; %bb.21:
	s_or_saveexec_b64 s[8:9], s[8:9]
	v_mov_b32_e32 v11, 0
	s_xor_b64 exec, exec, s[8:9]
	s_cbranch_execnz .LBB111_1154
.LBB111_22:
	s_or_b64 exec, exec, s[8:9]
	s_and_saveexec_b64 s[8:9], s[2:3]
.LBB111_23:
	v_add_u32_e32 v12, v5, v4
	v_lshl_add_u32 v5, v5, 6, v0
	v_cndmask_b32_e64 v5, v5, v12, s[0:1]
	v_lshlrev_b32_e32 v5, 2, v5
	ds_write_b32 v5, v11
.LBB111_24:
	s_or_b64 exec, exec, s[8:9]
	v_add_u32_e32 v5, 48, v1
	v_add_u32_e32 v11, v5, v4
	v_lshl_add_u32 v12, v5, 6, v0
	v_cmp_le_u32_e32 vcc, v5, v0
	s_mov_b64 s[2:3], -1
	s_mov_b64 s[12:13], 0
	s_mov_b64 s[10:11], 0
	s_and_saveexec_b64 s[8:9], vcc
	s_xor_b64 s[8:9], exec, s[8:9]
; %bb.25:
	v_or_b32_e32 v13, v5, v0
	v_cmp_gt_u32_e32 vcc, 64, v13
	s_and_b64 s[10:11], vcc, exec
	s_xor_b64 s[2:3], exec, -1
; %bb.26:
	s_or_b64 exec, exec, s[8:9]
	v_cndmask_b32_e64 v11, v12, v11, s[0:1]
	s_and_b64 vcc, exec, s[12:13]
	s_cbranch_vccnz .LBB111_28
	s_branch .LBB111_43
.LBB111_27:
	s_mov_b64 s[2:3], 0
	s_mov_b64 s[10:11], 0
                                        ; implicit-def: $vgpr11
                                        ; implicit-def: $vgpr2_vgpr3
                                        ; implicit-def: $vgpr5
	s_and_b64 vcc, exec, s[12:13]
	s_cbranch_vccz .LBB111_43
.LBB111_28:
	s_add_u32 s2, s30, 1
	s_addc_u32 s3, s31, 0
	s_lshl_b32 s8, s6, 6
	s_ashr_i32 s9, s8, 31
	s_mul_hi_u32 s12, s2, s8
	s_mul_i32 s9, s2, s9
	s_add_i32 s9, s12, s9
	s_mul_i32 s3, s3, s8
	s_add_i32 s3, s9, s3
	s_mul_i32 s2, s2, s8
	s_lshl_b64 s[2:3], s[2:3], 2
	s_add_u32 s2, s88, s2
	s_addc_u32 s3, s89, s3
	v_lshlrev_b32_e32 v2, 2, v0
	v_mov_b32_e32 v3, s3
	v_add_co_u32_e64 v2, s[2:3], s2, v2
	v_addc_co_u32_e64 v3, s[2:3], 0, v3, s[2:3]
	v_max_i32_e32 v11, v1, v0
	v_cmp_le_u32_e64 s[2:3], v1, v0
	v_cmp_le_i32_e64 s[8:9], s7, v11
	v_cmp_gt_i32_e32 vcc, s7, v0
	v_mov_b32_e32 v5, 0
	s_or_b64 s[2:3], s[8:9], s[2:3]
	s_mov_b64 s[8:9], 0
	s_and_saveexec_b64 s[12:13], s[2:3]
	s_xor_b64 s[12:13], exec, s[12:13]
	s_cbranch_execnz .LBB111_1155
; %bb.29:
	s_andn2_saveexec_b64 s[12:13], s[12:13]
	s_cbranch_execnz .LBB111_1156
.LBB111_30:
	s_or_b64 exec, exec, s[12:13]
	s_and_saveexec_b64 s[2:3], s[8:9]
.LBB111_31:
	v_lshlrev_b32_e32 v11, 2, v4
	v_lshl_add_u32 v11, v1, 2, v11
	ds_write_b32 v11, v5
.LBB111_32:
	s_or_b64 exec, exec, s[2:3]
	v_add_u32_e32 v5, 16, v1
	v_cmp_gt_u32_e64 s[2:3], v5, v0
	v_cmp_gt_i32_e64 s[8:9], s7, v5
	s_and_b64 s[2:3], s[2:3], s[8:9]
	s_and_b64 s[2:3], s[2:3], vcc
	s_xor_b64 s[2:3], s[2:3], -1
	s_mov_b64 s[8:9], 0
	s_and_saveexec_b64 s[12:13], s[2:3]
	s_xor_b64 s[12:13], exec, s[12:13]
	s_cbranch_execnz .LBB111_1157
; %bb.33:
	s_or_saveexec_b64 s[12:13], s[12:13]
	v_mov_b32_e32 v11, 0
	s_xor_b64 exec, exec, s[12:13]
	s_cbranch_execnz .LBB111_1158
.LBB111_34:
	s_or_b64 exec, exec, s[12:13]
	s_and_saveexec_b64 s[2:3], s[8:9]
.LBB111_35:
	v_add_u32_e32 v12, v5, v4
	v_lshl_add_u32 v5, v5, 6, v0
	v_cndmask_b32_e64 v5, v5, v12, s[0:1]
	v_lshlrev_b32_e32 v5, 2, v5
	ds_write_b32 v5, v11
.LBB111_36:
	s_or_b64 exec, exec, s[2:3]
	v_add_u32_e32 v5, 32, v1
	v_cmp_gt_u32_e64 s[2:3], v5, v0
	v_cmp_gt_i32_e64 s[8:9], s7, v5
	s_and_b64 s[2:3], s[2:3], s[8:9]
	s_and_b64 s[2:3], s[2:3], vcc
	s_xor_b64 s[2:3], s[2:3], -1
	s_mov_b64 s[8:9], 0
	s_and_saveexec_b64 s[12:13], s[2:3]
	s_xor_b64 s[12:13], exec, s[12:13]
	s_cbranch_execnz .LBB111_1159
; %bb.37:
	s_or_saveexec_b64 s[12:13], s[12:13]
	v_mov_b32_e32 v11, 0
	s_xor_b64 exec, exec, s[12:13]
	s_cbranch_execnz .LBB111_1160
.LBB111_38:
	s_or_b64 exec, exec, s[12:13]
	s_and_saveexec_b64 s[2:3], s[8:9]
.LBB111_39:
	v_add_u32_e32 v12, v5, v4
	v_lshl_add_u32 v5, v5, 6, v0
	v_cndmask_b32_e64 v5, v5, v12, s[0:1]
	v_lshlrev_b32_e32 v5, 2, v5
	ds_write_b32 v5, v11
.LBB111_40:
	s_or_b64 exec, exec, s[2:3]
	v_add_u32_e32 v5, 48, v1
	v_cmp_gt_u32_e64 s[2:3], v5, v0
	v_cmp_gt_i32_e64 s[8:9], s7, v5
	s_and_b64 s[2:3], s[2:3], s[8:9]
	s_and_b64 s[8:9], s[2:3], vcc
	v_add_u32_e32 v4, v5, v4
	v_lshl_add_u32 v11, v5, 6, v0
	s_mov_b64 s[2:3], -1
	s_xor_b64 s[12:13], s[8:9], -1
	s_and_saveexec_b64 s[8:9], s[12:13]
; %bb.41:
	v_or_b32_e32 v12, v5, v0
	v_cmp_gt_u32_e32 vcc, 64, v12
	s_andn2_b64 s[2:3], s[10:11], exec
	s_and_b64 s[10:11], vcc, exec
	s_or_b64 s[10:11], s[2:3], s[10:11]
	s_xor_b64 s[2:3], exec, -1
; %bb.42:
	s_or_b64 exec, exec, s[8:9]
	v_cndmask_b32_e64 v11, v11, v4, s[0:1]
.LBB111_43:
	v_mov_b32_e32 v4, 0
	s_and_saveexec_b64 s[8:9], s[2:3]
	s_cbranch_execnz .LBB111_1127
; %bb.44:
	s_or_b64 exec, exec, s[8:9]
	s_xor_b64 s[0:1], s[0:1], -1
	s_and_saveexec_b64 s[2:3], s[10:11]
.LBB111_45:
	v_lshlrev_b32_e32 v2, 2, v11
	ds_write_b32 v2, v4
.LBB111_46:
	s_or_b64 exec, exec, s[2:3]
	v_cndmask_b32_e64 v2, 0, 1, s[0:1]
	v_cmp_ne_u32_e64 s[44:45], 1, v2
	s_andn2_b64 vcc, exec, s[0:1]
	s_waitcnt vmcnt(0) lgkmcnt(0)
	s_barrier
	s_cbranch_vccnz .LBB111_1084
; %bb.47:
	v_or_b32_e32 v2, v0, v1
	v_cmp_eq_u32_e32 vcc, 0, v2
	s_and_saveexec_b64 s[0:1], vcc
	s_cbranch_execz .LBB111_49
; %bb.48:
	v_mov_b32_e32 v4, 0
	ds_read_b32 v3, v4 offset:16376
	v_mov_b32_e32 v2, 1.0
	ds_write_b32 v4, v2 offset:16380
	s_waitcnt lgkmcnt(1)
	ds_write_b64 v4, v[2:3] offset:16120
.LBB111_49:
	s_or_b64 exec, exec, s[0:1]
	v_lshlrev_b32_e32 v3, 6, v1
	v_add_u32_e32 v5, v3, v0
	v_and_b32_e32 v4, v3, v0
	v_xor_b32_e32 v3, v3, v0
	v_lshrrev_b16_e32 v3, 1, v3
	v_add_u16_e32 v4, v4, v3
	v_and_b32_e32 v2, 1, v0
	v_sub_u32_e32 v3, 1, v4
	v_cmp_lt_u32_e64 s[8:9], 3, v5
	v_cmp_gt_u32_e64 s[2:3], 4, v5
	v_mov_b32_e32 v11, 0
	s_waitcnt lgkmcnt(0)
	s_barrier
	buffer_wbinvl1_vol
	s_and_saveexec_b64 s[0:1], s[2:3]
	s_cbranch_execz .LBB111_53
; %bb.50:
	v_lshlrev_b32_e32 v11, 8, v3
	v_lshlrev_b32_e32 v12, 2, v2
	ds_read_b32 v13, v12 offset:16112
	ds_read_b32 v11, v11 offset:16120
	v_mov_b32_e32 v12, 0
	v_cmp_gt_u32_e64 s[10:11], 2, v5
	s_waitcnt lgkmcnt(0)
	v_fma_f32 v11, v13, v11, 0
	s_and_saveexec_b64 s[12:13], s[10:11]
	s_cbranch_execz .LBB111_52
; %bb.51:
	v_lshlrev_b32_e32 v13, 2, v0
	ds_read_b32 v13, v13 offset:16368
	ds_read_b32 v12, v12 offset:16380
	s_waitcnt lgkmcnt(0)
	v_fmac_f32_e32 v11, v13, v12
.LBB111_52:
	s_or_b64 exec, exec, s[12:13]
.LBB111_53:
	s_or_b64 exec, exec, s[0:1]
	v_mov_b32_e32 v12, 0x4000
	v_cmp_ne_u32_e64 s[10:11], 0, v2
	s_xor_b64 s[0:1], s[8:9], -1
	v_lshl_add_u32 v4, v4, 2, v12
	s_and_b64 s[38:39], s[10:11], s[0:1]
	s_and_saveexec_b64 s[8:9], s[38:39]
; %bb.54:
	v_xor_b32_e32 v12, 0x80000000, v11
	ds_write_b32 v4, v12
; %bb.55:
	s_or_b64 exec, exec, s[8:9]
	v_cmp_eq_u32_e64 s[8:9], 0, v2
	s_and_b64 s[36:37], s[8:9], s[0:1]
	s_waitcnt lgkmcnt(0)
	s_barrier
	s_and_saveexec_b64 s[0:1], s[36:37]
	s_cbranch_execz .LBB111_57
; %bb.56:
	v_mov_b32_e32 v12, 0
	ds_read_b32 v12, v12 offset:15856
	ds_read_b32 v13, v4
	s_waitcnt lgkmcnt(0)
	v_fma_f32 v11, -v12, v13, v11
.LBB111_57:
	s_or_b64 exec, exec, s[0:1]
	s_barrier
	s_and_saveexec_b64 s[0:1], s[36:37]
; %bb.58:
	v_xor_b32_e32 v12, 0x80000000, v11
	ds_write_b32 v4, v12
; %bb.59:
	s_or_b64 exec, exec, s[0:1]
	s_waitcnt lgkmcnt(0)
	s_barrier
	s_barrier
	s_and_saveexec_b64 s[0:1], s[2:3]
; %bb.60:
	v_lshlrev_b32_e32 v12, 2, v2
	v_lshl_or_b32 v12, v3, 8, v12
	ds_write_b32 v12, v11 offset:16112
; %bb.61:
	s_or_b64 exec, exec, s[0:1]
	v_cmp_eq_u32_e64 s[12:13], 0, v1
	v_cmp_gt_u32_e64 s[8:9], 2, v0
	s_and_b64 s[40:41], s[12:13], s[8:9]
	s_waitcnt lgkmcnt(0)
	s_barrier
	s_barrier
	s_and_saveexec_b64 s[0:1], s[40:41]
	s_cbranch_execz .LBB111_63
; %bb.62:
	v_lshlrev_b32_e32 v11, 2, v0
	s_movk_i32 s8, 0xfc
	v_mad_u32_u24 v12, v0, s8, v11
	ds_read_b32 v13, v12 offset:16112
	s_waitcnt lgkmcnt(0)
	ds_write_b32 v11, v13 offset:15608
	ds_read_b32 v12, v12 offset:16116
	s_waitcnt lgkmcnt(0)
	ds_write_b32 v11, v12 offset:15864
.LBB111_63:
	s_or_b64 exec, exec, s[0:1]
	s_waitcnt lgkmcnt(0)
	s_barrier
	s_and_saveexec_b64 s[0:1], vcc
	s_cbranch_execz .LBB111_65
; %bb.64:
	v_mov_b32_e32 v13, 0
	ds_read_b32 v12, v13 offset:15856
	v_mov_b32_e32 v11, 1.0
	ds_write_b32 v13, v11 offset:15860
	s_waitcnt lgkmcnt(1)
	ds_write_b64 v13, v[11:12] offset:15600
.LBB111_65:
	s_or_b64 exec, exec, s[0:1]
	v_lshrrev_b32_e32 v13, 2, v5
	v_and_b32_e32 v11, 3, v0
	v_sub_u32_e32 v12, 3, v13
	v_cmp_lt_u32_e64 s[8:9], 15, v5
	v_cmp_gt_u32_e64 s[18:19], 16, v5
	v_mov_b32_e32 v14, 0
	s_waitcnt lgkmcnt(0)
	s_barrier
	buffer_wbinvl1_vol
	s_and_saveexec_b64 s[0:1], s[18:19]
	s_cbranch_execz .LBB111_71
; %bb.66:
	v_lshlrev_b32_e32 v16, 2, v11
	v_lshlrev_b32_e32 v15, 8, v12
	ds_read_b32 v14, v16 offset:15584
	ds_read_b32 v17, v15 offset:15600
	v_cmp_gt_u32_e64 s[10:11], 12, v5
	s_waitcnt lgkmcnt(0)
	v_fma_f32 v14, v14, v17, 0
	s_and_saveexec_b64 s[14:15], s[10:11]
	s_cbranch_execnz .LBB111_1172
; %bb.67:
	s_or_b64 exec, exec, s[14:15]
	v_cmp_gt_u32_e64 s[10:11], 8, v5
	s_and_saveexec_b64 s[14:15], s[10:11]
	s_cbranch_execnz .LBB111_1173
.LBB111_68:
	s_or_b64 exec, exec, s[14:15]
	v_cmp_gt_u32_e64 s[10:11], 4, v5
	s_and_saveexec_b64 s[14:15], s[10:11]
	s_cbranch_execz .LBB111_70
.LBB111_69:
	v_lshlrev_b32_e32 v15, 2, v0
	v_mov_b32_e32 v16, 0
	ds_read_b32 v15, v15 offset:16352
	ds_read_b32 v16, v16 offset:16380
	s_waitcnt lgkmcnt(0)
	v_fmac_f32_e32 v14, v15, v16
.LBB111_70:
	s_or_b64 exec, exec, s[14:15]
.LBB111_71:
                                        ; implicit-def: $vgpr28 : SGPR spill to VGPR lane
	v_writelane_b32 v28, s44, 0
	v_writelane_b32 v28, s45, 1
	s_or_b64 exec, exec, s[0:1]
	v_mov_b32_e32 v15, 0x4000
	v_cmp_eq_u32_e64 s[10:11], 3, v11
	s_xor_b64 s[0:1], s[8:9], -1
	v_lshl_add_u32 v13, v13, 2, v15
	s_and_b64 s[44:45], s[10:11], s[0:1]
	s_and_saveexec_b64 s[8:9], s[44:45]
; %bb.72:
	v_xor_b32_e32 v15, 0x80000000, v14
	ds_write_b32 v13, v15
; %bb.73:
	s_or_b64 exec, exec, s[8:9]
	v_cmp_ne_u32_e64 s[8:9], 3, v11
	s_and_b64 s[46:47], s[8:9], s[0:1]
	s_waitcnt lgkmcnt(0)
	s_barrier
	s_and_saveexec_b64 s[8:9], s[46:47]
	s_cbranch_execz .LBB111_75
; %bb.74:
	v_lshlrev_b32_e32 v15, 2, v11
	ds_read_b32 v15, v15 offset:15328
	ds_read_b32 v16, v13
	s_waitcnt lgkmcnt(0)
	v_fma_f32 v14, -v15, v16, v14
.LBB111_75:
	s_or_b64 exec, exec, s[8:9]
	v_cmp_eq_u32_e64 s[8:9], 2, v11
	s_and_b64 s[48:49], s[8:9], s[0:1]
	s_barrier
	s_and_saveexec_b64 s[8:9], s[48:49]
; %bb.76:
	v_xor_b32_e32 v15, 0x80000000, v14
	ds_write_b32 v13, v15
; %bb.77:
	s_or_b64 exec, exec, s[8:9]
	v_cmp_gt_u32_e64 s[8:9], 2, v11
	s_and_b64 s[50:51], s[8:9], s[0:1]
	s_waitcnt lgkmcnt(0)
	s_barrier
	s_and_saveexec_b64 s[8:9], s[50:51]
	s_cbranch_execz .LBB111_79
; %bb.78:
	v_lshlrev_b32_e32 v15, 2, v11
	ds_read_b32 v15, v15 offset:15072
	ds_read_b32 v16, v13
	s_waitcnt lgkmcnt(0)
	v_fma_f32 v14, -v15, v16, v14
.LBB111_79:
	s_or_b64 exec, exec, s[8:9]
	v_cmp_eq_u32_e64 s[8:9], 1, v11
	s_and_b64 s[52:53], s[8:9], s[0:1]
	s_barrier
	s_and_saveexec_b64 s[8:9], s[52:53]
; %bb.80:
	v_xor_b32_e32 v15, 0x80000000, v14
	ds_write_b32 v13, v15
; %bb.81:
	s_or_b64 exec, exec, s[8:9]
	v_cmp_eq_u32_e64 s[8:9], 0, v11
	s_and_b64 s[42:43], s[8:9], s[0:1]
	s_waitcnt lgkmcnt(0)
	s_barrier
	s_and_saveexec_b64 s[0:1], s[42:43]
	s_cbranch_execz .LBB111_83
; %bb.82:
	v_mov_b32_e32 v15, 0
	ds_read_b32 v15, v15 offset:14816
	ds_read_b32 v16, v13
	s_waitcnt lgkmcnt(0)
	v_fma_f32 v14, -v15, v16, v14
.LBB111_83:
	s_or_b64 exec, exec, s[0:1]
	s_barrier
	s_and_saveexec_b64 s[0:1], s[42:43]
; %bb.84:
	v_xor_b32_e32 v15, 0x80000000, v14
	ds_write_b32 v13, v15
; %bb.85:
	s_or_b64 exec, exec, s[0:1]
	s_waitcnt lgkmcnt(0)
	s_barrier
	s_barrier
	s_and_saveexec_b64 s[0:1], s[18:19]
; %bb.86:
	v_lshlrev_b32_e32 v15, 2, v11
	v_lshl_or_b32 v15, v12, 8, v15
	ds_write_b32 v15, v14 offset:15584
; %bb.87:
	s_or_b64 exec, exec, s[0:1]
	v_cmp_gt_u32_e64 s[8:9], 4, v0
	s_and_b64 s[54:55], s[12:13], s[8:9]
	s_waitcnt lgkmcnt(0)
	s_barrier
	s_barrier
	s_and_saveexec_b64 s[0:1], s[54:55]
	s_cbranch_execz .LBB111_89
; %bb.88:
	v_lshlrev_b32_e32 v14, 8, v0
	ds_read_b32 v15, v14 offset:15584
	s_movk_i32 s8, 0xff04
	v_mad_i32_i24 v16, v0, s8, v14
	s_waitcnt lgkmcnt(0)
	ds_write_b32 v16, v15 offset:14576
	ds_read_b32 v15, v14 offset:15588
	s_waitcnt lgkmcnt(0)
	ds_write_b32 v16, v15 offset:14832
	ds_read_b32 v15, v14 offset:15592
	;; [unrolled: 3-line block ×3, first 2 shown]
	s_waitcnt lgkmcnt(0)
	ds_write_b32 v16, v14 offset:15344
.LBB111_89:
	s_or_b64 exec, exec, s[0:1]
	s_waitcnt lgkmcnt(0)
	s_barrier
	s_and_saveexec_b64 s[0:1], vcc
	s_cbranch_execz .LBB111_91
; %bb.90:
	v_mov_b32_e32 v16, 0
	ds_read_b32 v15, v16 offset:15336
	v_mov_b32_e32 v14, 1.0
	ds_write_b32 v16, v14 offset:15340
	s_waitcnt lgkmcnt(1)
	ds_write_b64 v16, v[14:15] offset:15080
.LBB111_91:
	s_or_b64 exec, exec, s[0:1]
	v_mov_b32_e32 v14, 0
	s_waitcnt lgkmcnt(0)
	s_barrier
	buffer_wbinvl1_vol
	s_and_saveexec_b64 s[0:1], s[2:3]
	s_cbranch_execz .LBB111_95
; %bb.92:
	v_lshlrev_b32_e32 v14, 8, v3
	v_lshlrev_b32_e32 v15, 2, v2
	ds_read_b32 v16, v15 offset:15072
	ds_read_b32 v14, v14 offset:15080
	v_mov_b32_e32 v15, 0
	v_cmp_gt_u32_e64 s[8:9], 2, v5
	s_waitcnt lgkmcnt(0)
	v_fma_f32 v14, v16, v14, 0
	s_and_saveexec_b64 s[10:11], s[8:9]
	s_cbranch_execz .LBB111_94
; %bb.93:
	v_lshlrev_b32_e32 v16, 2, v0
	ds_read_b32 v16, v16 offset:15328
	ds_read_b32 v15, v15 offset:15340
	s_waitcnt lgkmcnt(0)
	v_fmac_f32_e32 v14, v16, v15
.LBB111_94:
	s_or_b64 exec, exec, s[10:11]
.LBB111_95:
	s_or_b64 exec, exec, s[0:1]
	s_and_saveexec_b64 s[0:1], s[38:39]
; %bb.96:
	v_xor_b32_e32 v15, 0x80000000, v14
	ds_write_b32 v4, v15
; %bb.97:
	s_or_b64 exec, exec, s[0:1]
	s_waitcnt lgkmcnt(0)
	s_barrier
	s_and_saveexec_b64 s[0:1], s[36:37]
	s_cbranch_execz .LBB111_99
; %bb.98:
	v_mov_b32_e32 v15, 0
	ds_read_b32 v15, v15 offset:14816
	ds_read_b32 v16, v4
	s_waitcnt lgkmcnt(0)
	v_fma_f32 v14, -v15, v16, v14
.LBB111_99:
	s_or_b64 exec, exec, s[0:1]
	s_barrier
	s_and_saveexec_b64 s[0:1], s[36:37]
; %bb.100:
	v_xor_b32_e32 v15, 0x80000000, v14
	ds_write_b32 v4, v15
; %bb.101:
	s_or_b64 exec, exec, s[0:1]
	s_waitcnt lgkmcnt(0)
	s_barrier
	s_barrier
	s_and_saveexec_b64 s[0:1], s[2:3]
; %bb.102:
	v_lshlrev_b32_e32 v15, 2, v2
	v_lshl_or_b32 v15, v3, 8, v15
	ds_write_b32 v15, v14 offset:15072
; %bb.103:
	s_or_b64 exec, exec, s[0:1]
	s_waitcnt lgkmcnt(0)
	s_barrier
	s_barrier
	s_and_saveexec_b64 s[0:1], s[40:41]
	s_cbranch_execz .LBB111_105
; %bb.104:
	v_lshlrev_b32_e32 v14, 2, v0
	s_movk_i32 s8, 0xfc
	v_mad_u32_u24 v15, v0, s8, v14
	ds_read_b32 v16, v15 offset:15072
	s_waitcnt lgkmcnt(0)
	ds_write_b32 v14, v16 offset:14568
	ds_read_b32 v15, v15 offset:15076
	s_waitcnt lgkmcnt(0)
	ds_write_b32 v14, v15 offset:14824
.LBB111_105:
	s_or_b64 exec, exec, s[0:1]
	s_waitcnt lgkmcnt(0)
	s_barrier
	s_and_saveexec_b64 s[0:1], vcc
	s_cbranch_execz .LBB111_107
; %bb.106:
	v_mov_b32_e32 v16, 0
	ds_read_b32 v15, v16 offset:14816
	v_mov_b32_e32 v14, 1.0
	ds_write_b32 v16, v14 offset:14820
	s_waitcnt lgkmcnt(1)
	ds_write_b64 v16, v[14:15] offset:14560
.LBB111_107:
	s_or_b64 exec, exec, s[0:1]
	v_lshrrev_b32_e32 v16, 3, v5
	v_and_b32_e32 v14, 7, v0
	v_sub_u32_e32 v15, 7, v16
	v_cmp_lt_u32_e64 s[10:11], 63, v5
	v_cmp_gt_u32_e64 s[8:9], 64, v5
	v_mov_b32_e32 v17, 0
	s_waitcnt lgkmcnt(0)
	s_barrier
	buffer_wbinvl1_vol
	s_and_saveexec_b64 s[0:1], s[8:9]
	s_cbranch_execz .LBB111_117
; %bb.108:
	v_lshlrev_b32_e32 v19, 2, v14
	v_lshlrev_b32_e32 v18, 8, v15
	ds_read_b32 v17, v19 offset:14528
	ds_read_b32 v20, v18 offset:14560
	v_cmp_gt_u32_e64 s[14:15], 56, v5
	s_waitcnt lgkmcnt(0)
	v_fma_f32 v17, v17, v20, 0
	s_and_saveexec_b64 s[16:17], s[14:15]
	s_cbranch_execnz .LBB111_1174
; %bb.109:
	s_or_b64 exec, exec, s[16:17]
	v_cmp_gt_u32_e64 s[14:15], 48, v5
	s_and_saveexec_b64 s[16:17], s[14:15]
	s_cbranch_execnz .LBB111_1175
.LBB111_110:
	s_or_b64 exec, exec, s[16:17]
	v_cmp_gt_u32_e64 s[14:15], 40, v5
	s_and_saveexec_b64 s[16:17], s[14:15]
	s_cbranch_execnz .LBB111_1176
.LBB111_111:
	s_or_b64 exec, exec, s[16:17]
	v_cmp_gt_u32_e64 s[14:15], 32, v5
	s_and_saveexec_b64 s[16:17], s[14:15]
	s_cbranch_execnz .LBB111_1177
.LBB111_112:
	s_or_b64 exec, exec, s[16:17]
	v_cmp_gt_u32_e64 s[14:15], 24, v5
	s_and_saveexec_b64 s[16:17], s[14:15]
	s_cbranch_execnz .LBB111_1178
.LBB111_113:
	s_or_b64 exec, exec, s[16:17]
	s_and_saveexec_b64 s[14:15], s[18:19]
	s_cbranch_execnz .LBB111_1179
.LBB111_114:
	s_or_b64 exec, exec, s[14:15]
	v_cmp_gt_u32_e64 s[14:15], 8, v5
	s_and_saveexec_b64 s[16:17], s[14:15]
	s_cbranch_execz .LBB111_116
.LBB111_115:
	v_lshlrev_b32_e32 v18, 2, v0
	v_mov_b32_e32 v19, 0
	ds_read_b32 v18, v18 offset:16320
	ds_read_b32 v19, v19 offset:16380
	s_waitcnt lgkmcnt(0)
	v_fmac_f32_e32 v17, v18, v19
.LBB111_116:
	s_or_b64 exec, exec, s[16:17]
.LBB111_117:
	s_or_b64 exec, exec, s[0:1]
	v_mov_b32_e32 v18, 0x4000
	v_cmp_eq_u32_e64 s[14:15], 7, v14
	s_xor_b64 s[0:1], s[10:11], -1
	v_lshl_add_u32 v16, v16, 2, v18
	s_and_b64 s[56:57], s[14:15], s[0:1]
	s_and_saveexec_b64 s[10:11], s[56:57]
; %bb.118:
	v_xor_b32_e32 v18, 0x80000000, v17
	ds_write_b32 v16, v18
; %bb.119:
	s_or_b64 exec, exec, s[10:11]
	v_cmp_ne_u32_e64 s[10:11], 7, v14
	s_and_b64 s[58:59], s[10:11], s[0:1]
	s_waitcnt lgkmcnt(0)
	s_barrier
	s_and_saveexec_b64 s[10:11], s[58:59]
	s_cbranch_execz .LBB111_121
; %bb.120:
	v_lshlrev_b32_e32 v18, 2, v14
	ds_read_b32 v18, v18 offset:14272
	ds_read_b32 v19, v16
	s_waitcnt lgkmcnt(0)
	v_fma_f32 v17, -v18, v19, v17
.LBB111_121:
	s_or_b64 exec, exec, s[10:11]
	v_cmp_eq_u32_e64 s[10:11], 6, v14
	s_and_b64 s[60:61], s[10:11], s[0:1]
	s_barrier
	s_and_saveexec_b64 s[10:11], s[60:61]
; %bb.122:
	v_xor_b32_e32 v18, 0x80000000, v17
	ds_write_b32 v16, v18
; %bb.123:
	s_or_b64 exec, exec, s[10:11]
	v_cmp_gt_u32_e64 s[10:11], 6, v14
	s_and_b64 s[62:63], s[10:11], s[0:1]
	s_waitcnt lgkmcnt(0)
	s_barrier
	s_and_saveexec_b64 s[10:11], s[62:63]
	s_cbranch_execz .LBB111_125
; %bb.124:
	v_lshlrev_b32_e32 v18, 2, v14
	ds_read_b32 v18, v18 offset:14016
	ds_read_b32 v19, v16
	s_waitcnt lgkmcnt(0)
	v_fma_f32 v17, -v18, v19, v17
.LBB111_125:
	s_or_b64 exec, exec, s[10:11]
	v_cmp_eq_u32_e64 s[10:11], 5, v14
	s_and_b64 s[64:65], s[10:11], s[0:1]
	s_barrier
	s_and_saveexec_b64 s[10:11], s[64:65]
; %bb.126:
	v_xor_b32_e32 v18, 0x80000000, v17
	ds_write_b32 v16, v18
; %bb.127:
	s_or_b64 exec, exec, s[10:11]
	v_cmp_gt_u32_e64 s[10:11], 5, v14
	;; [unrolled: 23-line block ×5, first 2 shown]
	s_and_b64 s[80:81], s[10:11], s[0:1]
	s_waitcnt lgkmcnt(0)
	s_barrier
	s_and_saveexec_b64 s[10:11], s[80:81]
	s_cbranch_execz .LBB111_141
; %bb.140:
	v_lshlrev_b32_e32 v18, 2, v14
	ds_read_b32 v18, v18 offset:12992
	ds_read_b32 v19, v16
	s_waitcnt lgkmcnt(0)
	v_fma_f32 v17, -v18, v19, v17
.LBB111_141:
	s_or_b64 exec, exec, s[10:11]
	v_cmp_eq_u32_e64 s[10:11], 1, v14
	s_and_b64 s[82:83], s[10:11], s[0:1]
	s_barrier
	s_and_saveexec_b64 s[10:11], s[82:83]
; %bb.142:
	v_xor_b32_e32 v18, 0x80000000, v17
	ds_write_b32 v16, v18
; %bb.143:
	s_or_b64 exec, exec, s[10:11]
	v_cmp_eq_u32_e64 s[10:11], 0, v14
	s_and_b64 s[66:67], s[10:11], s[0:1]
	s_waitcnt lgkmcnt(0)
	s_barrier
	s_and_saveexec_b64 s[0:1], s[66:67]
	s_cbranch_execz .LBB111_145
; %bb.144:
	v_mov_b32_e32 v18, 0
	ds_read_b32 v18, v18 offset:12736
	ds_read_b32 v19, v16
	s_waitcnt lgkmcnt(0)
	v_fma_f32 v17, -v18, v19, v17
.LBB111_145:
	s_or_b64 exec, exec, s[0:1]
	s_barrier
	s_and_saveexec_b64 s[0:1], s[66:67]
; %bb.146:
	v_xor_b32_e32 v18, 0x80000000, v17
	ds_write_b32 v16, v18
; %bb.147:
	s_or_b64 exec, exec, s[0:1]
	s_waitcnt lgkmcnt(0)
	s_barrier
	s_barrier
	s_and_saveexec_b64 s[0:1], s[8:9]
; %bb.148:
	v_lshlrev_b32_e32 v18, 2, v14
	v_lshl_or_b32 v18, v15, 8, v18
	ds_write_b32 v18, v17 offset:14528
; %bb.149:
	s_or_b64 exec, exec, s[0:1]
	v_cmp_gt_u32_e64 s[10:11], 8, v0
	s_and_b64 s[84:85], s[12:13], s[10:11]
	s_waitcnt lgkmcnt(0)
	s_barrier
	s_barrier
	s_and_saveexec_b64 s[0:1], s[84:85]
	s_cbranch_execz .LBB111_151
; %bb.150:
	v_lshlrev_b32_e32 v17, 8, v0
	ds_read_b32 v18, v17 offset:14528
	s_movk_i32 s10, 0xff04
	v_mad_i32_i24 v19, v0, s10, v17
	s_waitcnt lgkmcnt(0)
	ds_write_b32 v19, v18 offset:12512
	ds_read_b32 v18, v17 offset:14532
	s_waitcnt lgkmcnt(0)
	ds_write_b32 v19, v18 offset:12768
	ds_read_b32 v18, v17 offset:14536
	;; [unrolled: 3-line block ×7, first 2 shown]
	s_waitcnt lgkmcnt(0)
	ds_write_b32 v19, v17 offset:14304
.LBB111_151:
	s_or_b64 exec, exec, s[0:1]
	s_waitcnt lgkmcnt(0)
	s_barrier
	s_and_saveexec_b64 s[0:1], vcc
	s_cbranch_execz .LBB111_153
; %bb.152:
	v_mov_b32_e32 v19, 0
	ds_read_b32 v18, v19 offset:14296
	v_mov_b32_e32 v17, 1.0
	ds_write_b32 v19, v17 offset:14300
	s_waitcnt lgkmcnt(1)
	ds_write_b64 v19, v[17:18] offset:14040
.LBB111_153:
	s_or_b64 exec, exec, s[0:1]
	v_mov_b32_e32 v17, 0
	s_waitcnt lgkmcnt(0)
	s_barrier
	buffer_wbinvl1_vol
	s_and_saveexec_b64 s[0:1], s[2:3]
	s_cbranch_execz .LBB111_157
; %bb.154:
	v_lshlrev_b32_e32 v17, 8, v3
	v_lshlrev_b32_e32 v18, 2, v2
	ds_read_b32 v19, v18 offset:14032
	ds_read_b32 v17, v17 offset:14040
	v_mov_b32_e32 v18, 0
	v_cmp_gt_u32_e64 s[10:11], 2, v5
	s_waitcnt lgkmcnt(0)
	v_fma_f32 v17, v19, v17, 0
	s_and_saveexec_b64 s[14:15], s[10:11]
	s_cbranch_execz .LBB111_156
; %bb.155:
	v_lshlrev_b32_e32 v19, 2, v0
	ds_read_b32 v19, v19 offset:14288
	ds_read_b32 v18, v18 offset:14300
	s_waitcnt lgkmcnt(0)
	v_fmac_f32_e32 v17, v19, v18
.LBB111_156:
	s_or_b64 exec, exec, s[14:15]
.LBB111_157:
	s_or_b64 exec, exec, s[0:1]
	s_and_saveexec_b64 s[0:1], s[38:39]
; %bb.158:
	v_xor_b32_e32 v18, 0x80000000, v17
	ds_write_b32 v4, v18
; %bb.159:
	s_or_b64 exec, exec, s[0:1]
	s_waitcnt lgkmcnt(0)
	s_barrier
	s_and_saveexec_b64 s[0:1], s[36:37]
	s_cbranch_execz .LBB111_161
; %bb.160:
	v_mov_b32_e32 v18, 0
	ds_read_b32 v18, v18 offset:13776
	ds_read_b32 v19, v4
	s_waitcnt lgkmcnt(0)
	v_fma_f32 v17, -v18, v19, v17
.LBB111_161:
	s_or_b64 exec, exec, s[0:1]
	s_barrier
	s_and_saveexec_b64 s[0:1], s[36:37]
; %bb.162:
	v_xor_b32_e32 v18, 0x80000000, v17
	ds_write_b32 v4, v18
; %bb.163:
	s_or_b64 exec, exec, s[0:1]
	s_waitcnt lgkmcnt(0)
	s_barrier
	s_barrier
	s_and_saveexec_b64 s[0:1], s[2:3]
; %bb.164:
	v_lshlrev_b32_e32 v18, 2, v2
	v_lshl_or_b32 v18, v3, 8, v18
	ds_write_b32 v18, v17 offset:14032
; %bb.165:
	s_or_b64 exec, exec, s[0:1]
	s_waitcnt lgkmcnt(0)
	s_barrier
	s_barrier
	s_and_saveexec_b64 s[0:1], s[40:41]
	s_cbranch_execz .LBB111_167
; %bb.166:
	v_lshlrev_b32_e32 v17, 2, v0
	s_movk_i32 s10, 0xfc
	v_mad_u32_u24 v18, v0, s10, v17
	ds_read_b32 v19, v18 offset:14032
	s_waitcnt lgkmcnt(0)
	ds_write_b32 v17, v19 offset:13528
	ds_read_b32 v18, v18 offset:14036
	s_waitcnt lgkmcnt(0)
	ds_write_b32 v17, v18 offset:13784
.LBB111_167:
	s_or_b64 exec, exec, s[0:1]
	s_waitcnt lgkmcnt(0)
	s_barrier
	s_and_saveexec_b64 s[0:1], vcc
	s_cbranch_execz .LBB111_169
; %bb.168:
	v_mov_b32_e32 v19, 0
	ds_read_b32 v18, v19 offset:13776
	v_mov_b32_e32 v17, 1.0
	ds_write_b32 v19, v17 offset:13780
	s_waitcnt lgkmcnt(1)
	ds_write_b64 v19, v[17:18] offset:13520
.LBB111_169:
	s_or_b64 exec, exec, s[0:1]
	v_mov_b32_e32 v17, 0
	s_waitcnt lgkmcnt(0)
	s_barrier
	buffer_wbinvl1_vol
	s_and_saveexec_b64 s[0:1], s[18:19]
	s_cbranch_execz .LBB111_175
; %bb.170:
	v_lshlrev_b32_e32 v19, 2, v11
	v_lshlrev_b32_e32 v18, 8, v12
	ds_read_b32 v17, v19 offset:13504
	ds_read_b32 v20, v18 offset:13520
	v_cmp_gt_u32_e64 s[10:11], 12, v5
	s_waitcnt lgkmcnt(0)
	v_fma_f32 v17, v17, v20, 0
	s_and_saveexec_b64 s[14:15], s[10:11]
	s_cbranch_execnz .LBB111_1180
; %bb.171:
	s_or_b64 exec, exec, s[14:15]
	v_cmp_gt_u32_e64 s[10:11], 8, v5
	s_and_saveexec_b64 s[14:15], s[10:11]
	s_cbranch_execnz .LBB111_1181
.LBB111_172:
	s_or_b64 exec, exec, s[14:15]
	v_cmp_gt_u32_e64 s[10:11], 4, v5
	s_and_saveexec_b64 s[14:15], s[10:11]
	s_cbranch_execz .LBB111_174
.LBB111_173:
	v_lshlrev_b32_e32 v18, 2, v0
	v_mov_b32_e32 v19, 0
	ds_read_b32 v18, v18 offset:14272
	ds_read_b32 v19, v19 offset:14300
	s_waitcnt lgkmcnt(0)
	v_fmac_f32_e32 v17, v18, v19
.LBB111_174:
	s_or_b64 exec, exec, s[14:15]
.LBB111_175:
	s_or_b64 exec, exec, s[0:1]
	s_and_saveexec_b64 s[0:1], s[44:45]
; %bb.176:
	v_xor_b32_e32 v18, 0x80000000, v17
	ds_write_b32 v13, v18
; %bb.177:
	s_or_b64 exec, exec, s[0:1]
	s_waitcnt lgkmcnt(0)
	s_barrier
	s_and_saveexec_b64 s[0:1], s[46:47]
	s_cbranch_execz .LBB111_179
; %bb.178:
	v_lshlrev_b32_e32 v18, 2, v11
	ds_read_b32 v18, v18 offset:13248
	ds_read_b32 v19, v13
	s_waitcnt lgkmcnt(0)
	v_fma_f32 v17, -v18, v19, v17
.LBB111_179:
	s_or_b64 exec, exec, s[0:1]
	s_barrier
	s_and_saveexec_b64 s[0:1], s[48:49]
; %bb.180:
	v_xor_b32_e32 v18, 0x80000000, v17
	ds_write_b32 v13, v18
; %bb.181:
	s_or_b64 exec, exec, s[0:1]
	s_waitcnt lgkmcnt(0)
	s_barrier
	s_and_saveexec_b64 s[0:1], s[50:51]
	s_cbranch_execz .LBB111_183
; %bb.182:
	v_lshlrev_b32_e32 v18, 2, v11
	ds_read_b32 v18, v18 offset:12992
	ds_read_b32 v19, v13
	s_waitcnt lgkmcnt(0)
	v_fma_f32 v17, -v18, v19, v17
.LBB111_183:
	s_or_b64 exec, exec, s[0:1]
	s_barrier
	s_and_saveexec_b64 s[0:1], s[52:53]
; %bb.184:
	v_xor_b32_e32 v18, 0x80000000, v17
	ds_write_b32 v13, v18
; %bb.185:
	s_or_b64 exec, exec, s[0:1]
	s_waitcnt lgkmcnt(0)
	s_barrier
	s_and_saveexec_b64 s[0:1], s[42:43]
	s_cbranch_execz .LBB111_187
; %bb.186:
	v_mov_b32_e32 v18, 0
	ds_read_b32 v18, v18 offset:12736
	ds_read_b32 v19, v13
	s_waitcnt lgkmcnt(0)
	v_fma_f32 v17, -v18, v19, v17
.LBB111_187:
	s_or_b64 exec, exec, s[0:1]
	s_barrier
	s_and_saveexec_b64 s[0:1], s[42:43]
; %bb.188:
	v_xor_b32_e32 v18, 0x80000000, v17
	ds_write_b32 v13, v18
; %bb.189:
	s_or_b64 exec, exec, s[0:1]
	s_waitcnt lgkmcnt(0)
	s_barrier
	s_barrier
	s_and_saveexec_b64 s[0:1], s[18:19]
; %bb.190:
	v_lshlrev_b32_e32 v18, 2, v11
	v_lshl_or_b32 v18, v12, 8, v18
	ds_write_b32 v18, v17 offset:13504
; %bb.191:
	s_or_b64 exec, exec, s[0:1]
	s_waitcnt lgkmcnt(0)
	s_barrier
	s_barrier
	s_and_saveexec_b64 s[0:1], s[54:55]
	s_cbranch_execz .LBB111_193
; %bb.192:
	v_lshlrev_b32_e32 v17, 8, v0
	ds_read_b32 v18, v17 offset:13504
	s_movk_i32 s10, 0xff04
	v_mad_i32_i24 v19, v0, s10, v17
	s_waitcnt lgkmcnt(0)
	ds_write_b32 v19, v18 offset:12496
	ds_read_b32 v18, v17 offset:13508
	s_waitcnt lgkmcnt(0)
	ds_write_b32 v19, v18 offset:12752
	ds_read_b32 v18, v17 offset:13512
	s_waitcnt lgkmcnt(0)
	ds_write_b32 v19, v18 offset:13008
	ds_read_b32 v17, v17 offset:13516
	s_waitcnt lgkmcnt(0)
	ds_write_b32 v19, v17 offset:13264
.LBB111_193:
	s_or_b64 exec, exec, s[0:1]
	s_waitcnt lgkmcnt(0)
	s_barrier
	s_and_saveexec_b64 s[0:1], vcc
	s_cbranch_execz .LBB111_195
; %bb.194:
	v_mov_b32_e32 v19, 0
	ds_read_b32 v18, v19 offset:13256
	v_mov_b32_e32 v17, 1.0
	ds_write_b32 v19, v17 offset:13260
	s_waitcnt lgkmcnt(1)
	ds_write_b64 v19, v[17:18] offset:13000
.LBB111_195:
	s_or_b64 exec, exec, s[0:1]
	v_mov_b32_e32 v17, 0
	s_waitcnt lgkmcnt(0)
	s_barrier
	buffer_wbinvl1_vol
	s_and_saveexec_b64 s[0:1], s[2:3]
	s_cbranch_execz .LBB111_199
; %bb.196:
	v_lshlrev_b32_e32 v17, 8, v3
	v_lshlrev_b32_e32 v18, 2, v2
	ds_read_b32 v19, v18 offset:12992
	ds_read_b32 v17, v17 offset:13000
	v_mov_b32_e32 v18, 0
	v_cmp_gt_u32_e64 s[10:11], 2, v5
	s_waitcnt lgkmcnt(0)
	v_fma_f32 v17, v19, v17, 0
	s_and_saveexec_b64 s[14:15], s[10:11]
	s_cbranch_execz .LBB111_198
; %bb.197:
	v_lshlrev_b32_e32 v19, 2, v0
	ds_read_b32 v19, v19 offset:13248
	ds_read_b32 v18, v18 offset:13260
	s_waitcnt lgkmcnt(0)
	v_fmac_f32_e32 v17, v19, v18
.LBB111_198:
	s_or_b64 exec, exec, s[14:15]
.LBB111_199:
	s_or_b64 exec, exec, s[0:1]
	s_and_saveexec_b64 s[0:1], s[38:39]
; %bb.200:
	v_xor_b32_e32 v18, 0x80000000, v17
	ds_write_b32 v4, v18
; %bb.201:
	s_or_b64 exec, exec, s[0:1]
	s_waitcnt lgkmcnt(0)
	s_barrier
	s_and_saveexec_b64 s[0:1], s[36:37]
	s_cbranch_execz .LBB111_203
; %bb.202:
	v_mov_b32_e32 v18, 0
	ds_read_b32 v18, v18 offset:12736
	ds_read_b32 v19, v4
	s_waitcnt lgkmcnt(0)
	v_fma_f32 v17, -v18, v19, v17
.LBB111_203:
	s_or_b64 exec, exec, s[0:1]
	s_barrier
	s_and_saveexec_b64 s[0:1], s[36:37]
; %bb.204:
	v_xor_b32_e32 v18, 0x80000000, v17
	ds_write_b32 v4, v18
; %bb.205:
	s_or_b64 exec, exec, s[0:1]
	s_waitcnt lgkmcnt(0)
	s_barrier
	s_barrier
	s_and_saveexec_b64 s[0:1], s[2:3]
; %bb.206:
	v_lshlrev_b32_e32 v18, 2, v2
	v_lshl_or_b32 v18, v3, 8, v18
	ds_write_b32 v18, v17 offset:12992
; %bb.207:
	s_or_b64 exec, exec, s[0:1]
	s_waitcnt lgkmcnt(0)
	s_barrier
	s_barrier
	s_and_saveexec_b64 s[0:1], s[40:41]
	s_cbranch_execz .LBB111_209
; %bb.208:
	v_lshlrev_b32_e32 v17, 2, v0
	s_movk_i32 s10, 0xfc
	v_mad_u32_u24 v18, v0, s10, v17
	ds_read_b32 v19, v18 offset:12992
	s_waitcnt lgkmcnt(0)
	ds_write_b32 v17, v19 offset:12488
	ds_read_b32 v18, v18 offset:12996
	s_waitcnt lgkmcnt(0)
	ds_write_b32 v17, v18 offset:12744
.LBB111_209:
	s_or_b64 exec, exec, s[0:1]
	s_waitcnt lgkmcnt(0)
	s_barrier
	s_and_saveexec_b64 s[0:1], vcc
	s_cbranch_execz .LBB111_211
; %bb.210:
	v_mov_b32_e32 v19, 0
	ds_read_b32 v18, v19 offset:12736
	v_mov_b32_e32 v17, 1.0
	ds_write_b32 v19, v17 offset:12740
	s_waitcnt lgkmcnt(1)
	ds_write_b64 v19, v[17:18] offset:12480
.LBB111_211:
	s_or_b64 exec, exec, s[0:1]
	s_movk_i32 s0, 0xff
	v_lshrrev_b32_e32 v19, 4, v5
	v_cmp_lt_u32_e64 s[14:15], s0, v5
	s_movk_i32 s0, 0x100
	v_and_b32_e32 v17, 15, v0
	v_sub_u32_e32 v18, 15, v19
	v_cmp_gt_u32_e64 s[10:11], s0, v5
	v_mov_b32_e32 v20, 0
	s_waitcnt lgkmcnt(0)
	s_barrier
	buffer_wbinvl1_vol
	s_and_saveexec_b64 s[0:1], s[10:11]
	s_cbranch_execz .LBB111_239
; %bb.212:
	v_lshlrev_b32_e32 v22, 2, v17
	v_lshlrev_b32_e32 v21, 8, v18
	ds_read_b32 v20, v22 offset:12416
	ds_read_b32 v23, v21 offset:12480
	s_movk_i32 s16, 0xf0
	v_cmp_gt_u32_e64 s[16:17], s16, v5
	s_waitcnt lgkmcnt(0)
	v_fma_f32 v20, v20, v23, 0
	s_and_saveexec_b64 s[20:21], s[16:17]
	s_cbranch_execz .LBB111_214
; %bb.213:
	ds_read_b32 v23, v22 offset:12672
	ds_read_b32 v24, v21 offset:12484
	s_waitcnt lgkmcnt(0)
	v_fmac_f32_e32 v20, v23, v24
.LBB111_214:
	s_or_b64 exec, exec, s[20:21]
	s_movk_i32 s16, 0xe0
	v_cmp_gt_u32_e64 s[16:17], s16, v5
	s_and_saveexec_b64 s[20:21], s[16:17]
	s_cbranch_execz .LBB111_216
; %bb.215:
	ds_read_b32 v23, v22 offset:12928
	ds_read_b32 v24, v21 offset:12488
	s_waitcnt lgkmcnt(0)
	v_fmac_f32_e32 v20, v23, v24
.LBB111_216:
	s_or_b64 exec, exec, s[20:21]
	s_movk_i32 s16, 0xd0
	v_cmp_gt_u32_e64 s[16:17], s16, v5
	;; [unrolled: 11-line block ×10, first 2 shown]
	s_and_saveexec_b64 s[20:21], s[16:17]
	s_cbranch_execnz .LBB111_1182
; %bb.233:
	s_or_b64 exec, exec, s[20:21]
	s_and_saveexec_b64 s[16:17], s[8:9]
	s_cbranch_execnz .LBB111_1183
.LBB111_234:
	s_or_b64 exec, exec, s[16:17]
	v_cmp_gt_u32_e64 s[16:17], 48, v5
	s_and_saveexec_b64 s[20:21], s[16:17]
	s_cbranch_execnz .LBB111_1184
.LBB111_235:
	s_or_b64 exec, exec, s[20:21]
	v_cmp_gt_u32_e64 s[16:17], 32, v5
	s_and_saveexec_b64 s[20:21], s[16:17]
	s_cbranch_execnz .LBB111_1185
.LBB111_236:
	s_or_b64 exec, exec, s[20:21]
	v_cmp_gt_u32_e64 s[16:17], 16, v5
	s_and_saveexec_b64 s[20:21], s[16:17]
	s_cbranch_execz .LBB111_238
.LBB111_237:
	v_lshlrev_b32_e32 v21, 2, v0
	v_mov_b32_e32 v22, 0
	ds_read_b32 v21, v21 offset:16256
	ds_read_b32 v22, v22 offset:16380
	s_waitcnt lgkmcnt(0)
	v_fmac_f32_e32 v20, v21, v22
.LBB111_238:
	s_or_b64 exec, exec, s[20:21]
.LBB111_239:
	s_or_b64 exec, exec, s[0:1]
	v_mov_b32_e32 v21, 0x4000
	v_lshl_add_u32 v19, v19, 2, v21
	v_cmp_eq_u32_e64 s[16:17], 15, v17
	s_xor_b64 s[20:21], s[14:15], -1
	s_and_b64 s[14:15], s[16:17], s[20:21]
	s_mov_b64 s[0:1], exec
	v_writelane_b32 v28, s14, 2
	v_writelane_b32 v28, s15, 3
	s_and_b64 s[14:15], s[0:1], s[14:15]
	s_mov_b64 exec, s[14:15]
; %bb.240:
	v_xor_b32_e32 v21, 0x80000000, v20
	ds_write_b32 v19, v21
; %bb.241:
	s_or_b64 exec, exec, s[0:1]
	v_cmp_ne_u32_e64 s[14:15], 15, v17
	s_waitcnt lgkmcnt(0)
	s_barrier
	s_and_b64 s[14:15], s[14:15], s[20:21]
	s_mov_b64 s[0:1], exec
	v_writelane_b32 v28, s14, 4
	v_writelane_b32 v28, s15, 5
	s_and_b64 s[14:15], s[0:1], s[14:15]
	s_mov_b64 exec, s[14:15]
	s_cbranch_execz .LBB111_243
; %bb.242:
	v_lshlrev_b32_e32 v21, 2, v17
	ds_read_b32 v21, v21 offset:12160
	ds_read_b32 v22, v19
	s_waitcnt lgkmcnt(0)
	v_fma_f32 v20, -v21, v22, v20
.LBB111_243:
	s_or_b64 exec, exec, s[0:1]
	v_cmp_eq_u32_e64 s[14:15], 14, v17
	s_barrier
	s_and_b64 s[14:15], s[14:15], s[20:21]
	s_mov_b64 s[0:1], exec
	v_writelane_b32 v28, s14, 6
	v_writelane_b32 v28, s15, 7
	s_and_b64 s[14:15], s[0:1], s[14:15]
	s_mov_b64 exec, s[14:15]
; %bb.244:
	v_xor_b32_e32 v21, 0x80000000, v20
	ds_write_b32 v19, v21
; %bb.245:
	s_or_b64 exec, exec, s[0:1]
	v_cmp_gt_u32_e64 s[14:15], 14, v17
	s_waitcnt lgkmcnt(0)
	s_barrier
	s_and_b64 s[14:15], s[14:15], s[20:21]
	s_mov_b64 s[0:1], exec
	v_writelane_b32 v28, s14, 8
	v_writelane_b32 v28, s15, 9
	s_and_b64 s[14:15], s[0:1], s[14:15]
	s_mov_b64 exec, s[14:15]
	s_cbranch_execz .LBB111_247
; %bb.246:
	v_lshlrev_b32_e32 v21, 2, v17
	ds_read_b32 v21, v21 offset:11904
	ds_read_b32 v22, v19
	s_waitcnt lgkmcnt(0)
	v_fma_f32 v20, -v21, v22, v20
.LBB111_247:
	s_or_b64 exec, exec, s[0:1]
	v_cmp_eq_u32_e64 s[14:15], 13, v17
	s_barrier
	s_and_b64 s[14:15], s[14:15], s[20:21]
	s_mov_b64 s[0:1], exec
	v_writelane_b32 v28, s14, 10
	v_writelane_b32 v28, s15, 11
	s_and_b64 s[14:15], s[0:1], s[14:15]
	s_mov_b64 exec, s[14:15]
; %bb.248:
	v_xor_b32_e32 v21, 0x80000000, v20
	ds_write_b32 v19, v21
; %bb.249:
	s_or_b64 exec, exec, s[0:1]
	v_cmp_gt_u32_e64 s[14:15], 13, v17
	;; [unrolled: 31-line block ×12, first 2 shown]
	s_waitcnt lgkmcnt(0)
	s_barrier
	s_and_b64 s[14:15], s[14:15], s[20:21]
	s_mov_b64 s[0:1], exec
	v_writelane_b32 v28, s14, 52
	v_writelane_b32 v28, s15, 53
	s_and_b64 s[14:15], s[0:1], s[14:15]
	s_mov_b64 exec, s[14:15]
	s_cbranch_execz .LBB111_291
; %bb.290:
	v_lshlrev_b32_e32 v21, 2, v17
	ds_read_b32 v21, v21 offset:9088
	ds_read_b32 v22, v19
	s_waitcnt lgkmcnt(0)
	v_fma_f32 v20, -v21, v22, v20
.LBB111_291:
	s_or_b64 exec, exec, s[0:1]
	v_cmp_eq_u32_e64 s[14:15], 2, v17
	s_and_b64 s[0:1], s[14:15], s[20:21]
	s_barrier
	s_and_saveexec_b64 s[14:15], s[0:1]
; %bb.292:
	v_xor_b32_e32 v21, 0x80000000, v20
	ds_write_b32 v19, v21
; %bb.293:
	s_or_b64 exec, exec, s[14:15]
	v_cmp_gt_u32_e64 s[14:15], 2, v17
	s_waitcnt lgkmcnt(0)
	s_barrier
	s_and_b64 s[16:17], s[14:15], s[20:21]
	s_mov_b64 s[14:15], exec
	v_writelane_b32 v28, s16, 54
	v_writelane_b32 v28, s17, 55
	s_and_b64 s[16:17], s[14:15], s[16:17]
	s_mov_b64 exec, s[16:17]
	s_cbranch_execz .LBB111_295
; %bb.294:
	v_lshlrev_b32_e32 v21, 2, v17
	ds_read_b32 v21, v21 offset:8832
	ds_read_b32 v22, v19
	s_waitcnt lgkmcnt(0)
	v_fma_f32 v20, -v21, v22, v20
.LBB111_295:
	s_or_b64 exec, exec, s[14:15]
	v_cmp_eq_u32_e64 s[14:15], 1, v17
	s_and_b64 s[90:91], s[14:15], s[20:21]
	s_barrier
	s_and_saveexec_b64 s[14:15], s[90:91]
; %bb.296:
	v_xor_b32_e32 v21, 0x80000000, v20
	ds_write_b32 v19, v21
; %bb.297:
	s_or_b64 exec, exec, s[14:15]
	v_cmp_eq_u32_e64 s[14:15], 0, v17
	s_and_b64 s[86:87], s[14:15], s[20:21]
	s_waitcnt lgkmcnt(0)
	s_barrier
	s_and_saveexec_b64 s[14:15], s[86:87]
	s_cbranch_execz .LBB111_299
; %bb.298:
	v_mov_b32_e32 v21, 0
	ds_read_b32 v21, v21 offset:8576
	ds_read_b32 v22, v19
	s_waitcnt lgkmcnt(0)
	v_fma_f32 v20, -v21, v22, v20
.LBB111_299:
	s_or_b64 exec, exec, s[14:15]
	s_barrier
	s_and_saveexec_b64 s[14:15], s[86:87]
; %bb.300:
	v_xor_b32_e32 v21, 0x80000000, v20
	ds_write_b32 v19, v21
; %bb.301:
	s_or_b64 exec, exec, s[14:15]
	s_waitcnt lgkmcnt(0)
	s_barrier
	s_barrier
	s_and_saveexec_b64 s[14:15], s[10:11]
; %bb.302:
	v_lshlrev_b32_e32 v21, 2, v17
	v_lshl_or_b32 v21, v18, 8, v21
	ds_write_b32 v21, v20 offset:12416
; %bb.303:
	s_or_b64 exec, exec, s[14:15]
	v_cmp_gt_u32_e64 s[14:15], 16, v0
	s_and_b64 s[92:93], s[12:13], s[14:15]
	s_waitcnt lgkmcnt(0)
	s_barrier
	s_barrier
	s_and_saveexec_b64 s[14:15], s[92:93]
	s_cbranch_execz .LBB111_305
; %bb.304:
	v_lshlrev_b32_e32 v20, 8, v0
	ds_read_b32 v21, v20 offset:12416
	s_movk_i32 s16, 0xff04
	v_mad_i32_i24 v22, v0, s16, v20
	s_waitcnt lgkmcnt(0)
	ds_write_b32 v22, v21 offset:8384
	ds_read_b32 v21, v20 offset:12420
	s_waitcnt lgkmcnt(0)
	ds_write_b32 v22, v21 offset:8640
	ds_read_b32 v21, v20 offset:12424
	;; [unrolled: 3-line block ×15, first 2 shown]
	s_waitcnt lgkmcnt(0)
	ds_write_b32 v22, v20 offset:12224
.LBB111_305:
	s_or_b64 exec, exec, s[14:15]
	s_waitcnt lgkmcnt(0)
	s_barrier
	s_and_saveexec_b64 s[14:15], vcc
	s_cbranch_execz .LBB111_307
; %bb.306:
	v_mov_b32_e32 v22, 0
	ds_read_b32 v21, v22 offset:12216
	v_mov_b32_e32 v20, 1.0
	ds_write_b32 v22, v20 offset:12220
	s_waitcnt lgkmcnt(1)
	ds_write_b64 v22, v[20:21] offset:11960
.LBB111_307:
	s_or_b64 exec, exec, s[14:15]
	v_mov_b32_e32 v20, 0
	s_waitcnt lgkmcnt(0)
	s_barrier
	buffer_wbinvl1_vol
	s_and_saveexec_b64 s[16:17], s[2:3]
	s_cbranch_execz .LBB111_311
; %bb.308:
	v_lshlrev_b32_e32 v20, 8, v3
	v_lshlrev_b32_e32 v21, 2, v2
	ds_read_b32 v22, v21 offset:11952
	ds_read_b32 v20, v20 offset:11960
	v_mov_b32_e32 v21, 0
	v_cmp_gt_u32_e64 s[14:15], 2, v5
	s_waitcnt lgkmcnt(0)
	v_fma_f32 v20, v22, v20, 0
	s_and_saveexec_b64 s[20:21], s[14:15]
	s_cbranch_execz .LBB111_310
; %bb.309:
	v_lshlrev_b32_e32 v22, 2, v0
	ds_read_b32 v22, v22 offset:12208
	ds_read_b32 v21, v21 offset:12220
	s_waitcnt lgkmcnt(0)
	v_fmac_f32_e32 v20, v22, v21
.LBB111_310:
	s_or_b64 exec, exec, s[20:21]
.LBB111_311:
	s_or_b64 exec, exec, s[16:17]
	s_and_saveexec_b64 s[14:15], s[38:39]
; %bb.312:
	v_xor_b32_e32 v21, 0x80000000, v20
	ds_write_b32 v4, v21
; %bb.313:
	s_or_b64 exec, exec, s[14:15]
	s_waitcnt lgkmcnt(0)
	s_barrier
	s_and_saveexec_b64 s[14:15], s[36:37]
	s_cbranch_execz .LBB111_315
; %bb.314:
	v_mov_b32_e32 v21, 0
	ds_read_b32 v21, v21 offset:11696
	ds_read_b32 v22, v4
	s_waitcnt lgkmcnt(0)
	v_fma_f32 v20, -v21, v22, v20
.LBB111_315:
	s_or_b64 exec, exec, s[14:15]
	s_barrier
	s_and_saveexec_b64 s[14:15], s[36:37]
; %bb.316:
	v_xor_b32_e32 v21, 0x80000000, v20
	ds_write_b32 v4, v21
; %bb.317:
	s_or_b64 exec, exec, s[14:15]
	s_waitcnt lgkmcnt(0)
	s_barrier
	s_barrier
	s_and_saveexec_b64 s[14:15], s[2:3]
; %bb.318:
	v_lshlrev_b32_e32 v21, 2, v2
	v_lshl_or_b32 v21, v3, 8, v21
	ds_write_b32 v21, v20 offset:11952
; %bb.319:
	s_or_b64 exec, exec, s[14:15]
	s_waitcnt lgkmcnt(0)
	s_barrier
	s_barrier
	s_and_saveexec_b64 s[14:15], s[40:41]
	s_cbranch_execz .LBB111_321
; %bb.320:
	v_lshlrev_b32_e32 v20, 2, v0
	s_movk_i32 s16, 0xfc
	v_mad_u32_u24 v21, v0, s16, v20
	ds_read_b32 v22, v21 offset:11952
	s_waitcnt lgkmcnt(0)
	ds_write_b32 v20, v22 offset:11448
	ds_read_b32 v21, v21 offset:11956
	s_waitcnt lgkmcnt(0)
	ds_write_b32 v20, v21 offset:11704
.LBB111_321:
	s_or_b64 exec, exec, s[14:15]
	s_waitcnt lgkmcnt(0)
	s_barrier
	s_and_saveexec_b64 s[14:15], vcc
	s_cbranch_execz .LBB111_323
; %bb.322:
	v_mov_b32_e32 v22, 0
	ds_read_b32 v21, v22 offset:11696
	v_mov_b32_e32 v20, 1.0
	ds_write_b32 v22, v20 offset:11700
	s_waitcnt lgkmcnt(1)
	ds_write_b64 v22, v[20:21] offset:11440
.LBB111_323:
	s_or_b64 exec, exec, s[14:15]
	v_mov_b32_e32 v20, 0
	s_waitcnt lgkmcnt(0)
	s_barrier
	buffer_wbinvl1_vol
	s_and_saveexec_b64 s[16:17], s[18:19]
	s_cbranch_execz .LBB111_329
; %bb.324:
	v_lshlrev_b32_e32 v22, 2, v11
	v_lshlrev_b32_e32 v21, 8, v12
	ds_read_b32 v20, v22 offset:11424
	ds_read_b32 v23, v21 offset:11440
	v_cmp_gt_u32_e64 s[14:15], 12, v5
	s_waitcnt lgkmcnt(0)
	v_fma_f32 v20, v20, v23, 0
	s_and_saveexec_b64 s[20:21], s[14:15]
	s_cbranch_execnz .LBB111_1186
; %bb.325:
	s_or_b64 exec, exec, s[20:21]
	v_cmp_gt_u32_e64 s[14:15], 8, v5
	s_and_saveexec_b64 s[20:21], s[14:15]
	s_cbranch_execnz .LBB111_1187
.LBB111_326:
	s_or_b64 exec, exec, s[20:21]
	v_cmp_gt_u32_e64 s[14:15], 4, v5
	s_and_saveexec_b64 s[20:21], s[14:15]
	s_cbranch_execz .LBB111_328
.LBB111_327:
	v_lshlrev_b32_e32 v21, 2, v0
	v_mov_b32_e32 v22, 0
	ds_read_b32 v21, v21 offset:12192
	ds_read_b32 v22, v22 offset:12220
	s_waitcnt lgkmcnt(0)
	v_fmac_f32_e32 v20, v21, v22
.LBB111_328:
	s_or_b64 exec, exec, s[20:21]
.LBB111_329:
	s_or_b64 exec, exec, s[16:17]
	s_and_saveexec_b64 s[14:15], s[44:45]
; %bb.330:
	v_xor_b32_e32 v21, 0x80000000, v20
	ds_write_b32 v13, v21
; %bb.331:
	s_or_b64 exec, exec, s[14:15]
	s_waitcnt lgkmcnt(0)
	s_barrier
	s_and_saveexec_b64 s[14:15], s[46:47]
	s_cbranch_execz .LBB111_333
; %bb.332:
	v_lshlrev_b32_e32 v21, 2, v11
	ds_read_b32 v21, v21 offset:11168
	ds_read_b32 v22, v13
	s_waitcnt lgkmcnt(0)
	v_fma_f32 v20, -v21, v22, v20
.LBB111_333:
	s_or_b64 exec, exec, s[14:15]
	s_barrier
	s_and_saveexec_b64 s[14:15], s[48:49]
; %bb.334:
	v_xor_b32_e32 v21, 0x80000000, v20
	ds_write_b32 v13, v21
; %bb.335:
	s_or_b64 exec, exec, s[14:15]
	s_waitcnt lgkmcnt(0)
	s_barrier
	s_and_saveexec_b64 s[14:15], s[50:51]
	s_cbranch_execz .LBB111_337
; %bb.336:
	v_lshlrev_b32_e32 v21, 2, v11
	ds_read_b32 v21, v21 offset:10912
	ds_read_b32 v22, v13
	s_waitcnt lgkmcnt(0)
	v_fma_f32 v20, -v21, v22, v20
.LBB111_337:
	s_or_b64 exec, exec, s[14:15]
	s_barrier
	s_and_saveexec_b64 s[14:15], s[52:53]
; %bb.338:
	v_xor_b32_e32 v21, 0x80000000, v20
	ds_write_b32 v13, v21
; %bb.339:
	s_or_b64 exec, exec, s[14:15]
	s_waitcnt lgkmcnt(0)
	s_barrier
	s_and_saveexec_b64 s[14:15], s[42:43]
	s_cbranch_execz .LBB111_341
; %bb.340:
	v_mov_b32_e32 v21, 0
	ds_read_b32 v21, v21 offset:10656
	ds_read_b32 v22, v13
	s_waitcnt lgkmcnt(0)
	v_fma_f32 v20, -v21, v22, v20
.LBB111_341:
	s_or_b64 exec, exec, s[14:15]
	s_barrier
	s_and_saveexec_b64 s[14:15], s[42:43]
; %bb.342:
	v_xor_b32_e32 v21, 0x80000000, v20
	ds_write_b32 v13, v21
; %bb.343:
	s_or_b64 exec, exec, s[14:15]
	s_waitcnt lgkmcnt(0)
	s_barrier
	s_barrier
	s_and_saveexec_b64 s[14:15], s[18:19]
; %bb.344:
	v_lshlrev_b32_e32 v21, 2, v11
	v_lshl_or_b32 v21, v12, 8, v21
	ds_write_b32 v21, v20 offset:11424
; %bb.345:
	s_or_b64 exec, exec, s[14:15]
	s_waitcnt lgkmcnt(0)
	s_barrier
	s_barrier
	s_and_saveexec_b64 s[14:15], s[54:55]
	s_cbranch_execz .LBB111_347
; %bb.346:
	v_lshlrev_b32_e32 v20, 8, v0
	ds_read_b32 v21, v20 offset:11424
	s_movk_i32 s16, 0xff04
	v_mad_i32_i24 v22, v0, s16, v20
	s_waitcnt lgkmcnt(0)
	ds_write_b32 v22, v21 offset:10416
	ds_read_b32 v21, v20 offset:11428
	s_waitcnt lgkmcnt(0)
	ds_write_b32 v22, v21 offset:10672
	ds_read_b32 v21, v20 offset:11432
	;; [unrolled: 3-line block ×3, first 2 shown]
	s_waitcnt lgkmcnt(0)
	ds_write_b32 v22, v20 offset:11184
.LBB111_347:
	s_or_b64 exec, exec, s[14:15]
	s_waitcnt lgkmcnt(0)
	s_barrier
	s_and_saveexec_b64 s[14:15], vcc
	s_cbranch_execz .LBB111_349
; %bb.348:
	v_mov_b32_e32 v22, 0
	ds_read_b32 v21, v22 offset:11176
	v_mov_b32_e32 v20, 1.0
	ds_write_b32 v22, v20 offset:11180
	s_waitcnt lgkmcnt(1)
	ds_write_b64 v22, v[20:21] offset:10920
.LBB111_349:
	s_or_b64 exec, exec, s[14:15]
	v_mov_b32_e32 v20, 0
	s_waitcnt lgkmcnt(0)
	s_barrier
	buffer_wbinvl1_vol
	s_and_saveexec_b64 s[16:17], s[2:3]
	s_cbranch_execz .LBB111_353
; %bb.350:
	v_lshlrev_b32_e32 v20, 8, v3
	v_lshlrev_b32_e32 v21, 2, v2
	ds_read_b32 v22, v21 offset:10912
	ds_read_b32 v20, v20 offset:10920
	v_mov_b32_e32 v21, 0
	v_cmp_gt_u32_e64 s[14:15], 2, v5
	s_waitcnt lgkmcnt(0)
	v_fma_f32 v20, v22, v20, 0
	s_and_saveexec_b64 s[20:21], s[14:15]
	s_cbranch_execz .LBB111_352
; %bb.351:
	v_lshlrev_b32_e32 v22, 2, v0
	ds_read_b32 v22, v22 offset:11168
	ds_read_b32 v21, v21 offset:11180
	s_waitcnt lgkmcnt(0)
	v_fmac_f32_e32 v20, v22, v21
.LBB111_352:
	s_or_b64 exec, exec, s[20:21]
.LBB111_353:
	s_or_b64 exec, exec, s[16:17]
	s_and_saveexec_b64 s[14:15], s[38:39]
; %bb.354:
	v_xor_b32_e32 v21, 0x80000000, v20
	ds_write_b32 v4, v21
; %bb.355:
	s_or_b64 exec, exec, s[14:15]
	s_waitcnt lgkmcnt(0)
	s_barrier
	s_and_saveexec_b64 s[14:15], s[36:37]
	s_cbranch_execz .LBB111_357
; %bb.356:
	v_mov_b32_e32 v21, 0
	ds_read_b32 v21, v21 offset:10656
	ds_read_b32 v22, v4
	s_waitcnt lgkmcnt(0)
	v_fma_f32 v20, -v21, v22, v20
.LBB111_357:
	s_or_b64 exec, exec, s[14:15]
	s_barrier
	s_and_saveexec_b64 s[14:15], s[36:37]
; %bb.358:
	v_xor_b32_e32 v21, 0x80000000, v20
	ds_write_b32 v4, v21
; %bb.359:
	s_or_b64 exec, exec, s[14:15]
	s_waitcnt lgkmcnt(0)
	s_barrier
	s_barrier
	s_and_saveexec_b64 s[14:15], s[2:3]
; %bb.360:
	v_lshlrev_b32_e32 v21, 2, v2
	v_lshl_or_b32 v21, v3, 8, v21
	ds_write_b32 v21, v20 offset:10912
; %bb.361:
	s_or_b64 exec, exec, s[14:15]
	s_waitcnt lgkmcnt(0)
	s_barrier
	s_barrier
	s_and_saveexec_b64 s[14:15], s[40:41]
	s_cbranch_execz .LBB111_363
; %bb.362:
	v_lshlrev_b32_e32 v20, 2, v0
	s_movk_i32 s16, 0xfc
	v_mad_u32_u24 v21, v0, s16, v20
	ds_read_b32 v22, v21 offset:10912
	s_waitcnt lgkmcnt(0)
	ds_write_b32 v20, v22 offset:10408
	ds_read_b32 v21, v21 offset:10916
	s_waitcnt lgkmcnt(0)
	ds_write_b32 v20, v21 offset:10664
.LBB111_363:
	s_or_b64 exec, exec, s[14:15]
	s_waitcnt lgkmcnt(0)
	s_barrier
	s_and_saveexec_b64 s[14:15], vcc
	s_cbranch_execz .LBB111_365
; %bb.364:
	v_mov_b32_e32 v22, 0
	ds_read_b32 v21, v22 offset:10656
	v_mov_b32_e32 v20, 1.0
	ds_write_b32 v22, v20 offset:10660
	s_waitcnt lgkmcnt(1)
	ds_write_b64 v22, v[20:21] offset:10400
.LBB111_365:
	s_or_b64 exec, exec, s[14:15]
	v_mov_b32_e32 v20, 0
	s_waitcnt lgkmcnt(0)
	s_barrier
	buffer_wbinvl1_vol
	s_and_saveexec_b64 s[16:17], s[8:9]
	s_cbranch_execz .LBB111_375
; %bb.366:
	v_lshlrev_b32_e32 v22, 2, v14
	v_lshlrev_b32_e32 v21, 8, v15
	ds_read_b32 v20, v22 offset:10368
	ds_read_b32 v23, v21 offset:10400
	v_cmp_gt_u32_e64 s[14:15], 56, v5
	s_waitcnt lgkmcnt(0)
	v_fma_f32 v20, v20, v23, 0
	s_and_saveexec_b64 s[20:21], s[14:15]
	s_cbranch_execnz .LBB111_1188
; %bb.367:
	s_or_b64 exec, exec, s[20:21]
	v_cmp_gt_u32_e64 s[14:15], 48, v5
	s_and_saveexec_b64 s[20:21], s[14:15]
	s_cbranch_execnz .LBB111_1189
.LBB111_368:
	s_or_b64 exec, exec, s[20:21]
	v_cmp_gt_u32_e64 s[14:15], 40, v5
	s_and_saveexec_b64 s[20:21], s[14:15]
	s_cbranch_execnz .LBB111_1190
.LBB111_369:
	s_or_b64 exec, exec, s[20:21]
	v_cmp_gt_u32_e64 s[14:15], 32, v5
	s_and_saveexec_b64 s[20:21], s[14:15]
	s_cbranch_execnz .LBB111_1191
.LBB111_370:
	s_or_b64 exec, exec, s[20:21]
	v_cmp_gt_u32_e64 s[14:15], 24, v5
	s_and_saveexec_b64 s[20:21], s[14:15]
	s_cbranch_execnz .LBB111_1192
.LBB111_371:
	s_or_b64 exec, exec, s[20:21]
	s_and_saveexec_b64 s[14:15], s[18:19]
	s_cbranch_execnz .LBB111_1193
.LBB111_372:
	s_or_b64 exec, exec, s[14:15]
	v_cmp_gt_u32_e64 s[14:15], 8, v5
	s_and_saveexec_b64 s[20:21], s[14:15]
	s_cbranch_execz .LBB111_374
.LBB111_373:
	v_lshlrev_b32_e32 v21, 2, v0
	v_mov_b32_e32 v22, 0
	ds_read_b32 v21, v21 offset:12160
	ds_read_b32 v22, v22 offset:12220
	s_waitcnt lgkmcnt(0)
	v_fmac_f32_e32 v20, v21, v22
.LBB111_374:
	s_or_b64 exec, exec, s[20:21]
.LBB111_375:
	s_or_b64 exec, exec, s[16:17]
	s_and_saveexec_b64 s[14:15], s[56:57]
; %bb.376:
	v_xor_b32_e32 v21, 0x80000000, v20
	ds_write_b32 v16, v21
; %bb.377:
	s_or_b64 exec, exec, s[14:15]
	s_waitcnt lgkmcnt(0)
	s_barrier
	s_and_saveexec_b64 s[14:15], s[58:59]
	s_cbranch_execz .LBB111_379
; %bb.378:
	v_lshlrev_b32_e32 v21, 2, v14
	ds_read_b32 v21, v21 offset:10112
	ds_read_b32 v22, v16
	s_waitcnt lgkmcnt(0)
	v_fma_f32 v20, -v21, v22, v20
.LBB111_379:
	s_or_b64 exec, exec, s[14:15]
	s_barrier
	s_and_saveexec_b64 s[14:15], s[60:61]
; %bb.380:
	v_xor_b32_e32 v21, 0x80000000, v20
	ds_write_b32 v16, v21
; %bb.381:
	s_or_b64 exec, exec, s[14:15]
	s_waitcnt lgkmcnt(0)
	s_barrier
	s_and_saveexec_b64 s[14:15], s[62:63]
	s_cbranch_execz .LBB111_383
; %bb.382:
	v_lshlrev_b32_e32 v21, 2, v14
	ds_read_b32 v21, v21 offset:9856
	ds_read_b32 v22, v16
	s_waitcnt lgkmcnt(0)
	v_fma_f32 v20, -v21, v22, v20
.LBB111_383:
	s_or_b64 exec, exec, s[14:15]
	s_barrier
	s_and_saveexec_b64 s[14:15], s[64:65]
; %bb.384:
	v_xor_b32_e32 v21, 0x80000000, v20
	ds_write_b32 v16, v21
; %bb.385:
	s_or_b64 exec, exec, s[14:15]
	s_waitcnt lgkmcnt(0)
	s_barrier
	s_and_saveexec_b64 s[14:15], s[68:69]
	s_cbranch_execz .LBB111_387
; %bb.386:
	v_lshlrev_b32_e32 v21, 2, v14
	ds_read_b32 v21, v21 offset:9600
	ds_read_b32 v22, v16
	s_waitcnt lgkmcnt(0)
	v_fma_f32 v20, -v21, v22, v20
.LBB111_387:
	s_or_b64 exec, exec, s[14:15]
	s_barrier
	s_and_saveexec_b64 s[14:15], s[70:71]
; %bb.388:
	v_xor_b32_e32 v21, 0x80000000, v20
	ds_write_b32 v16, v21
; %bb.389:
	s_or_b64 exec, exec, s[14:15]
	s_waitcnt lgkmcnt(0)
	s_barrier
	s_and_saveexec_b64 s[14:15], s[72:73]
	s_cbranch_execz .LBB111_391
; %bb.390:
	v_lshlrev_b32_e32 v21, 2, v14
	ds_read_b32 v21, v21 offset:9344
	ds_read_b32 v22, v16
	s_waitcnt lgkmcnt(0)
	v_fma_f32 v20, -v21, v22, v20
.LBB111_391:
	s_or_b64 exec, exec, s[14:15]
	s_barrier
	s_and_saveexec_b64 s[14:15], s[74:75]
; %bb.392:
	v_xor_b32_e32 v21, 0x80000000, v20
	ds_write_b32 v16, v21
; %bb.393:
	s_or_b64 exec, exec, s[14:15]
	s_waitcnt lgkmcnt(0)
	s_barrier
	s_and_saveexec_b64 s[14:15], s[76:77]
	s_cbranch_execz .LBB111_395
; %bb.394:
	v_lshlrev_b32_e32 v21, 2, v14
	ds_read_b32 v21, v21 offset:9088
	ds_read_b32 v22, v16
	s_waitcnt lgkmcnt(0)
	v_fma_f32 v20, -v21, v22, v20
.LBB111_395:
	s_or_b64 exec, exec, s[14:15]
	s_barrier
	s_and_saveexec_b64 s[14:15], s[78:79]
; %bb.396:
	v_xor_b32_e32 v21, 0x80000000, v20
	ds_write_b32 v16, v21
; %bb.397:
	s_or_b64 exec, exec, s[14:15]
	s_waitcnt lgkmcnt(0)
	s_barrier
	s_and_saveexec_b64 s[14:15], s[80:81]
	s_cbranch_execz .LBB111_399
; %bb.398:
	v_lshlrev_b32_e32 v21, 2, v14
	ds_read_b32 v21, v21 offset:8832
	ds_read_b32 v22, v16
	s_waitcnt lgkmcnt(0)
	v_fma_f32 v20, -v21, v22, v20
.LBB111_399:
	s_or_b64 exec, exec, s[14:15]
	s_barrier
	s_and_saveexec_b64 s[14:15], s[82:83]
; %bb.400:
	v_xor_b32_e32 v21, 0x80000000, v20
	ds_write_b32 v16, v21
; %bb.401:
	s_or_b64 exec, exec, s[14:15]
	s_waitcnt lgkmcnt(0)
	s_barrier
	s_and_saveexec_b64 s[14:15], s[66:67]
	s_cbranch_execz .LBB111_403
; %bb.402:
	v_mov_b32_e32 v21, 0
	ds_read_b32 v21, v21 offset:8576
	ds_read_b32 v22, v16
	s_waitcnt lgkmcnt(0)
	v_fma_f32 v20, -v21, v22, v20
.LBB111_403:
	s_or_b64 exec, exec, s[14:15]
	s_barrier
	s_and_saveexec_b64 s[14:15], s[66:67]
; %bb.404:
	v_xor_b32_e32 v21, 0x80000000, v20
	ds_write_b32 v16, v21
; %bb.405:
	s_or_b64 exec, exec, s[14:15]
	s_waitcnt lgkmcnt(0)
	s_barrier
	s_barrier
	s_and_saveexec_b64 s[14:15], s[8:9]
; %bb.406:
	v_lshlrev_b32_e32 v21, 2, v14
	v_lshl_or_b32 v21, v15, 8, v21
	ds_write_b32 v21, v20 offset:10368
; %bb.407:
	s_or_b64 exec, exec, s[14:15]
	s_waitcnt lgkmcnt(0)
	s_barrier
	s_barrier
	s_and_saveexec_b64 s[14:15], s[84:85]
	s_cbranch_execz .LBB111_409
; %bb.408:
	v_lshlrev_b32_e32 v20, 8, v0
	ds_read_b32 v21, v20 offset:10368
	s_movk_i32 s16, 0xff04
	v_mad_i32_i24 v22, v0, s16, v20
	s_waitcnt lgkmcnt(0)
	ds_write_b32 v22, v21 offset:8352
	ds_read_b32 v21, v20 offset:10372
	s_waitcnt lgkmcnt(0)
	ds_write_b32 v22, v21 offset:8608
	ds_read_b32 v21, v20 offset:10376
	;; [unrolled: 3-line block ×7, first 2 shown]
	s_waitcnt lgkmcnt(0)
	ds_write_b32 v22, v20 offset:10144
.LBB111_409:
	s_or_b64 exec, exec, s[14:15]
	s_waitcnt lgkmcnt(0)
	s_barrier
	s_and_saveexec_b64 s[14:15], vcc
	s_cbranch_execz .LBB111_411
; %bb.410:
	v_mov_b32_e32 v22, 0
	ds_read_b32 v21, v22 offset:10136
	v_mov_b32_e32 v20, 1.0
	ds_write_b32 v22, v20 offset:10140
	s_waitcnt lgkmcnt(1)
	ds_write_b64 v22, v[20:21] offset:9880
.LBB111_411:
	s_or_b64 exec, exec, s[14:15]
	v_mov_b32_e32 v20, 0
	s_waitcnt lgkmcnt(0)
	s_barrier
	buffer_wbinvl1_vol
	s_and_saveexec_b64 s[16:17], s[2:3]
	s_cbranch_execz .LBB111_415
; %bb.412:
	v_lshlrev_b32_e32 v20, 8, v3
	v_lshlrev_b32_e32 v21, 2, v2
	ds_read_b32 v22, v21 offset:9872
	ds_read_b32 v20, v20 offset:9880
	v_mov_b32_e32 v21, 0
	v_cmp_gt_u32_e64 s[14:15], 2, v5
	s_waitcnt lgkmcnt(0)
	v_fma_f32 v20, v22, v20, 0
	s_and_saveexec_b64 s[20:21], s[14:15]
	s_cbranch_execz .LBB111_414
; %bb.413:
	v_lshlrev_b32_e32 v22, 2, v0
	ds_read_b32 v22, v22 offset:10128
	ds_read_b32 v21, v21 offset:10140
	s_waitcnt lgkmcnt(0)
	v_fmac_f32_e32 v20, v22, v21
.LBB111_414:
	s_or_b64 exec, exec, s[20:21]
.LBB111_415:
	s_or_b64 exec, exec, s[16:17]
	s_and_saveexec_b64 s[14:15], s[38:39]
; %bb.416:
	v_xor_b32_e32 v21, 0x80000000, v20
	ds_write_b32 v4, v21
; %bb.417:
	s_or_b64 exec, exec, s[14:15]
	s_waitcnt lgkmcnt(0)
	s_barrier
	s_and_saveexec_b64 s[14:15], s[36:37]
	s_cbranch_execz .LBB111_419
; %bb.418:
	v_mov_b32_e32 v21, 0
	ds_read_b32 v21, v21 offset:9616
	ds_read_b32 v22, v4
	s_waitcnt lgkmcnt(0)
	v_fma_f32 v20, -v21, v22, v20
.LBB111_419:
	s_or_b64 exec, exec, s[14:15]
	s_barrier
	s_and_saveexec_b64 s[14:15], s[36:37]
; %bb.420:
	v_xor_b32_e32 v21, 0x80000000, v20
	ds_write_b32 v4, v21
; %bb.421:
	s_or_b64 exec, exec, s[14:15]
	s_waitcnt lgkmcnt(0)
	s_barrier
	s_barrier
	s_and_saveexec_b64 s[14:15], s[2:3]
; %bb.422:
	v_lshlrev_b32_e32 v21, 2, v2
	v_lshl_or_b32 v21, v3, 8, v21
	ds_write_b32 v21, v20 offset:9872
; %bb.423:
	s_or_b64 exec, exec, s[14:15]
	s_waitcnt lgkmcnt(0)
	s_barrier
	s_barrier
	s_and_saveexec_b64 s[14:15], s[40:41]
	s_cbranch_execz .LBB111_425
; %bb.424:
	v_lshlrev_b32_e32 v20, 2, v0
	s_movk_i32 s16, 0xfc
	v_mad_u32_u24 v21, v0, s16, v20
	ds_read_b32 v22, v21 offset:9872
	s_waitcnt lgkmcnt(0)
	ds_write_b32 v20, v22 offset:9368
	ds_read_b32 v21, v21 offset:9876
	s_waitcnt lgkmcnt(0)
	ds_write_b32 v20, v21 offset:9624
.LBB111_425:
	s_or_b64 exec, exec, s[14:15]
	s_waitcnt lgkmcnt(0)
	s_barrier
	s_and_saveexec_b64 s[14:15], vcc
	s_cbranch_execz .LBB111_427
; %bb.426:
	v_mov_b32_e32 v22, 0
	ds_read_b32 v21, v22 offset:9616
	v_mov_b32_e32 v20, 1.0
	ds_write_b32 v22, v20 offset:9620
	s_waitcnt lgkmcnt(1)
	ds_write_b64 v22, v[20:21] offset:9360
.LBB111_427:
	s_or_b64 exec, exec, s[14:15]
	v_mov_b32_e32 v20, 0
	s_waitcnt lgkmcnt(0)
	s_barrier
	buffer_wbinvl1_vol
	s_and_saveexec_b64 s[16:17], s[18:19]
	s_cbranch_execz .LBB111_433
; %bb.428:
	v_lshlrev_b32_e32 v22, 2, v11
	v_lshlrev_b32_e32 v21, 8, v12
	ds_read_b32 v20, v22 offset:9344
	ds_read_b32 v23, v21 offset:9360
	v_cmp_gt_u32_e64 s[14:15], 12, v5
	s_waitcnt lgkmcnt(0)
	v_fma_f32 v20, v20, v23, 0
	s_and_saveexec_b64 s[20:21], s[14:15]
	s_cbranch_execnz .LBB111_1194
; %bb.429:
	s_or_b64 exec, exec, s[20:21]
	v_cmp_gt_u32_e64 s[14:15], 8, v5
	s_and_saveexec_b64 s[20:21], s[14:15]
	s_cbranch_execnz .LBB111_1195
.LBB111_430:
	s_or_b64 exec, exec, s[20:21]
	v_cmp_gt_u32_e64 s[14:15], 4, v5
	s_and_saveexec_b64 s[20:21], s[14:15]
	s_cbranch_execz .LBB111_432
.LBB111_431:
	v_lshlrev_b32_e32 v21, 2, v0
	v_mov_b32_e32 v22, 0
	ds_read_b32 v21, v21 offset:10112
	ds_read_b32 v22, v22 offset:10140
	s_waitcnt lgkmcnt(0)
	v_fmac_f32_e32 v20, v21, v22
.LBB111_432:
	s_or_b64 exec, exec, s[20:21]
.LBB111_433:
	s_or_b64 exec, exec, s[16:17]
	s_and_saveexec_b64 s[14:15], s[44:45]
; %bb.434:
	v_xor_b32_e32 v21, 0x80000000, v20
	ds_write_b32 v13, v21
; %bb.435:
	s_or_b64 exec, exec, s[14:15]
	s_waitcnt lgkmcnt(0)
	s_barrier
	s_and_saveexec_b64 s[14:15], s[46:47]
	s_cbranch_execz .LBB111_437
; %bb.436:
	v_lshlrev_b32_e32 v21, 2, v11
	ds_read_b32 v21, v21 offset:9088
	ds_read_b32 v22, v13
	s_waitcnt lgkmcnt(0)
	v_fma_f32 v20, -v21, v22, v20
.LBB111_437:
	s_or_b64 exec, exec, s[14:15]
	s_barrier
	s_and_saveexec_b64 s[14:15], s[48:49]
; %bb.438:
	v_xor_b32_e32 v21, 0x80000000, v20
	ds_write_b32 v13, v21
; %bb.439:
	s_or_b64 exec, exec, s[14:15]
	s_waitcnt lgkmcnt(0)
	s_barrier
	s_and_saveexec_b64 s[14:15], s[50:51]
	s_cbranch_execz .LBB111_441
; %bb.440:
	v_lshlrev_b32_e32 v21, 2, v11
	ds_read_b32 v21, v21 offset:8832
	ds_read_b32 v22, v13
	s_waitcnt lgkmcnt(0)
	v_fma_f32 v20, -v21, v22, v20
.LBB111_441:
	s_or_b64 exec, exec, s[14:15]
	s_barrier
	s_and_saveexec_b64 s[14:15], s[52:53]
; %bb.442:
	v_xor_b32_e32 v21, 0x80000000, v20
	ds_write_b32 v13, v21
; %bb.443:
	s_or_b64 exec, exec, s[14:15]
	s_waitcnt lgkmcnt(0)
	s_barrier
	s_and_saveexec_b64 s[14:15], s[42:43]
	s_cbranch_execz .LBB111_445
; %bb.444:
	v_mov_b32_e32 v21, 0
	ds_read_b32 v21, v21 offset:8576
	ds_read_b32 v22, v13
	s_waitcnt lgkmcnt(0)
	v_fma_f32 v20, -v21, v22, v20
.LBB111_445:
	s_or_b64 exec, exec, s[14:15]
	s_barrier
	s_and_saveexec_b64 s[14:15], s[42:43]
; %bb.446:
	v_xor_b32_e32 v21, 0x80000000, v20
	ds_write_b32 v13, v21
; %bb.447:
	s_or_b64 exec, exec, s[14:15]
	s_waitcnt lgkmcnt(0)
	s_barrier
	s_barrier
	s_and_saveexec_b64 s[14:15], s[18:19]
; %bb.448:
	v_lshlrev_b32_e32 v21, 2, v11
	v_lshl_or_b32 v21, v12, 8, v21
	ds_write_b32 v21, v20 offset:9344
; %bb.449:
	s_or_b64 exec, exec, s[14:15]
	s_waitcnt lgkmcnt(0)
	s_barrier
	s_barrier
	s_and_saveexec_b64 s[14:15], s[54:55]
	s_cbranch_execz .LBB111_451
; %bb.450:
	v_lshlrev_b32_e32 v20, 8, v0
	ds_read_b32 v21, v20 offset:9344
	s_movk_i32 s16, 0xff04
	v_mad_i32_i24 v22, v0, s16, v20
	s_waitcnt lgkmcnt(0)
	ds_write_b32 v22, v21 offset:8336
	ds_read_b32 v21, v20 offset:9348
	s_waitcnt lgkmcnt(0)
	ds_write_b32 v22, v21 offset:8592
	ds_read_b32 v21, v20 offset:9352
	;; [unrolled: 3-line block ×3, first 2 shown]
	s_waitcnt lgkmcnt(0)
	ds_write_b32 v22, v20 offset:9104
.LBB111_451:
	s_or_b64 exec, exec, s[14:15]
	s_waitcnt lgkmcnt(0)
	s_barrier
	s_and_saveexec_b64 s[14:15], vcc
	s_cbranch_execz .LBB111_453
; %bb.452:
	v_mov_b32_e32 v22, 0
	ds_read_b32 v21, v22 offset:9096
	v_mov_b32_e32 v20, 1.0
	ds_write_b32 v22, v20 offset:9100
	s_waitcnt lgkmcnt(1)
	ds_write_b64 v22, v[20:21] offset:8840
.LBB111_453:
	s_or_b64 exec, exec, s[14:15]
	v_mov_b32_e32 v20, 0
	s_waitcnt lgkmcnt(0)
	s_barrier
	buffer_wbinvl1_vol
	s_and_saveexec_b64 s[16:17], s[2:3]
	s_cbranch_execz .LBB111_457
; %bb.454:
	v_lshlrev_b32_e32 v20, 8, v3
	v_lshlrev_b32_e32 v21, 2, v2
	ds_read_b32 v22, v21 offset:8832
	ds_read_b32 v20, v20 offset:8840
	v_mov_b32_e32 v21, 0
	v_cmp_gt_u32_e64 s[14:15], 2, v5
	s_waitcnt lgkmcnt(0)
	v_fma_f32 v20, v22, v20, 0
	s_and_saveexec_b64 s[20:21], s[14:15]
	s_cbranch_execz .LBB111_456
; %bb.455:
	v_lshlrev_b32_e32 v22, 2, v0
	ds_read_b32 v22, v22 offset:9088
	ds_read_b32 v21, v21 offset:9100
	s_waitcnt lgkmcnt(0)
	v_fmac_f32_e32 v20, v22, v21
.LBB111_456:
	s_or_b64 exec, exec, s[20:21]
.LBB111_457:
	s_or_b64 exec, exec, s[16:17]
	s_and_saveexec_b64 s[14:15], s[38:39]
; %bb.458:
	v_xor_b32_e32 v21, 0x80000000, v20
	ds_write_b32 v4, v21
; %bb.459:
	s_or_b64 exec, exec, s[14:15]
	s_waitcnt lgkmcnt(0)
	s_barrier
	s_and_saveexec_b64 s[14:15], s[36:37]
	s_cbranch_execz .LBB111_461
; %bb.460:
	v_mov_b32_e32 v21, 0
	ds_read_b32 v21, v21 offset:8576
	ds_read_b32 v22, v4
	s_waitcnt lgkmcnt(0)
	v_fma_f32 v20, -v21, v22, v20
.LBB111_461:
	s_or_b64 exec, exec, s[14:15]
	s_barrier
	s_and_saveexec_b64 s[14:15], s[36:37]
; %bb.462:
	v_xor_b32_e32 v21, 0x80000000, v20
	ds_write_b32 v4, v21
; %bb.463:
	s_or_b64 exec, exec, s[14:15]
	s_waitcnt lgkmcnt(0)
	s_barrier
	s_barrier
	s_and_saveexec_b64 s[14:15], s[2:3]
; %bb.464:
	v_lshlrev_b32_e32 v21, 2, v2
	v_lshl_or_b32 v21, v3, 8, v21
	ds_write_b32 v21, v20 offset:8832
; %bb.465:
	s_or_b64 exec, exec, s[14:15]
	s_waitcnt lgkmcnt(0)
	s_barrier
	s_barrier
	s_and_saveexec_b64 s[14:15], s[40:41]
	s_cbranch_execz .LBB111_467
; %bb.466:
	v_lshlrev_b32_e32 v20, 2, v0
	s_movk_i32 s16, 0xfc
	v_mad_u32_u24 v21, v0, s16, v20
	ds_read_b32 v22, v21 offset:8832
	s_waitcnt lgkmcnt(0)
	ds_write_b32 v20, v22 offset:8328
	ds_read_b32 v21, v21 offset:8836
	s_waitcnt lgkmcnt(0)
	ds_write_b32 v20, v21 offset:8584
.LBB111_467:
	s_or_b64 exec, exec, s[14:15]
	s_waitcnt lgkmcnt(0)
	s_barrier
	s_and_saveexec_b64 s[14:15], vcc
	s_cbranch_execz .LBB111_469
; %bb.468:
	v_mov_b32_e32 v22, 0
	ds_read_b32 v21, v22 offset:8576
	v_mov_b32_e32 v20, 1.0
	ds_write_b32 v22, v20 offset:8580
	s_waitcnt lgkmcnt(1)
	ds_write_b64 v22, v[20:21] offset:8320
.LBB111_469:
	s_or_b64 exec, exec, s[14:15]
	s_movk_i32 s14, 0x3ff
	v_lshrrev_b32_e32 v23, 5, v5
	v_cmp_lt_u32_e64 s[16:17], s14, v5
	s_movk_i32 s14, 0x400
	v_and_b32_e32 v20, 31, v0
	v_sub_u32_e32 v21, 31, v23
	v_cmp_gt_u32_e64 s[14:15], s14, v5
	v_mov_b32_e32 v22, 0
	s_waitcnt lgkmcnt(0)
	s_barrier
	buffer_wbinvl1_vol
	s_and_saveexec_b64 s[94:95], s[14:15]
	s_cbranch_execz .LBB111_531
; %bb.470:
	v_lshlrev_b32_e32 v25, 2, v20
	v_lshlrev_b32_e32 v24, 8, v21
	ds_read_b32 v22, v25 offset:8192
	ds_read_b32 v26, v24 offset:8320
	s_movk_i32 s20, 0x3e0
	v_cmp_gt_u32_e64 s[20:21], s20, v5
	s_waitcnt lgkmcnt(0)
	v_fma_f32 v22, v22, v26, 0
	s_and_saveexec_b64 s[22:23], s[20:21]
	s_cbranch_execz .LBB111_472
; %bb.471:
	ds_read_b32 v26, v25 offset:8448
	ds_read_b32 v27, v24 offset:8324
	s_waitcnt lgkmcnt(0)
	v_fmac_f32_e32 v22, v26, v27
.LBB111_472:
	s_or_b64 exec, exec, s[22:23]
	s_movk_i32 s20, 0x3c0
	v_cmp_gt_u32_e64 s[20:21], s20, v5
	s_and_saveexec_b64 s[22:23], s[20:21]
	s_cbranch_execz .LBB111_474
; %bb.473:
	ds_read_b32 v26, v25 offset:8704
	ds_read_b32 v27, v24 offset:8328
	s_waitcnt lgkmcnt(0)
	v_fmac_f32_e32 v22, v26, v27
.LBB111_474:
	s_or_b64 exec, exec, s[22:23]
	s_movk_i32 s20, 0x3a0
	v_cmp_gt_u32_e64 s[20:21], s20, v5
	;; [unrolled: 11-line block ×22, first 2 shown]
	s_and_saveexec_b64 s[22:23], s[20:21]
	s_cbranch_execz .LBB111_516
; %bb.515:
	ds_read_b32 v26, v25 offset:14080
	ds_read_b32 v27, v24 offset:8412
	s_waitcnt lgkmcnt(0)
	v_fmac_f32_e32 v22, v26, v27
.LBB111_516:
	s_or_b64 exec, exec, s[22:23]
	s_and_saveexec_b64 s[20:21], s[10:11]
	s_cbranch_execz .LBB111_518
; %bb.517:
	ds_read_b32 v26, v25 offset:14336
	ds_read_b32 v27, v24 offset:8416
	s_waitcnt lgkmcnt(0)
	v_fmac_f32_e32 v22, v26, v27
.LBB111_518:
	s_or_b64 exec, exec, s[20:21]
	s_movk_i32 s20, 0xe0
	v_cmp_gt_u32_e64 s[20:21], s20, v5
	s_and_saveexec_b64 s[22:23], s[20:21]
	s_cbranch_execz .LBB111_520
; %bb.519:
	ds_read_b32 v26, v25 offset:14592
	ds_read_b32 v27, v24 offset:8420
	s_waitcnt lgkmcnt(0)
	v_fmac_f32_e32 v22, v26, v27
.LBB111_520:
	s_or_b64 exec, exec, s[22:23]
	s_movk_i32 s20, 0xc0
	v_cmp_gt_u32_e64 s[20:21], s20, v5
	;; [unrolled: 11-line block ×5, first 2 shown]
	s_and_saveexec_b64 s[22:23], s[20:21]
	s_cbranch_execnz .LBB111_1196
; %bb.527:
	s_or_b64 exec, exec, s[22:23]
	s_and_saveexec_b64 s[20:21], s[8:9]
	s_cbranch_execnz .LBB111_1197
.LBB111_528:
	s_or_b64 exec, exec, s[20:21]
	v_cmp_gt_u32_e64 s[20:21], 32, v5
	s_and_saveexec_b64 s[22:23], s[20:21]
	s_cbranch_execz .LBB111_530
.LBB111_529:
	v_lshlrev_b32_e32 v24, 2, v0
	v_mov_b32_e32 v25, 0
	ds_read_b32 v24, v24 offset:16128
	ds_read_b32 v25, v25 offset:16380
	s_waitcnt lgkmcnt(0)
	v_fmac_f32_e32 v22, v24, v25
.LBB111_530:
	s_or_b64 exec, exec, s[22:23]
.LBB111_531:
	s_or_b64 exec, exec, s[94:95]
	v_mov_b32_e32 v24, 0x4000
	v_cmp_eq_u32_e64 s[20:21], 31, v20
	s_xor_b64 s[94:95], s[16:17], -1
	v_lshl_add_u32 v23, v23, 2, v24
	s_and_b64 s[20:21], s[20:21], s[94:95]
	s_and_saveexec_b64 s[16:17], s[20:21]
; %bb.532:
	v_xor_b32_e32 v24, 0x80000000, v22
	ds_write_b32 v23, v24
; %bb.533:
	s_or_b64 exec, exec, s[16:17]
	v_cmp_ne_u32_e64 s[16:17], 31, v20
	s_and_b64 s[20:21], s[16:17], s[94:95]
	s_waitcnt lgkmcnt(0)
	s_barrier
	s_and_saveexec_b64 s[16:17], s[20:21]
	s_cbranch_execz .LBB111_535
; %bb.534:
	v_lshlrev_b32_e32 v24, 2, v20
	ds_read_b32 v24, v24 offset:7936
	ds_read_b32 v25, v23
	s_waitcnt lgkmcnt(0)
	v_fma_f32 v22, -v24, v25, v22
.LBB111_535:
	s_or_b64 exec, exec, s[16:17]
	v_cmp_eq_u32_e64 s[16:17], 30, v20
	s_and_b64 s[20:21], s[16:17], s[94:95]
	s_barrier
	s_and_saveexec_b64 s[16:17], s[20:21]
; %bb.536:
	v_xor_b32_e32 v24, 0x80000000, v22
	ds_write_b32 v23, v24
; %bb.537:
	s_or_b64 exec, exec, s[16:17]
	v_cmp_gt_u32_e64 s[16:17], 30, v20
	s_and_b64 s[20:21], s[16:17], s[94:95]
	s_waitcnt lgkmcnt(0)
	s_barrier
	s_and_saveexec_b64 s[16:17], s[20:21]
	s_cbranch_execz .LBB111_539
; %bb.538:
	v_lshlrev_b32_e32 v24, 2, v20
	ds_read_b32 v24, v24 offset:7680
	ds_read_b32 v25, v23
	s_waitcnt lgkmcnt(0)
	v_fma_f32 v22, -v24, v25, v22
.LBB111_539:
	s_or_b64 exec, exec, s[16:17]
	v_cmp_eq_u32_e64 s[16:17], 29, v20
	s_and_b64 s[20:21], s[16:17], s[94:95]
	s_barrier
	s_and_saveexec_b64 s[16:17], s[20:21]
; %bb.540:
	v_xor_b32_e32 v24, 0x80000000, v22
	ds_write_b32 v23, v24
; %bb.541:
	s_or_b64 exec, exec, s[16:17]
	v_cmp_gt_u32_e64 s[16:17], 29, v20
	;; [unrolled: 23-line block ×29, first 2 shown]
	s_and_b64 s[20:21], s[16:17], s[94:95]
	s_waitcnt lgkmcnt(0)
	s_barrier
	s_and_saveexec_b64 s[16:17], s[20:21]
	s_cbranch_execz .LBB111_651
; %bb.650:
	v_lshlrev_b32_e32 v24, 2, v20
	ds_read_b32 v24, v24 offset:512
	ds_read_b32 v25, v23
	s_waitcnt lgkmcnt(0)
	v_fma_f32 v22, -v24, v25, v22
.LBB111_651:
	s_or_b64 exec, exec, s[16:17]
	v_cmp_eq_u32_e64 s[16:17], 1, v20
	s_and_b64 s[20:21], s[16:17], s[94:95]
	s_barrier
	s_and_saveexec_b64 s[16:17], s[20:21]
; %bb.652:
	v_xor_b32_e32 v24, 0x80000000, v22
	ds_write_b32 v23, v24
; %bb.653:
	s_or_b64 exec, exec, s[16:17]
	v_cmp_eq_u32_e64 s[16:17], 0, v20
	s_and_b64 s[16:17], s[16:17], s[94:95]
	s_waitcnt lgkmcnt(0)
	s_barrier
	s_and_saveexec_b64 s[20:21], s[16:17]
	s_cbranch_execz .LBB111_655
; %bb.654:
	v_mov_b32_e32 v24, 0
	ds_read_b32 v24, v24 offset:256
	ds_read_b32 v25, v23
	s_waitcnt lgkmcnt(0)
	v_fma_f32 v22, -v24, v25, v22
.LBB111_655:
	s_or_b64 exec, exec, s[20:21]
	s_barrier
	s_and_saveexec_b64 s[20:21], s[16:17]
; %bb.656:
	v_xor_b32_e32 v24, 0x80000000, v22
	ds_write_b32 v23, v24
; %bb.657:
	s_or_b64 exec, exec, s[20:21]
	s_waitcnt lgkmcnt(0)
	s_barrier
	s_barrier
	s_and_saveexec_b64 s[16:17], s[14:15]
; %bb.658:
	v_lshlrev_b32_e32 v20, 2, v20
	v_lshl_or_b32 v20, v21, 8, v20
	ds_write_b32 v20, v22 offset:8192
; %bb.659:
	s_or_b64 exec, exec, s[16:17]
	v_cmp_gt_u32_e64 s[14:15], 32, v0
	s_and_b64 s[14:15], s[12:13], s[14:15]
	s_waitcnt lgkmcnt(0)
	s_barrier
	s_barrier
	s_and_saveexec_b64 s[12:13], s[14:15]
	s_cbranch_execz .LBB111_661
; %bb.660:
	v_lshlrev_b32_e32 v20, 8, v0
	ds_read_b32 v21, v20 offset:8192
	s_movk_i32 s14, 0xff04
	v_mad_i32_i24 v22, v0, s14, v20
	s_waitcnt lgkmcnt(0)
	ds_write_b32 v22, v21 offset:128
	ds_read_b32 v21, v20 offset:8196
	s_waitcnt lgkmcnt(0)
	ds_write_b32 v22, v21 offset:384
	ds_read_b32 v21, v20 offset:8200
	;; [unrolled: 3-line block ×31, first 2 shown]
	s_waitcnt lgkmcnt(0)
	ds_write_b32 v22, v20 offset:8064
.LBB111_661:
	s_or_b64 exec, exec, s[12:13]
	s_waitcnt lgkmcnt(0)
	s_barrier
	s_and_saveexec_b64 s[12:13], vcc
	s_cbranch_execz .LBB111_663
; %bb.662:
	v_mov_b32_e32 v22, 0
	ds_read_b32 v21, v22 offset:8056
	v_mov_b32_e32 v20, 1.0
	ds_write_b32 v22, v20 offset:8060
	s_waitcnt lgkmcnt(1)
	ds_write_b64 v22, v[20:21] offset:7800
.LBB111_663:
	s_or_b64 exec, exec, s[12:13]
	v_mov_b32_e32 v20, 0
	s_waitcnt lgkmcnt(0)
	s_barrier
	buffer_wbinvl1_vol
	s_and_saveexec_b64 s[14:15], s[2:3]
	s_cbranch_execz .LBB111_667
; %bb.664:
	v_lshlrev_b32_e32 v20, 8, v3
	v_lshlrev_b32_e32 v21, 2, v2
	ds_read_b32 v22, v21 offset:7792
	ds_read_b32 v20, v20 offset:7800
	v_mov_b32_e32 v21, 0
	v_cmp_gt_u32_e64 s[12:13], 2, v5
	s_waitcnt lgkmcnt(0)
	v_fma_f32 v20, v22, v20, 0
	s_and_saveexec_b64 s[16:17], s[12:13]
	s_cbranch_execz .LBB111_666
; %bb.665:
	v_lshlrev_b32_e32 v22, 2, v0
	ds_read_b32 v22, v22 offset:8048
	ds_read_b32 v21, v21 offset:8060
	s_waitcnt lgkmcnt(0)
	v_fmac_f32_e32 v20, v22, v21
.LBB111_666:
	s_or_b64 exec, exec, s[16:17]
.LBB111_667:
	s_or_b64 exec, exec, s[14:15]
	s_and_saveexec_b64 s[12:13], s[38:39]
; %bb.668:
	v_xor_b32_e32 v21, 0x80000000, v20
	ds_write_b32 v4, v21
; %bb.669:
	s_or_b64 exec, exec, s[12:13]
	s_waitcnt lgkmcnt(0)
	s_barrier
	s_and_saveexec_b64 s[12:13], s[36:37]
	s_cbranch_execz .LBB111_671
; %bb.670:
	v_mov_b32_e32 v21, 0
	ds_read_b32 v21, v21 offset:7536
	ds_read_b32 v22, v4
	s_waitcnt lgkmcnt(0)
	v_fma_f32 v20, -v21, v22, v20
.LBB111_671:
	s_or_b64 exec, exec, s[12:13]
	s_barrier
	s_and_saveexec_b64 s[12:13], s[36:37]
; %bb.672:
	v_xor_b32_e32 v21, 0x80000000, v20
	ds_write_b32 v4, v21
; %bb.673:
	s_or_b64 exec, exec, s[12:13]
	s_waitcnt lgkmcnt(0)
	s_barrier
	s_barrier
	s_and_saveexec_b64 s[12:13], s[2:3]
; %bb.674:
	v_lshlrev_b32_e32 v21, 2, v2
	v_lshl_or_b32 v21, v3, 8, v21
	ds_write_b32 v21, v20 offset:7792
; %bb.675:
	s_or_b64 exec, exec, s[12:13]
	s_waitcnt lgkmcnt(0)
	s_barrier
	s_barrier
	s_and_saveexec_b64 s[12:13], s[40:41]
	s_cbranch_execz .LBB111_677
; %bb.676:
	v_lshlrev_b32_e32 v20, 2, v0
	s_movk_i32 s14, 0xfc
	v_mad_u32_u24 v21, v0, s14, v20
	ds_read_b32 v22, v21 offset:7792
	s_waitcnt lgkmcnt(0)
	ds_write_b32 v20, v22 offset:7288
	ds_read_b32 v21, v21 offset:7796
	s_waitcnt lgkmcnt(0)
	ds_write_b32 v20, v21 offset:7544
.LBB111_677:
	s_or_b64 exec, exec, s[12:13]
	s_waitcnt lgkmcnt(0)
	s_barrier
	s_and_saveexec_b64 s[12:13], vcc
	s_cbranch_execz .LBB111_679
; %bb.678:
	v_mov_b32_e32 v22, 0
	ds_read_b32 v21, v22 offset:7536
	v_mov_b32_e32 v20, 1.0
	ds_write_b32 v22, v20 offset:7540
	s_waitcnt lgkmcnt(1)
	ds_write_b64 v22, v[20:21] offset:7280
.LBB111_679:
	s_or_b64 exec, exec, s[12:13]
	v_mov_b32_e32 v20, 0
	s_waitcnt lgkmcnt(0)
	s_barrier
	buffer_wbinvl1_vol
	s_and_saveexec_b64 s[14:15], s[18:19]
	s_cbranch_execz .LBB111_685
; %bb.680:
	v_lshlrev_b32_e32 v22, 2, v11
	v_lshlrev_b32_e32 v21, 8, v12
	ds_read_b32 v20, v22 offset:7264
	ds_read_b32 v23, v21 offset:7280
	v_cmp_gt_u32_e64 s[12:13], 12, v5
	s_waitcnt lgkmcnt(0)
	v_fma_f32 v20, v20, v23, 0
	s_and_saveexec_b64 s[16:17], s[12:13]
	s_cbranch_execnz .LBB111_1198
; %bb.681:
	s_or_b64 exec, exec, s[16:17]
	v_cmp_gt_u32_e64 s[12:13], 8, v5
	s_and_saveexec_b64 s[16:17], s[12:13]
	s_cbranch_execnz .LBB111_1199
.LBB111_682:
	s_or_b64 exec, exec, s[16:17]
	v_cmp_gt_u32_e64 s[12:13], 4, v5
	s_and_saveexec_b64 s[16:17], s[12:13]
	s_cbranch_execz .LBB111_684
.LBB111_683:
	v_lshlrev_b32_e32 v21, 2, v0
	v_mov_b32_e32 v22, 0
	ds_read_b32 v21, v21 offset:8032
	ds_read_b32 v22, v22 offset:8060
	s_waitcnt lgkmcnt(0)
	v_fmac_f32_e32 v20, v21, v22
.LBB111_684:
	s_or_b64 exec, exec, s[16:17]
.LBB111_685:
	s_or_b64 exec, exec, s[14:15]
	s_and_saveexec_b64 s[12:13], s[44:45]
; %bb.686:
	v_xor_b32_e32 v21, 0x80000000, v20
	ds_write_b32 v13, v21
; %bb.687:
	s_or_b64 exec, exec, s[12:13]
	s_waitcnt lgkmcnt(0)
	s_barrier
	s_and_saveexec_b64 s[12:13], s[46:47]
	s_cbranch_execz .LBB111_689
; %bb.688:
	v_lshlrev_b32_e32 v21, 2, v11
	ds_read_b32 v21, v21 offset:7008
	ds_read_b32 v22, v13
	s_waitcnt lgkmcnt(0)
	v_fma_f32 v20, -v21, v22, v20
.LBB111_689:
	s_or_b64 exec, exec, s[12:13]
	s_barrier
	s_and_saveexec_b64 s[12:13], s[48:49]
; %bb.690:
	v_xor_b32_e32 v21, 0x80000000, v20
	ds_write_b32 v13, v21
; %bb.691:
	s_or_b64 exec, exec, s[12:13]
	s_waitcnt lgkmcnt(0)
	s_barrier
	s_and_saveexec_b64 s[12:13], s[50:51]
	s_cbranch_execz .LBB111_693
; %bb.692:
	v_lshlrev_b32_e32 v21, 2, v11
	ds_read_b32 v21, v21 offset:6752
	ds_read_b32 v22, v13
	s_waitcnt lgkmcnt(0)
	v_fma_f32 v20, -v21, v22, v20
.LBB111_693:
	s_or_b64 exec, exec, s[12:13]
	s_barrier
	s_and_saveexec_b64 s[12:13], s[52:53]
; %bb.694:
	v_xor_b32_e32 v21, 0x80000000, v20
	ds_write_b32 v13, v21
; %bb.695:
	s_or_b64 exec, exec, s[12:13]
	s_waitcnt lgkmcnt(0)
	s_barrier
	s_and_saveexec_b64 s[12:13], s[42:43]
	s_cbranch_execz .LBB111_697
; %bb.696:
	v_mov_b32_e32 v21, 0
	ds_read_b32 v21, v21 offset:6496
	ds_read_b32 v22, v13
	s_waitcnt lgkmcnt(0)
	v_fma_f32 v20, -v21, v22, v20
.LBB111_697:
	s_or_b64 exec, exec, s[12:13]
	s_barrier
	s_and_saveexec_b64 s[12:13], s[42:43]
; %bb.698:
	v_xor_b32_e32 v21, 0x80000000, v20
	ds_write_b32 v13, v21
; %bb.699:
	s_or_b64 exec, exec, s[12:13]
	s_waitcnt lgkmcnt(0)
	s_barrier
	s_barrier
	s_and_saveexec_b64 s[12:13], s[18:19]
; %bb.700:
	v_lshlrev_b32_e32 v21, 2, v11
	v_lshl_or_b32 v21, v12, 8, v21
	ds_write_b32 v21, v20 offset:7264
; %bb.701:
	s_or_b64 exec, exec, s[12:13]
	s_waitcnt lgkmcnt(0)
	s_barrier
	s_barrier
	s_and_saveexec_b64 s[12:13], s[54:55]
	s_cbranch_execz .LBB111_703
; %bb.702:
	v_lshlrev_b32_e32 v20, 8, v0
	ds_read_b32 v21, v20 offset:7264
	s_movk_i32 s14, 0xff04
	v_mad_i32_i24 v22, v0, s14, v20
	s_waitcnt lgkmcnt(0)
	ds_write_b32 v22, v21 offset:6256
	ds_read_b32 v21, v20 offset:7268
	s_waitcnt lgkmcnt(0)
	ds_write_b32 v22, v21 offset:6512
	ds_read_b32 v21, v20 offset:7272
	;; [unrolled: 3-line block ×3, first 2 shown]
	s_waitcnt lgkmcnt(0)
	ds_write_b32 v22, v20 offset:7024
.LBB111_703:
	s_or_b64 exec, exec, s[12:13]
	s_waitcnt lgkmcnt(0)
	s_barrier
	s_and_saveexec_b64 s[12:13], vcc
	s_cbranch_execz .LBB111_705
; %bb.704:
	v_mov_b32_e32 v22, 0
	ds_read_b32 v21, v22 offset:7016
	v_mov_b32_e32 v20, 1.0
	ds_write_b32 v22, v20 offset:7020
	s_waitcnt lgkmcnt(1)
	ds_write_b64 v22, v[20:21] offset:6760
.LBB111_705:
	s_or_b64 exec, exec, s[12:13]
	v_mov_b32_e32 v20, 0
	s_waitcnt lgkmcnt(0)
	s_barrier
	buffer_wbinvl1_vol
	s_and_saveexec_b64 s[14:15], s[2:3]
	s_cbranch_execz .LBB111_709
; %bb.706:
	v_lshlrev_b32_e32 v20, 8, v3
	v_lshlrev_b32_e32 v21, 2, v2
	ds_read_b32 v22, v21 offset:6752
	ds_read_b32 v20, v20 offset:6760
	v_mov_b32_e32 v21, 0
	v_cmp_gt_u32_e64 s[12:13], 2, v5
	s_waitcnt lgkmcnt(0)
	v_fma_f32 v20, v22, v20, 0
	s_and_saveexec_b64 s[16:17], s[12:13]
	s_cbranch_execz .LBB111_708
; %bb.707:
	v_lshlrev_b32_e32 v22, 2, v0
	ds_read_b32 v22, v22 offset:7008
	ds_read_b32 v21, v21 offset:7020
	s_waitcnt lgkmcnt(0)
	v_fmac_f32_e32 v20, v22, v21
.LBB111_708:
	s_or_b64 exec, exec, s[16:17]
.LBB111_709:
	s_or_b64 exec, exec, s[14:15]
	s_and_saveexec_b64 s[12:13], s[38:39]
; %bb.710:
	v_xor_b32_e32 v21, 0x80000000, v20
	ds_write_b32 v4, v21
; %bb.711:
	s_or_b64 exec, exec, s[12:13]
	s_waitcnt lgkmcnt(0)
	s_barrier
	s_and_saveexec_b64 s[12:13], s[36:37]
	s_cbranch_execz .LBB111_713
; %bb.712:
	v_mov_b32_e32 v21, 0
	ds_read_b32 v21, v21 offset:6496
	ds_read_b32 v22, v4
	s_waitcnt lgkmcnt(0)
	v_fma_f32 v20, -v21, v22, v20
.LBB111_713:
	s_or_b64 exec, exec, s[12:13]
	s_barrier
	s_and_saveexec_b64 s[12:13], s[36:37]
; %bb.714:
	v_xor_b32_e32 v21, 0x80000000, v20
	ds_write_b32 v4, v21
; %bb.715:
	s_or_b64 exec, exec, s[12:13]
	s_waitcnt lgkmcnt(0)
	s_barrier
	s_barrier
	s_and_saveexec_b64 s[12:13], s[2:3]
; %bb.716:
	v_lshlrev_b32_e32 v21, 2, v2
	v_lshl_or_b32 v21, v3, 8, v21
	ds_write_b32 v21, v20 offset:6752
; %bb.717:
	s_or_b64 exec, exec, s[12:13]
	s_waitcnt lgkmcnt(0)
	s_barrier
	s_barrier
	s_and_saveexec_b64 s[12:13], s[40:41]
	s_cbranch_execz .LBB111_719
; %bb.718:
	v_lshlrev_b32_e32 v20, 2, v0
	s_movk_i32 s14, 0xfc
	v_mad_u32_u24 v21, v0, s14, v20
	ds_read_b32 v22, v21 offset:6752
	s_waitcnt lgkmcnt(0)
	ds_write_b32 v20, v22 offset:6248
	ds_read_b32 v21, v21 offset:6756
	s_waitcnt lgkmcnt(0)
	ds_write_b32 v20, v21 offset:6504
.LBB111_719:
	s_or_b64 exec, exec, s[12:13]
	s_waitcnt lgkmcnt(0)
	s_barrier
	s_and_saveexec_b64 s[12:13], vcc
	s_cbranch_execz .LBB111_721
; %bb.720:
	v_mov_b32_e32 v22, 0
	ds_read_b32 v21, v22 offset:6496
	v_mov_b32_e32 v20, 1.0
	ds_write_b32 v22, v20 offset:6500
	s_waitcnt lgkmcnt(1)
	ds_write_b64 v22, v[20:21] offset:6240
.LBB111_721:
	s_or_b64 exec, exec, s[12:13]
	v_mov_b32_e32 v20, 0
	s_waitcnt lgkmcnt(0)
	s_barrier
	buffer_wbinvl1_vol
	s_and_saveexec_b64 s[14:15], s[8:9]
	s_cbranch_execz .LBB111_731
; %bb.722:
	v_lshlrev_b32_e32 v22, 2, v14
	v_lshlrev_b32_e32 v21, 8, v15
	ds_read_b32 v20, v22 offset:6208
	ds_read_b32 v23, v21 offset:6240
	v_cmp_gt_u32_e64 s[12:13], 56, v5
	s_waitcnt lgkmcnt(0)
	v_fma_f32 v20, v20, v23, 0
	s_and_saveexec_b64 s[16:17], s[12:13]
	s_cbranch_execnz .LBB111_1200
; %bb.723:
	s_or_b64 exec, exec, s[16:17]
	v_cmp_gt_u32_e64 s[12:13], 48, v5
	s_and_saveexec_b64 s[16:17], s[12:13]
	s_cbranch_execnz .LBB111_1201
.LBB111_724:
	s_or_b64 exec, exec, s[16:17]
	v_cmp_gt_u32_e64 s[12:13], 40, v5
	s_and_saveexec_b64 s[16:17], s[12:13]
	s_cbranch_execnz .LBB111_1202
.LBB111_725:
	s_or_b64 exec, exec, s[16:17]
	v_cmp_gt_u32_e64 s[12:13], 32, v5
	s_and_saveexec_b64 s[16:17], s[12:13]
	s_cbranch_execnz .LBB111_1203
.LBB111_726:
	s_or_b64 exec, exec, s[16:17]
	v_cmp_gt_u32_e64 s[12:13], 24, v5
	s_and_saveexec_b64 s[16:17], s[12:13]
	s_cbranch_execnz .LBB111_1204
.LBB111_727:
	s_or_b64 exec, exec, s[16:17]
	s_and_saveexec_b64 s[12:13], s[18:19]
	s_cbranch_execnz .LBB111_1205
.LBB111_728:
	s_or_b64 exec, exec, s[12:13]
	v_cmp_gt_u32_e64 s[12:13], 8, v5
	s_and_saveexec_b64 s[16:17], s[12:13]
	s_cbranch_execz .LBB111_730
.LBB111_729:
	v_lshlrev_b32_e32 v21, 2, v0
	v_mov_b32_e32 v22, 0
	ds_read_b32 v21, v21 offset:8000
	ds_read_b32 v22, v22 offset:8060
	s_waitcnt lgkmcnt(0)
	v_fmac_f32_e32 v20, v21, v22
.LBB111_730:
	s_or_b64 exec, exec, s[16:17]
.LBB111_731:
	s_or_b64 exec, exec, s[14:15]
	s_and_saveexec_b64 s[12:13], s[56:57]
; %bb.732:
	v_xor_b32_e32 v21, 0x80000000, v20
	ds_write_b32 v16, v21
; %bb.733:
	s_or_b64 exec, exec, s[12:13]
	s_waitcnt lgkmcnt(0)
	s_barrier
	s_and_saveexec_b64 s[12:13], s[58:59]
	s_cbranch_execz .LBB111_735
; %bb.734:
	v_lshlrev_b32_e32 v21, 2, v14
	ds_read_b32 v21, v21 offset:5952
	ds_read_b32 v22, v16
	s_waitcnt lgkmcnt(0)
	v_fma_f32 v20, -v21, v22, v20
.LBB111_735:
	s_or_b64 exec, exec, s[12:13]
	s_barrier
	s_and_saveexec_b64 s[12:13], s[60:61]
; %bb.736:
	v_xor_b32_e32 v21, 0x80000000, v20
	ds_write_b32 v16, v21
; %bb.737:
	s_or_b64 exec, exec, s[12:13]
	s_waitcnt lgkmcnt(0)
	s_barrier
	s_and_saveexec_b64 s[12:13], s[62:63]
	s_cbranch_execz .LBB111_739
; %bb.738:
	v_lshlrev_b32_e32 v21, 2, v14
	ds_read_b32 v21, v21 offset:5696
	ds_read_b32 v22, v16
	s_waitcnt lgkmcnt(0)
	v_fma_f32 v20, -v21, v22, v20
.LBB111_739:
	s_or_b64 exec, exec, s[12:13]
	s_barrier
	;; [unrolled: 19-line block ×6, first 2 shown]
	s_and_saveexec_b64 s[12:13], s[82:83]
; %bb.756:
	v_xor_b32_e32 v21, 0x80000000, v20
	ds_write_b32 v16, v21
; %bb.757:
	s_or_b64 exec, exec, s[12:13]
	s_waitcnt lgkmcnt(0)
	s_barrier
	s_and_saveexec_b64 s[12:13], s[66:67]
	s_cbranch_execz .LBB111_759
; %bb.758:
	v_mov_b32_e32 v21, 0
	ds_read_b32 v21, v21 offset:4416
	ds_read_b32 v22, v16
	s_waitcnt lgkmcnt(0)
	v_fma_f32 v20, -v21, v22, v20
.LBB111_759:
	s_or_b64 exec, exec, s[12:13]
	s_barrier
	s_and_saveexec_b64 s[12:13], s[66:67]
; %bb.760:
	v_xor_b32_e32 v21, 0x80000000, v20
	ds_write_b32 v16, v21
; %bb.761:
	s_or_b64 exec, exec, s[12:13]
	s_waitcnt lgkmcnt(0)
	s_barrier
	s_barrier
	s_and_saveexec_b64 s[12:13], s[8:9]
; %bb.762:
	v_lshlrev_b32_e32 v21, 2, v14
	v_lshl_or_b32 v21, v15, 8, v21
	ds_write_b32 v21, v20 offset:6208
; %bb.763:
	s_or_b64 exec, exec, s[12:13]
	s_waitcnt lgkmcnt(0)
	s_barrier
	s_barrier
	s_and_saveexec_b64 s[12:13], s[84:85]
	s_cbranch_execz .LBB111_765
; %bb.764:
	v_lshlrev_b32_e32 v20, 8, v0
	ds_read_b32 v21, v20 offset:6208
	s_movk_i32 s14, 0xff04
	v_mad_i32_i24 v22, v0, s14, v20
	s_waitcnt lgkmcnt(0)
	ds_write_b32 v22, v21 offset:4192
	ds_read_b32 v21, v20 offset:6212
	s_waitcnt lgkmcnt(0)
	ds_write_b32 v22, v21 offset:4448
	ds_read_b32 v21, v20 offset:6216
	;; [unrolled: 3-line block ×7, first 2 shown]
	s_waitcnt lgkmcnt(0)
	ds_write_b32 v22, v20 offset:5984
.LBB111_765:
	s_or_b64 exec, exec, s[12:13]
	s_waitcnt lgkmcnt(0)
	s_barrier
	s_and_saveexec_b64 s[12:13], vcc
	s_cbranch_execz .LBB111_767
; %bb.766:
	v_mov_b32_e32 v22, 0
	ds_read_b32 v21, v22 offset:5976
	v_mov_b32_e32 v20, 1.0
	ds_write_b32 v22, v20 offset:5980
	s_waitcnt lgkmcnt(1)
	ds_write_b64 v22, v[20:21] offset:5720
.LBB111_767:
	s_or_b64 exec, exec, s[12:13]
	v_mov_b32_e32 v20, 0
	s_waitcnt lgkmcnt(0)
	s_barrier
	buffer_wbinvl1_vol
	s_and_saveexec_b64 s[14:15], s[2:3]
	s_cbranch_execz .LBB111_771
; %bb.768:
	v_lshlrev_b32_e32 v20, 8, v3
	v_lshlrev_b32_e32 v21, 2, v2
	ds_read_b32 v22, v21 offset:5712
	ds_read_b32 v20, v20 offset:5720
	v_mov_b32_e32 v21, 0
	v_cmp_gt_u32_e64 s[12:13], 2, v5
	s_waitcnt lgkmcnt(0)
	v_fma_f32 v20, v22, v20, 0
	s_and_saveexec_b64 s[16:17], s[12:13]
	s_cbranch_execz .LBB111_770
; %bb.769:
	v_lshlrev_b32_e32 v22, 2, v0
	ds_read_b32 v22, v22 offset:5968
	ds_read_b32 v21, v21 offset:5980
	s_waitcnt lgkmcnt(0)
	v_fmac_f32_e32 v20, v22, v21
.LBB111_770:
	s_or_b64 exec, exec, s[16:17]
.LBB111_771:
	s_or_b64 exec, exec, s[14:15]
	s_and_saveexec_b64 s[12:13], s[38:39]
; %bb.772:
	v_xor_b32_e32 v21, 0x80000000, v20
	ds_write_b32 v4, v21
; %bb.773:
	s_or_b64 exec, exec, s[12:13]
	s_waitcnt lgkmcnt(0)
	s_barrier
	s_and_saveexec_b64 s[12:13], s[36:37]
	s_cbranch_execz .LBB111_775
; %bb.774:
	v_mov_b32_e32 v21, 0
	ds_read_b32 v21, v21 offset:5456
	ds_read_b32 v22, v4
	s_waitcnt lgkmcnt(0)
	v_fma_f32 v20, -v21, v22, v20
.LBB111_775:
	s_or_b64 exec, exec, s[12:13]
	s_barrier
	s_and_saveexec_b64 s[12:13], s[36:37]
; %bb.776:
	v_xor_b32_e32 v21, 0x80000000, v20
	ds_write_b32 v4, v21
; %bb.777:
	s_or_b64 exec, exec, s[12:13]
	s_waitcnt lgkmcnt(0)
	s_barrier
	s_barrier
	s_and_saveexec_b64 s[12:13], s[2:3]
; %bb.778:
	v_lshlrev_b32_e32 v21, 2, v2
	v_lshl_or_b32 v21, v3, 8, v21
	ds_write_b32 v21, v20 offset:5712
; %bb.779:
	s_or_b64 exec, exec, s[12:13]
	s_waitcnt lgkmcnt(0)
	s_barrier
	s_barrier
	s_and_saveexec_b64 s[12:13], s[40:41]
	s_cbranch_execz .LBB111_781
; %bb.780:
	v_lshlrev_b32_e32 v20, 2, v0
	s_movk_i32 s14, 0xfc
	v_mad_u32_u24 v21, v0, s14, v20
	ds_read_b32 v22, v21 offset:5712
	s_waitcnt lgkmcnt(0)
	ds_write_b32 v20, v22 offset:5208
	ds_read_b32 v21, v21 offset:5716
	s_waitcnt lgkmcnt(0)
	ds_write_b32 v20, v21 offset:5464
.LBB111_781:
	s_or_b64 exec, exec, s[12:13]
	s_waitcnt lgkmcnt(0)
	s_barrier
	s_and_saveexec_b64 s[12:13], vcc
	s_cbranch_execz .LBB111_783
; %bb.782:
	v_mov_b32_e32 v22, 0
	ds_read_b32 v21, v22 offset:5456
	v_mov_b32_e32 v20, 1.0
	ds_write_b32 v22, v20 offset:5460
	s_waitcnt lgkmcnt(1)
	ds_write_b64 v22, v[20:21] offset:5200
.LBB111_783:
	s_or_b64 exec, exec, s[12:13]
	v_mov_b32_e32 v20, 0
	s_waitcnt lgkmcnt(0)
	s_barrier
	buffer_wbinvl1_vol
	s_and_saveexec_b64 s[14:15], s[18:19]
	s_cbranch_execz .LBB111_789
; %bb.784:
	v_lshlrev_b32_e32 v22, 2, v11
	v_lshlrev_b32_e32 v21, 8, v12
	ds_read_b32 v20, v22 offset:5184
	ds_read_b32 v23, v21 offset:5200
	v_cmp_gt_u32_e64 s[12:13], 12, v5
	s_waitcnt lgkmcnt(0)
	v_fma_f32 v20, v20, v23, 0
	s_and_saveexec_b64 s[16:17], s[12:13]
	s_cbranch_execnz .LBB111_1206
; %bb.785:
	s_or_b64 exec, exec, s[16:17]
	v_cmp_gt_u32_e64 s[12:13], 8, v5
	s_and_saveexec_b64 s[16:17], s[12:13]
	s_cbranch_execnz .LBB111_1207
.LBB111_786:
	s_or_b64 exec, exec, s[16:17]
	v_cmp_gt_u32_e64 s[12:13], 4, v5
	s_and_saveexec_b64 s[16:17], s[12:13]
	s_cbranch_execz .LBB111_788
.LBB111_787:
	v_lshlrev_b32_e32 v21, 2, v0
	v_mov_b32_e32 v22, 0
	ds_read_b32 v21, v21 offset:5952
	ds_read_b32 v22, v22 offset:5980
	s_waitcnt lgkmcnt(0)
	v_fmac_f32_e32 v20, v21, v22
.LBB111_788:
	s_or_b64 exec, exec, s[16:17]
.LBB111_789:
	s_or_b64 exec, exec, s[14:15]
	s_and_saveexec_b64 s[12:13], s[44:45]
; %bb.790:
	v_xor_b32_e32 v21, 0x80000000, v20
	ds_write_b32 v13, v21
; %bb.791:
	s_or_b64 exec, exec, s[12:13]
	s_waitcnt lgkmcnt(0)
	s_barrier
	s_and_saveexec_b64 s[12:13], s[46:47]
	s_cbranch_execz .LBB111_793
; %bb.792:
	v_lshlrev_b32_e32 v21, 2, v11
	ds_read_b32 v21, v21 offset:4928
	ds_read_b32 v22, v13
	s_waitcnt lgkmcnt(0)
	v_fma_f32 v20, -v21, v22, v20
.LBB111_793:
	s_or_b64 exec, exec, s[12:13]
	s_barrier
	s_and_saveexec_b64 s[12:13], s[48:49]
; %bb.794:
	v_xor_b32_e32 v21, 0x80000000, v20
	ds_write_b32 v13, v21
; %bb.795:
	s_or_b64 exec, exec, s[12:13]
	s_waitcnt lgkmcnt(0)
	s_barrier
	s_and_saveexec_b64 s[12:13], s[50:51]
	s_cbranch_execz .LBB111_797
; %bb.796:
	v_lshlrev_b32_e32 v21, 2, v11
	ds_read_b32 v21, v21 offset:4672
	ds_read_b32 v22, v13
	s_waitcnt lgkmcnt(0)
	v_fma_f32 v20, -v21, v22, v20
.LBB111_797:
	s_or_b64 exec, exec, s[12:13]
	s_barrier
	s_and_saveexec_b64 s[12:13], s[52:53]
; %bb.798:
	v_xor_b32_e32 v21, 0x80000000, v20
	ds_write_b32 v13, v21
; %bb.799:
	s_or_b64 exec, exec, s[12:13]
	s_waitcnt lgkmcnt(0)
	s_barrier
	s_and_saveexec_b64 s[12:13], s[42:43]
	s_cbranch_execz .LBB111_801
; %bb.800:
	v_mov_b32_e32 v21, 0
	ds_read_b32 v21, v21 offset:4416
	ds_read_b32 v22, v13
	s_waitcnt lgkmcnt(0)
	v_fma_f32 v20, -v21, v22, v20
.LBB111_801:
	s_or_b64 exec, exec, s[12:13]
	s_barrier
	s_and_saveexec_b64 s[12:13], s[42:43]
; %bb.802:
	v_xor_b32_e32 v21, 0x80000000, v20
	ds_write_b32 v13, v21
; %bb.803:
	s_or_b64 exec, exec, s[12:13]
	s_waitcnt lgkmcnt(0)
	s_barrier
	s_barrier
	s_and_saveexec_b64 s[12:13], s[18:19]
; %bb.804:
	v_lshlrev_b32_e32 v21, 2, v11
	v_lshl_or_b32 v21, v12, 8, v21
	ds_write_b32 v21, v20 offset:5184
; %bb.805:
	s_or_b64 exec, exec, s[12:13]
	s_waitcnt lgkmcnt(0)
	s_barrier
	s_barrier
	s_and_saveexec_b64 s[12:13], s[54:55]
	s_cbranch_execz .LBB111_807
; %bb.806:
	v_lshlrev_b32_e32 v20, 8, v0
	ds_read_b32 v21, v20 offset:5184
	s_movk_i32 s14, 0xff04
	v_mad_i32_i24 v22, v0, s14, v20
	s_waitcnt lgkmcnt(0)
	ds_write_b32 v22, v21 offset:4176
	ds_read_b32 v21, v20 offset:5188
	s_waitcnt lgkmcnt(0)
	ds_write_b32 v22, v21 offset:4432
	ds_read_b32 v21, v20 offset:5192
	;; [unrolled: 3-line block ×3, first 2 shown]
	s_waitcnt lgkmcnt(0)
	ds_write_b32 v22, v20 offset:4944
.LBB111_807:
	s_or_b64 exec, exec, s[12:13]
	s_waitcnt lgkmcnt(0)
	s_barrier
	s_and_saveexec_b64 s[12:13], vcc
	s_cbranch_execz .LBB111_809
; %bb.808:
	v_mov_b32_e32 v22, 0
	ds_read_b32 v21, v22 offset:4936
	v_mov_b32_e32 v20, 1.0
	ds_write_b32 v22, v20 offset:4940
	s_waitcnt lgkmcnt(1)
	ds_write_b64 v22, v[20:21] offset:4680
.LBB111_809:
	s_or_b64 exec, exec, s[12:13]
	v_mov_b32_e32 v20, 0
	s_waitcnt lgkmcnt(0)
	s_barrier
	buffer_wbinvl1_vol
	s_and_saveexec_b64 s[14:15], s[2:3]
	s_cbranch_execz .LBB111_813
; %bb.810:
	v_lshlrev_b32_e32 v20, 8, v3
	v_lshlrev_b32_e32 v21, 2, v2
	ds_read_b32 v22, v21 offset:4672
	ds_read_b32 v20, v20 offset:4680
	v_mov_b32_e32 v21, 0
	v_cmp_gt_u32_e64 s[12:13], 2, v5
	s_waitcnt lgkmcnt(0)
	v_fma_f32 v20, v22, v20, 0
	s_and_saveexec_b64 s[16:17], s[12:13]
	s_cbranch_execz .LBB111_812
; %bb.811:
	v_lshlrev_b32_e32 v22, 2, v0
	ds_read_b32 v22, v22 offset:4928
	ds_read_b32 v21, v21 offset:4940
	s_waitcnt lgkmcnt(0)
	v_fmac_f32_e32 v20, v22, v21
.LBB111_812:
	s_or_b64 exec, exec, s[16:17]
.LBB111_813:
	s_or_b64 exec, exec, s[14:15]
	s_and_saveexec_b64 s[12:13], s[38:39]
; %bb.814:
	v_xor_b32_e32 v21, 0x80000000, v20
	ds_write_b32 v4, v21
; %bb.815:
	s_or_b64 exec, exec, s[12:13]
	s_waitcnt lgkmcnt(0)
	s_barrier
	s_and_saveexec_b64 s[12:13], s[36:37]
	s_cbranch_execz .LBB111_817
; %bb.816:
	v_mov_b32_e32 v21, 0
	ds_read_b32 v21, v21 offset:4416
	ds_read_b32 v22, v4
	s_waitcnt lgkmcnt(0)
	v_fma_f32 v20, -v21, v22, v20
.LBB111_817:
	s_or_b64 exec, exec, s[12:13]
	s_barrier
	s_and_saveexec_b64 s[12:13], s[36:37]
; %bb.818:
	v_xor_b32_e32 v21, 0x80000000, v20
	ds_write_b32 v4, v21
; %bb.819:
	s_or_b64 exec, exec, s[12:13]
	s_waitcnt lgkmcnt(0)
	s_barrier
	s_barrier
	s_and_saveexec_b64 s[12:13], s[2:3]
; %bb.820:
	v_lshlrev_b32_e32 v21, 2, v2
	v_lshl_or_b32 v21, v3, 8, v21
	ds_write_b32 v21, v20 offset:4672
; %bb.821:
	s_or_b64 exec, exec, s[12:13]
	s_waitcnt lgkmcnt(0)
	s_barrier
	s_barrier
	s_and_saveexec_b64 s[12:13], s[40:41]
	s_cbranch_execz .LBB111_823
; %bb.822:
	v_lshlrev_b32_e32 v20, 2, v0
	s_movk_i32 s14, 0xfc
	v_mad_u32_u24 v21, v0, s14, v20
	ds_read_b32 v22, v21 offset:4672
	s_waitcnt lgkmcnt(0)
	ds_write_b32 v20, v22 offset:4168
	ds_read_b32 v21, v21 offset:4676
	s_waitcnt lgkmcnt(0)
	ds_write_b32 v20, v21 offset:4424
.LBB111_823:
	s_or_b64 exec, exec, s[12:13]
	s_waitcnt lgkmcnt(0)
	s_barrier
	s_and_saveexec_b64 s[12:13], vcc
	s_cbranch_execz .LBB111_825
; %bb.824:
	v_mov_b32_e32 v22, 0
	ds_read_b32 v21, v22 offset:4416
	v_mov_b32_e32 v20, 1.0
	ds_write_b32 v22, v20 offset:4420
	s_waitcnt lgkmcnt(1)
	ds_write_b64 v22, v[20:21] offset:4160
.LBB111_825:
	s_or_b64 exec, exec, s[12:13]
	v_mov_b32_e32 v20, 0
	s_waitcnt lgkmcnt(0)
	s_barrier
	buffer_wbinvl1_vol
	s_and_saveexec_b64 s[14:15], s[10:11]
	s_cbranch_execz .LBB111_853
; %bb.826:
	v_lshlrev_b32_e32 v22, 2, v17
	v_lshlrev_b32_e32 v21, 8, v18
	ds_read_b32 v20, v22 offset:4096
	ds_read_b32 v23, v21 offset:4160
	s_movk_i32 s12, 0xf0
	v_cmp_gt_u32_e64 s[12:13], s12, v5
	s_waitcnt lgkmcnt(0)
	v_fma_f32 v20, v20, v23, 0
	s_and_saveexec_b64 s[16:17], s[12:13]
	s_cbranch_execz .LBB111_828
; %bb.827:
	ds_read_b32 v23, v22 offset:4352
	ds_read_b32 v24, v21 offset:4164
	s_waitcnt lgkmcnt(0)
	v_fmac_f32_e32 v20, v23, v24
.LBB111_828:
	s_or_b64 exec, exec, s[16:17]
	s_movk_i32 s12, 0xe0
	v_cmp_gt_u32_e64 s[12:13], s12, v5
	s_and_saveexec_b64 s[16:17], s[12:13]
	s_cbranch_execz .LBB111_830
; %bb.829:
	ds_read_b32 v23, v22 offset:4608
	ds_read_b32 v24, v21 offset:4168
	s_waitcnt lgkmcnt(0)
	v_fmac_f32_e32 v20, v23, v24
.LBB111_830:
	s_or_b64 exec, exec, s[16:17]
	s_movk_i32 s12, 0xd0
	v_cmp_gt_u32_e64 s[12:13], s12, v5
	;; [unrolled: 11-line block ×10, first 2 shown]
	s_and_saveexec_b64 s[16:17], s[12:13]
	s_cbranch_execnz .LBB111_1208
; %bb.847:
	s_or_b64 exec, exec, s[16:17]
	s_and_saveexec_b64 s[12:13], s[8:9]
	s_cbranch_execnz .LBB111_1209
.LBB111_848:
	s_or_b64 exec, exec, s[12:13]
	v_cmp_gt_u32_e64 s[12:13], 48, v5
	s_and_saveexec_b64 s[16:17], s[12:13]
	s_cbranch_execnz .LBB111_1210
.LBB111_849:
	s_or_b64 exec, exec, s[16:17]
	v_cmp_gt_u32_e64 s[12:13], 32, v5
	s_and_saveexec_b64 s[16:17], s[12:13]
	s_cbranch_execnz .LBB111_1211
.LBB111_850:
	s_or_b64 exec, exec, s[16:17]
	v_cmp_gt_u32_e64 s[12:13], 16, v5
	s_and_saveexec_b64 s[16:17], s[12:13]
	s_cbranch_execz .LBB111_852
.LBB111_851:
	v_lshlrev_b32_e32 v21, 2, v0
	v_mov_b32_e32 v22, 0
	ds_read_b32 v21, v21 offset:7936
	ds_read_b32 v22, v22 offset:8060
	s_waitcnt lgkmcnt(0)
	v_fmac_f32_e32 v20, v21, v22
.LBB111_852:
	s_or_b64 exec, exec, s[16:17]
.LBB111_853:
	s_or_b64 exec, exec, s[14:15]
	s_mov_b64 s[12:13], exec
	v_readlane_b32 s14, v28, 2
	v_readlane_b32 s15, v28, 3
	s_and_b64 s[14:15], s[12:13], s[14:15]
	s_mov_b64 exec, s[14:15]
; %bb.854:
	v_xor_b32_e32 v21, 0x80000000, v20
	ds_write_b32 v19, v21
; %bb.855:
	s_or_b64 exec, exec, s[12:13]
	s_waitcnt lgkmcnt(0)
	s_barrier
	s_mov_b64 s[12:13], exec
	v_readlane_b32 s14, v28, 4
	v_readlane_b32 s15, v28, 5
	s_and_b64 s[14:15], s[12:13], s[14:15]
	s_mov_b64 exec, s[14:15]
	s_cbranch_execz .LBB111_857
; %bb.856:
	v_lshlrev_b32_e32 v21, 2, v17
	ds_read_b32 v21, v21 offset:3840
	ds_read_b32 v22, v19
	s_waitcnt lgkmcnt(0)
	v_fma_f32 v20, -v21, v22, v20
.LBB111_857:
	s_or_b64 exec, exec, s[12:13]
	s_barrier
	s_mov_b64 s[12:13], exec
	v_readlane_b32 s14, v28, 6
	v_readlane_b32 s15, v28, 7
	s_and_b64 s[14:15], s[12:13], s[14:15]
	s_mov_b64 exec, s[14:15]
; %bb.858:
	v_xor_b32_e32 v21, 0x80000000, v20
	ds_write_b32 v19, v21
; %bb.859:
	s_or_b64 exec, exec, s[12:13]
	s_waitcnt lgkmcnt(0)
	s_barrier
	s_mov_b64 s[12:13], exec
	v_readlane_b32 s14, v28, 8
	v_readlane_b32 s15, v28, 9
	s_and_b64 s[14:15], s[12:13], s[14:15]
	s_mov_b64 exec, s[14:15]
	s_cbranch_execz .LBB111_861
; %bb.860:
	v_lshlrev_b32_e32 v21, 2, v17
	ds_read_b32 v21, v21 offset:3584
	ds_read_b32 v22, v19
	s_waitcnt lgkmcnt(0)
	v_fma_f32 v20, -v21, v22, v20
.LBB111_861:
	s_or_b64 exec, exec, s[12:13]
	s_barrier
	;; [unrolled: 27-line block ×13, first 2 shown]
	s_and_saveexec_b64 s[12:13], s[0:1]
; %bb.906:
	v_xor_b32_e32 v21, 0x80000000, v20
	ds_write_b32 v19, v21
; %bb.907:
	s_or_b64 exec, exec, s[12:13]
	s_waitcnt lgkmcnt(0)
	s_barrier
	s_mov_b64 s[0:1], exec
	v_readlane_b32 s12, v28, 54
	v_readlane_b32 s13, v28, 55
	s_and_b64 s[12:13], s[0:1], s[12:13]
	s_mov_b64 exec, s[12:13]
	s_cbranch_execz .LBB111_909
; %bb.908:
	v_lshlrev_b32_e32 v21, 2, v17
	ds_read_b32 v21, v21 offset:512
	ds_read_b32 v22, v19
	s_waitcnt lgkmcnt(0)
	v_fma_f32 v20, -v21, v22, v20
.LBB111_909:
	s_or_b64 exec, exec, s[0:1]
	s_barrier
	s_and_saveexec_b64 s[0:1], s[90:91]
; %bb.910:
	v_xor_b32_e32 v21, 0x80000000, v20
	ds_write_b32 v19, v21
; %bb.911:
	s_or_b64 exec, exec, s[0:1]
	s_waitcnt lgkmcnt(0)
	s_barrier
	s_and_saveexec_b64 s[0:1], s[86:87]
	s_cbranch_execz .LBB111_913
; %bb.912:
	v_mov_b32_e32 v21, 0
	ds_read_b32 v21, v21 offset:256
	ds_read_b32 v22, v19
	s_waitcnt lgkmcnt(0)
	v_fma_f32 v20, -v21, v22, v20
.LBB111_913:
	s_or_b64 exec, exec, s[0:1]
	s_barrier
	s_and_saveexec_b64 s[0:1], s[86:87]
; %bb.914:
	v_xor_b32_e32 v21, 0x80000000, v20
	ds_write_b32 v19, v21
; %bb.915:
	s_or_b64 exec, exec, s[0:1]
	s_waitcnt lgkmcnt(0)
	s_barrier
	s_barrier
	s_and_saveexec_b64 s[0:1], s[10:11]
; %bb.916:
	v_lshlrev_b32_e32 v17, 2, v17
	v_lshl_or_b32 v17, v18, 8, v17
	ds_write_b32 v17, v20 offset:4096
; %bb.917:
	s_or_b64 exec, exec, s[0:1]
	s_waitcnt lgkmcnt(0)
	s_barrier
	s_barrier
	s_and_saveexec_b64 s[0:1], s[92:93]
	s_cbranch_execz .LBB111_919
; %bb.918:
	v_lshlrev_b32_e32 v17, 8, v0
	ds_read_b32 v18, v17 offset:4096
	s_movk_i32 s10, 0xff04
	v_mad_i32_i24 v19, v0, s10, v17
	s_waitcnt lgkmcnt(0)
	ds_write_b32 v19, v18 offset:64
	ds_read_b32 v18, v17 offset:4100
	s_waitcnt lgkmcnt(0)
	ds_write_b32 v19, v18 offset:320
	ds_read_b32 v18, v17 offset:4104
	s_waitcnt lgkmcnt(0)
	ds_write_b32 v19, v18 offset:576
	ds_read_b32 v18, v17 offset:4108
	s_waitcnt lgkmcnt(0)
	ds_write_b32 v19, v18 offset:832
	ds_read_b32 v18, v17 offset:4112
	s_waitcnt lgkmcnt(0)
	ds_write_b32 v19, v18 offset:1088
	ds_read_b32 v18, v17 offset:4116
	s_waitcnt lgkmcnt(0)
	ds_write_b32 v19, v18 offset:1344
	ds_read_b32 v18, v17 offset:4120
	s_waitcnt lgkmcnt(0)
	ds_write_b32 v19, v18 offset:1600
	ds_read_b32 v18, v17 offset:4124
	s_waitcnt lgkmcnt(0)
	ds_write_b32 v19, v18 offset:1856
	ds_read_b32 v18, v17 offset:4128
	s_waitcnt lgkmcnt(0)
	ds_write_b32 v19, v18 offset:2112
	ds_read_b32 v18, v17 offset:4132
	s_waitcnt lgkmcnt(0)
	ds_write_b32 v19, v18 offset:2368
	ds_read_b32 v18, v17 offset:4136
	s_waitcnt lgkmcnt(0)
	ds_write_b32 v19, v18 offset:2624
	ds_read_b32 v18, v17 offset:4140
	s_waitcnt lgkmcnt(0)
	ds_write_b32 v19, v18 offset:2880
	ds_read_b32 v18, v17 offset:4144
	s_waitcnt lgkmcnt(0)
	ds_write_b32 v19, v18 offset:3136
	ds_read_b32 v18, v17 offset:4148
	s_waitcnt lgkmcnt(0)
	ds_write_b32 v19, v18 offset:3392
	ds_read_b32 v18, v17 offset:4152
	s_waitcnt lgkmcnt(0)
	ds_write_b32 v19, v18 offset:3648
	ds_read_b32 v17, v17 offset:4156
	s_waitcnt lgkmcnt(0)
	ds_write_b32 v19, v17 offset:3904
.LBB111_919:
	s_or_b64 exec, exec, s[0:1]
	s_waitcnt lgkmcnt(0)
	s_barrier
	s_and_saveexec_b64 s[0:1], vcc
	s_cbranch_execz .LBB111_921
; %bb.920:
	v_mov_b32_e32 v19, 0
	ds_read_b32 v18, v19 offset:3896
	v_mov_b32_e32 v17, 1.0
	ds_write_b32 v19, v17 offset:3900
	s_waitcnt lgkmcnt(1)
	ds_write_b64 v19, v[17:18] offset:3640
.LBB111_921:
	s_or_b64 exec, exec, s[0:1]
	v_mov_b32_e32 v17, 0
	s_waitcnt lgkmcnt(0)
	s_barrier
	buffer_wbinvl1_vol
	s_and_saveexec_b64 s[0:1], s[2:3]
	s_cbranch_execz .LBB111_925
; %bb.922:
	v_lshlrev_b32_e32 v17, 8, v3
	v_lshlrev_b32_e32 v18, 2, v2
	ds_read_b32 v19, v18 offset:3632
	ds_read_b32 v17, v17 offset:3640
	v_mov_b32_e32 v18, 0
	v_cmp_gt_u32_e64 s[10:11], 2, v5
	s_waitcnt lgkmcnt(0)
	v_fma_f32 v17, v19, v17, 0
	s_and_saveexec_b64 s[12:13], s[10:11]
	s_cbranch_execz .LBB111_924
; %bb.923:
	v_lshlrev_b32_e32 v19, 2, v0
	ds_read_b32 v19, v19 offset:3888
	ds_read_b32 v18, v18 offset:3900
	s_waitcnt lgkmcnt(0)
	v_fmac_f32_e32 v17, v19, v18
.LBB111_924:
	s_or_b64 exec, exec, s[12:13]
.LBB111_925:
	s_or_b64 exec, exec, s[0:1]
	s_and_saveexec_b64 s[0:1], s[38:39]
; %bb.926:
	v_xor_b32_e32 v18, 0x80000000, v17
	ds_write_b32 v4, v18
; %bb.927:
	s_or_b64 exec, exec, s[0:1]
	s_waitcnt lgkmcnt(0)
	s_barrier
	s_and_saveexec_b64 s[0:1], s[36:37]
	s_cbranch_execz .LBB111_929
; %bb.928:
	v_mov_b32_e32 v18, 0
	ds_read_b32 v18, v18 offset:3376
	ds_read_b32 v19, v4
	s_waitcnt lgkmcnt(0)
	v_fma_f32 v17, -v18, v19, v17
.LBB111_929:
	s_or_b64 exec, exec, s[0:1]
	s_barrier
	s_and_saveexec_b64 s[0:1], s[36:37]
; %bb.930:
	v_xor_b32_e32 v18, 0x80000000, v17
	ds_write_b32 v4, v18
; %bb.931:
	s_or_b64 exec, exec, s[0:1]
	s_waitcnt lgkmcnt(0)
	s_barrier
	s_barrier
	s_and_saveexec_b64 s[0:1], s[2:3]
; %bb.932:
	v_lshlrev_b32_e32 v18, 2, v2
	v_lshl_or_b32 v18, v3, 8, v18
	ds_write_b32 v18, v17 offset:3632
; %bb.933:
	s_or_b64 exec, exec, s[0:1]
	s_waitcnt lgkmcnt(0)
	s_barrier
	s_barrier
	s_and_saveexec_b64 s[0:1], s[40:41]
	s_cbranch_execz .LBB111_935
; %bb.934:
	v_lshlrev_b32_e32 v17, 2, v0
	s_movk_i32 s10, 0xfc
	v_mad_u32_u24 v18, v0, s10, v17
	ds_read_b32 v19, v18 offset:3632
	s_waitcnt lgkmcnt(0)
	ds_write_b32 v17, v19 offset:3128
	ds_read_b32 v18, v18 offset:3636
	s_waitcnt lgkmcnt(0)
	ds_write_b32 v17, v18 offset:3384
.LBB111_935:
	s_or_b64 exec, exec, s[0:1]
	s_waitcnt lgkmcnt(0)
	s_barrier
	s_and_saveexec_b64 s[0:1], vcc
	s_cbranch_execz .LBB111_937
; %bb.936:
	v_mov_b32_e32 v19, 0
	ds_read_b32 v18, v19 offset:3376
	v_mov_b32_e32 v17, 1.0
	ds_write_b32 v19, v17 offset:3380
	s_waitcnt lgkmcnt(1)
	ds_write_b64 v19, v[17:18] offset:3120
.LBB111_937:
	s_or_b64 exec, exec, s[0:1]
	v_mov_b32_e32 v17, 0
	s_waitcnt lgkmcnt(0)
	s_barrier
	buffer_wbinvl1_vol
	s_and_saveexec_b64 s[0:1], s[18:19]
	s_cbranch_execz .LBB111_943
; %bb.938:
	v_lshlrev_b32_e32 v19, 2, v11
	v_lshlrev_b32_e32 v18, 8, v12
	ds_read_b32 v17, v19 offset:3104
	ds_read_b32 v20, v18 offset:3120
	v_cmp_gt_u32_e64 s[10:11], 12, v5
	s_waitcnt lgkmcnt(0)
	v_fma_f32 v17, v17, v20, 0
	s_and_saveexec_b64 s[12:13], s[10:11]
	s_cbranch_execnz .LBB111_1212
; %bb.939:
	s_or_b64 exec, exec, s[12:13]
	v_cmp_gt_u32_e64 s[10:11], 8, v5
	s_and_saveexec_b64 s[12:13], s[10:11]
	s_cbranch_execnz .LBB111_1213
.LBB111_940:
	s_or_b64 exec, exec, s[12:13]
	v_cmp_gt_u32_e64 s[10:11], 4, v5
	s_and_saveexec_b64 s[12:13], s[10:11]
	s_cbranch_execz .LBB111_942
.LBB111_941:
	v_lshlrev_b32_e32 v18, 2, v0
	v_mov_b32_e32 v19, 0
	ds_read_b32 v18, v18 offset:3872
	ds_read_b32 v19, v19 offset:3900
	s_waitcnt lgkmcnt(0)
	v_fmac_f32_e32 v17, v18, v19
.LBB111_942:
	s_or_b64 exec, exec, s[12:13]
.LBB111_943:
	s_or_b64 exec, exec, s[0:1]
	s_and_saveexec_b64 s[0:1], s[44:45]
; %bb.944:
	v_xor_b32_e32 v18, 0x80000000, v17
	ds_write_b32 v13, v18
; %bb.945:
	s_or_b64 exec, exec, s[0:1]
	s_waitcnt lgkmcnt(0)
	s_barrier
	s_and_saveexec_b64 s[0:1], s[46:47]
	s_cbranch_execz .LBB111_947
; %bb.946:
	v_lshlrev_b32_e32 v18, 2, v11
	ds_read_b32 v18, v18 offset:2848
	ds_read_b32 v19, v13
	s_waitcnt lgkmcnt(0)
	v_fma_f32 v17, -v18, v19, v17
.LBB111_947:
	s_or_b64 exec, exec, s[0:1]
	s_barrier
	s_and_saveexec_b64 s[0:1], s[48:49]
; %bb.948:
	v_xor_b32_e32 v18, 0x80000000, v17
	ds_write_b32 v13, v18
; %bb.949:
	s_or_b64 exec, exec, s[0:1]
	s_waitcnt lgkmcnt(0)
	s_barrier
	s_and_saveexec_b64 s[0:1], s[50:51]
	s_cbranch_execz .LBB111_951
; %bb.950:
	v_lshlrev_b32_e32 v18, 2, v11
	ds_read_b32 v18, v18 offset:2592
	ds_read_b32 v19, v13
	s_waitcnt lgkmcnt(0)
	v_fma_f32 v17, -v18, v19, v17
.LBB111_951:
	s_or_b64 exec, exec, s[0:1]
	s_barrier
	s_and_saveexec_b64 s[0:1], s[52:53]
; %bb.952:
	v_xor_b32_e32 v18, 0x80000000, v17
	ds_write_b32 v13, v18
; %bb.953:
	s_or_b64 exec, exec, s[0:1]
	s_waitcnt lgkmcnt(0)
	s_barrier
	s_and_saveexec_b64 s[0:1], s[42:43]
	s_cbranch_execz .LBB111_955
; %bb.954:
	v_mov_b32_e32 v18, 0
	ds_read_b32 v18, v18 offset:2336
	ds_read_b32 v19, v13
	s_waitcnt lgkmcnt(0)
	v_fma_f32 v17, -v18, v19, v17
.LBB111_955:
	s_or_b64 exec, exec, s[0:1]
	s_barrier
	s_and_saveexec_b64 s[0:1], s[42:43]
; %bb.956:
	v_xor_b32_e32 v18, 0x80000000, v17
	ds_write_b32 v13, v18
; %bb.957:
	s_or_b64 exec, exec, s[0:1]
	s_waitcnt lgkmcnt(0)
	s_barrier
	s_barrier
	s_and_saveexec_b64 s[0:1], s[18:19]
; %bb.958:
	v_lshlrev_b32_e32 v18, 2, v11
	v_lshl_or_b32 v18, v12, 8, v18
	ds_write_b32 v18, v17 offset:3104
; %bb.959:
	s_or_b64 exec, exec, s[0:1]
	s_waitcnt lgkmcnt(0)
	s_barrier
	s_barrier
	s_and_saveexec_b64 s[0:1], s[54:55]
	s_cbranch_execz .LBB111_961
; %bb.960:
	v_lshlrev_b32_e32 v17, 8, v0
	ds_read_b32 v18, v17 offset:3104
	s_movk_i32 s10, 0xff04
	v_mad_i32_i24 v19, v0, s10, v17
	s_waitcnt lgkmcnt(0)
	ds_write_b32 v19, v18 offset:2096
	ds_read_b32 v18, v17 offset:3108
	s_waitcnt lgkmcnt(0)
	ds_write_b32 v19, v18 offset:2352
	ds_read_b32 v18, v17 offset:3112
	;; [unrolled: 3-line block ×3, first 2 shown]
	s_waitcnt lgkmcnt(0)
	ds_write_b32 v19, v17 offset:2864
.LBB111_961:
	s_or_b64 exec, exec, s[0:1]
	s_waitcnt lgkmcnt(0)
	s_barrier
	s_and_saveexec_b64 s[0:1], vcc
	s_cbranch_execz .LBB111_963
; %bb.962:
	v_mov_b32_e32 v19, 0
	ds_read_b32 v18, v19 offset:2856
	v_mov_b32_e32 v17, 1.0
	ds_write_b32 v19, v17 offset:2860
	s_waitcnt lgkmcnt(1)
	ds_write_b64 v19, v[17:18] offset:2600
.LBB111_963:
	s_or_b64 exec, exec, s[0:1]
	v_mov_b32_e32 v17, 0
	s_waitcnt lgkmcnt(0)
	s_barrier
	buffer_wbinvl1_vol
	s_and_saveexec_b64 s[0:1], s[2:3]
	s_cbranch_execz .LBB111_967
; %bb.964:
	v_lshlrev_b32_e32 v17, 8, v3
	v_lshlrev_b32_e32 v18, 2, v2
	ds_read_b32 v19, v18 offset:2592
	ds_read_b32 v17, v17 offset:2600
	v_mov_b32_e32 v18, 0
	v_cmp_gt_u32_e64 s[10:11], 2, v5
	s_waitcnt lgkmcnt(0)
	v_fma_f32 v17, v19, v17, 0
	s_and_saveexec_b64 s[12:13], s[10:11]
	s_cbranch_execz .LBB111_966
; %bb.965:
	v_lshlrev_b32_e32 v19, 2, v0
	ds_read_b32 v19, v19 offset:2848
	ds_read_b32 v18, v18 offset:2860
	s_waitcnt lgkmcnt(0)
	v_fmac_f32_e32 v17, v19, v18
.LBB111_966:
	s_or_b64 exec, exec, s[12:13]
.LBB111_967:
	s_or_b64 exec, exec, s[0:1]
	s_and_saveexec_b64 s[0:1], s[38:39]
; %bb.968:
	v_xor_b32_e32 v18, 0x80000000, v17
	ds_write_b32 v4, v18
; %bb.969:
	s_or_b64 exec, exec, s[0:1]
	s_waitcnt lgkmcnt(0)
	s_barrier
	s_and_saveexec_b64 s[0:1], s[36:37]
	s_cbranch_execz .LBB111_971
; %bb.970:
	v_mov_b32_e32 v18, 0
	ds_read_b32 v18, v18 offset:2336
	ds_read_b32 v19, v4
	s_waitcnt lgkmcnt(0)
	v_fma_f32 v17, -v18, v19, v17
.LBB111_971:
	s_or_b64 exec, exec, s[0:1]
	s_barrier
	s_and_saveexec_b64 s[0:1], s[36:37]
; %bb.972:
	v_xor_b32_e32 v18, 0x80000000, v17
	ds_write_b32 v4, v18
; %bb.973:
	s_or_b64 exec, exec, s[0:1]
	s_waitcnt lgkmcnt(0)
	s_barrier
	s_barrier
	s_and_saveexec_b64 s[0:1], s[2:3]
; %bb.974:
	v_lshlrev_b32_e32 v18, 2, v2
	v_lshl_or_b32 v18, v3, 8, v18
	ds_write_b32 v18, v17 offset:2592
; %bb.975:
	s_or_b64 exec, exec, s[0:1]
	s_waitcnt lgkmcnt(0)
	s_barrier
	s_barrier
	s_and_saveexec_b64 s[0:1], s[40:41]
	s_cbranch_execz .LBB111_977
; %bb.976:
	v_lshlrev_b32_e32 v17, 2, v0
	s_movk_i32 s10, 0xfc
	v_mad_u32_u24 v18, v0, s10, v17
	ds_read_b32 v19, v18 offset:2592
	s_waitcnt lgkmcnt(0)
	ds_write_b32 v17, v19 offset:2088
	ds_read_b32 v18, v18 offset:2596
	s_waitcnt lgkmcnt(0)
	ds_write_b32 v17, v18 offset:2344
.LBB111_977:
	s_or_b64 exec, exec, s[0:1]
	s_waitcnt lgkmcnt(0)
	s_barrier
	s_and_saveexec_b64 s[0:1], vcc
	s_cbranch_execz .LBB111_979
; %bb.978:
	v_mov_b32_e32 v19, 0
	ds_read_b32 v18, v19 offset:2336
	v_mov_b32_e32 v17, 1.0
	ds_write_b32 v19, v17 offset:2340
	s_waitcnt lgkmcnt(1)
	ds_write_b64 v19, v[17:18] offset:2080
.LBB111_979:
	s_or_b64 exec, exec, s[0:1]
	v_mov_b32_e32 v17, 0
	s_waitcnt lgkmcnt(0)
	s_barrier
	buffer_wbinvl1_vol
	s_and_saveexec_b64 s[0:1], s[8:9]
	s_cbranch_execz .LBB111_989
; %bb.980:
	v_lshlrev_b32_e32 v19, 2, v14
	v_lshlrev_b32_e32 v18, 8, v15
	ds_read_b32 v17, v19 offset:2048
	ds_read_b32 v20, v18 offset:2080
	v_cmp_gt_u32_e64 s[10:11], 56, v5
	s_waitcnt lgkmcnt(0)
	v_fma_f32 v17, v17, v20, 0
	s_and_saveexec_b64 s[12:13], s[10:11]
	s_cbranch_execnz .LBB111_1214
; %bb.981:
	s_or_b64 exec, exec, s[12:13]
	v_cmp_gt_u32_e64 s[10:11], 48, v5
	s_and_saveexec_b64 s[12:13], s[10:11]
	s_cbranch_execnz .LBB111_1215
.LBB111_982:
	s_or_b64 exec, exec, s[12:13]
	v_cmp_gt_u32_e64 s[10:11], 40, v5
	s_and_saveexec_b64 s[12:13], s[10:11]
	s_cbranch_execnz .LBB111_1216
.LBB111_983:
	s_or_b64 exec, exec, s[12:13]
	v_cmp_gt_u32_e64 s[10:11], 32, v5
	s_and_saveexec_b64 s[12:13], s[10:11]
	s_cbranch_execnz .LBB111_1217
.LBB111_984:
	s_or_b64 exec, exec, s[12:13]
	v_cmp_gt_u32_e64 s[10:11], 24, v5
	s_and_saveexec_b64 s[12:13], s[10:11]
	s_cbranch_execnz .LBB111_1218
.LBB111_985:
	s_or_b64 exec, exec, s[12:13]
	s_and_saveexec_b64 s[10:11], s[18:19]
	s_cbranch_execnz .LBB111_1219
.LBB111_986:
	s_or_b64 exec, exec, s[10:11]
	v_cmp_gt_u32_e64 s[10:11], 8, v5
	s_and_saveexec_b64 s[12:13], s[10:11]
	s_cbranch_execz .LBB111_988
.LBB111_987:
	v_lshlrev_b32_e32 v18, 2, v0
	v_mov_b32_e32 v19, 0
	ds_read_b32 v18, v18 offset:3840
	ds_read_b32 v19, v19 offset:3900
	s_waitcnt lgkmcnt(0)
	v_fmac_f32_e32 v17, v18, v19
.LBB111_988:
	s_or_b64 exec, exec, s[12:13]
.LBB111_989:
	s_or_b64 exec, exec, s[0:1]
	s_and_saveexec_b64 s[0:1], s[56:57]
; %bb.990:
	v_xor_b32_e32 v18, 0x80000000, v17
	ds_write_b32 v16, v18
; %bb.991:
	s_or_b64 exec, exec, s[0:1]
	s_waitcnt lgkmcnt(0)
	s_barrier
	s_and_saveexec_b64 s[0:1], s[58:59]
	s_cbranch_execz .LBB111_993
; %bb.992:
	v_lshlrev_b32_e32 v18, 2, v14
	ds_read_b32 v18, v18 offset:1792
	ds_read_b32 v19, v16
	s_waitcnt lgkmcnt(0)
	v_fma_f32 v17, -v18, v19, v17
.LBB111_993:
	s_or_b64 exec, exec, s[0:1]
	s_barrier
	s_and_saveexec_b64 s[0:1], s[60:61]
; %bb.994:
	v_xor_b32_e32 v18, 0x80000000, v17
	ds_write_b32 v16, v18
; %bb.995:
	s_or_b64 exec, exec, s[0:1]
	s_waitcnt lgkmcnt(0)
	s_barrier
	s_and_saveexec_b64 s[0:1], s[62:63]
	s_cbranch_execz .LBB111_997
; %bb.996:
	v_lshlrev_b32_e32 v18, 2, v14
	ds_read_b32 v18, v18 offset:1536
	ds_read_b32 v19, v16
	s_waitcnt lgkmcnt(0)
	v_fma_f32 v17, -v18, v19, v17
.LBB111_997:
	s_or_b64 exec, exec, s[0:1]
	s_barrier
	;; [unrolled: 19-line block ×6, first 2 shown]
	s_and_saveexec_b64 s[0:1], s[82:83]
; %bb.1014:
	v_xor_b32_e32 v18, 0x80000000, v17
	ds_write_b32 v16, v18
; %bb.1015:
	s_or_b64 exec, exec, s[0:1]
	s_waitcnt lgkmcnt(0)
	s_barrier
	s_and_saveexec_b64 s[0:1], s[66:67]
	s_cbranch_execz .LBB111_1017
; %bb.1016:
	v_mov_b32_e32 v18, 0
	ds_read_b32 v18, v18 offset:256
	ds_read_b32 v19, v16
	s_waitcnt lgkmcnt(0)
	v_fma_f32 v17, -v18, v19, v17
.LBB111_1017:
	s_or_b64 exec, exec, s[0:1]
	s_barrier
	s_and_saveexec_b64 s[0:1], s[66:67]
; %bb.1018:
	v_xor_b32_e32 v18, 0x80000000, v17
	ds_write_b32 v16, v18
; %bb.1019:
	s_or_b64 exec, exec, s[0:1]
	s_waitcnt lgkmcnt(0)
	s_barrier
	s_barrier
	s_and_saveexec_b64 s[0:1], s[8:9]
; %bb.1020:
	v_lshlrev_b32_e32 v14, 2, v14
	v_lshl_or_b32 v14, v15, 8, v14
	ds_write_b32 v14, v17 offset:2048
; %bb.1021:
	s_or_b64 exec, exec, s[0:1]
	s_waitcnt lgkmcnt(0)
	s_barrier
	s_barrier
	s_and_saveexec_b64 s[0:1], s[84:85]
	s_cbranch_execz .LBB111_1023
; %bb.1022:
	v_lshlrev_b32_e32 v14, 8, v0
	ds_read_b32 v15, v14 offset:2048
	s_movk_i32 s8, 0xff04
	v_mad_i32_i24 v16, v0, s8, v14
	s_waitcnt lgkmcnt(0)
	ds_write_b32 v16, v15 offset:32
	ds_read_b32 v15, v14 offset:2052
	s_waitcnt lgkmcnt(0)
	ds_write_b32 v16, v15 offset:288
	ds_read_b32 v15, v14 offset:2056
	;; [unrolled: 3-line block ×7, first 2 shown]
	s_waitcnt lgkmcnt(0)
	ds_write_b32 v16, v14 offset:1824
.LBB111_1023:
	s_or_b64 exec, exec, s[0:1]
	s_waitcnt lgkmcnt(0)
	s_barrier
	s_and_saveexec_b64 s[0:1], vcc
	s_cbranch_execz .LBB111_1025
; %bb.1024:
	v_mov_b32_e32 v16, 0
	ds_read_b32 v15, v16 offset:1816
	v_mov_b32_e32 v14, 1.0
	ds_write_b32 v16, v14 offset:1820
	s_waitcnt lgkmcnt(1)
	ds_write_b64 v16, v[14:15] offset:1560
.LBB111_1025:
	s_or_b64 exec, exec, s[0:1]
	v_mov_b32_e32 v14, 0
	s_waitcnt lgkmcnt(0)
	s_barrier
	buffer_wbinvl1_vol
	s_and_saveexec_b64 s[0:1], s[2:3]
	s_cbranch_execz .LBB111_1029
; %bb.1026:
	v_lshlrev_b32_e32 v14, 8, v3
	v_lshlrev_b32_e32 v15, 2, v2
	ds_read_b32 v16, v15 offset:1552
	ds_read_b32 v14, v14 offset:1560
	v_mov_b32_e32 v15, 0
	v_cmp_gt_u32_e64 s[8:9], 2, v5
	s_waitcnt lgkmcnt(0)
	v_fma_f32 v14, v16, v14, 0
	s_and_saveexec_b64 s[10:11], s[8:9]
	s_cbranch_execz .LBB111_1028
; %bb.1027:
	v_lshlrev_b32_e32 v16, 2, v0
	ds_read_b32 v16, v16 offset:1808
	ds_read_b32 v15, v15 offset:1820
	s_waitcnt lgkmcnt(0)
	v_fmac_f32_e32 v14, v16, v15
.LBB111_1028:
	s_or_b64 exec, exec, s[10:11]
.LBB111_1029:
	s_or_b64 exec, exec, s[0:1]
	s_and_saveexec_b64 s[0:1], s[38:39]
; %bb.1030:
	v_xor_b32_e32 v15, 0x80000000, v14
	ds_write_b32 v4, v15
; %bb.1031:
	s_or_b64 exec, exec, s[0:1]
	s_waitcnt lgkmcnt(0)
	s_barrier
	s_and_saveexec_b64 s[0:1], s[36:37]
	s_cbranch_execz .LBB111_1033
; %bb.1032:
	v_mov_b32_e32 v15, 0
	ds_read_b32 v15, v15 offset:1296
	ds_read_b32 v16, v4
	s_waitcnt lgkmcnt(0)
	v_fma_f32 v14, -v15, v16, v14
.LBB111_1033:
	s_or_b64 exec, exec, s[0:1]
	s_barrier
	s_and_saveexec_b64 s[0:1], s[36:37]
; %bb.1034:
	v_xor_b32_e32 v15, 0x80000000, v14
	ds_write_b32 v4, v15
; %bb.1035:
	s_or_b64 exec, exec, s[0:1]
	s_waitcnt lgkmcnt(0)
	s_barrier
	s_barrier
	s_and_saveexec_b64 s[0:1], s[2:3]
; %bb.1036:
	v_lshlrev_b32_e32 v15, 2, v2
	v_lshl_or_b32 v15, v3, 8, v15
	ds_write_b32 v15, v14 offset:1552
; %bb.1037:
	s_or_b64 exec, exec, s[0:1]
	s_waitcnt lgkmcnt(0)
	s_barrier
	s_barrier
	s_and_saveexec_b64 s[0:1], s[40:41]
	s_cbranch_execz .LBB111_1039
; %bb.1038:
	v_lshlrev_b32_e32 v14, 2, v0
	s_movk_i32 s8, 0xfc
	v_mad_u32_u24 v15, v0, s8, v14
	ds_read_b32 v16, v15 offset:1552
	s_waitcnt lgkmcnt(0)
	ds_write_b32 v14, v16 offset:1048
	ds_read_b32 v15, v15 offset:1556
	s_waitcnt lgkmcnt(0)
	ds_write_b32 v14, v15 offset:1304
.LBB111_1039:
	s_or_b64 exec, exec, s[0:1]
	s_waitcnt lgkmcnt(0)
	s_barrier
	s_and_saveexec_b64 s[0:1], vcc
	s_cbranch_execz .LBB111_1041
; %bb.1040:
	v_mov_b32_e32 v16, 0
	ds_read_b32 v15, v16 offset:1296
	v_mov_b32_e32 v14, 1.0
	ds_write_b32 v16, v14 offset:1300
	s_waitcnt lgkmcnt(1)
	ds_write_b64 v16, v[14:15] offset:1040
.LBB111_1041:
	s_or_b64 exec, exec, s[0:1]
	v_mov_b32_e32 v14, 0
	s_waitcnt lgkmcnt(0)
	s_barrier
	buffer_wbinvl1_vol
	s_and_saveexec_b64 s[0:1], s[18:19]
	s_cbranch_execz .LBB111_1047
; %bb.1042:
	v_lshlrev_b32_e32 v16, 2, v11
	v_lshlrev_b32_e32 v15, 8, v12
	ds_read_b32 v14, v16 offset:1024
	ds_read_b32 v17, v15 offset:1040
	v_cmp_gt_u32_e64 s[8:9], 12, v5
	s_waitcnt lgkmcnt(0)
	v_fma_f32 v14, v14, v17, 0
	s_and_saveexec_b64 s[10:11], s[8:9]
	s_cbranch_execnz .LBB111_1220
; %bb.1043:
	s_or_b64 exec, exec, s[10:11]
	v_cmp_gt_u32_e64 s[8:9], 8, v5
	s_and_saveexec_b64 s[10:11], s[8:9]
	s_cbranch_execnz .LBB111_1221
.LBB111_1044:
	s_or_b64 exec, exec, s[10:11]
	v_cmp_gt_u32_e64 s[8:9], 4, v5
	s_and_saveexec_b64 s[10:11], s[8:9]
	s_cbranch_execz .LBB111_1046
.LBB111_1045:
	v_lshlrev_b32_e32 v15, 2, v0
	v_mov_b32_e32 v16, 0
	ds_read_b32 v15, v15 offset:1792
	ds_read_b32 v16, v16 offset:1820
	s_waitcnt lgkmcnt(0)
	v_fmac_f32_e32 v14, v15, v16
.LBB111_1046:
	s_or_b64 exec, exec, s[10:11]
.LBB111_1047:
	s_or_b64 exec, exec, s[0:1]
	s_and_saveexec_b64 s[0:1], s[44:45]
; %bb.1048:
	v_xor_b32_e32 v15, 0x80000000, v14
	ds_write_b32 v13, v15
; %bb.1049:
	s_or_b64 exec, exec, s[0:1]
	s_waitcnt lgkmcnt(0)
	s_barrier
	s_and_saveexec_b64 s[0:1], s[46:47]
	s_load_dword s16, s[4:5], 0x6c
	v_readlane_b32 s44, v28, 0
	v_readlane_b32 s45, v28, 1
	s_cbranch_execz .LBB111_1051
; %bb.1050:
	v_lshlrev_b32_e32 v15, 2, v11
	ds_read_b32 v15, v15 offset:768
	ds_read_b32 v16, v13
	s_waitcnt lgkmcnt(0)
	v_fma_f32 v14, -v15, v16, v14
.LBB111_1051:
	s_or_b64 exec, exec, s[0:1]
	s_waitcnt lgkmcnt(0)
	s_barrier
	s_and_saveexec_b64 s[0:1], s[48:49]
; %bb.1052:
	v_xor_b32_e32 v15, 0x80000000, v14
	ds_write_b32 v13, v15
; %bb.1053:
	s_or_b64 exec, exec, s[0:1]
	s_waitcnt lgkmcnt(0)
	s_barrier
	s_and_saveexec_b64 s[0:1], s[50:51]
	s_cbranch_execz .LBB111_1055
; %bb.1054:
	v_lshlrev_b32_e32 v15, 2, v11
	ds_read_b32 v15, v15 offset:512
	ds_read_b32 v16, v13
	s_waitcnt lgkmcnt(0)
	v_fma_f32 v14, -v15, v16, v14
.LBB111_1055:
	s_or_b64 exec, exec, s[0:1]
	s_barrier
	s_and_saveexec_b64 s[0:1], s[52:53]
; %bb.1056:
	v_xor_b32_e32 v15, 0x80000000, v14
	ds_write_b32 v13, v15
; %bb.1057:
	s_or_b64 exec, exec, s[0:1]
	s_waitcnt lgkmcnt(0)
	s_barrier
	s_and_saveexec_b64 s[0:1], s[42:43]
	s_cbranch_execz .LBB111_1059
; %bb.1058:
	v_mov_b32_e32 v15, 0
	ds_read_b32 v15, v15 offset:256
	ds_read_b32 v16, v13
	s_waitcnt lgkmcnt(0)
	v_fma_f32 v14, -v15, v16, v14
.LBB111_1059:
	s_or_b64 exec, exec, s[0:1]
	s_barrier
	s_and_saveexec_b64 s[0:1], s[42:43]
; %bb.1060:
	v_xor_b32_e32 v15, 0x80000000, v14
	ds_write_b32 v13, v15
; %bb.1061:
	s_or_b64 exec, exec, s[0:1]
	s_waitcnt lgkmcnt(0)
	s_barrier
	s_barrier
	s_and_saveexec_b64 s[0:1], s[18:19]
; %bb.1062:
	v_lshlrev_b32_e32 v11, 2, v11
	v_lshl_or_b32 v11, v12, 8, v11
	ds_write_b32 v11, v14 offset:1024
; %bb.1063:
	s_or_b64 exec, exec, s[0:1]
	s_waitcnt lgkmcnt(0)
	s_barrier
	s_barrier
	s_and_saveexec_b64 s[0:1], s[54:55]
	s_cbranch_execz .LBB111_1065
; %bb.1064:
	v_lshlrev_b32_e32 v11, 8, v0
	ds_read_b32 v12, v11 offset:1024
	s_movk_i32 s8, 0xff04
	v_mad_i32_i24 v13, v0, s8, v11
	s_waitcnt lgkmcnt(0)
	ds_write_b32 v13, v12 offset:16
	ds_read_b32 v12, v11 offset:1028
	s_waitcnt lgkmcnt(0)
	ds_write_b32 v13, v12 offset:272
	ds_read_b32 v12, v11 offset:1032
	;; [unrolled: 3-line block ×3, first 2 shown]
	s_waitcnt lgkmcnt(0)
	ds_write_b32 v13, v11 offset:784
.LBB111_1065:
	s_or_b64 exec, exec, s[0:1]
	s_waitcnt lgkmcnt(0)
	s_barrier
	s_and_saveexec_b64 s[0:1], vcc
	s_cbranch_execz .LBB111_1067
; %bb.1066:
	v_mov_b32_e32 v13, 0
	ds_read_b32 v12, v13 offset:776
	v_mov_b32_e32 v11, 1.0
	ds_write_b32 v13, v11 offset:780
	s_waitcnt lgkmcnt(1)
	ds_write_b64 v13, v[11:12] offset:520
.LBB111_1067:
	s_or_b64 exec, exec, s[0:1]
	v_mov_b32_e32 v11, 0
	s_waitcnt lgkmcnt(0)
	s_barrier
	buffer_wbinvl1_vol
	s_and_saveexec_b64 s[0:1], s[2:3]
	s_cbranch_execz .LBB111_1071
; %bb.1068:
	v_lshlrev_b32_e32 v11, 8, v3
	v_lshlrev_b32_e32 v12, 2, v2
	ds_read_b32 v13, v12 offset:512
	ds_read_b32 v11, v11 offset:520
	v_mov_b32_e32 v12, 0
	v_cmp_gt_u32_e64 s[8:9], 2, v5
	s_waitcnt lgkmcnt(0)
	v_fma_f32 v11, v13, v11, 0
	s_and_saveexec_b64 s[10:11], s[8:9]
	s_cbranch_execz .LBB111_1070
; %bb.1069:
	v_lshlrev_b32_e32 v5, 2, v0
	ds_read_b32 v5, v5 offset:768
	ds_read_b32 v12, v12 offset:780
	s_waitcnt lgkmcnt(0)
	v_fmac_f32_e32 v11, v5, v12
.LBB111_1070:
	s_or_b64 exec, exec, s[10:11]
.LBB111_1071:
	s_or_b64 exec, exec, s[0:1]
	s_and_saveexec_b64 s[0:1], s[38:39]
; %bb.1072:
	v_xor_b32_e32 v5, 0x80000000, v11
	ds_write_b32 v4, v5
; %bb.1073:
	s_or_b64 exec, exec, s[0:1]
	s_waitcnt lgkmcnt(0)
	s_barrier
	s_and_saveexec_b64 s[0:1], s[36:37]
	s_cbranch_execz .LBB111_1075
; %bb.1074:
	v_mov_b32_e32 v5, 0
	ds_read_b32 v5, v5 offset:256
	ds_read_b32 v12, v4
	s_waitcnt lgkmcnt(0)
	v_fma_f32 v11, -v5, v12, v11
.LBB111_1075:
	s_or_b64 exec, exec, s[0:1]
	s_barrier
	s_and_saveexec_b64 s[0:1], s[36:37]
; %bb.1076:
	v_xor_b32_e32 v5, 0x80000000, v11
	ds_write_b32 v4, v5
; %bb.1077:
	s_or_b64 exec, exec, s[0:1]
	s_waitcnt lgkmcnt(0)
	s_barrier
	s_barrier
	s_and_saveexec_b64 s[0:1], s[2:3]
; %bb.1078:
	v_lshlrev_b32_e32 v2, 2, v2
	v_lshl_or_b32 v2, v3, 8, v2
	ds_write_b32 v2, v11 offset:512
; %bb.1079:
	s_or_b64 exec, exec, s[0:1]
	s_waitcnt lgkmcnt(0)
	s_barrier
	s_barrier
	s_and_saveexec_b64 s[0:1], s[40:41]
	s_cbranch_execz .LBB111_1081
; %bb.1080:
	v_lshlrev_b32_e32 v2, 2, v0
	s_movk_i32 s2, 0xfc
	v_mad_u32_u24 v3, v0, s2, v2
	ds_read_b32 v4, v3 offset:512
	s_waitcnt lgkmcnt(0)
	ds_write_b32 v2, v4 offset:8
	ds_read_b32 v3, v3 offset:516
	s_waitcnt lgkmcnt(0)
	ds_write_b32 v2, v3 offset:264
.LBB111_1081:
	s_or_b64 exec, exec, s[0:1]
	s_waitcnt lgkmcnt(0)
	s_barrier
	s_and_saveexec_b64 s[0:1], vcc
	s_cbranch_execz .LBB111_1083
; %bb.1082:
	v_mov_b32_e32 v4, 0
	ds_read_b32 v3, v4 offset:256
	v_mov_b32_e32 v2, 1.0
	ds_write_b32 v4, v2 offset:260
	s_waitcnt lgkmcnt(1)
	ds_write_b64 v4, v[2:3]
.LBB111_1083:
	s_or_b64 exec, exec, s[0:1]
.LBB111_1084:
	s_load_dwordx4 s[0:3], s[4:5], 0x30
	v_cmp_le_i32_e32 vcc, s7, v0
	v_mov_b32_e32 v12, 0
	v_lshl_add_u32 v2, s6, 6, v0
	s_waitcnt lgkmcnt(0)
	s_lshl_b64 s[0:1], s[2:3], 2
	s_add_u32 s20, s34, s0
	s_addc_u32 s21, s35, s1
	s_and_b64 s[14:15], vcc, s[28:29]
	v_cmp_eq_u32_e64 s[2:3], 0, v1
	s_xor_b64 s[0:1], s[14:15], -1
	s_and_b64 s[8:9], s[2:3], s[0:1]
	s_barrier
	s_and_saveexec_b64 s[0:1], s[8:9]
	s_cbranch_execz .LBB111_1086
; %bb.1085:
	v_ashrrev_i32_e32 v5, 31, v2
	v_mul_lo_u32 v11, s27, v2
	v_mad_u64_u32 v[3:4], s[8:9], s26, v2, 0
	v_mul_lo_u32 v5, s26, v5
	s_load_dword s8, s[4:5], 0x28
	v_add3_u32 v4, v4, v5, v11
	v_lshlrev_b64 v[3:4], 2, v[3:4]
	v_mov_b32_e32 v5, s21
	v_add_co_u32_e32 v3, vcc, s20, v3
	v_addc_co_u32_e32 v4, vcc, v5, v4, vcc
	flat_load_dword v3, v[3:4]
	s_waitcnt vmcnt(0) lgkmcnt(0)
	v_mul_f32_e64 v12, v3, -s8
.LBB111_1086:
	s_or_b64 exec, exec, s[0:1]
	s_load_dwordx2 s[0:1], s[4:5], 0x50
	s_and_b32 s4, 0xffff, s16
	v_mad_u32_u24 v11, v1, s4, v0
	s_cmp_lt_i32 s6, 1
	v_cmp_eq_u32_e64 s[4:5], 0, v11
	s_cbranch_scc1 .LBB111_1112
; %bb.1087:
	v_mad_u64_u32 v[3:4], s[8:9], s30, v2, 0
	s_mov_b32 s22, 0
	v_cmp_gt_u32_e64 s[12:13], 64, v11
	v_mad_u64_u32 v[4:5], s[8:9], s31, v2, v[4:5]
	s_lshl_b64 s[8:9], s[24:25], 2
	s_waitcnt lgkmcnt(0)
	s_add_u32 s16, s0, s8
	s_addc_u32 s17, s1, s9
	v_cmp_gt_i32_e64 s[8:9], s33, v2
	v_lshlrev_b64 v[2:3], 2, v[3:4]
	v_mov_b32_e32 v5, 0x5000
	v_mov_b32_e32 v4, s89
	v_add_co_u32_e32 v15, vcc, s88, v2
	v_lshl_add_u32 v13, v11, 2, v5
	v_lshl_or_b32 v14, v1, 2, v5
	s_add_i32 s23, s6, -1
	v_addc_co_u32_e32 v16, vcc, v4, v3, vcc
	v_mov_b32_e32 v17, -1
	v_mov_b32_e32 v3, 0
	s_branch .LBB111_1090
.LBB111_1088:                           ;   in Loop: Header=BB111_1090 Depth=1
	ds_read_b32 v4, v14 offset:192
	s_waitcnt vmcnt(0) lgkmcnt(0)
	v_fmac_f32_e32 v12, v2, v4
.LBB111_1089:                           ;   in Loop: Header=BB111_1090 Depth=1
	s_or_b64 exec, exec, s[18:19]
	s_add_i32 s22, s22, 1
	s_cmp_eq_u32 s22, s6
	s_cbranch_scc1 .LBB111_1112
.LBB111_1090:                           ; =>This Loop Header: Depth=1
                                        ;     Child Loop BB111_1092 Depth 2
	v_cmp_gt_i32_e32 vcc, s22, v17
	s_and_b64 s[18:19], s[4:5], vcc
	s_and_saveexec_b64 s[10:11], s[18:19]
	s_cbranch_execz .LBB111_1093
; %bb.1091:                             ;   in Loop: Header=BB111_1090 Depth=1
	global_load_dword v17, v3, s[16:17]
	s_waitcnt vmcnt(0)
	v_cmp_le_i32_e32 vcc, s22, v17
	s_cbranch_vccnz .LBB111_1093
.LBB111_1092:                           ;   Parent Loop BB111_1090 Depth=1
                                        ; =>  This Inner Loop Header: Depth=2
	buffer_wbinvl1_vol
	global_load_dword v17, v3, s[16:17]
	s_waitcnt vmcnt(0)
	v_cmp_gt_i32_e32 vcc, s22, v17
	s_cbranch_vccnz .LBB111_1092
.LBB111_1093:                           ;   in Loop: Header=BB111_1090 Depth=1
	s_or_b64 exec, exec, s[10:11]
	s_lshl_b32 s30, s22, 6
	buffer_wbinvl1_vol
	s_barrier
	s_and_saveexec_b64 s[10:11], s[12:13]
	s_cbranch_execz .LBB111_1097
; %bb.1094:                             ;   in Loop: Header=BB111_1090 Depth=1
	v_or_b32_e32 v4, s30, v11
	v_cmp_gt_i32_e32 vcc, s33, v4
	v_mov_b32_e32 v2, 0
	s_and_saveexec_b64 s[18:19], vcc
	s_cbranch_execz .LBB111_1096
; %bb.1095:                             ;   in Loop: Header=BB111_1090 Depth=1
	v_mad_u64_u32 v[18:19], s[34:35], s26, v4, 0
	v_mov_b32_e32 v2, v19
	v_mad_u64_u32 v[4:5], s[34:35], s27, v4, v[2:3]
	v_mov_b32_e32 v2, s21
	v_mov_b32_e32 v19, v4
	v_lshlrev_b64 v[4:5], 2, v[18:19]
	v_add_co_u32_e32 v4, vcc, s20, v4
	v_addc_co_u32_e32 v5, vcc, v2, v5, vcc
	flat_load_dword v2, v[4:5]
.LBB111_1096:                           ;   in Loop: Header=BB111_1090 Depth=1
	s_or_b64 exec, exec, s[18:19]
	s_waitcnt vmcnt(0) lgkmcnt(0)
	ds_write_b32 v13, v2
.LBB111_1097:                           ;   in Loop: Header=BB111_1090 Depth=1
	s_or_b64 exec, exec, s[10:11]
	v_add_u32_e32 v2, s30, v1
	v_lshlrev_b64 v[4:5], 2, v[2:3]
	s_cmp_lg_u32 s22, s23
	v_add_co_u32_e32 v4, vcc, v15, v4
	s_cselect_b64 s[10:11], -1, 0
	v_addc_co_u32_e32 v5, vcc, v16, v5, vcc
	v_cmp_gt_i32_e32 vcc, s33, v2
	v_cndmask_b32_e64 v18, 0, 1, s[10:11]
	s_and_b64 s[30:31], vcc, s[8:9]
	v_cmp_ne_u32_e64 s[10:11], 1, v18
	s_waitcnt lgkmcnt(0)
	s_barrier
	s_and_saveexec_b64 s[18:19], s[30:31]
	s_cbranch_execz .LBB111_1101
; %bb.1098:                             ;   in Loop: Header=BB111_1090 Depth=1
	s_and_b64 vcc, exec, s[10:11]
	v_mov_b32_e32 v18, v8
	s_cbranch_vccnz .LBB111_1100
; %bb.1099:                             ;   in Loop: Header=BB111_1090 Depth=1
	flat_load_dword v18, v[4:5]
.LBB111_1100:                           ;   in Loop: Header=BB111_1090 Depth=1
	ds_read_b32 v19, v14
	s_waitcnt vmcnt(0) lgkmcnt(0)
	v_fmac_f32_e32 v12, v18, v19
.LBB111_1101:                           ;   in Loop: Header=BB111_1090 Depth=1
	s_or_b64 exec, exec, s[18:19]
	v_add_u32_e32 v18, 16, v2
	v_cmp_gt_i32_e32 vcc, s33, v18
	s_and_b64 s[30:31], vcc, s[8:9]
	s_and_saveexec_b64 s[18:19], s[30:31]
	s_cbranch_execz .LBB111_1105
; %bb.1102:                             ;   in Loop: Header=BB111_1090 Depth=1
	s_and_b64 vcc, exec, s[10:11]
	v_mov_b32_e32 v18, v7
	s_cbranch_vccnz .LBB111_1104
; %bb.1103:                             ;   in Loop: Header=BB111_1090 Depth=1
	flat_load_dword v18, v[4:5] offset:64
.LBB111_1104:                           ;   in Loop: Header=BB111_1090 Depth=1
	ds_read_b32 v19, v14 offset:64
	s_waitcnt vmcnt(0) lgkmcnt(0)
	v_fmac_f32_e32 v12, v18, v19
.LBB111_1105:                           ;   in Loop: Header=BB111_1090 Depth=1
	s_or_b64 exec, exec, s[18:19]
	v_add_u32_e32 v18, 32, v2
	v_cmp_gt_i32_e32 vcc, s33, v18
	s_and_b64 s[30:31], vcc, s[8:9]
	s_and_saveexec_b64 s[18:19], s[30:31]
	s_cbranch_execz .LBB111_1109
; %bb.1106:                             ;   in Loop: Header=BB111_1090 Depth=1
	s_and_b64 vcc, exec, s[10:11]
	v_mov_b32_e32 v18, v10
	s_cbranch_vccnz .LBB111_1108
; %bb.1107:                             ;   in Loop: Header=BB111_1090 Depth=1
	flat_load_dword v18, v[4:5] offset:128
.LBB111_1108:                           ;   in Loop: Header=BB111_1090 Depth=1
	ds_read_b32 v19, v14 offset:128
	s_waitcnt vmcnt(0) lgkmcnt(0)
	v_fmac_f32_e32 v12, v18, v19
.LBB111_1109:                           ;   in Loop: Header=BB111_1090 Depth=1
	s_or_b64 exec, exec, s[18:19]
	v_add_u32_e32 v2, 48, v2
	v_cmp_gt_i32_e32 vcc, s33, v2
	s_and_b64 s[30:31], vcc, s[8:9]
	s_and_saveexec_b64 s[18:19], s[30:31]
	s_cbranch_execz .LBB111_1089
; %bb.1110:                             ;   in Loop: Header=BB111_1090 Depth=1
	s_and_b64 vcc, exec, s[10:11]
	v_mov_b32_e32 v2, v9
	s_cbranch_vccnz .LBB111_1088
; %bb.1111:                             ;   in Loop: Header=BB111_1090 Depth=1
	flat_load_dword v2, v[4:5] offset:192
	s_branch .LBB111_1088
.LBB111_1112:
	v_lshl_add_u32 v2, v1, 6, v0
	s_xor_b64 s[4:5], s[28:29], -1
	v_lshlrev_b32_e32 v2, 2, v2
	ds_write_b32 v2, v12 offset:16384
	s_waitcnt lgkmcnt(0)
	s_barrier
	s_and_saveexec_b64 s[8:9], s[2:3]
	s_cbranch_execz .LBB111_1114
; %bb.1113:
	v_lshlrev_b32_e32 v5, 2, v0
	ds_read2st64_b32 v[3:4], v5 offset0:65 offset1:66
	ds_read2st64_b32 v[7:8], v5 offset0:67 offset1:68
	;; [unrolled: 1-line block ×5, first 2 shown]
	s_waitcnt lgkmcnt(4)
	v_add_f32_e32 v3, v12, v3
	v_add_f32_e32 v3, v3, v4
	s_waitcnt lgkmcnt(3)
	v_add_f32_e32 v3, v3, v7
	v_add_f32_e32 v3, v3, v8
	;; [unrolled: 3-line block ×4, first 2 shown]
	ds_read2st64_b32 v[3:4], v5 offset0:75 offset1:76
	ds_read2st64_b32 v[7:8], v5 offset0:77 offset1:78
	ds_read_b32 v5, v5 offset:20224
	s_waitcnt lgkmcnt(3)
	v_add_f32_e32 v9, v9, v15
	v_add_f32_e32 v9, v9, v16
	s_waitcnt lgkmcnt(2)
	v_add_f32_e32 v3, v9, v3
	v_add_f32_e32 v3, v3, v4
	;; [unrolled: 3-line block ×3, first 2 shown]
	s_waitcnt lgkmcnt(0)
	v_add_f32_e32 v3, v3, v5
	v_cndmask_b32_e64 v12, -v3, 0, s[14:15]
.LBB111_1114:
	s_or_b64 exec, exec, s[8:9]
	s_and_b64 vcc, exec, s[44:45]
	s_cbranch_vccnz .LBB111_1128
; %bb.1115:
	v_mov_b32_e32 v3, 0x5000
	v_lshl_or_b32 v4, v1, 2, v3
	s_and_saveexec_b64 s[8:9], s[2:3]
; %bb.1116:
	v_lshl_add_u32 v3, v0, 2, v4
	ds_write_b32 v3, v12
; %bb.1117:
	s_or_b64 exec, exec, s[8:9]
	v_cmp_le_u32_e32 vcc, v1, v0
	v_mov_b32_e32 v3, 0
	s_waitcnt lgkmcnt(0)
	s_barrier
	s_and_saveexec_b64 s[8:9], vcc
	s_cbranch_execz .LBB111_1119
; %bb.1118:
	ds_read_b32 v3, v2
	ds_read_b32 v5, v4
	s_waitcnt lgkmcnt(0)
	v_fma_f32 v3, v3, v5, 0
.LBB111_1119:
	s_or_b64 exec, exec, s[8:9]
	v_add_u32_e32 v5, 16, v1
	v_cmp_ge_u32_e32 vcc, v0, v5
	s_and_saveexec_b64 s[8:9], vcc
	s_cbranch_execz .LBB111_1121
; %bb.1120:
	ds_read_b32 v5, v2 offset:4096
	ds_read_b32 v7, v4 offset:64
	s_waitcnt lgkmcnt(0)
	v_fmac_f32_e32 v3, v5, v7
.LBB111_1121:
	s_or_b64 exec, exec, s[8:9]
	v_add_u32_e32 v5, 32, v1
	v_cmp_ge_u32_e32 vcc, v0, v5
	s_and_saveexec_b64 s[8:9], vcc
	s_cbranch_execz .LBB111_1123
; %bb.1122:
	ds_read_b32 v5, v2 offset:8192
	ds_read_b32 v7, v4 offset:128
	s_waitcnt lgkmcnt(0)
	v_fmac_f32_e32 v3, v5, v7
.LBB111_1123:
	s_or_b64 exec, exec, s[8:9]
	v_add_u32_e32 v1, 48, v1
	v_add_u32_e32 v5, 0x4000, v2
	v_cmp_ge_u32_e32 vcc, v0, v1
	s_and_saveexec_b64 s[8:9], vcc
	s_cbranch_execz .LBB111_1125
; %bb.1124:
	ds_read_b32 v1, v2 offset:12288
	ds_read_b32 v2, v4 offset:192
	s_waitcnt lgkmcnt(0)
	v_fmac_f32_e32 v3, v1, v2
.LBB111_1125:
	s_or_b64 exec, exec, s[8:9]
	s_mov_b64 s[10:11], 0
	s_mov_b64 s[8:9], 0
	ds_write_b32 v5, v3
	s_waitcnt lgkmcnt(0)
	s_barrier
                                        ; implicit-def: $vgpr4
                                        ; implicit-def: $vgpr1_vgpr2
	s_and_saveexec_b64 s[12:13], s[2:3]
	s_cbranch_execz .LBB111_1161
; %bb.1126:
	v_lshlrev_b32_e32 v13, 2, v0
	ds_read2st64_b32 v[1:2], v13 offset0:65 offset1:66
	ds_read2st64_b32 v[4:5], v13 offset0:67 offset1:68
	;; [unrolled: 1-line block ×4, first 2 shown]
	s_mov_b64 s[8:9], exec
	s_waitcnt lgkmcnt(3)
	v_add_f32_e32 v1, v3, v1
	v_add_f32_e32 v1, v2, v1
	s_waitcnt lgkmcnt(2)
	v_add_f32_e32 v1, v4, v1
	v_add_f32_e32 v1, v5, v1
	ds_read2st64_b32 v[2:3], v13 offset0:73 offset1:74
	s_waitcnt lgkmcnt(2)
	v_add_f32_e32 v1, v7, v1
	v_add_f32_e32 v1, v8, v1
	s_waitcnt lgkmcnt(1)
	v_add_f32_e32 v1, v9, v1
	v_add_f32_e32 v1, v10, v1
	ds_read2st64_b32 v[4:5], v13 offset0:75 offset1:76
	ds_read2st64_b32 v[7:8], v13 offset0:77 offset1:78
	ds_read_b32 v9, v13 offset:20224
	v_lshl_add_u32 v13, s6, 6, v11
	s_waitcnt lgkmcnt(3)
	v_add_f32_e32 v10, v2, v1
	v_mad_u64_u32 v[1:2], s[14:15], s26, v13, 0
	v_add_f32_e32 v3, v3, v10
	s_waitcnt lgkmcnt(2)
	v_add_f32_e32 v3, v4, v3
	v_add_f32_e32 v4, v5, v3
	v_mad_u64_u32 v[2:3], s[14:15], s27, v13, v[2:3]
	s_waitcnt lgkmcnt(1)
	v_add_f32_e32 v3, v7, v4
	v_add_f32_e32 v3, v8, v3
	s_waitcnt lgkmcnt(0)
	v_add_f32_e32 v4, v9, v3
	s_or_b64 exec, exec, s[12:13]
	s_and_b64 vcc, exec, s[10:11]
	s_cbranch_vccnz .LBB111_1129
	s_branch .LBB111_1162
.LBB111_1127:
	v_mad_u64_u32 v[12:13], s[2:3], s30, v5, 0
	s_or_b64 s[10:11], s[10:11], exec
	v_mov_b32_e32 v4, v13
	v_mad_u64_u32 v[4:5], s[2:3], s31, v5, v[4:5]
	v_mov_b32_e32 v13, v4
	v_lshlrev_b64 v[4:5], 2, v[12:13]
	v_add_co_u32_e32 v2, vcc, v2, v4
	v_addc_co_u32_e32 v3, vcc, v3, v5, vcc
	flat_load_dword v2, v[2:3]
	s_waitcnt vmcnt(0) lgkmcnt(0)
	v_xor_b32_e32 v4, 0x80000000, v2
	s_or_b64 exec, exec, s[8:9]
	s_xor_b64 s[0:1], s[0:1], -1
	s_and_saveexec_b64 s[2:3], s[10:11]
	s_cbranch_execnz .LBB111_45
	s_branch .LBB111_46
.LBB111_1128:
	s_mov_b64 s[8:9], 0
                                        ; implicit-def: $vgpr4
                                        ; implicit-def: $vgpr1_vgpr2
	s_cbranch_execz .LBB111_1162
.LBB111_1129:
	s_mov_b32 s12, 0
	v_mov_b32_e32 v1, 0
	v_mov_b32_e32 v2, v0
	s_branch .LBB111_1131
.LBB111_1130:                           ;   in Loop: Header=BB111_1131 Depth=1
	s_or_b64 exec, exec, s[10:11]
	s_add_i32 s12, s12, 4
	v_add_u32_e32 v6, 0x400, v6
	s_cmp_lg_u32 s12, 64
	v_add_u32_e32 v2, -4, v2
	s_barrier
	s_cbranch_scc0 .LBB111_1147
.LBB111_1131:                           ; =>This Inner Loop Header: Depth=1
	v_cmp_eq_u32_e32 vcc, 0, v2
	s_and_b64 s[14:15], s[2:3], vcc
	s_and_saveexec_b64 s[10:11], s[14:15]
; %bb.1132:                             ;   in Loop: Header=BB111_1131 Depth=1
	ds_write_b32 v1, v12 offset:20736
; %bb.1133:                             ;   in Loop: Header=BB111_1131 Depth=1
	s_or_b64 exec, exec, s[10:11]
	v_cmp_lt_u32_e32 vcc, s12, v0
	s_and_b64 s[14:15], s[2:3], vcc
	s_waitcnt lgkmcnt(0)
	s_barrier
	s_and_saveexec_b64 s[10:11], s[14:15]
	s_cbranch_execz .LBB111_1135
; %bb.1134:                             ;   in Loop: Header=BB111_1131 Depth=1
	ds_read_b32 v3, v6
	ds_read_b32 v4, v1 offset:20736
	s_waitcnt lgkmcnt(0)
	v_fmac_f32_e32 v12, v3, v4
.LBB111_1135:                           ;   in Loop: Header=BB111_1131 Depth=1
	s_or_b64 exec, exec, s[10:11]
	s_or_b32 s13, s12, 1
	v_cmp_eq_u32_e32 vcc, s13, v0
	s_and_b64 s[14:15], s[2:3], vcc
	s_barrier
	s_and_saveexec_b64 s[10:11], s[14:15]
; %bb.1136:                             ;   in Loop: Header=BB111_1131 Depth=1
	ds_write_b32 v1, v12 offset:20736
; %bb.1137:                             ;   in Loop: Header=BB111_1131 Depth=1
	s_or_b64 exec, exec, s[10:11]
	v_cmp_lt_u32_e32 vcc, s13, v0
	s_and_b64 s[14:15], s[2:3], vcc
	s_waitcnt lgkmcnt(0)
	s_barrier
	s_and_saveexec_b64 s[10:11], s[14:15]
	s_cbranch_execz .LBB111_1139
; %bb.1138:                             ;   in Loop: Header=BB111_1131 Depth=1
	ds_read_b32 v3, v6 offset:256
	ds_read_b32 v4, v1 offset:20736
	s_waitcnt lgkmcnt(0)
	v_fmac_f32_e32 v12, v3, v4
.LBB111_1139:                           ;   in Loop: Header=BB111_1131 Depth=1
	s_or_b64 exec, exec, s[10:11]
	s_or_b32 s13, s12, 2
	v_cmp_eq_u32_e32 vcc, s13, v0
	s_and_b64 s[14:15], s[2:3], vcc
	s_barrier
	s_and_saveexec_b64 s[10:11], s[14:15]
; %bb.1140:                             ;   in Loop: Header=BB111_1131 Depth=1
	ds_write_b32 v1, v12 offset:20736
; %bb.1141:                             ;   in Loop: Header=BB111_1131 Depth=1
	s_or_b64 exec, exec, s[10:11]
	v_cmp_lt_u32_e32 vcc, s13, v0
	s_and_b64 s[14:15], s[2:3], vcc
	s_waitcnt lgkmcnt(0)
	s_barrier
	s_and_saveexec_b64 s[10:11], s[14:15]
	s_cbranch_execz .LBB111_1143
; %bb.1142:                             ;   in Loop: Header=BB111_1131 Depth=1
	ds_read_b32 v3, v6 offset:512
	ds_read_b32 v4, v1 offset:20736
	s_waitcnt lgkmcnt(0)
	v_fmac_f32_e32 v12, v3, v4
.LBB111_1143:                           ;   in Loop: Header=BB111_1131 Depth=1
	s_or_b64 exec, exec, s[10:11]
	s_or_b32 s13, s12, 3
	v_cmp_eq_u32_e32 vcc, s13, v0
	s_and_b64 s[14:15], s[2:3], vcc
	s_barrier
	s_and_saveexec_b64 s[10:11], s[14:15]
; %bb.1144:                             ;   in Loop: Header=BB111_1131 Depth=1
	ds_write_b32 v1, v12 offset:20736
; %bb.1145:                             ;   in Loop: Header=BB111_1131 Depth=1
	s_or_b64 exec, exec, s[10:11]
	v_cmp_lt_u32_e32 vcc, s13, v0
	s_and_b64 s[14:15], s[2:3], vcc
	s_waitcnt lgkmcnt(0)
	s_barrier
	s_and_saveexec_b64 s[10:11], s[14:15]
	s_cbranch_execz .LBB111_1130
; %bb.1146:                             ;   in Loop: Header=BB111_1131 Depth=1
	ds_read_b32 v3, v6 offset:768
	ds_read_b32 v4, v1 offset:20736
	s_waitcnt lgkmcnt(0)
	v_fmac_f32_e32 v12, v3, v4
	s_branch .LBB111_1130
.LBB111_1147:
	s_and_b64 vcc, exec, s[4:5]
	s_cbranch_vccz .LBB111_1163
; %bb.1148:
	s_and_b64 s[4:5], s[2:3], exec
	s_cbranch_execz .LBB111_1164
	s_branch .LBB111_1165
.LBB111_1149:
	v_or_b32_e32 v11, v1, v0
	v_cmp_gt_u32_e32 vcc, 64, v11
	s_and_b64 s[10:11], vcc, exec
	s_andn2_saveexec_b64 s[8:9], s[8:9]
	s_cbranch_execz .LBB111_14
.LBB111_1150:
	v_mad_u64_u32 v[11:12], s[12:13], s30, v1, 0
	s_or_b64 s[10:11], s[10:11], exec
	v_mov_b32_e32 v5, v12
	v_mad_u64_u32 v[12:13], s[12:13], s31, v1, v[5:6]
	v_lshlrev_b64 v[11:12], 2, v[11:12]
	v_add_co_u32_e32 v11, vcc, v2, v11
	v_addc_co_u32_e32 v12, vcc, v3, v12, vcc
	flat_load_dword v5, v[11:12]
	s_waitcnt vmcnt(0) lgkmcnt(0)
	v_xor_b32_e32 v5, 0x80000000, v5
	s_or_b64 exec, exec, s[8:9]
	s_and_saveexec_b64 s[8:9], s[10:11]
	s_cbranch_execnz .LBB111_15
	s_branch .LBB111_16
.LBB111_1151:
	v_or_b32_e32 v11, v5, v0
	v_cmp_gt_u32_e32 vcc, 64, v11
	s_and_b64 s[2:3], vcc, exec
	s_or_saveexec_b64 s[8:9], s[8:9]
	v_mov_b32_e32 v11, 0
	s_xor_b64 exec, exec, s[8:9]
	s_cbranch_execz .LBB111_18
.LBB111_1152:
	v_mad_u64_u32 v[11:12], s[10:11], s30, v5, 0
	s_or_b64 s[2:3], s[2:3], exec
	v_mad_u64_u32 v[12:13], s[10:11], s31, v5, v[12:13]
	v_lshlrev_b64 v[11:12], 2, v[11:12]
	v_add_co_u32_e32 v11, vcc, v2, v11
	v_addc_co_u32_e32 v12, vcc, v3, v12, vcc
	flat_load_dword v11, v[11:12]
	s_waitcnt vmcnt(0) lgkmcnt(0)
	v_xor_b32_e32 v11, 0x80000000, v11
	s_or_b64 exec, exec, s[8:9]
	s_and_saveexec_b64 s[8:9], s[2:3]
	s_cbranch_execnz .LBB111_19
	s_branch .LBB111_20
.LBB111_1153:
	v_or_b32_e32 v11, v5, v0
	v_cmp_gt_u32_e32 vcc, 64, v11
	s_and_b64 s[2:3], vcc, exec
	s_or_saveexec_b64 s[8:9], s[8:9]
	v_mov_b32_e32 v11, 0
	s_xor_b64 exec, exec, s[8:9]
	s_cbranch_execz .LBB111_22
.LBB111_1154:
	v_mad_u64_u32 v[11:12], s[10:11], s30, v5, 0
	s_or_b64 s[2:3], s[2:3], exec
	v_mad_u64_u32 v[12:13], s[10:11], s31, v5, v[12:13]
	v_lshlrev_b64 v[11:12], 2, v[11:12]
	v_add_co_u32_e32 v11, vcc, v2, v11
	v_addc_co_u32_e32 v12, vcc, v3, v12, vcc
	flat_load_dword v11, v[11:12]
	s_waitcnt vmcnt(0) lgkmcnt(0)
	v_xor_b32_e32 v11, 0x80000000, v11
	s_or_b64 exec, exec, s[8:9]
	s_and_saveexec_b64 s[8:9], s[2:3]
	s_cbranch_execnz .LBB111_23
	s_branch .LBB111_24
.LBB111_1155:
	v_or_b32_e32 v11, v1, v0
	v_cmp_gt_u32_e64 s[2:3], 64, v11
	s_and_b64 s[8:9], s[2:3], exec
	s_andn2_saveexec_b64 s[12:13], s[12:13]
	s_cbranch_execz .LBB111_30
.LBB111_1156:
	v_mad_u64_u32 v[11:12], s[2:3], s30, v1, 0
	s_or_b64 s[8:9], s[8:9], exec
	v_mov_b32_e32 v5, v12
	v_mad_u64_u32 v[12:13], s[2:3], s31, v1, v[5:6]
	v_lshlrev_b64 v[11:12], 2, v[11:12]
	v_add_co_u32_e64 v11, s[2:3], v2, v11
	v_addc_co_u32_e64 v12, s[2:3], v3, v12, s[2:3]
	flat_load_dword v5, v[11:12]
	s_waitcnt vmcnt(0) lgkmcnt(0)
	v_xor_b32_e32 v5, 0x80000000, v5
	s_or_b64 exec, exec, s[12:13]
	s_and_saveexec_b64 s[2:3], s[8:9]
	s_cbranch_execnz .LBB111_31
	s_branch .LBB111_32
.LBB111_1157:
	v_or_b32_e32 v11, v5, v0
	v_cmp_gt_u32_e64 s[2:3], 64, v11
	s_and_b64 s[8:9], s[2:3], exec
	s_or_saveexec_b64 s[12:13], s[12:13]
	v_mov_b32_e32 v11, 0
	s_xor_b64 exec, exec, s[12:13]
	s_cbranch_execz .LBB111_34
.LBB111_1158:
	v_mad_u64_u32 v[11:12], s[2:3], s30, v5, 0
	s_or_b64 s[8:9], s[8:9], exec
	v_mad_u64_u32 v[12:13], s[2:3], s31, v5, v[12:13]
	v_lshlrev_b64 v[11:12], 2, v[11:12]
	v_add_co_u32_e64 v11, s[2:3], v2, v11
	v_addc_co_u32_e64 v12, s[2:3], v3, v12, s[2:3]
	flat_load_dword v11, v[11:12]
	s_waitcnt vmcnt(0) lgkmcnt(0)
	v_xor_b32_e32 v11, 0x80000000, v11
	s_or_b64 exec, exec, s[12:13]
	s_and_saveexec_b64 s[2:3], s[8:9]
	s_cbranch_execnz .LBB111_35
	s_branch .LBB111_36
.LBB111_1159:
	v_or_b32_e32 v11, v5, v0
	v_cmp_gt_u32_e64 s[2:3], 64, v11
	s_and_b64 s[8:9], s[2:3], exec
	s_or_saveexec_b64 s[12:13], s[12:13]
	v_mov_b32_e32 v11, 0
	s_xor_b64 exec, exec, s[12:13]
	s_cbranch_execz .LBB111_38
.LBB111_1160:
	v_mad_u64_u32 v[11:12], s[2:3], s30, v5, 0
	s_or_b64 s[8:9], s[8:9], exec
	v_mad_u64_u32 v[12:13], s[2:3], s31, v5, v[12:13]
	v_lshlrev_b64 v[11:12], 2, v[11:12]
	v_add_co_u32_e64 v11, s[2:3], v2, v11
	v_addc_co_u32_e64 v12, s[2:3], v3, v12, s[2:3]
	flat_load_dword v11, v[11:12]
	s_waitcnt vmcnt(0) lgkmcnt(0)
	v_xor_b32_e32 v11, 0x80000000, v11
	s_or_b64 exec, exec, s[12:13]
	s_and_saveexec_b64 s[2:3], s[8:9]
	s_cbranch_execnz .LBB111_39
	s_branch .LBB111_40
.LBB111_1161:
	s_or_b64 exec, exec, s[12:13]
	s_and_b64 vcc, exec, s[10:11]
	s_cbranch_vccnz .LBB111_1129
.LBB111_1162:
	v_mov_b32_e32 v12, v4
	s_and_saveexec_b64 s[2:3], s[8:9]
	s_cbranch_execnz .LBB111_1168
	s_branch .LBB111_1169
.LBB111_1163:
	s_mov_b64 s[4:5], 0
.LBB111_1164:
	v_cmp_gt_i32_e32 vcc, s7, v0
	s_and_b64 s[2:3], s[2:3], vcc
	s_andn2_b64 s[4:5], s[4:5], exec
	s_and_b64 s[2:3], s[2:3], exec
	s_or_b64 s[4:5], s[4:5], s[2:3]
.LBB111_1165:
                                        ; implicit-def: $vgpr1_vgpr2
	s_and_saveexec_b64 s[2:3], s[4:5]
	s_cbranch_execz .LBB111_1167
; %bb.1166:
	s_lshl_b32 s4, s6, 6
	s_ashr_i32 s5, s4, 31
	v_mov_b32_e32 v0, s5
	v_add_co_u32_e32 v1, vcc, s4, v11
	v_addc_co_u32_e32 v0, vcc, 0, v0, vcc
	v_mul_lo_u32 v0, v0, s26
	v_mul_lo_u32 v3, v1, s27
	v_mad_u64_u32 v[1:2], s[4:5], v1, s26, 0
	s_or_b64 s[8:9], s[8:9], exec
	v_add3_u32 v2, v2, v3, v0
.LBB111_1167:
	s_or_b64 exec, exec, s[2:3]
	s_and_saveexec_b64 s[2:3], s[8:9]
	s_cbranch_execz .LBB111_1169
.LBB111_1168:
	v_lshlrev_b64 v[0:1], 2, v[1:2]
	v_mov_b32_e32 v2, s21
	v_add_co_u32_e32 v0, vcc, s20, v0
	v_addc_co_u32_e32 v1, vcc, v2, v1, vcc
	flat_store_dword v[0:1], v12
.LBB111_1169:
	s_or_b64 exec, exec, s[2:3]
	v_cmp_eq_u32_e32 vcc, 0, v11
	s_waitcnt vmcnt(0) lgkmcnt(0)
	buffer_wbinvl1_vol
	s_barrier
	s_and_saveexec_b64 s[2:3], vcc
	s_cbranch_execz .LBB111_1171
; %bb.1170:
	s_lshl_b64 s[4:5], s[24:25], 2
	s_add_u32 s0, s0, s4
	s_addc_u32 s1, s1, s5
	v_mov_b32_e32 v0, 0
	global_load_dword v1, v0, s[0:1]
	s_waitcnt vmcnt(0)
	v_add_u32_e32 v1, 1, v1
	global_store_dword v0, v1, s[0:1]
.LBB111_1171:
	s_or_b64 exec, exec, s[2:3]
	s_waitcnt vmcnt(0)
	buffer_wbinvl1_vol
	s_endpgm
.LBB111_1172:
	ds_read_b32 v17, v16 offset:15840
	ds_read_b32 v18, v15 offset:15604
	s_waitcnt lgkmcnt(0)
	v_fmac_f32_e32 v14, v17, v18
	s_or_b64 exec, exec, s[14:15]
	v_cmp_gt_u32_e64 s[10:11], 8, v5
	s_and_saveexec_b64 s[14:15], s[10:11]
	s_cbranch_execz .LBB111_68
.LBB111_1173:
	ds_read_b32 v16, v16 offset:16096
	ds_read_b32 v15, v15 offset:15608
	s_waitcnt lgkmcnt(0)
	v_fmac_f32_e32 v14, v16, v15
	s_or_b64 exec, exec, s[14:15]
	v_cmp_gt_u32_e64 s[10:11], 4, v5
	s_and_saveexec_b64 s[14:15], s[10:11]
	s_cbranch_execnz .LBB111_69
	s_branch .LBB111_70
.LBB111_1174:
	ds_read_b32 v20, v19 offset:14784
	ds_read_b32 v21, v18 offset:14564
	s_waitcnt lgkmcnt(0)
	v_fmac_f32_e32 v17, v20, v21
	s_or_b64 exec, exec, s[16:17]
	v_cmp_gt_u32_e64 s[14:15], 48, v5
	s_and_saveexec_b64 s[16:17], s[14:15]
	s_cbranch_execz .LBB111_110
.LBB111_1175:
	ds_read_b32 v20, v19 offset:15040
	ds_read_b32 v21, v18 offset:14568
	s_waitcnt lgkmcnt(0)
	v_fmac_f32_e32 v17, v20, v21
	s_or_b64 exec, exec, s[16:17]
	v_cmp_gt_u32_e64 s[14:15], 40, v5
	s_and_saveexec_b64 s[16:17], s[14:15]
	s_cbranch_execz .LBB111_111
.LBB111_1176:
	ds_read_b32 v20, v19 offset:15296
	ds_read_b32 v21, v18 offset:14572
	s_waitcnt lgkmcnt(0)
	v_fmac_f32_e32 v17, v20, v21
	s_or_b64 exec, exec, s[16:17]
	v_cmp_gt_u32_e64 s[14:15], 32, v5
	s_and_saveexec_b64 s[16:17], s[14:15]
	s_cbranch_execz .LBB111_112
.LBB111_1177:
	ds_read_b32 v20, v19 offset:15552
	ds_read_b32 v21, v18 offset:14576
	s_waitcnt lgkmcnt(0)
	v_fmac_f32_e32 v17, v20, v21
	s_or_b64 exec, exec, s[16:17]
	v_cmp_gt_u32_e64 s[14:15], 24, v5
	s_and_saveexec_b64 s[16:17], s[14:15]
	s_cbranch_execz .LBB111_113
.LBB111_1178:
	ds_read_b32 v20, v19 offset:15808
	ds_read_b32 v21, v18 offset:14580
	s_waitcnt lgkmcnt(0)
	v_fmac_f32_e32 v17, v20, v21
	s_or_b64 exec, exec, s[16:17]
	s_and_saveexec_b64 s[14:15], s[18:19]
	s_cbranch_execz .LBB111_114
.LBB111_1179:
	ds_read_b32 v19, v19 offset:16064
	ds_read_b32 v18, v18 offset:14584
	s_waitcnt lgkmcnt(0)
	v_fmac_f32_e32 v17, v19, v18
	s_or_b64 exec, exec, s[14:15]
	v_cmp_gt_u32_e64 s[14:15], 8, v5
	s_and_saveexec_b64 s[16:17], s[14:15]
	s_cbranch_execnz .LBB111_115
	s_branch .LBB111_116
.LBB111_1180:
	ds_read_b32 v20, v19 offset:13760
	ds_read_b32 v21, v18 offset:13524
	s_waitcnt lgkmcnt(0)
	v_fmac_f32_e32 v17, v20, v21
	s_or_b64 exec, exec, s[14:15]
	v_cmp_gt_u32_e64 s[10:11], 8, v5
	s_and_saveexec_b64 s[14:15], s[10:11]
	s_cbranch_execz .LBB111_172
.LBB111_1181:
	ds_read_b32 v19, v19 offset:14016
	ds_read_b32 v18, v18 offset:13528
	s_waitcnt lgkmcnt(0)
	v_fmac_f32_e32 v17, v19, v18
	s_or_b64 exec, exec, s[14:15]
	v_cmp_gt_u32_e64 s[10:11], 4, v5
	s_and_saveexec_b64 s[14:15], s[10:11]
	s_cbranch_execnz .LBB111_173
	s_branch .LBB111_174
.LBB111_1182:
	ds_read_b32 v23, v22 offset:15232
	ds_read_b32 v24, v21 offset:12524
	s_waitcnt lgkmcnt(0)
	v_fmac_f32_e32 v20, v23, v24
	s_or_b64 exec, exec, s[20:21]
	s_and_saveexec_b64 s[16:17], s[8:9]
	s_cbranch_execz .LBB111_234
.LBB111_1183:
	ds_read_b32 v23, v22 offset:15488
	ds_read_b32 v24, v21 offset:12528
	s_waitcnt lgkmcnt(0)
	v_fmac_f32_e32 v20, v23, v24
	s_or_b64 exec, exec, s[16:17]
	v_cmp_gt_u32_e64 s[16:17], 48, v5
	s_and_saveexec_b64 s[20:21], s[16:17]
	s_cbranch_execz .LBB111_235
.LBB111_1184:
	ds_read_b32 v23, v22 offset:15744
	ds_read_b32 v24, v21 offset:12532
	s_waitcnt lgkmcnt(0)
	v_fmac_f32_e32 v20, v23, v24
	s_or_b64 exec, exec, s[20:21]
	v_cmp_gt_u32_e64 s[16:17], 32, v5
	s_and_saveexec_b64 s[20:21], s[16:17]
	s_cbranch_execz .LBB111_236
.LBB111_1185:
	ds_read_b32 v22, v22 offset:16000
	ds_read_b32 v21, v21 offset:12536
	s_waitcnt lgkmcnt(0)
	v_fmac_f32_e32 v20, v22, v21
	s_or_b64 exec, exec, s[20:21]
	v_cmp_gt_u32_e64 s[16:17], 16, v5
	s_and_saveexec_b64 s[20:21], s[16:17]
	s_cbranch_execnz .LBB111_237
	s_branch .LBB111_238
.LBB111_1186:
	ds_read_b32 v23, v22 offset:11680
	ds_read_b32 v24, v21 offset:11444
	s_waitcnt lgkmcnt(0)
	v_fmac_f32_e32 v20, v23, v24
	s_or_b64 exec, exec, s[20:21]
	v_cmp_gt_u32_e64 s[14:15], 8, v5
	s_and_saveexec_b64 s[20:21], s[14:15]
	s_cbranch_execz .LBB111_326
.LBB111_1187:
	ds_read_b32 v22, v22 offset:11936
	ds_read_b32 v21, v21 offset:11448
	s_waitcnt lgkmcnt(0)
	v_fmac_f32_e32 v20, v22, v21
	s_or_b64 exec, exec, s[20:21]
	v_cmp_gt_u32_e64 s[14:15], 4, v5
	s_and_saveexec_b64 s[20:21], s[14:15]
	s_cbranch_execnz .LBB111_327
	s_branch .LBB111_328
.LBB111_1188:
	ds_read_b32 v23, v22 offset:10624
	ds_read_b32 v24, v21 offset:10404
	s_waitcnt lgkmcnt(0)
	v_fmac_f32_e32 v20, v23, v24
	s_or_b64 exec, exec, s[20:21]
	v_cmp_gt_u32_e64 s[14:15], 48, v5
	s_and_saveexec_b64 s[20:21], s[14:15]
	s_cbranch_execz .LBB111_368
.LBB111_1189:
	ds_read_b32 v23, v22 offset:10880
	ds_read_b32 v24, v21 offset:10408
	s_waitcnt lgkmcnt(0)
	v_fmac_f32_e32 v20, v23, v24
	s_or_b64 exec, exec, s[20:21]
	v_cmp_gt_u32_e64 s[14:15], 40, v5
	s_and_saveexec_b64 s[20:21], s[14:15]
	s_cbranch_execz .LBB111_369
.LBB111_1190:
	ds_read_b32 v23, v22 offset:11136
	ds_read_b32 v24, v21 offset:10412
	s_waitcnt lgkmcnt(0)
	v_fmac_f32_e32 v20, v23, v24
	s_or_b64 exec, exec, s[20:21]
	v_cmp_gt_u32_e64 s[14:15], 32, v5
	s_and_saveexec_b64 s[20:21], s[14:15]
	s_cbranch_execz .LBB111_370
.LBB111_1191:
	ds_read_b32 v23, v22 offset:11392
	ds_read_b32 v24, v21 offset:10416
	s_waitcnt lgkmcnt(0)
	v_fmac_f32_e32 v20, v23, v24
	s_or_b64 exec, exec, s[20:21]
	v_cmp_gt_u32_e64 s[14:15], 24, v5
	s_and_saveexec_b64 s[20:21], s[14:15]
	s_cbranch_execz .LBB111_371
.LBB111_1192:
	ds_read_b32 v23, v22 offset:11648
	ds_read_b32 v24, v21 offset:10420
	s_waitcnt lgkmcnt(0)
	v_fmac_f32_e32 v20, v23, v24
	s_or_b64 exec, exec, s[20:21]
	s_and_saveexec_b64 s[14:15], s[18:19]
	s_cbranch_execz .LBB111_372
.LBB111_1193:
	ds_read_b32 v22, v22 offset:11904
	ds_read_b32 v21, v21 offset:10424
	s_waitcnt lgkmcnt(0)
	v_fmac_f32_e32 v20, v22, v21
	s_or_b64 exec, exec, s[14:15]
	v_cmp_gt_u32_e64 s[14:15], 8, v5
	s_and_saveexec_b64 s[20:21], s[14:15]
	s_cbranch_execnz .LBB111_373
	s_branch .LBB111_374
.LBB111_1194:
	ds_read_b32 v23, v22 offset:9600
	ds_read_b32 v24, v21 offset:9364
	s_waitcnt lgkmcnt(0)
	v_fmac_f32_e32 v20, v23, v24
	s_or_b64 exec, exec, s[20:21]
	v_cmp_gt_u32_e64 s[14:15], 8, v5
	s_and_saveexec_b64 s[20:21], s[14:15]
	s_cbranch_execz .LBB111_430
.LBB111_1195:
	ds_read_b32 v22, v22 offset:9856
	ds_read_b32 v21, v21 offset:9368
	s_waitcnt lgkmcnt(0)
	v_fmac_f32_e32 v20, v22, v21
	s_or_b64 exec, exec, s[20:21]
	v_cmp_gt_u32_e64 s[14:15], 4, v5
	s_and_saveexec_b64 s[20:21], s[14:15]
	s_cbranch_execnz .LBB111_431
	s_branch .LBB111_432
.LBB111_1196:
	ds_read_b32 v26, v25 offset:15616
	ds_read_b32 v27, v24 offset:8436
	s_waitcnt lgkmcnt(0)
	v_fmac_f32_e32 v22, v26, v27
	s_or_b64 exec, exec, s[22:23]
	s_and_saveexec_b64 s[20:21], s[8:9]
	s_cbranch_execz .LBB111_528
.LBB111_1197:
	ds_read_b32 v25, v25 offset:15872
	ds_read_b32 v24, v24 offset:8440
	s_waitcnt lgkmcnt(0)
	v_fmac_f32_e32 v22, v25, v24
	s_or_b64 exec, exec, s[20:21]
	v_cmp_gt_u32_e64 s[20:21], 32, v5
	s_and_saveexec_b64 s[22:23], s[20:21]
	s_cbranch_execnz .LBB111_529
	s_branch .LBB111_530
.LBB111_1198:
	ds_read_b32 v23, v22 offset:7520
	ds_read_b32 v24, v21 offset:7284
	s_waitcnt lgkmcnt(0)
	v_fmac_f32_e32 v20, v23, v24
	s_or_b64 exec, exec, s[16:17]
	v_cmp_gt_u32_e64 s[12:13], 8, v5
	s_and_saveexec_b64 s[16:17], s[12:13]
	s_cbranch_execz .LBB111_682
.LBB111_1199:
	ds_read_b32 v22, v22 offset:7776
	ds_read_b32 v21, v21 offset:7288
	s_waitcnt lgkmcnt(0)
	v_fmac_f32_e32 v20, v22, v21
	s_or_b64 exec, exec, s[16:17]
	v_cmp_gt_u32_e64 s[12:13], 4, v5
	s_and_saveexec_b64 s[16:17], s[12:13]
	s_cbranch_execnz .LBB111_683
	s_branch .LBB111_684
.LBB111_1200:
	ds_read_b32 v23, v22 offset:6464
	ds_read_b32 v24, v21 offset:6244
	s_waitcnt lgkmcnt(0)
	v_fmac_f32_e32 v20, v23, v24
	s_or_b64 exec, exec, s[16:17]
	v_cmp_gt_u32_e64 s[12:13], 48, v5
	s_and_saveexec_b64 s[16:17], s[12:13]
	s_cbranch_execz .LBB111_724
.LBB111_1201:
	ds_read_b32 v23, v22 offset:6720
	ds_read_b32 v24, v21 offset:6248
	s_waitcnt lgkmcnt(0)
	v_fmac_f32_e32 v20, v23, v24
	s_or_b64 exec, exec, s[16:17]
	v_cmp_gt_u32_e64 s[12:13], 40, v5
	s_and_saveexec_b64 s[16:17], s[12:13]
	s_cbranch_execz .LBB111_725
.LBB111_1202:
	ds_read_b32 v23, v22 offset:6976
	ds_read_b32 v24, v21 offset:6252
	s_waitcnt lgkmcnt(0)
	v_fmac_f32_e32 v20, v23, v24
	s_or_b64 exec, exec, s[16:17]
	v_cmp_gt_u32_e64 s[12:13], 32, v5
	s_and_saveexec_b64 s[16:17], s[12:13]
	s_cbranch_execz .LBB111_726
.LBB111_1203:
	ds_read_b32 v23, v22 offset:7232
	ds_read_b32 v24, v21 offset:6256
	s_waitcnt lgkmcnt(0)
	v_fmac_f32_e32 v20, v23, v24
	s_or_b64 exec, exec, s[16:17]
	v_cmp_gt_u32_e64 s[12:13], 24, v5
	s_and_saveexec_b64 s[16:17], s[12:13]
	s_cbranch_execz .LBB111_727
.LBB111_1204:
	ds_read_b32 v23, v22 offset:7488
	ds_read_b32 v24, v21 offset:6260
	s_waitcnt lgkmcnt(0)
	v_fmac_f32_e32 v20, v23, v24
	s_or_b64 exec, exec, s[16:17]
	s_and_saveexec_b64 s[12:13], s[18:19]
	s_cbranch_execz .LBB111_728
.LBB111_1205:
	ds_read_b32 v22, v22 offset:7744
	ds_read_b32 v21, v21 offset:6264
	s_waitcnt lgkmcnt(0)
	v_fmac_f32_e32 v20, v22, v21
	s_or_b64 exec, exec, s[12:13]
	v_cmp_gt_u32_e64 s[12:13], 8, v5
	s_and_saveexec_b64 s[16:17], s[12:13]
	s_cbranch_execnz .LBB111_729
	s_branch .LBB111_730
.LBB111_1206:
	ds_read_b32 v23, v22 offset:5440
	ds_read_b32 v24, v21 offset:5204
	s_waitcnt lgkmcnt(0)
	v_fmac_f32_e32 v20, v23, v24
	s_or_b64 exec, exec, s[16:17]
	v_cmp_gt_u32_e64 s[12:13], 8, v5
	s_and_saveexec_b64 s[16:17], s[12:13]
	s_cbranch_execz .LBB111_786
.LBB111_1207:
	ds_read_b32 v22, v22 offset:5696
	ds_read_b32 v21, v21 offset:5208
	s_waitcnt lgkmcnt(0)
	v_fmac_f32_e32 v20, v22, v21
	s_or_b64 exec, exec, s[16:17]
	v_cmp_gt_u32_e64 s[12:13], 4, v5
	s_and_saveexec_b64 s[16:17], s[12:13]
	s_cbranch_execnz .LBB111_787
	s_branch .LBB111_788
.LBB111_1208:
	ds_read_b32 v23, v22 offset:6912
	ds_read_b32 v24, v21 offset:4204
	s_waitcnt lgkmcnt(0)
	v_fmac_f32_e32 v20, v23, v24
	s_or_b64 exec, exec, s[16:17]
	s_and_saveexec_b64 s[12:13], s[8:9]
	s_cbranch_execz .LBB111_848
.LBB111_1209:
	ds_read_b32 v23, v22 offset:7168
	ds_read_b32 v24, v21 offset:4208
	s_waitcnt lgkmcnt(0)
	v_fmac_f32_e32 v20, v23, v24
	s_or_b64 exec, exec, s[12:13]
	v_cmp_gt_u32_e64 s[12:13], 48, v5
	s_and_saveexec_b64 s[16:17], s[12:13]
	s_cbranch_execz .LBB111_849
.LBB111_1210:
	ds_read_b32 v23, v22 offset:7424
	ds_read_b32 v24, v21 offset:4212
	s_waitcnt lgkmcnt(0)
	v_fmac_f32_e32 v20, v23, v24
	s_or_b64 exec, exec, s[16:17]
	v_cmp_gt_u32_e64 s[12:13], 32, v5
	s_and_saveexec_b64 s[16:17], s[12:13]
	s_cbranch_execz .LBB111_850
.LBB111_1211:
	ds_read_b32 v22, v22 offset:7680
	ds_read_b32 v21, v21 offset:4216
	s_waitcnt lgkmcnt(0)
	v_fmac_f32_e32 v20, v22, v21
	s_or_b64 exec, exec, s[16:17]
	v_cmp_gt_u32_e64 s[12:13], 16, v5
	s_and_saveexec_b64 s[16:17], s[12:13]
	s_cbranch_execnz .LBB111_851
	s_branch .LBB111_852
.LBB111_1212:
	ds_read_b32 v20, v19 offset:3360
	ds_read_b32 v21, v18 offset:3124
	s_waitcnt lgkmcnt(0)
	v_fmac_f32_e32 v17, v20, v21
	s_or_b64 exec, exec, s[12:13]
	v_cmp_gt_u32_e64 s[10:11], 8, v5
	s_and_saveexec_b64 s[12:13], s[10:11]
	s_cbranch_execz .LBB111_940
.LBB111_1213:
	ds_read_b32 v19, v19 offset:3616
	ds_read_b32 v18, v18 offset:3128
	s_waitcnt lgkmcnt(0)
	v_fmac_f32_e32 v17, v19, v18
	s_or_b64 exec, exec, s[12:13]
	v_cmp_gt_u32_e64 s[10:11], 4, v5
	s_and_saveexec_b64 s[12:13], s[10:11]
	s_cbranch_execnz .LBB111_941
	s_branch .LBB111_942
.LBB111_1214:
	ds_read_b32 v20, v19 offset:2304
	ds_read_b32 v21, v18 offset:2084
	s_waitcnt lgkmcnt(0)
	v_fmac_f32_e32 v17, v20, v21
	s_or_b64 exec, exec, s[12:13]
	v_cmp_gt_u32_e64 s[10:11], 48, v5
	s_and_saveexec_b64 s[12:13], s[10:11]
	s_cbranch_execz .LBB111_982
.LBB111_1215:
	ds_read_b32 v20, v19 offset:2560
	ds_read_b32 v21, v18 offset:2088
	s_waitcnt lgkmcnt(0)
	v_fmac_f32_e32 v17, v20, v21
	s_or_b64 exec, exec, s[12:13]
	v_cmp_gt_u32_e64 s[10:11], 40, v5
	s_and_saveexec_b64 s[12:13], s[10:11]
	s_cbranch_execz .LBB111_983
.LBB111_1216:
	ds_read_b32 v20, v19 offset:2816
	ds_read_b32 v21, v18 offset:2092
	s_waitcnt lgkmcnt(0)
	v_fmac_f32_e32 v17, v20, v21
	s_or_b64 exec, exec, s[12:13]
	v_cmp_gt_u32_e64 s[10:11], 32, v5
	s_and_saveexec_b64 s[12:13], s[10:11]
	s_cbranch_execz .LBB111_984
.LBB111_1217:
	ds_read_b32 v20, v19 offset:3072
	ds_read_b32 v21, v18 offset:2096
	s_waitcnt lgkmcnt(0)
	v_fmac_f32_e32 v17, v20, v21
	s_or_b64 exec, exec, s[12:13]
	v_cmp_gt_u32_e64 s[10:11], 24, v5
	s_and_saveexec_b64 s[12:13], s[10:11]
	s_cbranch_execz .LBB111_985
.LBB111_1218:
	ds_read_b32 v20, v19 offset:3328
	ds_read_b32 v21, v18 offset:2100
	s_waitcnt lgkmcnt(0)
	v_fmac_f32_e32 v17, v20, v21
	s_or_b64 exec, exec, s[12:13]
	s_and_saveexec_b64 s[10:11], s[18:19]
	s_cbranch_execz .LBB111_986
.LBB111_1219:
	ds_read_b32 v19, v19 offset:3584
	ds_read_b32 v18, v18 offset:2104
	s_waitcnt lgkmcnt(0)
	v_fmac_f32_e32 v17, v19, v18
	s_or_b64 exec, exec, s[10:11]
	v_cmp_gt_u32_e64 s[10:11], 8, v5
	s_and_saveexec_b64 s[12:13], s[10:11]
	s_cbranch_execnz .LBB111_987
	s_branch .LBB111_988
.LBB111_1220:
	ds_read_b32 v17, v16 offset:1280
	ds_read_b32 v18, v15 offset:1044
	s_waitcnt lgkmcnt(0)
	v_fmac_f32_e32 v14, v17, v18
	s_or_b64 exec, exec, s[10:11]
	v_cmp_gt_u32_e64 s[8:9], 8, v5
	s_and_saveexec_b64 s[10:11], s[8:9]
	s_cbranch_execz .LBB111_1044
.LBB111_1221:
	ds_read_b32 v16, v16 offset:1536
	ds_read_b32 v15, v15 offset:1048
	s_waitcnt lgkmcnt(0)
	v_fmac_f32_e32 v14, v16, v15
	s_or_b64 exec, exec, s[10:11]
	v_cmp_gt_u32_e64 s[8:9], 4, v5
	s_and_saveexec_b64 s[10:11], s[8:9]
	s_cbranch_execnz .LBB111_1045
	s_branch .LBB111_1046
	.section	.rodata,"a",@progbits
	.p2align	6, 0x0
	.amdhsa_kernel _ZL19rocblas_trsv_deviceILi64ELi16ELb0ELb1ELb1ELb1EffPKPKfPKPfEviT7_lllT6_T8_lllPii
		.amdhsa_group_segment_fixed_size 20740
		.amdhsa_private_segment_fixed_size 0
		.amdhsa_kernarg_size 352
		.amdhsa_user_sgpr_count 6
		.amdhsa_user_sgpr_private_segment_buffer 1
		.amdhsa_user_sgpr_dispatch_ptr 0
		.amdhsa_user_sgpr_queue_ptr 0
		.amdhsa_user_sgpr_kernarg_segment_ptr 1
		.amdhsa_user_sgpr_dispatch_id 0
		.amdhsa_user_sgpr_flat_scratch_init 0
		.amdhsa_user_sgpr_private_segment_size 0
		.amdhsa_uses_dynamic_stack 0
		.amdhsa_system_sgpr_private_segment_wavefront_offset 0
		.amdhsa_system_sgpr_workgroup_id_x 1
		.amdhsa_system_sgpr_workgroup_id_y 0
		.amdhsa_system_sgpr_workgroup_id_z 1
		.amdhsa_system_sgpr_workgroup_info 0
		.amdhsa_system_vgpr_workitem_id 1
		.amdhsa_next_free_vgpr 29
		.amdhsa_next_free_sgpr 96
		.amdhsa_reserve_vcc 1
		.amdhsa_reserve_flat_scratch 0
		.amdhsa_float_round_mode_32 0
		.amdhsa_float_round_mode_16_64 0
		.amdhsa_float_denorm_mode_32 3
		.amdhsa_float_denorm_mode_16_64 3
		.amdhsa_dx10_clamp 1
		.amdhsa_ieee_mode 1
		.amdhsa_fp16_overflow 0
		.amdhsa_exception_fp_ieee_invalid_op 0
		.amdhsa_exception_fp_denorm_src 0
		.amdhsa_exception_fp_ieee_div_zero 0
		.amdhsa_exception_fp_ieee_overflow 0
		.amdhsa_exception_fp_ieee_underflow 0
		.amdhsa_exception_fp_ieee_inexact 0
		.amdhsa_exception_int_div_zero 0
	.end_amdhsa_kernel
	.section	.text._ZL19rocblas_trsv_deviceILi64ELi16ELb0ELb1ELb1ELb1EffPKPKfPKPfEviT7_lllT6_T8_lllPii,"axG",@progbits,_ZL19rocblas_trsv_deviceILi64ELi16ELb0ELb1ELb1ELb1EffPKPKfPKPfEviT7_lllT6_T8_lllPii,comdat
.Lfunc_end111:
	.size	_ZL19rocblas_trsv_deviceILi64ELi16ELb0ELb1ELb1ELb1EffPKPKfPKPfEviT7_lllT6_T8_lllPii, .Lfunc_end111-_ZL19rocblas_trsv_deviceILi64ELi16ELb0ELb1ELb1ELb1EffPKPKfPKPfEviT7_lllT6_T8_lllPii
                                        ; -- End function
	.set _ZL19rocblas_trsv_deviceILi64ELi16ELb0ELb1ELb1ELb1EffPKPKfPKPfEviT7_lllT6_T8_lllPii.num_vgpr, 29
	.set _ZL19rocblas_trsv_deviceILi64ELi16ELb0ELb1ELb1ELb1EffPKPKfPKPfEviT7_lllT6_T8_lllPii.num_agpr, 0
	.set _ZL19rocblas_trsv_deviceILi64ELi16ELb0ELb1ELb1ELb1EffPKPKfPKPfEviT7_lllT6_T8_lllPii.numbered_sgpr, 96
	.set _ZL19rocblas_trsv_deviceILi64ELi16ELb0ELb1ELb1ELb1EffPKPKfPKPfEviT7_lllT6_T8_lllPii.num_named_barrier, 0
	.set _ZL19rocblas_trsv_deviceILi64ELi16ELb0ELb1ELb1ELb1EffPKPKfPKPfEviT7_lllT6_T8_lllPii.private_seg_size, 0
	.set _ZL19rocblas_trsv_deviceILi64ELi16ELb0ELb1ELb1ELb1EffPKPKfPKPfEviT7_lllT6_T8_lllPii.uses_vcc, 1
	.set _ZL19rocblas_trsv_deviceILi64ELi16ELb0ELb1ELb1ELb1EffPKPKfPKPfEviT7_lllT6_T8_lllPii.uses_flat_scratch, 0
	.set _ZL19rocblas_trsv_deviceILi64ELi16ELb0ELb1ELb1ELb1EffPKPKfPKPfEviT7_lllT6_T8_lllPii.has_dyn_sized_stack, 0
	.set _ZL19rocblas_trsv_deviceILi64ELi16ELb0ELb1ELb1ELb1EffPKPKfPKPfEviT7_lllT6_T8_lllPii.has_recursion, 0
	.set _ZL19rocblas_trsv_deviceILi64ELi16ELb0ELb1ELb1ELb1EffPKPKfPKPfEviT7_lllT6_T8_lllPii.has_indirect_call, 0
	.section	.AMDGPU.csdata,"",@progbits
; Kernel info:
; codeLenInByte = 35084
; TotalNumSgprs: 100
; NumVgprs: 29
; ScratchSize: 0
; MemoryBound: 0
; FloatMode: 240
; IeeeMode: 1
; LDSByteSize: 20740 bytes/workgroup (compile time only)
; SGPRBlocks: 12
; VGPRBlocks: 7
; NumSGPRsForWavesPerEU: 100
; NumVGPRsForWavesPerEU: 29
; Occupancy: 8
; WaveLimiterHint : 1
; COMPUTE_PGM_RSRC2:SCRATCH_EN: 0
; COMPUTE_PGM_RSRC2:USER_SGPR: 6
; COMPUTE_PGM_RSRC2:TRAP_HANDLER: 0
; COMPUTE_PGM_RSRC2:TGID_X_EN: 1
; COMPUTE_PGM_RSRC2:TGID_Y_EN: 0
; COMPUTE_PGM_RSRC2:TGID_Z_EN: 1
; COMPUTE_PGM_RSRC2:TIDIG_COMP_CNT: 1
	.section	.text._ZL19rocblas_trsv_deviceILi64ELi16ELb0ELb0ELb0ELb0EffPKPKfPKPfEviT7_lllT6_T8_lllPii,"axG",@progbits,_ZL19rocblas_trsv_deviceILi64ELi16ELb0ELb0ELb0ELb0EffPKPKfPKPfEviT7_lllT6_T8_lllPii,comdat
	.globl	_ZL19rocblas_trsv_deviceILi64ELi16ELb0ELb0ELb0ELb0EffPKPKfPKPfEviT7_lllT6_T8_lllPii ; -- Begin function _ZL19rocblas_trsv_deviceILi64ELi16ELb0ELb0ELb0ELb0EffPKPKfPKPfEviT7_lllT6_T8_lllPii
	.p2align	8
	.type	_ZL19rocblas_trsv_deviceILi64ELi16ELb0ELb0ELb0ELb0EffPKPKfPKPfEviT7_lllT6_T8_lllPii,@function
_ZL19rocblas_trsv_deviceILi64ELi16ELb0ELb0ELb0ELb0EffPKPKfPKPfEviT7_lllT6_T8_lllPii: ; @_ZL19rocblas_trsv_deviceILi64ELi16ELb0ELb0ELb0ELb0EffPKPKfPKPfEviT7_lllT6_T8_lllPii
; %bb.0:
	s_load_dwordx4 s[0:3], s[4:5], 0x8
	s_mov_b32 s20, s7
	s_mov_b32 s21, 0
	s_lshl_b64 s[8:9], s[20:21], 3
	v_mov_b32_e32 v2, v1
	s_waitcnt lgkmcnt(0)
	s_add_u32 s0, s0, s8
	s_addc_u32 s1, s1, s9
	s_load_dwordx2 s[10:11], s[0:1], 0x0
	s_load_dword s22, s[4:5], 0x0
	s_load_dwordx2 s[24:25], s[4:5], 0x18
	s_load_dwordx4 s[12:15], s[4:5], 0x30
	s_lshl_b64 s[0:1], s[2:3], 2
	s_waitcnt lgkmcnt(0)
	s_add_u32 s93, s10, s0
	s_addc_u32 s94, s11, s1
	s_load_dword s7, s[4:5], 0x60
	s_add_u32 s0, s12, s8
	s_addc_u32 s1, s13, s9
	s_load_dwordx2 s[30:31], s[0:1], 0x0
	s_load_dword s18, s[4:5], 0x6c
	s_waitcnt lgkmcnt(0)
	s_add_i32 s7, s7, -1
	s_sub_i32 s95, s7, s6
	s_cmp_lg_u32 s6, 0
	s_cbranch_scc0 .LBB112_1102
; %bb.1:
	s_lshl_b32 s33, s95, 6
	v_add3_u32 v1, v2, s33, 64
	v_ashrrev_i32_e32 v3, 31, v1
	v_mul_lo_u32 v7, s24, v3
	v_mul_lo_u32 v8, s25, v1
	v_mad_u64_u32 v[3:4], s[0:1], s24, v1, 0
	v_add_u32_e32 v5, s33, v0
	v_ashrrev_i32_e32 v6, 31, v5
	v_add3_u32 v4, v4, v7, v8
	v_lshlrev_b64 v[3:4], 2, v[3:4]
	v_mov_b32_e32 v7, s94
	v_add_co_u32_e64 v8, s[0:1], s93, v3
	v_addc_co_u32_e64 v7, s[0:1], v7, v4, s[0:1]
	v_lshlrev_b64 v[3:4], 2, v[5:6]
	v_cmp_gt_i32_e32 vcc, s22, v5
	v_add_co_u32_e64 v3, s[0:1], v8, v3
	v_addc_co_u32_e64 v4, s[0:1], v7, v4, s[0:1]
	v_cmp_gt_i32_e64 s[0:1], s22, v1
	s_and_b64 s[2:3], vcc, s[0:1]
	v_mov_b32_e32 v8, 0
	v_mov_b32_e32 v7, 0
	s_barrier
	s_and_saveexec_b64 s[0:1], s[2:3]
	s_cbranch_execz .LBB112_3
; %bb.2:
	flat_load_dword v7, v[3:4]
.LBB112_3:
	s_or_b64 exec, exec, s[0:1]
	v_add_u32_e32 v5, 16, v1
	v_cmp_gt_i32_e64 s[0:1], s22, v5
	s_and_b64 s[0:1], vcc, s[0:1]
	s_waitcnt vmcnt(0) lgkmcnt(0)
	s_barrier
	s_and_saveexec_b64 s[2:3], s[0:1]
	s_cbranch_execz .LBB112_5
; %bb.4:
	s_lshl_b64 s[0:1], s[24:25], 6
	v_mov_b32_e32 v6, s1
	v_add_co_u32_e64 v5, s[0:1], s0, v3
	v_addc_co_u32_e64 v6, s[0:1], v4, v6, s[0:1]
	flat_load_dword v8, v[5:6]
.LBB112_5:
	s_or_b64 exec, exec, s[2:3]
	v_add_u32_e32 v5, 32, v1
	v_cmp_gt_i32_e64 s[0:1], s22, v5
	s_and_b64 s[0:1], vcc, s[0:1]
	v_mov_b32_e32 v9, 0
	v_mov_b32_e32 v10, 0
	s_waitcnt vmcnt(0) lgkmcnt(0)
	s_barrier
	s_and_saveexec_b64 s[2:3], s[0:1]
	s_cbranch_execz .LBB112_7
; %bb.6:
	s_lshl_b64 s[0:1], s[24:25], 7
	v_mov_b32_e32 v6, s1
	v_add_co_u32_e64 v5, s[0:1], s0, v3
	v_addc_co_u32_e64 v6, s[0:1], v4, v6, s[0:1]
	flat_load_dword v10, v[5:6]
.LBB112_7:
	s_or_b64 exec, exec, s[2:3]
	v_add_u32_e32 v1, 48, v1
	v_cmp_gt_i32_e64 s[0:1], s22, v1
	s_and_b64 s[2:3], vcc, s[0:1]
	s_waitcnt vmcnt(0) lgkmcnt(0)
	s_barrier
	s_and_saveexec_b64 s[0:1], s[2:3]
	s_cbranch_execz .LBB112_9
; %bb.8:
	v_mov_b32_e32 v1, 0xc0
	v_mad_u64_u32 v[3:4], s[2:3], s24, v1, v[3:4]
	s_mul_i32 s2, s25, 0xc0
	v_add_u32_e32 v4, s2, v4
	flat_load_dword v9, v[3:4]
.LBB112_9:
	s_or_b64 exec, exec, s[0:1]
	s_branch .LBB112_11
.LBB112_10:
	s_lshl_b32 s33, s95, 6
                                        ; implicit-def: $vgpr7
                                        ; implicit-def: $vgpr8
                                        ; implicit-def: $vgpr10
                                        ; implicit-def: $vgpr9
.LBB112_11:
	s_ashr_i32 s23, s22, 31
	s_lshr_b32 s0, s23, 26
	s_add_i32 s0, s22, s0
	s_andn2_b32 s0, s0, 63
	s_sub_i32 s92, s22, s0
	s_add_i32 s0, s22, -1
	s_ashr_i32 s1, s0, 31
	s_lshr_b32 s1, s1, 26
	s_add_i32 s0, s0, s1
	s_ashr_i32 s0, s0, 6
	s_cmp_eq_u32 s0, s95
	s_cselect_b64 s[0:1], -1, 0
	s_cmp_lg_u32 s92, 0
	s_cselect_b64 s[2:3], -1, 0
	s_and_b64 s[26:27], s[2:3], s[0:1]
	s_ashr_i32 s52, s33, 31
	s_add_u32 s8, s24, 1
	v_mov_b32_e32 v1, 0
	v_mov_b32_e32 v3, s33
	v_mad_u64_u32 v[3:4], s[0:1], s8, v3, v[0:1]
	s_addc_u32 s9, s25, 0
	s_mul_i32 s0, s8, s52
	s_mul_i32 s9, s9, s33
	s_add_i32 s0, s0, s9
	s_mov_b64 s[2:3], -1
	v_add_u32_e32 v4, s0, v4
	s_and_b64 vcc, exec, s[26:27]
	v_cmp_le_u32_e64 s[0:1], v2, v0
	s_cbranch_vccnz .LBB112_33
; %bb.12:
	v_mad_u64_u32 v[5:6], s[2:3], s24, v2, v[3:4]
	v_mov_b32_e32 v1, v6
	v_mad_u64_u32 v[11:12], s[2:3], s25, v2, v[1:2]
	s_mov_b64 s[2:3], 0
                                        ; implicit-def: $vgpr1
	v_mov_b32_e32 v6, v11
	s_and_saveexec_b64 s[8:9], s[0:1]
	s_xor_b64 s[0:1], exec, s[8:9]
	s_cbranch_execnz .LBB112_1103
; %bb.13:
	s_andn2_saveexec_b64 s[0:1], s[0:1]
	s_cbranch_execnz .LBB112_1108
.LBB112_14:
	s_or_b64 exec, exec, s[0:1]
	s_and_saveexec_b64 s[0:1], s[2:3]
.LBB112_15:
	v_lshlrev_b32_e32 v5, 2, v0
	v_lshl_add_u32 v5, v2, 8, v5
	ds_write_b32 v5, v1
.LBB112_16:
	s_or_b64 exec, exec, s[0:1]
	v_add_u32_e32 v1, 16, v2
	v_mad_u64_u32 v[5:6], s[0:1], s24, v1, v[3:4]
	v_cmp_le_u32_e32 vcc, v1, v0
	s_mov_b64 s[2:3], 0
	v_mad_u64_u32 v[11:12], s[0:1], s25, v1, v[6:7]
	v_mov_b32_e32 v6, v11
                                        ; implicit-def: $vgpr11
	s_and_saveexec_b64 s[0:1], vcc
	s_xor_b64 s[0:1], exec, s[0:1]
	s_cbranch_execnz .LBB112_1109
; %bb.17:
	s_andn2_saveexec_b64 s[0:1], s[0:1]
	s_cbranch_execnz .LBB112_1114
.LBB112_18:
	s_or_b64 exec, exec, s[0:1]
	s_and_saveexec_b64 s[0:1], s[2:3]
.LBB112_19:
	v_lshlrev_b32_e32 v5, 2, v0
	v_lshl_add_u32 v1, v1, 8, v5
	ds_write_b32 v1, v11
.LBB112_20:
	s_or_b64 exec, exec, s[0:1]
	v_add_u32_e32 v1, 32, v2
	v_mad_u64_u32 v[5:6], s[0:1], s24, v1, v[3:4]
	v_cmp_le_u32_e32 vcc, v1, v0
	s_mov_b64 s[2:3], 0
	v_mad_u64_u32 v[11:12], s[0:1], s25, v1, v[6:7]
	v_mov_b32_e32 v6, v11
                                        ; implicit-def: $vgpr11
	s_and_saveexec_b64 s[0:1], vcc
	s_xor_b64 s[0:1], exec, s[0:1]
	s_cbranch_execnz .LBB112_1115
; %bb.21:
	s_andn2_saveexec_b64 s[0:1], s[0:1]
	s_cbranch_execnz .LBB112_1120
.LBB112_22:
	s_or_b64 exec, exec, s[0:1]
	s_and_saveexec_b64 s[0:1], s[2:3]
.LBB112_23:
	v_lshlrev_b32_e32 v5, 2, v0
	v_lshl_add_u32 v1, v1, 8, v5
	ds_write_b32 v1, v11
.LBB112_24:
	s_or_b64 exec, exec, s[0:1]
	v_add_u32_e32 v1, 48, v2
	v_mad_u64_u32 v[5:6], s[0:1], s24, v1, v[3:4]
	v_cmp_le_u32_e32 vcc, v1, v0
	s_mov_b64 s[8:9], 0
	v_mad_u64_u32 v[11:12], s[0:1], s25, v1, v[6:7]
	v_mov_b32_e32 v6, v11
                                        ; implicit-def: $vgpr11
	s_and_saveexec_b64 s[0:1], vcc
	s_xor_b64 s[0:1], exec, s[0:1]
	s_cbranch_execz .LBB112_30
; %bb.25:
	v_cmp_ne_u32_e32 vcc, v0, v1
	s_mov_b64 s[2:3], 0
	s_and_saveexec_b64 s[8:9], vcc
	s_xor_b64 s[8:9], exec, s[8:9]
; %bb.26:
	v_or_b32_e32 v5, v1, v0
	v_cmp_gt_u32_e32 vcc, 64, v5
	s_and_b64 s[2:3], vcc, exec
                                        ; implicit-def: $vgpr5_vgpr6
; %bb.27:
	s_or_saveexec_b64 s[8:9], s[8:9]
	v_mov_b32_e32 v11, 0
	s_xor_b64 exec, exec, s[8:9]
	s_cbranch_execz .LBB112_29
; %bb.28:
	v_lshlrev_b64 v[5:6], 2, v[5:6]
	v_mov_b32_e32 v1, s94
	v_add_co_u32_e32 v5, vcc, s93, v5
	v_addc_co_u32_e32 v6, vcc, v1, v6, vcc
	flat_load_dword v1, v[5:6]
	s_or_b64 s[2:3], s[2:3], exec
	s_waitcnt vmcnt(0) lgkmcnt(0)
	v_div_scale_f32 v5, s[10:11], v1, v1, 1.0
	v_div_scale_f32 v6, vcc, 1.0, v1, 1.0
	v_rcp_f32_e32 v11, v5
	v_fma_f32 v12, -v5, v11, 1.0
	v_fmac_f32_e32 v11, v12, v11
	v_mul_f32_e32 v12, v6, v11
	v_fma_f32 v13, -v5, v12, v6
	v_fmac_f32_e32 v12, v13, v11
	v_fma_f32 v5, -v5, v12, v6
	v_div_fmas_f32 v5, v5, v11, v12
	v_div_fixup_f32 v11, v5, v1, 1.0
	v_mov_b32_e32 v1, v0
.LBB112_29:
	s_or_b64 exec, exec, s[8:9]
	s_and_b64 s[8:9], s[2:3], exec
                                        ; implicit-def: $vgpr5_vgpr6
.LBB112_30:
	s_andn2_saveexec_b64 s[0:1], s[0:1]
	s_cbranch_execz .LBB112_32
; %bb.31:
	v_lshlrev_b64 v[5:6], 2, v[5:6]
	v_mov_b32_e32 v11, s94
	v_add_co_u32_e32 v5, vcc, s93, v5
	v_addc_co_u32_e32 v6, vcc, v11, v6, vcc
	flat_load_dword v5, v[5:6]
	s_or_b64 s[8:9], s[8:9], exec
	s_waitcnt vmcnt(0) lgkmcnt(0)
	v_xor_b32_e32 v11, 0x80000000, v5
.LBB112_32:
	s_or_b64 exec, exec, s[0:1]
	s_load_dwordx2 s[28:29], s[4:5], 0x40
	s_branch .LBB112_55
.LBB112_33:
	s_mov_b64 s[8:9], 0
                                        ; implicit-def: $vgpr11
                                        ; implicit-def: $vgpr1
	s_load_dwordx2 s[28:29], s[4:5], 0x40
	s_and_b64 vcc, exec, s[2:3]
	s_cbranch_vccz .LBB112_55
; %bb.34:
	v_mad_u64_u32 v[5:6], s[0:1], s24, v2, v[3:4]
	v_cmp_le_u32_e32 vcc, v2, v0
	v_cmp_gt_i32_e64 s[0:1], s92, v0
	v_mov_b32_e32 v1, v6
	v_mad_u64_u32 v[11:12], s[2:3], s25, v2, v[1:2]
	v_max_i32_e32 v1, v2, v0
	v_cmp_le_i32_e64 s[2:3], s92, v1
	v_mov_b32_e32 v6, v11
	s_or_b64 s[2:3], s[2:3], vcc
	s_mov_b64 s[10:11], 0
                                        ; implicit-def: $vgpr1
	s_and_saveexec_b64 s[12:13], s[2:3]
	s_xor_b64 s[2:3], exec, s[12:13]
	s_cbranch_execnz .LBB112_1121
; %bb.35:
	s_andn2_saveexec_b64 s[2:3], s[2:3]
	s_cbranch_execnz .LBB112_1126
.LBB112_36:
	s_or_b64 exec, exec, s[2:3]
	s_and_saveexec_b64 s[2:3], s[10:11]
.LBB112_37:
	v_lshlrev_b32_e32 v5, 2, v0
	v_lshl_add_u32 v5, v2, 8, v5
	ds_write_b32 v5, v1
.LBB112_38:
	s_or_b64 exec, exec, s[2:3]
	v_add_u32_e32 v1, 16, v2
	v_mad_u64_u32 v[5:6], s[2:3], s24, v1, v[3:4]
	v_cmp_gt_u32_e32 vcc, v1, v0
	s_mov_b64 s[10:11], 0
	v_mad_u64_u32 v[11:12], s[2:3], s25, v1, v[6:7]
	v_cmp_gt_i32_e64 s[2:3], s92, v1
	s_and_b64 s[2:3], vcc, s[2:3]
	s_and_b64 s[2:3], s[0:1], s[2:3]
	v_mov_b32_e32 v6, v11
	s_xor_b64 s[2:3], s[2:3], -1
                                        ; implicit-def: $vgpr11
	s_and_saveexec_b64 s[12:13], s[2:3]
	s_xor_b64 s[2:3], exec, s[12:13]
	s_cbranch_execnz .LBB112_1127
; %bb.39:
	s_andn2_saveexec_b64 s[2:3], s[2:3]
	s_cbranch_execnz .LBB112_1132
.LBB112_40:
	s_or_b64 exec, exec, s[2:3]
	s_and_saveexec_b64 s[2:3], s[10:11]
.LBB112_41:
	v_lshlrev_b32_e32 v5, 2, v0
	v_lshl_add_u32 v1, v1, 8, v5
	ds_write_b32 v1, v11
.LBB112_42:
	s_or_b64 exec, exec, s[2:3]
	v_add_u32_e32 v1, 32, v2
	v_mad_u64_u32 v[5:6], s[2:3], s24, v1, v[3:4]
	v_cmp_gt_u32_e32 vcc, v1, v0
	s_mov_b64 s[10:11], 0
	v_mad_u64_u32 v[11:12], s[2:3], s25, v1, v[6:7]
	v_cmp_gt_i32_e64 s[2:3], s92, v1
	s_and_b64 s[2:3], vcc, s[2:3]
	s_and_b64 s[2:3], s[0:1], s[2:3]
	v_mov_b32_e32 v6, v11
	s_xor_b64 s[2:3], s[2:3], -1
                                        ; implicit-def: $vgpr11
	s_and_saveexec_b64 s[12:13], s[2:3]
	s_xor_b64 s[2:3], exec, s[12:13]
	s_cbranch_execnz .LBB112_1133
; %bb.43:
	s_andn2_saveexec_b64 s[2:3], s[2:3]
	s_cbranch_execnz .LBB112_1138
.LBB112_44:
	s_or_b64 exec, exec, s[2:3]
	s_and_saveexec_b64 s[2:3], s[10:11]
.LBB112_45:
	v_lshlrev_b32_e32 v5, 2, v0
	v_lshl_add_u32 v1, v1, 8, v5
	ds_write_b32 v1, v11
.LBB112_46:
	s_or_b64 exec, exec, s[2:3]
	v_add_u32_e32 v1, 48, v2
	v_mad_u64_u32 v[3:4], s[2:3], s24, v1, v[3:4]
	v_cmp_gt_u32_e32 vcc, v1, v0
                                        ; implicit-def: $vgpr11
	v_mad_u64_u32 v[4:5], s[2:3], s25, v1, v[4:5]
	v_cmp_gt_i32_e64 s[2:3], s92, v1
	s_and_b64 s[2:3], vcc, s[2:3]
	s_and_b64 s[2:3], s[0:1], s[2:3]
	s_xor_b64 s[2:3], s[2:3], -1
	s_and_saveexec_b64 s[10:11], s[2:3]
	s_xor_b64 s[2:3], exec, s[10:11]
	s_cbranch_execz .LBB112_52
; %bb.47:
	v_cmp_ne_u32_e32 vcc, v0, v1
	s_xor_b64 s[0:1], s[0:1], -1
	s_or_b64 s[10:11], s[0:1], vcc
	s_mov_b64 s[0:1], s[8:9]
	s_and_saveexec_b64 s[12:13], s[10:11]
	s_xor_b64 s[10:11], exec, s[12:13]
; %bb.48:
	v_or_b32_e32 v3, v1, v0
	v_cmp_gt_u32_e32 vcc, 64, v3
	s_andn2_b64 s[0:1], s[8:9], exec
	s_and_b64 s[12:13], vcc, exec
	s_or_b64 s[0:1], s[0:1], s[12:13]
                                        ; implicit-def: $vgpr3_vgpr4
; %bb.49:
	s_or_saveexec_b64 s[10:11], s[10:11]
	v_mov_b32_e32 v11, 0
	s_xor_b64 exec, exec, s[10:11]
	s_cbranch_execz .LBB112_51
; %bb.50:
	v_lshlrev_b64 v[3:4], 2, v[3:4]
	v_mov_b32_e32 v1, s94
	v_add_co_u32_e32 v3, vcc, s93, v3
	v_addc_co_u32_e32 v4, vcc, v1, v4, vcc
	flat_load_dword v1, v[3:4]
	s_or_b64 s[0:1], s[0:1], exec
	s_waitcnt vmcnt(0) lgkmcnt(0)
	v_div_scale_f32 v3, s[12:13], v1, v1, 1.0
	v_div_scale_f32 v4, vcc, 1.0, v1, 1.0
	v_rcp_f32_e32 v5, v3
	v_fma_f32 v6, -v3, v5, 1.0
	v_fmac_f32_e32 v5, v6, v5
	v_mul_f32_e32 v6, v4, v5
	v_fma_f32 v11, -v3, v6, v4
	v_fmac_f32_e32 v6, v11, v5
	v_fma_f32 v3, -v3, v6, v4
	v_div_fmas_f32 v3, v3, v5, v6
	v_div_fixup_f32 v11, v3, v1, 1.0
	v_mov_b32_e32 v1, v0
.LBB112_51:
	s_or_b64 exec, exec, s[10:11]
	s_andn2_b64 s[8:9], s[8:9], exec
	s_and_b64 s[0:1], s[0:1], exec
	s_or_b64 s[8:9], s[8:9], s[0:1]
                                        ; implicit-def: $vgpr3_vgpr4
.LBB112_52:
	s_andn2_saveexec_b64 s[0:1], s[2:3]
	s_cbranch_execz .LBB112_54
; %bb.53:
	v_lshlrev_b64 v[3:4], 2, v[3:4]
	v_mov_b32_e32 v5, s94
	v_add_co_u32_e32 v3, vcc, s93, v3
	v_addc_co_u32_e32 v4, vcc, v5, v4, vcc
	flat_load_dword v3, v[3:4]
	s_or_b64 s[8:9], s[8:9], exec
	s_waitcnt vmcnt(0) lgkmcnt(0)
	v_xor_b32_e32 v11, 0x80000000, v3
.LBB112_54:
	s_or_b64 exec, exec, s[0:1]
.LBB112_55:
	s_and_saveexec_b64 s[0:1], s[8:9]
; %bb.56:
	v_lshlrev_b32_e32 v3, 2, v0
	v_lshl_add_u32 v1, v1, 8, v3
	ds_write_b32 v1, v11
; %bb.57:
	s_or_b64 exec, exec, s[0:1]
	s_cmp_lt_i32 s6, 5
	s_cselect_b64 s[0:1], -1, 0
	s_or_b64 s[34:35], s[0:1], s[26:27]
	s_and_b64 vcc, exec, s[34:35]
	s_waitcnt vmcnt(0) lgkmcnt(0)
	s_barrier
	s_cbranch_vccnz .LBB112_1033
; %bb.58:
	v_or_b32_e32 v1, v0, v2
	v_cmp_eq_u32_e32 vcc, 0, v1
	s_and_saveexec_b64 s[0:1], vcc
	s_cbranch_execz .LBB112_60
; %bb.59:
	v_mov_b32_e32 v1, 0
	ds_read_b64 v[3:4], v1 offset:16376
	ds_read_b32 v5, v1 offset:16120
	s_waitcnt lgkmcnt(0)
	v_mul_f32_e32 v4, v5, v4
	v_mul_f32_e32 v3, v3, v4
	ds_write_b32 v1, v3 offset:16376
.LBB112_60:
	s_or_b64 exec, exec, s[0:1]
	v_lshlrev_b32_e32 v3, 6, v2
	v_add_u32_e32 v5, v3, v0
	v_and_b32_e32 v4, v3, v0
	v_xor_b32_e32 v3, v3, v0
	v_lshrrev_b16_e32 v3, 1, v3
	v_add_u16_e32 v4, v4, v3
	v_and_b32_e32 v1, 1, v0
	v_sub_u32_e32 v3, 1, v4
	v_cmp_lt_u32_e64 s[2:3], 3, v5
	v_cmp_gt_u32_e64 s[0:1], 4, v5
	v_mov_b32_e32 v6, 0
	s_waitcnt lgkmcnt(0)
	s_barrier
	buffer_wbinvl1_vol
	s_and_saveexec_b64 s[10:11], s[0:1]
	s_cbranch_execz .LBB112_64
; %bb.61:
	v_lshlrev_b32_e32 v6, 8, v3
	v_lshlrev_b32_e32 v11, 2, v1
	ds_read_b32 v12, v11 offset:16112
	ds_read_b32 v6, v6 offset:16120
	v_mov_b32_e32 v11, 0
	v_cmp_gt_u32_e64 s[8:9], 2, v5
	s_waitcnt lgkmcnt(0)
	v_fma_f32 v6, v12, v6, 0
	s_and_saveexec_b64 s[12:13], s[8:9]
	s_cbranch_execz .LBB112_63
; %bb.62:
	v_lshlrev_b32_e32 v12, 2, v0
	ds_read_b32 v12, v12 offset:16368
	ds_read_b32 v11, v11 offset:16380
	s_waitcnt lgkmcnt(0)
	v_fmac_f32_e32 v6, v12, v11
.LBB112_63:
	s_or_b64 exec, exec, s[12:13]
.LBB112_64:
	s_or_b64 exec, exec, s[10:11]
	v_mov_b32_e32 v11, 0x4000
	v_cmp_ne_u32_e64 s[8:9], 0, v1
	s_xor_b64 s[10:11], s[2:3], -1
	v_lshl_add_u32 v4, v4, 2, v11
	s_and_b64 s[38:39], s[8:9], s[10:11]
	s_and_saveexec_b64 s[2:3], s[38:39]
	s_cbranch_execz .LBB112_66
; %bb.65:
	v_mov_b32_e32 v11, 0
	ds_read_b32 v11, v11 offset:15860
	s_waitcnt lgkmcnt(0)
	v_mul_f32_e32 v6, v6, v11
	v_xor_b32_e32 v11, 0x80000000, v6
	ds_write_b32 v4, v11
.LBB112_66:
	s_or_b64 exec, exec, s[2:3]
	v_cmp_eq_u32_e64 s[2:3], 0, v1
	s_and_b64 s[36:37], s[2:3], s[10:11]
	s_waitcnt lgkmcnt(0)
	s_barrier
	s_and_saveexec_b64 s[2:3], s[36:37]
	s_cbranch_execz .LBB112_68
; %bb.67:
	v_mov_b32_e32 v11, 0
	ds_read_b32 v11, v11 offset:15856
	ds_read_b32 v12, v4
	s_waitcnt lgkmcnt(0)
	v_fma_f32 v6, -v11, v12, v6
.LBB112_68:
	s_or_b64 exec, exec, s[2:3]
	s_barrier
	s_and_saveexec_b64 s[2:3], s[36:37]
	s_cbranch_execz .LBB112_70
; %bb.69:
	v_mov_b32_e32 v11, 0
	ds_read_b32 v11, v11 offset:15600
	s_waitcnt lgkmcnt(0)
	v_mul_f32_e32 v6, v6, v11
	v_xor_b32_e32 v11, 0x80000000, v6
	ds_write_b32 v4, v11
.LBB112_70:
	s_or_b64 exec, exec, s[2:3]
	s_waitcnt lgkmcnt(0)
	s_barrier
	s_barrier
	s_and_saveexec_b64 s[2:3], s[0:1]
; %bb.71:
	v_lshlrev_b32_e32 v11, 2, v1
	v_lshl_or_b32 v11, v3, 8, v11
	ds_write_b32 v11, v6 offset:16112
; %bb.72:
	s_or_b64 exec, exec, s[2:3]
	s_waitcnt lgkmcnt(0)
	s_barrier
	s_barrier
	s_and_saveexec_b64 s[2:3], vcc
	s_cbranch_execz .LBB112_74
; %bb.73:
	v_mov_b32_e32 v6, 0
	ds_read_b64 v[11:12], v6 offset:15856
	ds_read_b32 v13, v6 offset:15600
	s_waitcnt lgkmcnt(0)
	v_mul_f32_e32 v12, v13, v12
	v_mul_f32_e32 v11, v11, v12
	ds_write_b32 v6, v11 offset:15856
.LBB112_74:
	s_or_b64 exec, exec, s[2:3]
	v_lshrrev_b32_e32 v12, 2, v5
	v_and_b32_e32 v6, 3, v0
	v_sub_u32_e32 v11, 3, v12
	v_cmp_lt_u32_e64 s[8:9], 15, v5
	v_cmp_gt_u32_e64 s[2:3], 16, v5
	v_mov_b32_e32 v13, 0
	s_waitcnt lgkmcnt(0)
	s_barrier
	buffer_wbinvl1_vol
	s_and_saveexec_b64 s[12:13], s[2:3]
	s_cbranch_execz .LBB112_80
; %bb.75:
	v_lshlrev_b32_e32 v15, 2, v6
	v_lshlrev_b32_e32 v14, 8, v11
	ds_read_b32 v13, v15 offset:15584
	ds_read_b32 v16, v14 offset:15600
	v_cmp_gt_u32_e64 s[10:11], 12, v5
	s_waitcnt lgkmcnt(0)
	v_fma_f32 v13, v13, v16, 0
	s_and_saveexec_b64 s[14:15], s[10:11]
	s_cbranch_execnz .LBB112_1143
; %bb.76:
	s_or_b64 exec, exec, s[14:15]
	v_cmp_gt_u32_e64 s[10:11], 8, v5
	s_and_saveexec_b64 s[14:15], s[10:11]
	s_cbranch_execnz .LBB112_1144
.LBB112_77:
	s_or_b64 exec, exec, s[14:15]
	v_cmp_gt_u32_e64 s[10:11], 4, v5
	s_and_saveexec_b64 s[14:15], s[10:11]
	s_cbranch_execz .LBB112_79
.LBB112_78:
	v_lshlrev_b32_e32 v14, 2, v0
	v_mov_b32_e32 v15, 0
	ds_read_b32 v14, v14 offset:16352
	ds_read_b32 v15, v15 offset:16380
	s_waitcnt lgkmcnt(0)
	v_fmac_f32_e32 v13, v14, v15
.LBB112_79:
	s_or_b64 exec, exec, s[14:15]
.LBB112_80:
	s_or_b64 exec, exec, s[12:13]
	v_mov_b32_e32 v14, 0x4000
	v_cmp_eq_u32_e64 s[10:11], 3, v6
	s_xor_b64 s[12:13], s[8:9], -1
	v_lshl_add_u32 v12, v12, 2, v14
	s_and_b64 s[42:43], s[10:11], s[12:13]
	s_and_saveexec_b64 s[8:9], s[42:43]
	s_cbranch_execz .LBB112_82
; %bb.81:
	v_mov_b32_e32 v14, 0
	ds_read_b32 v14, v14 offset:15340
	s_waitcnt lgkmcnt(0)
	v_mul_f32_e32 v13, v13, v14
	v_xor_b32_e32 v14, 0x80000000, v13
	ds_write_b32 v12, v14
.LBB112_82:
	s_or_b64 exec, exec, s[8:9]
	v_cmp_ne_u32_e64 s[8:9], 3, v6
	s_and_b64 s[44:45], s[8:9], s[12:13]
	s_waitcnt lgkmcnt(0)
	s_barrier
	s_and_saveexec_b64 s[8:9], s[44:45]
	s_cbranch_execz .LBB112_84
; %bb.83:
	v_lshlrev_b32_e32 v14, 2, v6
	ds_read_b32 v14, v14 offset:15328
	ds_read_b32 v15, v12
	s_waitcnt lgkmcnt(0)
	v_fma_f32 v13, -v14, v15, v13
.LBB112_84:
	s_or_b64 exec, exec, s[8:9]
	v_cmp_eq_u32_e64 s[8:9], 2, v6
	s_and_b64 s[46:47], s[8:9], s[12:13]
	s_barrier
	s_and_saveexec_b64 s[8:9], s[46:47]
	s_cbranch_execz .LBB112_86
; %bb.85:
	v_mov_b32_e32 v14, 0
	ds_read_b32 v14, v14 offset:15080
	s_waitcnt lgkmcnt(0)
	v_mul_f32_e32 v13, v13, v14
	v_xor_b32_e32 v14, 0x80000000, v13
	ds_write_b32 v12, v14
.LBB112_86:
	s_or_b64 exec, exec, s[8:9]
	v_cmp_gt_u32_e64 s[8:9], 2, v6
	s_and_b64 s[48:49], s[8:9], s[12:13]
	s_waitcnt lgkmcnt(0)
	s_barrier
	s_and_saveexec_b64 s[8:9], s[48:49]
	s_cbranch_execz .LBB112_88
; %bb.87:
	v_lshlrev_b32_e32 v14, 2, v6
	ds_read_b32 v14, v14 offset:15072
	ds_read_b32 v15, v12
	s_waitcnt lgkmcnt(0)
	v_fma_f32 v13, -v14, v15, v13
.LBB112_88:
	s_or_b64 exec, exec, s[8:9]
	v_cmp_eq_u32_e64 s[8:9], 1, v6
	s_and_b64 s[50:51], s[8:9], s[12:13]
	s_barrier
	s_and_saveexec_b64 s[8:9], s[50:51]
	s_cbranch_execz .LBB112_90
; %bb.89:
	v_mov_b32_e32 v14, 0
	ds_read_b32 v14, v14 offset:14820
	s_waitcnt lgkmcnt(0)
	v_mul_f32_e32 v13, v13, v14
	v_xor_b32_e32 v14, 0x80000000, v13
	ds_write_b32 v12, v14
.LBB112_90:
	s_or_b64 exec, exec, s[8:9]
	v_cmp_eq_u32_e64 s[8:9], 0, v6
	s_and_b64 s[40:41], s[8:9], s[12:13]
	s_waitcnt lgkmcnt(0)
	s_barrier
	s_and_saveexec_b64 s[8:9], s[40:41]
	s_cbranch_execz .LBB112_92
; %bb.91:
	v_mov_b32_e32 v14, 0
	ds_read_b32 v14, v14 offset:14816
	ds_read_b32 v15, v12
	s_waitcnt lgkmcnt(0)
	v_fma_f32 v13, -v14, v15, v13
.LBB112_92:
	s_or_b64 exec, exec, s[8:9]
	s_barrier
	s_and_saveexec_b64 s[8:9], s[40:41]
	s_cbranch_execz .LBB112_94
; %bb.93:
	v_mov_b32_e32 v14, 0
	ds_read_b32 v14, v14 offset:14560
	s_waitcnt lgkmcnt(0)
	v_mul_f32_e32 v13, v13, v14
	v_xor_b32_e32 v14, 0x80000000, v13
	ds_write_b32 v12, v14
.LBB112_94:
	s_or_b64 exec, exec, s[8:9]
	s_waitcnt lgkmcnt(0)
	s_barrier
	s_barrier
	s_and_saveexec_b64 s[8:9], s[2:3]
; %bb.95:
	v_lshlrev_b32_e32 v14, 2, v6
	v_lshl_or_b32 v14, v11, 8, v14
	ds_write_b32 v14, v13 offset:15584
; %bb.96:
	s_or_b64 exec, exec, s[8:9]
	s_waitcnt lgkmcnt(0)
	s_barrier
	s_barrier
	s_and_saveexec_b64 s[8:9], vcc
	s_cbranch_execz .LBB112_98
; %bb.97:
	v_mov_b32_e32 v15, 0
	ds_read_b64 v[13:14], v15 offset:15336
	ds_read_b32 v16, v15 offset:15080
	s_waitcnt lgkmcnt(0)
	v_mul_f32_e32 v14, v16, v14
	v_mul_f32_e32 v13, v13, v14
	ds_write_b32 v15, v13 offset:15336
.LBB112_98:
	s_or_b64 exec, exec, s[8:9]
	v_mov_b32_e32 v13, 0
	s_waitcnt lgkmcnt(0)
	s_barrier
	buffer_wbinvl1_vol
	s_and_saveexec_b64 s[10:11], s[0:1]
	s_cbranch_execz .LBB112_102
; %bb.99:
	v_lshlrev_b32_e32 v13, 8, v3
	v_lshlrev_b32_e32 v14, 2, v1
	ds_read_b32 v15, v14 offset:15072
	ds_read_b32 v13, v13 offset:15080
	v_mov_b32_e32 v14, 0
	v_cmp_gt_u32_e64 s[8:9], 2, v5
	s_waitcnt lgkmcnt(0)
	v_fma_f32 v13, v15, v13, 0
	s_and_saveexec_b64 s[12:13], s[8:9]
	s_cbranch_execz .LBB112_101
; %bb.100:
	v_lshlrev_b32_e32 v15, 2, v0
	ds_read_b32 v15, v15 offset:15328
	ds_read_b32 v14, v14 offset:15340
	s_waitcnt lgkmcnt(0)
	v_fmac_f32_e32 v13, v15, v14
.LBB112_101:
	s_or_b64 exec, exec, s[12:13]
.LBB112_102:
	s_or_b64 exec, exec, s[10:11]
	s_and_saveexec_b64 s[8:9], s[38:39]
	s_cbranch_execz .LBB112_104
; %bb.103:
	v_mov_b32_e32 v14, 0
	ds_read_b32 v14, v14 offset:14820
	s_waitcnt lgkmcnt(0)
	v_mul_f32_e32 v13, v13, v14
	v_xor_b32_e32 v14, 0x80000000, v13
	ds_write_b32 v4, v14
.LBB112_104:
	s_or_b64 exec, exec, s[8:9]
	s_waitcnt lgkmcnt(0)
	s_barrier
	s_and_saveexec_b64 s[8:9], s[36:37]
	s_cbranch_execz .LBB112_106
; %bb.105:
	v_mov_b32_e32 v14, 0
	ds_read_b32 v14, v14 offset:14816
	ds_read_b32 v15, v4
	s_waitcnt lgkmcnt(0)
	v_fma_f32 v13, -v14, v15, v13
.LBB112_106:
	s_or_b64 exec, exec, s[8:9]
	s_barrier
	s_and_saveexec_b64 s[8:9], s[36:37]
	s_cbranch_execz .LBB112_108
; %bb.107:
	v_mov_b32_e32 v14, 0
	ds_read_b32 v14, v14 offset:14560
	s_waitcnt lgkmcnt(0)
	v_mul_f32_e32 v13, v13, v14
	v_xor_b32_e32 v14, 0x80000000, v13
	ds_write_b32 v4, v14
.LBB112_108:
	s_or_b64 exec, exec, s[8:9]
	s_waitcnt lgkmcnt(0)
	s_barrier
	s_barrier
	s_and_saveexec_b64 s[8:9], s[0:1]
; %bb.109:
	v_lshlrev_b32_e32 v14, 2, v1
	v_lshl_or_b32 v14, v3, 8, v14
	ds_write_b32 v14, v13 offset:15072
; %bb.110:
	s_or_b64 exec, exec, s[8:9]
	s_waitcnt lgkmcnt(0)
	s_barrier
	s_barrier
	s_and_saveexec_b64 s[8:9], vcc
	s_cbranch_execz .LBB112_112
; %bb.111:
	v_mov_b32_e32 v15, 0
	ds_read_b64 v[13:14], v15 offset:14816
	ds_read_b32 v16, v15 offset:14560
	s_waitcnt lgkmcnt(0)
	v_mul_f32_e32 v14, v16, v14
	v_mul_f32_e32 v13, v13, v14
	ds_write_b32 v15, v13 offset:14816
.LBB112_112:
	s_or_b64 exec, exec, s[8:9]
	v_lshrrev_b32_e32 v15, 3, v5
	v_and_b32_e32 v13, 7, v0
	v_sub_u32_e32 v14, 7, v15
	v_cmp_lt_u32_e64 s[8:9], 63, v5
	v_cmp_gt_u32_e64 s[14:15], 64, v5
	v_mov_b32_e32 v16, 0
	s_waitcnt lgkmcnt(0)
	s_barrier
	buffer_wbinvl1_vol
	s_and_saveexec_b64 s[12:13], s[14:15]
	s_cbranch_execz .LBB112_122
; %bb.113:
	v_lshlrev_b32_e32 v18, 2, v13
	v_lshlrev_b32_e32 v17, 8, v14
	ds_read_b32 v16, v18 offset:14528
	ds_read_b32 v19, v17 offset:14560
	v_cmp_gt_u32_e64 s[10:11], 56, v5
	s_waitcnt lgkmcnt(0)
	v_fma_f32 v16, v16, v19, 0
	s_and_saveexec_b64 s[16:17], s[10:11]
	s_cbranch_execnz .LBB112_1145
; %bb.114:
	s_or_b64 exec, exec, s[16:17]
	v_cmp_gt_u32_e64 s[10:11], 48, v5
	s_and_saveexec_b64 s[16:17], s[10:11]
	s_cbranch_execnz .LBB112_1146
.LBB112_115:
	s_or_b64 exec, exec, s[16:17]
	v_cmp_gt_u32_e64 s[10:11], 40, v5
	s_and_saveexec_b64 s[16:17], s[10:11]
	s_cbranch_execnz .LBB112_1147
.LBB112_116:
	s_or_b64 exec, exec, s[16:17]
	v_cmp_gt_u32_e64 s[10:11], 32, v5
	s_and_saveexec_b64 s[16:17], s[10:11]
	s_cbranch_execnz .LBB112_1148
.LBB112_117:
	s_or_b64 exec, exec, s[16:17]
	v_cmp_gt_u32_e64 s[10:11], 24, v5
	s_and_saveexec_b64 s[16:17], s[10:11]
	s_cbranch_execnz .LBB112_1149
.LBB112_118:
	s_or_b64 exec, exec, s[16:17]
	s_and_saveexec_b64 s[10:11], s[2:3]
	s_cbranch_execnz .LBB112_1150
.LBB112_119:
	s_or_b64 exec, exec, s[10:11]
	v_cmp_gt_u32_e64 s[10:11], 8, v5
	s_and_saveexec_b64 s[16:17], s[10:11]
	s_cbranch_execz .LBB112_121
.LBB112_120:
	v_lshlrev_b32_e32 v17, 2, v0
	v_mov_b32_e32 v18, 0
	ds_read_b32 v17, v17 offset:16320
	ds_read_b32 v18, v18 offset:16380
	s_waitcnt lgkmcnt(0)
	v_fmac_f32_e32 v16, v17, v18
.LBB112_121:
	s_or_b64 exec, exec, s[16:17]
.LBB112_122:
                                        ; implicit-def: $vgpr27 : SGPR spill to VGPR lane
	v_writelane_b32 v27, s52, 0
	s_or_b64 exec, exec, s[12:13]
	v_mov_b32_e32 v17, 0x4000
	v_cmp_eq_u32_e64 s[10:11], 7, v13
	s_xor_b64 s[12:13], s[8:9], -1
	v_lshl_add_u32 v15, v15, 2, v17
	s_and_b64 s[52:53], s[10:11], s[12:13]
	s_and_saveexec_b64 s[8:9], s[52:53]
	s_cbranch_execz .LBB112_124
; %bb.123:
	v_mov_b32_e32 v17, 0
	ds_read_b32 v17, v17 offset:14300
	s_waitcnt lgkmcnt(0)
	v_mul_f32_e32 v16, v16, v17
	v_xor_b32_e32 v17, 0x80000000, v16
	ds_write_b32 v15, v17
.LBB112_124:
	s_or_b64 exec, exec, s[8:9]
	v_cmp_ne_u32_e64 s[8:9], 7, v13
	s_and_b64 s[54:55], s[8:9], s[12:13]
	s_waitcnt lgkmcnt(0)
	s_barrier
	s_and_saveexec_b64 s[8:9], s[54:55]
	s_cbranch_execz .LBB112_126
; %bb.125:
	v_lshlrev_b32_e32 v17, 2, v13
	ds_read_b32 v17, v17 offset:14272
	ds_read_b32 v18, v15
	s_waitcnt lgkmcnt(0)
	v_fma_f32 v16, -v17, v18, v16
.LBB112_126:
	s_or_b64 exec, exec, s[8:9]
	v_cmp_eq_u32_e64 s[8:9], 6, v13
	s_and_b64 s[56:57], s[8:9], s[12:13]
	s_barrier
	s_and_saveexec_b64 s[8:9], s[56:57]
	s_cbranch_execz .LBB112_128
; %bb.127:
	v_mov_b32_e32 v17, 0
	ds_read_b32 v17, v17 offset:14040
	s_waitcnt lgkmcnt(0)
	v_mul_f32_e32 v16, v16, v17
	v_xor_b32_e32 v17, 0x80000000, v16
	ds_write_b32 v15, v17
.LBB112_128:
	s_or_b64 exec, exec, s[8:9]
	v_cmp_gt_u32_e64 s[8:9], 6, v13
	s_and_b64 s[58:59], s[8:9], s[12:13]
	s_waitcnt lgkmcnt(0)
	s_barrier
	s_and_saveexec_b64 s[8:9], s[58:59]
	s_cbranch_execz .LBB112_130
; %bb.129:
	v_lshlrev_b32_e32 v17, 2, v13
	ds_read_b32 v17, v17 offset:14016
	ds_read_b32 v18, v15
	s_waitcnt lgkmcnt(0)
	v_fma_f32 v16, -v17, v18, v16
.LBB112_130:
	s_or_b64 exec, exec, s[8:9]
	v_cmp_eq_u32_e64 s[8:9], 5, v13
	s_and_b64 s[60:61], s[8:9], s[12:13]
	s_barrier
	s_and_saveexec_b64 s[8:9], s[60:61]
	s_cbranch_execz .LBB112_132
; %bb.131:
	v_mov_b32_e32 v17, 0
	ds_read_b32 v17, v17 offset:13780
	s_waitcnt lgkmcnt(0)
	v_mul_f32_e32 v16, v16, v17
	v_xor_b32_e32 v17, 0x80000000, v16
	ds_write_b32 v15, v17
.LBB112_132:
	s_or_b64 exec, exec, s[8:9]
	v_cmp_gt_u32_e64 s[8:9], 5, v13
	;; [unrolled: 28-line block ×5, first 2 shown]
	s_and_b64 s[76:77], s[8:9], s[12:13]
	s_waitcnt lgkmcnt(0)
	s_barrier
	s_and_saveexec_b64 s[8:9], s[76:77]
	s_cbranch_execz .LBB112_146
; %bb.145:
	v_lshlrev_b32_e32 v17, 2, v13
	ds_read_b32 v17, v17 offset:12992
	ds_read_b32 v18, v15
	s_waitcnt lgkmcnt(0)
	v_fma_f32 v16, -v17, v18, v16
.LBB112_146:
	s_or_b64 exec, exec, s[8:9]
	v_cmp_eq_u32_e64 s[8:9], 1, v13
	s_and_b64 s[78:79], s[8:9], s[12:13]
	s_barrier
	s_and_saveexec_b64 s[8:9], s[78:79]
	s_cbranch_execz .LBB112_148
; %bb.147:
	v_mov_b32_e32 v17, 0
	ds_read_b32 v17, v17 offset:12740
	s_waitcnt lgkmcnt(0)
	v_mul_f32_e32 v16, v16, v17
	v_xor_b32_e32 v17, 0x80000000, v16
	ds_write_b32 v15, v17
.LBB112_148:
	s_or_b64 exec, exec, s[8:9]
	v_cmp_eq_u32_e64 s[8:9], 0, v13
	s_and_b64 s[62:63], s[8:9], s[12:13]
	s_waitcnt lgkmcnt(0)
	s_barrier
	s_and_saveexec_b64 s[8:9], s[62:63]
	s_cbranch_execz .LBB112_150
; %bb.149:
	v_mov_b32_e32 v17, 0
	ds_read_b32 v17, v17 offset:12736
	ds_read_b32 v18, v15
	s_waitcnt lgkmcnt(0)
	v_fma_f32 v16, -v17, v18, v16
.LBB112_150:
	s_or_b64 exec, exec, s[8:9]
	s_barrier
	s_and_saveexec_b64 s[8:9], s[62:63]
	s_cbranch_execz .LBB112_152
; %bb.151:
	v_mov_b32_e32 v17, 0
	ds_read_b32 v17, v17 offset:12480
	s_waitcnt lgkmcnt(0)
	v_mul_f32_e32 v16, v16, v17
	v_xor_b32_e32 v17, 0x80000000, v16
	ds_write_b32 v15, v17
.LBB112_152:
	s_or_b64 exec, exec, s[8:9]
	s_waitcnt lgkmcnt(0)
	s_barrier
	s_barrier
	s_and_saveexec_b64 s[8:9], s[14:15]
; %bb.153:
	v_lshlrev_b32_e32 v17, 2, v13
	v_lshl_or_b32 v17, v14, 8, v17
	ds_write_b32 v17, v16 offset:14528
; %bb.154:
	s_or_b64 exec, exec, s[8:9]
	s_waitcnt lgkmcnt(0)
	s_barrier
	s_barrier
	s_and_saveexec_b64 s[8:9], vcc
	s_cbranch_execz .LBB112_156
; %bb.155:
	v_mov_b32_e32 v18, 0
	ds_read_b64 v[16:17], v18 offset:14296
	ds_read_b32 v19, v18 offset:14040
	s_waitcnt lgkmcnt(0)
	v_mul_f32_e32 v17, v19, v17
	v_mul_f32_e32 v16, v16, v17
	ds_write_b32 v18, v16 offset:14296
.LBB112_156:
	s_or_b64 exec, exec, s[8:9]
	v_mov_b32_e32 v16, 0
	s_waitcnt lgkmcnt(0)
	s_barrier
	buffer_wbinvl1_vol
	s_and_saveexec_b64 s[10:11], s[0:1]
	s_cbranch_execz .LBB112_160
; %bb.157:
	v_lshlrev_b32_e32 v16, 8, v3
	v_lshlrev_b32_e32 v17, 2, v1
	ds_read_b32 v18, v17 offset:14032
	ds_read_b32 v16, v16 offset:14040
	v_mov_b32_e32 v17, 0
	v_cmp_gt_u32_e64 s[8:9], 2, v5
	s_waitcnt lgkmcnt(0)
	v_fma_f32 v16, v18, v16, 0
	s_and_saveexec_b64 s[12:13], s[8:9]
	s_cbranch_execz .LBB112_159
; %bb.158:
	v_lshlrev_b32_e32 v18, 2, v0
	ds_read_b32 v18, v18 offset:14288
	ds_read_b32 v17, v17 offset:14300
	s_waitcnt lgkmcnt(0)
	v_fmac_f32_e32 v16, v18, v17
.LBB112_159:
	s_or_b64 exec, exec, s[12:13]
.LBB112_160:
	s_or_b64 exec, exec, s[10:11]
	s_and_saveexec_b64 s[8:9], s[38:39]
	s_cbranch_execz .LBB112_162
; %bb.161:
	v_mov_b32_e32 v17, 0
	ds_read_b32 v17, v17 offset:13780
	s_waitcnt lgkmcnt(0)
	v_mul_f32_e32 v16, v16, v17
	v_xor_b32_e32 v17, 0x80000000, v16
	ds_write_b32 v4, v17
.LBB112_162:
	s_or_b64 exec, exec, s[8:9]
	s_waitcnt lgkmcnt(0)
	s_barrier
	s_and_saveexec_b64 s[8:9], s[36:37]
	s_cbranch_execz .LBB112_164
; %bb.163:
	v_mov_b32_e32 v17, 0
	ds_read_b32 v17, v17 offset:13776
	ds_read_b32 v18, v4
	s_waitcnt lgkmcnt(0)
	v_fma_f32 v16, -v17, v18, v16
.LBB112_164:
	s_or_b64 exec, exec, s[8:9]
	s_barrier
	s_and_saveexec_b64 s[8:9], s[36:37]
	s_cbranch_execz .LBB112_166
; %bb.165:
	v_mov_b32_e32 v17, 0
	ds_read_b32 v17, v17 offset:13520
	s_waitcnt lgkmcnt(0)
	v_mul_f32_e32 v16, v16, v17
	v_xor_b32_e32 v17, 0x80000000, v16
	ds_write_b32 v4, v17
.LBB112_166:
	s_or_b64 exec, exec, s[8:9]
	s_waitcnt lgkmcnt(0)
	s_barrier
	s_barrier
	s_and_saveexec_b64 s[8:9], s[0:1]
; %bb.167:
	v_lshlrev_b32_e32 v17, 2, v1
	v_lshl_or_b32 v17, v3, 8, v17
	ds_write_b32 v17, v16 offset:14032
; %bb.168:
	s_or_b64 exec, exec, s[8:9]
	s_waitcnt lgkmcnt(0)
	s_barrier
	s_barrier
	s_and_saveexec_b64 s[8:9], vcc
	s_cbranch_execz .LBB112_170
; %bb.169:
	v_mov_b32_e32 v18, 0
	ds_read_b64 v[16:17], v18 offset:13776
	ds_read_b32 v19, v18 offset:13520
	s_waitcnt lgkmcnt(0)
	v_mul_f32_e32 v17, v19, v17
	v_mul_f32_e32 v16, v16, v17
	ds_write_b32 v18, v16 offset:13776
.LBB112_170:
	s_or_b64 exec, exec, s[8:9]
	v_mov_b32_e32 v16, 0
	s_waitcnt lgkmcnt(0)
	s_barrier
	buffer_wbinvl1_vol
	s_and_saveexec_b64 s[10:11], s[2:3]
	s_cbranch_execz .LBB112_176
; %bb.171:
	v_lshlrev_b32_e32 v18, 2, v6
	v_lshlrev_b32_e32 v17, 8, v11
	ds_read_b32 v16, v18 offset:13504
	ds_read_b32 v19, v17 offset:13520
	v_cmp_gt_u32_e64 s[8:9], 12, v5
	s_waitcnt lgkmcnt(0)
	v_fma_f32 v16, v16, v19, 0
	s_and_saveexec_b64 s[12:13], s[8:9]
	s_cbranch_execnz .LBB112_1151
; %bb.172:
	s_or_b64 exec, exec, s[12:13]
	v_cmp_gt_u32_e64 s[8:9], 8, v5
	s_and_saveexec_b64 s[12:13], s[8:9]
	s_cbranch_execnz .LBB112_1152
.LBB112_173:
	s_or_b64 exec, exec, s[12:13]
	v_cmp_gt_u32_e64 s[8:9], 4, v5
	s_and_saveexec_b64 s[12:13], s[8:9]
	s_cbranch_execz .LBB112_175
.LBB112_174:
	v_lshlrev_b32_e32 v17, 2, v0
	v_mov_b32_e32 v18, 0
	ds_read_b32 v17, v17 offset:14272
	ds_read_b32 v18, v18 offset:14300
	s_waitcnt lgkmcnt(0)
	v_fmac_f32_e32 v16, v17, v18
.LBB112_175:
	s_or_b64 exec, exec, s[12:13]
.LBB112_176:
	s_or_b64 exec, exec, s[10:11]
	s_and_saveexec_b64 s[8:9], s[42:43]
	s_cbranch_execz .LBB112_178
; %bb.177:
	v_mov_b32_e32 v17, 0
	ds_read_b32 v17, v17 offset:13260
	s_waitcnt lgkmcnt(0)
	v_mul_f32_e32 v16, v16, v17
	v_xor_b32_e32 v17, 0x80000000, v16
	ds_write_b32 v12, v17
.LBB112_178:
	s_or_b64 exec, exec, s[8:9]
	s_waitcnt lgkmcnt(0)
	s_barrier
	s_and_saveexec_b64 s[8:9], s[44:45]
	s_cbranch_execz .LBB112_180
; %bb.179:
	v_lshlrev_b32_e32 v17, 2, v6
	ds_read_b32 v17, v17 offset:13248
	ds_read_b32 v18, v12
	s_waitcnt lgkmcnt(0)
	v_fma_f32 v16, -v17, v18, v16
.LBB112_180:
	s_or_b64 exec, exec, s[8:9]
	s_barrier
	s_and_saveexec_b64 s[8:9], s[46:47]
	s_cbranch_execz .LBB112_182
; %bb.181:
	v_mov_b32_e32 v17, 0
	ds_read_b32 v17, v17 offset:13000
	s_waitcnt lgkmcnt(0)
	v_mul_f32_e32 v16, v16, v17
	v_xor_b32_e32 v17, 0x80000000, v16
	ds_write_b32 v12, v17
.LBB112_182:
	s_or_b64 exec, exec, s[8:9]
	s_waitcnt lgkmcnt(0)
	s_barrier
	s_and_saveexec_b64 s[8:9], s[48:49]
	s_cbranch_execz .LBB112_184
; %bb.183:
	v_lshlrev_b32_e32 v17, 2, v6
	ds_read_b32 v17, v17 offset:12992
	ds_read_b32 v18, v12
	s_waitcnt lgkmcnt(0)
	v_fma_f32 v16, -v17, v18, v16
.LBB112_184:
	s_or_b64 exec, exec, s[8:9]
	s_barrier
	s_and_saveexec_b64 s[8:9], s[50:51]
	s_cbranch_execz .LBB112_186
; %bb.185:
	v_mov_b32_e32 v17, 0
	ds_read_b32 v17, v17 offset:12740
	s_waitcnt lgkmcnt(0)
	v_mul_f32_e32 v16, v16, v17
	v_xor_b32_e32 v17, 0x80000000, v16
	ds_write_b32 v12, v17
.LBB112_186:
	s_or_b64 exec, exec, s[8:9]
	s_waitcnt lgkmcnt(0)
	s_barrier
	s_and_saveexec_b64 s[8:9], s[40:41]
	s_cbranch_execz .LBB112_188
; %bb.187:
	v_mov_b32_e32 v17, 0
	ds_read_b32 v17, v17 offset:12736
	ds_read_b32 v18, v12
	s_waitcnt lgkmcnt(0)
	v_fma_f32 v16, -v17, v18, v16
.LBB112_188:
	s_or_b64 exec, exec, s[8:9]
	s_barrier
	s_and_saveexec_b64 s[8:9], s[40:41]
	s_cbranch_execz .LBB112_190
; %bb.189:
	v_mov_b32_e32 v17, 0
	ds_read_b32 v17, v17 offset:12480
	s_waitcnt lgkmcnt(0)
	v_mul_f32_e32 v16, v16, v17
	v_xor_b32_e32 v17, 0x80000000, v16
	ds_write_b32 v12, v17
.LBB112_190:
	s_or_b64 exec, exec, s[8:9]
	s_waitcnt lgkmcnt(0)
	s_barrier
	s_barrier
	s_and_saveexec_b64 s[8:9], s[2:3]
; %bb.191:
	v_lshlrev_b32_e32 v17, 2, v6
	v_lshl_or_b32 v17, v11, 8, v17
	ds_write_b32 v17, v16 offset:13504
; %bb.192:
	s_or_b64 exec, exec, s[8:9]
	s_waitcnt lgkmcnt(0)
	s_barrier
	s_barrier
	s_and_saveexec_b64 s[8:9], vcc
	s_cbranch_execz .LBB112_194
; %bb.193:
	v_mov_b32_e32 v18, 0
	ds_read_b64 v[16:17], v18 offset:13256
	ds_read_b32 v19, v18 offset:13000
	s_waitcnt lgkmcnt(0)
	v_mul_f32_e32 v17, v19, v17
	v_mul_f32_e32 v16, v16, v17
	ds_write_b32 v18, v16 offset:13256
.LBB112_194:
	s_or_b64 exec, exec, s[8:9]
	v_mov_b32_e32 v16, 0
	s_waitcnt lgkmcnt(0)
	s_barrier
	buffer_wbinvl1_vol
	s_and_saveexec_b64 s[10:11], s[0:1]
	s_cbranch_execz .LBB112_198
; %bb.195:
	v_lshlrev_b32_e32 v16, 8, v3
	v_lshlrev_b32_e32 v17, 2, v1
	ds_read_b32 v18, v17 offset:12992
	ds_read_b32 v16, v16 offset:13000
	v_mov_b32_e32 v17, 0
	v_cmp_gt_u32_e64 s[8:9], 2, v5
	s_waitcnt lgkmcnt(0)
	v_fma_f32 v16, v18, v16, 0
	s_and_saveexec_b64 s[12:13], s[8:9]
	s_cbranch_execz .LBB112_197
; %bb.196:
	v_lshlrev_b32_e32 v18, 2, v0
	ds_read_b32 v18, v18 offset:13248
	ds_read_b32 v17, v17 offset:13260
	s_waitcnt lgkmcnt(0)
	v_fmac_f32_e32 v16, v18, v17
.LBB112_197:
	s_or_b64 exec, exec, s[12:13]
.LBB112_198:
	s_or_b64 exec, exec, s[10:11]
	s_and_saveexec_b64 s[8:9], s[38:39]
	s_cbranch_execz .LBB112_200
; %bb.199:
	v_mov_b32_e32 v17, 0
	ds_read_b32 v17, v17 offset:12740
	s_waitcnt lgkmcnt(0)
	v_mul_f32_e32 v16, v16, v17
	v_xor_b32_e32 v17, 0x80000000, v16
	ds_write_b32 v4, v17
.LBB112_200:
	s_or_b64 exec, exec, s[8:9]
	s_waitcnt lgkmcnt(0)
	s_barrier
	s_and_saveexec_b64 s[8:9], s[36:37]
	s_cbranch_execz .LBB112_202
; %bb.201:
	v_mov_b32_e32 v17, 0
	ds_read_b32 v17, v17 offset:12736
	ds_read_b32 v18, v4
	s_waitcnt lgkmcnt(0)
	v_fma_f32 v16, -v17, v18, v16
.LBB112_202:
	s_or_b64 exec, exec, s[8:9]
	s_barrier
	s_and_saveexec_b64 s[8:9], s[36:37]
	s_cbranch_execz .LBB112_204
; %bb.203:
	v_mov_b32_e32 v17, 0
	ds_read_b32 v17, v17 offset:12480
	s_waitcnt lgkmcnt(0)
	v_mul_f32_e32 v16, v16, v17
	v_xor_b32_e32 v17, 0x80000000, v16
	ds_write_b32 v4, v17
.LBB112_204:
	s_or_b64 exec, exec, s[8:9]
	s_waitcnt lgkmcnt(0)
	s_barrier
	s_barrier
	s_and_saveexec_b64 s[8:9], s[0:1]
; %bb.205:
	v_lshlrev_b32_e32 v17, 2, v1
	v_lshl_or_b32 v17, v3, 8, v17
	ds_write_b32 v17, v16 offset:12992
; %bb.206:
	s_or_b64 exec, exec, s[8:9]
	s_waitcnt lgkmcnt(0)
	s_barrier
	s_barrier
	s_and_saveexec_b64 s[8:9], vcc
	s_cbranch_execz .LBB112_208
; %bb.207:
	v_mov_b32_e32 v18, 0
	ds_read_b64 v[16:17], v18 offset:12736
	ds_read_b32 v19, v18 offset:12480
	s_waitcnt lgkmcnt(0)
	v_mul_f32_e32 v17, v19, v17
	v_mul_f32_e32 v16, v16, v17
	ds_write_b32 v18, v16 offset:12736
.LBB112_208:
	s_or_b64 exec, exec, s[8:9]
	s_movk_i32 s8, 0xff
	v_lshrrev_b32_e32 v18, 4, v5
	v_cmp_lt_u32_e64 s[10:11], s8, v5
	s_movk_i32 s8, 0x100
	v_and_b32_e32 v16, 15, v0
	v_sub_u32_e32 v17, 15, v18
	v_cmp_gt_u32_e64 s[8:9], s8, v5
	v_mov_b32_e32 v19, 0
	s_waitcnt lgkmcnt(0)
	s_barrier
	buffer_wbinvl1_vol
	s_and_saveexec_b64 s[16:17], s[8:9]
	s_cbranch_execz .LBB112_236
; %bb.209:
	v_lshlrev_b32_e32 v21, 2, v16
	v_lshlrev_b32_e32 v20, 8, v17
	ds_read_b32 v19, v21 offset:12416
	ds_read_b32 v22, v20 offset:12480
	s_movk_i32 s12, 0xf0
	v_cmp_gt_u32_e64 s[12:13], s12, v5
	s_waitcnt lgkmcnt(0)
	v_fma_f32 v19, v19, v22, 0
	s_and_saveexec_b64 s[18:19], s[12:13]
	s_cbranch_execz .LBB112_211
; %bb.210:
	ds_read_b32 v22, v21 offset:12672
	ds_read_b32 v23, v20 offset:12484
	s_waitcnt lgkmcnt(0)
	v_fmac_f32_e32 v19, v22, v23
.LBB112_211:
	s_or_b64 exec, exec, s[18:19]
	s_movk_i32 s12, 0xe0
	v_cmp_gt_u32_e64 s[12:13], s12, v5
	s_and_saveexec_b64 s[18:19], s[12:13]
	s_cbranch_execz .LBB112_213
; %bb.212:
	ds_read_b32 v22, v21 offset:12928
	ds_read_b32 v23, v20 offset:12488
	s_waitcnt lgkmcnt(0)
	v_fmac_f32_e32 v19, v22, v23
.LBB112_213:
	s_or_b64 exec, exec, s[18:19]
	s_movk_i32 s12, 0xd0
	v_cmp_gt_u32_e64 s[12:13], s12, v5
	;; [unrolled: 11-line block ×10, first 2 shown]
	s_and_saveexec_b64 s[18:19], s[12:13]
	s_cbranch_execnz .LBB112_1153
; %bb.230:
	s_or_b64 exec, exec, s[18:19]
	s_and_saveexec_b64 s[12:13], s[14:15]
	s_cbranch_execnz .LBB112_1154
.LBB112_231:
	s_or_b64 exec, exec, s[12:13]
	v_cmp_gt_u32_e64 s[12:13], 48, v5
	s_and_saveexec_b64 s[18:19], s[12:13]
	s_cbranch_execnz .LBB112_1155
.LBB112_232:
	s_or_b64 exec, exec, s[18:19]
	v_cmp_gt_u32_e64 s[12:13], 32, v5
	s_and_saveexec_b64 s[18:19], s[12:13]
	s_cbranch_execnz .LBB112_1156
.LBB112_233:
	s_or_b64 exec, exec, s[18:19]
	v_cmp_gt_u32_e64 s[12:13], 16, v5
	s_and_saveexec_b64 s[18:19], s[12:13]
	s_cbranch_execz .LBB112_235
.LBB112_234:
	v_lshlrev_b32_e32 v20, 2, v0
	v_mov_b32_e32 v21, 0
	ds_read_b32 v20, v20 offset:16256
	ds_read_b32 v21, v21 offset:16380
	s_waitcnt lgkmcnt(0)
	v_fmac_f32_e32 v19, v20, v21
.LBB112_235:
	s_or_b64 exec, exec, s[18:19]
.LBB112_236:
	s_or_b64 exec, exec, s[16:17]
	v_mov_b32_e32 v20, 0x4000
	v_lshl_add_u32 v18, v18, 2, v20
	v_cmp_eq_u32_e64 s[12:13], 15, v16
	s_xor_b64 s[16:17], s[10:11], -1
	s_and_b64 s[12:13], s[12:13], s[16:17]
	s_mov_b64 s[10:11], exec
	v_writelane_b32 v27, s12, 1
	v_writelane_b32 v27, s13, 2
	s_and_b64 s[12:13], s[10:11], s[12:13]
	s_mov_b64 exec, s[12:13]
	s_cbranch_execz .LBB112_238
; %bb.237:
	v_mov_b32_e32 v20, 0
	ds_read_b32 v20, v20 offset:12220
	s_waitcnt lgkmcnt(0)
	v_mul_f32_e32 v19, v19, v20
	v_xor_b32_e32 v20, 0x80000000, v19
	ds_write_b32 v18, v20
.LBB112_238:
	s_or_b64 exec, exec, s[10:11]
	v_cmp_ne_u32_e64 s[10:11], 15, v16
	s_waitcnt lgkmcnt(0)
	s_barrier
	s_and_b64 s[12:13], s[10:11], s[16:17]
	s_mov_b64 s[10:11], exec
	v_writelane_b32 v27, s12, 3
	v_writelane_b32 v27, s13, 4
	s_and_b64 s[12:13], s[10:11], s[12:13]
	s_mov_b64 exec, s[12:13]
	s_cbranch_execz .LBB112_240
; %bb.239:
	v_lshlrev_b32_e32 v20, 2, v16
	ds_read_b32 v20, v20 offset:12160
	ds_read_b32 v21, v18
	s_waitcnt lgkmcnt(0)
	v_fma_f32 v19, -v20, v21, v19
.LBB112_240:
	s_or_b64 exec, exec, s[10:11]
	v_cmp_eq_u32_e64 s[10:11], 14, v16
	s_barrier
	s_and_b64 s[12:13], s[10:11], s[16:17]
	s_mov_b64 s[10:11], exec
	v_writelane_b32 v27, s12, 5
	v_writelane_b32 v27, s13, 6
	s_and_b64 s[12:13], s[10:11], s[12:13]
	s_mov_b64 exec, s[12:13]
	s_cbranch_execz .LBB112_242
; %bb.241:
	v_mov_b32_e32 v20, 0
	ds_read_b32 v20, v20 offset:11960
	s_waitcnt lgkmcnt(0)
	v_mul_f32_e32 v19, v19, v20
	v_xor_b32_e32 v20, 0x80000000, v19
	ds_write_b32 v18, v20
.LBB112_242:
	s_or_b64 exec, exec, s[10:11]
	v_cmp_gt_u32_e64 s[10:11], 14, v16
	s_waitcnt lgkmcnt(0)
	s_barrier
	s_and_b64 s[12:13], s[10:11], s[16:17]
	s_mov_b64 s[10:11], exec
	v_writelane_b32 v27, s12, 7
	v_writelane_b32 v27, s13, 8
	s_and_b64 s[12:13], s[10:11], s[12:13]
	s_mov_b64 exec, s[12:13]
	s_cbranch_execz .LBB112_244
; %bb.243:
	v_lshlrev_b32_e32 v20, 2, v16
	ds_read_b32 v20, v20 offset:11904
	ds_read_b32 v21, v18
	s_waitcnt lgkmcnt(0)
	v_fma_f32 v19, -v20, v21, v19
.LBB112_244:
	s_or_b64 exec, exec, s[10:11]
	v_cmp_eq_u32_e64 s[10:11], 13, v16
	s_barrier
	s_and_b64 s[12:13], s[10:11], s[16:17]
	s_mov_b64 s[10:11], exec
	v_writelane_b32 v27, s12, 9
	v_writelane_b32 v27, s13, 10
	s_and_b64 s[12:13], s[10:11], s[12:13]
	s_mov_b64 exec, s[12:13]
	s_cbranch_execz .LBB112_246
; %bb.245:
	v_mov_b32_e32 v20, 0
	ds_read_b32 v20, v20 offset:11700
	s_waitcnt lgkmcnt(0)
	v_mul_f32_e32 v19, v19, v20
	v_xor_b32_e32 v20, 0x80000000, v19
	ds_write_b32 v18, v20
.LBB112_246:
	s_or_b64 exec, exec, s[10:11]
	v_cmp_gt_u32_e64 s[10:11], 13, v16
	;; [unrolled: 36-line block ×12, first 2 shown]
	s_and_b64 s[18:19], s[10:11], s[16:17]
	s_waitcnt lgkmcnt(0)
	s_barrier
	s_and_saveexec_b64 s[10:11], s[18:19]
	s_cbranch_execz .LBB112_288
; %bb.287:
	v_lshlrev_b32_e32 v20, 2, v16
	ds_read_b32 v20, v20 offset:9088
	ds_read_b32 v21, v18
	s_waitcnt lgkmcnt(0)
	v_fma_f32 v19, -v20, v21, v19
.LBB112_288:
	s_or_b64 exec, exec, s[10:11]
	v_cmp_eq_u32_e64 s[10:11], 2, v16
	s_and_b64 s[80:81], s[10:11], s[16:17]
	s_barrier
	s_and_saveexec_b64 s[10:11], s[80:81]
	s_cbranch_execz .LBB112_290
; %bb.289:
	v_mov_b32_e32 v20, 0
	ds_read_b32 v20, v20 offset:8840
	s_waitcnt lgkmcnt(0)
	v_mul_f32_e32 v19, v19, v20
	v_xor_b32_e32 v20, 0x80000000, v19
	ds_write_b32 v18, v20
.LBB112_290:
	s_or_b64 exec, exec, s[10:11]
	v_cmp_gt_u32_e64 s[10:11], 2, v16
	s_and_b64 s[82:83], s[10:11], s[16:17]
	s_waitcnt lgkmcnt(0)
	s_barrier
	s_and_saveexec_b64 s[10:11], s[82:83]
	s_cbranch_execz .LBB112_292
; %bb.291:
	v_lshlrev_b32_e32 v20, 2, v16
	ds_read_b32 v20, v20 offset:8832
	ds_read_b32 v21, v18
	s_waitcnt lgkmcnt(0)
	v_fma_f32 v19, -v20, v21, v19
.LBB112_292:
	s_or_b64 exec, exec, s[10:11]
	v_cmp_eq_u32_e64 s[10:11], 1, v16
	s_and_b64 s[84:85], s[10:11], s[16:17]
	s_barrier
	s_and_saveexec_b64 s[10:11], s[84:85]
	s_cbranch_execz .LBB112_294
; %bb.293:
	v_mov_b32_e32 v20, 0
	ds_read_b32 v20, v20 offset:8580
	s_waitcnt lgkmcnt(0)
	v_mul_f32_e32 v19, v19, v20
	v_xor_b32_e32 v20, 0x80000000, v19
	ds_write_b32 v18, v20
.LBB112_294:
	s_or_b64 exec, exec, s[10:11]
	v_cmp_eq_u32_e64 s[10:11], 0, v16
	s_and_b64 s[86:87], s[10:11], s[16:17]
	s_waitcnt lgkmcnt(0)
	s_barrier
	s_and_saveexec_b64 s[10:11], s[86:87]
	s_cbranch_execz .LBB112_296
; %bb.295:
	v_mov_b32_e32 v20, 0
	ds_read_b32 v20, v20 offset:8576
	ds_read_b32 v21, v18
	s_waitcnt lgkmcnt(0)
	v_fma_f32 v19, -v20, v21, v19
.LBB112_296:
	s_or_b64 exec, exec, s[10:11]
	s_barrier
	s_and_saveexec_b64 s[10:11], s[86:87]
	s_cbranch_execz .LBB112_298
; %bb.297:
	v_mov_b32_e32 v20, 0
	ds_read_b32 v20, v20 offset:8320
	s_waitcnt lgkmcnt(0)
	v_mul_f32_e32 v19, v19, v20
	v_xor_b32_e32 v20, 0x80000000, v19
	ds_write_b32 v18, v20
.LBB112_298:
	s_or_b64 exec, exec, s[10:11]
	s_waitcnt lgkmcnt(0)
	s_barrier
	s_barrier
	s_and_saveexec_b64 s[10:11], s[8:9]
; %bb.299:
	v_lshlrev_b32_e32 v20, 2, v16
	v_lshl_or_b32 v20, v17, 8, v20
	ds_write_b32 v20, v19 offset:12416
; %bb.300:
	s_or_b64 exec, exec, s[10:11]
	s_waitcnt lgkmcnt(0)
	s_barrier
	s_barrier
	s_and_saveexec_b64 s[10:11], vcc
	s_cbranch_execz .LBB112_302
; %bb.301:
	v_mov_b32_e32 v21, 0
	ds_read_b64 v[19:20], v21 offset:12216
	ds_read_b32 v22, v21 offset:11960
	s_waitcnt lgkmcnt(0)
	v_mul_f32_e32 v20, v22, v20
	v_mul_f32_e32 v19, v19, v20
	ds_write_b32 v21, v19 offset:12216
.LBB112_302:
	s_or_b64 exec, exec, s[10:11]
	v_mov_b32_e32 v19, 0
	s_waitcnt lgkmcnt(0)
	s_barrier
	buffer_wbinvl1_vol
	s_and_saveexec_b64 s[12:13], s[0:1]
	s_cbranch_execz .LBB112_306
; %bb.303:
	v_lshlrev_b32_e32 v19, 8, v3
	v_lshlrev_b32_e32 v20, 2, v1
	ds_read_b32 v21, v20 offset:11952
	ds_read_b32 v19, v19 offset:11960
	v_mov_b32_e32 v20, 0
	v_cmp_gt_u32_e64 s[10:11], 2, v5
	s_waitcnt lgkmcnt(0)
	v_fma_f32 v19, v21, v19, 0
	s_and_saveexec_b64 s[16:17], s[10:11]
	s_cbranch_execz .LBB112_305
; %bb.304:
	v_lshlrev_b32_e32 v21, 2, v0
	ds_read_b32 v21, v21 offset:12208
	ds_read_b32 v20, v20 offset:12220
	s_waitcnt lgkmcnt(0)
	v_fmac_f32_e32 v19, v21, v20
.LBB112_305:
	s_or_b64 exec, exec, s[16:17]
.LBB112_306:
	s_or_b64 exec, exec, s[12:13]
	s_and_saveexec_b64 s[10:11], s[38:39]
	s_cbranch_execz .LBB112_308
; %bb.307:
	v_mov_b32_e32 v20, 0
	ds_read_b32 v20, v20 offset:11700
	s_waitcnt lgkmcnt(0)
	v_mul_f32_e32 v19, v19, v20
	v_xor_b32_e32 v20, 0x80000000, v19
	ds_write_b32 v4, v20
.LBB112_308:
	s_or_b64 exec, exec, s[10:11]
	s_waitcnt lgkmcnt(0)
	s_barrier
	s_and_saveexec_b64 s[10:11], s[36:37]
	s_cbranch_execz .LBB112_310
; %bb.309:
	v_mov_b32_e32 v20, 0
	ds_read_b32 v20, v20 offset:11696
	ds_read_b32 v21, v4
	s_waitcnt lgkmcnt(0)
	v_fma_f32 v19, -v20, v21, v19
.LBB112_310:
	s_or_b64 exec, exec, s[10:11]
	s_barrier
	s_and_saveexec_b64 s[10:11], s[36:37]
	s_cbranch_execz .LBB112_312
; %bb.311:
	v_mov_b32_e32 v20, 0
	ds_read_b32 v20, v20 offset:11440
	s_waitcnt lgkmcnt(0)
	v_mul_f32_e32 v19, v19, v20
	v_xor_b32_e32 v20, 0x80000000, v19
	ds_write_b32 v4, v20
.LBB112_312:
	s_or_b64 exec, exec, s[10:11]
	s_waitcnt lgkmcnt(0)
	s_barrier
	s_barrier
	s_and_saveexec_b64 s[10:11], s[0:1]
; %bb.313:
	v_lshlrev_b32_e32 v20, 2, v1
	v_lshl_or_b32 v20, v3, 8, v20
	ds_write_b32 v20, v19 offset:11952
; %bb.314:
	s_or_b64 exec, exec, s[10:11]
	s_waitcnt lgkmcnt(0)
	s_barrier
	s_barrier
	s_and_saveexec_b64 s[10:11], vcc
	s_cbranch_execz .LBB112_316
; %bb.315:
	v_mov_b32_e32 v21, 0
	ds_read_b64 v[19:20], v21 offset:11696
	ds_read_b32 v22, v21 offset:11440
	s_waitcnt lgkmcnt(0)
	v_mul_f32_e32 v20, v22, v20
	v_mul_f32_e32 v19, v19, v20
	ds_write_b32 v21, v19 offset:11696
.LBB112_316:
	s_or_b64 exec, exec, s[10:11]
	v_mov_b32_e32 v19, 0
	s_waitcnt lgkmcnt(0)
	s_barrier
	buffer_wbinvl1_vol
	s_and_saveexec_b64 s[12:13], s[2:3]
	s_cbranch_execz .LBB112_322
; %bb.317:
	v_lshlrev_b32_e32 v21, 2, v6
	v_lshlrev_b32_e32 v20, 8, v11
	ds_read_b32 v19, v21 offset:11424
	ds_read_b32 v22, v20 offset:11440
	v_cmp_gt_u32_e64 s[10:11], 12, v5
	s_waitcnt lgkmcnt(0)
	v_fma_f32 v19, v19, v22, 0
	s_and_saveexec_b64 s[16:17], s[10:11]
	s_cbranch_execnz .LBB112_1157
; %bb.318:
	s_or_b64 exec, exec, s[16:17]
	v_cmp_gt_u32_e64 s[10:11], 8, v5
	s_and_saveexec_b64 s[16:17], s[10:11]
	s_cbranch_execnz .LBB112_1158
.LBB112_319:
	s_or_b64 exec, exec, s[16:17]
	v_cmp_gt_u32_e64 s[10:11], 4, v5
	s_and_saveexec_b64 s[16:17], s[10:11]
	s_cbranch_execz .LBB112_321
.LBB112_320:
	v_lshlrev_b32_e32 v20, 2, v0
	v_mov_b32_e32 v21, 0
	ds_read_b32 v20, v20 offset:12192
	ds_read_b32 v21, v21 offset:12220
	s_waitcnt lgkmcnt(0)
	v_fmac_f32_e32 v19, v20, v21
.LBB112_321:
	s_or_b64 exec, exec, s[16:17]
.LBB112_322:
	s_or_b64 exec, exec, s[12:13]
	s_and_saveexec_b64 s[10:11], s[42:43]
	s_cbranch_execz .LBB112_324
; %bb.323:
	v_mov_b32_e32 v20, 0
	ds_read_b32 v20, v20 offset:11180
	s_waitcnt lgkmcnt(0)
	v_mul_f32_e32 v19, v19, v20
	v_xor_b32_e32 v20, 0x80000000, v19
	ds_write_b32 v12, v20
.LBB112_324:
	s_or_b64 exec, exec, s[10:11]
	s_waitcnt lgkmcnt(0)
	s_barrier
	s_and_saveexec_b64 s[10:11], s[44:45]
	s_cbranch_execz .LBB112_326
; %bb.325:
	v_lshlrev_b32_e32 v20, 2, v6
	ds_read_b32 v20, v20 offset:11168
	ds_read_b32 v21, v12
	s_waitcnt lgkmcnt(0)
	v_fma_f32 v19, -v20, v21, v19
.LBB112_326:
	s_or_b64 exec, exec, s[10:11]
	s_barrier
	s_and_saveexec_b64 s[10:11], s[46:47]
	s_cbranch_execz .LBB112_328
; %bb.327:
	v_mov_b32_e32 v20, 0
	ds_read_b32 v20, v20 offset:10920
	s_waitcnt lgkmcnt(0)
	v_mul_f32_e32 v19, v19, v20
	v_xor_b32_e32 v20, 0x80000000, v19
	ds_write_b32 v12, v20
.LBB112_328:
	s_or_b64 exec, exec, s[10:11]
	s_waitcnt lgkmcnt(0)
	s_barrier
	s_and_saveexec_b64 s[10:11], s[48:49]
	s_cbranch_execz .LBB112_330
; %bb.329:
	v_lshlrev_b32_e32 v20, 2, v6
	ds_read_b32 v20, v20 offset:10912
	ds_read_b32 v21, v12
	s_waitcnt lgkmcnt(0)
	v_fma_f32 v19, -v20, v21, v19
.LBB112_330:
	s_or_b64 exec, exec, s[10:11]
	s_barrier
	s_and_saveexec_b64 s[10:11], s[50:51]
	s_cbranch_execz .LBB112_332
; %bb.331:
	v_mov_b32_e32 v20, 0
	ds_read_b32 v20, v20 offset:10660
	s_waitcnt lgkmcnt(0)
	v_mul_f32_e32 v19, v19, v20
	v_xor_b32_e32 v20, 0x80000000, v19
	ds_write_b32 v12, v20
.LBB112_332:
	s_or_b64 exec, exec, s[10:11]
	s_waitcnt lgkmcnt(0)
	s_barrier
	s_and_saveexec_b64 s[10:11], s[40:41]
	s_cbranch_execz .LBB112_334
; %bb.333:
	v_mov_b32_e32 v20, 0
	ds_read_b32 v20, v20 offset:10656
	ds_read_b32 v21, v12
	s_waitcnt lgkmcnt(0)
	v_fma_f32 v19, -v20, v21, v19
.LBB112_334:
	s_or_b64 exec, exec, s[10:11]
	s_barrier
	s_and_saveexec_b64 s[10:11], s[40:41]
	s_cbranch_execz .LBB112_336
; %bb.335:
	v_mov_b32_e32 v20, 0
	ds_read_b32 v20, v20 offset:10400
	s_waitcnt lgkmcnt(0)
	v_mul_f32_e32 v19, v19, v20
	v_xor_b32_e32 v20, 0x80000000, v19
	ds_write_b32 v12, v20
.LBB112_336:
	s_or_b64 exec, exec, s[10:11]
	s_waitcnt lgkmcnt(0)
	s_barrier
	s_barrier
	s_and_saveexec_b64 s[10:11], s[2:3]
; %bb.337:
	v_lshlrev_b32_e32 v20, 2, v6
	v_lshl_or_b32 v20, v11, 8, v20
	ds_write_b32 v20, v19 offset:11424
; %bb.338:
	s_or_b64 exec, exec, s[10:11]
	s_waitcnt lgkmcnt(0)
	s_barrier
	s_barrier
	s_and_saveexec_b64 s[10:11], vcc
	s_cbranch_execz .LBB112_340
; %bb.339:
	v_mov_b32_e32 v21, 0
	ds_read_b64 v[19:20], v21 offset:11176
	ds_read_b32 v22, v21 offset:10920
	s_waitcnt lgkmcnt(0)
	v_mul_f32_e32 v20, v22, v20
	v_mul_f32_e32 v19, v19, v20
	ds_write_b32 v21, v19 offset:11176
.LBB112_340:
	s_or_b64 exec, exec, s[10:11]
	v_mov_b32_e32 v19, 0
	s_waitcnt lgkmcnt(0)
	s_barrier
	buffer_wbinvl1_vol
	s_and_saveexec_b64 s[12:13], s[0:1]
	s_cbranch_execz .LBB112_344
; %bb.341:
	v_lshlrev_b32_e32 v19, 8, v3
	v_lshlrev_b32_e32 v20, 2, v1
	ds_read_b32 v21, v20 offset:10912
	ds_read_b32 v19, v19 offset:10920
	v_mov_b32_e32 v20, 0
	v_cmp_gt_u32_e64 s[10:11], 2, v5
	s_waitcnt lgkmcnt(0)
	v_fma_f32 v19, v21, v19, 0
	s_and_saveexec_b64 s[16:17], s[10:11]
	s_cbranch_execz .LBB112_343
; %bb.342:
	v_lshlrev_b32_e32 v21, 2, v0
	ds_read_b32 v21, v21 offset:11168
	ds_read_b32 v20, v20 offset:11180
	s_waitcnt lgkmcnt(0)
	v_fmac_f32_e32 v19, v21, v20
.LBB112_343:
	s_or_b64 exec, exec, s[16:17]
.LBB112_344:
	s_or_b64 exec, exec, s[12:13]
	s_and_saveexec_b64 s[10:11], s[38:39]
	s_cbranch_execz .LBB112_346
; %bb.345:
	v_mov_b32_e32 v20, 0
	ds_read_b32 v20, v20 offset:10660
	s_waitcnt lgkmcnt(0)
	v_mul_f32_e32 v19, v19, v20
	v_xor_b32_e32 v20, 0x80000000, v19
	ds_write_b32 v4, v20
.LBB112_346:
	s_or_b64 exec, exec, s[10:11]
	s_waitcnt lgkmcnt(0)
	s_barrier
	s_and_saveexec_b64 s[10:11], s[36:37]
	s_cbranch_execz .LBB112_348
; %bb.347:
	v_mov_b32_e32 v20, 0
	ds_read_b32 v20, v20 offset:10656
	ds_read_b32 v21, v4
	s_waitcnt lgkmcnt(0)
	v_fma_f32 v19, -v20, v21, v19
.LBB112_348:
	s_or_b64 exec, exec, s[10:11]
	s_barrier
	s_and_saveexec_b64 s[10:11], s[36:37]
	s_cbranch_execz .LBB112_350
; %bb.349:
	v_mov_b32_e32 v20, 0
	ds_read_b32 v20, v20 offset:10400
	s_waitcnt lgkmcnt(0)
	v_mul_f32_e32 v19, v19, v20
	v_xor_b32_e32 v20, 0x80000000, v19
	ds_write_b32 v4, v20
.LBB112_350:
	s_or_b64 exec, exec, s[10:11]
	s_waitcnt lgkmcnt(0)
	s_barrier
	s_barrier
	s_and_saveexec_b64 s[10:11], s[0:1]
; %bb.351:
	v_lshlrev_b32_e32 v20, 2, v1
	v_lshl_or_b32 v20, v3, 8, v20
	ds_write_b32 v20, v19 offset:10912
; %bb.352:
	s_or_b64 exec, exec, s[10:11]
	s_waitcnt lgkmcnt(0)
	s_barrier
	s_barrier
	s_and_saveexec_b64 s[10:11], vcc
	s_cbranch_execz .LBB112_354
; %bb.353:
	v_mov_b32_e32 v21, 0
	ds_read_b64 v[19:20], v21 offset:10656
	ds_read_b32 v22, v21 offset:10400
	s_waitcnt lgkmcnt(0)
	v_mul_f32_e32 v20, v22, v20
	v_mul_f32_e32 v19, v19, v20
	ds_write_b32 v21, v19 offset:10656
.LBB112_354:
	s_or_b64 exec, exec, s[10:11]
	v_mov_b32_e32 v19, 0
	s_waitcnt lgkmcnt(0)
	s_barrier
	buffer_wbinvl1_vol
	s_and_saveexec_b64 s[12:13], s[14:15]
	s_cbranch_execz .LBB112_364
; %bb.355:
	v_lshlrev_b32_e32 v21, 2, v13
	v_lshlrev_b32_e32 v20, 8, v14
	ds_read_b32 v19, v21 offset:10368
	ds_read_b32 v22, v20 offset:10400
	v_cmp_gt_u32_e64 s[10:11], 56, v5
	s_waitcnt lgkmcnt(0)
	v_fma_f32 v19, v19, v22, 0
	s_and_saveexec_b64 s[16:17], s[10:11]
	s_cbranch_execnz .LBB112_1159
; %bb.356:
	s_or_b64 exec, exec, s[16:17]
	v_cmp_gt_u32_e64 s[10:11], 48, v5
	s_and_saveexec_b64 s[16:17], s[10:11]
	s_cbranch_execnz .LBB112_1160
.LBB112_357:
	s_or_b64 exec, exec, s[16:17]
	v_cmp_gt_u32_e64 s[10:11], 40, v5
	s_and_saveexec_b64 s[16:17], s[10:11]
	s_cbranch_execnz .LBB112_1161
.LBB112_358:
	s_or_b64 exec, exec, s[16:17]
	v_cmp_gt_u32_e64 s[10:11], 32, v5
	s_and_saveexec_b64 s[16:17], s[10:11]
	s_cbranch_execnz .LBB112_1162
.LBB112_359:
	s_or_b64 exec, exec, s[16:17]
	v_cmp_gt_u32_e64 s[10:11], 24, v5
	s_and_saveexec_b64 s[16:17], s[10:11]
	s_cbranch_execnz .LBB112_1163
.LBB112_360:
	s_or_b64 exec, exec, s[16:17]
	s_and_saveexec_b64 s[10:11], s[2:3]
	s_cbranch_execnz .LBB112_1164
.LBB112_361:
	s_or_b64 exec, exec, s[10:11]
	v_cmp_gt_u32_e64 s[10:11], 8, v5
	s_and_saveexec_b64 s[16:17], s[10:11]
	s_cbranch_execz .LBB112_363
.LBB112_362:
	v_lshlrev_b32_e32 v20, 2, v0
	v_mov_b32_e32 v21, 0
	ds_read_b32 v20, v20 offset:12160
	ds_read_b32 v21, v21 offset:12220
	s_waitcnt lgkmcnt(0)
	v_fmac_f32_e32 v19, v20, v21
.LBB112_363:
	s_or_b64 exec, exec, s[16:17]
.LBB112_364:
	s_or_b64 exec, exec, s[12:13]
	s_and_saveexec_b64 s[10:11], s[52:53]
	s_cbranch_execz .LBB112_366
; %bb.365:
	v_mov_b32_e32 v20, 0
	ds_read_b32 v20, v20 offset:10140
	s_waitcnt lgkmcnt(0)
	v_mul_f32_e32 v19, v19, v20
	v_xor_b32_e32 v20, 0x80000000, v19
	ds_write_b32 v15, v20
.LBB112_366:
	s_or_b64 exec, exec, s[10:11]
	s_waitcnt lgkmcnt(0)
	s_barrier
	s_and_saveexec_b64 s[10:11], s[54:55]
	s_cbranch_execz .LBB112_368
; %bb.367:
	v_lshlrev_b32_e32 v20, 2, v13
	ds_read_b32 v20, v20 offset:10112
	ds_read_b32 v21, v15
	s_waitcnt lgkmcnt(0)
	v_fma_f32 v19, -v20, v21, v19
.LBB112_368:
	s_or_b64 exec, exec, s[10:11]
	s_barrier
	s_and_saveexec_b64 s[10:11], s[56:57]
	s_cbranch_execz .LBB112_370
; %bb.369:
	v_mov_b32_e32 v20, 0
	ds_read_b32 v20, v20 offset:9880
	s_waitcnt lgkmcnt(0)
	v_mul_f32_e32 v19, v19, v20
	v_xor_b32_e32 v20, 0x80000000, v19
	ds_write_b32 v15, v20
.LBB112_370:
	s_or_b64 exec, exec, s[10:11]
	s_waitcnt lgkmcnt(0)
	s_barrier
	s_and_saveexec_b64 s[10:11], s[58:59]
	s_cbranch_execz .LBB112_372
; %bb.371:
	v_lshlrev_b32_e32 v20, 2, v13
	ds_read_b32 v20, v20 offset:9856
	ds_read_b32 v21, v15
	s_waitcnt lgkmcnt(0)
	v_fma_f32 v19, -v20, v21, v19
.LBB112_372:
	s_or_b64 exec, exec, s[10:11]
	s_barrier
	;; [unrolled: 24-line block ×6, first 2 shown]
	s_and_saveexec_b64 s[10:11], s[78:79]
	s_cbranch_execz .LBB112_390
; %bb.389:
	v_mov_b32_e32 v20, 0
	ds_read_b32 v20, v20 offset:8580
	s_waitcnt lgkmcnt(0)
	v_mul_f32_e32 v19, v19, v20
	v_xor_b32_e32 v20, 0x80000000, v19
	ds_write_b32 v15, v20
.LBB112_390:
	s_or_b64 exec, exec, s[10:11]
	s_waitcnt lgkmcnt(0)
	s_barrier
	s_and_saveexec_b64 s[10:11], s[62:63]
	s_cbranch_execz .LBB112_392
; %bb.391:
	v_mov_b32_e32 v20, 0
	ds_read_b32 v20, v20 offset:8576
	ds_read_b32 v21, v15
	s_waitcnt lgkmcnt(0)
	v_fma_f32 v19, -v20, v21, v19
.LBB112_392:
	s_or_b64 exec, exec, s[10:11]
	s_barrier
	s_and_saveexec_b64 s[10:11], s[62:63]
	s_cbranch_execz .LBB112_394
; %bb.393:
	v_mov_b32_e32 v20, 0
	ds_read_b32 v20, v20 offset:8320
	s_waitcnt lgkmcnt(0)
	v_mul_f32_e32 v19, v19, v20
	v_xor_b32_e32 v20, 0x80000000, v19
	ds_write_b32 v15, v20
.LBB112_394:
	s_or_b64 exec, exec, s[10:11]
	s_waitcnt lgkmcnt(0)
	s_barrier
	s_barrier
	s_and_saveexec_b64 s[10:11], s[14:15]
; %bb.395:
	v_lshlrev_b32_e32 v20, 2, v13
	v_lshl_or_b32 v20, v14, 8, v20
	ds_write_b32 v20, v19 offset:10368
; %bb.396:
	s_or_b64 exec, exec, s[10:11]
	s_waitcnt lgkmcnt(0)
	s_barrier
	s_barrier
	s_and_saveexec_b64 s[10:11], vcc
	s_cbranch_execz .LBB112_398
; %bb.397:
	v_mov_b32_e32 v21, 0
	ds_read_b64 v[19:20], v21 offset:10136
	ds_read_b32 v22, v21 offset:9880
	s_waitcnt lgkmcnt(0)
	v_mul_f32_e32 v20, v22, v20
	v_mul_f32_e32 v19, v19, v20
	ds_write_b32 v21, v19 offset:10136
.LBB112_398:
	s_or_b64 exec, exec, s[10:11]
	v_mov_b32_e32 v19, 0
	s_waitcnt lgkmcnt(0)
	s_barrier
	buffer_wbinvl1_vol
	s_and_saveexec_b64 s[12:13], s[0:1]
	s_cbranch_execz .LBB112_402
; %bb.399:
	v_lshlrev_b32_e32 v19, 8, v3
	v_lshlrev_b32_e32 v20, 2, v1
	ds_read_b32 v21, v20 offset:9872
	ds_read_b32 v19, v19 offset:9880
	v_mov_b32_e32 v20, 0
	v_cmp_gt_u32_e64 s[10:11], 2, v5
	s_waitcnt lgkmcnt(0)
	v_fma_f32 v19, v21, v19, 0
	s_and_saveexec_b64 s[16:17], s[10:11]
	s_cbranch_execz .LBB112_401
; %bb.400:
	v_lshlrev_b32_e32 v21, 2, v0
	ds_read_b32 v21, v21 offset:10128
	ds_read_b32 v20, v20 offset:10140
	s_waitcnt lgkmcnt(0)
	v_fmac_f32_e32 v19, v21, v20
.LBB112_401:
	s_or_b64 exec, exec, s[16:17]
.LBB112_402:
	s_or_b64 exec, exec, s[12:13]
	s_and_saveexec_b64 s[10:11], s[38:39]
	s_cbranch_execz .LBB112_404
; %bb.403:
	v_mov_b32_e32 v20, 0
	ds_read_b32 v20, v20 offset:9620
	s_waitcnt lgkmcnt(0)
	v_mul_f32_e32 v19, v19, v20
	v_xor_b32_e32 v20, 0x80000000, v19
	ds_write_b32 v4, v20
.LBB112_404:
	s_or_b64 exec, exec, s[10:11]
	s_waitcnt lgkmcnt(0)
	s_barrier
	s_and_saveexec_b64 s[10:11], s[36:37]
	s_cbranch_execz .LBB112_406
; %bb.405:
	v_mov_b32_e32 v20, 0
	ds_read_b32 v20, v20 offset:9616
	ds_read_b32 v21, v4
	s_waitcnt lgkmcnt(0)
	v_fma_f32 v19, -v20, v21, v19
.LBB112_406:
	s_or_b64 exec, exec, s[10:11]
	s_barrier
	s_and_saveexec_b64 s[10:11], s[36:37]
	s_cbranch_execz .LBB112_408
; %bb.407:
	v_mov_b32_e32 v20, 0
	ds_read_b32 v20, v20 offset:9360
	s_waitcnt lgkmcnt(0)
	v_mul_f32_e32 v19, v19, v20
	v_xor_b32_e32 v20, 0x80000000, v19
	ds_write_b32 v4, v20
.LBB112_408:
	s_or_b64 exec, exec, s[10:11]
	s_waitcnt lgkmcnt(0)
	s_barrier
	s_barrier
	s_and_saveexec_b64 s[10:11], s[0:1]
; %bb.409:
	v_lshlrev_b32_e32 v20, 2, v1
	v_lshl_or_b32 v20, v3, 8, v20
	ds_write_b32 v20, v19 offset:9872
; %bb.410:
	s_or_b64 exec, exec, s[10:11]
	s_waitcnt lgkmcnt(0)
	s_barrier
	s_barrier
	s_and_saveexec_b64 s[10:11], vcc
	s_cbranch_execz .LBB112_412
; %bb.411:
	v_mov_b32_e32 v21, 0
	ds_read_b64 v[19:20], v21 offset:9616
	ds_read_b32 v22, v21 offset:9360
	s_waitcnt lgkmcnt(0)
	v_mul_f32_e32 v20, v22, v20
	v_mul_f32_e32 v19, v19, v20
	ds_write_b32 v21, v19 offset:9616
.LBB112_412:
	s_or_b64 exec, exec, s[10:11]
	v_mov_b32_e32 v19, 0
	s_waitcnt lgkmcnt(0)
	s_barrier
	buffer_wbinvl1_vol
	s_and_saveexec_b64 s[12:13], s[2:3]
	s_cbranch_execz .LBB112_418
; %bb.413:
	v_lshlrev_b32_e32 v21, 2, v6
	v_lshlrev_b32_e32 v20, 8, v11
	ds_read_b32 v19, v21 offset:9344
	ds_read_b32 v22, v20 offset:9360
	v_cmp_gt_u32_e64 s[10:11], 12, v5
	s_waitcnt lgkmcnt(0)
	v_fma_f32 v19, v19, v22, 0
	s_and_saveexec_b64 s[16:17], s[10:11]
	s_cbranch_execnz .LBB112_1165
; %bb.414:
	s_or_b64 exec, exec, s[16:17]
	v_cmp_gt_u32_e64 s[10:11], 8, v5
	s_and_saveexec_b64 s[16:17], s[10:11]
	s_cbranch_execnz .LBB112_1166
.LBB112_415:
	s_or_b64 exec, exec, s[16:17]
	v_cmp_gt_u32_e64 s[10:11], 4, v5
	s_and_saveexec_b64 s[16:17], s[10:11]
	s_cbranch_execz .LBB112_417
.LBB112_416:
	v_lshlrev_b32_e32 v20, 2, v0
	v_mov_b32_e32 v21, 0
	ds_read_b32 v20, v20 offset:10112
	ds_read_b32 v21, v21 offset:10140
	s_waitcnt lgkmcnt(0)
	v_fmac_f32_e32 v19, v20, v21
.LBB112_417:
	s_or_b64 exec, exec, s[16:17]
.LBB112_418:
	s_or_b64 exec, exec, s[12:13]
	s_and_saveexec_b64 s[10:11], s[42:43]
	s_cbranch_execz .LBB112_420
; %bb.419:
	v_mov_b32_e32 v20, 0
	ds_read_b32 v20, v20 offset:9100
	s_waitcnt lgkmcnt(0)
	v_mul_f32_e32 v19, v19, v20
	v_xor_b32_e32 v20, 0x80000000, v19
	ds_write_b32 v12, v20
.LBB112_420:
	s_or_b64 exec, exec, s[10:11]
	s_waitcnt lgkmcnt(0)
	s_barrier
	s_and_saveexec_b64 s[10:11], s[44:45]
	s_cbranch_execz .LBB112_422
; %bb.421:
	v_lshlrev_b32_e32 v20, 2, v6
	ds_read_b32 v20, v20 offset:9088
	ds_read_b32 v21, v12
	s_waitcnt lgkmcnt(0)
	v_fma_f32 v19, -v20, v21, v19
.LBB112_422:
	s_or_b64 exec, exec, s[10:11]
	s_barrier
	s_and_saveexec_b64 s[10:11], s[46:47]
	s_cbranch_execz .LBB112_424
; %bb.423:
	v_mov_b32_e32 v20, 0
	ds_read_b32 v20, v20 offset:8840
	s_waitcnt lgkmcnt(0)
	v_mul_f32_e32 v19, v19, v20
	v_xor_b32_e32 v20, 0x80000000, v19
	ds_write_b32 v12, v20
.LBB112_424:
	s_or_b64 exec, exec, s[10:11]
	s_waitcnt lgkmcnt(0)
	s_barrier
	s_and_saveexec_b64 s[10:11], s[48:49]
	s_cbranch_execz .LBB112_426
; %bb.425:
	v_lshlrev_b32_e32 v20, 2, v6
	ds_read_b32 v20, v20 offset:8832
	ds_read_b32 v21, v12
	s_waitcnt lgkmcnt(0)
	v_fma_f32 v19, -v20, v21, v19
.LBB112_426:
	s_or_b64 exec, exec, s[10:11]
	s_barrier
	s_and_saveexec_b64 s[10:11], s[50:51]
	s_cbranch_execz .LBB112_428
; %bb.427:
	v_mov_b32_e32 v20, 0
	ds_read_b32 v20, v20 offset:8580
	s_waitcnt lgkmcnt(0)
	v_mul_f32_e32 v19, v19, v20
	v_xor_b32_e32 v20, 0x80000000, v19
	ds_write_b32 v12, v20
.LBB112_428:
	s_or_b64 exec, exec, s[10:11]
	s_waitcnt lgkmcnt(0)
	s_barrier
	s_and_saveexec_b64 s[10:11], s[40:41]
	s_cbranch_execz .LBB112_430
; %bb.429:
	v_mov_b32_e32 v20, 0
	ds_read_b32 v20, v20 offset:8576
	ds_read_b32 v21, v12
	s_waitcnt lgkmcnt(0)
	v_fma_f32 v19, -v20, v21, v19
.LBB112_430:
	s_or_b64 exec, exec, s[10:11]
	s_barrier
	s_and_saveexec_b64 s[10:11], s[40:41]
	s_cbranch_execz .LBB112_432
; %bb.431:
	v_mov_b32_e32 v20, 0
	ds_read_b32 v20, v20 offset:8320
	s_waitcnt lgkmcnt(0)
	v_mul_f32_e32 v19, v19, v20
	v_xor_b32_e32 v20, 0x80000000, v19
	ds_write_b32 v12, v20
.LBB112_432:
	s_or_b64 exec, exec, s[10:11]
	s_waitcnt lgkmcnt(0)
	s_barrier
	s_barrier
	s_and_saveexec_b64 s[10:11], s[2:3]
; %bb.433:
	v_lshlrev_b32_e32 v20, 2, v6
	v_lshl_or_b32 v20, v11, 8, v20
	ds_write_b32 v20, v19 offset:9344
; %bb.434:
	s_or_b64 exec, exec, s[10:11]
	s_waitcnt lgkmcnt(0)
	s_barrier
	s_barrier
	s_and_saveexec_b64 s[10:11], vcc
	s_cbranch_execz .LBB112_436
; %bb.435:
	v_mov_b32_e32 v21, 0
	ds_read_b64 v[19:20], v21 offset:9096
	ds_read_b32 v22, v21 offset:8840
	s_waitcnt lgkmcnt(0)
	v_mul_f32_e32 v20, v22, v20
	v_mul_f32_e32 v19, v19, v20
	ds_write_b32 v21, v19 offset:9096
.LBB112_436:
	s_or_b64 exec, exec, s[10:11]
	v_mov_b32_e32 v19, 0
	s_waitcnt lgkmcnt(0)
	s_barrier
	buffer_wbinvl1_vol
	s_and_saveexec_b64 s[12:13], s[0:1]
	s_cbranch_execz .LBB112_440
; %bb.437:
	v_lshlrev_b32_e32 v19, 8, v3
	v_lshlrev_b32_e32 v20, 2, v1
	ds_read_b32 v21, v20 offset:8832
	ds_read_b32 v19, v19 offset:8840
	v_mov_b32_e32 v20, 0
	v_cmp_gt_u32_e64 s[10:11], 2, v5
	s_waitcnt lgkmcnt(0)
	v_fma_f32 v19, v21, v19, 0
	s_and_saveexec_b64 s[16:17], s[10:11]
	s_cbranch_execz .LBB112_439
; %bb.438:
	v_lshlrev_b32_e32 v21, 2, v0
	ds_read_b32 v21, v21 offset:9088
	ds_read_b32 v20, v20 offset:9100
	s_waitcnt lgkmcnt(0)
	v_fmac_f32_e32 v19, v21, v20
.LBB112_439:
	s_or_b64 exec, exec, s[16:17]
.LBB112_440:
	s_or_b64 exec, exec, s[12:13]
	s_and_saveexec_b64 s[10:11], s[38:39]
	s_cbranch_execz .LBB112_442
; %bb.441:
	v_mov_b32_e32 v20, 0
	ds_read_b32 v20, v20 offset:8580
	s_waitcnt lgkmcnt(0)
	v_mul_f32_e32 v19, v19, v20
	v_xor_b32_e32 v20, 0x80000000, v19
	ds_write_b32 v4, v20
.LBB112_442:
	s_or_b64 exec, exec, s[10:11]
	s_waitcnt lgkmcnt(0)
	s_barrier
	s_and_saveexec_b64 s[10:11], s[36:37]
	s_cbranch_execz .LBB112_444
; %bb.443:
	v_mov_b32_e32 v20, 0
	ds_read_b32 v20, v20 offset:8576
	ds_read_b32 v21, v4
	s_waitcnt lgkmcnt(0)
	v_fma_f32 v19, -v20, v21, v19
.LBB112_444:
	s_or_b64 exec, exec, s[10:11]
	s_barrier
	s_and_saveexec_b64 s[10:11], s[36:37]
	s_cbranch_execz .LBB112_446
; %bb.445:
	v_mov_b32_e32 v20, 0
	ds_read_b32 v20, v20 offset:8320
	s_waitcnt lgkmcnt(0)
	v_mul_f32_e32 v19, v19, v20
	v_xor_b32_e32 v20, 0x80000000, v19
	ds_write_b32 v4, v20
.LBB112_446:
	s_or_b64 exec, exec, s[10:11]
	s_waitcnt lgkmcnt(0)
	s_barrier
	s_barrier
	s_and_saveexec_b64 s[10:11], s[0:1]
; %bb.447:
	v_lshlrev_b32_e32 v20, 2, v1
	v_lshl_or_b32 v20, v3, 8, v20
	ds_write_b32 v20, v19 offset:8832
; %bb.448:
	s_or_b64 exec, exec, s[10:11]
	s_waitcnt lgkmcnt(0)
	s_barrier
	s_barrier
	s_and_saveexec_b64 s[10:11], vcc
	s_cbranch_execz .LBB112_450
; %bb.449:
	v_mov_b32_e32 v21, 0
	ds_read_b64 v[19:20], v21 offset:8576
	ds_read_b32 v22, v21 offset:8320
	s_waitcnt lgkmcnt(0)
	v_mul_f32_e32 v20, v22, v20
	v_mul_f32_e32 v19, v19, v20
	ds_write_b32 v21, v19 offset:8576
.LBB112_450:
	s_or_b64 exec, exec, s[10:11]
	s_movk_i32 s10, 0x3ff
	v_lshrrev_b32_e32 v22, 5, v5
	v_cmp_lt_u32_e64 s[12:13], s10, v5
	s_movk_i32 s10, 0x400
	v_and_b32_e32 v19, 31, v0
	v_sub_u32_e32 v20, 31, v22
	v_cmp_gt_u32_e64 s[10:11], s10, v5
	v_mov_b32_e32 v21, 0
	s_waitcnt lgkmcnt(0)
	s_barrier
	buffer_wbinvl1_vol
	s_and_saveexec_b64 s[88:89], s[10:11]
	s_cbranch_execz .LBB112_512
; %bb.451:
	v_lshlrev_b32_e32 v24, 2, v19
	v_lshlrev_b32_e32 v23, 8, v20
	ds_read_b32 v21, v24 offset:8192
	ds_read_b32 v25, v23 offset:8320
	s_movk_i32 s16, 0x3e0
	v_cmp_gt_u32_e64 s[16:17], s16, v5
	s_waitcnt lgkmcnt(0)
	v_fma_f32 v21, v21, v25, 0
	s_and_saveexec_b64 s[90:91], s[16:17]
	s_cbranch_execz .LBB112_453
; %bb.452:
	ds_read_b32 v25, v24 offset:8448
	ds_read_b32 v26, v23 offset:8324
	s_waitcnt lgkmcnt(0)
	v_fmac_f32_e32 v21, v25, v26
.LBB112_453:
	s_or_b64 exec, exec, s[90:91]
	s_movk_i32 s16, 0x3c0
	v_cmp_gt_u32_e64 s[16:17], s16, v5
	s_and_saveexec_b64 s[90:91], s[16:17]
	s_cbranch_execz .LBB112_455
; %bb.454:
	ds_read_b32 v25, v24 offset:8704
	ds_read_b32 v26, v23 offset:8328
	s_waitcnt lgkmcnt(0)
	v_fmac_f32_e32 v21, v25, v26
.LBB112_455:
	s_or_b64 exec, exec, s[90:91]
	s_movk_i32 s16, 0x3a0
	v_cmp_gt_u32_e64 s[16:17], s16, v5
	;; [unrolled: 11-line block ×22, first 2 shown]
	s_and_saveexec_b64 s[90:91], s[16:17]
	s_cbranch_execz .LBB112_497
; %bb.496:
	ds_read_b32 v25, v24 offset:14080
	ds_read_b32 v26, v23 offset:8412
	s_waitcnt lgkmcnt(0)
	v_fmac_f32_e32 v21, v25, v26
.LBB112_497:
	s_or_b64 exec, exec, s[90:91]
	s_and_saveexec_b64 s[16:17], s[8:9]
	s_cbranch_execz .LBB112_499
; %bb.498:
	ds_read_b32 v25, v24 offset:14336
	ds_read_b32 v26, v23 offset:8416
	s_waitcnt lgkmcnt(0)
	v_fmac_f32_e32 v21, v25, v26
.LBB112_499:
	s_or_b64 exec, exec, s[16:17]
	s_movk_i32 s16, 0xe0
	v_cmp_gt_u32_e64 s[16:17], s16, v5
	s_and_saveexec_b64 s[90:91], s[16:17]
	s_cbranch_execz .LBB112_501
; %bb.500:
	ds_read_b32 v25, v24 offset:14592
	ds_read_b32 v26, v23 offset:8420
	s_waitcnt lgkmcnt(0)
	v_fmac_f32_e32 v21, v25, v26
.LBB112_501:
	s_or_b64 exec, exec, s[90:91]
	s_movk_i32 s16, 0xc0
	v_cmp_gt_u32_e64 s[16:17], s16, v5
	;; [unrolled: 11-line block ×5, first 2 shown]
	s_and_saveexec_b64 s[90:91], s[16:17]
	s_cbranch_execnz .LBB112_1167
; %bb.508:
	s_or_b64 exec, exec, s[90:91]
	s_and_saveexec_b64 s[16:17], s[14:15]
	s_cbranch_execnz .LBB112_1168
.LBB112_509:
	s_or_b64 exec, exec, s[16:17]
	v_cmp_gt_u32_e64 s[16:17], 32, v5
	s_and_saveexec_b64 s[90:91], s[16:17]
	s_cbranch_execz .LBB112_511
.LBB112_510:
	v_lshlrev_b32_e32 v23, 2, v0
	v_mov_b32_e32 v24, 0
	ds_read_b32 v23, v23 offset:16128
	ds_read_b32 v24, v24 offset:16380
	s_waitcnt lgkmcnt(0)
	v_fmac_f32_e32 v21, v23, v24
.LBB112_511:
	s_or_b64 exec, exec, s[90:91]
.LBB112_512:
	s_or_b64 exec, exec, s[88:89]
	v_mov_b32_e32 v23, 0x4000
	v_cmp_eq_u32_e64 s[16:17], 31, v19
	s_xor_b64 s[88:89], s[12:13], -1
	v_lshl_add_u32 v22, v22, 2, v23
	s_and_b64 s[16:17], s[16:17], s[88:89]
	s_and_saveexec_b64 s[12:13], s[16:17]
	s_cbranch_execz .LBB112_514
; %bb.513:
	v_mov_b32_e32 v23, 0
	ds_read_b32 v23, v23 offset:8060
	s_waitcnt lgkmcnt(0)
	v_mul_f32_e32 v21, v21, v23
	v_xor_b32_e32 v23, 0x80000000, v21
	ds_write_b32 v22, v23
.LBB112_514:
	s_or_b64 exec, exec, s[12:13]
	v_cmp_ne_u32_e64 s[12:13], 31, v19
	s_and_b64 s[16:17], s[12:13], s[88:89]
	s_waitcnt lgkmcnt(0)
	s_barrier
	s_and_saveexec_b64 s[12:13], s[16:17]
	s_cbranch_execz .LBB112_516
; %bb.515:
	v_lshlrev_b32_e32 v23, 2, v19
	ds_read_b32 v23, v23 offset:7936
	ds_read_b32 v24, v22
	s_waitcnt lgkmcnt(0)
	v_fma_f32 v21, -v23, v24, v21
.LBB112_516:
	s_or_b64 exec, exec, s[12:13]
	v_cmp_eq_u32_e64 s[12:13], 30, v19
	s_and_b64 s[16:17], s[12:13], s[88:89]
	s_barrier
	s_and_saveexec_b64 s[12:13], s[16:17]
	s_cbranch_execz .LBB112_518
; %bb.517:
	v_mov_b32_e32 v23, 0
	ds_read_b32 v23, v23 offset:7800
	s_waitcnt lgkmcnt(0)
	v_mul_f32_e32 v21, v21, v23
	v_xor_b32_e32 v23, 0x80000000, v21
	ds_write_b32 v22, v23
.LBB112_518:
	s_or_b64 exec, exec, s[12:13]
	v_cmp_gt_u32_e64 s[12:13], 30, v19
	s_and_b64 s[16:17], s[12:13], s[88:89]
	s_waitcnt lgkmcnt(0)
	s_barrier
	s_and_saveexec_b64 s[12:13], s[16:17]
	s_cbranch_execz .LBB112_520
; %bb.519:
	v_lshlrev_b32_e32 v23, 2, v19
	ds_read_b32 v23, v23 offset:7680
	ds_read_b32 v24, v22
	s_waitcnt lgkmcnt(0)
	v_fma_f32 v21, -v23, v24, v21
.LBB112_520:
	s_or_b64 exec, exec, s[12:13]
	v_cmp_eq_u32_e64 s[12:13], 29, v19
	s_and_b64 s[16:17], s[12:13], s[88:89]
	s_barrier
	s_and_saveexec_b64 s[12:13], s[16:17]
	s_cbranch_execz .LBB112_522
; %bb.521:
	v_mov_b32_e32 v23, 0
	ds_read_b32 v23, v23 offset:7540
	s_waitcnt lgkmcnt(0)
	v_mul_f32_e32 v21, v21, v23
	v_xor_b32_e32 v23, 0x80000000, v21
	ds_write_b32 v22, v23
.LBB112_522:
	s_or_b64 exec, exec, s[12:13]
	v_cmp_gt_u32_e64 s[12:13], 29, v19
	;; [unrolled: 28-line block ×29, first 2 shown]
	s_and_b64 s[16:17], s[12:13], s[88:89]
	s_waitcnt lgkmcnt(0)
	s_barrier
	s_and_saveexec_b64 s[12:13], s[16:17]
	s_cbranch_execz .LBB112_632
; %bb.631:
	v_lshlrev_b32_e32 v23, 2, v19
	ds_read_b32 v23, v23 offset:512
	ds_read_b32 v24, v22
	s_waitcnt lgkmcnt(0)
	v_fma_f32 v21, -v23, v24, v21
.LBB112_632:
	s_or_b64 exec, exec, s[12:13]
	v_cmp_eq_u32_e64 s[12:13], 1, v19
	s_and_b64 s[16:17], s[12:13], s[88:89]
	s_barrier
	s_and_saveexec_b64 s[12:13], s[16:17]
	s_cbranch_execz .LBB112_634
; %bb.633:
	v_mov_b32_e32 v23, 0
	ds_read_b32 v23, v23 offset:260
	s_waitcnt lgkmcnt(0)
	v_mul_f32_e32 v21, v21, v23
	v_xor_b32_e32 v23, 0x80000000, v21
	ds_write_b32 v22, v23
.LBB112_634:
	s_or_b64 exec, exec, s[12:13]
	v_cmp_eq_u32_e64 s[12:13], 0, v19
	s_and_b64 s[12:13], s[12:13], s[88:89]
	s_waitcnt lgkmcnt(0)
	s_barrier
	s_and_saveexec_b64 s[16:17], s[12:13]
	s_cbranch_execz .LBB112_636
; %bb.635:
	v_mov_b32_e32 v23, 0
	ds_read_b32 v23, v23 offset:256
	ds_read_b32 v24, v22
	s_waitcnt lgkmcnt(0)
	v_fma_f32 v21, -v23, v24, v21
.LBB112_636:
	s_or_b64 exec, exec, s[16:17]
	s_barrier
	s_and_saveexec_b64 s[16:17], s[12:13]
	s_cbranch_execz .LBB112_638
; %bb.637:
	v_mov_b32_e32 v23, 0
	ds_read_b32 v23, v23
	s_waitcnt lgkmcnt(0)
	v_mul_f32_e32 v21, v21, v23
	v_xor_b32_e32 v23, 0x80000000, v21
	ds_write_b32 v22, v23
.LBB112_638:
	s_or_b64 exec, exec, s[16:17]
	s_waitcnt lgkmcnt(0)
	s_barrier
	s_barrier
	s_and_saveexec_b64 s[12:13], s[10:11]
; %bb.639:
	v_lshlrev_b32_e32 v19, 2, v19
	v_lshl_or_b32 v19, v20, 8, v19
	ds_write_b32 v19, v21 offset:8192
; %bb.640:
	s_or_b64 exec, exec, s[12:13]
	s_waitcnt lgkmcnt(0)
	s_barrier
	s_barrier
	s_and_saveexec_b64 s[10:11], vcc
	s_cbranch_execz .LBB112_642
; %bb.641:
	v_mov_b32_e32 v21, 0
	ds_read_b64 v[19:20], v21 offset:8056
	ds_read_b32 v22, v21 offset:7800
	s_waitcnt lgkmcnt(0)
	v_mul_f32_e32 v20, v22, v20
	v_mul_f32_e32 v19, v19, v20
	ds_write_b32 v21, v19 offset:8056
.LBB112_642:
	s_or_b64 exec, exec, s[10:11]
	v_mov_b32_e32 v19, 0
	s_waitcnt lgkmcnt(0)
	s_barrier
	buffer_wbinvl1_vol
	s_and_saveexec_b64 s[12:13], s[0:1]
	s_cbranch_execz .LBB112_646
; %bb.643:
	v_lshlrev_b32_e32 v19, 8, v3
	v_lshlrev_b32_e32 v20, 2, v1
	ds_read_b32 v21, v20 offset:7792
	ds_read_b32 v19, v19 offset:7800
	v_mov_b32_e32 v20, 0
	v_cmp_gt_u32_e64 s[10:11], 2, v5
	s_waitcnt lgkmcnt(0)
	v_fma_f32 v19, v21, v19, 0
	s_and_saveexec_b64 s[16:17], s[10:11]
	s_cbranch_execz .LBB112_645
; %bb.644:
	v_lshlrev_b32_e32 v21, 2, v0
	ds_read_b32 v21, v21 offset:8048
	ds_read_b32 v20, v20 offset:8060
	s_waitcnt lgkmcnt(0)
	v_fmac_f32_e32 v19, v21, v20
.LBB112_645:
	s_or_b64 exec, exec, s[16:17]
.LBB112_646:
	s_or_b64 exec, exec, s[12:13]
	s_and_saveexec_b64 s[10:11], s[38:39]
	s_cbranch_execz .LBB112_648
; %bb.647:
	v_mov_b32_e32 v20, 0
	ds_read_b32 v20, v20 offset:7540
	s_waitcnt lgkmcnt(0)
	v_mul_f32_e32 v19, v19, v20
	v_xor_b32_e32 v20, 0x80000000, v19
	ds_write_b32 v4, v20
.LBB112_648:
	s_or_b64 exec, exec, s[10:11]
	s_waitcnt lgkmcnt(0)
	s_barrier
	s_and_saveexec_b64 s[10:11], s[36:37]
	s_cbranch_execz .LBB112_650
; %bb.649:
	v_mov_b32_e32 v20, 0
	ds_read_b32 v20, v20 offset:7536
	ds_read_b32 v21, v4
	s_waitcnt lgkmcnt(0)
	v_fma_f32 v19, -v20, v21, v19
.LBB112_650:
	s_or_b64 exec, exec, s[10:11]
	s_barrier
	s_and_saveexec_b64 s[10:11], s[36:37]
	s_cbranch_execz .LBB112_652
; %bb.651:
	v_mov_b32_e32 v20, 0
	ds_read_b32 v20, v20 offset:7280
	s_waitcnt lgkmcnt(0)
	v_mul_f32_e32 v19, v19, v20
	v_xor_b32_e32 v20, 0x80000000, v19
	ds_write_b32 v4, v20
.LBB112_652:
	s_or_b64 exec, exec, s[10:11]
	s_waitcnt lgkmcnt(0)
	s_barrier
	s_barrier
	s_and_saveexec_b64 s[10:11], s[0:1]
; %bb.653:
	v_lshlrev_b32_e32 v20, 2, v1
	v_lshl_or_b32 v20, v3, 8, v20
	ds_write_b32 v20, v19 offset:7792
; %bb.654:
	s_or_b64 exec, exec, s[10:11]
	s_waitcnt lgkmcnt(0)
	s_barrier
	s_barrier
	s_and_saveexec_b64 s[10:11], vcc
	s_cbranch_execz .LBB112_656
; %bb.655:
	v_mov_b32_e32 v21, 0
	ds_read_b64 v[19:20], v21 offset:7536
	ds_read_b32 v22, v21 offset:7280
	s_waitcnt lgkmcnt(0)
	v_mul_f32_e32 v20, v22, v20
	v_mul_f32_e32 v19, v19, v20
	ds_write_b32 v21, v19 offset:7536
.LBB112_656:
	s_or_b64 exec, exec, s[10:11]
	v_mov_b32_e32 v19, 0
	s_waitcnt lgkmcnt(0)
	s_barrier
	buffer_wbinvl1_vol
	s_and_saveexec_b64 s[12:13], s[2:3]
	s_cbranch_execz .LBB112_662
; %bb.657:
	v_lshlrev_b32_e32 v21, 2, v6
	v_lshlrev_b32_e32 v20, 8, v11
	ds_read_b32 v19, v21 offset:7264
	ds_read_b32 v22, v20 offset:7280
	v_cmp_gt_u32_e64 s[10:11], 12, v5
	s_waitcnt lgkmcnt(0)
	v_fma_f32 v19, v19, v22, 0
	s_and_saveexec_b64 s[16:17], s[10:11]
	s_cbranch_execnz .LBB112_1169
; %bb.658:
	s_or_b64 exec, exec, s[16:17]
	v_cmp_gt_u32_e64 s[10:11], 8, v5
	s_and_saveexec_b64 s[16:17], s[10:11]
	s_cbranch_execnz .LBB112_1170
.LBB112_659:
	s_or_b64 exec, exec, s[16:17]
	v_cmp_gt_u32_e64 s[10:11], 4, v5
	s_and_saveexec_b64 s[16:17], s[10:11]
	s_cbranch_execz .LBB112_661
.LBB112_660:
	v_lshlrev_b32_e32 v20, 2, v0
	v_mov_b32_e32 v21, 0
	ds_read_b32 v20, v20 offset:8032
	ds_read_b32 v21, v21 offset:8060
	s_waitcnt lgkmcnt(0)
	v_fmac_f32_e32 v19, v20, v21
.LBB112_661:
	s_or_b64 exec, exec, s[16:17]
.LBB112_662:
	s_or_b64 exec, exec, s[12:13]
	s_and_saveexec_b64 s[10:11], s[42:43]
	s_cbranch_execz .LBB112_664
; %bb.663:
	v_mov_b32_e32 v20, 0
	ds_read_b32 v20, v20 offset:7020
	s_waitcnt lgkmcnt(0)
	v_mul_f32_e32 v19, v19, v20
	v_xor_b32_e32 v20, 0x80000000, v19
	ds_write_b32 v12, v20
.LBB112_664:
	s_or_b64 exec, exec, s[10:11]
	s_waitcnt lgkmcnt(0)
	s_barrier
	s_and_saveexec_b64 s[10:11], s[44:45]
	s_cbranch_execz .LBB112_666
; %bb.665:
	v_lshlrev_b32_e32 v20, 2, v6
	ds_read_b32 v20, v20 offset:7008
	ds_read_b32 v21, v12
	s_waitcnt lgkmcnt(0)
	v_fma_f32 v19, -v20, v21, v19
.LBB112_666:
	s_or_b64 exec, exec, s[10:11]
	s_barrier
	s_and_saveexec_b64 s[10:11], s[46:47]
	s_cbranch_execz .LBB112_668
; %bb.667:
	v_mov_b32_e32 v20, 0
	ds_read_b32 v20, v20 offset:6760
	s_waitcnt lgkmcnt(0)
	v_mul_f32_e32 v19, v19, v20
	v_xor_b32_e32 v20, 0x80000000, v19
	ds_write_b32 v12, v20
.LBB112_668:
	s_or_b64 exec, exec, s[10:11]
	s_waitcnt lgkmcnt(0)
	s_barrier
	s_and_saveexec_b64 s[10:11], s[48:49]
	s_cbranch_execz .LBB112_670
; %bb.669:
	v_lshlrev_b32_e32 v20, 2, v6
	ds_read_b32 v20, v20 offset:6752
	ds_read_b32 v21, v12
	s_waitcnt lgkmcnt(0)
	v_fma_f32 v19, -v20, v21, v19
.LBB112_670:
	s_or_b64 exec, exec, s[10:11]
	s_barrier
	s_and_saveexec_b64 s[10:11], s[50:51]
	s_cbranch_execz .LBB112_672
; %bb.671:
	v_mov_b32_e32 v20, 0
	ds_read_b32 v20, v20 offset:6500
	s_waitcnt lgkmcnt(0)
	v_mul_f32_e32 v19, v19, v20
	v_xor_b32_e32 v20, 0x80000000, v19
	ds_write_b32 v12, v20
.LBB112_672:
	s_or_b64 exec, exec, s[10:11]
	s_waitcnt lgkmcnt(0)
	s_barrier
	s_and_saveexec_b64 s[10:11], s[40:41]
	s_cbranch_execz .LBB112_674
; %bb.673:
	v_mov_b32_e32 v20, 0
	ds_read_b32 v20, v20 offset:6496
	ds_read_b32 v21, v12
	s_waitcnt lgkmcnt(0)
	v_fma_f32 v19, -v20, v21, v19
.LBB112_674:
	s_or_b64 exec, exec, s[10:11]
	s_barrier
	s_and_saveexec_b64 s[10:11], s[40:41]
	s_cbranch_execz .LBB112_676
; %bb.675:
	v_mov_b32_e32 v20, 0
	ds_read_b32 v20, v20 offset:6240
	s_waitcnt lgkmcnt(0)
	v_mul_f32_e32 v19, v19, v20
	v_xor_b32_e32 v20, 0x80000000, v19
	ds_write_b32 v12, v20
.LBB112_676:
	s_or_b64 exec, exec, s[10:11]
	s_waitcnt lgkmcnt(0)
	s_barrier
	s_barrier
	s_and_saveexec_b64 s[10:11], s[2:3]
; %bb.677:
	v_lshlrev_b32_e32 v20, 2, v6
	v_lshl_or_b32 v20, v11, 8, v20
	ds_write_b32 v20, v19 offset:7264
; %bb.678:
	s_or_b64 exec, exec, s[10:11]
	s_waitcnt lgkmcnt(0)
	s_barrier
	s_barrier
	s_and_saveexec_b64 s[10:11], vcc
	s_cbranch_execz .LBB112_680
; %bb.679:
	v_mov_b32_e32 v21, 0
	ds_read_b64 v[19:20], v21 offset:7016
	ds_read_b32 v22, v21 offset:6760
	s_waitcnt lgkmcnt(0)
	v_mul_f32_e32 v20, v22, v20
	v_mul_f32_e32 v19, v19, v20
	ds_write_b32 v21, v19 offset:7016
.LBB112_680:
	s_or_b64 exec, exec, s[10:11]
	v_mov_b32_e32 v19, 0
	s_waitcnt lgkmcnt(0)
	s_barrier
	buffer_wbinvl1_vol
	s_and_saveexec_b64 s[12:13], s[0:1]
	s_cbranch_execz .LBB112_684
; %bb.681:
	v_lshlrev_b32_e32 v19, 8, v3
	v_lshlrev_b32_e32 v20, 2, v1
	ds_read_b32 v21, v20 offset:6752
	ds_read_b32 v19, v19 offset:6760
	v_mov_b32_e32 v20, 0
	v_cmp_gt_u32_e64 s[10:11], 2, v5
	s_waitcnt lgkmcnt(0)
	v_fma_f32 v19, v21, v19, 0
	s_and_saveexec_b64 s[16:17], s[10:11]
	s_cbranch_execz .LBB112_683
; %bb.682:
	v_lshlrev_b32_e32 v21, 2, v0
	ds_read_b32 v21, v21 offset:7008
	ds_read_b32 v20, v20 offset:7020
	s_waitcnt lgkmcnt(0)
	v_fmac_f32_e32 v19, v21, v20
.LBB112_683:
	s_or_b64 exec, exec, s[16:17]
.LBB112_684:
	s_or_b64 exec, exec, s[12:13]
	s_and_saveexec_b64 s[10:11], s[38:39]
	s_cbranch_execz .LBB112_686
; %bb.685:
	v_mov_b32_e32 v20, 0
	ds_read_b32 v20, v20 offset:6500
	s_waitcnt lgkmcnt(0)
	v_mul_f32_e32 v19, v19, v20
	v_xor_b32_e32 v20, 0x80000000, v19
	ds_write_b32 v4, v20
.LBB112_686:
	s_or_b64 exec, exec, s[10:11]
	s_waitcnt lgkmcnt(0)
	s_barrier
	s_and_saveexec_b64 s[10:11], s[36:37]
	s_cbranch_execz .LBB112_688
; %bb.687:
	v_mov_b32_e32 v20, 0
	ds_read_b32 v20, v20 offset:6496
	ds_read_b32 v21, v4
	s_waitcnt lgkmcnt(0)
	v_fma_f32 v19, -v20, v21, v19
.LBB112_688:
	s_or_b64 exec, exec, s[10:11]
	s_barrier
	s_and_saveexec_b64 s[10:11], s[36:37]
	s_cbranch_execz .LBB112_690
; %bb.689:
	v_mov_b32_e32 v20, 0
	ds_read_b32 v20, v20 offset:6240
	s_waitcnt lgkmcnt(0)
	v_mul_f32_e32 v19, v19, v20
	v_xor_b32_e32 v20, 0x80000000, v19
	ds_write_b32 v4, v20
.LBB112_690:
	s_or_b64 exec, exec, s[10:11]
	s_waitcnt lgkmcnt(0)
	s_barrier
	s_barrier
	s_and_saveexec_b64 s[10:11], s[0:1]
; %bb.691:
	v_lshlrev_b32_e32 v20, 2, v1
	v_lshl_or_b32 v20, v3, 8, v20
	ds_write_b32 v20, v19 offset:6752
; %bb.692:
	s_or_b64 exec, exec, s[10:11]
	s_waitcnt lgkmcnt(0)
	s_barrier
	s_barrier
	s_and_saveexec_b64 s[10:11], vcc
	s_cbranch_execz .LBB112_694
; %bb.693:
	v_mov_b32_e32 v21, 0
	ds_read_b64 v[19:20], v21 offset:6496
	ds_read_b32 v22, v21 offset:6240
	s_waitcnt lgkmcnt(0)
	v_mul_f32_e32 v20, v22, v20
	v_mul_f32_e32 v19, v19, v20
	ds_write_b32 v21, v19 offset:6496
.LBB112_694:
	s_or_b64 exec, exec, s[10:11]
	v_mov_b32_e32 v19, 0
	s_waitcnt lgkmcnt(0)
	s_barrier
	buffer_wbinvl1_vol
	s_and_saveexec_b64 s[12:13], s[14:15]
	s_cbranch_execz .LBB112_704
; %bb.695:
	v_lshlrev_b32_e32 v21, 2, v13
	v_lshlrev_b32_e32 v20, 8, v14
	ds_read_b32 v19, v21 offset:6208
	ds_read_b32 v22, v20 offset:6240
	v_cmp_gt_u32_e64 s[10:11], 56, v5
	s_waitcnt lgkmcnt(0)
	v_fma_f32 v19, v19, v22, 0
	s_and_saveexec_b64 s[16:17], s[10:11]
	s_cbranch_execnz .LBB112_1171
; %bb.696:
	s_or_b64 exec, exec, s[16:17]
	v_cmp_gt_u32_e64 s[10:11], 48, v5
	s_and_saveexec_b64 s[16:17], s[10:11]
	s_cbranch_execnz .LBB112_1172
.LBB112_697:
	s_or_b64 exec, exec, s[16:17]
	v_cmp_gt_u32_e64 s[10:11], 40, v5
	s_and_saveexec_b64 s[16:17], s[10:11]
	s_cbranch_execnz .LBB112_1173
.LBB112_698:
	s_or_b64 exec, exec, s[16:17]
	v_cmp_gt_u32_e64 s[10:11], 32, v5
	s_and_saveexec_b64 s[16:17], s[10:11]
	s_cbranch_execnz .LBB112_1174
.LBB112_699:
	s_or_b64 exec, exec, s[16:17]
	v_cmp_gt_u32_e64 s[10:11], 24, v5
	s_and_saveexec_b64 s[16:17], s[10:11]
	s_cbranch_execnz .LBB112_1175
.LBB112_700:
	s_or_b64 exec, exec, s[16:17]
	s_and_saveexec_b64 s[10:11], s[2:3]
	s_cbranch_execnz .LBB112_1176
.LBB112_701:
	s_or_b64 exec, exec, s[10:11]
	v_cmp_gt_u32_e64 s[10:11], 8, v5
	s_and_saveexec_b64 s[16:17], s[10:11]
	s_cbranch_execz .LBB112_703
.LBB112_702:
	v_lshlrev_b32_e32 v20, 2, v0
	v_mov_b32_e32 v21, 0
	ds_read_b32 v20, v20 offset:8000
	ds_read_b32 v21, v21 offset:8060
	s_waitcnt lgkmcnt(0)
	v_fmac_f32_e32 v19, v20, v21
.LBB112_703:
	s_or_b64 exec, exec, s[16:17]
.LBB112_704:
	s_or_b64 exec, exec, s[12:13]
	s_and_saveexec_b64 s[10:11], s[52:53]
	s_cbranch_execz .LBB112_706
; %bb.705:
	v_mov_b32_e32 v20, 0
	ds_read_b32 v20, v20 offset:5980
	s_waitcnt lgkmcnt(0)
	v_mul_f32_e32 v19, v19, v20
	v_xor_b32_e32 v20, 0x80000000, v19
	ds_write_b32 v15, v20
.LBB112_706:
	s_or_b64 exec, exec, s[10:11]
	s_waitcnt lgkmcnt(0)
	s_barrier
	s_and_saveexec_b64 s[10:11], s[54:55]
	s_cbranch_execz .LBB112_708
; %bb.707:
	v_lshlrev_b32_e32 v20, 2, v13
	ds_read_b32 v20, v20 offset:5952
	ds_read_b32 v21, v15
	s_waitcnt lgkmcnt(0)
	v_fma_f32 v19, -v20, v21, v19
.LBB112_708:
	s_or_b64 exec, exec, s[10:11]
	s_barrier
	s_and_saveexec_b64 s[10:11], s[56:57]
	s_cbranch_execz .LBB112_710
; %bb.709:
	v_mov_b32_e32 v20, 0
	ds_read_b32 v20, v20 offset:5720
	s_waitcnt lgkmcnt(0)
	v_mul_f32_e32 v19, v19, v20
	v_xor_b32_e32 v20, 0x80000000, v19
	ds_write_b32 v15, v20
.LBB112_710:
	s_or_b64 exec, exec, s[10:11]
	s_waitcnt lgkmcnt(0)
	s_barrier
	s_and_saveexec_b64 s[10:11], s[58:59]
	s_cbranch_execz .LBB112_712
; %bb.711:
	v_lshlrev_b32_e32 v20, 2, v13
	ds_read_b32 v20, v20 offset:5696
	ds_read_b32 v21, v15
	s_waitcnt lgkmcnt(0)
	v_fma_f32 v19, -v20, v21, v19
.LBB112_712:
	s_or_b64 exec, exec, s[10:11]
	s_barrier
	;; [unrolled: 24-line block ×6, first 2 shown]
	s_and_saveexec_b64 s[10:11], s[78:79]
	s_cbranch_execz .LBB112_730
; %bb.729:
	v_mov_b32_e32 v20, 0
	ds_read_b32 v20, v20 offset:4420
	s_waitcnt lgkmcnt(0)
	v_mul_f32_e32 v19, v19, v20
	v_xor_b32_e32 v20, 0x80000000, v19
	ds_write_b32 v15, v20
.LBB112_730:
	s_or_b64 exec, exec, s[10:11]
	s_waitcnt lgkmcnt(0)
	s_barrier
	s_and_saveexec_b64 s[10:11], s[62:63]
	s_cbranch_execz .LBB112_732
; %bb.731:
	v_mov_b32_e32 v20, 0
	ds_read_b32 v20, v20 offset:4416
	ds_read_b32 v21, v15
	s_waitcnt lgkmcnt(0)
	v_fma_f32 v19, -v20, v21, v19
.LBB112_732:
	s_or_b64 exec, exec, s[10:11]
	s_barrier
	s_and_saveexec_b64 s[10:11], s[62:63]
	s_cbranch_execz .LBB112_734
; %bb.733:
	v_mov_b32_e32 v20, 0
	ds_read_b32 v20, v20 offset:4160
	s_waitcnt lgkmcnt(0)
	v_mul_f32_e32 v19, v19, v20
	v_xor_b32_e32 v20, 0x80000000, v19
	ds_write_b32 v15, v20
.LBB112_734:
	s_or_b64 exec, exec, s[10:11]
	s_waitcnt lgkmcnt(0)
	s_barrier
	s_barrier
	s_and_saveexec_b64 s[10:11], s[14:15]
; %bb.735:
	v_lshlrev_b32_e32 v20, 2, v13
	v_lshl_or_b32 v20, v14, 8, v20
	ds_write_b32 v20, v19 offset:6208
; %bb.736:
	s_or_b64 exec, exec, s[10:11]
	s_waitcnt lgkmcnt(0)
	s_barrier
	s_barrier
	s_and_saveexec_b64 s[10:11], vcc
	s_cbranch_execz .LBB112_738
; %bb.737:
	v_mov_b32_e32 v21, 0
	ds_read_b64 v[19:20], v21 offset:5976
	ds_read_b32 v22, v21 offset:5720
	s_waitcnt lgkmcnt(0)
	v_mul_f32_e32 v20, v22, v20
	v_mul_f32_e32 v19, v19, v20
	ds_write_b32 v21, v19 offset:5976
.LBB112_738:
	s_or_b64 exec, exec, s[10:11]
	v_mov_b32_e32 v19, 0
	s_waitcnt lgkmcnt(0)
	s_barrier
	buffer_wbinvl1_vol
	s_and_saveexec_b64 s[12:13], s[0:1]
	s_cbranch_execz .LBB112_742
; %bb.739:
	v_lshlrev_b32_e32 v19, 8, v3
	v_lshlrev_b32_e32 v20, 2, v1
	ds_read_b32 v21, v20 offset:5712
	ds_read_b32 v19, v19 offset:5720
	v_mov_b32_e32 v20, 0
	v_cmp_gt_u32_e64 s[10:11], 2, v5
	s_waitcnt lgkmcnt(0)
	v_fma_f32 v19, v21, v19, 0
	s_and_saveexec_b64 s[16:17], s[10:11]
	s_cbranch_execz .LBB112_741
; %bb.740:
	v_lshlrev_b32_e32 v21, 2, v0
	ds_read_b32 v21, v21 offset:5968
	ds_read_b32 v20, v20 offset:5980
	s_waitcnt lgkmcnt(0)
	v_fmac_f32_e32 v19, v21, v20
.LBB112_741:
	s_or_b64 exec, exec, s[16:17]
.LBB112_742:
	s_or_b64 exec, exec, s[12:13]
	s_and_saveexec_b64 s[10:11], s[38:39]
	s_cbranch_execz .LBB112_744
; %bb.743:
	v_mov_b32_e32 v20, 0
	ds_read_b32 v20, v20 offset:5460
	s_waitcnt lgkmcnt(0)
	v_mul_f32_e32 v19, v19, v20
	v_xor_b32_e32 v20, 0x80000000, v19
	ds_write_b32 v4, v20
.LBB112_744:
	s_or_b64 exec, exec, s[10:11]
	s_waitcnt lgkmcnt(0)
	s_barrier
	s_and_saveexec_b64 s[10:11], s[36:37]
	s_cbranch_execz .LBB112_746
; %bb.745:
	v_mov_b32_e32 v20, 0
	ds_read_b32 v20, v20 offset:5456
	ds_read_b32 v21, v4
	s_waitcnt lgkmcnt(0)
	v_fma_f32 v19, -v20, v21, v19
.LBB112_746:
	s_or_b64 exec, exec, s[10:11]
	s_barrier
	s_and_saveexec_b64 s[10:11], s[36:37]
	s_cbranch_execz .LBB112_748
; %bb.747:
	v_mov_b32_e32 v20, 0
	ds_read_b32 v20, v20 offset:5200
	s_waitcnt lgkmcnt(0)
	v_mul_f32_e32 v19, v19, v20
	v_xor_b32_e32 v20, 0x80000000, v19
	ds_write_b32 v4, v20
.LBB112_748:
	s_or_b64 exec, exec, s[10:11]
	s_waitcnt lgkmcnt(0)
	s_barrier
	s_barrier
	s_and_saveexec_b64 s[10:11], s[0:1]
; %bb.749:
	v_lshlrev_b32_e32 v20, 2, v1
	v_lshl_or_b32 v20, v3, 8, v20
	ds_write_b32 v20, v19 offset:5712
; %bb.750:
	s_or_b64 exec, exec, s[10:11]
	s_waitcnt lgkmcnt(0)
	s_barrier
	s_barrier
	s_and_saveexec_b64 s[10:11], vcc
	s_cbranch_execz .LBB112_752
; %bb.751:
	v_mov_b32_e32 v21, 0
	ds_read_b64 v[19:20], v21 offset:5456
	ds_read_b32 v22, v21 offset:5200
	s_waitcnt lgkmcnt(0)
	v_mul_f32_e32 v20, v22, v20
	v_mul_f32_e32 v19, v19, v20
	ds_write_b32 v21, v19 offset:5456
.LBB112_752:
	s_or_b64 exec, exec, s[10:11]
	v_mov_b32_e32 v19, 0
	s_waitcnt lgkmcnt(0)
	s_barrier
	buffer_wbinvl1_vol
	s_and_saveexec_b64 s[12:13], s[2:3]
	s_cbranch_execz .LBB112_758
; %bb.753:
	v_lshlrev_b32_e32 v21, 2, v6
	v_lshlrev_b32_e32 v20, 8, v11
	ds_read_b32 v19, v21 offset:5184
	ds_read_b32 v22, v20 offset:5200
	v_cmp_gt_u32_e64 s[10:11], 12, v5
	s_waitcnt lgkmcnt(0)
	v_fma_f32 v19, v19, v22, 0
	s_and_saveexec_b64 s[16:17], s[10:11]
	s_cbranch_execnz .LBB112_1177
; %bb.754:
	s_or_b64 exec, exec, s[16:17]
	v_cmp_gt_u32_e64 s[10:11], 8, v5
	s_and_saveexec_b64 s[16:17], s[10:11]
	s_cbranch_execnz .LBB112_1178
.LBB112_755:
	s_or_b64 exec, exec, s[16:17]
	v_cmp_gt_u32_e64 s[10:11], 4, v5
	s_and_saveexec_b64 s[16:17], s[10:11]
	s_cbranch_execz .LBB112_757
.LBB112_756:
	v_lshlrev_b32_e32 v20, 2, v0
	v_mov_b32_e32 v21, 0
	ds_read_b32 v20, v20 offset:5952
	ds_read_b32 v21, v21 offset:5980
	s_waitcnt lgkmcnt(0)
	v_fmac_f32_e32 v19, v20, v21
.LBB112_757:
	s_or_b64 exec, exec, s[16:17]
.LBB112_758:
	s_or_b64 exec, exec, s[12:13]
	s_and_saveexec_b64 s[10:11], s[42:43]
	s_cbranch_execz .LBB112_760
; %bb.759:
	v_mov_b32_e32 v20, 0
	ds_read_b32 v20, v20 offset:4940
	s_waitcnt lgkmcnt(0)
	v_mul_f32_e32 v19, v19, v20
	v_xor_b32_e32 v20, 0x80000000, v19
	ds_write_b32 v12, v20
.LBB112_760:
	s_or_b64 exec, exec, s[10:11]
	s_waitcnt lgkmcnt(0)
	s_barrier
	s_and_saveexec_b64 s[10:11], s[44:45]
	s_cbranch_execz .LBB112_762
; %bb.761:
	v_lshlrev_b32_e32 v20, 2, v6
	ds_read_b32 v20, v20 offset:4928
	ds_read_b32 v21, v12
	s_waitcnt lgkmcnt(0)
	v_fma_f32 v19, -v20, v21, v19
.LBB112_762:
	s_or_b64 exec, exec, s[10:11]
	s_barrier
	s_and_saveexec_b64 s[10:11], s[46:47]
	s_cbranch_execz .LBB112_764
; %bb.763:
	v_mov_b32_e32 v20, 0
	ds_read_b32 v20, v20 offset:4680
	s_waitcnt lgkmcnt(0)
	v_mul_f32_e32 v19, v19, v20
	v_xor_b32_e32 v20, 0x80000000, v19
	ds_write_b32 v12, v20
.LBB112_764:
	s_or_b64 exec, exec, s[10:11]
	s_waitcnt lgkmcnt(0)
	s_barrier
	s_and_saveexec_b64 s[10:11], s[48:49]
	s_cbranch_execz .LBB112_766
; %bb.765:
	v_lshlrev_b32_e32 v20, 2, v6
	ds_read_b32 v20, v20 offset:4672
	ds_read_b32 v21, v12
	s_waitcnt lgkmcnt(0)
	v_fma_f32 v19, -v20, v21, v19
.LBB112_766:
	s_or_b64 exec, exec, s[10:11]
	s_barrier
	s_and_saveexec_b64 s[10:11], s[50:51]
	s_cbranch_execz .LBB112_768
; %bb.767:
	v_mov_b32_e32 v20, 0
	ds_read_b32 v20, v20 offset:4420
	s_waitcnt lgkmcnt(0)
	v_mul_f32_e32 v19, v19, v20
	v_xor_b32_e32 v20, 0x80000000, v19
	ds_write_b32 v12, v20
.LBB112_768:
	s_or_b64 exec, exec, s[10:11]
	s_waitcnt lgkmcnt(0)
	s_barrier
	s_and_saveexec_b64 s[10:11], s[40:41]
	s_cbranch_execz .LBB112_770
; %bb.769:
	v_mov_b32_e32 v20, 0
	ds_read_b32 v20, v20 offset:4416
	ds_read_b32 v21, v12
	s_waitcnt lgkmcnt(0)
	v_fma_f32 v19, -v20, v21, v19
.LBB112_770:
	s_or_b64 exec, exec, s[10:11]
	s_barrier
	s_and_saveexec_b64 s[10:11], s[40:41]
	s_cbranch_execz .LBB112_772
; %bb.771:
	v_mov_b32_e32 v20, 0
	ds_read_b32 v20, v20 offset:4160
	s_waitcnt lgkmcnt(0)
	v_mul_f32_e32 v19, v19, v20
	v_xor_b32_e32 v20, 0x80000000, v19
	ds_write_b32 v12, v20
.LBB112_772:
	s_or_b64 exec, exec, s[10:11]
	s_waitcnt lgkmcnt(0)
	s_barrier
	s_barrier
	s_and_saveexec_b64 s[10:11], s[2:3]
; %bb.773:
	v_lshlrev_b32_e32 v20, 2, v6
	v_lshl_or_b32 v20, v11, 8, v20
	ds_write_b32 v20, v19 offset:5184
; %bb.774:
	s_or_b64 exec, exec, s[10:11]
	s_waitcnt lgkmcnt(0)
	s_barrier
	s_barrier
	s_and_saveexec_b64 s[10:11], vcc
	s_cbranch_execz .LBB112_776
; %bb.775:
	v_mov_b32_e32 v21, 0
	ds_read_b64 v[19:20], v21 offset:4936
	ds_read_b32 v22, v21 offset:4680
	s_waitcnt lgkmcnt(0)
	v_mul_f32_e32 v20, v22, v20
	v_mul_f32_e32 v19, v19, v20
	ds_write_b32 v21, v19 offset:4936
.LBB112_776:
	s_or_b64 exec, exec, s[10:11]
	v_mov_b32_e32 v19, 0
	s_waitcnt lgkmcnt(0)
	s_barrier
	buffer_wbinvl1_vol
	s_and_saveexec_b64 s[12:13], s[0:1]
	s_cbranch_execz .LBB112_780
; %bb.777:
	v_lshlrev_b32_e32 v19, 8, v3
	v_lshlrev_b32_e32 v20, 2, v1
	ds_read_b32 v21, v20 offset:4672
	ds_read_b32 v19, v19 offset:4680
	v_mov_b32_e32 v20, 0
	v_cmp_gt_u32_e64 s[10:11], 2, v5
	s_waitcnt lgkmcnt(0)
	v_fma_f32 v19, v21, v19, 0
	s_and_saveexec_b64 s[16:17], s[10:11]
	s_cbranch_execz .LBB112_779
; %bb.778:
	v_lshlrev_b32_e32 v21, 2, v0
	ds_read_b32 v21, v21 offset:4928
	ds_read_b32 v20, v20 offset:4940
	s_waitcnt lgkmcnt(0)
	v_fmac_f32_e32 v19, v21, v20
.LBB112_779:
	s_or_b64 exec, exec, s[16:17]
.LBB112_780:
	s_or_b64 exec, exec, s[12:13]
	s_and_saveexec_b64 s[10:11], s[38:39]
	s_cbranch_execz .LBB112_782
; %bb.781:
	v_mov_b32_e32 v20, 0
	ds_read_b32 v20, v20 offset:4420
	s_waitcnt lgkmcnt(0)
	v_mul_f32_e32 v19, v19, v20
	v_xor_b32_e32 v20, 0x80000000, v19
	ds_write_b32 v4, v20
.LBB112_782:
	s_or_b64 exec, exec, s[10:11]
	s_waitcnt lgkmcnt(0)
	s_barrier
	s_and_saveexec_b64 s[10:11], s[36:37]
	s_cbranch_execz .LBB112_784
; %bb.783:
	v_mov_b32_e32 v20, 0
	ds_read_b32 v20, v20 offset:4416
	ds_read_b32 v21, v4
	s_waitcnt lgkmcnt(0)
	v_fma_f32 v19, -v20, v21, v19
.LBB112_784:
	s_or_b64 exec, exec, s[10:11]
	s_barrier
	s_and_saveexec_b64 s[10:11], s[36:37]
	s_cbranch_execz .LBB112_786
; %bb.785:
	v_mov_b32_e32 v20, 0
	ds_read_b32 v20, v20 offset:4160
	s_waitcnt lgkmcnt(0)
	v_mul_f32_e32 v19, v19, v20
	v_xor_b32_e32 v20, 0x80000000, v19
	ds_write_b32 v4, v20
.LBB112_786:
	s_or_b64 exec, exec, s[10:11]
	s_waitcnt lgkmcnt(0)
	s_barrier
	s_barrier
	s_and_saveexec_b64 s[10:11], s[0:1]
; %bb.787:
	v_lshlrev_b32_e32 v20, 2, v1
	v_lshl_or_b32 v20, v3, 8, v20
	ds_write_b32 v20, v19 offset:4672
; %bb.788:
	s_or_b64 exec, exec, s[10:11]
	s_waitcnt lgkmcnt(0)
	s_barrier
	s_barrier
	s_and_saveexec_b64 s[10:11], vcc
	s_cbranch_execz .LBB112_790
; %bb.789:
	v_mov_b32_e32 v21, 0
	ds_read_b64 v[19:20], v21 offset:4416
	ds_read_b32 v22, v21 offset:4160
	s_waitcnt lgkmcnt(0)
	v_mul_f32_e32 v20, v22, v20
	v_mul_f32_e32 v19, v19, v20
	ds_write_b32 v21, v19 offset:4416
.LBB112_790:
	s_or_b64 exec, exec, s[10:11]
	v_mov_b32_e32 v19, 0
	s_waitcnt lgkmcnt(0)
	s_barrier
	buffer_wbinvl1_vol
	s_and_saveexec_b64 s[12:13], s[8:9]
	s_cbranch_execz .LBB112_818
; %bb.791:
	v_lshlrev_b32_e32 v21, 2, v16
	v_lshlrev_b32_e32 v20, 8, v17
	ds_read_b32 v19, v21 offset:4096
	ds_read_b32 v22, v20 offset:4160
	s_movk_i32 s10, 0xf0
	v_cmp_gt_u32_e64 s[10:11], s10, v5
	s_waitcnt lgkmcnt(0)
	v_fma_f32 v19, v19, v22, 0
	s_and_saveexec_b64 s[16:17], s[10:11]
	s_cbranch_execz .LBB112_793
; %bb.792:
	ds_read_b32 v22, v21 offset:4352
	ds_read_b32 v23, v20 offset:4164
	s_waitcnt lgkmcnt(0)
	v_fmac_f32_e32 v19, v22, v23
.LBB112_793:
	s_or_b64 exec, exec, s[16:17]
	s_movk_i32 s10, 0xe0
	v_cmp_gt_u32_e64 s[10:11], s10, v5
	s_and_saveexec_b64 s[16:17], s[10:11]
	s_cbranch_execz .LBB112_795
; %bb.794:
	ds_read_b32 v22, v21 offset:4608
	ds_read_b32 v23, v20 offset:4168
	s_waitcnt lgkmcnt(0)
	v_fmac_f32_e32 v19, v22, v23
.LBB112_795:
	s_or_b64 exec, exec, s[16:17]
	s_movk_i32 s10, 0xd0
	v_cmp_gt_u32_e64 s[10:11], s10, v5
	;; [unrolled: 11-line block ×10, first 2 shown]
	s_and_saveexec_b64 s[16:17], s[10:11]
	s_cbranch_execnz .LBB112_1179
; %bb.812:
	s_or_b64 exec, exec, s[16:17]
	s_and_saveexec_b64 s[10:11], s[14:15]
	s_cbranch_execnz .LBB112_1180
.LBB112_813:
	s_or_b64 exec, exec, s[10:11]
	v_cmp_gt_u32_e64 s[10:11], 48, v5
	s_and_saveexec_b64 s[16:17], s[10:11]
	s_cbranch_execnz .LBB112_1181
.LBB112_814:
	s_or_b64 exec, exec, s[16:17]
	v_cmp_gt_u32_e64 s[10:11], 32, v5
	s_and_saveexec_b64 s[16:17], s[10:11]
	s_cbranch_execnz .LBB112_1182
.LBB112_815:
	s_or_b64 exec, exec, s[16:17]
	v_cmp_gt_u32_e64 s[10:11], 16, v5
	s_and_saveexec_b64 s[16:17], s[10:11]
	s_cbranch_execz .LBB112_817
.LBB112_816:
	v_lshlrev_b32_e32 v20, 2, v0
	v_mov_b32_e32 v21, 0
	ds_read_b32 v20, v20 offset:7936
	ds_read_b32 v21, v21 offset:8060
	s_waitcnt lgkmcnt(0)
	v_fmac_f32_e32 v19, v20, v21
.LBB112_817:
	s_or_b64 exec, exec, s[16:17]
.LBB112_818:
	s_or_b64 exec, exec, s[12:13]
	s_mov_b64 s[10:11], exec
	v_readlane_b32 s12, v27, 1
	v_readlane_b32 s13, v27, 2
	s_and_b64 s[12:13], s[10:11], s[12:13]
	s_mov_b64 exec, s[12:13]
	s_cbranch_execz .LBB112_820
; %bb.819:
	v_mov_b32_e32 v20, 0
	ds_read_b32 v20, v20 offset:3900
	s_waitcnt lgkmcnt(0)
	v_mul_f32_e32 v19, v19, v20
	v_xor_b32_e32 v20, 0x80000000, v19
	ds_write_b32 v18, v20
.LBB112_820:
	s_or_b64 exec, exec, s[10:11]
	s_waitcnt lgkmcnt(0)
	s_barrier
	s_mov_b64 s[10:11], exec
	v_readlane_b32 s12, v27, 3
	v_readlane_b32 s13, v27, 4
	s_and_b64 s[12:13], s[10:11], s[12:13]
	s_mov_b64 exec, s[12:13]
	s_cbranch_execz .LBB112_822
; %bb.821:
	v_lshlrev_b32_e32 v20, 2, v16
	ds_read_b32 v20, v20 offset:3840
	ds_read_b32 v21, v18
	s_waitcnt lgkmcnt(0)
	v_fma_f32 v19, -v20, v21, v19
.LBB112_822:
	s_or_b64 exec, exec, s[10:11]
	s_barrier
	s_mov_b64 s[10:11], exec
	v_readlane_b32 s12, v27, 5
	v_readlane_b32 s13, v27, 6
	s_and_b64 s[12:13], s[10:11], s[12:13]
	s_mov_b64 exec, s[12:13]
	s_cbranch_execz .LBB112_824
; %bb.823:
	v_mov_b32_e32 v20, 0
	ds_read_b32 v20, v20 offset:3640
	s_waitcnt lgkmcnt(0)
	v_mul_f32_e32 v19, v19, v20
	v_xor_b32_e32 v20, 0x80000000, v19
	ds_write_b32 v18, v20
.LBB112_824:
	s_or_b64 exec, exec, s[10:11]
	s_waitcnt lgkmcnt(0)
	s_barrier
	s_mov_b64 s[10:11], exec
	v_readlane_b32 s12, v27, 7
	v_readlane_b32 s13, v27, 8
	s_and_b64 s[12:13], s[10:11], s[12:13]
	s_mov_b64 exec, s[12:13]
	s_cbranch_execz .LBB112_826
; %bb.825:
	v_lshlrev_b32_e32 v20, 2, v16
	ds_read_b32 v20, v20 offset:3584
	ds_read_b32 v21, v18
	s_waitcnt lgkmcnt(0)
	v_fma_f32 v19, -v20, v21, v19
.LBB112_826:
	s_or_b64 exec, exec, s[10:11]
	s_barrier
	;; [unrolled: 32-line block ×12, first 2 shown]
	s_mov_b64 s[10:11], exec
	v_readlane_b32 s12, v27, 49
	v_readlane_b32 s13, v27, 50
	s_and_b64 s[12:13], s[10:11], s[12:13]
	s_mov_b64 exec, s[12:13]
	s_cbranch_execz .LBB112_868
; %bb.867:
	v_mov_b32_e32 v20, 0
	ds_read_b32 v20, v20 offset:780
	s_waitcnt lgkmcnt(0)
	v_mul_f32_e32 v19, v19, v20
	v_xor_b32_e32 v20, 0x80000000, v19
	ds_write_b32 v18, v20
.LBB112_868:
	s_or_b64 exec, exec, s[10:11]
	s_waitcnt lgkmcnt(0)
	s_barrier
	s_and_saveexec_b64 s[10:11], s[18:19]
	s_cbranch_execz .LBB112_870
; %bb.869:
	v_lshlrev_b32_e32 v20, 2, v16
	ds_read_b32 v20, v20 offset:768
	ds_read_b32 v21, v18
	s_waitcnt lgkmcnt(0)
	v_fma_f32 v19, -v20, v21, v19
.LBB112_870:
	s_or_b64 exec, exec, s[10:11]
	s_barrier
	s_and_saveexec_b64 s[10:11], s[80:81]
	s_cbranch_execz .LBB112_872
; %bb.871:
	v_mov_b32_e32 v20, 0
	ds_read_b32 v20, v20 offset:520
	s_waitcnt lgkmcnt(0)
	v_mul_f32_e32 v19, v19, v20
	v_xor_b32_e32 v20, 0x80000000, v19
	ds_write_b32 v18, v20
.LBB112_872:
	s_or_b64 exec, exec, s[10:11]
	s_waitcnt lgkmcnt(0)
	s_barrier
	s_and_saveexec_b64 s[10:11], s[82:83]
	s_cbranch_execz .LBB112_874
; %bb.873:
	v_lshlrev_b32_e32 v20, 2, v16
	ds_read_b32 v20, v20 offset:512
	ds_read_b32 v21, v18
	s_waitcnt lgkmcnt(0)
	v_fma_f32 v19, -v20, v21, v19
.LBB112_874:
	s_or_b64 exec, exec, s[10:11]
	s_barrier
	s_and_saveexec_b64 s[10:11], s[84:85]
	s_cbranch_execz .LBB112_876
; %bb.875:
	v_mov_b32_e32 v20, 0
	ds_read_b32 v20, v20 offset:260
	s_waitcnt lgkmcnt(0)
	v_mul_f32_e32 v19, v19, v20
	v_xor_b32_e32 v20, 0x80000000, v19
	ds_write_b32 v18, v20
.LBB112_876:
	s_or_b64 exec, exec, s[10:11]
	s_waitcnt lgkmcnt(0)
	s_barrier
	s_and_saveexec_b64 s[10:11], s[86:87]
	s_cbranch_execz .LBB112_878
; %bb.877:
	v_mov_b32_e32 v20, 0
	ds_read_b32 v20, v20 offset:256
	ds_read_b32 v21, v18
	s_waitcnt lgkmcnt(0)
	v_fma_f32 v19, -v20, v21, v19
.LBB112_878:
	s_or_b64 exec, exec, s[10:11]
	s_barrier
	s_and_saveexec_b64 s[10:11], s[86:87]
	s_cbranch_execz .LBB112_880
; %bb.879:
	v_mov_b32_e32 v20, 0
	ds_read_b32 v20, v20
	s_waitcnt lgkmcnt(0)
	v_mul_f32_e32 v19, v19, v20
	v_xor_b32_e32 v20, 0x80000000, v19
	ds_write_b32 v18, v20
.LBB112_880:
	s_or_b64 exec, exec, s[10:11]
	s_waitcnt lgkmcnt(0)
	s_barrier
	s_barrier
	s_and_saveexec_b64 s[10:11], s[8:9]
; %bb.881:
	v_lshlrev_b32_e32 v16, 2, v16
	v_lshl_or_b32 v16, v17, 8, v16
	ds_write_b32 v16, v19 offset:4096
; %bb.882:
	s_or_b64 exec, exec, s[10:11]
	s_waitcnt lgkmcnt(0)
	s_barrier
	s_barrier
	s_and_saveexec_b64 s[8:9], vcc
	s_cbranch_execz .LBB112_884
; %bb.883:
	v_mov_b32_e32 v18, 0
	ds_read_b64 v[16:17], v18 offset:3896
	ds_read_b32 v19, v18 offset:3640
	s_waitcnt lgkmcnt(0)
	v_mul_f32_e32 v17, v19, v17
	v_mul_f32_e32 v16, v16, v17
	ds_write_b32 v18, v16 offset:3896
.LBB112_884:
	s_or_b64 exec, exec, s[8:9]
	v_mov_b32_e32 v16, 0
	s_waitcnt lgkmcnt(0)
	s_barrier
	buffer_wbinvl1_vol
	s_and_saveexec_b64 s[10:11], s[0:1]
	s_cbranch_execz .LBB112_888
; %bb.885:
	v_lshlrev_b32_e32 v16, 8, v3
	v_lshlrev_b32_e32 v17, 2, v1
	ds_read_b32 v18, v17 offset:3632
	ds_read_b32 v16, v16 offset:3640
	v_mov_b32_e32 v17, 0
	v_cmp_gt_u32_e64 s[8:9], 2, v5
	s_waitcnt lgkmcnt(0)
	v_fma_f32 v16, v18, v16, 0
	s_and_saveexec_b64 s[12:13], s[8:9]
	s_cbranch_execz .LBB112_887
; %bb.886:
	v_lshlrev_b32_e32 v18, 2, v0
	ds_read_b32 v18, v18 offset:3888
	ds_read_b32 v17, v17 offset:3900
	s_waitcnt lgkmcnt(0)
	v_fmac_f32_e32 v16, v18, v17
.LBB112_887:
	s_or_b64 exec, exec, s[12:13]
.LBB112_888:
	s_or_b64 exec, exec, s[10:11]
	s_and_saveexec_b64 s[8:9], s[38:39]
	s_cbranch_execz .LBB112_890
; %bb.889:
	v_mov_b32_e32 v17, 0
	ds_read_b32 v17, v17 offset:3380
	s_waitcnt lgkmcnt(0)
	v_mul_f32_e32 v16, v16, v17
	v_xor_b32_e32 v17, 0x80000000, v16
	ds_write_b32 v4, v17
.LBB112_890:
	s_or_b64 exec, exec, s[8:9]
	s_waitcnt lgkmcnt(0)
	s_barrier
	s_and_saveexec_b64 s[8:9], s[36:37]
	s_cbranch_execz .LBB112_892
; %bb.891:
	v_mov_b32_e32 v17, 0
	ds_read_b32 v17, v17 offset:3376
	ds_read_b32 v18, v4
	s_waitcnt lgkmcnt(0)
	v_fma_f32 v16, -v17, v18, v16
.LBB112_892:
	s_or_b64 exec, exec, s[8:9]
	s_barrier
	s_and_saveexec_b64 s[8:9], s[36:37]
	s_cbranch_execz .LBB112_894
; %bb.893:
	v_mov_b32_e32 v17, 0
	ds_read_b32 v17, v17 offset:3120
	s_waitcnt lgkmcnt(0)
	v_mul_f32_e32 v16, v16, v17
	v_xor_b32_e32 v17, 0x80000000, v16
	ds_write_b32 v4, v17
.LBB112_894:
	s_or_b64 exec, exec, s[8:9]
	s_waitcnt lgkmcnt(0)
	s_barrier
	s_barrier
	s_and_saveexec_b64 s[8:9], s[0:1]
; %bb.895:
	v_lshlrev_b32_e32 v17, 2, v1
	v_lshl_or_b32 v17, v3, 8, v17
	ds_write_b32 v17, v16 offset:3632
; %bb.896:
	s_or_b64 exec, exec, s[8:9]
	s_waitcnt lgkmcnt(0)
	s_barrier
	s_barrier
	s_and_saveexec_b64 s[8:9], vcc
	s_cbranch_execz .LBB112_898
; %bb.897:
	v_mov_b32_e32 v18, 0
	ds_read_b64 v[16:17], v18 offset:3376
	ds_read_b32 v19, v18 offset:3120
	s_waitcnt lgkmcnt(0)
	v_mul_f32_e32 v17, v19, v17
	v_mul_f32_e32 v16, v16, v17
	ds_write_b32 v18, v16 offset:3376
.LBB112_898:
	s_or_b64 exec, exec, s[8:9]
	v_mov_b32_e32 v16, 0
	s_waitcnt lgkmcnt(0)
	s_barrier
	buffer_wbinvl1_vol
	s_and_saveexec_b64 s[10:11], s[2:3]
	s_cbranch_execz .LBB112_904
; %bb.899:
	v_lshlrev_b32_e32 v18, 2, v6
	v_lshlrev_b32_e32 v17, 8, v11
	ds_read_b32 v16, v18 offset:3104
	ds_read_b32 v19, v17 offset:3120
	v_cmp_gt_u32_e64 s[8:9], 12, v5
	s_waitcnt lgkmcnt(0)
	v_fma_f32 v16, v16, v19, 0
	s_and_saveexec_b64 s[12:13], s[8:9]
	s_cbranch_execnz .LBB112_1183
; %bb.900:
	s_or_b64 exec, exec, s[12:13]
	v_cmp_gt_u32_e64 s[8:9], 8, v5
	s_and_saveexec_b64 s[12:13], s[8:9]
	s_cbranch_execnz .LBB112_1184
.LBB112_901:
	s_or_b64 exec, exec, s[12:13]
	v_cmp_gt_u32_e64 s[8:9], 4, v5
	s_and_saveexec_b64 s[12:13], s[8:9]
	s_cbranch_execz .LBB112_903
.LBB112_902:
	v_lshlrev_b32_e32 v17, 2, v0
	v_mov_b32_e32 v18, 0
	ds_read_b32 v17, v17 offset:3872
	ds_read_b32 v18, v18 offset:3900
	s_waitcnt lgkmcnt(0)
	v_fmac_f32_e32 v16, v17, v18
.LBB112_903:
	s_or_b64 exec, exec, s[12:13]
.LBB112_904:
	s_or_b64 exec, exec, s[10:11]
	s_and_saveexec_b64 s[8:9], s[42:43]
	s_cbranch_execz .LBB112_906
; %bb.905:
	v_mov_b32_e32 v17, 0
	ds_read_b32 v17, v17 offset:2860
	s_waitcnt lgkmcnt(0)
	v_mul_f32_e32 v16, v16, v17
	v_xor_b32_e32 v17, 0x80000000, v16
	ds_write_b32 v12, v17
.LBB112_906:
	s_or_b64 exec, exec, s[8:9]
	s_waitcnt lgkmcnt(0)
	s_barrier
	s_and_saveexec_b64 s[8:9], s[44:45]
	s_cbranch_execz .LBB112_908
; %bb.907:
	v_lshlrev_b32_e32 v17, 2, v6
	ds_read_b32 v17, v17 offset:2848
	ds_read_b32 v18, v12
	s_waitcnt lgkmcnt(0)
	v_fma_f32 v16, -v17, v18, v16
.LBB112_908:
	s_or_b64 exec, exec, s[8:9]
	s_barrier
	s_and_saveexec_b64 s[8:9], s[46:47]
	s_cbranch_execz .LBB112_910
; %bb.909:
	v_mov_b32_e32 v17, 0
	ds_read_b32 v17, v17 offset:2600
	s_waitcnt lgkmcnt(0)
	v_mul_f32_e32 v16, v16, v17
	v_xor_b32_e32 v17, 0x80000000, v16
	ds_write_b32 v12, v17
.LBB112_910:
	s_or_b64 exec, exec, s[8:9]
	s_waitcnt lgkmcnt(0)
	s_barrier
	s_and_saveexec_b64 s[8:9], s[48:49]
	s_cbranch_execz .LBB112_912
; %bb.911:
	v_lshlrev_b32_e32 v17, 2, v6
	ds_read_b32 v17, v17 offset:2592
	ds_read_b32 v18, v12
	s_waitcnt lgkmcnt(0)
	v_fma_f32 v16, -v17, v18, v16
.LBB112_912:
	s_or_b64 exec, exec, s[8:9]
	s_barrier
	s_and_saveexec_b64 s[8:9], s[50:51]
	s_cbranch_execz .LBB112_914
; %bb.913:
	v_mov_b32_e32 v17, 0
	ds_read_b32 v17, v17 offset:2340
	s_waitcnt lgkmcnt(0)
	v_mul_f32_e32 v16, v16, v17
	v_xor_b32_e32 v17, 0x80000000, v16
	ds_write_b32 v12, v17
.LBB112_914:
	s_or_b64 exec, exec, s[8:9]
	s_waitcnt lgkmcnt(0)
	s_barrier
	s_and_saveexec_b64 s[8:9], s[40:41]
	s_cbranch_execz .LBB112_916
; %bb.915:
	v_mov_b32_e32 v17, 0
	ds_read_b32 v17, v17 offset:2336
	ds_read_b32 v18, v12
	s_waitcnt lgkmcnt(0)
	v_fma_f32 v16, -v17, v18, v16
.LBB112_916:
	s_or_b64 exec, exec, s[8:9]
	s_barrier
	s_and_saveexec_b64 s[8:9], s[40:41]
	s_cbranch_execz .LBB112_918
; %bb.917:
	v_mov_b32_e32 v17, 0
	ds_read_b32 v17, v17 offset:2080
	s_waitcnt lgkmcnt(0)
	v_mul_f32_e32 v16, v16, v17
	v_xor_b32_e32 v17, 0x80000000, v16
	ds_write_b32 v12, v17
.LBB112_918:
	s_or_b64 exec, exec, s[8:9]
	s_waitcnt lgkmcnt(0)
	s_barrier
	s_barrier
	s_and_saveexec_b64 s[8:9], s[2:3]
; %bb.919:
	v_lshlrev_b32_e32 v17, 2, v6
	v_lshl_or_b32 v17, v11, 8, v17
	ds_write_b32 v17, v16 offset:3104
; %bb.920:
	s_or_b64 exec, exec, s[8:9]
	s_waitcnt lgkmcnt(0)
	s_barrier
	s_barrier
	s_and_saveexec_b64 s[8:9], vcc
	s_cbranch_execz .LBB112_922
; %bb.921:
	v_mov_b32_e32 v18, 0
	ds_read_b64 v[16:17], v18 offset:2856
	ds_read_b32 v19, v18 offset:2600
	s_waitcnt lgkmcnt(0)
	v_mul_f32_e32 v17, v19, v17
	v_mul_f32_e32 v16, v16, v17
	ds_write_b32 v18, v16 offset:2856
.LBB112_922:
	s_or_b64 exec, exec, s[8:9]
	v_mov_b32_e32 v16, 0
	s_waitcnt lgkmcnt(0)
	s_barrier
	buffer_wbinvl1_vol
	s_and_saveexec_b64 s[10:11], s[0:1]
	s_cbranch_execz .LBB112_926
; %bb.923:
	v_lshlrev_b32_e32 v16, 8, v3
	v_lshlrev_b32_e32 v17, 2, v1
	ds_read_b32 v18, v17 offset:2592
	ds_read_b32 v16, v16 offset:2600
	v_mov_b32_e32 v17, 0
	v_cmp_gt_u32_e64 s[8:9], 2, v5
	s_waitcnt lgkmcnt(0)
	v_fma_f32 v16, v18, v16, 0
	s_and_saveexec_b64 s[12:13], s[8:9]
	s_cbranch_execz .LBB112_925
; %bb.924:
	v_lshlrev_b32_e32 v18, 2, v0
	ds_read_b32 v18, v18 offset:2848
	ds_read_b32 v17, v17 offset:2860
	s_waitcnt lgkmcnt(0)
	v_fmac_f32_e32 v16, v18, v17
.LBB112_925:
	s_or_b64 exec, exec, s[12:13]
.LBB112_926:
	s_or_b64 exec, exec, s[10:11]
	s_and_saveexec_b64 s[8:9], s[38:39]
	s_cbranch_execz .LBB112_928
; %bb.927:
	v_mov_b32_e32 v17, 0
	ds_read_b32 v17, v17 offset:2340
	s_waitcnt lgkmcnt(0)
	v_mul_f32_e32 v16, v16, v17
	v_xor_b32_e32 v17, 0x80000000, v16
	ds_write_b32 v4, v17
.LBB112_928:
	s_or_b64 exec, exec, s[8:9]
	s_waitcnt lgkmcnt(0)
	s_barrier
	s_and_saveexec_b64 s[8:9], s[36:37]
	s_cbranch_execz .LBB112_930
; %bb.929:
	v_mov_b32_e32 v17, 0
	ds_read_b32 v17, v17 offset:2336
	ds_read_b32 v18, v4
	s_waitcnt lgkmcnt(0)
	v_fma_f32 v16, -v17, v18, v16
.LBB112_930:
	s_or_b64 exec, exec, s[8:9]
	s_barrier
	s_and_saveexec_b64 s[8:9], s[36:37]
	s_cbranch_execz .LBB112_932
; %bb.931:
	v_mov_b32_e32 v17, 0
	ds_read_b32 v17, v17 offset:2080
	s_waitcnt lgkmcnt(0)
	v_mul_f32_e32 v16, v16, v17
	v_xor_b32_e32 v17, 0x80000000, v16
	ds_write_b32 v4, v17
.LBB112_932:
	s_or_b64 exec, exec, s[8:9]
	s_waitcnt lgkmcnt(0)
	s_barrier
	s_barrier
	s_and_saveexec_b64 s[8:9], s[0:1]
; %bb.933:
	v_lshlrev_b32_e32 v17, 2, v1
	v_lshl_or_b32 v17, v3, 8, v17
	ds_write_b32 v17, v16 offset:2592
; %bb.934:
	s_or_b64 exec, exec, s[8:9]
	s_waitcnt lgkmcnt(0)
	s_barrier
	s_barrier
	s_and_saveexec_b64 s[8:9], vcc
	s_cbranch_execz .LBB112_936
; %bb.935:
	v_mov_b32_e32 v18, 0
	ds_read_b64 v[16:17], v18 offset:2336
	ds_read_b32 v19, v18 offset:2080
	s_waitcnt lgkmcnt(0)
	v_mul_f32_e32 v17, v19, v17
	v_mul_f32_e32 v16, v16, v17
	ds_write_b32 v18, v16 offset:2336
.LBB112_936:
	s_or_b64 exec, exec, s[8:9]
	v_mov_b32_e32 v16, 0
	s_waitcnt lgkmcnt(0)
	s_barrier
	buffer_wbinvl1_vol
	s_and_saveexec_b64 s[10:11], s[14:15]
	s_cbranch_execz .LBB112_946
; %bb.937:
	v_lshlrev_b32_e32 v18, 2, v13
	v_lshlrev_b32_e32 v17, 8, v14
	ds_read_b32 v16, v18 offset:2048
	ds_read_b32 v19, v17 offset:2080
	v_cmp_gt_u32_e64 s[8:9], 56, v5
	s_waitcnt lgkmcnt(0)
	v_fma_f32 v16, v16, v19, 0
	s_and_saveexec_b64 s[12:13], s[8:9]
	s_cbranch_execnz .LBB112_1185
; %bb.938:
	s_or_b64 exec, exec, s[12:13]
	v_cmp_gt_u32_e64 s[8:9], 48, v5
	s_and_saveexec_b64 s[12:13], s[8:9]
	s_cbranch_execnz .LBB112_1186
.LBB112_939:
	s_or_b64 exec, exec, s[12:13]
	v_cmp_gt_u32_e64 s[8:9], 40, v5
	s_and_saveexec_b64 s[12:13], s[8:9]
	s_cbranch_execnz .LBB112_1187
.LBB112_940:
	s_or_b64 exec, exec, s[12:13]
	v_cmp_gt_u32_e64 s[8:9], 32, v5
	s_and_saveexec_b64 s[12:13], s[8:9]
	s_cbranch_execnz .LBB112_1188
.LBB112_941:
	s_or_b64 exec, exec, s[12:13]
	v_cmp_gt_u32_e64 s[8:9], 24, v5
	s_and_saveexec_b64 s[12:13], s[8:9]
	s_cbranch_execnz .LBB112_1189
.LBB112_942:
	s_or_b64 exec, exec, s[12:13]
	s_and_saveexec_b64 s[8:9], s[2:3]
	s_cbranch_execnz .LBB112_1190
.LBB112_943:
	s_or_b64 exec, exec, s[8:9]
	v_cmp_gt_u32_e64 s[8:9], 8, v5
	s_and_saveexec_b64 s[12:13], s[8:9]
	s_cbranch_execz .LBB112_945
.LBB112_944:
	v_lshlrev_b32_e32 v17, 2, v0
	v_mov_b32_e32 v18, 0
	ds_read_b32 v17, v17 offset:3840
	ds_read_b32 v18, v18 offset:3900
	s_waitcnt lgkmcnt(0)
	v_fmac_f32_e32 v16, v17, v18
.LBB112_945:
	s_or_b64 exec, exec, s[12:13]
.LBB112_946:
	s_or_b64 exec, exec, s[10:11]
	s_and_saveexec_b64 s[8:9], s[52:53]
	s_cbranch_execz .LBB112_948
; %bb.947:
	v_mov_b32_e32 v17, 0
	ds_read_b32 v17, v17 offset:1820
	s_waitcnt lgkmcnt(0)
	v_mul_f32_e32 v16, v16, v17
	v_xor_b32_e32 v17, 0x80000000, v16
	ds_write_b32 v15, v17
.LBB112_948:
	s_or_b64 exec, exec, s[8:9]
	s_waitcnt lgkmcnt(0)
	s_barrier
	s_and_saveexec_b64 s[8:9], s[54:55]
	v_readlane_b32 s52, v27, 0
	s_cbranch_execz .LBB112_950
; %bb.949:
	v_lshlrev_b32_e32 v17, 2, v13
	ds_read_b32 v17, v17 offset:1792
	ds_read_b32 v18, v15
	s_waitcnt lgkmcnt(0)
	v_fma_f32 v16, -v17, v18, v16
.LBB112_950:
	s_or_b64 exec, exec, s[8:9]
	s_barrier
	s_and_saveexec_b64 s[8:9], s[56:57]
	s_cbranch_execz .LBB112_952
; %bb.951:
	v_mov_b32_e32 v17, 0
	ds_read_b32 v17, v17 offset:1560
	s_waitcnt lgkmcnt(0)
	v_mul_f32_e32 v16, v16, v17
	v_xor_b32_e32 v17, 0x80000000, v16
	ds_write_b32 v15, v17
.LBB112_952:
	s_or_b64 exec, exec, s[8:9]
	s_waitcnt lgkmcnt(0)
	s_barrier
	s_and_saveexec_b64 s[8:9], s[58:59]
	s_cbranch_execz .LBB112_954
; %bb.953:
	v_lshlrev_b32_e32 v17, 2, v13
	ds_read_b32 v17, v17 offset:1536
	ds_read_b32 v18, v15
	s_waitcnt lgkmcnt(0)
	v_fma_f32 v16, -v17, v18, v16
.LBB112_954:
	s_or_b64 exec, exec, s[8:9]
	s_barrier
	s_and_saveexec_b64 s[8:9], s[60:61]
	s_cbranch_execz .LBB112_956
; %bb.955:
	v_mov_b32_e32 v17, 0
	ds_read_b32 v17, v17 offset:1300
	s_waitcnt lgkmcnt(0)
	v_mul_f32_e32 v16, v16, v17
	v_xor_b32_e32 v17, 0x80000000, v16
	ds_write_b32 v15, v17
.LBB112_956:
	s_or_b64 exec, exec, s[8:9]
	s_waitcnt lgkmcnt(0)
	s_barrier
	s_and_saveexec_b64 s[8:9], s[64:65]
	;; [unrolled: 24-line block ×6, first 2 shown]
	s_cbranch_execz .LBB112_974
; %bb.973:
	v_mov_b32_e32 v17, 0
	ds_read_b32 v17, v17 offset:256
	ds_read_b32 v18, v15
	s_waitcnt lgkmcnt(0)
	v_fma_f32 v16, -v17, v18, v16
.LBB112_974:
	s_or_b64 exec, exec, s[8:9]
	s_barrier
	s_and_saveexec_b64 s[8:9], s[62:63]
	s_cbranch_execz .LBB112_976
; %bb.975:
	v_mov_b32_e32 v17, 0
	ds_read_b32 v17, v17
	s_waitcnt lgkmcnt(0)
	v_mul_f32_e32 v16, v16, v17
	v_xor_b32_e32 v17, 0x80000000, v16
	ds_write_b32 v15, v17
.LBB112_976:
	s_or_b64 exec, exec, s[8:9]
	s_waitcnt lgkmcnt(0)
	s_barrier
	s_barrier
	s_and_saveexec_b64 s[8:9], s[14:15]
; %bb.977:
	v_lshlrev_b32_e32 v13, 2, v13
	v_lshl_or_b32 v13, v14, 8, v13
	ds_write_b32 v13, v16 offset:2048
; %bb.978:
	s_or_b64 exec, exec, s[8:9]
	s_waitcnt lgkmcnt(0)
	s_barrier
	s_barrier
	s_and_saveexec_b64 s[8:9], vcc
	s_cbranch_execz .LBB112_980
; %bb.979:
	v_mov_b32_e32 v15, 0
	ds_read_b64 v[13:14], v15 offset:1816
	ds_read_b32 v16, v15 offset:1560
	s_waitcnt lgkmcnt(0)
	v_mul_f32_e32 v14, v16, v14
	v_mul_f32_e32 v13, v13, v14
	ds_write_b32 v15, v13 offset:1816
.LBB112_980:
	s_or_b64 exec, exec, s[8:9]
	v_mov_b32_e32 v13, 0
	s_waitcnt lgkmcnt(0)
	s_barrier
	buffer_wbinvl1_vol
	s_and_saveexec_b64 s[10:11], s[0:1]
	s_cbranch_execz .LBB112_984
; %bb.981:
	v_lshlrev_b32_e32 v13, 8, v3
	v_lshlrev_b32_e32 v14, 2, v1
	ds_read_b32 v15, v14 offset:1552
	ds_read_b32 v13, v13 offset:1560
	v_mov_b32_e32 v14, 0
	v_cmp_gt_u32_e64 s[8:9], 2, v5
	s_waitcnt lgkmcnt(0)
	v_fma_f32 v13, v15, v13, 0
	s_and_saveexec_b64 s[12:13], s[8:9]
	s_cbranch_execz .LBB112_983
; %bb.982:
	v_lshlrev_b32_e32 v15, 2, v0
	ds_read_b32 v15, v15 offset:1808
	ds_read_b32 v14, v14 offset:1820
	s_waitcnt lgkmcnt(0)
	v_fmac_f32_e32 v13, v15, v14
.LBB112_983:
	s_or_b64 exec, exec, s[12:13]
.LBB112_984:
	s_or_b64 exec, exec, s[10:11]
	s_and_saveexec_b64 s[8:9], s[38:39]
	s_cbranch_execz .LBB112_986
; %bb.985:
	v_mov_b32_e32 v14, 0
	ds_read_b32 v14, v14 offset:1300
	s_waitcnt lgkmcnt(0)
	v_mul_f32_e32 v13, v13, v14
	v_xor_b32_e32 v14, 0x80000000, v13
	ds_write_b32 v4, v14
.LBB112_986:
	s_or_b64 exec, exec, s[8:9]
	s_waitcnt lgkmcnt(0)
	s_barrier
	s_and_saveexec_b64 s[8:9], s[36:37]
	s_cbranch_execz .LBB112_988
; %bb.987:
	v_mov_b32_e32 v14, 0
	ds_read_b32 v14, v14 offset:1296
	ds_read_b32 v15, v4
	s_waitcnt lgkmcnt(0)
	v_fma_f32 v13, -v14, v15, v13
.LBB112_988:
	s_or_b64 exec, exec, s[8:9]
	s_barrier
	s_and_saveexec_b64 s[8:9], s[36:37]
	s_cbranch_execz .LBB112_990
; %bb.989:
	v_mov_b32_e32 v14, 0
	ds_read_b32 v14, v14 offset:1040
	s_waitcnt lgkmcnt(0)
	v_mul_f32_e32 v13, v13, v14
	v_xor_b32_e32 v14, 0x80000000, v13
	ds_write_b32 v4, v14
.LBB112_990:
	s_or_b64 exec, exec, s[8:9]
	s_waitcnt lgkmcnt(0)
	s_barrier
	s_barrier
	s_and_saveexec_b64 s[8:9], s[0:1]
; %bb.991:
	v_lshlrev_b32_e32 v14, 2, v1
	v_lshl_or_b32 v14, v3, 8, v14
	ds_write_b32 v14, v13 offset:1552
; %bb.992:
	s_or_b64 exec, exec, s[8:9]
	s_waitcnt lgkmcnt(0)
	s_barrier
	s_barrier
	s_and_saveexec_b64 s[8:9], vcc
	s_cbranch_execz .LBB112_994
; %bb.993:
	v_mov_b32_e32 v15, 0
	ds_read_b64 v[13:14], v15 offset:1296
	ds_read_b32 v16, v15 offset:1040
	s_waitcnt lgkmcnt(0)
	v_mul_f32_e32 v14, v16, v14
	v_mul_f32_e32 v13, v13, v14
	ds_write_b32 v15, v13 offset:1296
.LBB112_994:
	s_or_b64 exec, exec, s[8:9]
	v_mov_b32_e32 v13, 0
	s_waitcnt lgkmcnt(0)
	s_barrier
	buffer_wbinvl1_vol
	s_and_saveexec_b64 s[10:11], s[2:3]
	s_cbranch_execz .LBB112_1000
; %bb.995:
	v_lshlrev_b32_e32 v15, 2, v6
	v_lshlrev_b32_e32 v14, 8, v11
	ds_read_b32 v13, v15 offset:1024
	ds_read_b32 v16, v14 offset:1040
	v_cmp_gt_u32_e64 s[8:9], 12, v5
	s_waitcnt lgkmcnt(0)
	v_fma_f32 v13, v13, v16, 0
	s_and_saveexec_b64 s[12:13], s[8:9]
	s_cbranch_execnz .LBB112_1191
; %bb.996:
	s_or_b64 exec, exec, s[12:13]
	v_cmp_gt_u32_e64 s[8:9], 8, v5
	s_and_saveexec_b64 s[12:13], s[8:9]
	s_cbranch_execnz .LBB112_1192
.LBB112_997:
	s_or_b64 exec, exec, s[12:13]
	v_cmp_gt_u32_e64 s[8:9], 4, v5
	s_and_saveexec_b64 s[12:13], s[8:9]
	s_cbranch_execz .LBB112_999
.LBB112_998:
	v_lshlrev_b32_e32 v14, 2, v0
	v_mov_b32_e32 v15, 0
	ds_read_b32 v14, v14 offset:1792
	ds_read_b32 v15, v15 offset:1820
	s_waitcnt lgkmcnt(0)
	v_fmac_f32_e32 v13, v14, v15
.LBB112_999:
	s_or_b64 exec, exec, s[12:13]
.LBB112_1000:
	s_or_b64 exec, exec, s[10:11]
	s_and_saveexec_b64 s[8:9], s[42:43]
	s_cbranch_execz .LBB112_1002
; %bb.1001:
	v_mov_b32_e32 v14, 0
	ds_read_b32 v14, v14 offset:780
	s_waitcnt lgkmcnt(0)
	v_mul_f32_e32 v13, v13, v14
	v_xor_b32_e32 v14, 0x80000000, v13
	ds_write_b32 v12, v14
.LBB112_1002:
	s_or_b64 exec, exec, s[8:9]
	s_waitcnt lgkmcnt(0)
	s_barrier
	s_and_saveexec_b64 s[8:9], s[44:45]
	s_load_dword s18, s[4:5], 0x6c
	s_cbranch_execz .LBB112_1004
; %bb.1003:
	v_lshlrev_b32_e32 v14, 2, v6
	ds_read_b32 v14, v14 offset:768
	ds_read_b32 v15, v12
	s_waitcnt lgkmcnt(0)
	v_fma_f32 v13, -v14, v15, v13
.LBB112_1004:
	s_or_b64 exec, exec, s[8:9]
	s_waitcnt lgkmcnt(0)
	s_barrier
	s_and_saveexec_b64 s[8:9], s[46:47]
	s_cbranch_execz .LBB112_1006
; %bb.1005:
	v_mov_b32_e32 v14, 0
	ds_read_b32 v14, v14 offset:520
	s_waitcnt lgkmcnt(0)
	v_mul_f32_e32 v13, v13, v14
	v_xor_b32_e32 v14, 0x80000000, v13
	ds_write_b32 v12, v14
.LBB112_1006:
	s_or_b64 exec, exec, s[8:9]
	s_waitcnt lgkmcnt(0)
	s_barrier
	s_and_saveexec_b64 s[8:9], s[48:49]
	s_cbranch_execz .LBB112_1008
; %bb.1007:
	v_lshlrev_b32_e32 v14, 2, v6
	ds_read_b32 v14, v14 offset:512
	ds_read_b32 v15, v12
	s_waitcnt lgkmcnt(0)
	v_fma_f32 v13, -v14, v15, v13
.LBB112_1008:
	s_or_b64 exec, exec, s[8:9]
	s_barrier
	s_and_saveexec_b64 s[8:9], s[50:51]
	s_cbranch_execz .LBB112_1010
; %bb.1009:
	v_mov_b32_e32 v14, 0
	ds_read_b32 v14, v14 offset:260
	s_waitcnt lgkmcnt(0)
	v_mul_f32_e32 v13, v13, v14
	v_xor_b32_e32 v14, 0x80000000, v13
	ds_write_b32 v12, v14
.LBB112_1010:
	s_or_b64 exec, exec, s[8:9]
	s_waitcnt lgkmcnt(0)
	s_barrier
	s_and_saveexec_b64 s[8:9], s[40:41]
	s_cbranch_execz .LBB112_1012
; %bb.1011:
	v_mov_b32_e32 v14, 0
	ds_read_b32 v14, v14 offset:256
	ds_read_b32 v15, v12
	s_waitcnt lgkmcnt(0)
	v_fma_f32 v13, -v14, v15, v13
.LBB112_1012:
	s_or_b64 exec, exec, s[8:9]
	s_barrier
	s_and_saveexec_b64 s[8:9], s[40:41]
	s_cbranch_execz .LBB112_1014
; %bb.1013:
	v_mov_b32_e32 v14, 0
	ds_read_b32 v14, v14
	s_waitcnt lgkmcnt(0)
	v_mul_f32_e32 v13, v13, v14
	v_xor_b32_e32 v14, 0x80000000, v13
	ds_write_b32 v12, v14
.LBB112_1014:
	s_or_b64 exec, exec, s[8:9]
	s_waitcnt lgkmcnt(0)
	s_barrier
	s_barrier
	s_and_saveexec_b64 s[8:9], s[2:3]
; %bb.1015:
	v_lshlrev_b32_e32 v6, 2, v6
	v_lshl_or_b32 v6, v11, 8, v6
	ds_write_b32 v6, v13 offset:1024
; %bb.1016:
	s_or_b64 exec, exec, s[8:9]
	s_waitcnt lgkmcnt(0)
	s_barrier
	s_barrier
	s_and_saveexec_b64 s[2:3], vcc
	s_cbranch_execz .LBB112_1018
; %bb.1017:
	v_mov_b32_e32 v6, 0
	ds_read_b64 v[11:12], v6 offset:776
	ds_read_b32 v13, v6 offset:520
	s_waitcnt lgkmcnt(0)
	v_mul_f32_e32 v12, v13, v12
	v_mul_f32_e32 v11, v11, v12
	ds_write_b32 v6, v11 offset:776
.LBB112_1018:
	s_or_b64 exec, exec, s[2:3]
	v_mov_b32_e32 v6, 0
	s_waitcnt lgkmcnt(0)
	s_barrier
	buffer_wbinvl1_vol
	s_and_saveexec_b64 s[8:9], s[0:1]
	s_cbranch_execz .LBB112_1022
; %bb.1019:
	v_lshlrev_b32_e32 v6, 8, v3
	v_lshlrev_b32_e32 v11, 2, v1
	ds_read_b32 v12, v11 offset:512
	ds_read_b32 v6, v6 offset:520
	v_mov_b32_e32 v11, 0
	v_cmp_gt_u32_e64 s[2:3], 2, v5
	s_waitcnt lgkmcnt(0)
	v_fma_f32 v6, v12, v6, 0
	s_and_saveexec_b64 s[10:11], s[2:3]
	s_cbranch_execz .LBB112_1021
; %bb.1020:
	v_lshlrev_b32_e32 v5, 2, v0
	ds_read_b32 v5, v5 offset:768
	ds_read_b32 v11, v11 offset:780
	s_waitcnt lgkmcnt(0)
	v_fmac_f32_e32 v6, v5, v11
.LBB112_1021:
	s_or_b64 exec, exec, s[10:11]
.LBB112_1022:
	s_or_b64 exec, exec, s[8:9]
	s_and_saveexec_b64 s[2:3], s[38:39]
	s_cbranch_execz .LBB112_1024
; %bb.1023:
	v_mov_b32_e32 v5, 0
	ds_read_b32 v5, v5 offset:260
	s_waitcnt lgkmcnt(0)
	v_mul_f32_e32 v6, v6, v5
	v_xor_b32_e32 v5, 0x80000000, v6
	ds_write_b32 v4, v5
.LBB112_1024:
	s_or_b64 exec, exec, s[2:3]
	s_waitcnt lgkmcnt(0)
	s_barrier
	s_and_saveexec_b64 s[2:3], s[36:37]
	s_cbranch_execz .LBB112_1026
; %bb.1025:
	v_mov_b32_e32 v5, 0
	ds_read_b32 v5, v5 offset:256
	ds_read_b32 v11, v4
	s_waitcnt lgkmcnt(0)
	v_fma_f32 v6, -v5, v11, v6
.LBB112_1026:
	s_or_b64 exec, exec, s[2:3]
	s_barrier
	s_and_saveexec_b64 s[2:3], s[36:37]
	s_cbranch_execz .LBB112_1028
; %bb.1027:
	v_mov_b32_e32 v5, 0
	ds_read_b32 v5, v5
	s_waitcnt lgkmcnt(0)
	v_mul_f32_e32 v6, v6, v5
	v_xor_b32_e32 v5, 0x80000000, v6
	ds_write_b32 v4, v5
.LBB112_1028:
	s_or_b64 exec, exec, s[2:3]
	s_waitcnt lgkmcnt(0)
	s_barrier
	s_barrier
	s_and_saveexec_b64 s[2:3], s[0:1]
; %bb.1029:
	v_lshlrev_b32_e32 v1, 2, v1
	v_lshl_or_b32 v1, v3, 8, v1
	ds_write_b32 v1, v6 offset:512
; %bb.1030:
	s_or_b64 exec, exec, s[2:3]
	s_waitcnt lgkmcnt(0)
	s_barrier
	s_barrier
	s_and_saveexec_b64 s[0:1], vcc
	s_cbranch_execz .LBB112_1032
; %bb.1031:
	v_mov_b32_e32 v1, 0
	ds_read_b64 v[3:4], v1 offset:256
	ds_read_b32 v5, v1
	s_waitcnt lgkmcnt(0)
	v_mul_f32_e32 v4, v5, v4
	v_mul_f32_e32 v3, v3, v4
	ds_write_b32 v1, v3 offset:256
.LBB112_1032:
	s_or_b64 exec, exec, s[0:1]
.LBB112_1033:
	s_load_dwordx4 s[0:3], s[4:5], 0x30
	v_cmp_le_i32_e32 vcc, s92, v0
	v_mov_b32_e32 v5, 0
	v_add_u32_e32 v3, s33, v0
	s_waitcnt lgkmcnt(0)
	s_lshl_b64 s[0:1], s[2:3], 2
	s_add_u32 s38, s30, s0
	s_addc_u32 s39, s31, s1
	s_and_b64 s[14:15], vcc, s[26:27]
	v_cmp_eq_u32_e64 s[0:1], 0, v2
	s_xor_b64 s[2:3], s[14:15], -1
	s_and_b64 s[8:9], s[0:1], s[2:3]
	s_barrier
	s_and_saveexec_b64 s[2:3], s[8:9]
	s_cbranch_execz .LBB112_1035
; %bb.1034:
	v_ashrrev_i32_e32 v1, 31, v3
	v_mul_lo_u32 v6, s29, v3
	v_mad_u64_u32 v[4:5], s[8:9], s28, v3, 0
	v_mul_lo_u32 v1, s28, v1
	s_load_dword s8, s[4:5], 0x28
	v_add3_u32 v5, v5, v1, v6
	v_lshlrev_b64 v[4:5], 2, v[4:5]
	v_mov_b32_e32 v1, s39
	v_add_co_u32_e32 v4, vcc, s38, v4
	v_addc_co_u32_e32 v5, vcc, v1, v5, vcc
	flat_load_dword v1, v[4:5]
	s_waitcnt vmcnt(0) lgkmcnt(0)
	v_mul_f32_e64 v5, v1, -s8
.LBB112_1035:
	s_or_b64 exec, exec, s[2:3]
	s_load_dwordx2 s[12:13], s[4:5], 0x50
	s_and_b32 s2, 0xffff, s18
	v_mad_u32_u24 v1, v2, s2, v0
	s_cmp_lt_i32 s6, 1
	v_cmp_eq_u32_e64 s[2:3], 0, v1
	s_cbranch_scc1 .LBB112_1061
; %bb.1036:
	v_ashrrev_i32_e32 v4, 31, v3
	v_cmp_gt_i32_e64 s[10:11], s22, v3
	v_lshlrev_b64 v[3:4], 2, v[3:4]
	s_lshl_b64 s[4:5], s[20:21], 2
	s_waitcnt lgkmcnt(0)
	s_add_u32 s16, s12, s4
	v_mov_b32_e32 v11, 0x5000
	v_mov_b32_e32 v13, s94
	v_add_co_u32_e32 v12, vcc, s93, v3
	s_mul_i32 s8, s25, 0xc0
	s_mul_hi_u32 s9, s24, 0xc0
	s_mov_b32 s40, 0
	s_addc_u32 s17, s13, s5
	v_cmp_gt_u32_e64 s[4:5], 64, v1
	v_lshl_add_u32 v6, v1, 2, v11
	v_lshl_or_b32 v11, v2, 2, v11
	s_add_i32 s95, s95, 1
	v_addc_co_u32_e32 v13, vcc, v13, v4, vcc
	s_lshl_b64 s[18:19], s[24:25], 6
	s_lshl_b64 s[30:31], s[24:25], 7
	s_add_i32 s41, s9, s8
	s_mul_i32 s42, s24, 0xc0
	v_mov_b32_e32 v15, -1
	v_mov_b32_e32 v14, 0
	s_branch .LBB112_1039
.LBB112_1037:                           ;   in Loop: Header=BB112_1039 Depth=1
	ds_read_b32 v3, v11 offset:192
	s_waitcnt vmcnt(0) lgkmcnt(0)
	v_fmac_f32_e32 v5, v16, v3
.LBB112_1038:                           ;   in Loop: Header=BB112_1039 Depth=1
	s_or_b64 exec, exec, s[36:37]
	s_add_i32 s40, s40, 1
	s_cmp_eq_u32 s40, s6
	s_cbranch_scc1 .LBB112_1061
.LBB112_1039:                           ; =>This Loop Header: Depth=1
                                        ;     Child Loop BB112_1041 Depth 2
	v_cmp_gt_i32_e32 vcc, s40, v15
	s_and_b64 s[36:37], s[2:3], vcc
	s_and_saveexec_b64 s[8:9], s[36:37]
	s_cbranch_execz .LBB112_1042
; %bb.1040:                             ;   in Loop: Header=BB112_1039 Depth=1
	global_load_dword v15, v14, s[16:17]
	s_waitcnt vmcnt(0)
	v_cmp_le_i32_e32 vcc, s40, v15
	s_cbranch_vccnz .LBB112_1042
.LBB112_1041:                           ;   Parent Loop BB112_1039 Depth=1
                                        ; =>  This Inner Loop Header: Depth=2
	buffer_wbinvl1_vol
	global_load_dword v15, v14, s[16:17]
	s_waitcnt vmcnt(0)
	v_cmp_gt_i32_e32 vcc, s40, v15
	s_cbranch_vccnz .LBB112_1041
.LBB112_1042:                           ;   in Loop: Header=BB112_1039 Depth=1
	s_or_b64 exec, exec, s[8:9]
	s_sub_i32 s43, s7, s40
	s_lshl_b32 s44, s43, 6
	buffer_wbinvl1_vol
	s_barrier
	s_and_saveexec_b64 s[8:9], s[4:5]
	s_cbranch_execz .LBB112_1046
; %bb.1043:                             ;   in Loop: Header=BB112_1039 Depth=1
	s_ashr_i32 s36, s44, 31
	v_mov_b32_e32 v4, s36
	v_or_b32_e32 v3, s44, v1
	v_cmp_gt_i64_e32 vcc, s[22:23], v[3:4]
	v_mov_b32_e32 v16, 0
	s_and_saveexec_b64 s[36:37], vcc
	s_cbranch_execz .LBB112_1045
; %bb.1044:                             ;   in Loop: Header=BB112_1039 Depth=1
	v_mul_lo_u32 v16, v4, s28
	v_mul_lo_u32 v17, v3, s29
	v_mad_u64_u32 v[3:4], s[46:47], v3, s28, 0
	v_add3_u32 v4, v4, v17, v16
	v_lshlrev_b64 v[3:4], 2, v[3:4]
	v_mov_b32_e32 v16, s39
	v_add_co_u32_e32 v3, vcc, s38, v3
	v_addc_co_u32_e32 v4, vcc, v16, v4, vcc
	flat_load_dword v16, v[3:4]
.LBB112_1045:                           ;   in Loop: Header=BB112_1039 Depth=1
	s_or_b64 exec, exec, s[36:37]
	s_waitcnt vmcnt(0) lgkmcnt(0)
	ds_write_b32 v6, v16
.LBB112_1046:                           ;   in Loop: Header=BB112_1039 Depth=1
	s_or_b64 exec, exec, s[8:9]
	v_add_u32_e32 v16, s44, v2
	v_ashrrev_i32_e32 v17, 31, v16
	v_mul_lo_u32 v18, s25, v16
	v_mad_u64_u32 v[3:4], s[8:9], s24, v16, 0
	v_mul_lo_u32 v17, s24, v17
	s_cmp_lg_u32 s43, s95
	s_cselect_b64 s[8:9], -1, 0
	s_waitcnt lgkmcnt(0)
	v_add3_u32 v4, v4, v17, v18
	v_lshlrev_b64 v[3:4], 2, v[3:4]
	v_cndmask_b32_e64 v17, 0, 1, s[8:9]
	v_add_co_u32_e32 v3, vcc, v12, v3
	v_addc_co_u32_e32 v4, vcc, v13, v4, vcc
	v_cmp_gt_i32_e32 vcc, s22, v16
	s_and_b64 s[44:45], s[10:11], vcc
	v_cmp_ne_u32_e64 s[8:9], 1, v17
	s_barrier
	s_and_saveexec_b64 s[36:37], s[44:45]
	s_cbranch_execz .LBB112_1050
; %bb.1047:                             ;   in Loop: Header=BB112_1039 Depth=1
	s_and_b64 vcc, exec, s[8:9]
	v_mov_b32_e32 v17, v7
	s_cbranch_vccnz .LBB112_1049
; %bb.1048:                             ;   in Loop: Header=BB112_1039 Depth=1
	flat_load_dword v17, v[3:4]
.LBB112_1049:                           ;   in Loop: Header=BB112_1039 Depth=1
	ds_read_b32 v18, v11
	s_waitcnt vmcnt(0) lgkmcnt(0)
	v_fmac_f32_e32 v5, v17, v18
.LBB112_1050:                           ;   in Loop: Header=BB112_1039 Depth=1
	s_or_b64 exec, exec, s[36:37]
	v_add_u32_e32 v17, 16, v16
	v_cmp_gt_i32_e32 vcc, s22, v17
	s_and_b64 s[44:45], s[10:11], vcc
	s_and_saveexec_b64 s[36:37], s[44:45]
	s_cbranch_execz .LBB112_1054
; %bb.1051:                             ;   in Loop: Header=BB112_1039 Depth=1
	s_and_b64 vcc, exec, s[8:9]
	v_mov_b32_e32 v17, v8
	s_cbranch_vccnz .LBB112_1053
; %bb.1052:                             ;   in Loop: Header=BB112_1039 Depth=1
	v_mov_b32_e32 v18, s19
	v_add_co_u32_e32 v17, vcc, s18, v3
	v_addc_co_u32_e32 v18, vcc, v4, v18, vcc
	flat_load_dword v17, v[17:18]
.LBB112_1053:                           ;   in Loop: Header=BB112_1039 Depth=1
	ds_read_b32 v18, v11 offset:64
	s_waitcnt vmcnt(0) lgkmcnt(0)
	v_fmac_f32_e32 v5, v17, v18
.LBB112_1054:                           ;   in Loop: Header=BB112_1039 Depth=1
	s_or_b64 exec, exec, s[36:37]
	v_add_u32_e32 v17, 32, v16
	v_cmp_gt_i32_e32 vcc, s22, v17
	s_and_b64 s[44:45], s[10:11], vcc
	s_and_saveexec_b64 s[36:37], s[44:45]
	s_cbranch_execz .LBB112_1058
; %bb.1055:                             ;   in Loop: Header=BB112_1039 Depth=1
	s_and_b64 vcc, exec, s[8:9]
	v_mov_b32_e32 v17, v10
	s_cbranch_vccnz .LBB112_1057
; %bb.1056:                             ;   in Loop: Header=BB112_1039 Depth=1
	v_mov_b32_e32 v18, s31
	v_add_co_u32_e32 v17, vcc, s30, v3
	v_addc_co_u32_e32 v18, vcc, v4, v18, vcc
	flat_load_dword v17, v[17:18]
.LBB112_1057:                           ;   in Loop: Header=BB112_1039 Depth=1
	ds_read_b32 v18, v11 offset:128
	s_waitcnt vmcnt(0) lgkmcnt(0)
	v_fmac_f32_e32 v5, v17, v18
.LBB112_1058:                           ;   in Loop: Header=BB112_1039 Depth=1
	s_or_b64 exec, exec, s[36:37]
	v_add_u32_e32 v16, 48, v16
	v_cmp_gt_i32_e32 vcc, s22, v16
	s_and_b64 s[44:45], s[10:11], vcc
	s_and_saveexec_b64 s[36:37], s[44:45]
	s_cbranch_execz .LBB112_1038
; %bb.1059:                             ;   in Loop: Header=BB112_1039 Depth=1
	s_and_b64 vcc, exec, s[8:9]
	v_mov_b32_e32 v16, v9
	s_cbranch_vccnz .LBB112_1037
; %bb.1060:                             ;   in Loop: Header=BB112_1039 Depth=1
	v_mov_b32_e32 v16, s41
	v_add_co_u32_e32 v3, vcc, s42, v3
	v_addc_co_u32_e32 v4, vcc, v4, v16, vcc
	flat_load_dword v16, v[3:4]
	s_branch .LBB112_1037
.LBB112_1061:
	v_lshl_add_u32 v3, v2, 6, v0
	s_xor_b64 s[2:3], s[26:27], -1
	s_xor_b64 s[4:5], s[34:35], -1
	v_lshlrev_b32_e32 v3, 2, v3
	ds_write_b32 v3, v5 offset:16384
	s_waitcnt lgkmcnt(0)
	s_barrier
	s_and_saveexec_b64 s[6:7], s[0:1]
	s_cbranch_execz .LBB112_1063
; %bb.1062:
	v_lshlrev_b32_e32 v16, 2, v0
	ds_read2st64_b32 v[6:7], v16 offset0:65 offset1:66
	ds_read2st64_b32 v[8:9], v16 offset0:67 offset1:68
	;; [unrolled: 1-line block ×5, first 2 shown]
	s_waitcnt lgkmcnt(4)
	v_add_f32_e32 v4, v5, v6
	v_add_f32_e32 v4, v4, v7
	s_waitcnt lgkmcnt(3)
	v_add_f32_e32 v4, v4, v8
	v_add_f32_e32 v4, v4, v9
	;; [unrolled: 3-line block ×4, first 2 shown]
	ds_read2st64_b32 v[4:5], v16 offset0:75 offset1:76
	ds_read2st64_b32 v[6:7], v16 offset0:77 offset1:78
	ds_read_b32 v9, v16 offset:20224
	s_waitcnt lgkmcnt(3)
	v_add_f32_e32 v8, v8, v14
	v_add_f32_e32 v8, v8, v15
	s_waitcnt lgkmcnt(2)
	v_add_f32_e32 v4, v8, v4
	v_add_f32_e32 v4, v4, v5
	;; [unrolled: 3-line block ×3, first 2 shown]
	s_waitcnt lgkmcnt(0)
	v_add_f32_e32 v4, v4, v9
	v_cndmask_b32_e64 v5, -v4, 0, s[14:15]
.LBB112_1063:
	s_or_b64 exec, exec, s[6:7]
	s_andn2_b64 vcc, exec, s[4:5]
	s_cbranch_vccnz .LBB112_1076
; %bb.1064:
	v_mov_b32_e32 v4, 0x5000
	v_lshl_or_b32 v6, v2, 2, v4
	s_and_saveexec_b64 s[4:5], s[0:1]
; %bb.1065:
	v_lshl_add_u32 v4, v0, 2, v6
	ds_write_b32 v4, v5
; %bb.1066:
	s_or_b64 exec, exec, s[4:5]
	v_cmp_le_u32_e32 vcc, v0, v2
	v_mov_b32_e32 v4, 0
	s_waitcnt lgkmcnt(0)
	s_barrier
	s_and_saveexec_b64 s[4:5], vcc
	s_cbranch_execz .LBB112_1068
; %bb.1067:
	ds_read_b32 v4, v3
	ds_read_b32 v7, v6
	s_waitcnt lgkmcnt(0)
	v_fma_f32 v4, v4, v7, 0
.LBB112_1068:
	s_or_b64 exec, exec, s[4:5]
	v_add_u32_e32 v7, 16, v2
	v_cmp_le_u32_e32 vcc, v0, v7
	s_and_saveexec_b64 s[4:5], vcc
	s_cbranch_execz .LBB112_1070
; %bb.1069:
	ds_read_b32 v7, v3 offset:4096
	ds_read_b32 v8, v6 offset:64
	s_waitcnt lgkmcnt(0)
	v_fmac_f32_e32 v4, v7, v8
.LBB112_1070:
	s_or_b64 exec, exec, s[4:5]
	v_add_u32_e32 v7, 32, v2
	v_cmp_le_u32_e32 vcc, v0, v7
	s_and_saveexec_b64 s[4:5], vcc
	s_cbranch_execz .LBB112_1072
; %bb.1071:
	ds_read_b32 v7, v3 offset:8192
	ds_read_b32 v8, v6 offset:128
	s_waitcnt lgkmcnt(0)
	v_fmac_f32_e32 v4, v7, v8
.LBB112_1072:
	s_or_b64 exec, exec, s[4:5]
	v_add_u32_e32 v2, 48, v2
	v_add_u32_e32 v7, 0x4000, v3
	v_cmp_le_u32_e32 vcc, v0, v2
	s_and_saveexec_b64 s[4:5], vcc
	s_cbranch_execz .LBB112_1074
; %bb.1073:
	ds_read_b32 v2, v3 offset:12288
	ds_read_b32 v3, v6 offset:192
	s_waitcnt lgkmcnt(0)
	v_fmac_f32_e32 v4, v2, v3
.LBB112_1074:
	s_or_b64 exec, exec, s[4:5]
	s_mov_b64 s[6:7], 0
	s_mov_b64 s[4:5], 0
	ds_write_b32 v7, v4
	s_waitcnt lgkmcnt(0)
	s_barrier
                                        ; implicit-def: $vgpr2
	s_and_saveexec_b64 s[8:9], s[0:1]
	s_cbranch_execz .LBB112_1139
; %bb.1075:
	v_lshlrev_b32_e32 v12, 2, v0
	ds_read2st64_b32 v[2:3], v12 offset0:65 offset1:66
	ds_read2st64_b32 v[6:7], v12 offset0:67 offset1:68
	;; [unrolled: 1-line block ×4, first 2 shown]
	s_mov_b64 s[4:5], exec
	s_waitcnt lgkmcnt(3)
	v_add_f32_e32 v2, v4, v2
	v_add_f32_e32 v2, v3, v2
	s_waitcnt lgkmcnt(2)
	v_add_f32_e32 v2, v6, v2
	v_add_f32_e32 v2, v7, v2
	;; [unrolled: 3-line block ×3, first 2 shown]
	s_waitcnt lgkmcnt(0)
	v_add_f32_e32 v4, v10, v2
	ds_read2st64_b32 v[2:3], v12 offset0:73 offset1:74
	v_add_f32_e32 v4, v11, v4
	ds_read2st64_b32 v[6:7], v12 offset0:75 offset1:76
	ds_read2st64_b32 v[8:9], v12 offset0:77 offset1:78
	ds_read_b32 v10, v12 offset:20224
	s_waitcnt lgkmcnt(3)
	v_add_f32_e32 v2, v2, v4
	v_add_f32_e32 v2, v3, v2
	s_waitcnt lgkmcnt(2)
	v_add_f32_e32 v2, v6, v2
	v_add_f32_e32 v2, v7, v2
	;; [unrolled: 3-line block ×3, first 2 shown]
	s_waitcnt lgkmcnt(0)
	v_add_f32_e32 v2, v10, v2
	s_or_b64 exec, exec, s[8:9]
	s_and_b64 vcc, exec, s[6:7]
	s_cbranch_vccnz .LBB112_1077
	s_branch .LBB112_1140
.LBB112_1076:
	s_mov_b64 s[4:5], 0
                                        ; implicit-def: $vgpr2
	s_cbranch_execz .LBB112_1140
.LBB112_1077:
	s_movk_i32 s6, 0x104
	v_lshlrev_b32_e32 v3, 8, v0
	v_mov_b32_e32 v4, 0x3c00
	v_mul_u32_u24_e32 v2, 0x104, v0
	v_sub_u32_e32 v3, 0, v3
	v_mad_u32_u24 v4, v0, s6, v4
	s_mov_b32 s8, 63
	s_movk_i32 s9, 0xc100
	v_mov_b32_e32 v6, 0
	s_branch .LBB112_1079
.LBB112_1078:                           ;   in Loop: Header=BB112_1079 Depth=1
	s_or_b64 exec, exec, s[6:7]
	s_add_i32 s8, s8, -4
	s_cmp_lg_u32 s10, 0
	v_add_u32_e32 v3, 0xfffffc00, v3
	s_barrier
	s_cbranch_scc0 .LBB112_1095
.LBB112_1079:                           ; =>This Inner Loop Header: Depth=1
	v_cmp_eq_u32_e32 vcc, s9, v3
	s_and_b64 s[10:11], s[0:1], vcc
	s_and_saveexec_b64 s[6:7], s[10:11]
	s_cbranch_execz .LBB112_1081
; %bb.1080:                             ;   in Loop: Header=BB112_1079 Depth=1
	ds_read_b32 v7, v2
	s_waitcnt lgkmcnt(0)
	v_mul_f32_e32 v5, v5, v7
	ds_write_b32 v6, v5 offset:20736
.LBB112_1081:                           ;   in Loop: Header=BB112_1079 Depth=1
	s_or_b64 exec, exec, s[6:7]
	v_cmp_gt_u32_e32 vcc, s8, v0
	s_and_b64 s[10:11], s[0:1], vcc
	v_add_u32_e32 v7, v4, v3
	s_waitcnt lgkmcnt(0)
	s_barrier
	s_and_saveexec_b64 s[6:7], s[10:11]
	s_cbranch_execz .LBB112_1083
; %bb.1082:                             ;   in Loop: Header=BB112_1079 Depth=1
	ds_read_b32 v8, v7 offset:768
	ds_read_b32 v9, v6 offset:20736
	s_waitcnt lgkmcnt(0)
	v_fmac_f32_e32 v5, v8, v9
.LBB112_1083:                           ;   in Loop: Header=BB112_1079 Depth=1
	s_or_b64 exec, exec, s[6:7]
	s_add_i32 s10, s8, -1
	v_cmp_eq_u32_e32 vcc, s10, v0
	s_and_b64 s[14:15], s[0:1], vcc
	s_barrier
	s_and_saveexec_b64 s[6:7], s[14:15]
	s_cbranch_execz .LBB112_1085
; %bb.1084:                             ;   in Loop: Header=BB112_1079 Depth=1
	ds_read_b32 v8, v2
	s_waitcnt lgkmcnt(0)
	v_mul_f32_e32 v5, v5, v8
	ds_write_b32 v6, v5 offset:20736
.LBB112_1085:                           ;   in Loop: Header=BB112_1079 Depth=1
	s_or_b64 exec, exec, s[6:7]
	v_cmp_gt_u32_e32 vcc, s10, v0
	s_and_b64 s[10:11], s[0:1], vcc
	s_waitcnt lgkmcnt(0)
	s_barrier
	s_and_saveexec_b64 s[6:7], s[10:11]
	s_cbranch_execz .LBB112_1087
; %bb.1086:                             ;   in Loop: Header=BB112_1079 Depth=1
	ds_read_b32 v8, v7 offset:512
	ds_read_b32 v9, v6 offset:20736
	s_waitcnt lgkmcnt(0)
	v_fmac_f32_e32 v5, v8, v9
.LBB112_1087:                           ;   in Loop: Header=BB112_1079 Depth=1
	s_or_b64 exec, exec, s[6:7]
	s_add_i32 s10, s8, -2
	v_cmp_eq_u32_e32 vcc, s10, v0
	s_and_b64 s[14:15], s[0:1], vcc
	s_barrier
	s_and_saveexec_b64 s[6:7], s[14:15]
	s_cbranch_execz .LBB112_1089
; %bb.1088:                             ;   in Loop: Header=BB112_1079 Depth=1
	ds_read_b32 v8, v2
	s_waitcnt lgkmcnt(0)
	v_mul_f32_e32 v5, v5, v8
	ds_write_b32 v6, v5 offset:20736
.LBB112_1089:                           ;   in Loop: Header=BB112_1079 Depth=1
	s_or_b64 exec, exec, s[6:7]
	v_cmp_gt_u32_e32 vcc, s10, v0
	s_and_b64 s[10:11], s[0:1], vcc
	;; [unrolled: 26-line block ×3, first 2 shown]
	s_waitcnt lgkmcnt(0)
	s_barrier
	s_and_saveexec_b64 s[6:7], s[14:15]
	s_cbranch_execz .LBB112_1078
; %bb.1094:                             ;   in Loop: Header=BB112_1079 Depth=1
	ds_read_b32 v7, v7
	ds_read_b32 v8, v6 offset:20736
	s_waitcnt lgkmcnt(0)
	v_fmac_f32_e32 v5, v7, v8
	s_branch .LBB112_1078
.LBB112_1095:
	s_mov_b64 s[6:7], -1
	s_and_b64 vcc, exec, s[2:3]
	s_cbranch_vccnz .LBB112_1141
; %bb.1096:
	s_andn2_b64 vcc, exec, s[6:7]
	s_cbranch_vccz .LBB112_1142
.LBB112_1097:
	s_and_saveexec_b64 s[0:1], s[4:5]
	s_cbranch_execz .LBB112_1099
.LBB112_1098:
	v_mov_b32_e32 v0, s52
	v_add_co_u32_e32 v2, vcc, s33, v1
	v_addc_co_u32_e32 v0, vcc, 0, v0, vcc
	v_mul_lo_u32 v0, v0, s28
	v_mul_lo_u32 v4, v2, s29
	v_mad_u64_u32 v[2:3], s[2:3], v2, s28, 0
	v_add3_u32 v3, v3, v4, v0
	v_lshlrev_b64 v[2:3], 2, v[2:3]
	v_mov_b32_e32 v0, s39
	v_add_co_u32_e32 v2, vcc, s38, v2
	v_addc_co_u32_e32 v3, vcc, v0, v3, vcc
	flat_store_dword v[2:3], v5
.LBB112_1099:
	s_or_b64 exec, exec, s[0:1]
	v_cmp_eq_u32_e32 vcc, 0, v1
	s_waitcnt vmcnt(0) lgkmcnt(0)
	buffer_wbinvl1_vol
	s_barrier
	s_and_saveexec_b64 s[0:1], vcc
	s_cbranch_execz .LBB112_1101
; %bb.1100:
	s_lshl_b64 s[2:3], s[20:21], 2
	s_add_u32 s2, s12, s2
	s_addc_u32 s3, s13, s3
	v_mov_b32_e32 v0, 0
	global_load_dword v1, v0, s[2:3]
	s_waitcnt vmcnt(0)
	v_add_u32_e32 v1, 1, v1
	global_store_dword v0, v1, s[2:3]
.LBB112_1101:
	s_or_b64 exec, exec, s[0:1]
	s_waitcnt vmcnt(0)
	buffer_wbinvl1_vol
	s_endpgm
.LBB112_1102:
                                        ; implicit-def: $vgpr9
                                        ; implicit-def: $vgpr10
                                        ; implicit-def: $vgpr8
                                        ; implicit-def: $vgpr7
                                        ; implicit-def: $sgpr33
	s_cbranch_execnz .LBB112_10
	s_branch .LBB112_11
.LBB112_1103:
	v_cmp_ne_u32_e32 vcc, v0, v2
	s_and_saveexec_b64 s[8:9], vcc
	s_xor_b64 s[8:9], exec, s[8:9]
; %bb.1104:
	v_or_b32_e32 v1, v2, v0
	v_cmp_gt_u32_e32 vcc, 64, v1
	s_and_b64 s[2:3], vcc, exec
                                        ; implicit-def: $vgpr5_vgpr6
; %bb.1105:
	s_or_saveexec_b64 s[8:9], s[8:9]
	v_mov_b32_e32 v1, 0
	s_xor_b64 exec, exec, s[8:9]
	s_cbranch_execz .LBB112_1107
; %bb.1106:
	v_lshlrev_b64 v[5:6], 2, v[5:6]
	v_mov_b32_e32 v1, s94
	v_add_co_u32_e32 v5, vcc, s93, v5
	v_addc_co_u32_e32 v6, vcc, v1, v6, vcc
	flat_load_dword v1, v[5:6]
	s_or_b64 s[2:3], s[2:3], exec
	s_waitcnt vmcnt(0) lgkmcnt(0)
	v_div_scale_f32 v5, s[10:11], v1, v1, 1.0
	v_div_scale_f32 v6, vcc, 1.0, v1, 1.0
	v_rcp_f32_e32 v11, v5
	v_fma_f32 v12, -v5, v11, 1.0
	v_fmac_f32_e32 v11, v12, v11
	v_mul_f32_e32 v12, v6, v11
	v_fma_f32 v13, -v5, v12, v6
	v_fmac_f32_e32 v12, v13, v11
	v_fma_f32 v5, -v5, v12, v6
	v_div_fmas_f32 v5, v5, v11, v12
	v_div_fixup_f32 v1, v5, v1, 1.0
.LBB112_1107:
	s_or_b64 exec, exec, s[8:9]
	s_and_b64 s[2:3], s[2:3], exec
                                        ; implicit-def: $vgpr5_vgpr6
	s_andn2_saveexec_b64 s[0:1], s[0:1]
	s_cbranch_execz .LBB112_14
.LBB112_1108:
	v_lshlrev_b64 v[5:6], 2, v[5:6]
	v_mov_b32_e32 v1, s94
	v_add_co_u32_e32 v5, vcc, s93, v5
	v_addc_co_u32_e32 v6, vcc, v1, v6, vcc
	flat_load_dword v1, v[5:6]
	s_or_b64 s[2:3], s[2:3], exec
	s_waitcnt vmcnt(0) lgkmcnt(0)
	v_xor_b32_e32 v1, 0x80000000, v1
	s_or_b64 exec, exec, s[0:1]
	s_and_saveexec_b64 s[0:1], s[2:3]
	s_cbranch_execnz .LBB112_15
	s_branch .LBB112_16
.LBB112_1109:
	v_cmp_ne_u32_e32 vcc, v0, v1
	s_and_saveexec_b64 s[8:9], vcc
	s_xor_b64 s[8:9], exec, s[8:9]
; %bb.1110:
	v_or_b32_e32 v5, v1, v0
	v_cmp_gt_u32_e32 vcc, 64, v5
	s_and_b64 s[2:3], vcc, exec
                                        ; implicit-def: $vgpr5_vgpr6
; %bb.1111:
	s_or_saveexec_b64 s[8:9], s[8:9]
	v_mov_b32_e32 v11, 0
	s_xor_b64 exec, exec, s[8:9]
	s_cbranch_execz .LBB112_1113
; %bb.1112:
	v_lshlrev_b64 v[5:6], 2, v[5:6]
	v_mov_b32_e32 v11, s94
	v_add_co_u32_e32 v5, vcc, s93, v5
	v_addc_co_u32_e32 v6, vcc, v11, v6, vcc
	flat_load_dword v5, v[5:6]
	s_or_b64 s[2:3], s[2:3], exec
	s_waitcnt vmcnt(0) lgkmcnt(0)
	v_div_scale_f32 v6, s[10:11], v5, v5, 1.0
	v_div_scale_f32 v11, vcc, 1.0, v5, 1.0
	v_rcp_f32_e32 v12, v6
	v_fma_f32 v13, -v6, v12, 1.0
	v_fmac_f32_e32 v12, v13, v12
	v_mul_f32_e32 v13, v11, v12
	v_fma_f32 v14, -v6, v13, v11
	v_fmac_f32_e32 v13, v14, v12
	v_fma_f32 v6, -v6, v13, v11
	v_div_fmas_f32 v6, v6, v12, v13
	v_div_fixup_f32 v11, v6, v5, 1.0
.LBB112_1113:
	s_or_b64 exec, exec, s[8:9]
	s_and_b64 s[2:3], s[2:3], exec
                                        ; implicit-def: $vgpr5_vgpr6
	s_andn2_saveexec_b64 s[0:1], s[0:1]
	s_cbranch_execz .LBB112_18
.LBB112_1114:
	v_lshlrev_b64 v[5:6], 2, v[5:6]
	v_mov_b32_e32 v11, s94
	v_add_co_u32_e32 v5, vcc, s93, v5
	v_addc_co_u32_e32 v6, vcc, v11, v6, vcc
	flat_load_dword v5, v[5:6]
	s_or_b64 s[2:3], s[2:3], exec
	s_waitcnt vmcnt(0) lgkmcnt(0)
	v_xor_b32_e32 v11, 0x80000000, v5
	s_or_b64 exec, exec, s[0:1]
	s_and_saveexec_b64 s[0:1], s[2:3]
	s_cbranch_execnz .LBB112_19
	s_branch .LBB112_20
.LBB112_1115:
	v_cmp_ne_u32_e32 vcc, v0, v1
	s_and_saveexec_b64 s[8:9], vcc
	s_xor_b64 s[8:9], exec, s[8:9]
; %bb.1116:
	v_or_b32_e32 v5, v1, v0
	v_cmp_gt_u32_e32 vcc, 64, v5
	s_and_b64 s[2:3], vcc, exec
                                        ; implicit-def: $vgpr5_vgpr6
; %bb.1117:
	s_or_saveexec_b64 s[8:9], s[8:9]
	v_mov_b32_e32 v11, 0
	s_xor_b64 exec, exec, s[8:9]
	s_cbranch_execz .LBB112_1119
; %bb.1118:
	v_lshlrev_b64 v[5:6], 2, v[5:6]
	v_mov_b32_e32 v11, s94
	v_add_co_u32_e32 v5, vcc, s93, v5
	v_addc_co_u32_e32 v6, vcc, v11, v6, vcc
	flat_load_dword v5, v[5:6]
	s_or_b64 s[2:3], s[2:3], exec
	s_waitcnt vmcnt(0) lgkmcnt(0)
	v_div_scale_f32 v6, s[10:11], v5, v5, 1.0
	v_div_scale_f32 v11, vcc, 1.0, v5, 1.0
	v_rcp_f32_e32 v12, v6
	v_fma_f32 v13, -v6, v12, 1.0
	v_fmac_f32_e32 v12, v13, v12
	v_mul_f32_e32 v13, v11, v12
	v_fma_f32 v14, -v6, v13, v11
	v_fmac_f32_e32 v13, v14, v12
	v_fma_f32 v6, -v6, v13, v11
	v_div_fmas_f32 v6, v6, v12, v13
	v_div_fixup_f32 v11, v6, v5, 1.0
.LBB112_1119:
	s_or_b64 exec, exec, s[8:9]
	s_and_b64 s[2:3], s[2:3], exec
                                        ; implicit-def: $vgpr5_vgpr6
	s_andn2_saveexec_b64 s[0:1], s[0:1]
	s_cbranch_execz .LBB112_22
.LBB112_1120:
	v_lshlrev_b64 v[5:6], 2, v[5:6]
	v_mov_b32_e32 v11, s94
	v_add_co_u32_e32 v5, vcc, s93, v5
	v_addc_co_u32_e32 v6, vcc, v11, v6, vcc
	flat_load_dword v5, v[5:6]
	s_or_b64 s[2:3], s[2:3], exec
	s_waitcnt vmcnt(0) lgkmcnt(0)
	v_xor_b32_e32 v11, 0x80000000, v5
	s_or_b64 exec, exec, s[0:1]
	s_and_saveexec_b64 s[0:1], s[2:3]
	s_cbranch_execnz .LBB112_23
	s_branch .LBB112_24
.LBB112_1121:
	v_cmp_ne_u32_e32 vcc, v0, v2
	s_xor_b64 s[10:11], s[0:1], -1
	s_or_b64 s[12:13], s[10:11], vcc
	s_mov_b64 s[10:11], 0
	s_and_saveexec_b64 s[14:15], s[12:13]
	s_xor_b64 s[12:13], exec, s[14:15]
; %bb.1122:
	v_or_b32_e32 v1, v2, v0
	v_cmp_gt_u32_e32 vcc, 64, v1
	s_and_b64 s[10:11], vcc, exec
                                        ; implicit-def: $vgpr5_vgpr6
; %bb.1123:
	s_or_saveexec_b64 s[12:13], s[12:13]
	v_mov_b32_e32 v1, 0
	s_xor_b64 exec, exec, s[12:13]
	s_cbranch_execz .LBB112_1125
; %bb.1124:
	v_lshlrev_b64 v[5:6], 2, v[5:6]
	v_mov_b32_e32 v1, s94
	v_add_co_u32_e32 v5, vcc, s93, v5
	v_addc_co_u32_e32 v6, vcc, v1, v6, vcc
	flat_load_dword v1, v[5:6]
	s_or_b64 s[10:11], s[10:11], exec
	s_waitcnt vmcnt(0) lgkmcnt(0)
	v_div_scale_f32 v5, s[14:15], v1, v1, 1.0
	v_div_scale_f32 v6, vcc, 1.0, v1, 1.0
	v_rcp_f32_e32 v11, v5
	v_fma_f32 v12, -v5, v11, 1.0
	v_fmac_f32_e32 v11, v12, v11
	v_mul_f32_e32 v12, v6, v11
	v_fma_f32 v13, -v5, v12, v6
	v_fmac_f32_e32 v12, v13, v11
	v_fma_f32 v5, -v5, v12, v6
	v_div_fmas_f32 v5, v5, v11, v12
	v_div_fixup_f32 v1, v5, v1, 1.0
.LBB112_1125:
	s_or_b64 exec, exec, s[12:13]
	s_and_b64 s[10:11], s[10:11], exec
                                        ; implicit-def: $vgpr5_vgpr6
	s_andn2_saveexec_b64 s[2:3], s[2:3]
	s_cbranch_execz .LBB112_36
.LBB112_1126:
	v_lshlrev_b64 v[5:6], 2, v[5:6]
	v_mov_b32_e32 v1, s94
	v_add_co_u32_e32 v5, vcc, s93, v5
	v_addc_co_u32_e32 v6, vcc, v1, v6, vcc
	flat_load_dword v1, v[5:6]
	s_or_b64 s[10:11], s[10:11], exec
	s_waitcnt vmcnt(0) lgkmcnt(0)
	v_xor_b32_e32 v1, 0x80000000, v1
	s_or_b64 exec, exec, s[2:3]
	s_and_saveexec_b64 s[2:3], s[10:11]
	s_cbranch_execnz .LBB112_37
	s_branch .LBB112_38
.LBB112_1127:
	v_cmp_ne_u32_e32 vcc, v0, v1
	s_xor_b64 s[10:11], s[0:1], -1
	s_or_b64 s[12:13], s[10:11], vcc
	s_mov_b64 s[10:11], 0
	s_and_saveexec_b64 s[14:15], s[12:13]
	s_xor_b64 s[12:13], exec, s[14:15]
; %bb.1128:
	v_or_b32_e32 v5, v1, v0
	v_cmp_gt_u32_e32 vcc, 64, v5
	s_and_b64 s[10:11], vcc, exec
                                        ; implicit-def: $vgpr5_vgpr6
; %bb.1129:
	s_or_saveexec_b64 s[12:13], s[12:13]
	v_mov_b32_e32 v11, 0
	s_xor_b64 exec, exec, s[12:13]
	s_cbranch_execz .LBB112_1131
; %bb.1130:
	v_lshlrev_b64 v[5:6], 2, v[5:6]
	v_mov_b32_e32 v11, s94
	v_add_co_u32_e32 v5, vcc, s93, v5
	v_addc_co_u32_e32 v6, vcc, v11, v6, vcc
	flat_load_dword v5, v[5:6]
	s_or_b64 s[10:11], s[10:11], exec
	s_waitcnt vmcnt(0) lgkmcnt(0)
	v_div_scale_f32 v6, s[14:15], v5, v5, 1.0
	v_div_scale_f32 v11, vcc, 1.0, v5, 1.0
	v_rcp_f32_e32 v12, v6
	v_fma_f32 v13, -v6, v12, 1.0
	v_fmac_f32_e32 v12, v13, v12
	v_mul_f32_e32 v13, v11, v12
	v_fma_f32 v14, -v6, v13, v11
	v_fmac_f32_e32 v13, v14, v12
	v_fma_f32 v6, -v6, v13, v11
	v_div_fmas_f32 v6, v6, v12, v13
	v_div_fixup_f32 v11, v6, v5, 1.0
.LBB112_1131:
	s_or_b64 exec, exec, s[12:13]
	s_and_b64 s[10:11], s[10:11], exec
                                        ; implicit-def: $vgpr5_vgpr6
	s_andn2_saveexec_b64 s[2:3], s[2:3]
	s_cbranch_execz .LBB112_40
.LBB112_1132:
	v_lshlrev_b64 v[5:6], 2, v[5:6]
	v_mov_b32_e32 v11, s94
	v_add_co_u32_e32 v5, vcc, s93, v5
	v_addc_co_u32_e32 v6, vcc, v11, v6, vcc
	flat_load_dword v5, v[5:6]
	s_or_b64 s[10:11], s[10:11], exec
	s_waitcnt vmcnt(0) lgkmcnt(0)
	v_xor_b32_e32 v11, 0x80000000, v5
	s_or_b64 exec, exec, s[2:3]
	s_and_saveexec_b64 s[2:3], s[10:11]
	s_cbranch_execnz .LBB112_41
	s_branch .LBB112_42
.LBB112_1133:
	v_cmp_ne_u32_e32 vcc, v0, v1
	s_xor_b64 s[10:11], s[0:1], -1
	s_or_b64 s[12:13], s[10:11], vcc
	s_mov_b64 s[10:11], 0
	s_and_saveexec_b64 s[14:15], s[12:13]
	s_xor_b64 s[12:13], exec, s[14:15]
; %bb.1134:
	v_or_b32_e32 v5, v1, v0
	v_cmp_gt_u32_e32 vcc, 64, v5
	s_and_b64 s[10:11], vcc, exec
                                        ; implicit-def: $vgpr5_vgpr6
; %bb.1135:
	s_or_saveexec_b64 s[12:13], s[12:13]
	v_mov_b32_e32 v11, 0
	s_xor_b64 exec, exec, s[12:13]
	s_cbranch_execz .LBB112_1137
; %bb.1136:
	v_lshlrev_b64 v[5:6], 2, v[5:6]
	v_mov_b32_e32 v11, s94
	v_add_co_u32_e32 v5, vcc, s93, v5
	v_addc_co_u32_e32 v6, vcc, v11, v6, vcc
	flat_load_dword v5, v[5:6]
	s_or_b64 s[10:11], s[10:11], exec
	s_waitcnt vmcnt(0) lgkmcnt(0)
	v_div_scale_f32 v6, s[14:15], v5, v5, 1.0
	v_div_scale_f32 v11, vcc, 1.0, v5, 1.0
	v_rcp_f32_e32 v12, v6
	v_fma_f32 v13, -v6, v12, 1.0
	v_fmac_f32_e32 v12, v13, v12
	v_mul_f32_e32 v13, v11, v12
	v_fma_f32 v14, -v6, v13, v11
	v_fmac_f32_e32 v13, v14, v12
	v_fma_f32 v6, -v6, v13, v11
	v_div_fmas_f32 v6, v6, v12, v13
	v_div_fixup_f32 v11, v6, v5, 1.0
.LBB112_1137:
	s_or_b64 exec, exec, s[12:13]
	s_and_b64 s[10:11], s[10:11], exec
                                        ; implicit-def: $vgpr5_vgpr6
	s_andn2_saveexec_b64 s[2:3], s[2:3]
	s_cbranch_execz .LBB112_44
.LBB112_1138:
	v_lshlrev_b64 v[5:6], 2, v[5:6]
	v_mov_b32_e32 v11, s94
	v_add_co_u32_e32 v5, vcc, s93, v5
	v_addc_co_u32_e32 v6, vcc, v11, v6, vcc
	flat_load_dword v5, v[5:6]
	s_or_b64 s[10:11], s[10:11], exec
	s_waitcnt vmcnt(0) lgkmcnt(0)
	v_xor_b32_e32 v11, 0x80000000, v5
	s_or_b64 exec, exec, s[2:3]
	s_and_saveexec_b64 s[2:3], s[10:11]
	s_cbranch_execnz .LBB112_45
	s_branch .LBB112_46
.LBB112_1139:
	s_or_b64 exec, exec, s[8:9]
	s_and_b64 vcc, exec, s[6:7]
	s_cbranch_vccnz .LBB112_1077
.LBB112_1140:
	v_mov_b32_e32 v5, v2
	s_and_saveexec_b64 s[0:1], s[4:5]
	s_cbranch_execnz .LBB112_1098
	s_branch .LBB112_1099
.LBB112_1141:
	s_andn2_b64 s[2:3], s[4:5], exec
	s_and_b64 s[4:5], s[0:1], exec
	s_or_b64 s[4:5], s[2:3], s[4:5]
	s_cbranch_execnz .LBB112_1097
.LBB112_1142:
	v_cmp_gt_i32_e32 vcc, s92, v0
	s_and_b64 s[0:1], s[0:1], vcc
	s_andn2_b64 s[2:3], s[4:5], exec
	s_and_b64 s[0:1], s[0:1], exec
	s_or_b64 s[4:5], s[2:3], s[0:1]
	s_and_saveexec_b64 s[0:1], s[4:5]
	s_cbranch_execnz .LBB112_1098
	s_branch .LBB112_1099
.LBB112_1143:
	ds_read_b32 v16, v15 offset:15840
	ds_read_b32 v17, v14 offset:15604
	s_waitcnt lgkmcnt(0)
	v_fmac_f32_e32 v13, v16, v17
	s_or_b64 exec, exec, s[14:15]
	v_cmp_gt_u32_e64 s[10:11], 8, v5
	s_and_saveexec_b64 s[14:15], s[10:11]
	s_cbranch_execz .LBB112_77
.LBB112_1144:
	ds_read_b32 v15, v15 offset:16096
	ds_read_b32 v14, v14 offset:15608
	s_waitcnt lgkmcnt(0)
	v_fmac_f32_e32 v13, v15, v14
	s_or_b64 exec, exec, s[14:15]
	v_cmp_gt_u32_e64 s[10:11], 4, v5
	s_and_saveexec_b64 s[14:15], s[10:11]
	s_cbranch_execnz .LBB112_78
	s_branch .LBB112_79
.LBB112_1145:
	ds_read_b32 v19, v18 offset:14784
	ds_read_b32 v20, v17 offset:14564
	s_waitcnt lgkmcnt(0)
	v_fmac_f32_e32 v16, v19, v20
	s_or_b64 exec, exec, s[16:17]
	v_cmp_gt_u32_e64 s[10:11], 48, v5
	s_and_saveexec_b64 s[16:17], s[10:11]
	s_cbranch_execz .LBB112_115
.LBB112_1146:
	ds_read_b32 v19, v18 offset:15040
	ds_read_b32 v20, v17 offset:14568
	s_waitcnt lgkmcnt(0)
	v_fmac_f32_e32 v16, v19, v20
	s_or_b64 exec, exec, s[16:17]
	v_cmp_gt_u32_e64 s[10:11], 40, v5
	s_and_saveexec_b64 s[16:17], s[10:11]
	s_cbranch_execz .LBB112_116
.LBB112_1147:
	ds_read_b32 v19, v18 offset:15296
	ds_read_b32 v20, v17 offset:14572
	s_waitcnt lgkmcnt(0)
	v_fmac_f32_e32 v16, v19, v20
	s_or_b64 exec, exec, s[16:17]
	v_cmp_gt_u32_e64 s[10:11], 32, v5
	s_and_saveexec_b64 s[16:17], s[10:11]
	s_cbranch_execz .LBB112_117
.LBB112_1148:
	ds_read_b32 v19, v18 offset:15552
	ds_read_b32 v20, v17 offset:14576
	s_waitcnt lgkmcnt(0)
	v_fmac_f32_e32 v16, v19, v20
	s_or_b64 exec, exec, s[16:17]
	v_cmp_gt_u32_e64 s[10:11], 24, v5
	s_and_saveexec_b64 s[16:17], s[10:11]
	s_cbranch_execz .LBB112_118
.LBB112_1149:
	ds_read_b32 v19, v18 offset:15808
	ds_read_b32 v20, v17 offset:14580
	s_waitcnt lgkmcnt(0)
	v_fmac_f32_e32 v16, v19, v20
	s_or_b64 exec, exec, s[16:17]
	s_and_saveexec_b64 s[10:11], s[2:3]
	s_cbranch_execz .LBB112_119
.LBB112_1150:
	ds_read_b32 v18, v18 offset:16064
	ds_read_b32 v17, v17 offset:14584
	s_waitcnt lgkmcnt(0)
	v_fmac_f32_e32 v16, v18, v17
	s_or_b64 exec, exec, s[10:11]
	v_cmp_gt_u32_e64 s[10:11], 8, v5
	s_and_saveexec_b64 s[16:17], s[10:11]
	s_cbranch_execnz .LBB112_120
	s_branch .LBB112_121
.LBB112_1151:
	ds_read_b32 v19, v18 offset:13760
	ds_read_b32 v20, v17 offset:13524
	s_waitcnt lgkmcnt(0)
	v_fmac_f32_e32 v16, v19, v20
	s_or_b64 exec, exec, s[12:13]
	v_cmp_gt_u32_e64 s[8:9], 8, v5
	s_and_saveexec_b64 s[12:13], s[8:9]
	s_cbranch_execz .LBB112_173
.LBB112_1152:
	ds_read_b32 v18, v18 offset:14016
	ds_read_b32 v17, v17 offset:13528
	s_waitcnt lgkmcnt(0)
	v_fmac_f32_e32 v16, v18, v17
	s_or_b64 exec, exec, s[12:13]
	v_cmp_gt_u32_e64 s[8:9], 4, v5
	s_and_saveexec_b64 s[12:13], s[8:9]
	s_cbranch_execnz .LBB112_174
	s_branch .LBB112_175
.LBB112_1153:
	ds_read_b32 v22, v21 offset:15232
	ds_read_b32 v23, v20 offset:12524
	s_waitcnt lgkmcnt(0)
	v_fmac_f32_e32 v19, v22, v23
	s_or_b64 exec, exec, s[18:19]
	s_and_saveexec_b64 s[12:13], s[14:15]
	s_cbranch_execz .LBB112_231
.LBB112_1154:
	ds_read_b32 v22, v21 offset:15488
	ds_read_b32 v23, v20 offset:12528
	s_waitcnt lgkmcnt(0)
	v_fmac_f32_e32 v19, v22, v23
	s_or_b64 exec, exec, s[12:13]
	v_cmp_gt_u32_e64 s[12:13], 48, v5
	s_and_saveexec_b64 s[18:19], s[12:13]
	s_cbranch_execz .LBB112_232
.LBB112_1155:
	ds_read_b32 v22, v21 offset:15744
	ds_read_b32 v23, v20 offset:12532
	s_waitcnt lgkmcnt(0)
	v_fmac_f32_e32 v19, v22, v23
	s_or_b64 exec, exec, s[18:19]
	v_cmp_gt_u32_e64 s[12:13], 32, v5
	s_and_saveexec_b64 s[18:19], s[12:13]
	s_cbranch_execz .LBB112_233
.LBB112_1156:
	ds_read_b32 v21, v21 offset:16000
	ds_read_b32 v20, v20 offset:12536
	s_waitcnt lgkmcnt(0)
	v_fmac_f32_e32 v19, v21, v20
	s_or_b64 exec, exec, s[18:19]
	v_cmp_gt_u32_e64 s[12:13], 16, v5
	s_and_saveexec_b64 s[18:19], s[12:13]
	s_cbranch_execnz .LBB112_234
	s_branch .LBB112_235
.LBB112_1157:
	ds_read_b32 v22, v21 offset:11680
	ds_read_b32 v23, v20 offset:11444
	s_waitcnt lgkmcnt(0)
	v_fmac_f32_e32 v19, v22, v23
	s_or_b64 exec, exec, s[16:17]
	v_cmp_gt_u32_e64 s[10:11], 8, v5
	s_and_saveexec_b64 s[16:17], s[10:11]
	s_cbranch_execz .LBB112_319
.LBB112_1158:
	ds_read_b32 v21, v21 offset:11936
	ds_read_b32 v20, v20 offset:11448
	s_waitcnt lgkmcnt(0)
	v_fmac_f32_e32 v19, v21, v20
	s_or_b64 exec, exec, s[16:17]
	v_cmp_gt_u32_e64 s[10:11], 4, v5
	s_and_saveexec_b64 s[16:17], s[10:11]
	s_cbranch_execnz .LBB112_320
	s_branch .LBB112_321
.LBB112_1159:
	ds_read_b32 v22, v21 offset:10624
	ds_read_b32 v23, v20 offset:10404
	s_waitcnt lgkmcnt(0)
	v_fmac_f32_e32 v19, v22, v23
	s_or_b64 exec, exec, s[16:17]
	v_cmp_gt_u32_e64 s[10:11], 48, v5
	s_and_saveexec_b64 s[16:17], s[10:11]
	s_cbranch_execz .LBB112_357
.LBB112_1160:
	ds_read_b32 v22, v21 offset:10880
	ds_read_b32 v23, v20 offset:10408
	s_waitcnt lgkmcnt(0)
	v_fmac_f32_e32 v19, v22, v23
	s_or_b64 exec, exec, s[16:17]
	v_cmp_gt_u32_e64 s[10:11], 40, v5
	s_and_saveexec_b64 s[16:17], s[10:11]
	s_cbranch_execz .LBB112_358
.LBB112_1161:
	ds_read_b32 v22, v21 offset:11136
	ds_read_b32 v23, v20 offset:10412
	s_waitcnt lgkmcnt(0)
	v_fmac_f32_e32 v19, v22, v23
	s_or_b64 exec, exec, s[16:17]
	v_cmp_gt_u32_e64 s[10:11], 32, v5
	s_and_saveexec_b64 s[16:17], s[10:11]
	s_cbranch_execz .LBB112_359
.LBB112_1162:
	ds_read_b32 v22, v21 offset:11392
	ds_read_b32 v23, v20 offset:10416
	s_waitcnt lgkmcnt(0)
	v_fmac_f32_e32 v19, v22, v23
	s_or_b64 exec, exec, s[16:17]
	v_cmp_gt_u32_e64 s[10:11], 24, v5
	s_and_saveexec_b64 s[16:17], s[10:11]
	s_cbranch_execz .LBB112_360
.LBB112_1163:
	ds_read_b32 v22, v21 offset:11648
	ds_read_b32 v23, v20 offset:10420
	s_waitcnt lgkmcnt(0)
	v_fmac_f32_e32 v19, v22, v23
	s_or_b64 exec, exec, s[16:17]
	s_and_saveexec_b64 s[10:11], s[2:3]
	s_cbranch_execz .LBB112_361
.LBB112_1164:
	ds_read_b32 v21, v21 offset:11904
	ds_read_b32 v20, v20 offset:10424
	s_waitcnt lgkmcnt(0)
	v_fmac_f32_e32 v19, v21, v20
	s_or_b64 exec, exec, s[10:11]
	v_cmp_gt_u32_e64 s[10:11], 8, v5
	s_and_saveexec_b64 s[16:17], s[10:11]
	s_cbranch_execnz .LBB112_362
	s_branch .LBB112_363
.LBB112_1165:
	ds_read_b32 v22, v21 offset:9600
	ds_read_b32 v23, v20 offset:9364
	s_waitcnt lgkmcnt(0)
	v_fmac_f32_e32 v19, v22, v23
	s_or_b64 exec, exec, s[16:17]
	v_cmp_gt_u32_e64 s[10:11], 8, v5
	s_and_saveexec_b64 s[16:17], s[10:11]
	s_cbranch_execz .LBB112_415
.LBB112_1166:
	ds_read_b32 v21, v21 offset:9856
	ds_read_b32 v20, v20 offset:9368
	s_waitcnt lgkmcnt(0)
	v_fmac_f32_e32 v19, v21, v20
	s_or_b64 exec, exec, s[16:17]
	v_cmp_gt_u32_e64 s[10:11], 4, v5
	s_and_saveexec_b64 s[16:17], s[10:11]
	s_cbranch_execnz .LBB112_416
	s_branch .LBB112_417
.LBB112_1167:
	ds_read_b32 v25, v24 offset:15616
	ds_read_b32 v26, v23 offset:8436
	s_waitcnt lgkmcnt(0)
	v_fmac_f32_e32 v21, v25, v26
	s_or_b64 exec, exec, s[90:91]
	s_and_saveexec_b64 s[16:17], s[14:15]
	s_cbranch_execz .LBB112_509
.LBB112_1168:
	ds_read_b32 v24, v24 offset:15872
	ds_read_b32 v23, v23 offset:8440
	s_waitcnt lgkmcnt(0)
	v_fmac_f32_e32 v21, v24, v23
	s_or_b64 exec, exec, s[16:17]
	v_cmp_gt_u32_e64 s[16:17], 32, v5
	s_and_saveexec_b64 s[90:91], s[16:17]
	s_cbranch_execnz .LBB112_510
	s_branch .LBB112_511
.LBB112_1169:
	ds_read_b32 v22, v21 offset:7520
	ds_read_b32 v23, v20 offset:7284
	s_waitcnt lgkmcnt(0)
	v_fmac_f32_e32 v19, v22, v23
	s_or_b64 exec, exec, s[16:17]
	v_cmp_gt_u32_e64 s[10:11], 8, v5
	s_and_saveexec_b64 s[16:17], s[10:11]
	s_cbranch_execz .LBB112_659
.LBB112_1170:
	ds_read_b32 v21, v21 offset:7776
	ds_read_b32 v20, v20 offset:7288
	s_waitcnt lgkmcnt(0)
	v_fmac_f32_e32 v19, v21, v20
	s_or_b64 exec, exec, s[16:17]
	v_cmp_gt_u32_e64 s[10:11], 4, v5
	s_and_saveexec_b64 s[16:17], s[10:11]
	s_cbranch_execnz .LBB112_660
	s_branch .LBB112_661
.LBB112_1171:
	ds_read_b32 v22, v21 offset:6464
	ds_read_b32 v23, v20 offset:6244
	s_waitcnt lgkmcnt(0)
	v_fmac_f32_e32 v19, v22, v23
	s_or_b64 exec, exec, s[16:17]
	v_cmp_gt_u32_e64 s[10:11], 48, v5
	s_and_saveexec_b64 s[16:17], s[10:11]
	s_cbranch_execz .LBB112_697
.LBB112_1172:
	ds_read_b32 v22, v21 offset:6720
	ds_read_b32 v23, v20 offset:6248
	s_waitcnt lgkmcnt(0)
	v_fmac_f32_e32 v19, v22, v23
	s_or_b64 exec, exec, s[16:17]
	v_cmp_gt_u32_e64 s[10:11], 40, v5
	s_and_saveexec_b64 s[16:17], s[10:11]
	s_cbranch_execz .LBB112_698
.LBB112_1173:
	ds_read_b32 v22, v21 offset:6976
	ds_read_b32 v23, v20 offset:6252
	s_waitcnt lgkmcnt(0)
	v_fmac_f32_e32 v19, v22, v23
	s_or_b64 exec, exec, s[16:17]
	v_cmp_gt_u32_e64 s[10:11], 32, v5
	s_and_saveexec_b64 s[16:17], s[10:11]
	s_cbranch_execz .LBB112_699
.LBB112_1174:
	ds_read_b32 v22, v21 offset:7232
	ds_read_b32 v23, v20 offset:6256
	s_waitcnt lgkmcnt(0)
	v_fmac_f32_e32 v19, v22, v23
	s_or_b64 exec, exec, s[16:17]
	v_cmp_gt_u32_e64 s[10:11], 24, v5
	s_and_saveexec_b64 s[16:17], s[10:11]
	s_cbranch_execz .LBB112_700
.LBB112_1175:
	ds_read_b32 v22, v21 offset:7488
	ds_read_b32 v23, v20 offset:6260
	s_waitcnt lgkmcnt(0)
	v_fmac_f32_e32 v19, v22, v23
	s_or_b64 exec, exec, s[16:17]
	s_and_saveexec_b64 s[10:11], s[2:3]
	s_cbranch_execz .LBB112_701
.LBB112_1176:
	ds_read_b32 v21, v21 offset:7744
	ds_read_b32 v20, v20 offset:6264
	s_waitcnt lgkmcnt(0)
	v_fmac_f32_e32 v19, v21, v20
	s_or_b64 exec, exec, s[10:11]
	v_cmp_gt_u32_e64 s[10:11], 8, v5
	s_and_saveexec_b64 s[16:17], s[10:11]
	s_cbranch_execnz .LBB112_702
	s_branch .LBB112_703
.LBB112_1177:
	ds_read_b32 v22, v21 offset:5440
	ds_read_b32 v23, v20 offset:5204
	s_waitcnt lgkmcnt(0)
	v_fmac_f32_e32 v19, v22, v23
	s_or_b64 exec, exec, s[16:17]
	v_cmp_gt_u32_e64 s[10:11], 8, v5
	s_and_saveexec_b64 s[16:17], s[10:11]
	s_cbranch_execz .LBB112_755
.LBB112_1178:
	ds_read_b32 v21, v21 offset:5696
	ds_read_b32 v20, v20 offset:5208
	s_waitcnt lgkmcnt(0)
	v_fmac_f32_e32 v19, v21, v20
	s_or_b64 exec, exec, s[16:17]
	v_cmp_gt_u32_e64 s[10:11], 4, v5
	s_and_saveexec_b64 s[16:17], s[10:11]
	s_cbranch_execnz .LBB112_756
	s_branch .LBB112_757
.LBB112_1179:
	ds_read_b32 v22, v21 offset:6912
	ds_read_b32 v23, v20 offset:4204
	s_waitcnt lgkmcnt(0)
	v_fmac_f32_e32 v19, v22, v23
	s_or_b64 exec, exec, s[16:17]
	s_and_saveexec_b64 s[10:11], s[14:15]
	s_cbranch_execz .LBB112_813
.LBB112_1180:
	ds_read_b32 v22, v21 offset:7168
	ds_read_b32 v23, v20 offset:4208
	s_waitcnt lgkmcnt(0)
	v_fmac_f32_e32 v19, v22, v23
	s_or_b64 exec, exec, s[10:11]
	v_cmp_gt_u32_e64 s[10:11], 48, v5
	s_and_saveexec_b64 s[16:17], s[10:11]
	s_cbranch_execz .LBB112_814
.LBB112_1181:
	ds_read_b32 v22, v21 offset:7424
	ds_read_b32 v23, v20 offset:4212
	s_waitcnt lgkmcnt(0)
	v_fmac_f32_e32 v19, v22, v23
	s_or_b64 exec, exec, s[16:17]
	v_cmp_gt_u32_e64 s[10:11], 32, v5
	s_and_saveexec_b64 s[16:17], s[10:11]
	s_cbranch_execz .LBB112_815
.LBB112_1182:
	ds_read_b32 v21, v21 offset:7680
	ds_read_b32 v20, v20 offset:4216
	s_waitcnt lgkmcnt(0)
	v_fmac_f32_e32 v19, v21, v20
	s_or_b64 exec, exec, s[16:17]
	v_cmp_gt_u32_e64 s[10:11], 16, v5
	s_and_saveexec_b64 s[16:17], s[10:11]
	s_cbranch_execnz .LBB112_816
	s_branch .LBB112_817
.LBB112_1183:
	ds_read_b32 v19, v18 offset:3360
	ds_read_b32 v20, v17 offset:3124
	s_waitcnt lgkmcnt(0)
	v_fmac_f32_e32 v16, v19, v20
	s_or_b64 exec, exec, s[12:13]
	v_cmp_gt_u32_e64 s[8:9], 8, v5
	s_and_saveexec_b64 s[12:13], s[8:9]
	s_cbranch_execz .LBB112_901
.LBB112_1184:
	ds_read_b32 v18, v18 offset:3616
	ds_read_b32 v17, v17 offset:3128
	s_waitcnt lgkmcnt(0)
	v_fmac_f32_e32 v16, v18, v17
	s_or_b64 exec, exec, s[12:13]
	v_cmp_gt_u32_e64 s[8:9], 4, v5
	s_and_saveexec_b64 s[12:13], s[8:9]
	s_cbranch_execnz .LBB112_902
	s_branch .LBB112_903
.LBB112_1185:
	ds_read_b32 v19, v18 offset:2304
	ds_read_b32 v20, v17 offset:2084
	s_waitcnt lgkmcnt(0)
	v_fmac_f32_e32 v16, v19, v20
	s_or_b64 exec, exec, s[12:13]
	v_cmp_gt_u32_e64 s[8:9], 48, v5
	s_and_saveexec_b64 s[12:13], s[8:9]
	s_cbranch_execz .LBB112_939
.LBB112_1186:
	ds_read_b32 v19, v18 offset:2560
	ds_read_b32 v20, v17 offset:2088
	s_waitcnt lgkmcnt(0)
	v_fmac_f32_e32 v16, v19, v20
	s_or_b64 exec, exec, s[12:13]
	v_cmp_gt_u32_e64 s[8:9], 40, v5
	s_and_saveexec_b64 s[12:13], s[8:9]
	s_cbranch_execz .LBB112_940
.LBB112_1187:
	ds_read_b32 v19, v18 offset:2816
	ds_read_b32 v20, v17 offset:2092
	s_waitcnt lgkmcnt(0)
	v_fmac_f32_e32 v16, v19, v20
	s_or_b64 exec, exec, s[12:13]
	v_cmp_gt_u32_e64 s[8:9], 32, v5
	s_and_saveexec_b64 s[12:13], s[8:9]
	s_cbranch_execz .LBB112_941
.LBB112_1188:
	ds_read_b32 v19, v18 offset:3072
	ds_read_b32 v20, v17 offset:2096
	s_waitcnt lgkmcnt(0)
	v_fmac_f32_e32 v16, v19, v20
	s_or_b64 exec, exec, s[12:13]
	v_cmp_gt_u32_e64 s[8:9], 24, v5
	s_and_saveexec_b64 s[12:13], s[8:9]
	s_cbranch_execz .LBB112_942
.LBB112_1189:
	ds_read_b32 v19, v18 offset:3328
	ds_read_b32 v20, v17 offset:2100
	s_waitcnt lgkmcnt(0)
	v_fmac_f32_e32 v16, v19, v20
	s_or_b64 exec, exec, s[12:13]
	s_and_saveexec_b64 s[8:9], s[2:3]
	s_cbranch_execz .LBB112_943
.LBB112_1190:
	ds_read_b32 v18, v18 offset:3584
	ds_read_b32 v17, v17 offset:2104
	s_waitcnt lgkmcnt(0)
	v_fmac_f32_e32 v16, v18, v17
	s_or_b64 exec, exec, s[8:9]
	v_cmp_gt_u32_e64 s[8:9], 8, v5
	s_and_saveexec_b64 s[12:13], s[8:9]
	s_cbranch_execnz .LBB112_944
	s_branch .LBB112_945
.LBB112_1191:
	ds_read_b32 v16, v15 offset:1280
	ds_read_b32 v17, v14 offset:1044
	s_waitcnt lgkmcnt(0)
	v_fmac_f32_e32 v13, v16, v17
	s_or_b64 exec, exec, s[12:13]
	v_cmp_gt_u32_e64 s[8:9], 8, v5
	s_and_saveexec_b64 s[12:13], s[8:9]
	s_cbranch_execz .LBB112_997
.LBB112_1192:
	ds_read_b32 v15, v15 offset:1536
	ds_read_b32 v14, v14 offset:1048
	s_waitcnt lgkmcnt(0)
	v_fmac_f32_e32 v13, v15, v14
	s_or_b64 exec, exec, s[12:13]
	v_cmp_gt_u32_e64 s[8:9], 4, v5
	s_and_saveexec_b64 s[12:13], s[8:9]
	s_cbranch_execnz .LBB112_998
	s_branch .LBB112_999
	.section	.rodata,"a",@progbits
	.p2align	6, 0x0
	.amdhsa_kernel _ZL19rocblas_trsv_deviceILi64ELi16ELb0ELb0ELb0ELb0EffPKPKfPKPfEviT7_lllT6_T8_lllPii
		.amdhsa_group_segment_fixed_size 20740
		.amdhsa_private_segment_fixed_size 0
		.amdhsa_kernarg_size 352
		.amdhsa_user_sgpr_count 6
		.amdhsa_user_sgpr_private_segment_buffer 1
		.amdhsa_user_sgpr_dispatch_ptr 0
		.amdhsa_user_sgpr_queue_ptr 0
		.amdhsa_user_sgpr_kernarg_segment_ptr 1
		.amdhsa_user_sgpr_dispatch_id 0
		.amdhsa_user_sgpr_flat_scratch_init 0
		.amdhsa_user_sgpr_private_segment_size 0
		.amdhsa_uses_dynamic_stack 0
		.amdhsa_system_sgpr_private_segment_wavefront_offset 0
		.amdhsa_system_sgpr_workgroup_id_x 1
		.amdhsa_system_sgpr_workgroup_id_y 0
		.amdhsa_system_sgpr_workgroup_id_z 1
		.amdhsa_system_sgpr_workgroup_info 0
		.amdhsa_system_vgpr_workitem_id 1
		.amdhsa_next_free_vgpr 29
		.amdhsa_next_free_sgpr 96
		.amdhsa_reserve_vcc 1
		.amdhsa_reserve_flat_scratch 0
		.amdhsa_float_round_mode_32 0
		.amdhsa_float_round_mode_16_64 0
		.amdhsa_float_denorm_mode_32 3
		.amdhsa_float_denorm_mode_16_64 3
		.amdhsa_dx10_clamp 1
		.amdhsa_ieee_mode 1
		.amdhsa_fp16_overflow 0
		.amdhsa_exception_fp_ieee_invalid_op 0
		.amdhsa_exception_fp_denorm_src 0
		.amdhsa_exception_fp_ieee_div_zero 0
		.amdhsa_exception_fp_ieee_overflow 0
		.amdhsa_exception_fp_ieee_underflow 0
		.amdhsa_exception_fp_ieee_inexact 0
		.amdhsa_exception_int_div_zero 0
	.end_amdhsa_kernel
	.section	.text._ZL19rocblas_trsv_deviceILi64ELi16ELb0ELb0ELb0ELb0EffPKPKfPKPfEviT7_lllT6_T8_lllPii,"axG",@progbits,_ZL19rocblas_trsv_deviceILi64ELi16ELb0ELb0ELb0ELb0EffPKPKfPKPfEviT7_lllT6_T8_lllPii,comdat
.Lfunc_end112:
	.size	_ZL19rocblas_trsv_deviceILi64ELi16ELb0ELb0ELb0ELb0EffPKPKfPKPfEviT7_lllT6_T8_lllPii, .Lfunc_end112-_ZL19rocblas_trsv_deviceILi64ELi16ELb0ELb0ELb0ELb0EffPKPKfPKPfEviT7_lllT6_T8_lllPii
                                        ; -- End function
	.set _ZL19rocblas_trsv_deviceILi64ELi16ELb0ELb0ELb0ELb0EffPKPKfPKPfEviT7_lllT6_T8_lllPii.num_vgpr, 28
	.set _ZL19rocblas_trsv_deviceILi64ELi16ELb0ELb0ELb0ELb0EffPKPKfPKPfEviT7_lllT6_T8_lllPii.num_agpr, 0
	.set _ZL19rocblas_trsv_deviceILi64ELi16ELb0ELb0ELb0ELb0EffPKPKfPKPfEviT7_lllT6_T8_lllPii.numbered_sgpr, 96
	.set _ZL19rocblas_trsv_deviceILi64ELi16ELb0ELb0ELb0ELb0EffPKPKfPKPfEviT7_lllT6_T8_lllPii.num_named_barrier, 0
	.set _ZL19rocblas_trsv_deviceILi64ELi16ELb0ELb0ELb0ELb0EffPKPKfPKPfEviT7_lllT6_T8_lllPii.private_seg_size, 0
	.set _ZL19rocblas_trsv_deviceILi64ELi16ELb0ELb0ELb0ELb0EffPKPKfPKPfEviT7_lllT6_T8_lllPii.uses_vcc, 1
	.set _ZL19rocblas_trsv_deviceILi64ELi16ELb0ELb0ELb0ELb0EffPKPKfPKPfEviT7_lllT6_T8_lllPii.uses_flat_scratch, 0
	.set _ZL19rocblas_trsv_deviceILi64ELi16ELb0ELb0ELb0ELb0EffPKPKfPKPfEviT7_lllT6_T8_lllPii.has_dyn_sized_stack, 0
	.set _ZL19rocblas_trsv_deviceILi64ELi16ELb0ELb0ELb0ELb0EffPKPKfPKPfEviT7_lllT6_T8_lllPii.has_recursion, 0
	.set _ZL19rocblas_trsv_deviceILi64ELi16ELb0ELb0ELb0ELb0EffPKPKfPKPfEviT7_lllT6_T8_lllPii.has_indirect_call, 0
	.section	.AMDGPU.csdata,"",@progbits
; Kernel info:
; codeLenInByte = 35828
; TotalNumSgprs: 100
; NumVgprs: 28
; ScratchSize: 0
; MemoryBound: 0
; FloatMode: 240
; IeeeMode: 1
; LDSByteSize: 20740 bytes/workgroup (compile time only)
; SGPRBlocks: 12
; VGPRBlocks: 7
; NumSGPRsForWavesPerEU: 100
; NumVGPRsForWavesPerEU: 29
; Occupancy: 8
; WaveLimiterHint : 1
; COMPUTE_PGM_RSRC2:SCRATCH_EN: 0
; COMPUTE_PGM_RSRC2:USER_SGPR: 6
; COMPUTE_PGM_RSRC2:TRAP_HANDLER: 0
; COMPUTE_PGM_RSRC2:TGID_X_EN: 1
; COMPUTE_PGM_RSRC2:TGID_Y_EN: 0
; COMPUTE_PGM_RSRC2:TGID_Z_EN: 1
; COMPUTE_PGM_RSRC2:TIDIG_COMP_CNT: 1
	.section	.text._ZL19rocblas_trsv_deviceILi64ELi16ELb0ELb1ELb0ELb0EffPKPKfPKPfEviT7_lllT6_T8_lllPii,"axG",@progbits,_ZL19rocblas_trsv_deviceILi64ELi16ELb0ELb1ELb0ELb0EffPKPKfPKPfEviT7_lllT6_T8_lllPii,comdat
	.globl	_ZL19rocblas_trsv_deviceILi64ELi16ELb0ELb1ELb0ELb0EffPKPKfPKPfEviT7_lllT6_T8_lllPii ; -- Begin function _ZL19rocblas_trsv_deviceILi64ELi16ELb0ELb1ELb0ELb0EffPKPKfPKPfEviT7_lllT6_T8_lllPii
	.p2align	8
	.type	_ZL19rocblas_trsv_deviceILi64ELi16ELb0ELb1ELb0ELb0EffPKPKfPKPfEviT7_lllT6_T8_lllPii,@function
_ZL19rocblas_trsv_deviceILi64ELi16ELb0ELb1ELb0ELb0EffPKPKfPKPfEviT7_lllT6_T8_lllPii: ; @_ZL19rocblas_trsv_deviceILi64ELi16ELb0ELb1ELb0ELb0EffPKPKfPKPfEviT7_lllT6_T8_lllPii
; %bb.0:
	s_load_dwordx4 s[0:3], s[4:5], 0x8
	s_mov_b32 s24, s7
	s_mov_b32 s25, 0
	s_lshl_b64 s[8:9], s[24:25], 3
	v_mov_b32_e32 v2, v1
	s_waitcnt lgkmcnt(0)
	s_add_u32 s0, s0, s8
	s_addc_u32 s1, s1, s9
	s_load_dwordx2 s[10:11], s[0:1], 0x0
	s_load_dword s7, s[4:5], 0x0
	s_load_dwordx4 s[12:15], s[4:5], 0x30
	s_load_dwordx2 s[30:31], s[4:5], 0x18
	s_lshl_b64 s[0:1], s[2:3], 2
	s_waitcnt lgkmcnt(0)
	s_add_u32 s89, s10, s0
	s_addc_u32 s90, s11, s1
	s_add_u32 s0, s12, s8
	s_addc_u32 s1, s13, s9
	s_load_dwordx2 s[34:35], s[0:1], 0x0
	s_load_dwordx2 s[26:27], s[4:5], 0x40
	s_load_dword s91, s[4:5], 0x6c
	s_cmp_eq_u32 s6, 0
	s_cbranch_scc1 .LBB113_10
; %bb.1:
	s_lshl_b32 s33, s6, 6
	v_add_u32_e32 v1, s33, v0
	v_ashrrev_i32_e32 v3, 31, v1
	v_mul_lo_u32 v7, s30, v3
	v_mul_lo_u32 v8, s31, v1
	v_mad_u64_u32 v[5:6], s[0:1], s30, v1, 0
	v_add_u32_e32 v3, s33, v2
	v_subrev_u32_e32 v3, 64, v3
	v_add3_u32 v6, v6, v7, v8
	v_lshlrev_b64 v[5:6], 2, v[5:6]
	v_ashrrev_i32_e32 v4, 31, v3
	v_cmp_gt_i32_e32 vcc, s7, v1
	v_mov_b32_e32 v1, s90
	v_add_co_u32_e64 v7, s[0:1], s89, v5
	v_lshlrev_b64 v[4:5], 2, v[3:4]
	v_addc_co_u32_e64 v1, s[0:1], v1, v6, s[0:1]
	v_add_co_u32_e64 v4, s[0:1], v7, v4
	v_addc_co_u32_e64 v5, s[0:1], v1, v5, s[0:1]
	v_cmp_gt_i32_e64 s[0:1], s7, v3
	s_and_b64 s[2:3], s[0:1], vcc
	v_mov_b32_e32 v7, 0
	v_mov_b32_e32 v8, 0
	s_waitcnt lgkmcnt(0)
	s_barrier
	s_and_saveexec_b64 s[0:1], s[2:3]
	s_cbranch_execz .LBB113_3
; %bb.2:
	flat_load_dword v8, v[4:5]
.LBB113_3:
	s_or_b64 exec, exec, s[0:1]
	v_add_u32_e32 v1, 16, v3
	v_cmp_gt_i32_e64 s[0:1], s7, v1
	s_and_b64 s[2:3], s[0:1], vcc
	s_waitcnt vmcnt(0) lgkmcnt(0)
	s_barrier
	s_and_saveexec_b64 s[0:1], s[2:3]
	s_cbranch_execz .LBB113_5
; %bb.4:
	flat_load_dword v7, v[4:5] offset:64
.LBB113_5:
	s_or_b64 exec, exec, s[0:1]
	v_add_u32_e32 v1, 32, v3
	v_cmp_gt_i32_e64 s[0:1], s7, v1
	s_and_b64 s[2:3], s[0:1], vcc
	v_mov_b32_e32 v9, 0
	v_mov_b32_e32 v10, 0
	s_waitcnt vmcnt(0) lgkmcnt(0)
	s_barrier
	s_and_saveexec_b64 s[0:1], s[2:3]
	s_cbranch_execz .LBB113_7
; %bb.6:
	flat_load_dword v10, v[4:5] offset:128
.LBB113_7:
	s_or_b64 exec, exec, s[0:1]
	v_add_u32_e32 v1, 48, v3
	v_cmp_gt_i32_e64 s[0:1], s7, v1
	s_and_b64 s[2:3], s[0:1], vcc
	s_waitcnt vmcnt(0) lgkmcnt(0)
	s_barrier
	s_and_saveexec_b64 s[0:1], s[2:3]
	s_cbranch_execz .LBB113_9
; %bb.8:
	flat_load_dword v9, v[4:5] offset:192
.LBB113_9:
	s_or_b64 exec, exec, s[0:1]
	s_branch .LBB113_11
.LBB113_10:
                                        ; implicit-def: $vgpr9
                                        ; implicit-def: $vgpr10
                                        ; implicit-def: $vgpr7
                                        ; implicit-def: $vgpr8
	s_mov_b32 s33, s25
.LBB113_11:
	s_ashr_i32 s0, s7, 31
	s_lshr_b32 s0, s0, 26
	s_add_i32 s0, s7, s0
	s_andn2_b32 s0, s0, 63
	s_sub_i32 s88, s7, s0
	s_add_i32 s0, s7, -1
	s_ashr_i32 s1, s0, 31
	s_lshr_b32 s1, s1, 26
	s_add_i32 s0, s0, s1
	s_ashr_i32 s0, s0, 6
	s_cmp_eq_u32 s0, s6
	s_cselect_b64 s[0:1], -1, 0
	s_cmp_lg_u32 s88, 0
	s_cselect_b64 s[2:3], -1, 0
	s_and_b64 s[28:29], s[2:3], s[0:1]
	s_cmp_lt_i32 s6, 5
	s_cselect_b64 s[2:3], -1, 0
	s_or_b64 s[0:1], s[2:3], s[28:29]
	s_ashr_i32 s44, s33, 31
	s_add_u32 s10, s30, 1
	v_mov_b32_e32 v1, 0
	v_mov_b32_e32 v3, s33
	v_mad_u64_u32 v[3:4], s[8:9], s10, v3, v[0:1]
	s_addc_u32 s11, s31, 0
	s_mul_i32 s8, s10, s44
	s_mul_i32 s11, s11, s33
	s_add_i32 s8, s8, s11
	s_mov_b64 s[12:13], -1
	v_lshlrev_b32_e32 v11, 6, v0
	v_add_u32_e32 v4, s8, v4
	s_and_b64 vcc, exec, s[28:29]
	v_cmp_le_u32_e64 s[8:9], v2, v0
	s_cbranch_vccnz .LBB113_33
; %bb.12:
	v_mad_u64_u32 v[5:6], s[10:11], s30, v2, v[3:4]
	v_mov_b32_e32 v1, v6
	v_mad_u64_u32 v[12:13], s[10:11], s31, v2, v[1:2]
	s_mov_b64 s[10:11], 0
                                        ; implicit-def: $vgpr1
	v_mov_b32_e32 v6, v12
	s_and_saveexec_b64 s[12:13], s[8:9]
	s_xor_b64 s[8:9], exec, s[12:13]
	s_cbranch_execnz .LBB113_1159
; %bb.13:
	s_andn2_saveexec_b64 s[8:9], s[8:9]
	s_cbranch_execnz .LBB113_1164
.LBB113_14:
	s_or_b64 exec, exec, s[8:9]
	s_and_saveexec_b64 s[8:9], s[10:11]
.LBB113_15:
	v_add_u32_e32 v5, v2, v11
	v_lshl_add_u32 v6, v2, 6, v0
	v_cndmask_b32_e64 v5, v6, v5, s[2:3]
	v_lshlrev_b32_e32 v5, 2, v5
	ds_write_b32 v5, v1
.LBB113_16:
	s_or_b64 exec, exec, s[8:9]
	v_add_u32_e32 v1, 16, v2
	v_mad_u64_u32 v[5:6], s[2:3], s30, v1, v[3:4]
	v_cmp_le_u32_e32 vcc, v1, v0
	s_mov_b64 s[8:9], 0
	v_mad_u64_u32 v[12:13], s[2:3], s31, v1, v[6:7]
	v_mov_b32_e32 v6, v12
                                        ; implicit-def: $vgpr12
	s_and_saveexec_b64 s[2:3], vcc
	s_xor_b64 s[2:3], exec, s[2:3]
	s_cbranch_execnz .LBB113_1165
; %bb.17:
	s_andn2_saveexec_b64 s[2:3], s[2:3]
	s_cbranch_execnz .LBB113_1170
.LBB113_18:
	s_or_b64 exec, exec, s[2:3]
	s_and_saveexec_b64 s[2:3], s[8:9]
.LBB113_19:
	v_add_u32_e32 v5, v1, v11
	v_lshl_add_u32 v1, v1, 6, v0
	v_cndmask_b32_e64 v1, v1, v5, s[0:1]
	v_lshlrev_b32_e32 v1, 2, v1
	ds_write_b32 v1, v12
.LBB113_20:
	s_or_b64 exec, exec, s[2:3]
	v_add_u32_e32 v1, 32, v2
	v_mad_u64_u32 v[5:6], s[2:3], s30, v1, v[3:4]
	v_cmp_le_u32_e32 vcc, v1, v0
	s_mov_b64 s[8:9], 0
	v_mad_u64_u32 v[12:13], s[2:3], s31, v1, v[6:7]
	v_mov_b32_e32 v6, v12
                                        ; implicit-def: $vgpr12
	s_and_saveexec_b64 s[2:3], vcc
	s_xor_b64 s[2:3], exec, s[2:3]
	s_cbranch_execnz .LBB113_1171
; %bb.21:
	s_andn2_saveexec_b64 s[2:3], s[2:3]
	s_cbranch_execnz .LBB113_1176
.LBB113_22:
	s_or_b64 exec, exec, s[2:3]
	s_and_saveexec_b64 s[2:3], s[8:9]
.LBB113_23:
	v_add_u32_e32 v5, v1, v11
	v_lshl_add_u32 v1, v1, 6, v0
	v_cndmask_b32_e64 v1, v1, v5, s[0:1]
	v_lshlrev_b32_e32 v1, 2, v1
	ds_write_b32 v1, v12
.LBB113_24:
	s_or_b64 exec, exec, s[2:3]
	v_add_u32_e32 v12, 48, v2
	v_mad_u64_u32 v[5:6], s[2:3], s30, v12, v[3:4]
	v_cmp_le_u32_e32 vcc, v12, v0
	s_mov_b64 s[10:11], 0
	v_mov_b32_e32 v1, v6
	v_mad_u64_u32 v[13:14], s[2:3], s31, v12, v[1:2]
                                        ; implicit-def: $vgpr1
	v_mov_b32_e32 v6, v13
	s_and_saveexec_b64 s[2:3], vcc
	s_xor_b64 s[2:3], exec, s[2:3]
	s_cbranch_execz .LBB113_30
; %bb.25:
	v_cmp_ne_u32_e32 vcc, v0, v12
	s_mov_b64 s[8:9], 0
	s_and_saveexec_b64 s[10:11], vcc
	s_xor_b64 s[10:11], exec, s[10:11]
; %bb.26:
	v_or_b32_e32 v1, v12, v0
	v_cmp_gt_u32_e32 vcc, 64, v1
	s_and_b64 s[8:9], vcc, exec
                                        ; implicit-def: $vgpr5_vgpr6
; %bb.27:
	s_or_saveexec_b64 s[10:11], s[10:11]
	v_mov_b32_e32 v1, 0
	s_xor_b64 exec, exec, s[10:11]
	s_cbranch_execz .LBB113_29
; %bb.28:
	v_lshlrev_b64 v[5:6], 2, v[5:6]
	v_mov_b32_e32 v1, s90
	v_add_co_u32_e32 v5, vcc, s89, v5
	v_addc_co_u32_e32 v6, vcc, v1, v6, vcc
	flat_load_dword v1, v[5:6]
	s_or_b64 s[8:9], s[8:9], exec
	s_waitcnt vmcnt(0) lgkmcnt(0)
	v_div_scale_f32 v5, s[12:13], v1, v1, 1.0
	v_div_scale_f32 v6, vcc, 1.0, v1, 1.0
	v_rcp_f32_e32 v13, v5
	v_fma_f32 v14, -v5, v13, 1.0
	v_fmac_f32_e32 v13, v14, v13
	v_mul_f32_e32 v14, v6, v13
	v_fma_f32 v15, -v5, v14, v6
	v_fmac_f32_e32 v14, v15, v13
	v_fma_f32 v5, -v5, v14, v6
	v_div_fmas_f32 v5, v5, v13, v14
	v_div_fixup_f32 v1, v5, v1, 1.0
.LBB113_29:
	s_or_b64 exec, exec, s[10:11]
	s_and_b64 s[10:11], s[8:9], exec
                                        ; implicit-def: $vgpr5_vgpr6
.LBB113_30:
	s_or_saveexec_b64 s[2:3], s[2:3]
	v_add_u32_e32 v13, v12, v11
	v_lshl_add_u32 v12, v12, 6, v0
	s_xor_b64 exec, exec, s[2:3]
	s_cbranch_execz .LBB113_32
; %bb.31:
	v_lshlrev_b64 v[5:6], 2, v[5:6]
	v_mov_b32_e32 v1, s90
	v_add_co_u32_e32 v5, vcc, s89, v5
	v_addc_co_u32_e32 v6, vcc, v1, v6, vcc
	flat_load_dword v1, v[5:6]
	s_or_b64 s[10:11], s[10:11], exec
	s_waitcnt vmcnt(0) lgkmcnt(0)
	v_xor_b32_e32 v1, 0x80000000, v1
.LBB113_32:
	s_or_b64 exec, exec, s[2:3]
	v_cndmask_b32_e64 v5, v12, v13, s[0:1]
	s_branch .LBB113_55
.LBB113_33:
	s_mov_b64 s[10:11], 0
                                        ; implicit-def: $vgpr1
                                        ; implicit-def: $vgpr5
	s_and_b64 vcc, exec, s[12:13]
	s_cbranch_vccz .LBB113_55
; %bb.34:
	v_mad_u64_u32 v[5:6], s[2:3], s30, v2, v[3:4]
	v_cmp_le_u32_e32 vcc, v2, v0
	v_cmp_gt_i32_e64 s[2:3], s88, v0
	v_mov_b32_e32 v1, v6
	v_mad_u64_u32 v[12:13], s[8:9], s31, v2, v[1:2]
	v_max_i32_e32 v1, v2, v0
	v_cmp_le_i32_e64 s[8:9], s88, v1
	v_mov_b32_e32 v6, v12
	s_or_b64 s[8:9], s[8:9], vcc
	s_mov_b64 s[12:13], 0
                                        ; implicit-def: $vgpr1
	s_and_saveexec_b64 s[14:15], s[8:9]
	s_xor_b64 s[8:9], exec, s[14:15]
	s_cbranch_execnz .LBB113_1177
; %bb.35:
	s_andn2_saveexec_b64 s[8:9], s[8:9]
	s_cbranch_execnz .LBB113_1182
.LBB113_36:
	s_or_b64 exec, exec, s[8:9]
	s_and_saveexec_b64 s[8:9], s[12:13]
.LBB113_37:
	v_lshlrev_b32_e32 v5, 2, v11
	v_lshl_add_u32 v5, v2, 2, v5
	ds_write_b32 v5, v1
.LBB113_38:
	s_or_b64 exec, exec, s[8:9]
	v_add_u32_e32 v1, 16, v2
	v_mad_u64_u32 v[5:6], s[8:9], s30, v1, v[3:4]
	v_cmp_gt_u32_e32 vcc, v1, v0
	s_mov_b64 s[12:13], 0
	v_mad_u64_u32 v[12:13], s[8:9], s31, v1, v[6:7]
	v_cmp_gt_i32_e64 s[8:9], s88, v1
	s_and_b64 s[8:9], vcc, s[8:9]
	s_and_b64 s[8:9], s[2:3], s[8:9]
	v_mov_b32_e32 v6, v12
	s_xor_b64 s[8:9], s[8:9], -1
                                        ; implicit-def: $vgpr12
	s_and_saveexec_b64 s[14:15], s[8:9]
	s_xor_b64 s[8:9], exec, s[14:15]
	s_cbranch_execnz .LBB113_1183
; %bb.39:
	s_andn2_saveexec_b64 s[8:9], s[8:9]
	s_cbranch_execnz .LBB113_1188
.LBB113_40:
	s_or_b64 exec, exec, s[8:9]
	s_and_saveexec_b64 s[8:9], s[12:13]
.LBB113_41:
	v_add_u32_e32 v5, v1, v11
	v_lshl_add_u32 v1, v1, 6, v0
	v_cndmask_b32_e64 v1, v1, v5, s[0:1]
	v_lshlrev_b32_e32 v1, 2, v1
	ds_write_b32 v1, v12
.LBB113_42:
	s_or_b64 exec, exec, s[8:9]
	v_add_u32_e32 v1, 32, v2
	v_mad_u64_u32 v[5:6], s[8:9], s30, v1, v[3:4]
	v_cmp_gt_u32_e32 vcc, v1, v0
	s_mov_b64 s[12:13], 0
	v_mad_u64_u32 v[12:13], s[8:9], s31, v1, v[6:7]
	v_cmp_gt_i32_e64 s[8:9], s88, v1
	s_and_b64 s[8:9], vcc, s[8:9]
	s_and_b64 s[8:9], s[2:3], s[8:9]
	v_mov_b32_e32 v6, v12
	s_xor_b64 s[8:9], s[8:9], -1
                                        ; implicit-def: $vgpr12
	s_and_saveexec_b64 s[14:15], s[8:9]
	s_xor_b64 s[8:9], exec, s[14:15]
	s_cbranch_execnz .LBB113_1189
; %bb.43:
	s_andn2_saveexec_b64 s[8:9], s[8:9]
	s_cbranch_execnz .LBB113_1194
.LBB113_44:
	s_or_b64 exec, exec, s[8:9]
	s_and_saveexec_b64 s[8:9], s[12:13]
.LBB113_45:
	v_add_u32_e32 v5, v1, v11
	v_lshl_add_u32 v1, v1, 6, v0
	v_cndmask_b32_e64 v1, v1, v5, s[0:1]
	v_lshlrev_b32_e32 v1, 2, v1
	ds_write_b32 v1, v12
.LBB113_46:
	s_or_b64 exec, exec, s[8:9]
	v_add_u32_e32 v5, 48, v2
	v_mad_u64_u32 v[3:4], s[8:9], s30, v5, v[3:4]
	v_cmp_gt_u32_e32 vcc, v5, v0
	v_mov_b32_e32 v1, v4
	v_mad_u64_u32 v[12:13], s[8:9], s31, v5, v[1:2]
	v_cmp_gt_i32_e64 s[8:9], s88, v5
	s_and_b64 s[8:9], vcc, s[8:9]
	s_and_b64 s[8:9], s[2:3], s[8:9]
	v_mov_b32_e32 v4, v12
	s_xor_b64 s[8:9], s[8:9], -1
                                        ; implicit-def: $vgpr1
	s_and_saveexec_b64 s[12:13], s[8:9]
	s_xor_b64 s[8:9], exec, s[12:13]
	s_cbranch_execz .LBB113_52
; %bb.47:
	v_cmp_ne_u32_e32 vcc, v0, v5
	s_xor_b64 s[2:3], s[2:3], -1
	s_or_b64 s[12:13], s[2:3], vcc
	s_mov_b64 s[2:3], s[10:11]
	s_and_saveexec_b64 s[14:15], s[12:13]
	s_xor_b64 s[12:13], exec, s[14:15]
; %bb.48:
	v_or_b32_e32 v1, v5, v0
	v_cmp_gt_u32_e32 vcc, 64, v1
	s_andn2_b64 s[2:3], s[10:11], exec
	s_and_b64 s[14:15], vcc, exec
	s_or_b64 s[2:3], s[2:3], s[14:15]
                                        ; implicit-def: $vgpr3_vgpr4
; %bb.49:
	s_or_saveexec_b64 s[12:13], s[12:13]
	v_mov_b32_e32 v1, 0
	s_xor_b64 exec, exec, s[12:13]
	s_cbranch_execz .LBB113_51
; %bb.50:
	v_lshlrev_b64 v[3:4], 2, v[3:4]
	v_mov_b32_e32 v1, s90
	v_add_co_u32_e32 v3, vcc, s89, v3
	v_addc_co_u32_e32 v4, vcc, v1, v4, vcc
	flat_load_dword v1, v[3:4]
	s_or_b64 s[2:3], s[2:3], exec
	s_waitcnt vmcnt(0) lgkmcnt(0)
	v_div_scale_f32 v3, s[14:15], v1, v1, 1.0
	v_div_scale_f32 v4, vcc, 1.0, v1, 1.0
	v_rcp_f32_e32 v6, v3
	v_fma_f32 v12, -v3, v6, 1.0
	v_fmac_f32_e32 v6, v12, v6
	v_mul_f32_e32 v12, v4, v6
	v_fma_f32 v13, -v3, v12, v4
	v_fmac_f32_e32 v12, v13, v6
	v_fma_f32 v3, -v3, v12, v4
	v_div_fmas_f32 v3, v3, v6, v12
	v_div_fixup_f32 v1, v3, v1, 1.0
.LBB113_51:
	s_or_b64 exec, exec, s[12:13]
	s_andn2_b64 s[10:11], s[10:11], exec
	s_and_b64 s[2:3], s[2:3], exec
	s_or_b64 s[10:11], s[10:11], s[2:3]
                                        ; implicit-def: $vgpr3_vgpr4
.LBB113_52:
	s_or_saveexec_b64 s[2:3], s[8:9]
	v_add_u32_e32 v6, v5, v11
	v_lshl_add_u32 v5, v5, 6, v0
	s_xor_b64 exec, exec, s[2:3]
	s_cbranch_execz .LBB113_54
; %bb.53:
	v_lshlrev_b64 v[3:4], 2, v[3:4]
	v_mov_b32_e32 v1, s90
	v_add_co_u32_e32 v3, vcc, s89, v3
	v_addc_co_u32_e32 v4, vcc, v1, v4, vcc
	flat_load_dword v1, v[3:4]
	s_or_b64 s[10:11], s[10:11], exec
	s_waitcnt vmcnt(0) lgkmcnt(0)
	v_xor_b32_e32 v1, 0x80000000, v1
.LBB113_54:
	s_or_b64 exec, exec, s[2:3]
	v_cndmask_b32_e64 v5, v5, v6, s[0:1]
.LBB113_55:
	s_xor_b64 s[0:1], s[0:1], -1
	s_and_saveexec_b64 s[2:3], s[10:11]
; %bb.56:
	v_lshlrev_b32_e32 v3, 2, v5
	ds_write_b32 v3, v1
; %bb.57:
	s_or_b64 exec, exec, s[2:3]
	v_cndmask_b32_e64 v1, 0, 1, s[0:1]
	v_cmp_ne_u32_e64 s[56:57], 1, v1
	s_andn2_b64 vcc, exec, s[0:1]
	s_waitcnt vmcnt(0) lgkmcnt(0)
	s_barrier
	s_cbranch_vccnz .LBB113_1095
; %bb.58:
	v_or_b32_e32 v1, v0, v2
	v_cmp_eq_u32_e32 vcc, 0, v1
	s_and_saveexec_b64 s[0:1], vcc
	s_cbranch_execz .LBB113_60
; %bb.59:
	v_mov_b32_e32 v1, 0
	ds_read_b64 v[3:4], v1 offset:16376
	ds_read_b32 v1, v1 offset:16120
	s_movk_i32 s2, 0x3c00
	s_waitcnt lgkmcnt(0)
	v_mul_f32_e32 v1, v1, v4
	v_mul_f32_e32 v1, v3, v1
	v_add_u32_e64 v3, s2, 0
	ds_write2_b32 v3, v1, v1 offset0:191 offset1:254
.LBB113_60:
	s_or_b64 exec, exec, s[0:1]
	v_lshlrev_b32_e32 v3, 6, v2
	v_add_u32_e32 v5, v3, v0
	v_and_b32_e32 v4, v3, v0
	v_xor_b32_e32 v3, v3, v0
	v_lshrrev_b16_e32 v3, 1, v3
	v_add_u16_e32 v4, v4, v3
	v_and_b32_e32 v1, 1, v0
	v_sub_u32_e32 v3, 1, v4
	v_cmp_lt_u32_e64 s[8:9], 3, v5
	v_cmp_gt_u32_e64 s[2:3], 4, v5
	v_mov_b32_e32 v6, 0
	s_waitcnt lgkmcnt(0)
	s_barrier
	buffer_wbinvl1_vol
	s_and_saveexec_b64 s[0:1], s[2:3]
	s_cbranch_execz .LBB113_64
; %bb.61:
	v_lshlrev_b32_e32 v6, 8, v3
	v_lshlrev_b32_e32 v11, 2, v1
	ds_read_b32 v12, v11 offset:16112
	ds_read_b32 v6, v6 offset:16120
	v_mov_b32_e32 v11, 0
	v_cmp_gt_u32_e64 s[10:11], 2, v5
	s_waitcnt lgkmcnt(0)
	v_fma_f32 v6, v12, v6, 0
	s_and_saveexec_b64 s[12:13], s[10:11]
	s_cbranch_execz .LBB113_63
; %bb.62:
	v_lshlrev_b32_e32 v12, 2, v0
	ds_read_b32 v12, v12 offset:16368
	ds_read_b32 v11, v11 offset:16380
	s_waitcnt lgkmcnt(0)
	v_fmac_f32_e32 v6, v12, v11
.LBB113_63:
	s_or_b64 exec, exec, s[12:13]
.LBB113_64:
	s_or_b64 exec, exec, s[0:1]
	v_mov_b32_e32 v11, 0x4000
	v_cmp_ne_u32_e64 s[10:11], 0, v1
	s_xor_b64 s[0:1], s[8:9], -1
	v_lshl_add_u32 v4, v4, 2, v11
	s_and_b64 s[38:39], s[10:11], s[0:1]
	s_and_saveexec_b64 s[8:9], s[38:39]
	s_cbranch_execz .LBB113_66
; %bb.65:
	v_mov_b32_e32 v11, 0
	ds_read_b32 v11, v11 offset:15860
	s_waitcnt lgkmcnt(0)
	v_mul_f32_e32 v6, v6, v11
	v_xor_b32_e32 v11, 0x80000000, v6
	ds_write_b32 v4, v11
.LBB113_66:
	s_or_b64 exec, exec, s[8:9]
	v_cmp_eq_u32_e64 s[8:9], 0, v1
	s_and_b64 s[36:37], s[8:9], s[0:1]
	s_waitcnt lgkmcnt(0)
	s_barrier
	s_and_saveexec_b64 s[0:1], s[36:37]
	s_cbranch_execz .LBB113_68
; %bb.67:
	v_mov_b32_e32 v11, 0
	ds_read_b32 v11, v11 offset:15856
	ds_read_b32 v12, v4
	s_waitcnt lgkmcnt(0)
	v_fma_f32 v6, -v11, v12, v6
.LBB113_68:
	s_or_b64 exec, exec, s[0:1]
	s_barrier
	s_and_saveexec_b64 s[0:1], s[36:37]
	s_cbranch_execz .LBB113_70
; %bb.69:
	v_mov_b32_e32 v11, 0
	ds_read_b32 v11, v11 offset:15600
	s_waitcnt lgkmcnt(0)
	v_mul_f32_e32 v6, v6, v11
	v_xor_b32_e32 v11, 0x80000000, v6
	ds_write_b32 v4, v11
.LBB113_70:
	s_or_b64 exec, exec, s[0:1]
	s_waitcnt lgkmcnt(0)
	s_barrier
	s_barrier
	s_and_saveexec_b64 s[0:1], s[2:3]
; %bb.71:
	v_lshlrev_b32_e32 v11, 2, v1
	v_lshl_or_b32 v11, v3, 8, v11
	ds_write_b32 v11, v6 offset:16112
; %bb.72:
	s_or_b64 exec, exec, s[0:1]
	v_cmp_eq_u32_e64 s[12:13], 0, v2
	v_cmp_gt_u32_e64 s[8:9], 2, v0
	s_and_b64 s[40:41], s[12:13], s[8:9]
	s_waitcnt lgkmcnt(0)
	s_barrier
	s_barrier
	s_and_saveexec_b64 s[0:1], s[40:41]
	s_cbranch_execz .LBB113_74
; %bb.73:
	v_lshlrev_b32_e32 v6, 2, v0
	s_movk_i32 s8, 0xfc
	v_mad_u32_u24 v11, v0, s8, v6
	ds_read_b32 v12, v11 offset:16112
	s_waitcnt lgkmcnt(0)
	ds_write_b32 v6, v12 offset:15608
	ds_read_b32 v11, v11 offset:16116
	s_waitcnt lgkmcnt(0)
	ds_write_b32 v6, v11 offset:15864
.LBB113_74:
	s_or_b64 exec, exec, s[0:1]
	s_waitcnt lgkmcnt(0)
	s_barrier
	s_and_saveexec_b64 s[0:1], vcc
	s_cbranch_execz .LBB113_76
; %bb.75:
	v_mov_b32_e32 v6, 0
	ds_read_b64 v[11:12], v6 offset:15856
	ds_read_b32 v6, v6 offset:15600
	s_movk_i32 s8, 0x3c00
	s_waitcnt lgkmcnt(0)
	v_mul_f32_e32 v6, v6, v12
	v_mul_f32_e32 v6, v11, v6
	v_add_u32_e64 v11, s8, 0
	ds_write2_b32 v11, v6, v6 offset0:61 offset1:124
.LBB113_76:
	s_or_b64 exec, exec, s[0:1]
	v_lshrrev_b32_e32 v12, 2, v5
	v_and_b32_e32 v6, 3, v0
	v_sub_u32_e32 v11, 3, v12
	v_cmp_lt_u32_e64 s[8:9], 15, v5
	v_cmp_gt_u32_e64 s[18:19], 16, v5
	v_mov_b32_e32 v13, 0
	s_waitcnt lgkmcnt(0)
	s_barrier
	buffer_wbinvl1_vol
	s_and_saveexec_b64 s[0:1], s[18:19]
	s_cbranch_execz .LBB113_82
; %bb.77:
	v_lshlrev_b32_e32 v15, 2, v6
	v_lshlrev_b32_e32 v14, 8, v11
	ds_read_b32 v13, v15 offset:15584
	ds_read_b32 v16, v14 offset:15600
	v_cmp_gt_u32_e64 s[10:11], 12, v5
	s_waitcnt lgkmcnt(0)
	v_fma_f32 v13, v13, v16, 0
	s_and_saveexec_b64 s[14:15], s[10:11]
	s_cbranch_execnz .LBB113_1206
; %bb.78:
	s_or_b64 exec, exec, s[14:15]
	v_cmp_gt_u32_e64 s[10:11], 8, v5
	s_and_saveexec_b64 s[14:15], s[10:11]
	s_cbranch_execnz .LBB113_1207
.LBB113_79:
	s_or_b64 exec, exec, s[14:15]
	v_cmp_gt_u32_e64 s[10:11], 4, v5
	s_and_saveexec_b64 s[14:15], s[10:11]
	s_cbranch_execz .LBB113_81
.LBB113_80:
	v_lshlrev_b32_e32 v14, 2, v0
	v_mov_b32_e32 v15, 0
	ds_read_b32 v14, v14 offset:16352
	ds_read_b32 v15, v15 offset:16380
	s_waitcnt lgkmcnt(0)
	v_fmac_f32_e32 v13, v14, v15
.LBB113_81:
	s_or_b64 exec, exec, s[14:15]
.LBB113_82:
                                        ; implicit-def: $vgpr27 : SGPR spill to VGPR lane
	v_writelane_b32 v27, s44, 0
	s_or_b64 exec, exec, s[0:1]
	v_mov_b32_e32 v14, 0x4000
	v_cmp_eq_u32_e64 s[10:11], 3, v6
	s_xor_b64 s[0:1], s[8:9], -1
	v_lshl_add_u32 v12, v12, 2, v14
	s_and_b64 s[44:45], s[10:11], s[0:1]
	s_and_saveexec_b64 s[8:9], s[44:45]
	s_cbranch_execz .LBB113_84
; %bb.83:
	v_mov_b32_e32 v14, 0
	ds_read_b32 v14, v14 offset:15340
	s_waitcnt lgkmcnt(0)
	v_mul_f32_e32 v13, v13, v14
	v_xor_b32_e32 v14, 0x80000000, v13
	ds_write_b32 v12, v14
.LBB113_84:
	s_or_b64 exec, exec, s[8:9]
	v_cmp_ne_u32_e64 s[8:9], 3, v6
	s_and_b64 s[46:47], s[8:9], s[0:1]
	s_waitcnt lgkmcnt(0)
	s_barrier
	s_and_saveexec_b64 s[8:9], s[46:47]
	s_cbranch_execz .LBB113_86
; %bb.85:
	v_lshlrev_b32_e32 v14, 2, v6
	ds_read_b32 v14, v14 offset:15328
	ds_read_b32 v15, v12
	s_waitcnt lgkmcnt(0)
	v_fma_f32 v13, -v14, v15, v13
.LBB113_86:
	s_or_b64 exec, exec, s[8:9]
	v_cmp_eq_u32_e64 s[8:9], 2, v6
	s_and_b64 s[48:49], s[8:9], s[0:1]
	s_barrier
	s_and_saveexec_b64 s[8:9], s[48:49]
	s_cbranch_execz .LBB113_88
; %bb.87:
	v_mov_b32_e32 v14, 0
	ds_read_b32 v14, v14 offset:15080
	s_waitcnt lgkmcnt(0)
	v_mul_f32_e32 v13, v13, v14
	v_xor_b32_e32 v14, 0x80000000, v13
	ds_write_b32 v12, v14
.LBB113_88:
	s_or_b64 exec, exec, s[8:9]
	v_cmp_gt_u32_e64 s[8:9], 2, v6
	s_and_b64 s[50:51], s[8:9], s[0:1]
	s_waitcnt lgkmcnt(0)
	s_barrier
	s_and_saveexec_b64 s[8:9], s[50:51]
	s_cbranch_execz .LBB113_90
; %bb.89:
	v_lshlrev_b32_e32 v14, 2, v6
	ds_read_b32 v14, v14 offset:15072
	ds_read_b32 v15, v12
	s_waitcnt lgkmcnt(0)
	v_fma_f32 v13, -v14, v15, v13
.LBB113_90:
	s_or_b64 exec, exec, s[8:9]
	v_cmp_eq_u32_e64 s[8:9], 1, v6
	s_and_b64 s[52:53], s[8:9], s[0:1]
	s_barrier
	s_and_saveexec_b64 s[8:9], s[52:53]
	s_cbranch_execz .LBB113_92
; %bb.91:
	v_mov_b32_e32 v14, 0
	ds_read_b32 v14, v14 offset:14820
	s_waitcnt lgkmcnt(0)
	v_mul_f32_e32 v13, v13, v14
	v_xor_b32_e32 v14, 0x80000000, v13
	ds_write_b32 v12, v14
.LBB113_92:
	s_or_b64 exec, exec, s[8:9]
	v_cmp_eq_u32_e64 s[8:9], 0, v6
	s_and_b64 s[42:43], s[8:9], s[0:1]
	s_waitcnt lgkmcnt(0)
	s_barrier
	s_and_saveexec_b64 s[0:1], s[42:43]
	s_cbranch_execz .LBB113_94
; %bb.93:
	v_mov_b32_e32 v14, 0
	ds_read_b32 v14, v14 offset:14816
	ds_read_b32 v15, v12
	s_waitcnt lgkmcnt(0)
	v_fma_f32 v13, -v14, v15, v13
.LBB113_94:
	s_or_b64 exec, exec, s[0:1]
	s_barrier
	s_and_saveexec_b64 s[0:1], s[42:43]
	s_cbranch_execz .LBB113_96
; %bb.95:
	v_mov_b32_e32 v14, 0
	ds_read_b32 v14, v14 offset:14560
	s_waitcnt lgkmcnt(0)
	v_mul_f32_e32 v13, v13, v14
	v_xor_b32_e32 v14, 0x80000000, v13
	ds_write_b32 v12, v14
.LBB113_96:
	s_or_b64 exec, exec, s[0:1]
	s_waitcnt lgkmcnt(0)
	s_barrier
	s_barrier
	s_and_saveexec_b64 s[0:1], s[18:19]
; %bb.97:
	v_lshlrev_b32_e32 v14, 2, v6
	v_lshl_or_b32 v14, v11, 8, v14
	ds_write_b32 v14, v13 offset:15584
; %bb.98:
	s_or_b64 exec, exec, s[0:1]
	v_cmp_gt_u32_e64 s[8:9], 4, v0
	s_and_b64 s[54:55], s[12:13], s[8:9]
	s_waitcnt lgkmcnt(0)
	s_barrier
	s_barrier
	s_and_saveexec_b64 s[0:1], s[54:55]
	s_cbranch_execz .LBB113_100
; %bb.99:
	v_lshlrev_b32_e32 v13, 8, v0
	ds_read_b32 v14, v13 offset:15584
	s_movk_i32 s8, 0xff04
	v_mad_i32_i24 v15, v0, s8, v13
	s_waitcnt lgkmcnt(0)
	ds_write_b32 v15, v14 offset:14576
	ds_read_b32 v14, v13 offset:15588
	s_waitcnt lgkmcnt(0)
	ds_write_b32 v15, v14 offset:14832
	ds_read_b32 v14, v13 offset:15592
	;; [unrolled: 3-line block ×3, first 2 shown]
	s_waitcnt lgkmcnt(0)
	ds_write_b32 v15, v13 offset:15344
.LBB113_100:
	s_or_b64 exec, exec, s[0:1]
	s_waitcnt lgkmcnt(0)
	s_barrier
	s_and_saveexec_b64 s[0:1], vcc
	s_cbranch_execz .LBB113_102
; %bb.101:
	v_mov_b32_e32 v15, 0
	ds_read_b64 v[13:14], v15 offset:15336
	ds_read_b32 v15, v15 offset:15080
	s_movk_i32 s8, 0x3800
	s_waitcnt lgkmcnt(0)
	v_mul_f32_e32 v14, v15, v14
	v_mul_f32_e32 v13, v13, v14
	v_add_u32_e64 v14, s8, 0
	ds_write2_b32 v14, v13, v13 offset0:187 offset1:250
.LBB113_102:
	s_or_b64 exec, exec, s[0:1]
	v_mov_b32_e32 v13, 0
	s_waitcnt lgkmcnt(0)
	s_barrier
	buffer_wbinvl1_vol
	s_and_saveexec_b64 s[0:1], s[2:3]
	s_cbranch_execz .LBB113_106
; %bb.103:
	v_lshlrev_b32_e32 v13, 8, v3
	v_lshlrev_b32_e32 v14, 2, v1
	ds_read_b32 v15, v14 offset:15072
	ds_read_b32 v13, v13 offset:15080
	v_mov_b32_e32 v14, 0
	v_cmp_gt_u32_e64 s[8:9], 2, v5
	s_waitcnt lgkmcnt(0)
	v_fma_f32 v13, v15, v13, 0
	s_and_saveexec_b64 s[10:11], s[8:9]
	s_cbranch_execz .LBB113_105
; %bb.104:
	v_lshlrev_b32_e32 v15, 2, v0
	ds_read_b32 v15, v15 offset:15328
	ds_read_b32 v14, v14 offset:15340
	s_waitcnt lgkmcnt(0)
	v_fmac_f32_e32 v13, v15, v14
.LBB113_105:
	s_or_b64 exec, exec, s[10:11]
.LBB113_106:
	s_or_b64 exec, exec, s[0:1]
	s_and_saveexec_b64 s[0:1], s[38:39]
	s_cbranch_execz .LBB113_108
; %bb.107:
	v_mov_b32_e32 v14, 0
	ds_read_b32 v14, v14 offset:14820
	s_waitcnt lgkmcnt(0)
	v_mul_f32_e32 v13, v13, v14
	v_xor_b32_e32 v14, 0x80000000, v13
	ds_write_b32 v4, v14
.LBB113_108:
	s_or_b64 exec, exec, s[0:1]
	s_waitcnt lgkmcnt(0)
	s_barrier
	s_and_saveexec_b64 s[0:1], s[36:37]
	s_cbranch_execz .LBB113_110
; %bb.109:
	v_mov_b32_e32 v14, 0
	ds_read_b32 v14, v14 offset:14816
	ds_read_b32 v15, v4
	s_waitcnt lgkmcnt(0)
	v_fma_f32 v13, -v14, v15, v13
.LBB113_110:
	s_or_b64 exec, exec, s[0:1]
	s_barrier
	s_and_saveexec_b64 s[0:1], s[36:37]
	s_cbranch_execz .LBB113_112
; %bb.111:
	v_mov_b32_e32 v14, 0
	ds_read_b32 v14, v14 offset:14560
	s_waitcnt lgkmcnt(0)
	v_mul_f32_e32 v13, v13, v14
	v_xor_b32_e32 v14, 0x80000000, v13
	ds_write_b32 v4, v14
.LBB113_112:
	s_or_b64 exec, exec, s[0:1]
	s_waitcnt lgkmcnt(0)
	s_barrier
	s_barrier
	s_and_saveexec_b64 s[0:1], s[2:3]
; %bb.113:
	v_lshlrev_b32_e32 v14, 2, v1
	v_lshl_or_b32 v14, v3, 8, v14
	ds_write_b32 v14, v13 offset:15072
; %bb.114:
	s_or_b64 exec, exec, s[0:1]
	s_waitcnt lgkmcnt(0)
	s_barrier
	s_barrier
	s_and_saveexec_b64 s[0:1], s[40:41]
	s_cbranch_execz .LBB113_116
; %bb.115:
	v_lshlrev_b32_e32 v13, 2, v0
	s_movk_i32 s8, 0xfc
	v_mad_u32_u24 v14, v0, s8, v13
	ds_read_b32 v15, v14 offset:15072
	s_waitcnt lgkmcnt(0)
	ds_write_b32 v13, v15 offset:14568
	ds_read_b32 v14, v14 offset:15076
	s_waitcnt lgkmcnt(0)
	ds_write_b32 v13, v14 offset:14824
.LBB113_116:
	s_or_b64 exec, exec, s[0:1]
	s_waitcnt lgkmcnt(0)
	s_barrier
	s_and_saveexec_b64 s[0:1], vcc
	s_cbranch_execz .LBB113_118
; %bb.117:
	v_mov_b32_e32 v15, 0
	ds_read_b64 v[13:14], v15 offset:14816
	ds_read_b32 v15, v15 offset:14560
	s_movk_i32 s8, 0x3800
	s_waitcnt lgkmcnt(0)
	v_mul_f32_e32 v14, v15, v14
	v_mul_f32_e32 v13, v13, v14
	v_add_u32_e64 v14, s8, 0
	ds_write2_b32 v14, v13, v13 offset0:57 offset1:120
.LBB113_118:
	s_or_b64 exec, exec, s[0:1]
	v_lshrrev_b32_e32 v15, 3, v5
	v_and_b32_e32 v13, 7, v0
	v_sub_u32_e32 v14, 7, v15
	v_cmp_lt_u32_e64 s[10:11], 63, v5
	v_cmp_gt_u32_e64 s[8:9], 64, v5
	v_mov_b32_e32 v16, 0
	s_waitcnt lgkmcnt(0)
	s_barrier
	buffer_wbinvl1_vol
	s_and_saveexec_b64 s[0:1], s[8:9]
	s_cbranch_execz .LBB113_128
; %bb.119:
	v_lshlrev_b32_e32 v18, 2, v13
	v_lshlrev_b32_e32 v17, 8, v14
	ds_read_b32 v16, v18 offset:14528
	ds_read_b32 v19, v17 offset:14560
	v_cmp_gt_u32_e64 s[14:15], 56, v5
	s_waitcnt lgkmcnt(0)
	v_fma_f32 v16, v16, v19, 0
	s_and_saveexec_b64 s[16:17], s[14:15]
	s_cbranch_execnz .LBB113_1208
; %bb.120:
	s_or_b64 exec, exec, s[16:17]
	v_cmp_gt_u32_e64 s[14:15], 48, v5
	s_and_saveexec_b64 s[16:17], s[14:15]
	s_cbranch_execnz .LBB113_1209
.LBB113_121:
	s_or_b64 exec, exec, s[16:17]
	v_cmp_gt_u32_e64 s[14:15], 40, v5
	s_and_saveexec_b64 s[16:17], s[14:15]
	s_cbranch_execnz .LBB113_1210
.LBB113_122:
	s_or_b64 exec, exec, s[16:17]
	v_cmp_gt_u32_e64 s[14:15], 32, v5
	s_and_saveexec_b64 s[16:17], s[14:15]
	s_cbranch_execnz .LBB113_1211
.LBB113_123:
	s_or_b64 exec, exec, s[16:17]
	v_cmp_gt_u32_e64 s[14:15], 24, v5
	s_and_saveexec_b64 s[16:17], s[14:15]
	s_cbranch_execnz .LBB113_1212
.LBB113_124:
	s_or_b64 exec, exec, s[16:17]
	s_and_saveexec_b64 s[14:15], s[18:19]
	s_cbranch_execnz .LBB113_1213
.LBB113_125:
	s_or_b64 exec, exec, s[14:15]
	v_cmp_gt_u32_e64 s[14:15], 8, v5
	s_and_saveexec_b64 s[16:17], s[14:15]
	s_cbranch_execz .LBB113_127
.LBB113_126:
	v_lshlrev_b32_e32 v17, 2, v0
	v_mov_b32_e32 v18, 0
	ds_read_b32 v17, v17 offset:16320
	ds_read_b32 v18, v18 offset:16380
	s_waitcnt lgkmcnt(0)
	v_fmac_f32_e32 v16, v17, v18
.LBB113_127:
	s_or_b64 exec, exec, s[16:17]
.LBB113_128:
	v_writelane_b32 v27, s56, 1
	v_writelane_b32 v27, s57, 2
	s_or_b64 exec, exec, s[0:1]
	v_mov_b32_e32 v17, 0x4000
	v_cmp_eq_u32_e64 s[14:15], 7, v13
	s_xor_b64 s[0:1], s[10:11], -1
	v_lshl_add_u32 v15, v15, 2, v17
	s_and_b64 s[56:57], s[14:15], s[0:1]
	s_and_saveexec_b64 s[10:11], s[56:57]
	s_cbranch_execz .LBB113_130
; %bb.129:
	v_mov_b32_e32 v17, 0
	ds_read_b32 v17, v17 offset:14300
	s_waitcnt lgkmcnt(0)
	v_mul_f32_e32 v16, v16, v17
	v_xor_b32_e32 v17, 0x80000000, v16
	ds_write_b32 v15, v17
.LBB113_130:
	s_or_b64 exec, exec, s[10:11]
	v_cmp_ne_u32_e64 s[10:11], 7, v13
	s_and_b64 s[58:59], s[10:11], s[0:1]
	s_waitcnt lgkmcnt(0)
	s_barrier
	s_and_saveexec_b64 s[10:11], s[58:59]
	s_cbranch_execz .LBB113_132
; %bb.131:
	v_lshlrev_b32_e32 v17, 2, v13
	ds_read_b32 v17, v17 offset:14272
	ds_read_b32 v18, v15
	s_waitcnt lgkmcnt(0)
	v_fma_f32 v16, -v17, v18, v16
.LBB113_132:
	s_or_b64 exec, exec, s[10:11]
	v_cmp_eq_u32_e64 s[10:11], 6, v13
	s_and_b64 s[60:61], s[10:11], s[0:1]
	s_barrier
	s_and_saveexec_b64 s[10:11], s[60:61]
	s_cbranch_execz .LBB113_134
; %bb.133:
	v_mov_b32_e32 v17, 0
	ds_read_b32 v17, v17 offset:14040
	s_waitcnt lgkmcnt(0)
	v_mul_f32_e32 v16, v16, v17
	v_xor_b32_e32 v17, 0x80000000, v16
	ds_write_b32 v15, v17
.LBB113_134:
	s_or_b64 exec, exec, s[10:11]
	v_cmp_gt_u32_e64 s[10:11], 6, v13
	s_and_b64 s[62:63], s[10:11], s[0:1]
	s_waitcnt lgkmcnt(0)
	s_barrier
	s_and_saveexec_b64 s[10:11], s[62:63]
	s_cbranch_execz .LBB113_136
; %bb.135:
	v_lshlrev_b32_e32 v17, 2, v13
	ds_read_b32 v17, v17 offset:14016
	ds_read_b32 v18, v15
	s_waitcnt lgkmcnt(0)
	v_fma_f32 v16, -v17, v18, v16
.LBB113_136:
	s_or_b64 exec, exec, s[10:11]
	v_cmp_eq_u32_e64 s[10:11], 5, v13
	s_and_b64 s[64:65], s[10:11], s[0:1]
	s_barrier
	s_and_saveexec_b64 s[10:11], s[64:65]
	s_cbranch_execz .LBB113_138
; %bb.137:
	v_mov_b32_e32 v17, 0
	ds_read_b32 v17, v17 offset:13780
	s_waitcnt lgkmcnt(0)
	v_mul_f32_e32 v16, v16, v17
	v_xor_b32_e32 v17, 0x80000000, v16
	ds_write_b32 v15, v17
.LBB113_138:
	s_or_b64 exec, exec, s[10:11]
	v_cmp_gt_u32_e64 s[10:11], 5, v13
	;; [unrolled: 28-line block ×5, first 2 shown]
	s_and_b64 s[80:81], s[10:11], s[0:1]
	s_waitcnt lgkmcnt(0)
	s_barrier
	s_and_saveexec_b64 s[10:11], s[80:81]
	s_cbranch_execz .LBB113_152
; %bb.151:
	v_lshlrev_b32_e32 v17, 2, v13
	ds_read_b32 v17, v17 offset:12992
	ds_read_b32 v18, v15
	s_waitcnt lgkmcnt(0)
	v_fma_f32 v16, -v17, v18, v16
.LBB113_152:
	s_or_b64 exec, exec, s[10:11]
	v_cmp_eq_u32_e64 s[10:11], 1, v13
	s_and_b64 s[82:83], s[10:11], s[0:1]
	s_barrier
	s_and_saveexec_b64 s[10:11], s[82:83]
	s_cbranch_execz .LBB113_154
; %bb.153:
	v_mov_b32_e32 v17, 0
	ds_read_b32 v17, v17 offset:12740
	s_waitcnt lgkmcnt(0)
	v_mul_f32_e32 v16, v16, v17
	v_xor_b32_e32 v17, 0x80000000, v16
	ds_write_b32 v15, v17
.LBB113_154:
	s_or_b64 exec, exec, s[10:11]
	v_cmp_eq_u32_e64 s[10:11], 0, v13
	s_and_b64 s[66:67], s[10:11], s[0:1]
	s_waitcnt lgkmcnt(0)
	s_barrier
	s_and_saveexec_b64 s[0:1], s[66:67]
	s_cbranch_execz .LBB113_156
; %bb.155:
	v_mov_b32_e32 v17, 0
	ds_read_b32 v17, v17 offset:12736
	ds_read_b32 v18, v15
	s_waitcnt lgkmcnt(0)
	v_fma_f32 v16, -v17, v18, v16
.LBB113_156:
	s_or_b64 exec, exec, s[0:1]
	s_barrier
	s_and_saveexec_b64 s[0:1], s[66:67]
	s_cbranch_execz .LBB113_158
; %bb.157:
	v_mov_b32_e32 v17, 0
	ds_read_b32 v17, v17 offset:12480
	s_waitcnt lgkmcnt(0)
	v_mul_f32_e32 v16, v16, v17
	v_xor_b32_e32 v17, 0x80000000, v16
	ds_write_b32 v15, v17
.LBB113_158:
	s_or_b64 exec, exec, s[0:1]
	s_waitcnt lgkmcnt(0)
	s_barrier
	s_barrier
	s_and_saveexec_b64 s[0:1], s[8:9]
; %bb.159:
	v_lshlrev_b32_e32 v17, 2, v13
	v_lshl_or_b32 v17, v14, 8, v17
	ds_write_b32 v17, v16 offset:14528
; %bb.160:
	s_or_b64 exec, exec, s[0:1]
	v_cmp_gt_u32_e64 s[10:11], 8, v0
	s_and_b64 s[84:85], s[12:13], s[10:11]
	s_waitcnt lgkmcnt(0)
	s_barrier
	s_barrier
	s_and_saveexec_b64 s[0:1], s[84:85]
	s_cbranch_execz .LBB113_162
; %bb.161:
	v_lshlrev_b32_e32 v16, 8, v0
	ds_read_b32 v17, v16 offset:14528
	s_movk_i32 s10, 0xff04
	v_mad_i32_i24 v18, v0, s10, v16
	s_waitcnt lgkmcnt(0)
	ds_write_b32 v18, v17 offset:12512
	ds_read_b32 v17, v16 offset:14532
	s_waitcnt lgkmcnt(0)
	ds_write_b32 v18, v17 offset:12768
	ds_read_b32 v17, v16 offset:14536
	;; [unrolled: 3-line block ×7, first 2 shown]
	s_waitcnt lgkmcnt(0)
	ds_write_b32 v18, v16 offset:14304
.LBB113_162:
	s_or_b64 exec, exec, s[0:1]
	s_waitcnt lgkmcnt(0)
	s_barrier
	s_and_saveexec_b64 s[0:1], vcc
	s_cbranch_execz .LBB113_164
; %bb.163:
	v_mov_b32_e32 v18, 0
	ds_read_b64 v[16:17], v18 offset:14296
	ds_read_b32 v18, v18 offset:14040
	s_movk_i32 s10, 0x3400
	s_waitcnt lgkmcnt(0)
	v_mul_f32_e32 v17, v18, v17
	v_mul_f32_e32 v16, v16, v17
	v_add_u32_e64 v17, s10, 0
	ds_write2_b32 v17, v16, v16 offset0:183 offset1:246
.LBB113_164:
	s_or_b64 exec, exec, s[0:1]
	v_mov_b32_e32 v16, 0
	s_waitcnt lgkmcnt(0)
	s_barrier
	buffer_wbinvl1_vol
	s_and_saveexec_b64 s[0:1], s[2:3]
	s_cbranch_execz .LBB113_168
; %bb.165:
	v_lshlrev_b32_e32 v16, 8, v3
	v_lshlrev_b32_e32 v17, 2, v1
	ds_read_b32 v18, v17 offset:14032
	ds_read_b32 v16, v16 offset:14040
	v_mov_b32_e32 v17, 0
	v_cmp_gt_u32_e64 s[10:11], 2, v5
	s_waitcnt lgkmcnt(0)
	v_fma_f32 v16, v18, v16, 0
	s_and_saveexec_b64 s[14:15], s[10:11]
	s_cbranch_execz .LBB113_167
; %bb.166:
	v_lshlrev_b32_e32 v18, 2, v0
	ds_read_b32 v18, v18 offset:14288
	ds_read_b32 v17, v17 offset:14300
	s_waitcnt lgkmcnt(0)
	v_fmac_f32_e32 v16, v18, v17
.LBB113_167:
	s_or_b64 exec, exec, s[14:15]
.LBB113_168:
	s_or_b64 exec, exec, s[0:1]
	s_and_saveexec_b64 s[0:1], s[38:39]
	s_cbranch_execz .LBB113_170
; %bb.169:
	v_mov_b32_e32 v17, 0
	ds_read_b32 v17, v17 offset:13780
	s_waitcnt lgkmcnt(0)
	v_mul_f32_e32 v16, v16, v17
	v_xor_b32_e32 v17, 0x80000000, v16
	ds_write_b32 v4, v17
.LBB113_170:
	s_or_b64 exec, exec, s[0:1]
	s_waitcnt lgkmcnt(0)
	s_barrier
	s_and_saveexec_b64 s[0:1], s[36:37]
	s_cbranch_execz .LBB113_172
; %bb.171:
	v_mov_b32_e32 v17, 0
	ds_read_b32 v17, v17 offset:13776
	ds_read_b32 v18, v4
	s_waitcnt lgkmcnt(0)
	v_fma_f32 v16, -v17, v18, v16
.LBB113_172:
	s_or_b64 exec, exec, s[0:1]
	s_barrier
	s_and_saveexec_b64 s[0:1], s[36:37]
	s_cbranch_execz .LBB113_174
; %bb.173:
	v_mov_b32_e32 v17, 0
	ds_read_b32 v17, v17 offset:13520
	s_waitcnt lgkmcnt(0)
	v_mul_f32_e32 v16, v16, v17
	v_xor_b32_e32 v17, 0x80000000, v16
	ds_write_b32 v4, v17
.LBB113_174:
	s_or_b64 exec, exec, s[0:1]
	s_waitcnt lgkmcnt(0)
	s_barrier
	s_barrier
	s_and_saveexec_b64 s[0:1], s[2:3]
; %bb.175:
	v_lshlrev_b32_e32 v17, 2, v1
	v_lshl_or_b32 v17, v3, 8, v17
	ds_write_b32 v17, v16 offset:14032
; %bb.176:
	s_or_b64 exec, exec, s[0:1]
	s_waitcnt lgkmcnt(0)
	s_barrier
	s_barrier
	s_and_saveexec_b64 s[0:1], s[40:41]
	s_cbranch_execz .LBB113_178
; %bb.177:
	v_lshlrev_b32_e32 v16, 2, v0
	s_movk_i32 s10, 0xfc
	v_mad_u32_u24 v17, v0, s10, v16
	ds_read_b32 v18, v17 offset:14032
	s_waitcnt lgkmcnt(0)
	ds_write_b32 v16, v18 offset:13528
	ds_read_b32 v17, v17 offset:14036
	s_waitcnt lgkmcnt(0)
	ds_write_b32 v16, v17 offset:13784
.LBB113_178:
	s_or_b64 exec, exec, s[0:1]
	s_waitcnt lgkmcnt(0)
	s_barrier
	s_and_saveexec_b64 s[0:1], vcc
	s_cbranch_execz .LBB113_180
; %bb.179:
	v_mov_b32_e32 v18, 0
	ds_read_b64 v[16:17], v18 offset:13776
	ds_read_b32 v18, v18 offset:13520
	s_movk_i32 s10, 0x3400
	s_waitcnt lgkmcnt(0)
	v_mul_f32_e32 v17, v18, v17
	v_mul_f32_e32 v16, v16, v17
	v_add_u32_e64 v17, s10, 0
	ds_write2_b32 v17, v16, v16 offset0:53 offset1:116
.LBB113_180:
	s_or_b64 exec, exec, s[0:1]
	v_mov_b32_e32 v16, 0
	s_waitcnt lgkmcnt(0)
	s_barrier
	buffer_wbinvl1_vol
	s_and_saveexec_b64 s[0:1], s[18:19]
	s_cbranch_execz .LBB113_186
; %bb.181:
	v_lshlrev_b32_e32 v18, 2, v6
	v_lshlrev_b32_e32 v17, 8, v11
	ds_read_b32 v16, v18 offset:13504
	ds_read_b32 v19, v17 offset:13520
	v_cmp_gt_u32_e64 s[10:11], 12, v5
	s_waitcnt lgkmcnt(0)
	v_fma_f32 v16, v16, v19, 0
	s_and_saveexec_b64 s[14:15], s[10:11]
	s_cbranch_execnz .LBB113_1214
; %bb.182:
	s_or_b64 exec, exec, s[14:15]
	v_cmp_gt_u32_e64 s[10:11], 8, v5
	s_and_saveexec_b64 s[14:15], s[10:11]
	s_cbranch_execnz .LBB113_1215
.LBB113_183:
	s_or_b64 exec, exec, s[14:15]
	v_cmp_gt_u32_e64 s[10:11], 4, v5
	s_and_saveexec_b64 s[14:15], s[10:11]
	s_cbranch_execz .LBB113_185
.LBB113_184:
	v_lshlrev_b32_e32 v17, 2, v0
	v_mov_b32_e32 v18, 0
	ds_read_b32 v17, v17 offset:14272
	ds_read_b32 v18, v18 offset:14300
	s_waitcnt lgkmcnt(0)
	v_fmac_f32_e32 v16, v17, v18
.LBB113_185:
	s_or_b64 exec, exec, s[14:15]
.LBB113_186:
	s_or_b64 exec, exec, s[0:1]
	s_and_saveexec_b64 s[0:1], s[44:45]
	s_cbranch_execz .LBB113_188
; %bb.187:
	v_mov_b32_e32 v17, 0
	ds_read_b32 v17, v17 offset:13260
	s_waitcnt lgkmcnt(0)
	v_mul_f32_e32 v16, v16, v17
	v_xor_b32_e32 v17, 0x80000000, v16
	ds_write_b32 v12, v17
.LBB113_188:
	s_or_b64 exec, exec, s[0:1]
	s_waitcnt lgkmcnt(0)
	s_barrier
	s_and_saveexec_b64 s[0:1], s[46:47]
	s_cbranch_execz .LBB113_190
; %bb.189:
	v_lshlrev_b32_e32 v17, 2, v6
	ds_read_b32 v17, v17 offset:13248
	ds_read_b32 v18, v12
	s_waitcnt lgkmcnt(0)
	v_fma_f32 v16, -v17, v18, v16
.LBB113_190:
	s_or_b64 exec, exec, s[0:1]
	s_barrier
	s_and_saveexec_b64 s[0:1], s[48:49]
	s_cbranch_execz .LBB113_192
; %bb.191:
	v_mov_b32_e32 v17, 0
	ds_read_b32 v17, v17 offset:13000
	s_waitcnt lgkmcnt(0)
	v_mul_f32_e32 v16, v16, v17
	v_xor_b32_e32 v17, 0x80000000, v16
	ds_write_b32 v12, v17
.LBB113_192:
	s_or_b64 exec, exec, s[0:1]
	s_waitcnt lgkmcnt(0)
	s_barrier
	s_and_saveexec_b64 s[0:1], s[50:51]
	s_cbranch_execz .LBB113_194
; %bb.193:
	v_lshlrev_b32_e32 v17, 2, v6
	ds_read_b32 v17, v17 offset:12992
	ds_read_b32 v18, v12
	s_waitcnt lgkmcnt(0)
	v_fma_f32 v16, -v17, v18, v16
.LBB113_194:
	s_or_b64 exec, exec, s[0:1]
	s_barrier
	s_and_saveexec_b64 s[0:1], s[52:53]
	s_cbranch_execz .LBB113_196
; %bb.195:
	v_mov_b32_e32 v17, 0
	ds_read_b32 v17, v17 offset:12740
	s_waitcnt lgkmcnt(0)
	v_mul_f32_e32 v16, v16, v17
	v_xor_b32_e32 v17, 0x80000000, v16
	ds_write_b32 v12, v17
.LBB113_196:
	s_or_b64 exec, exec, s[0:1]
	s_waitcnt lgkmcnt(0)
	s_barrier
	s_and_saveexec_b64 s[0:1], s[42:43]
	s_cbranch_execz .LBB113_198
; %bb.197:
	v_mov_b32_e32 v17, 0
	ds_read_b32 v17, v17 offset:12736
	ds_read_b32 v18, v12
	s_waitcnt lgkmcnt(0)
	v_fma_f32 v16, -v17, v18, v16
.LBB113_198:
	s_or_b64 exec, exec, s[0:1]
	s_barrier
	s_and_saveexec_b64 s[0:1], s[42:43]
	s_cbranch_execz .LBB113_200
; %bb.199:
	v_mov_b32_e32 v17, 0
	ds_read_b32 v17, v17 offset:12480
	s_waitcnt lgkmcnt(0)
	v_mul_f32_e32 v16, v16, v17
	v_xor_b32_e32 v17, 0x80000000, v16
	ds_write_b32 v12, v17
.LBB113_200:
	s_or_b64 exec, exec, s[0:1]
	s_waitcnt lgkmcnt(0)
	s_barrier
	s_barrier
	s_and_saveexec_b64 s[0:1], s[18:19]
; %bb.201:
	v_lshlrev_b32_e32 v17, 2, v6
	v_lshl_or_b32 v17, v11, 8, v17
	ds_write_b32 v17, v16 offset:13504
; %bb.202:
	s_or_b64 exec, exec, s[0:1]
	s_waitcnt lgkmcnt(0)
	s_barrier
	s_barrier
	s_and_saveexec_b64 s[0:1], s[54:55]
	s_cbranch_execz .LBB113_204
; %bb.203:
	v_lshlrev_b32_e32 v16, 8, v0
	ds_read_b32 v17, v16 offset:13504
	s_movk_i32 s10, 0xff04
	v_mad_i32_i24 v18, v0, s10, v16
	s_waitcnt lgkmcnt(0)
	ds_write_b32 v18, v17 offset:12496
	ds_read_b32 v17, v16 offset:13508
	s_waitcnt lgkmcnt(0)
	ds_write_b32 v18, v17 offset:12752
	ds_read_b32 v17, v16 offset:13512
	;; [unrolled: 3-line block ×3, first 2 shown]
	s_waitcnt lgkmcnt(0)
	ds_write_b32 v18, v16 offset:13264
.LBB113_204:
	s_or_b64 exec, exec, s[0:1]
	s_waitcnt lgkmcnt(0)
	s_barrier
	s_and_saveexec_b64 s[0:1], vcc
	s_cbranch_execz .LBB113_206
; %bb.205:
	v_mov_b32_e32 v18, 0
	ds_read_b64 v[16:17], v18 offset:13256
	ds_read_b32 v18, v18 offset:13000
	s_movk_i32 s10, 0x3000
	s_waitcnt lgkmcnt(0)
	v_mul_f32_e32 v17, v18, v17
	v_mul_f32_e32 v16, v16, v17
	v_add_u32_e64 v17, s10, 0
	ds_write2_b32 v17, v16, v16 offset0:179 offset1:242
.LBB113_206:
	s_or_b64 exec, exec, s[0:1]
	v_mov_b32_e32 v16, 0
	s_waitcnt lgkmcnt(0)
	s_barrier
	buffer_wbinvl1_vol
	s_and_saveexec_b64 s[0:1], s[2:3]
	s_cbranch_execz .LBB113_210
; %bb.207:
	v_lshlrev_b32_e32 v16, 8, v3
	v_lshlrev_b32_e32 v17, 2, v1
	ds_read_b32 v18, v17 offset:12992
	ds_read_b32 v16, v16 offset:13000
	v_mov_b32_e32 v17, 0
	v_cmp_gt_u32_e64 s[10:11], 2, v5
	s_waitcnt lgkmcnt(0)
	v_fma_f32 v16, v18, v16, 0
	s_and_saveexec_b64 s[14:15], s[10:11]
	s_cbranch_execz .LBB113_209
; %bb.208:
	v_lshlrev_b32_e32 v18, 2, v0
	ds_read_b32 v18, v18 offset:13248
	ds_read_b32 v17, v17 offset:13260
	s_waitcnt lgkmcnt(0)
	v_fmac_f32_e32 v16, v18, v17
.LBB113_209:
	s_or_b64 exec, exec, s[14:15]
.LBB113_210:
	s_or_b64 exec, exec, s[0:1]
	s_and_saveexec_b64 s[0:1], s[38:39]
	s_cbranch_execz .LBB113_212
; %bb.211:
	v_mov_b32_e32 v17, 0
	ds_read_b32 v17, v17 offset:12740
	s_waitcnt lgkmcnt(0)
	v_mul_f32_e32 v16, v16, v17
	v_xor_b32_e32 v17, 0x80000000, v16
	ds_write_b32 v4, v17
.LBB113_212:
	s_or_b64 exec, exec, s[0:1]
	s_waitcnt lgkmcnt(0)
	s_barrier
	s_and_saveexec_b64 s[0:1], s[36:37]
	s_cbranch_execz .LBB113_214
; %bb.213:
	v_mov_b32_e32 v17, 0
	ds_read_b32 v17, v17 offset:12736
	ds_read_b32 v18, v4
	s_waitcnt lgkmcnt(0)
	v_fma_f32 v16, -v17, v18, v16
.LBB113_214:
	s_or_b64 exec, exec, s[0:1]
	s_barrier
	s_and_saveexec_b64 s[0:1], s[36:37]
	s_cbranch_execz .LBB113_216
; %bb.215:
	v_mov_b32_e32 v17, 0
	ds_read_b32 v17, v17 offset:12480
	s_waitcnt lgkmcnt(0)
	v_mul_f32_e32 v16, v16, v17
	v_xor_b32_e32 v17, 0x80000000, v16
	ds_write_b32 v4, v17
.LBB113_216:
	s_or_b64 exec, exec, s[0:1]
	s_waitcnt lgkmcnt(0)
	s_barrier
	s_barrier
	s_and_saveexec_b64 s[0:1], s[2:3]
; %bb.217:
	v_lshlrev_b32_e32 v17, 2, v1
	v_lshl_or_b32 v17, v3, 8, v17
	ds_write_b32 v17, v16 offset:12992
; %bb.218:
	s_or_b64 exec, exec, s[0:1]
	s_waitcnt lgkmcnt(0)
	s_barrier
	s_barrier
	s_and_saveexec_b64 s[0:1], s[40:41]
	s_cbranch_execz .LBB113_220
; %bb.219:
	v_lshlrev_b32_e32 v16, 2, v0
	s_movk_i32 s10, 0xfc
	v_mad_u32_u24 v17, v0, s10, v16
	ds_read_b32 v18, v17 offset:12992
	s_waitcnt lgkmcnt(0)
	ds_write_b32 v16, v18 offset:12488
	ds_read_b32 v17, v17 offset:12996
	s_waitcnt lgkmcnt(0)
	ds_write_b32 v16, v17 offset:12744
.LBB113_220:
	s_or_b64 exec, exec, s[0:1]
	s_waitcnt lgkmcnt(0)
	s_barrier
	s_and_saveexec_b64 s[0:1], vcc
	s_cbranch_execz .LBB113_222
; %bb.221:
	v_mov_b32_e32 v18, 0
	ds_read_b64 v[16:17], v18 offset:12736
	ds_read_b32 v18, v18 offset:12480
	s_movk_i32 s10, 0x3000
	s_waitcnt lgkmcnt(0)
	v_mul_f32_e32 v17, v18, v17
	v_mul_f32_e32 v16, v16, v17
	v_add_u32_e64 v17, s10, 0
	ds_write2_b32 v17, v16, v16 offset0:49 offset1:112
.LBB113_222:
	s_or_b64 exec, exec, s[0:1]
	s_movk_i32 s0, 0xff
	v_lshrrev_b32_e32 v18, 4, v5
	v_cmp_lt_u32_e64 s[14:15], s0, v5
	s_movk_i32 s0, 0x100
	v_and_b32_e32 v16, 15, v0
	v_sub_u32_e32 v17, 15, v18
	v_cmp_gt_u32_e64 s[10:11], s0, v5
	v_mov_b32_e32 v19, 0
	s_waitcnt lgkmcnt(0)
	s_barrier
	buffer_wbinvl1_vol
	s_and_saveexec_b64 s[0:1], s[10:11]
	s_cbranch_execz .LBB113_250
; %bb.223:
	v_lshlrev_b32_e32 v21, 2, v16
	v_lshlrev_b32_e32 v20, 8, v17
	ds_read_b32 v19, v21 offset:12416
	ds_read_b32 v22, v20 offset:12480
	s_movk_i32 s16, 0xf0
	v_cmp_gt_u32_e64 s[16:17], s16, v5
	s_waitcnt lgkmcnt(0)
	v_fma_f32 v19, v19, v22, 0
	s_and_saveexec_b64 s[20:21], s[16:17]
	s_cbranch_execz .LBB113_225
; %bb.224:
	ds_read_b32 v22, v21 offset:12672
	ds_read_b32 v23, v20 offset:12484
	s_waitcnt lgkmcnt(0)
	v_fmac_f32_e32 v19, v22, v23
.LBB113_225:
	s_or_b64 exec, exec, s[20:21]
	s_movk_i32 s16, 0xe0
	v_cmp_gt_u32_e64 s[16:17], s16, v5
	s_and_saveexec_b64 s[20:21], s[16:17]
	s_cbranch_execz .LBB113_227
; %bb.226:
	ds_read_b32 v22, v21 offset:12928
	ds_read_b32 v23, v20 offset:12488
	s_waitcnt lgkmcnt(0)
	v_fmac_f32_e32 v19, v22, v23
.LBB113_227:
	s_or_b64 exec, exec, s[20:21]
	s_movk_i32 s16, 0xd0
	v_cmp_gt_u32_e64 s[16:17], s16, v5
	;; [unrolled: 11-line block ×10, first 2 shown]
	s_and_saveexec_b64 s[20:21], s[16:17]
	s_cbranch_execnz .LBB113_1216
; %bb.244:
	s_or_b64 exec, exec, s[20:21]
	s_and_saveexec_b64 s[16:17], s[8:9]
	s_cbranch_execnz .LBB113_1217
.LBB113_245:
	s_or_b64 exec, exec, s[16:17]
	v_cmp_gt_u32_e64 s[16:17], 48, v5
	s_and_saveexec_b64 s[20:21], s[16:17]
	s_cbranch_execnz .LBB113_1218
.LBB113_246:
	s_or_b64 exec, exec, s[20:21]
	v_cmp_gt_u32_e64 s[16:17], 32, v5
	s_and_saveexec_b64 s[20:21], s[16:17]
	s_cbranch_execnz .LBB113_1219
.LBB113_247:
	s_or_b64 exec, exec, s[20:21]
	v_cmp_gt_u32_e64 s[16:17], 16, v5
	s_and_saveexec_b64 s[20:21], s[16:17]
	s_cbranch_execz .LBB113_249
.LBB113_248:
	v_lshlrev_b32_e32 v20, 2, v0
	v_mov_b32_e32 v21, 0
	ds_read_b32 v20, v20 offset:16256
	ds_read_b32 v21, v21 offset:16380
	s_waitcnt lgkmcnt(0)
	v_fmac_f32_e32 v19, v20, v21
.LBB113_249:
	s_or_b64 exec, exec, s[20:21]
.LBB113_250:
	s_or_b64 exec, exec, s[0:1]
	v_mov_b32_e32 v20, 0x4000
	v_lshl_add_u32 v18, v18, 2, v20
	v_cmp_eq_u32_e64 s[16:17], 15, v16
	s_xor_b64 s[20:21], s[14:15], -1
	s_and_b64 s[14:15], s[16:17], s[20:21]
	s_mov_b64 s[0:1], exec
	v_writelane_b32 v27, s14, 3
	v_writelane_b32 v27, s15, 4
	s_and_b64 s[14:15], s[0:1], s[14:15]
	s_mov_b64 exec, s[14:15]
	s_cbranch_execz .LBB113_252
; %bb.251:
	v_mov_b32_e32 v20, 0
	ds_read_b32 v20, v20 offset:12220
	s_waitcnt lgkmcnt(0)
	v_mul_f32_e32 v19, v19, v20
	v_xor_b32_e32 v20, 0x80000000, v19
	ds_write_b32 v18, v20
.LBB113_252:
	s_or_b64 exec, exec, s[0:1]
	v_cmp_ne_u32_e64 s[14:15], 15, v16
	s_waitcnt lgkmcnt(0)
	s_barrier
	s_and_b64 s[14:15], s[14:15], s[20:21]
	s_mov_b64 s[0:1], exec
	v_writelane_b32 v27, s14, 5
	v_writelane_b32 v27, s15, 6
	s_and_b64 s[14:15], s[0:1], s[14:15]
	s_mov_b64 exec, s[14:15]
	s_cbranch_execz .LBB113_254
; %bb.253:
	v_lshlrev_b32_e32 v20, 2, v16
	ds_read_b32 v20, v20 offset:12160
	ds_read_b32 v21, v18
	s_waitcnt lgkmcnt(0)
	v_fma_f32 v19, -v20, v21, v19
.LBB113_254:
	s_or_b64 exec, exec, s[0:1]
	v_cmp_eq_u32_e64 s[14:15], 14, v16
	s_barrier
	s_and_b64 s[14:15], s[14:15], s[20:21]
	s_mov_b64 s[0:1], exec
	v_writelane_b32 v27, s14, 7
	v_writelane_b32 v27, s15, 8
	s_and_b64 s[14:15], s[0:1], s[14:15]
	s_mov_b64 exec, s[14:15]
	s_cbranch_execz .LBB113_256
; %bb.255:
	v_mov_b32_e32 v20, 0
	ds_read_b32 v20, v20 offset:11960
	s_waitcnt lgkmcnt(0)
	v_mul_f32_e32 v19, v19, v20
	v_xor_b32_e32 v20, 0x80000000, v19
	ds_write_b32 v18, v20
.LBB113_256:
	s_or_b64 exec, exec, s[0:1]
	v_cmp_gt_u32_e64 s[14:15], 14, v16
	s_waitcnt lgkmcnt(0)
	s_barrier
	s_and_b64 s[14:15], s[14:15], s[20:21]
	s_mov_b64 s[0:1], exec
	v_writelane_b32 v27, s14, 9
	v_writelane_b32 v27, s15, 10
	s_and_b64 s[14:15], s[0:1], s[14:15]
	s_mov_b64 exec, s[14:15]
	s_cbranch_execz .LBB113_258
; %bb.257:
	v_lshlrev_b32_e32 v20, 2, v16
	ds_read_b32 v20, v20 offset:11904
	ds_read_b32 v21, v18
	s_waitcnt lgkmcnt(0)
	v_fma_f32 v19, -v20, v21, v19
.LBB113_258:
	s_or_b64 exec, exec, s[0:1]
	v_cmp_eq_u32_e64 s[14:15], 13, v16
	s_barrier
	s_and_b64 s[14:15], s[14:15], s[20:21]
	s_mov_b64 s[0:1], exec
	v_writelane_b32 v27, s14, 11
	v_writelane_b32 v27, s15, 12
	s_and_b64 s[14:15], s[0:1], s[14:15]
	s_mov_b64 exec, s[14:15]
	s_cbranch_execz .LBB113_260
; %bb.259:
	v_mov_b32_e32 v20, 0
	ds_read_b32 v20, v20 offset:11700
	s_waitcnt lgkmcnt(0)
	v_mul_f32_e32 v19, v19, v20
	v_xor_b32_e32 v20, 0x80000000, v19
	ds_write_b32 v18, v20
.LBB113_260:
	s_or_b64 exec, exec, s[0:1]
	v_cmp_gt_u32_e64 s[14:15], 13, v16
	;; [unrolled: 36-line block ×12, first 2 shown]
	s_waitcnt lgkmcnt(0)
	s_barrier
	s_and_b64 s[14:15], s[14:15], s[20:21]
	s_mov_b64 s[0:1], exec
	v_writelane_b32 v27, s14, 53
	v_writelane_b32 v27, s15, 54
	s_and_b64 s[14:15], s[0:1], s[14:15]
	s_mov_b64 exec, s[14:15]
	s_cbranch_execz .LBB113_302
; %bb.301:
	v_lshlrev_b32_e32 v20, 2, v16
	ds_read_b32 v20, v20 offset:9088
	ds_read_b32 v21, v18
	s_waitcnt lgkmcnt(0)
	v_fma_f32 v19, -v20, v21, v19
.LBB113_302:
	s_or_b64 exec, exec, s[0:1]
	v_cmp_eq_u32_e64 s[14:15], 2, v16
	s_and_b64 s[0:1], s[14:15], s[20:21]
	s_barrier
	s_and_saveexec_b64 s[14:15], s[0:1]
	s_cbranch_execz .LBB113_304
; %bb.303:
	v_mov_b32_e32 v20, 0
	ds_read_b32 v20, v20 offset:8840
	s_waitcnt lgkmcnt(0)
	v_mul_f32_e32 v19, v19, v20
	v_xor_b32_e32 v20, 0x80000000, v19
	ds_write_b32 v18, v20
.LBB113_304:
	s_or_b64 exec, exec, s[14:15]
	v_cmp_gt_u32_e64 s[14:15], 2, v16
	s_waitcnt lgkmcnt(0)
	s_barrier
	s_and_b64 s[16:17], s[14:15], s[20:21]
	s_mov_b64 s[14:15], exec
	v_writelane_b32 v27, s16, 55
	v_writelane_b32 v27, s17, 56
	s_and_b64 s[16:17], s[14:15], s[16:17]
	s_mov_b64 exec, s[16:17]
	s_cbranch_execz .LBB113_306
; %bb.305:
	v_lshlrev_b32_e32 v20, 2, v16
	ds_read_b32 v20, v20 offset:8832
	ds_read_b32 v21, v18
	s_waitcnt lgkmcnt(0)
	v_fma_f32 v19, -v20, v21, v19
.LBB113_306:
	s_or_b64 exec, exec, s[14:15]
	v_cmp_eq_u32_e64 s[14:15], 1, v16
	s_barrier
	s_and_b64 s[16:17], s[14:15], s[20:21]
	s_mov_b64 s[14:15], exec
	v_writelane_b32 v27, s16, 57
	v_writelane_b32 v27, s17, 58
	s_and_b64 s[16:17], s[14:15], s[16:17]
	s_mov_b64 exec, s[16:17]
	s_cbranch_execz .LBB113_308
; %bb.307:
	v_mov_b32_e32 v20, 0
	ds_read_b32 v20, v20 offset:8580
	s_waitcnt lgkmcnt(0)
	v_mul_f32_e32 v19, v19, v20
	v_xor_b32_e32 v20, 0x80000000, v19
	ds_write_b32 v18, v20
.LBB113_308:
	s_or_b64 exec, exec, s[14:15]
	v_cmp_eq_u32_e64 s[14:15], 0, v16
	s_and_b64 s[86:87], s[14:15], s[20:21]
	s_waitcnt lgkmcnt(0)
	s_barrier
	s_and_saveexec_b64 s[14:15], s[86:87]
	s_cbranch_execz .LBB113_310
; %bb.309:
	v_mov_b32_e32 v20, 0
	ds_read_b32 v20, v20 offset:8576
	ds_read_b32 v21, v18
	s_waitcnt lgkmcnt(0)
	v_fma_f32 v19, -v20, v21, v19
.LBB113_310:
	s_or_b64 exec, exec, s[14:15]
	s_barrier
	s_and_saveexec_b64 s[14:15], s[86:87]
	s_cbranch_execz .LBB113_312
; %bb.311:
	v_mov_b32_e32 v20, 0
	ds_read_b32 v20, v20 offset:8320
	s_waitcnt lgkmcnt(0)
	v_mul_f32_e32 v19, v19, v20
	v_xor_b32_e32 v20, 0x80000000, v19
	ds_write_b32 v18, v20
.LBB113_312:
	s_or_b64 exec, exec, s[14:15]
	s_waitcnt lgkmcnt(0)
	s_barrier
	s_barrier
	s_and_saveexec_b64 s[14:15], s[10:11]
; %bb.313:
	v_lshlrev_b32_e32 v20, 2, v16
	v_lshl_or_b32 v20, v17, 8, v20
	ds_write_b32 v20, v19 offset:12416
; %bb.314:
	s_or_b64 exec, exec, s[14:15]
	v_cmp_gt_u32_e64 s[14:15], 16, v0
	s_and_b64 s[92:93], s[12:13], s[14:15]
	s_waitcnt lgkmcnt(0)
	s_barrier
	s_barrier
	s_and_saveexec_b64 s[14:15], s[92:93]
	s_cbranch_execz .LBB113_316
; %bb.315:
	v_lshlrev_b32_e32 v19, 8, v0
	ds_read_b32 v20, v19 offset:12416
	s_movk_i32 s16, 0xff04
	v_mad_i32_i24 v21, v0, s16, v19
	s_waitcnt lgkmcnt(0)
	ds_write_b32 v21, v20 offset:8384
	ds_read_b32 v20, v19 offset:12420
	s_waitcnt lgkmcnt(0)
	ds_write_b32 v21, v20 offset:8640
	ds_read_b32 v20, v19 offset:12424
	;; [unrolled: 3-line block ×15, first 2 shown]
	s_waitcnt lgkmcnt(0)
	ds_write_b32 v21, v19 offset:12224
.LBB113_316:
	s_or_b64 exec, exec, s[14:15]
	s_waitcnt lgkmcnt(0)
	s_barrier
	s_and_saveexec_b64 s[14:15], vcc
	s_cbranch_execz .LBB113_318
; %bb.317:
	v_mov_b32_e32 v21, 0
	ds_read_b64 v[19:20], v21 offset:12216
	ds_read_b32 v21, v21 offset:11960
	s_movk_i32 s16, 0x2c00
	s_waitcnt lgkmcnt(0)
	v_mul_f32_e32 v20, v21, v20
	v_mul_f32_e32 v19, v19, v20
	v_add_u32_e64 v20, s16, 0
	ds_write2_b32 v20, v19, v19 offset0:175 offset1:238
.LBB113_318:
	s_or_b64 exec, exec, s[14:15]
	v_mov_b32_e32 v19, 0
	s_waitcnt lgkmcnt(0)
	s_barrier
	buffer_wbinvl1_vol
	s_and_saveexec_b64 s[16:17], s[2:3]
	s_cbranch_execz .LBB113_322
; %bb.319:
	v_lshlrev_b32_e32 v19, 8, v3
	v_lshlrev_b32_e32 v20, 2, v1
	ds_read_b32 v21, v20 offset:11952
	ds_read_b32 v19, v19 offset:11960
	v_mov_b32_e32 v20, 0
	v_cmp_gt_u32_e64 s[14:15], 2, v5
	s_waitcnt lgkmcnt(0)
	v_fma_f32 v19, v21, v19, 0
	s_and_saveexec_b64 s[20:21], s[14:15]
	s_cbranch_execz .LBB113_321
; %bb.320:
	v_lshlrev_b32_e32 v21, 2, v0
	ds_read_b32 v21, v21 offset:12208
	ds_read_b32 v20, v20 offset:12220
	s_waitcnt lgkmcnt(0)
	v_fmac_f32_e32 v19, v21, v20
.LBB113_321:
	s_or_b64 exec, exec, s[20:21]
.LBB113_322:
	s_or_b64 exec, exec, s[16:17]
	s_and_saveexec_b64 s[14:15], s[38:39]
	s_cbranch_execz .LBB113_324
; %bb.323:
	v_mov_b32_e32 v20, 0
	ds_read_b32 v20, v20 offset:11700
	s_waitcnt lgkmcnt(0)
	v_mul_f32_e32 v19, v19, v20
	v_xor_b32_e32 v20, 0x80000000, v19
	ds_write_b32 v4, v20
.LBB113_324:
	s_or_b64 exec, exec, s[14:15]
	s_waitcnt lgkmcnt(0)
	s_barrier
	s_and_saveexec_b64 s[14:15], s[36:37]
	s_cbranch_execz .LBB113_326
; %bb.325:
	v_mov_b32_e32 v20, 0
	ds_read_b32 v20, v20 offset:11696
	ds_read_b32 v21, v4
	s_waitcnt lgkmcnt(0)
	v_fma_f32 v19, -v20, v21, v19
.LBB113_326:
	s_or_b64 exec, exec, s[14:15]
	s_barrier
	s_and_saveexec_b64 s[14:15], s[36:37]
	s_cbranch_execz .LBB113_328
; %bb.327:
	v_mov_b32_e32 v20, 0
	ds_read_b32 v20, v20 offset:11440
	s_waitcnt lgkmcnt(0)
	v_mul_f32_e32 v19, v19, v20
	v_xor_b32_e32 v20, 0x80000000, v19
	ds_write_b32 v4, v20
.LBB113_328:
	s_or_b64 exec, exec, s[14:15]
	s_waitcnt lgkmcnt(0)
	s_barrier
	s_barrier
	s_and_saveexec_b64 s[14:15], s[2:3]
; %bb.329:
	v_lshlrev_b32_e32 v20, 2, v1
	v_lshl_or_b32 v20, v3, 8, v20
	ds_write_b32 v20, v19 offset:11952
; %bb.330:
	s_or_b64 exec, exec, s[14:15]
	s_waitcnt lgkmcnt(0)
	s_barrier
	s_barrier
	s_and_saveexec_b64 s[14:15], s[40:41]
	s_cbranch_execz .LBB113_332
; %bb.331:
	v_lshlrev_b32_e32 v19, 2, v0
	s_movk_i32 s16, 0xfc
	v_mad_u32_u24 v20, v0, s16, v19
	ds_read_b32 v21, v20 offset:11952
	s_waitcnt lgkmcnt(0)
	ds_write_b32 v19, v21 offset:11448
	ds_read_b32 v20, v20 offset:11956
	s_waitcnt lgkmcnt(0)
	ds_write_b32 v19, v20 offset:11704
.LBB113_332:
	s_or_b64 exec, exec, s[14:15]
	s_waitcnt lgkmcnt(0)
	s_barrier
	s_and_saveexec_b64 s[14:15], vcc
	s_cbranch_execz .LBB113_334
; %bb.333:
	v_mov_b32_e32 v21, 0
	ds_read_b64 v[19:20], v21 offset:11696
	ds_read_b32 v21, v21 offset:11440
	s_movk_i32 s16, 0x2c00
	s_waitcnt lgkmcnt(0)
	v_mul_f32_e32 v20, v21, v20
	v_mul_f32_e32 v19, v19, v20
	v_add_u32_e64 v20, s16, 0
	ds_write2_b32 v20, v19, v19 offset0:45 offset1:108
.LBB113_334:
	s_or_b64 exec, exec, s[14:15]
	v_mov_b32_e32 v19, 0
	s_waitcnt lgkmcnt(0)
	s_barrier
	buffer_wbinvl1_vol
	s_and_saveexec_b64 s[16:17], s[18:19]
	s_cbranch_execz .LBB113_340
; %bb.335:
	v_lshlrev_b32_e32 v21, 2, v6
	v_lshlrev_b32_e32 v20, 8, v11
	ds_read_b32 v19, v21 offset:11424
	ds_read_b32 v22, v20 offset:11440
	v_cmp_gt_u32_e64 s[14:15], 12, v5
	s_waitcnt lgkmcnt(0)
	v_fma_f32 v19, v19, v22, 0
	s_and_saveexec_b64 s[20:21], s[14:15]
	s_cbranch_execnz .LBB113_1220
; %bb.336:
	s_or_b64 exec, exec, s[20:21]
	v_cmp_gt_u32_e64 s[14:15], 8, v5
	s_and_saveexec_b64 s[20:21], s[14:15]
	s_cbranch_execnz .LBB113_1221
.LBB113_337:
	s_or_b64 exec, exec, s[20:21]
	v_cmp_gt_u32_e64 s[14:15], 4, v5
	s_and_saveexec_b64 s[20:21], s[14:15]
	s_cbranch_execz .LBB113_339
.LBB113_338:
	v_lshlrev_b32_e32 v20, 2, v0
	v_mov_b32_e32 v21, 0
	ds_read_b32 v20, v20 offset:12192
	ds_read_b32 v21, v21 offset:12220
	s_waitcnt lgkmcnt(0)
	v_fmac_f32_e32 v19, v20, v21
.LBB113_339:
	s_or_b64 exec, exec, s[20:21]
.LBB113_340:
	s_or_b64 exec, exec, s[16:17]
	s_and_saveexec_b64 s[14:15], s[44:45]
	s_cbranch_execz .LBB113_342
; %bb.341:
	v_mov_b32_e32 v20, 0
	ds_read_b32 v20, v20 offset:11180
	s_waitcnt lgkmcnt(0)
	v_mul_f32_e32 v19, v19, v20
	v_xor_b32_e32 v20, 0x80000000, v19
	ds_write_b32 v12, v20
.LBB113_342:
	s_or_b64 exec, exec, s[14:15]
	s_waitcnt lgkmcnt(0)
	s_barrier
	s_and_saveexec_b64 s[14:15], s[46:47]
	s_cbranch_execz .LBB113_344
; %bb.343:
	v_lshlrev_b32_e32 v20, 2, v6
	ds_read_b32 v20, v20 offset:11168
	ds_read_b32 v21, v12
	s_waitcnt lgkmcnt(0)
	v_fma_f32 v19, -v20, v21, v19
.LBB113_344:
	s_or_b64 exec, exec, s[14:15]
	s_barrier
	s_and_saveexec_b64 s[14:15], s[48:49]
	s_cbranch_execz .LBB113_346
; %bb.345:
	v_mov_b32_e32 v20, 0
	ds_read_b32 v20, v20 offset:10920
	s_waitcnt lgkmcnt(0)
	v_mul_f32_e32 v19, v19, v20
	v_xor_b32_e32 v20, 0x80000000, v19
	ds_write_b32 v12, v20
.LBB113_346:
	s_or_b64 exec, exec, s[14:15]
	s_waitcnt lgkmcnt(0)
	s_barrier
	s_and_saveexec_b64 s[14:15], s[50:51]
	s_cbranch_execz .LBB113_348
; %bb.347:
	v_lshlrev_b32_e32 v20, 2, v6
	ds_read_b32 v20, v20 offset:10912
	ds_read_b32 v21, v12
	s_waitcnt lgkmcnt(0)
	v_fma_f32 v19, -v20, v21, v19
.LBB113_348:
	s_or_b64 exec, exec, s[14:15]
	s_barrier
	s_and_saveexec_b64 s[14:15], s[52:53]
	s_cbranch_execz .LBB113_350
; %bb.349:
	v_mov_b32_e32 v20, 0
	ds_read_b32 v20, v20 offset:10660
	s_waitcnt lgkmcnt(0)
	v_mul_f32_e32 v19, v19, v20
	v_xor_b32_e32 v20, 0x80000000, v19
	ds_write_b32 v12, v20
.LBB113_350:
	s_or_b64 exec, exec, s[14:15]
	s_waitcnt lgkmcnt(0)
	s_barrier
	s_and_saveexec_b64 s[14:15], s[42:43]
	s_cbranch_execz .LBB113_352
; %bb.351:
	v_mov_b32_e32 v20, 0
	ds_read_b32 v20, v20 offset:10656
	ds_read_b32 v21, v12
	s_waitcnt lgkmcnt(0)
	v_fma_f32 v19, -v20, v21, v19
.LBB113_352:
	s_or_b64 exec, exec, s[14:15]
	s_barrier
	s_and_saveexec_b64 s[14:15], s[42:43]
	s_cbranch_execz .LBB113_354
; %bb.353:
	v_mov_b32_e32 v20, 0
	ds_read_b32 v20, v20 offset:10400
	s_waitcnt lgkmcnt(0)
	v_mul_f32_e32 v19, v19, v20
	v_xor_b32_e32 v20, 0x80000000, v19
	ds_write_b32 v12, v20
.LBB113_354:
	s_or_b64 exec, exec, s[14:15]
	s_waitcnt lgkmcnt(0)
	s_barrier
	s_barrier
	s_and_saveexec_b64 s[14:15], s[18:19]
; %bb.355:
	v_lshlrev_b32_e32 v20, 2, v6
	v_lshl_or_b32 v20, v11, 8, v20
	ds_write_b32 v20, v19 offset:11424
; %bb.356:
	s_or_b64 exec, exec, s[14:15]
	s_waitcnt lgkmcnt(0)
	s_barrier
	s_barrier
	s_and_saveexec_b64 s[14:15], s[54:55]
	s_cbranch_execz .LBB113_358
; %bb.357:
	v_lshlrev_b32_e32 v19, 8, v0
	ds_read_b32 v20, v19 offset:11424
	s_movk_i32 s16, 0xff04
	v_mad_i32_i24 v21, v0, s16, v19
	s_waitcnt lgkmcnt(0)
	ds_write_b32 v21, v20 offset:10416
	ds_read_b32 v20, v19 offset:11428
	s_waitcnt lgkmcnt(0)
	ds_write_b32 v21, v20 offset:10672
	ds_read_b32 v20, v19 offset:11432
	;; [unrolled: 3-line block ×3, first 2 shown]
	s_waitcnt lgkmcnt(0)
	ds_write_b32 v21, v19 offset:11184
.LBB113_358:
	s_or_b64 exec, exec, s[14:15]
	s_waitcnt lgkmcnt(0)
	s_barrier
	s_and_saveexec_b64 s[14:15], vcc
	s_cbranch_execz .LBB113_360
; %bb.359:
	v_mov_b32_e32 v21, 0
	ds_read_b64 v[19:20], v21 offset:11176
	ds_read_b32 v21, v21 offset:10920
	s_movk_i32 s16, 0x2800
	s_waitcnt lgkmcnt(0)
	v_mul_f32_e32 v20, v21, v20
	v_mul_f32_e32 v19, v19, v20
	v_add_u32_e64 v20, s16, 0
	ds_write2_b32 v20, v19, v19 offset0:171 offset1:234
.LBB113_360:
	s_or_b64 exec, exec, s[14:15]
	v_mov_b32_e32 v19, 0
	s_waitcnt lgkmcnt(0)
	s_barrier
	buffer_wbinvl1_vol
	s_and_saveexec_b64 s[16:17], s[2:3]
	s_cbranch_execz .LBB113_364
; %bb.361:
	v_lshlrev_b32_e32 v19, 8, v3
	v_lshlrev_b32_e32 v20, 2, v1
	ds_read_b32 v21, v20 offset:10912
	ds_read_b32 v19, v19 offset:10920
	v_mov_b32_e32 v20, 0
	v_cmp_gt_u32_e64 s[14:15], 2, v5
	s_waitcnt lgkmcnt(0)
	v_fma_f32 v19, v21, v19, 0
	s_and_saveexec_b64 s[20:21], s[14:15]
	s_cbranch_execz .LBB113_363
; %bb.362:
	v_lshlrev_b32_e32 v21, 2, v0
	ds_read_b32 v21, v21 offset:11168
	ds_read_b32 v20, v20 offset:11180
	s_waitcnt lgkmcnt(0)
	v_fmac_f32_e32 v19, v21, v20
.LBB113_363:
	s_or_b64 exec, exec, s[20:21]
.LBB113_364:
	s_or_b64 exec, exec, s[16:17]
	s_and_saveexec_b64 s[14:15], s[38:39]
	s_cbranch_execz .LBB113_366
; %bb.365:
	v_mov_b32_e32 v20, 0
	ds_read_b32 v20, v20 offset:10660
	s_waitcnt lgkmcnt(0)
	v_mul_f32_e32 v19, v19, v20
	v_xor_b32_e32 v20, 0x80000000, v19
	ds_write_b32 v4, v20
.LBB113_366:
	s_or_b64 exec, exec, s[14:15]
	s_waitcnt lgkmcnt(0)
	s_barrier
	s_and_saveexec_b64 s[14:15], s[36:37]
	s_cbranch_execz .LBB113_368
; %bb.367:
	v_mov_b32_e32 v20, 0
	ds_read_b32 v20, v20 offset:10656
	ds_read_b32 v21, v4
	s_waitcnt lgkmcnt(0)
	v_fma_f32 v19, -v20, v21, v19
.LBB113_368:
	s_or_b64 exec, exec, s[14:15]
	s_barrier
	s_and_saveexec_b64 s[14:15], s[36:37]
	s_cbranch_execz .LBB113_370
; %bb.369:
	v_mov_b32_e32 v20, 0
	ds_read_b32 v20, v20 offset:10400
	s_waitcnt lgkmcnt(0)
	v_mul_f32_e32 v19, v19, v20
	v_xor_b32_e32 v20, 0x80000000, v19
	ds_write_b32 v4, v20
.LBB113_370:
	s_or_b64 exec, exec, s[14:15]
	s_waitcnt lgkmcnt(0)
	s_barrier
	s_barrier
	s_and_saveexec_b64 s[14:15], s[2:3]
; %bb.371:
	v_lshlrev_b32_e32 v20, 2, v1
	v_lshl_or_b32 v20, v3, 8, v20
	ds_write_b32 v20, v19 offset:10912
; %bb.372:
	s_or_b64 exec, exec, s[14:15]
	s_waitcnt lgkmcnt(0)
	s_barrier
	s_barrier
	s_and_saveexec_b64 s[14:15], s[40:41]
	s_cbranch_execz .LBB113_374
; %bb.373:
	v_lshlrev_b32_e32 v19, 2, v0
	s_movk_i32 s16, 0xfc
	v_mad_u32_u24 v20, v0, s16, v19
	ds_read_b32 v21, v20 offset:10912
	s_waitcnt lgkmcnt(0)
	ds_write_b32 v19, v21 offset:10408
	ds_read_b32 v20, v20 offset:10916
	s_waitcnt lgkmcnt(0)
	ds_write_b32 v19, v20 offset:10664
.LBB113_374:
	s_or_b64 exec, exec, s[14:15]
	s_waitcnt lgkmcnt(0)
	s_barrier
	s_and_saveexec_b64 s[14:15], vcc
	s_cbranch_execz .LBB113_376
; %bb.375:
	v_mov_b32_e32 v21, 0
	ds_read_b64 v[19:20], v21 offset:10656
	ds_read_b32 v21, v21 offset:10400
	s_movk_i32 s16, 0x2800
	s_waitcnt lgkmcnt(0)
	v_mul_f32_e32 v20, v21, v20
	v_mul_f32_e32 v19, v19, v20
	v_add_u32_e64 v20, s16, 0
	ds_write2_b32 v20, v19, v19 offset0:41 offset1:104
.LBB113_376:
	s_or_b64 exec, exec, s[14:15]
	v_mov_b32_e32 v19, 0
	s_waitcnt lgkmcnt(0)
	s_barrier
	buffer_wbinvl1_vol
	s_and_saveexec_b64 s[16:17], s[8:9]
	s_cbranch_execz .LBB113_386
; %bb.377:
	v_lshlrev_b32_e32 v21, 2, v13
	v_lshlrev_b32_e32 v20, 8, v14
	ds_read_b32 v19, v21 offset:10368
	ds_read_b32 v22, v20 offset:10400
	v_cmp_gt_u32_e64 s[14:15], 56, v5
	s_waitcnt lgkmcnt(0)
	v_fma_f32 v19, v19, v22, 0
	s_and_saveexec_b64 s[20:21], s[14:15]
	s_cbranch_execnz .LBB113_1222
; %bb.378:
	s_or_b64 exec, exec, s[20:21]
	v_cmp_gt_u32_e64 s[14:15], 48, v5
	s_and_saveexec_b64 s[20:21], s[14:15]
	s_cbranch_execnz .LBB113_1223
.LBB113_379:
	s_or_b64 exec, exec, s[20:21]
	v_cmp_gt_u32_e64 s[14:15], 40, v5
	s_and_saveexec_b64 s[20:21], s[14:15]
	s_cbranch_execnz .LBB113_1224
.LBB113_380:
	s_or_b64 exec, exec, s[20:21]
	v_cmp_gt_u32_e64 s[14:15], 32, v5
	s_and_saveexec_b64 s[20:21], s[14:15]
	s_cbranch_execnz .LBB113_1225
.LBB113_381:
	s_or_b64 exec, exec, s[20:21]
	v_cmp_gt_u32_e64 s[14:15], 24, v5
	s_and_saveexec_b64 s[20:21], s[14:15]
	s_cbranch_execnz .LBB113_1226
.LBB113_382:
	s_or_b64 exec, exec, s[20:21]
	s_and_saveexec_b64 s[14:15], s[18:19]
	s_cbranch_execnz .LBB113_1227
.LBB113_383:
	s_or_b64 exec, exec, s[14:15]
	v_cmp_gt_u32_e64 s[14:15], 8, v5
	s_and_saveexec_b64 s[20:21], s[14:15]
	s_cbranch_execz .LBB113_385
.LBB113_384:
	v_lshlrev_b32_e32 v20, 2, v0
	v_mov_b32_e32 v21, 0
	ds_read_b32 v20, v20 offset:12160
	ds_read_b32 v21, v21 offset:12220
	s_waitcnt lgkmcnt(0)
	v_fmac_f32_e32 v19, v20, v21
.LBB113_385:
	s_or_b64 exec, exec, s[20:21]
.LBB113_386:
	s_or_b64 exec, exec, s[16:17]
	s_and_saveexec_b64 s[14:15], s[56:57]
	s_cbranch_execz .LBB113_388
; %bb.387:
	v_mov_b32_e32 v20, 0
	ds_read_b32 v20, v20 offset:10140
	s_waitcnt lgkmcnt(0)
	v_mul_f32_e32 v19, v19, v20
	v_xor_b32_e32 v20, 0x80000000, v19
	ds_write_b32 v15, v20
.LBB113_388:
	s_or_b64 exec, exec, s[14:15]
	s_waitcnt lgkmcnt(0)
	s_barrier
	s_and_saveexec_b64 s[14:15], s[58:59]
	s_cbranch_execz .LBB113_390
; %bb.389:
	v_lshlrev_b32_e32 v20, 2, v13
	ds_read_b32 v20, v20 offset:10112
	ds_read_b32 v21, v15
	s_waitcnt lgkmcnt(0)
	v_fma_f32 v19, -v20, v21, v19
.LBB113_390:
	s_or_b64 exec, exec, s[14:15]
	s_barrier
	s_and_saveexec_b64 s[14:15], s[60:61]
	s_cbranch_execz .LBB113_392
; %bb.391:
	v_mov_b32_e32 v20, 0
	ds_read_b32 v20, v20 offset:9880
	s_waitcnt lgkmcnt(0)
	v_mul_f32_e32 v19, v19, v20
	v_xor_b32_e32 v20, 0x80000000, v19
	ds_write_b32 v15, v20
.LBB113_392:
	s_or_b64 exec, exec, s[14:15]
	s_waitcnt lgkmcnt(0)
	s_barrier
	s_and_saveexec_b64 s[14:15], s[62:63]
	s_cbranch_execz .LBB113_394
; %bb.393:
	v_lshlrev_b32_e32 v20, 2, v13
	ds_read_b32 v20, v20 offset:9856
	ds_read_b32 v21, v15
	s_waitcnt lgkmcnt(0)
	v_fma_f32 v19, -v20, v21, v19
.LBB113_394:
	s_or_b64 exec, exec, s[14:15]
	s_barrier
	;; [unrolled: 24-line block ×6, first 2 shown]
	s_and_saveexec_b64 s[14:15], s[82:83]
	s_cbranch_execz .LBB113_412
; %bb.411:
	v_mov_b32_e32 v20, 0
	ds_read_b32 v20, v20 offset:8580
	s_waitcnt lgkmcnt(0)
	v_mul_f32_e32 v19, v19, v20
	v_xor_b32_e32 v20, 0x80000000, v19
	ds_write_b32 v15, v20
.LBB113_412:
	s_or_b64 exec, exec, s[14:15]
	s_waitcnt lgkmcnt(0)
	s_barrier
	s_and_saveexec_b64 s[14:15], s[66:67]
	s_cbranch_execz .LBB113_414
; %bb.413:
	v_mov_b32_e32 v20, 0
	ds_read_b32 v20, v20 offset:8576
	ds_read_b32 v21, v15
	s_waitcnt lgkmcnt(0)
	v_fma_f32 v19, -v20, v21, v19
.LBB113_414:
	s_or_b64 exec, exec, s[14:15]
	s_barrier
	s_and_saveexec_b64 s[14:15], s[66:67]
	s_cbranch_execz .LBB113_416
; %bb.415:
	v_mov_b32_e32 v20, 0
	ds_read_b32 v20, v20 offset:8320
	s_waitcnt lgkmcnt(0)
	v_mul_f32_e32 v19, v19, v20
	v_xor_b32_e32 v20, 0x80000000, v19
	ds_write_b32 v15, v20
.LBB113_416:
	s_or_b64 exec, exec, s[14:15]
	s_waitcnt lgkmcnt(0)
	s_barrier
	s_barrier
	s_and_saveexec_b64 s[14:15], s[8:9]
; %bb.417:
	v_lshlrev_b32_e32 v20, 2, v13
	v_lshl_or_b32 v20, v14, 8, v20
	ds_write_b32 v20, v19 offset:10368
; %bb.418:
	s_or_b64 exec, exec, s[14:15]
	s_waitcnt lgkmcnt(0)
	s_barrier
	s_barrier
	s_and_saveexec_b64 s[14:15], s[84:85]
	s_cbranch_execz .LBB113_420
; %bb.419:
	v_lshlrev_b32_e32 v19, 8, v0
	ds_read_b32 v20, v19 offset:10368
	s_movk_i32 s16, 0xff04
	v_mad_i32_i24 v21, v0, s16, v19
	s_waitcnt lgkmcnt(0)
	ds_write_b32 v21, v20 offset:8352
	ds_read_b32 v20, v19 offset:10372
	s_waitcnt lgkmcnt(0)
	ds_write_b32 v21, v20 offset:8608
	ds_read_b32 v20, v19 offset:10376
	;; [unrolled: 3-line block ×7, first 2 shown]
	s_waitcnt lgkmcnt(0)
	ds_write_b32 v21, v19 offset:10144
.LBB113_420:
	s_or_b64 exec, exec, s[14:15]
	s_waitcnt lgkmcnt(0)
	s_barrier
	s_and_saveexec_b64 s[14:15], vcc
	s_cbranch_execz .LBB113_422
; %bb.421:
	v_mov_b32_e32 v21, 0
	ds_read_b64 v[19:20], v21 offset:10136
	ds_read_b32 v21, v21 offset:9880
	s_movk_i32 s16, 0x2400
	s_waitcnt lgkmcnt(0)
	v_mul_f32_e32 v20, v21, v20
	v_mul_f32_e32 v19, v19, v20
	v_add_u32_e64 v20, s16, 0
	ds_write2_b32 v20, v19, v19 offset0:167 offset1:230
.LBB113_422:
	s_or_b64 exec, exec, s[14:15]
	v_mov_b32_e32 v19, 0
	s_waitcnt lgkmcnt(0)
	s_barrier
	buffer_wbinvl1_vol
	s_and_saveexec_b64 s[16:17], s[2:3]
	s_cbranch_execz .LBB113_426
; %bb.423:
	v_lshlrev_b32_e32 v19, 8, v3
	v_lshlrev_b32_e32 v20, 2, v1
	ds_read_b32 v21, v20 offset:9872
	ds_read_b32 v19, v19 offset:9880
	v_mov_b32_e32 v20, 0
	v_cmp_gt_u32_e64 s[14:15], 2, v5
	s_waitcnt lgkmcnt(0)
	v_fma_f32 v19, v21, v19, 0
	s_and_saveexec_b64 s[20:21], s[14:15]
	s_cbranch_execz .LBB113_425
; %bb.424:
	v_lshlrev_b32_e32 v21, 2, v0
	ds_read_b32 v21, v21 offset:10128
	ds_read_b32 v20, v20 offset:10140
	s_waitcnt lgkmcnt(0)
	v_fmac_f32_e32 v19, v21, v20
.LBB113_425:
	s_or_b64 exec, exec, s[20:21]
.LBB113_426:
	s_or_b64 exec, exec, s[16:17]
	s_and_saveexec_b64 s[14:15], s[38:39]
	s_cbranch_execz .LBB113_428
; %bb.427:
	v_mov_b32_e32 v20, 0
	ds_read_b32 v20, v20 offset:9620
	s_waitcnt lgkmcnt(0)
	v_mul_f32_e32 v19, v19, v20
	v_xor_b32_e32 v20, 0x80000000, v19
	ds_write_b32 v4, v20
.LBB113_428:
	s_or_b64 exec, exec, s[14:15]
	s_waitcnt lgkmcnt(0)
	s_barrier
	s_and_saveexec_b64 s[14:15], s[36:37]
	s_cbranch_execz .LBB113_430
; %bb.429:
	v_mov_b32_e32 v20, 0
	ds_read_b32 v20, v20 offset:9616
	ds_read_b32 v21, v4
	s_waitcnt lgkmcnt(0)
	v_fma_f32 v19, -v20, v21, v19
.LBB113_430:
	s_or_b64 exec, exec, s[14:15]
	s_barrier
	s_and_saveexec_b64 s[14:15], s[36:37]
	s_cbranch_execz .LBB113_432
; %bb.431:
	v_mov_b32_e32 v20, 0
	ds_read_b32 v20, v20 offset:9360
	s_waitcnt lgkmcnt(0)
	v_mul_f32_e32 v19, v19, v20
	v_xor_b32_e32 v20, 0x80000000, v19
	ds_write_b32 v4, v20
.LBB113_432:
	s_or_b64 exec, exec, s[14:15]
	s_waitcnt lgkmcnt(0)
	s_barrier
	s_barrier
	s_and_saveexec_b64 s[14:15], s[2:3]
; %bb.433:
	v_lshlrev_b32_e32 v20, 2, v1
	v_lshl_or_b32 v20, v3, 8, v20
	ds_write_b32 v20, v19 offset:9872
; %bb.434:
	s_or_b64 exec, exec, s[14:15]
	s_waitcnt lgkmcnt(0)
	s_barrier
	s_barrier
	s_and_saveexec_b64 s[14:15], s[40:41]
	s_cbranch_execz .LBB113_436
; %bb.435:
	v_lshlrev_b32_e32 v19, 2, v0
	s_movk_i32 s16, 0xfc
	v_mad_u32_u24 v20, v0, s16, v19
	ds_read_b32 v21, v20 offset:9872
	s_waitcnt lgkmcnt(0)
	ds_write_b32 v19, v21 offset:9368
	ds_read_b32 v20, v20 offset:9876
	s_waitcnt lgkmcnt(0)
	ds_write_b32 v19, v20 offset:9624
.LBB113_436:
	s_or_b64 exec, exec, s[14:15]
	s_waitcnt lgkmcnt(0)
	s_barrier
	s_and_saveexec_b64 s[14:15], vcc
	s_cbranch_execz .LBB113_438
; %bb.437:
	v_mov_b32_e32 v21, 0
	ds_read_b64 v[19:20], v21 offset:9616
	ds_read_b32 v21, v21 offset:9360
	s_movk_i32 s16, 0x2400
	s_waitcnt lgkmcnt(0)
	v_mul_f32_e32 v20, v21, v20
	v_mul_f32_e32 v19, v19, v20
	v_add_u32_e64 v20, s16, 0
	ds_write2_b32 v20, v19, v19 offset0:37 offset1:100
.LBB113_438:
	s_or_b64 exec, exec, s[14:15]
	v_mov_b32_e32 v19, 0
	s_waitcnt lgkmcnt(0)
	s_barrier
	buffer_wbinvl1_vol
	s_and_saveexec_b64 s[16:17], s[18:19]
	s_cbranch_execz .LBB113_444
; %bb.439:
	v_lshlrev_b32_e32 v21, 2, v6
	v_lshlrev_b32_e32 v20, 8, v11
	ds_read_b32 v19, v21 offset:9344
	ds_read_b32 v22, v20 offset:9360
	v_cmp_gt_u32_e64 s[14:15], 12, v5
	s_waitcnt lgkmcnt(0)
	v_fma_f32 v19, v19, v22, 0
	s_and_saveexec_b64 s[20:21], s[14:15]
	s_cbranch_execnz .LBB113_1228
; %bb.440:
	s_or_b64 exec, exec, s[20:21]
	v_cmp_gt_u32_e64 s[14:15], 8, v5
	s_and_saveexec_b64 s[20:21], s[14:15]
	s_cbranch_execnz .LBB113_1229
.LBB113_441:
	s_or_b64 exec, exec, s[20:21]
	v_cmp_gt_u32_e64 s[14:15], 4, v5
	s_and_saveexec_b64 s[20:21], s[14:15]
	s_cbranch_execz .LBB113_443
.LBB113_442:
	v_lshlrev_b32_e32 v20, 2, v0
	v_mov_b32_e32 v21, 0
	ds_read_b32 v20, v20 offset:10112
	ds_read_b32 v21, v21 offset:10140
	s_waitcnt lgkmcnt(0)
	v_fmac_f32_e32 v19, v20, v21
.LBB113_443:
	s_or_b64 exec, exec, s[20:21]
.LBB113_444:
	s_or_b64 exec, exec, s[16:17]
	s_and_saveexec_b64 s[14:15], s[44:45]
	s_cbranch_execz .LBB113_446
; %bb.445:
	v_mov_b32_e32 v20, 0
	ds_read_b32 v20, v20 offset:9100
	s_waitcnt lgkmcnt(0)
	v_mul_f32_e32 v19, v19, v20
	v_xor_b32_e32 v20, 0x80000000, v19
	ds_write_b32 v12, v20
.LBB113_446:
	s_or_b64 exec, exec, s[14:15]
	s_waitcnt lgkmcnt(0)
	s_barrier
	s_and_saveexec_b64 s[14:15], s[46:47]
	s_cbranch_execz .LBB113_448
; %bb.447:
	v_lshlrev_b32_e32 v20, 2, v6
	ds_read_b32 v20, v20 offset:9088
	ds_read_b32 v21, v12
	s_waitcnt lgkmcnt(0)
	v_fma_f32 v19, -v20, v21, v19
.LBB113_448:
	s_or_b64 exec, exec, s[14:15]
	s_barrier
	s_and_saveexec_b64 s[14:15], s[48:49]
	s_cbranch_execz .LBB113_450
; %bb.449:
	v_mov_b32_e32 v20, 0
	ds_read_b32 v20, v20 offset:8840
	s_waitcnt lgkmcnt(0)
	v_mul_f32_e32 v19, v19, v20
	v_xor_b32_e32 v20, 0x80000000, v19
	ds_write_b32 v12, v20
.LBB113_450:
	s_or_b64 exec, exec, s[14:15]
	s_waitcnt lgkmcnt(0)
	s_barrier
	s_and_saveexec_b64 s[14:15], s[50:51]
	s_cbranch_execz .LBB113_452
; %bb.451:
	v_lshlrev_b32_e32 v20, 2, v6
	ds_read_b32 v20, v20 offset:8832
	ds_read_b32 v21, v12
	s_waitcnt lgkmcnt(0)
	v_fma_f32 v19, -v20, v21, v19
.LBB113_452:
	s_or_b64 exec, exec, s[14:15]
	s_barrier
	s_and_saveexec_b64 s[14:15], s[52:53]
	s_cbranch_execz .LBB113_454
; %bb.453:
	v_mov_b32_e32 v20, 0
	ds_read_b32 v20, v20 offset:8580
	s_waitcnt lgkmcnt(0)
	v_mul_f32_e32 v19, v19, v20
	v_xor_b32_e32 v20, 0x80000000, v19
	ds_write_b32 v12, v20
.LBB113_454:
	s_or_b64 exec, exec, s[14:15]
	s_waitcnt lgkmcnt(0)
	s_barrier
	s_and_saveexec_b64 s[14:15], s[42:43]
	s_cbranch_execz .LBB113_456
; %bb.455:
	v_mov_b32_e32 v20, 0
	ds_read_b32 v20, v20 offset:8576
	ds_read_b32 v21, v12
	s_waitcnt lgkmcnt(0)
	v_fma_f32 v19, -v20, v21, v19
.LBB113_456:
	s_or_b64 exec, exec, s[14:15]
	s_barrier
	s_and_saveexec_b64 s[14:15], s[42:43]
	s_cbranch_execz .LBB113_458
; %bb.457:
	v_mov_b32_e32 v20, 0
	ds_read_b32 v20, v20 offset:8320
	s_waitcnt lgkmcnt(0)
	v_mul_f32_e32 v19, v19, v20
	v_xor_b32_e32 v20, 0x80000000, v19
	ds_write_b32 v12, v20
.LBB113_458:
	s_or_b64 exec, exec, s[14:15]
	s_waitcnt lgkmcnt(0)
	s_barrier
	s_barrier
	s_and_saveexec_b64 s[14:15], s[18:19]
; %bb.459:
	v_lshlrev_b32_e32 v20, 2, v6
	v_lshl_or_b32 v20, v11, 8, v20
	ds_write_b32 v20, v19 offset:9344
; %bb.460:
	s_or_b64 exec, exec, s[14:15]
	s_waitcnt lgkmcnt(0)
	s_barrier
	s_barrier
	s_and_saveexec_b64 s[14:15], s[54:55]
	s_cbranch_execz .LBB113_462
; %bb.461:
	v_lshlrev_b32_e32 v19, 8, v0
	ds_read_b32 v20, v19 offset:9344
	s_movk_i32 s16, 0xff04
	v_mad_i32_i24 v21, v0, s16, v19
	s_waitcnt lgkmcnt(0)
	ds_write_b32 v21, v20 offset:8336
	ds_read_b32 v20, v19 offset:9348
	s_waitcnt lgkmcnt(0)
	ds_write_b32 v21, v20 offset:8592
	ds_read_b32 v20, v19 offset:9352
	;; [unrolled: 3-line block ×3, first 2 shown]
	s_waitcnt lgkmcnt(0)
	ds_write_b32 v21, v19 offset:9104
.LBB113_462:
	s_or_b64 exec, exec, s[14:15]
	s_waitcnt lgkmcnt(0)
	s_barrier
	s_and_saveexec_b64 s[14:15], vcc
	s_cbranch_execz .LBB113_464
; %bb.463:
	v_mov_b32_e32 v21, 0
	ds_read_b64 v[19:20], v21 offset:9096
	ds_read_b32 v21, v21 offset:8840
	s_movk_i32 s16, 0x2000
	s_waitcnt lgkmcnt(0)
	v_mul_f32_e32 v20, v21, v20
	v_mul_f32_e32 v19, v19, v20
	v_add_u32_e64 v20, s16, 0
	ds_write2_b32 v20, v19, v19 offset0:163 offset1:226
.LBB113_464:
	s_or_b64 exec, exec, s[14:15]
	v_mov_b32_e32 v19, 0
	s_waitcnt lgkmcnt(0)
	s_barrier
	buffer_wbinvl1_vol
	s_and_saveexec_b64 s[16:17], s[2:3]
	s_cbranch_execz .LBB113_468
; %bb.465:
	v_lshlrev_b32_e32 v19, 8, v3
	v_lshlrev_b32_e32 v20, 2, v1
	ds_read_b32 v21, v20 offset:8832
	ds_read_b32 v19, v19 offset:8840
	v_mov_b32_e32 v20, 0
	v_cmp_gt_u32_e64 s[14:15], 2, v5
	s_waitcnt lgkmcnt(0)
	v_fma_f32 v19, v21, v19, 0
	s_and_saveexec_b64 s[20:21], s[14:15]
	s_cbranch_execz .LBB113_467
; %bb.466:
	v_lshlrev_b32_e32 v21, 2, v0
	ds_read_b32 v21, v21 offset:9088
	ds_read_b32 v20, v20 offset:9100
	s_waitcnt lgkmcnt(0)
	v_fmac_f32_e32 v19, v21, v20
.LBB113_467:
	s_or_b64 exec, exec, s[20:21]
.LBB113_468:
	s_or_b64 exec, exec, s[16:17]
	s_and_saveexec_b64 s[14:15], s[38:39]
	s_cbranch_execz .LBB113_470
; %bb.469:
	v_mov_b32_e32 v20, 0
	ds_read_b32 v20, v20 offset:8580
	s_waitcnt lgkmcnt(0)
	v_mul_f32_e32 v19, v19, v20
	v_xor_b32_e32 v20, 0x80000000, v19
	ds_write_b32 v4, v20
.LBB113_470:
	s_or_b64 exec, exec, s[14:15]
	s_waitcnt lgkmcnt(0)
	s_barrier
	s_and_saveexec_b64 s[14:15], s[36:37]
	s_cbranch_execz .LBB113_472
; %bb.471:
	v_mov_b32_e32 v20, 0
	ds_read_b32 v20, v20 offset:8576
	ds_read_b32 v21, v4
	s_waitcnt lgkmcnt(0)
	v_fma_f32 v19, -v20, v21, v19
.LBB113_472:
	s_or_b64 exec, exec, s[14:15]
	s_barrier
	s_and_saveexec_b64 s[14:15], s[36:37]
	s_cbranch_execz .LBB113_474
; %bb.473:
	v_mov_b32_e32 v20, 0
	ds_read_b32 v20, v20 offset:8320
	s_waitcnt lgkmcnt(0)
	v_mul_f32_e32 v19, v19, v20
	v_xor_b32_e32 v20, 0x80000000, v19
	ds_write_b32 v4, v20
.LBB113_474:
	s_or_b64 exec, exec, s[14:15]
	s_waitcnt lgkmcnt(0)
	s_barrier
	s_barrier
	s_and_saveexec_b64 s[14:15], s[2:3]
; %bb.475:
	v_lshlrev_b32_e32 v20, 2, v1
	v_lshl_or_b32 v20, v3, 8, v20
	ds_write_b32 v20, v19 offset:8832
; %bb.476:
	s_or_b64 exec, exec, s[14:15]
	s_waitcnt lgkmcnt(0)
	s_barrier
	s_barrier
	s_and_saveexec_b64 s[14:15], s[40:41]
	s_cbranch_execz .LBB113_478
; %bb.477:
	v_lshlrev_b32_e32 v19, 2, v0
	s_movk_i32 s16, 0xfc
	v_mad_u32_u24 v20, v0, s16, v19
	ds_read_b32 v21, v20 offset:8832
	s_waitcnt lgkmcnt(0)
	ds_write_b32 v19, v21 offset:8328
	ds_read_b32 v20, v20 offset:8836
	s_waitcnt lgkmcnt(0)
	ds_write_b32 v19, v20 offset:8584
.LBB113_478:
	s_or_b64 exec, exec, s[14:15]
	s_waitcnt lgkmcnt(0)
	s_barrier
	s_and_saveexec_b64 s[14:15], vcc
	s_cbranch_execz .LBB113_480
; %bb.479:
	v_mov_b32_e32 v21, 0
	ds_read_b64 v[19:20], v21 offset:8576
	ds_read_b32 v21, v21 offset:8320
	s_movk_i32 s16, 0x2000
	s_waitcnt lgkmcnt(0)
	v_mul_f32_e32 v20, v21, v20
	v_mul_f32_e32 v19, v19, v20
	v_add_u32_e64 v20, s16, 0
	ds_write2_b32 v20, v19, v19 offset0:33 offset1:96
.LBB113_480:
	s_or_b64 exec, exec, s[14:15]
	s_movk_i32 s14, 0x3ff
	v_lshrrev_b32_e32 v22, 5, v5
	v_cmp_lt_u32_e64 s[16:17], s14, v5
	s_movk_i32 s14, 0x400
	v_and_b32_e32 v19, 31, v0
	v_sub_u32_e32 v20, 31, v22
	v_cmp_gt_u32_e64 s[14:15], s14, v5
	v_mov_b32_e32 v21, 0
	s_waitcnt lgkmcnt(0)
	s_barrier
	buffer_wbinvl1_vol
	s_and_saveexec_b64 s[94:95], s[14:15]
	s_cbranch_execz .LBB113_542
; %bb.481:
	v_lshlrev_b32_e32 v24, 2, v19
	v_lshlrev_b32_e32 v23, 8, v20
	ds_read_b32 v21, v24 offset:8192
	ds_read_b32 v25, v23 offset:8320
	s_movk_i32 s20, 0x3e0
	v_cmp_gt_u32_e64 s[20:21], s20, v5
	s_waitcnt lgkmcnt(0)
	v_fma_f32 v21, v21, v25, 0
	s_and_saveexec_b64 s[22:23], s[20:21]
	s_cbranch_execz .LBB113_483
; %bb.482:
	ds_read_b32 v25, v24 offset:8448
	ds_read_b32 v26, v23 offset:8324
	s_waitcnt lgkmcnt(0)
	v_fmac_f32_e32 v21, v25, v26
.LBB113_483:
	s_or_b64 exec, exec, s[22:23]
	s_movk_i32 s20, 0x3c0
	v_cmp_gt_u32_e64 s[20:21], s20, v5
	s_and_saveexec_b64 s[22:23], s[20:21]
	s_cbranch_execz .LBB113_485
; %bb.484:
	ds_read_b32 v25, v24 offset:8704
	ds_read_b32 v26, v23 offset:8328
	s_waitcnt lgkmcnt(0)
	v_fmac_f32_e32 v21, v25, v26
.LBB113_485:
	s_or_b64 exec, exec, s[22:23]
	s_movk_i32 s20, 0x3a0
	v_cmp_gt_u32_e64 s[20:21], s20, v5
	;; [unrolled: 11-line block ×22, first 2 shown]
	s_and_saveexec_b64 s[22:23], s[20:21]
	s_cbranch_execz .LBB113_527
; %bb.526:
	ds_read_b32 v25, v24 offset:14080
	ds_read_b32 v26, v23 offset:8412
	s_waitcnt lgkmcnt(0)
	v_fmac_f32_e32 v21, v25, v26
.LBB113_527:
	s_or_b64 exec, exec, s[22:23]
	s_and_saveexec_b64 s[20:21], s[10:11]
	s_cbranch_execz .LBB113_529
; %bb.528:
	ds_read_b32 v25, v24 offset:14336
	ds_read_b32 v26, v23 offset:8416
	s_waitcnt lgkmcnt(0)
	v_fmac_f32_e32 v21, v25, v26
.LBB113_529:
	s_or_b64 exec, exec, s[20:21]
	s_movk_i32 s20, 0xe0
	v_cmp_gt_u32_e64 s[20:21], s20, v5
	s_and_saveexec_b64 s[22:23], s[20:21]
	s_cbranch_execz .LBB113_531
; %bb.530:
	ds_read_b32 v25, v24 offset:14592
	ds_read_b32 v26, v23 offset:8420
	s_waitcnt lgkmcnt(0)
	v_fmac_f32_e32 v21, v25, v26
.LBB113_531:
	s_or_b64 exec, exec, s[22:23]
	s_movk_i32 s20, 0xc0
	v_cmp_gt_u32_e64 s[20:21], s20, v5
	;; [unrolled: 11-line block ×5, first 2 shown]
	s_and_saveexec_b64 s[22:23], s[20:21]
	s_cbranch_execnz .LBB113_1230
; %bb.538:
	s_or_b64 exec, exec, s[22:23]
	s_and_saveexec_b64 s[20:21], s[8:9]
	s_cbranch_execnz .LBB113_1231
.LBB113_539:
	s_or_b64 exec, exec, s[20:21]
	v_cmp_gt_u32_e64 s[20:21], 32, v5
	s_and_saveexec_b64 s[22:23], s[20:21]
	s_cbranch_execz .LBB113_541
.LBB113_540:
	v_lshlrev_b32_e32 v23, 2, v0
	v_mov_b32_e32 v24, 0
	ds_read_b32 v23, v23 offset:16128
	ds_read_b32 v24, v24 offset:16380
	s_waitcnt lgkmcnt(0)
	v_fmac_f32_e32 v21, v23, v24
.LBB113_541:
	s_or_b64 exec, exec, s[22:23]
.LBB113_542:
	s_or_b64 exec, exec, s[94:95]
	v_mov_b32_e32 v23, 0x4000
	v_cmp_eq_u32_e64 s[20:21], 31, v19
	s_xor_b64 s[94:95], s[16:17], -1
	v_lshl_add_u32 v22, v22, 2, v23
	s_and_b64 s[20:21], s[20:21], s[94:95]
	s_and_saveexec_b64 s[16:17], s[20:21]
	s_cbranch_execz .LBB113_544
; %bb.543:
	v_mov_b32_e32 v23, 0
	ds_read_b32 v23, v23 offset:8060
	s_waitcnt lgkmcnt(0)
	v_mul_f32_e32 v21, v21, v23
	v_xor_b32_e32 v23, 0x80000000, v21
	ds_write_b32 v22, v23
.LBB113_544:
	s_or_b64 exec, exec, s[16:17]
	v_cmp_ne_u32_e64 s[16:17], 31, v19
	s_and_b64 s[20:21], s[16:17], s[94:95]
	s_waitcnt lgkmcnt(0)
	s_barrier
	s_and_saveexec_b64 s[16:17], s[20:21]
	s_cbranch_execz .LBB113_546
; %bb.545:
	v_lshlrev_b32_e32 v23, 2, v19
	ds_read_b32 v23, v23 offset:7936
	ds_read_b32 v24, v22
	s_waitcnt lgkmcnt(0)
	v_fma_f32 v21, -v23, v24, v21
.LBB113_546:
	s_or_b64 exec, exec, s[16:17]
	v_cmp_eq_u32_e64 s[16:17], 30, v19
	s_and_b64 s[20:21], s[16:17], s[94:95]
	s_barrier
	s_and_saveexec_b64 s[16:17], s[20:21]
	s_cbranch_execz .LBB113_548
; %bb.547:
	v_mov_b32_e32 v23, 0
	ds_read_b32 v23, v23 offset:7800
	s_waitcnt lgkmcnt(0)
	v_mul_f32_e32 v21, v21, v23
	v_xor_b32_e32 v23, 0x80000000, v21
	ds_write_b32 v22, v23
.LBB113_548:
	s_or_b64 exec, exec, s[16:17]
	v_cmp_gt_u32_e64 s[16:17], 30, v19
	s_and_b64 s[20:21], s[16:17], s[94:95]
	s_waitcnt lgkmcnt(0)
	s_barrier
	s_and_saveexec_b64 s[16:17], s[20:21]
	s_cbranch_execz .LBB113_550
; %bb.549:
	v_lshlrev_b32_e32 v23, 2, v19
	ds_read_b32 v23, v23 offset:7680
	ds_read_b32 v24, v22
	s_waitcnt lgkmcnt(0)
	v_fma_f32 v21, -v23, v24, v21
.LBB113_550:
	s_or_b64 exec, exec, s[16:17]
	v_cmp_eq_u32_e64 s[16:17], 29, v19
	s_and_b64 s[20:21], s[16:17], s[94:95]
	s_barrier
	s_and_saveexec_b64 s[16:17], s[20:21]
	s_cbranch_execz .LBB113_552
; %bb.551:
	v_mov_b32_e32 v23, 0
	ds_read_b32 v23, v23 offset:7540
	s_waitcnt lgkmcnt(0)
	v_mul_f32_e32 v21, v21, v23
	v_xor_b32_e32 v23, 0x80000000, v21
	ds_write_b32 v22, v23
.LBB113_552:
	s_or_b64 exec, exec, s[16:17]
	v_cmp_gt_u32_e64 s[16:17], 29, v19
	;; [unrolled: 28-line block ×29, first 2 shown]
	s_and_b64 s[20:21], s[16:17], s[94:95]
	s_waitcnt lgkmcnt(0)
	s_barrier
	s_and_saveexec_b64 s[16:17], s[20:21]
	s_cbranch_execz .LBB113_662
; %bb.661:
	v_lshlrev_b32_e32 v23, 2, v19
	ds_read_b32 v23, v23 offset:512
	ds_read_b32 v24, v22
	s_waitcnt lgkmcnt(0)
	v_fma_f32 v21, -v23, v24, v21
.LBB113_662:
	s_or_b64 exec, exec, s[16:17]
	v_cmp_eq_u32_e64 s[16:17], 1, v19
	s_and_b64 s[20:21], s[16:17], s[94:95]
	s_barrier
	s_and_saveexec_b64 s[16:17], s[20:21]
	s_cbranch_execz .LBB113_664
; %bb.663:
	v_mov_b32_e32 v23, 0
	ds_read_b32 v23, v23 offset:260
	s_waitcnt lgkmcnt(0)
	v_mul_f32_e32 v21, v21, v23
	v_xor_b32_e32 v23, 0x80000000, v21
	ds_write_b32 v22, v23
.LBB113_664:
	s_or_b64 exec, exec, s[16:17]
	v_cmp_eq_u32_e64 s[16:17], 0, v19
	s_and_b64 s[16:17], s[16:17], s[94:95]
	s_waitcnt lgkmcnt(0)
	s_barrier
	s_and_saveexec_b64 s[20:21], s[16:17]
	s_cbranch_execz .LBB113_666
; %bb.665:
	v_mov_b32_e32 v23, 0
	ds_read_b32 v23, v23 offset:256
	ds_read_b32 v24, v22
	s_waitcnt lgkmcnt(0)
	v_fma_f32 v21, -v23, v24, v21
.LBB113_666:
	s_or_b64 exec, exec, s[20:21]
	s_barrier
	s_and_saveexec_b64 s[20:21], s[16:17]
	s_cbranch_execz .LBB113_668
; %bb.667:
	v_mov_b32_e32 v23, 0
	ds_read_b32 v23, v23
	s_waitcnt lgkmcnt(0)
	v_mul_f32_e32 v21, v21, v23
	v_xor_b32_e32 v23, 0x80000000, v21
	ds_write_b32 v22, v23
.LBB113_668:
	s_or_b64 exec, exec, s[20:21]
	s_waitcnt lgkmcnt(0)
	s_barrier
	s_barrier
	s_and_saveexec_b64 s[16:17], s[14:15]
; %bb.669:
	v_lshlrev_b32_e32 v19, 2, v19
	v_lshl_or_b32 v19, v20, 8, v19
	ds_write_b32 v19, v21 offset:8192
; %bb.670:
	s_or_b64 exec, exec, s[16:17]
	v_cmp_gt_u32_e64 s[14:15], 32, v0
	s_and_b64 s[14:15], s[12:13], s[14:15]
	s_waitcnt lgkmcnt(0)
	s_barrier
	s_barrier
	s_and_saveexec_b64 s[12:13], s[14:15]
	s_cbranch_execz .LBB113_672
; %bb.671:
	v_lshlrev_b32_e32 v19, 8, v0
	ds_read_b32 v20, v19 offset:8192
	s_movk_i32 s14, 0xff04
	v_mad_i32_i24 v21, v0, s14, v19
	s_waitcnt lgkmcnt(0)
	ds_write_b32 v21, v20 offset:128
	ds_read_b32 v20, v19 offset:8196
	s_waitcnt lgkmcnt(0)
	ds_write_b32 v21, v20 offset:384
	ds_read_b32 v20, v19 offset:8200
	;; [unrolled: 3-line block ×31, first 2 shown]
	s_waitcnt lgkmcnt(0)
	ds_write_b32 v21, v19 offset:8064
.LBB113_672:
	s_or_b64 exec, exec, s[12:13]
	s_waitcnt lgkmcnt(0)
	s_barrier
	s_and_saveexec_b64 s[12:13], vcc
	s_cbranch_execz .LBB113_674
; %bb.673:
	v_mov_b32_e32 v21, 0
	ds_read_b64 v[19:20], v21 offset:8056
	ds_read_b32 v21, v21 offset:7800
	s_movk_i32 s14, 0x1c00
	s_waitcnt lgkmcnt(0)
	v_mul_f32_e32 v20, v21, v20
	v_mul_f32_e32 v19, v19, v20
	v_add_u32_e64 v20, s14, 0
	ds_write2_b32 v20, v19, v19 offset0:159 offset1:222
.LBB113_674:
	s_or_b64 exec, exec, s[12:13]
	v_mov_b32_e32 v19, 0
	s_waitcnt lgkmcnt(0)
	s_barrier
	buffer_wbinvl1_vol
	s_and_saveexec_b64 s[14:15], s[2:3]
	s_cbranch_execz .LBB113_678
; %bb.675:
	v_lshlrev_b32_e32 v19, 8, v3
	v_lshlrev_b32_e32 v20, 2, v1
	ds_read_b32 v21, v20 offset:7792
	ds_read_b32 v19, v19 offset:7800
	v_mov_b32_e32 v20, 0
	v_cmp_gt_u32_e64 s[12:13], 2, v5
	s_waitcnt lgkmcnt(0)
	v_fma_f32 v19, v21, v19, 0
	s_and_saveexec_b64 s[16:17], s[12:13]
	s_cbranch_execz .LBB113_677
; %bb.676:
	v_lshlrev_b32_e32 v21, 2, v0
	ds_read_b32 v21, v21 offset:8048
	ds_read_b32 v20, v20 offset:8060
	s_waitcnt lgkmcnt(0)
	v_fmac_f32_e32 v19, v21, v20
.LBB113_677:
	s_or_b64 exec, exec, s[16:17]
.LBB113_678:
	s_or_b64 exec, exec, s[14:15]
	s_and_saveexec_b64 s[12:13], s[38:39]
	s_cbranch_execz .LBB113_680
; %bb.679:
	v_mov_b32_e32 v20, 0
	ds_read_b32 v20, v20 offset:7540
	s_waitcnt lgkmcnt(0)
	v_mul_f32_e32 v19, v19, v20
	v_xor_b32_e32 v20, 0x80000000, v19
	ds_write_b32 v4, v20
.LBB113_680:
	s_or_b64 exec, exec, s[12:13]
	s_waitcnt lgkmcnt(0)
	s_barrier
	s_and_saveexec_b64 s[12:13], s[36:37]
	s_cbranch_execz .LBB113_682
; %bb.681:
	v_mov_b32_e32 v20, 0
	ds_read_b32 v20, v20 offset:7536
	ds_read_b32 v21, v4
	s_waitcnt lgkmcnt(0)
	v_fma_f32 v19, -v20, v21, v19
.LBB113_682:
	s_or_b64 exec, exec, s[12:13]
	s_barrier
	s_and_saveexec_b64 s[12:13], s[36:37]
	s_cbranch_execz .LBB113_684
; %bb.683:
	v_mov_b32_e32 v20, 0
	ds_read_b32 v20, v20 offset:7280
	s_waitcnt lgkmcnt(0)
	v_mul_f32_e32 v19, v19, v20
	v_xor_b32_e32 v20, 0x80000000, v19
	ds_write_b32 v4, v20
.LBB113_684:
	s_or_b64 exec, exec, s[12:13]
	s_waitcnt lgkmcnt(0)
	s_barrier
	s_barrier
	s_and_saveexec_b64 s[12:13], s[2:3]
; %bb.685:
	v_lshlrev_b32_e32 v20, 2, v1
	v_lshl_or_b32 v20, v3, 8, v20
	ds_write_b32 v20, v19 offset:7792
; %bb.686:
	s_or_b64 exec, exec, s[12:13]
	s_waitcnt lgkmcnt(0)
	s_barrier
	s_barrier
	s_and_saveexec_b64 s[12:13], s[40:41]
	s_cbranch_execz .LBB113_688
; %bb.687:
	v_lshlrev_b32_e32 v19, 2, v0
	s_movk_i32 s14, 0xfc
	v_mad_u32_u24 v20, v0, s14, v19
	ds_read_b32 v21, v20 offset:7792
	s_waitcnt lgkmcnt(0)
	ds_write_b32 v19, v21 offset:7288
	ds_read_b32 v20, v20 offset:7796
	s_waitcnt lgkmcnt(0)
	ds_write_b32 v19, v20 offset:7544
.LBB113_688:
	s_or_b64 exec, exec, s[12:13]
	s_waitcnt lgkmcnt(0)
	s_barrier
	s_and_saveexec_b64 s[12:13], vcc
	s_cbranch_execz .LBB113_690
; %bb.689:
	v_mov_b32_e32 v21, 0
	ds_read_b64 v[19:20], v21 offset:7536
	ds_read_b32 v21, v21 offset:7280
	s_movk_i32 s14, 0x1c00
	s_waitcnt lgkmcnt(0)
	v_mul_f32_e32 v20, v21, v20
	v_mul_f32_e32 v19, v19, v20
	v_add_u32_e64 v20, s14, 0
	ds_write2_b32 v20, v19, v19 offset0:29 offset1:92
.LBB113_690:
	s_or_b64 exec, exec, s[12:13]
	v_mov_b32_e32 v19, 0
	s_waitcnt lgkmcnt(0)
	s_barrier
	buffer_wbinvl1_vol
	s_and_saveexec_b64 s[14:15], s[18:19]
	s_cbranch_execz .LBB113_696
; %bb.691:
	v_lshlrev_b32_e32 v21, 2, v6
	v_lshlrev_b32_e32 v20, 8, v11
	ds_read_b32 v19, v21 offset:7264
	ds_read_b32 v22, v20 offset:7280
	v_cmp_gt_u32_e64 s[12:13], 12, v5
	s_waitcnt lgkmcnt(0)
	v_fma_f32 v19, v19, v22, 0
	s_and_saveexec_b64 s[16:17], s[12:13]
	s_cbranch_execnz .LBB113_1232
; %bb.692:
	s_or_b64 exec, exec, s[16:17]
	v_cmp_gt_u32_e64 s[12:13], 8, v5
	s_and_saveexec_b64 s[16:17], s[12:13]
	s_cbranch_execnz .LBB113_1233
.LBB113_693:
	s_or_b64 exec, exec, s[16:17]
	v_cmp_gt_u32_e64 s[12:13], 4, v5
	s_and_saveexec_b64 s[16:17], s[12:13]
	s_cbranch_execz .LBB113_695
.LBB113_694:
	v_lshlrev_b32_e32 v20, 2, v0
	v_mov_b32_e32 v21, 0
	ds_read_b32 v20, v20 offset:8032
	ds_read_b32 v21, v21 offset:8060
	s_waitcnt lgkmcnt(0)
	v_fmac_f32_e32 v19, v20, v21
.LBB113_695:
	s_or_b64 exec, exec, s[16:17]
.LBB113_696:
	s_or_b64 exec, exec, s[14:15]
	s_and_saveexec_b64 s[12:13], s[44:45]
	s_cbranch_execz .LBB113_698
; %bb.697:
	v_mov_b32_e32 v20, 0
	ds_read_b32 v20, v20 offset:7020
	s_waitcnt lgkmcnt(0)
	v_mul_f32_e32 v19, v19, v20
	v_xor_b32_e32 v20, 0x80000000, v19
	ds_write_b32 v12, v20
.LBB113_698:
	s_or_b64 exec, exec, s[12:13]
	s_waitcnt lgkmcnt(0)
	s_barrier
	s_and_saveexec_b64 s[12:13], s[46:47]
	s_cbranch_execz .LBB113_700
; %bb.699:
	v_lshlrev_b32_e32 v20, 2, v6
	ds_read_b32 v20, v20 offset:7008
	ds_read_b32 v21, v12
	s_waitcnt lgkmcnt(0)
	v_fma_f32 v19, -v20, v21, v19
.LBB113_700:
	s_or_b64 exec, exec, s[12:13]
	s_barrier
	s_and_saveexec_b64 s[12:13], s[48:49]
	s_cbranch_execz .LBB113_702
; %bb.701:
	v_mov_b32_e32 v20, 0
	ds_read_b32 v20, v20 offset:6760
	s_waitcnt lgkmcnt(0)
	v_mul_f32_e32 v19, v19, v20
	v_xor_b32_e32 v20, 0x80000000, v19
	ds_write_b32 v12, v20
.LBB113_702:
	s_or_b64 exec, exec, s[12:13]
	s_waitcnt lgkmcnt(0)
	s_barrier
	s_and_saveexec_b64 s[12:13], s[50:51]
	s_cbranch_execz .LBB113_704
; %bb.703:
	v_lshlrev_b32_e32 v20, 2, v6
	ds_read_b32 v20, v20 offset:6752
	ds_read_b32 v21, v12
	s_waitcnt lgkmcnt(0)
	v_fma_f32 v19, -v20, v21, v19
.LBB113_704:
	s_or_b64 exec, exec, s[12:13]
	s_barrier
	s_and_saveexec_b64 s[12:13], s[52:53]
	s_cbranch_execz .LBB113_706
; %bb.705:
	v_mov_b32_e32 v20, 0
	ds_read_b32 v20, v20 offset:6500
	s_waitcnt lgkmcnt(0)
	v_mul_f32_e32 v19, v19, v20
	v_xor_b32_e32 v20, 0x80000000, v19
	ds_write_b32 v12, v20
.LBB113_706:
	s_or_b64 exec, exec, s[12:13]
	s_waitcnt lgkmcnt(0)
	s_barrier
	s_and_saveexec_b64 s[12:13], s[42:43]
	s_cbranch_execz .LBB113_708
; %bb.707:
	v_mov_b32_e32 v20, 0
	ds_read_b32 v20, v20 offset:6496
	ds_read_b32 v21, v12
	s_waitcnt lgkmcnt(0)
	v_fma_f32 v19, -v20, v21, v19
.LBB113_708:
	s_or_b64 exec, exec, s[12:13]
	s_barrier
	s_and_saveexec_b64 s[12:13], s[42:43]
	s_cbranch_execz .LBB113_710
; %bb.709:
	v_mov_b32_e32 v20, 0
	ds_read_b32 v20, v20 offset:6240
	s_waitcnt lgkmcnt(0)
	v_mul_f32_e32 v19, v19, v20
	v_xor_b32_e32 v20, 0x80000000, v19
	ds_write_b32 v12, v20
.LBB113_710:
	s_or_b64 exec, exec, s[12:13]
	s_waitcnt lgkmcnt(0)
	s_barrier
	s_barrier
	s_and_saveexec_b64 s[12:13], s[18:19]
; %bb.711:
	v_lshlrev_b32_e32 v20, 2, v6
	v_lshl_or_b32 v20, v11, 8, v20
	ds_write_b32 v20, v19 offset:7264
; %bb.712:
	s_or_b64 exec, exec, s[12:13]
	s_waitcnt lgkmcnt(0)
	s_barrier
	s_barrier
	s_and_saveexec_b64 s[12:13], s[54:55]
	s_cbranch_execz .LBB113_714
; %bb.713:
	v_lshlrev_b32_e32 v19, 8, v0
	ds_read_b32 v20, v19 offset:7264
	s_movk_i32 s14, 0xff04
	v_mad_i32_i24 v21, v0, s14, v19
	s_waitcnt lgkmcnt(0)
	ds_write_b32 v21, v20 offset:6256
	ds_read_b32 v20, v19 offset:7268
	s_waitcnt lgkmcnt(0)
	ds_write_b32 v21, v20 offset:6512
	ds_read_b32 v20, v19 offset:7272
	;; [unrolled: 3-line block ×3, first 2 shown]
	s_waitcnt lgkmcnt(0)
	ds_write_b32 v21, v19 offset:7024
.LBB113_714:
	s_or_b64 exec, exec, s[12:13]
	s_waitcnt lgkmcnt(0)
	s_barrier
	s_and_saveexec_b64 s[12:13], vcc
	s_cbranch_execz .LBB113_716
; %bb.715:
	v_mov_b32_e32 v21, 0
	ds_read_b64 v[19:20], v21 offset:7016
	ds_read_b32 v21, v21 offset:6760
	s_movk_i32 s14, 0x1800
	s_waitcnt lgkmcnt(0)
	v_mul_f32_e32 v20, v21, v20
	v_mul_f32_e32 v19, v19, v20
	v_add_u32_e64 v20, s14, 0
	ds_write2_b32 v20, v19, v19 offset0:155 offset1:218
.LBB113_716:
	s_or_b64 exec, exec, s[12:13]
	v_mov_b32_e32 v19, 0
	s_waitcnt lgkmcnt(0)
	s_barrier
	buffer_wbinvl1_vol
	s_and_saveexec_b64 s[14:15], s[2:3]
	s_cbranch_execz .LBB113_720
; %bb.717:
	v_lshlrev_b32_e32 v19, 8, v3
	v_lshlrev_b32_e32 v20, 2, v1
	ds_read_b32 v21, v20 offset:6752
	ds_read_b32 v19, v19 offset:6760
	v_mov_b32_e32 v20, 0
	v_cmp_gt_u32_e64 s[12:13], 2, v5
	s_waitcnt lgkmcnt(0)
	v_fma_f32 v19, v21, v19, 0
	s_and_saveexec_b64 s[16:17], s[12:13]
	s_cbranch_execz .LBB113_719
; %bb.718:
	v_lshlrev_b32_e32 v21, 2, v0
	ds_read_b32 v21, v21 offset:7008
	ds_read_b32 v20, v20 offset:7020
	s_waitcnt lgkmcnt(0)
	v_fmac_f32_e32 v19, v21, v20
.LBB113_719:
	s_or_b64 exec, exec, s[16:17]
.LBB113_720:
	s_or_b64 exec, exec, s[14:15]
	s_and_saveexec_b64 s[12:13], s[38:39]
	s_cbranch_execz .LBB113_722
; %bb.721:
	v_mov_b32_e32 v20, 0
	ds_read_b32 v20, v20 offset:6500
	s_waitcnt lgkmcnt(0)
	v_mul_f32_e32 v19, v19, v20
	v_xor_b32_e32 v20, 0x80000000, v19
	ds_write_b32 v4, v20
.LBB113_722:
	s_or_b64 exec, exec, s[12:13]
	s_waitcnt lgkmcnt(0)
	s_barrier
	s_and_saveexec_b64 s[12:13], s[36:37]
	s_cbranch_execz .LBB113_724
; %bb.723:
	v_mov_b32_e32 v20, 0
	ds_read_b32 v20, v20 offset:6496
	ds_read_b32 v21, v4
	s_waitcnt lgkmcnt(0)
	v_fma_f32 v19, -v20, v21, v19
.LBB113_724:
	s_or_b64 exec, exec, s[12:13]
	s_barrier
	s_and_saveexec_b64 s[12:13], s[36:37]
	s_cbranch_execz .LBB113_726
; %bb.725:
	v_mov_b32_e32 v20, 0
	ds_read_b32 v20, v20 offset:6240
	s_waitcnt lgkmcnt(0)
	v_mul_f32_e32 v19, v19, v20
	v_xor_b32_e32 v20, 0x80000000, v19
	ds_write_b32 v4, v20
.LBB113_726:
	s_or_b64 exec, exec, s[12:13]
	s_waitcnt lgkmcnt(0)
	s_barrier
	s_barrier
	s_and_saveexec_b64 s[12:13], s[2:3]
; %bb.727:
	v_lshlrev_b32_e32 v20, 2, v1
	v_lshl_or_b32 v20, v3, 8, v20
	ds_write_b32 v20, v19 offset:6752
; %bb.728:
	s_or_b64 exec, exec, s[12:13]
	s_waitcnt lgkmcnt(0)
	s_barrier
	s_barrier
	s_and_saveexec_b64 s[12:13], s[40:41]
	s_cbranch_execz .LBB113_730
; %bb.729:
	v_lshlrev_b32_e32 v19, 2, v0
	s_movk_i32 s14, 0xfc
	v_mad_u32_u24 v20, v0, s14, v19
	ds_read_b32 v21, v20 offset:6752
	s_waitcnt lgkmcnt(0)
	ds_write_b32 v19, v21 offset:6248
	ds_read_b32 v20, v20 offset:6756
	s_waitcnt lgkmcnt(0)
	ds_write_b32 v19, v20 offset:6504
.LBB113_730:
	s_or_b64 exec, exec, s[12:13]
	s_waitcnt lgkmcnt(0)
	s_barrier
	s_and_saveexec_b64 s[12:13], vcc
	s_cbranch_execz .LBB113_732
; %bb.731:
	v_mov_b32_e32 v21, 0
	ds_read_b64 v[19:20], v21 offset:6496
	ds_read_b32 v21, v21 offset:6240
	s_movk_i32 s14, 0x1800
	s_waitcnt lgkmcnt(0)
	v_mul_f32_e32 v20, v21, v20
	v_mul_f32_e32 v19, v19, v20
	v_add_u32_e64 v20, s14, 0
	ds_write2_b32 v20, v19, v19 offset0:25 offset1:88
.LBB113_732:
	s_or_b64 exec, exec, s[12:13]
	v_mov_b32_e32 v19, 0
	s_waitcnt lgkmcnt(0)
	s_barrier
	buffer_wbinvl1_vol
	s_and_saveexec_b64 s[14:15], s[8:9]
	s_cbranch_execz .LBB113_742
; %bb.733:
	v_lshlrev_b32_e32 v21, 2, v13
	v_lshlrev_b32_e32 v20, 8, v14
	ds_read_b32 v19, v21 offset:6208
	ds_read_b32 v22, v20 offset:6240
	v_cmp_gt_u32_e64 s[12:13], 56, v5
	s_waitcnt lgkmcnt(0)
	v_fma_f32 v19, v19, v22, 0
	s_and_saveexec_b64 s[16:17], s[12:13]
	s_cbranch_execnz .LBB113_1234
; %bb.734:
	s_or_b64 exec, exec, s[16:17]
	v_cmp_gt_u32_e64 s[12:13], 48, v5
	s_and_saveexec_b64 s[16:17], s[12:13]
	s_cbranch_execnz .LBB113_1235
.LBB113_735:
	s_or_b64 exec, exec, s[16:17]
	v_cmp_gt_u32_e64 s[12:13], 40, v5
	s_and_saveexec_b64 s[16:17], s[12:13]
	s_cbranch_execnz .LBB113_1236
.LBB113_736:
	s_or_b64 exec, exec, s[16:17]
	v_cmp_gt_u32_e64 s[12:13], 32, v5
	s_and_saveexec_b64 s[16:17], s[12:13]
	s_cbranch_execnz .LBB113_1237
.LBB113_737:
	s_or_b64 exec, exec, s[16:17]
	v_cmp_gt_u32_e64 s[12:13], 24, v5
	s_and_saveexec_b64 s[16:17], s[12:13]
	s_cbranch_execnz .LBB113_1238
.LBB113_738:
	s_or_b64 exec, exec, s[16:17]
	s_and_saveexec_b64 s[12:13], s[18:19]
	s_cbranch_execnz .LBB113_1239
.LBB113_739:
	s_or_b64 exec, exec, s[12:13]
	v_cmp_gt_u32_e64 s[12:13], 8, v5
	s_and_saveexec_b64 s[16:17], s[12:13]
	s_cbranch_execz .LBB113_741
.LBB113_740:
	v_lshlrev_b32_e32 v20, 2, v0
	v_mov_b32_e32 v21, 0
	ds_read_b32 v20, v20 offset:8000
	ds_read_b32 v21, v21 offset:8060
	s_waitcnt lgkmcnt(0)
	v_fmac_f32_e32 v19, v20, v21
.LBB113_741:
	s_or_b64 exec, exec, s[16:17]
.LBB113_742:
	s_or_b64 exec, exec, s[14:15]
	s_and_saveexec_b64 s[12:13], s[56:57]
	s_cbranch_execz .LBB113_744
; %bb.743:
	v_mov_b32_e32 v20, 0
	ds_read_b32 v20, v20 offset:5980
	s_waitcnt lgkmcnt(0)
	v_mul_f32_e32 v19, v19, v20
	v_xor_b32_e32 v20, 0x80000000, v19
	ds_write_b32 v15, v20
.LBB113_744:
	s_or_b64 exec, exec, s[12:13]
	s_waitcnt lgkmcnt(0)
	s_barrier
	s_and_saveexec_b64 s[12:13], s[58:59]
	s_cbranch_execz .LBB113_746
; %bb.745:
	v_lshlrev_b32_e32 v20, 2, v13
	ds_read_b32 v20, v20 offset:5952
	ds_read_b32 v21, v15
	s_waitcnt lgkmcnt(0)
	v_fma_f32 v19, -v20, v21, v19
.LBB113_746:
	s_or_b64 exec, exec, s[12:13]
	s_barrier
	s_and_saveexec_b64 s[12:13], s[60:61]
	s_cbranch_execz .LBB113_748
; %bb.747:
	v_mov_b32_e32 v20, 0
	ds_read_b32 v20, v20 offset:5720
	s_waitcnt lgkmcnt(0)
	v_mul_f32_e32 v19, v19, v20
	v_xor_b32_e32 v20, 0x80000000, v19
	ds_write_b32 v15, v20
.LBB113_748:
	s_or_b64 exec, exec, s[12:13]
	s_waitcnt lgkmcnt(0)
	s_barrier
	s_and_saveexec_b64 s[12:13], s[62:63]
	s_cbranch_execz .LBB113_750
; %bb.749:
	v_lshlrev_b32_e32 v20, 2, v13
	ds_read_b32 v20, v20 offset:5696
	ds_read_b32 v21, v15
	s_waitcnt lgkmcnt(0)
	v_fma_f32 v19, -v20, v21, v19
.LBB113_750:
	s_or_b64 exec, exec, s[12:13]
	s_barrier
	;; [unrolled: 24-line block ×6, first 2 shown]
	s_and_saveexec_b64 s[12:13], s[82:83]
	s_cbranch_execz .LBB113_768
; %bb.767:
	v_mov_b32_e32 v20, 0
	ds_read_b32 v20, v20 offset:4420
	s_waitcnt lgkmcnt(0)
	v_mul_f32_e32 v19, v19, v20
	v_xor_b32_e32 v20, 0x80000000, v19
	ds_write_b32 v15, v20
.LBB113_768:
	s_or_b64 exec, exec, s[12:13]
	s_waitcnt lgkmcnt(0)
	s_barrier
	s_and_saveexec_b64 s[12:13], s[66:67]
	s_cbranch_execz .LBB113_770
; %bb.769:
	v_mov_b32_e32 v20, 0
	ds_read_b32 v20, v20 offset:4416
	ds_read_b32 v21, v15
	s_waitcnt lgkmcnt(0)
	v_fma_f32 v19, -v20, v21, v19
.LBB113_770:
	s_or_b64 exec, exec, s[12:13]
	s_barrier
	s_and_saveexec_b64 s[12:13], s[66:67]
	s_cbranch_execz .LBB113_772
; %bb.771:
	v_mov_b32_e32 v20, 0
	ds_read_b32 v20, v20 offset:4160
	s_waitcnt lgkmcnt(0)
	v_mul_f32_e32 v19, v19, v20
	v_xor_b32_e32 v20, 0x80000000, v19
	ds_write_b32 v15, v20
.LBB113_772:
	s_or_b64 exec, exec, s[12:13]
	s_waitcnt lgkmcnt(0)
	s_barrier
	s_barrier
	s_and_saveexec_b64 s[12:13], s[8:9]
; %bb.773:
	v_lshlrev_b32_e32 v20, 2, v13
	v_lshl_or_b32 v20, v14, 8, v20
	ds_write_b32 v20, v19 offset:6208
; %bb.774:
	s_or_b64 exec, exec, s[12:13]
	s_waitcnt lgkmcnt(0)
	s_barrier
	s_barrier
	s_and_saveexec_b64 s[12:13], s[84:85]
	s_cbranch_execz .LBB113_776
; %bb.775:
	v_lshlrev_b32_e32 v19, 8, v0
	ds_read_b32 v20, v19 offset:6208
	s_movk_i32 s14, 0xff04
	v_mad_i32_i24 v21, v0, s14, v19
	s_waitcnt lgkmcnt(0)
	ds_write_b32 v21, v20 offset:4192
	ds_read_b32 v20, v19 offset:6212
	s_waitcnt lgkmcnt(0)
	ds_write_b32 v21, v20 offset:4448
	ds_read_b32 v20, v19 offset:6216
	;; [unrolled: 3-line block ×7, first 2 shown]
	s_waitcnt lgkmcnt(0)
	ds_write_b32 v21, v19 offset:5984
.LBB113_776:
	s_or_b64 exec, exec, s[12:13]
	s_waitcnt lgkmcnt(0)
	s_barrier
	s_and_saveexec_b64 s[12:13], vcc
	s_cbranch_execz .LBB113_778
; %bb.777:
	v_mov_b32_e32 v21, 0
	ds_read_b64 v[19:20], v21 offset:5976
	ds_read_b32 v21, v21 offset:5720
	s_movk_i32 s14, 0x1400
	s_waitcnt lgkmcnt(0)
	v_mul_f32_e32 v20, v21, v20
	v_mul_f32_e32 v19, v19, v20
	v_add_u32_e64 v20, s14, 0
	ds_write2_b32 v20, v19, v19 offset0:151 offset1:214
.LBB113_778:
	s_or_b64 exec, exec, s[12:13]
	v_mov_b32_e32 v19, 0
	s_waitcnt lgkmcnt(0)
	s_barrier
	buffer_wbinvl1_vol
	s_and_saveexec_b64 s[14:15], s[2:3]
	s_cbranch_execz .LBB113_782
; %bb.779:
	v_lshlrev_b32_e32 v19, 8, v3
	v_lshlrev_b32_e32 v20, 2, v1
	ds_read_b32 v21, v20 offset:5712
	ds_read_b32 v19, v19 offset:5720
	v_mov_b32_e32 v20, 0
	v_cmp_gt_u32_e64 s[12:13], 2, v5
	s_waitcnt lgkmcnt(0)
	v_fma_f32 v19, v21, v19, 0
	s_and_saveexec_b64 s[16:17], s[12:13]
	s_cbranch_execz .LBB113_781
; %bb.780:
	v_lshlrev_b32_e32 v21, 2, v0
	ds_read_b32 v21, v21 offset:5968
	ds_read_b32 v20, v20 offset:5980
	s_waitcnt lgkmcnt(0)
	v_fmac_f32_e32 v19, v21, v20
.LBB113_781:
	s_or_b64 exec, exec, s[16:17]
.LBB113_782:
	s_or_b64 exec, exec, s[14:15]
	s_and_saveexec_b64 s[12:13], s[38:39]
	s_cbranch_execz .LBB113_784
; %bb.783:
	v_mov_b32_e32 v20, 0
	ds_read_b32 v20, v20 offset:5460
	s_waitcnt lgkmcnt(0)
	v_mul_f32_e32 v19, v19, v20
	v_xor_b32_e32 v20, 0x80000000, v19
	ds_write_b32 v4, v20
.LBB113_784:
	s_or_b64 exec, exec, s[12:13]
	s_waitcnt lgkmcnt(0)
	s_barrier
	s_and_saveexec_b64 s[12:13], s[36:37]
	s_cbranch_execz .LBB113_786
; %bb.785:
	v_mov_b32_e32 v20, 0
	ds_read_b32 v20, v20 offset:5456
	ds_read_b32 v21, v4
	s_waitcnt lgkmcnt(0)
	v_fma_f32 v19, -v20, v21, v19
.LBB113_786:
	s_or_b64 exec, exec, s[12:13]
	s_barrier
	s_and_saveexec_b64 s[12:13], s[36:37]
	s_cbranch_execz .LBB113_788
; %bb.787:
	v_mov_b32_e32 v20, 0
	ds_read_b32 v20, v20 offset:5200
	s_waitcnt lgkmcnt(0)
	v_mul_f32_e32 v19, v19, v20
	v_xor_b32_e32 v20, 0x80000000, v19
	ds_write_b32 v4, v20
.LBB113_788:
	s_or_b64 exec, exec, s[12:13]
	s_waitcnt lgkmcnt(0)
	s_barrier
	s_barrier
	s_and_saveexec_b64 s[12:13], s[2:3]
; %bb.789:
	v_lshlrev_b32_e32 v20, 2, v1
	v_lshl_or_b32 v20, v3, 8, v20
	ds_write_b32 v20, v19 offset:5712
; %bb.790:
	s_or_b64 exec, exec, s[12:13]
	s_waitcnt lgkmcnt(0)
	s_barrier
	s_barrier
	s_and_saveexec_b64 s[12:13], s[40:41]
	s_cbranch_execz .LBB113_792
; %bb.791:
	v_lshlrev_b32_e32 v19, 2, v0
	s_movk_i32 s14, 0xfc
	v_mad_u32_u24 v20, v0, s14, v19
	ds_read_b32 v21, v20 offset:5712
	s_waitcnt lgkmcnt(0)
	ds_write_b32 v19, v21 offset:5208
	ds_read_b32 v20, v20 offset:5716
	s_waitcnt lgkmcnt(0)
	ds_write_b32 v19, v20 offset:5464
.LBB113_792:
	s_or_b64 exec, exec, s[12:13]
	s_waitcnt lgkmcnt(0)
	s_barrier
	s_and_saveexec_b64 s[12:13], vcc
	s_cbranch_execz .LBB113_794
; %bb.793:
	v_mov_b32_e32 v21, 0
	ds_read_b64 v[19:20], v21 offset:5456
	ds_read_b32 v21, v21 offset:5200
	s_movk_i32 s14, 0x1400
	s_waitcnt lgkmcnt(0)
	v_mul_f32_e32 v20, v21, v20
	v_mul_f32_e32 v19, v19, v20
	v_add_u32_e64 v20, s14, 0
	ds_write2_b32 v20, v19, v19 offset0:21 offset1:84
.LBB113_794:
	s_or_b64 exec, exec, s[12:13]
	v_mov_b32_e32 v19, 0
	s_waitcnt lgkmcnt(0)
	s_barrier
	buffer_wbinvl1_vol
	s_and_saveexec_b64 s[14:15], s[18:19]
	s_cbranch_execz .LBB113_800
; %bb.795:
	v_lshlrev_b32_e32 v21, 2, v6
	v_lshlrev_b32_e32 v20, 8, v11
	ds_read_b32 v19, v21 offset:5184
	ds_read_b32 v22, v20 offset:5200
	v_cmp_gt_u32_e64 s[12:13], 12, v5
	s_waitcnt lgkmcnt(0)
	v_fma_f32 v19, v19, v22, 0
	s_and_saveexec_b64 s[16:17], s[12:13]
	s_cbranch_execnz .LBB113_1240
; %bb.796:
	s_or_b64 exec, exec, s[16:17]
	v_cmp_gt_u32_e64 s[12:13], 8, v5
	s_and_saveexec_b64 s[16:17], s[12:13]
	s_cbranch_execnz .LBB113_1241
.LBB113_797:
	s_or_b64 exec, exec, s[16:17]
	v_cmp_gt_u32_e64 s[12:13], 4, v5
	s_and_saveexec_b64 s[16:17], s[12:13]
	s_cbranch_execz .LBB113_799
.LBB113_798:
	v_lshlrev_b32_e32 v20, 2, v0
	v_mov_b32_e32 v21, 0
	ds_read_b32 v20, v20 offset:5952
	ds_read_b32 v21, v21 offset:5980
	s_waitcnt lgkmcnt(0)
	v_fmac_f32_e32 v19, v20, v21
.LBB113_799:
	s_or_b64 exec, exec, s[16:17]
.LBB113_800:
	s_or_b64 exec, exec, s[14:15]
	s_and_saveexec_b64 s[12:13], s[44:45]
	s_cbranch_execz .LBB113_802
; %bb.801:
	v_mov_b32_e32 v20, 0
	ds_read_b32 v20, v20 offset:4940
	s_waitcnt lgkmcnt(0)
	v_mul_f32_e32 v19, v19, v20
	v_xor_b32_e32 v20, 0x80000000, v19
	ds_write_b32 v12, v20
.LBB113_802:
	s_or_b64 exec, exec, s[12:13]
	s_waitcnt lgkmcnt(0)
	s_barrier
	s_and_saveexec_b64 s[12:13], s[46:47]
	s_cbranch_execz .LBB113_804
; %bb.803:
	v_lshlrev_b32_e32 v20, 2, v6
	ds_read_b32 v20, v20 offset:4928
	ds_read_b32 v21, v12
	s_waitcnt lgkmcnt(0)
	v_fma_f32 v19, -v20, v21, v19
.LBB113_804:
	s_or_b64 exec, exec, s[12:13]
	s_barrier
	s_and_saveexec_b64 s[12:13], s[48:49]
	s_cbranch_execz .LBB113_806
; %bb.805:
	v_mov_b32_e32 v20, 0
	ds_read_b32 v20, v20 offset:4680
	s_waitcnt lgkmcnt(0)
	v_mul_f32_e32 v19, v19, v20
	v_xor_b32_e32 v20, 0x80000000, v19
	ds_write_b32 v12, v20
.LBB113_806:
	s_or_b64 exec, exec, s[12:13]
	s_waitcnt lgkmcnt(0)
	s_barrier
	s_and_saveexec_b64 s[12:13], s[50:51]
	s_cbranch_execz .LBB113_808
; %bb.807:
	v_lshlrev_b32_e32 v20, 2, v6
	ds_read_b32 v20, v20 offset:4672
	ds_read_b32 v21, v12
	s_waitcnt lgkmcnt(0)
	v_fma_f32 v19, -v20, v21, v19
.LBB113_808:
	s_or_b64 exec, exec, s[12:13]
	s_barrier
	s_and_saveexec_b64 s[12:13], s[52:53]
	s_cbranch_execz .LBB113_810
; %bb.809:
	v_mov_b32_e32 v20, 0
	ds_read_b32 v20, v20 offset:4420
	s_waitcnt lgkmcnt(0)
	v_mul_f32_e32 v19, v19, v20
	v_xor_b32_e32 v20, 0x80000000, v19
	ds_write_b32 v12, v20
.LBB113_810:
	s_or_b64 exec, exec, s[12:13]
	s_waitcnt lgkmcnt(0)
	s_barrier
	s_and_saveexec_b64 s[12:13], s[42:43]
	s_cbranch_execz .LBB113_812
; %bb.811:
	v_mov_b32_e32 v20, 0
	ds_read_b32 v20, v20 offset:4416
	ds_read_b32 v21, v12
	s_waitcnt lgkmcnt(0)
	v_fma_f32 v19, -v20, v21, v19
.LBB113_812:
	s_or_b64 exec, exec, s[12:13]
	s_barrier
	s_and_saveexec_b64 s[12:13], s[42:43]
	s_cbranch_execz .LBB113_814
; %bb.813:
	v_mov_b32_e32 v20, 0
	ds_read_b32 v20, v20 offset:4160
	s_waitcnt lgkmcnt(0)
	v_mul_f32_e32 v19, v19, v20
	v_xor_b32_e32 v20, 0x80000000, v19
	ds_write_b32 v12, v20
.LBB113_814:
	s_or_b64 exec, exec, s[12:13]
	s_waitcnt lgkmcnt(0)
	s_barrier
	s_barrier
	s_and_saveexec_b64 s[12:13], s[18:19]
; %bb.815:
	v_lshlrev_b32_e32 v20, 2, v6
	v_lshl_or_b32 v20, v11, 8, v20
	ds_write_b32 v20, v19 offset:5184
; %bb.816:
	s_or_b64 exec, exec, s[12:13]
	s_waitcnt lgkmcnt(0)
	s_barrier
	s_barrier
	s_and_saveexec_b64 s[12:13], s[54:55]
	s_cbranch_execz .LBB113_818
; %bb.817:
	v_lshlrev_b32_e32 v19, 8, v0
	ds_read_b32 v20, v19 offset:5184
	s_movk_i32 s14, 0xff04
	v_mad_i32_i24 v21, v0, s14, v19
	s_waitcnt lgkmcnt(0)
	ds_write_b32 v21, v20 offset:4176
	ds_read_b32 v20, v19 offset:5188
	s_waitcnt lgkmcnt(0)
	ds_write_b32 v21, v20 offset:4432
	ds_read_b32 v20, v19 offset:5192
	;; [unrolled: 3-line block ×3, first 2 shown]
	s_waitcnt lgkmcnt(0)
	ds_write_b32 v21, v19 offset:4944
.LBB113_818:
	s_or_b64 exec, exec, s[12:13]
	s_waitcnt lgkmcnt(0)
	s_barrier
	s_and_saveexec_b64 s[12:13], vcc
	s_cbranch_execz .LBB113_820
; %bb.819:
	v_mov_b32_e32 v21, 0
	ds_read_b64 v[19:20], v21 offset:4936
	ds_read_b32 v21, v21 offset:4680
	s_movk_i32 s14, 0x1000
	s_waitcnt lgkmcnt(0)
	v_mul_f32_e32 v20, v21, v20
	v_mul_f32_e32 v19, v19, v20
	v_add_u32_e64 v20, s14, 0
	ds_write2_b32 v20, v19, v19 offset0:147 offset1:210
.LBB113_820:
	s_or_b64 exec, exec, s[12:13]
	v_mov_b32_e32 v19, 0
	s_waitcnt lgkmcnt(0)
	s_barrier
	buffer_wbinvl1_vol
	s_and_saveexec_b64 s[14:15], s[2:3]
	s_cbranch_execz .LBB113_824
; %bb.821:
	v_lshlrev_b32_e32 v19, 8, v3
	v_lshlrev_b32_e32 v20, 2, v1
	ds_read_b32 v21, v20 offset:4672
	ds_read_b32 v19, v19 offset:4680
	v_mov_b32_e32 v20, 0
	v_cmp_gt_u32_e64 s[12:13], 2, v5
	s_waitcnt lgkmcnt(0)
	v_fma_f32 v19, v21, v19, 0
	s_and_saveexec_b64 s[16:17], s[12:13]
	s_cbranch_execz .LBB113_823
; %bb.822:
	v_lshlrev_b32_e32 v21, 2, v0
	ds_read_b32 v21, v21 offset:4928
	ds_read_b32 v20, v20 offset:4940
	s_waitcnt lgkmcnt(0)
	v_fmac_f32_e32 v19, v21, v20
.LBB113_823:
	s_or_b64 exec, exec, s[16:17]
.LBB113_824:
	s_or_b64 exec, exec, s[14:15]
	s_and_saveexec_b64 s[12:13], s[38:39]
	s_cbranch_execz .LBB113_826
; %bb.825:
	v_mov_b32_e32 v20, 0
	ds_read_b32 v20, v20 offset:4420
	s_waitcnt lgkmcnt(0)
	v_mul_f32_e32 v19, v19, v20
	v_xor_b32_e32 v20, 0x80000000, v19
	ds_write_b32 v4, v20
.LBB113_826:
	s_or_b64 exec, exec, s[12:13]
	s_waitcnt lgkmcnt(0)
	s_barrier
	s_and_saveexec_b64 s[12:13], s[36:37]
	s_cbranch_execz .LBB113_828
; %bb.827:
	v_mov_b32_e32 v20, 0
	ds_read_b32 v20, v20 offset:4416
	ds_read_b32 v21, v4
	s_waitcnt lgkmcnt(0)
	v_fma_f32 v19, -v20, v21, v19
.LBB113_828:
	s_or_b64 exec, exec, s[12:13]
	s_barrier
	s_and_saveexec_b64 s[12:13], s[36:37]
	s_cbranch_execz .LBB113_830
; %bb.829:
	v_mov_b32_e32 v20, 0
	ds_read_b32 v20, v20 offset:4160
	s_waitcnt lgkmcnt(0)
	v_mul_f32_e32 v19, v19, v20
	v_xor_b32_e32 v20, 0x80000000, v19
	ds_write_b32 v4, v20
.LBB113_830:
	s_or_b64 exec, exec, s[12:13]
	s_waitcnt lgkmcnt(0)
	s_barrier
	s_barrier
	s_and_saveexec_b64 s[12:13], s[2:3]
; %bb.831:
	v_lshlrev_b32_e32 v20, 2, v1
	v_lshl_or_b32 v20, v3, 8, v20
	ds_write_b32 v20, v19 offset:4672
; %bb.832:
	s_or_b64 exec, exec, s[12:13]
	s_waitcnt lgkmcnt(0)
	s_barrier
	s_barrier
	s_and_saveexec_b64 s[12:13], s[40:41]
	s_cbranch_execz .LBB113_834
; %bb.833:
	v_lshlrev_b32_e32 v19, 2, v0
	s_movk_i32 s14, 0xfc
	v_mad_u32_u24 v20, v0, s14, v19
	ds_read_b32 v21, v20 offset:4672
	s_waitcnt lgkmcnt(0)
	ds_write_b32 v19, v21 offset:4168
	ds_read_b32 v20, v20 offset:4676
	s_waitcnt lgkmcnt(0)
	ds_write_b32 v19, v20 offset:4424
.LBB113_834:
	s_or_b64 exec, exec, s[12:13]
	s_waitcnt lgkmcnt(0)
	s_barrier
	s_and_saveexec_b64 s[12:13], vcc
	s_cbranch_execz .LBB113_836
; %bb.835:
	v_mov_b32_e32 v21, 0
	ds_read_b64 v[19:20], v21 offset:4416
	ds_read_b32 v21, v21 offset:4160
	s_movk_i32 s14, 0x1000
	s_waitcnt lgkmcnt(0)
	v_mul_f32_e32 v20, v21, v20
	v_mul_f32_e32 v19, v19, v20
	v_add_u32_e64 v20, s14, 0
	ds_write2_b32 v20, v19, v19 offset0:17 offset1:80
.LBB113_836:
	s_or_b64 exec, exec, s[12:13]
	v_mov_b32_e32 v19, 0
	s_waitcnt lgkmcnt(0)
	s_barrier
	buffer_wbinvl1_vol
	s_and_saveexec_b64 s[14:15], s[10:11]
	s_cbranch_execz .LBB113_864
; %bb.837:
	v_lshlrev_b32_e32 v21, 2, v16
	v_lshlrev_b32_e32 v20, 8, v17
	ds_read_b32 v19, v21 offset:4096
	ds_read_b32 v22, v20 offset:4160
	s_movk_i32 s12, 0xf0
	v_cmp_gt_u32_e64 s[12:13], s12, v5
	s_waitcnt lgkmcnt(0)
	v_fma_f32 v19, v19, v22, 0
	s_and_saveexec_b64 s[16:17], s[12:13]
	s_cbranch_execz .LBB113_839
; %bb.838:
	ds_read_b32 v22, v21 offset:4352
	ds_read_b32 v23, v20 offset:4164
	s_waitcnt lgkmcnt(0)
	v_fmac_f32_e32 v19, v22, v23
.LBB113_839:
	s_or_b64 exec, exec, s[16:17]
	s_movk_i32 s12, 0xe0
	v_cmp_gt_u32_e64 s[12:13], s12, v5
	s_and_saveexec_b64 s[16:17], s[12:13]
	s_cbranch_execz .LBB113_841
; %bb.840:
	ds_read_b32 v22, v21 offset:4608
	ds_read_b32 v23, v20 offset:4168
	s_waitcnt lgkmcnt(0)
	v_fmac_f32_e32 v19, v22, v23
.LBB113_841:
	s_or_b64 exec, exec, s[16:17]
	s_movk_i32 s12, 0xd0
	v_cmp_gt_u32_e64 s[12:13], s12, v5
	;; [unrolled: 11-line block ×10, first 2 shown]
	s_and_saveexec_b64 s[16:17], s[12:13]
	s_cbranch_execnz .LBB113_1242
; %bb.858:
	s_or_b64 exec, exec, s[16:17]
	s_and_saveexec_b64 s[12:13], s[8:9]
	s_cbranch_execnz .LBB113_1243
.LBB113_859:
	s_or_b64 exec, exec, s[12:13]
	v_cmp_gt_u32_e64 s[12:13], 48, v5
	s_and_saveexec_b64 s[16:17], s[12:13]
	s_cbranch_execnz .LBB113_1244
.LBB113_860:
	s_or_b64 exec, exec, s[16:17]
	v_cmp_gt_u32_e64 s[12:13], 32, v5
	s_and_saveexec_b64 s[16:17], s[12:13]
	s_cbranch_execnz .LBB113_1245
.LBB113_861:
	s_or_b64 exec, exec, s[16:17]
	v_cmp_gt_u32_e64 s[12:13], 16, v5
	s_and_saveexec_b64 s[16:17], s[12:13]
	s_cbranch_execz .LBB113_863
.LBB113_862:
	v_lshlrev_b32_e32 v20, 2, v0
	v_mov_b32_e32 v21, 0
	ds_read_b32 v20, v20 offset:7936
	ds_read_b32 v21, v21 offset:8060
	s_waitcnt lgkmcnt(0)
	v_fmac_f32_e32 v19, v20, v21
.LBB113_863:
	s_or_b64 exec, exec, s[16:17]
.LBB113_864:
	s_or_b64 exec, exec, s[14:15]
	s_mov_b64 s[12:13], exec
	v_readlane_b32 s14, v27, 3
	v_readlane_b32 s15, v27, 4
	s_and_b64 s[14:15], s[12:13], s[14:15]
	s_mov_b64 exec, s[14:15]
	s_cbranch_execz .LBB113_866
; %bb.865:
	v_mov_b32_e32 v20, 0
	ds_read_b32 v20, v20 offset:3900
	s_waitcnt lgkmcnt(0)
	v_mul_f32_e32 v19, v19, v20
	v_xor_b32_e32 v20, 0x80000000, v19
	ds_write_b32 v18, v20
.LBB113_866:
	s_or_b64 exec, exec, s[12:13]
	s_waitcnt lgkmcnt(0)
	s_barrier
	s_mov_b64 s[12:13], exec
	v_readlane_b32 s14, v27, 5
	v_readlane_b32 s15, v27, 6
	s_and_b64 s[14:15], s[12:13], s[14:15]
	s_mov_b64 exec, s[14:15]
	s_cbranch_execz .LBB113_868
; %bb.867:
	v_lshlrev_b32_e32 v20, 2, v16
	ds_read_b32 v20, v20 offset:3840
	ds_read_b32 v21, v18
	s_waitcnt lgkmcnt(0)
	v_fma_f32 v19, -v20, v21, v19
.LBB113_868:
	s_or_b64 exec, exec, s[12:13]
	s_barrier
	s_mov_b64 s[12:13], exec
	v_readlane_b32 s14, v27, 7
	v_readlane_b32 s15, v27, 8
	s_and_b64 s[14:15], s[12:13], s[14:15]
	s_mov_b64 exec, s[14:15]
	s_cbranch_execz .LBB113_870
; %bb.869:
	v_mov_b32_e32 v20, 0
	ds_read_b32 v20, v20 offset:3640
	s_waitcnt lgkmcnt(0)
	v_mul_f32_e32 v19, v19, v20
	v_xor_b32_e32 v20, 0x80000000, v19
	ds_write_b32 v18, v20
.LBB113_870:
	s_or_b64 exec, exec, s[12:13]
	s_waitcnt lgkmcnt(0)
	s_barrier
	s_mov_b64 s[12:13], exec
	v_readlane_b32 s14, v27, 9
	v_readlane_b32 s15, v27, 10
	s_and_b64 s[14:15], s[12:13], s[14:15]
	s_mov_b64 exec, s[14:15]
	s_cbranch_execz .LBB113_872
; %bb.871:
	v_lshlrev_b32_e32 v20, 2, v16
	ds_read_b32 v20, v20 offset:3584
	ds_read_b32 v21, v18
	s_waitcnt lgkmcnt(0)
	v_fma_f32 v19, -v20, v21, v19
.LBB113_872:
	s_or_b64 exec, exec, s[12:13]
	s_barrier
	;; [unrolled: 32-line block ×13, first 2 shown]
	s_and_saveexec_b64 s[12:13], s[0:1]
	s_cbranch_execz .LBB113_918
; %bb.917:
	v_mov_b32_e32 v20, 0
	ds_read_b32 v20, v20 offset:520
	s_waitcnt lgkmcnt(0)
	v_mul_f32_e32 v19, v19, v20
	v_xor_b32_e32 v20, 0x80000000, v19
	ds_write_b32 v18, v20
.LBB113_918:
	s_or_b64 exec, exec, s[12:13]
	s_waitcnt lgkmcnt(0)
	s_barrier
	s_mov_b64 s[0:1], exec
	v_readlane_b32 s12, v27, 55
	v_readlane_b32 s13, v27, 56
	s_and_b64 s[12:13], s[0:1], s[12:13]
	s_mov_b64 exec, s[12:13]
	s_cbranch_execz .LBB113_920
; %bb.919:
	v_lshlrev_b32_e32 v20, 2, v16
	ds_read_b32 v20, v20 offset:512
	ds_read_b32 v21, v18
	s_waitcnt lgkmcnt(0)
	v_fma_f32 v19, -v20, v21, v19
.LBB113_920:
	s_or_b64 exec, exec, s[0:1]
	s_barrier
	s_mov_b64 s[0:1], exec
	v_readlane_b32 s12, v27, 57
	v_readlane_b32 s13, v27, 58
	s_and_b64 s[12:13], s[0:1], s[12:13]
	s_mov_b64 exec, s[12:13]
	s_cbranch_execz .LBB113_922
; %bb.921:
	v_mov_b32_e32 v20, 0
	ds_read_b32 v20, v20 offset:260
	s_waitcnt lgkmcnt(0)
	v_mul_f32_e32 v19, v19, v20
	v_xor_b32_e32 v20, 0x80000000, v19
	ds_write_b32 v18, v20
.LBB113_922:
	s_or_b64 exec, exec, s[0:1]
	s_waitcnt lgkmcnt(0)
	s_barrier
	s_and_saveexec_b64 s[0:1], s[86:87]
	s_cbranch_execz .LBB113_924
; %bb.923:
	v_mov_b32_e32 v20, 0
	ds_read_b32 v20, v20 offset:256
	ds_read_b32 v21, v18
	s_waitcnt lgkmcnt(0)
	v_fma_f32 v19, -v20, v21, v19
.LBB113_924:
	s_or_b64 exec, exec, s[0:1]
	s_barrier
	s_and_saveexec_b64 s[0:1], s[86:87]
	s_cbranch_execz .LBB113_926
; %bb.925:
	v_mov_b32_e32 v20, 0
	ds_read_b32 v20, v20
	s_waitcnt lgkmcnt(0)
	v_mul_f32_e32 v19, v19, v20
	v_xor_b32_e32 v20, 0x80000000, v19
	ds_write_b32 v18, v20
.LBB113_926:
	s_or_b64 exec, exec, s[0:1]
	s_waitcnt lgkmcnt(0)
	s_barrier
	s_barrier
	s_and_saveexec_b64 s[0:1], s[10:11]
; %bb.927:
	v_lshlrev_b32_e32 v16, 2, v16
	v_lshl_or_b32 v16, v17, 8, v16
	ds_write_b32 v16, v19 offset:4096
; %bb.928:
	s_or_b64 exec, exec, s[0:1]
	s_waitcnt lgkmcnt(0)
	s_barrier
	s_barrier
	s_and_saveexec_b64 s[0:1], s[92:93]
	s_cbranch_execz .LBB113_930
; %bb.929:
	v_lshlrev_b32_e32 v16, 8, v0
	ds_read_b32 v17, v16 offset:4096
	s_movk_i32 s10, 0xff04
	v_mad_i32_i24 v18, v0, s10, v16
	s_waitcnt lgkmcnt(0)
	ds_write_b32 v18, v17 offset:64
	ds_read_b32 v17, v16 offset:4100
	s_waitcnt lgkmcnt(0)
	ds_write_b32 v18, v17 offset:320
	ds_read_b32 v17, v16 offset:4104
	;; [unrolled: 3-line block ×15, first 2 shown]
	s_waitcnt lgkmcnt(0)
	ds_write_b32 v18, v16 offset:3904
.LBB113_930:
	s_or_b64 exec, exec, s[0:1]
	s_waitcnt lgkmcnt(0)
	s_barrier
	s_and_saveexec_b64 s[0:1], vcc
	s_cbranch_execz .LBB113_932
; %bb.931:
	v_mov_b32_e32 v18, 0
	ds_read_b64 v[16:17], v18 offset:3896
	ds_read_b32 v18, v18 offset:3640
	s_movk_i32 s10, 0xc00
	s_waitcnt lgkmcnt(0)
	v_mul_f32_e32 v17, v18, v17
	v_mul_f32_e32 v16, v16, v17
	v_add_u32_e64 v17, s10, 0
	ds_write2_b32 v17, v16, v16 offset0:143 offset1:206
.LBB113_932:
	s_or_b64 exec, exec, s[0:1]
	v_mov_b32_e32 v16, 0
	s_waitcnt lgkmcnt(0)
	s_barrier
	buffer_wbinvl1_vol
	s_and_saveexec_b64 s[0:1], s[2:3]
	s_cbranch_execz .LBB113_936
; %bb.933:
	v_lshlrev_b32_e32 v16, 8, v3
	v_lshlrev_b32_e32 v17, 2, v1
	ds_read_b32 v18, v17 offset:3632
	ds_read_b32 v16, v16 offset:3640
	v_mov_b32_e32 v17, 0
	v_cmp_gt_u32_e64 s[10:11], 2, v5
	s_waitcnt lgkmcnt(0)
	v_fma_f32 v16, v18, v16, 0
	s_and_saveexec_b64 s[12:13], s[10:11]
	s_cbranch_execz .LBB113_935
; %bb.934:
	v_lshlrev_b32_e32 v18, 2, v0
	ds_read_b32 v18, v18 offset:3888
	ds_read_b32 v17, v17 offset:3900
	s_waitcnt lgkmcnt(0)
	v_fmac_f32_e32 v16, v18, v17
.LBB113_935:
	s_or_b64 exec, exec, s[12:13]
.LBB113_936:
	s_or_b64 exec, exec, s[0:1]
	s_and_saveexec_b64 s[0:1], s[38:39]
	s_cbranch_execz .LBB113_938
; %bb.937:
	v_mov_b32_e32 v17, 0
	ds_read_b32 v17, v17 offset:3380
	s_waitcnt lgkmcnt(0)
	v_mul_f32_e32 v16, v16, v17
	v_xor_b32_e32 v17, 0x80000000, v16
	ds_write_b32 v4, v17
.LBB113_938:
	s_or_b64 exec, exec, s[0:1]
	s_waitcnt lgkmcnt(0)
	s_barrier
	s_and_saveexec_b64 s[0:1], s[36:37]
	s_cbranch_execz .LBB113_940
; %bb.939:
	v_mov_b32_e32 v17, 0
	ds_read_b32 v17, v17 offset:3376
	ds_read_b32 v18, v4
	s_waitcnt lgkmcnt(0)
	v_fma_f32 v16, -v17, v18, v16
.LBB113_940:
	s_or_b64 exec, exec, s[0:1]
	s_barrier
	s_and_saveexec_b64 s[0:1], s[36:37]
	s_cbranch_execz .LBB113_942
; %bb.941:
	v_mov_b32_e32 v17, 0
	ds_read_b32 v17, v17 offset:3120
	s_waitcnt lgkmcnt(0)
	v_mul_f32_e32 v16, v16, v17
	v_xor_b32_e32 v17, 0x80000000, v16
	ds_write_b32 v4, v17
.LBB113_942:
	s_or_b64 exec, exec, s[0:1]
	s_waitcnt lgkmcnt(0)
	s_barrier
	s_barrier
	s_and_saveexec_b64 s[0:1], s[2:3]
; %bb.943:
	v_lshlrev_b32_e32 v17, 2, v1
	v_lshl_or_b32 v17, v3, 8, v17
	ds_write_b32 v17, v16 offset:3632
; %bb.944:
	s_or_b64 exec, exec, s[0:1]
	s_waitcnt lgkmcnt(0)
	s_barrier
	s_barrier
	s_and_saveexec_b64 s[0:1], s[40:41]
	s_cbranch_execz .LBB113_946
; %bb.945:
	v_lshlrev_b32_e32 v16, 2, v0
	s_movk_i32 s10, 0xfc
	v_mad_u32_u24 v17, v0, s10, v16
	ds_read_b32 v18, v17 offset:3632
	s_waitcnt lgkmcnt(0)
	ds_write_b32 v16, v18 offset:3128
	ds_read_b32 v17, v17 offset:3636
	s_waitcnt lgkmcnt(0)
	ds_write_b32 v16, v17 offset:3384
.LBB113_946:
	s_or_b64 exec, exec, s[0:1]
	s_waitcnt lgkmcnt(0)
	s_barrier
	s_and_saveexec_b64 s[0:1], vcc
	s_cbranch_execz .LBB113_948
; %bb.947:
	v_mov_b32_e32 v18, 0
	ds_read_b64 v[16:17], v18 offset:3376
	ds_read_b32 v18, v18 offset:3120
	s_movk_i32 s10, 0xc00
	s_waitcnt lgkmcnt(0)
	v_mul_f32_e32 v17, v18, v17
	v_mul_f32_e32 v16, v16, v17
	v_add_u32_e64 v17, s10, 0
	ds_write2_b32 v17, v16, v16 offset0:13 offset1:76
.LBB113_948:
	s_or_b64 exec, exec, s[0:1]
	v_mov_b32_e32 v16, 0
	s_waitcnt lgkmcnt(0)
	s_barrier
	buffer_wbinvl1_vol
	s_and_saveexec_b64 s[0:1], s[18:19]
	s_cbranch_execz .LBB113_954
; %bb.949:
	v_lshlrev_b32_e32 v18, 2, v6
	v_lshlrev_b32_e32 v17, 8, v11
	ds_read_b32 v16, v18 offset:3104
	ds_read_b32 v19, v17 offset:3120
	v_cmp_gt_u32_e64 s[10:11], 12, v5
	s_waitcnt lgkmcnt(0)
	v_fma_f32 v16, v16, v19, 0
	s_and_saveexec_b64 s[12:13], s[10:11]
	s_cbranch_execnz .LBB113_1246
; %bb.950:
	s_or_b64 exec, exec, s[12:13]
	v_cmp_gt_u32_e64 s[10:11], 8, v5
	s_and_saveexec_b64 s[12:13], s[10:11]
	s_cbranch_execnz .LBB113_1247
.LBB113_951:
	s_or_b64 exec, exec, s[12:13]
	v_cmp_gt_u32_e64 s[10:11], 4, v5
	s_and_saveexec_b64 s[12:13], s[10:11]
	s_cbranch_execz .LBB113_953
.LBB113_952:
	v_lshlrev_b32_e32 v17, 2, v0
	v_mov_b32_e32 v18, 0
	ds_read_b32 v17, v17 offset:3872
	ds_read_b32 v18, v18 offset:3900
	s_waitcnt lgkmcnt(0)
	v_fmac_f32_e32 v16, v17, v18
.LBB113_953:
	s_or_b64 exec, exec, s[12:13]
.LBB113_954:
	s_or_b64 exec, exec, s[0:1]
	s_and_saveexec_b64 s[0:1], s[44:45]
	s_cbranch_execz .LBB113_956
; %bb.955:
	v_mov_b32_e32 v17, 0
	ds_read_b32 v17, v17 offset:2860
	s_waitcnt lgkmcnt(0)
	v_mul_f32_e32 v16, v16, v17
	v_xor_b32_e32 v17, 0x80000000, v16
	ds_write_b32 v12, v17
.LBB113_956:
	s_or_b64 exec, exec, s[0:1]
	s_waitcnt lgkmcnt(0)
	s_barrier
	s_and_saveexec_b64 s[0:1], s[46:47]
	s_cbranch_execz .LBB113_958
; %bb.957:
	v_lshlrev_b32_e32 v17, 2, v6
	ds_read_b32 v17, v17 offset:2848
	ds_read_b32 v18, v12
	s_waitcnt lgkmcnt(0)
	v_fma_f32 v16, -v17, v18, v16
.LBB113_958:
	s_or_b64 exec, exec, s[0:1]
	s_barrier
	s_and_saveexec_b64 s[0:1], s[48:49]
	s_cbranch_execz .LBB113_960
; %bb.959:
	v_mov_b32_e32 v17, 0
	ds_read_b32 v17, v17 offset:2600
	s_waitcnt lgkmcnt(0)
	v_mul_f32_e32 v16, v16, v17
	v_xor_b32_e32 v17, 0x80000000, v16
	ds_write_b32 v12, v17
.LBB113_960:
	s_or_b64 exec, exec, s[0:1]
	s_waitcnt lgkmcnt(0)
	s_barrier
	s_and_saveexec_b64 s[0:1], s[50:51]
	s_cbranch_execz .LBB113_962
; %bb.961:
	v_lshlrev_b32_e32 v17, 2, v6
	ds_read_b32 v17, v17 offset:2592
	ds_read_b32 v18, v12
	s_waitcnt lgkmcnt(0)
	v_fma_f32 v16, -v17, v18, v16
.LBB113_962:
	s_or_b64 exec, exec, s[0:1]
	s_barrier
	s_and_saveexec_b64 s[0:1], s[52:53]
	s_cbranch_execz .LBB113_964
; %bb.963:
	v_mov_b32_e32 v17, 0
	ds_read_b32 v17, v17 offset:2340
	s_waitcnt lgkmcnt(0)
	v_mul_f32_e32 v16, v16, v17
	v_xor_b32_e32 v17, 0x80000000, v16
	ds_write_b32 v12, v17
.LBB113_964:
	s_or_b64 exec, exec, s[0:1]
	s_waitcnt lgkmcnt(0)
	s_barrier
	s_and_saveexec_b64 s[0:1], s[42:43]
	s_cbranch_execz .LBB113_966
; %bb.965:
	v_mov_b32_e32 v17, 0
	ds_read_b32 v17, v17 offset:2336
	ds_read_b32 v18, v12
	s_waitcnt lgkmcnt(0)
	v_fma_f32 v16, -v17, v18, v16
.LBB113_966:
	s_or_b64 exec, exec, s[0:1]
	s_barrier
	s_and_saveexec_b64 s[0:1], s[42:43]
	s_cbranch_execz .LBB113_968
; %bb.967:
	v_mov_b32_e32 v17, 0
	ds_read_b32 v17, v17 offset:2080
	s_waitcnt lgkmcnt(0)
	v_mul_f32_e32 v16, v16, v17
	v_xor_b32_e32 v17, 0x80000000, v16
	ds_write_b32 v12, v17
.LBB113_968:
	s_or_b64 exec, exec, s[0:1]
	s_waitcnt lgkmcnt(0)
	s_barrier
	s_barrier
	s_and_saveexec_b64 s[0:1], s[18:19]
; %bb.969:
	v_lshlrev_b32_e32 v17, 2, v6
	v_lshl_or_b32 v17, v11, 8, v17
	ds_write_b32 v17, v16 offset:3104
; %bb.970:
	s_or_b64 exec, exec, s[0:1]
	s_waitcnt lgkmcnt(0)
	s_barrier
	s_barrier
	s_and_saveexec_b64 s[0:1], s[54:55]
	s_cbranch_execz .LBB113_972
; %bb.971:
	v_lshlrev_b32_e32 v16, 8, v0
	ds_read_b32 v17, v16 offset:3104
	s_movk_i32 s10, 0xff04
	v_mad_i32_i24 v18, v0, s10, v16
	s_waitcnt lgkmcnt(0)
	ds_write_b32 v18, v17 offset:2096
	ds_read_b32 v17, v16 offset:3108
	s_waitcnt lgkmcnt(0)
	ds_write_b32 v18, v17 offset:2352
	ds_read_b32 v17, v16 offset:3112
	s_waitcnt lgkmcnt(0)
	ds_write_b32 v18, v17 offset:2608
	ds_read_b32 v16, v16 offset:3116
	s_waitcnt lgkmcnt(0)
	ds_write_b32 v18, v16 offset:2864
.LBB113_972:
	s_or_b64 exec, exec, s[0:1]
	s_waitcnt lgkmcnt(0)
	s_barrier
	s_and_saveexec_b64 s[0:1], vcc
	s_cbranch_execz .LBB113_974
; %bb.973:
	v_mov_b32_e32 v18, 0
	ds_read_b64 v[16:17], v18 offset:2856
	ds_read_b32 v18, v18 offset:2600
	s_movk_i32 s10, 0x800
	s_waitcnt lgkmcnt(0)
	v_mul_f32_e32 v17, v18, v17
	v_mul_f32_e32 v16, v16, v17
	v_add_u32_e64 v17, s10, 0
	ds_write2_b32 v17, v16, v16 offset0:139 offset1:202
.LBB113_974:
	s_or_b64 exec, exec, s[0:1]
	v_mov_b32_e32 v16, 0
	s_waitcnt lgkmcnt(0)
	s_barrier
	buffer_wbinvl1_vol
	s_and_saveexec_b64 s[0:1], s[2:3]
	s_cbranch_execz .LBB113_978
; %bb.975:
	v_lshlrev_b32_e32 v16, 8, v3
	v_lshlrev_b32_e32 v17, 2, v1
	ds_read_b32 v18, v17 offset:2592
	ds_read_b32 v16, v16 offset:2600
	v_mov_b32_e32 v17, 0
	v_cmp_gt_u32_e64 s[10:11], 2, v5
	s_waitcnt lgkmcnt(0)
	v_fma_f32 v16, v18, v16, 0
	s_and_saveexec_b64 s[12:13], s[10:11]
	s_cbranch_execz .LBB113_977
; %bb.976:
	v_lshlrev_b32_e32 v18, 2, v0
	ds_read_b32 v18, v18 offset:2848
	ds_read_b32 v17, v17 offset:2860
	s_waitcnt lgkmcnt(0)
	v_fmac_f32_e32 v16, v18, v17
.LBB113_977:
	s_or_b64 exec, exec, s[12:13]
.LBB113_978:
	s_or_b64 exec, exec, s[0:1]
	s_and_saveexec_b64 s[0:1], s[38:39]
	s_cbranch_execz .LBB113_980
; %bb.979:
	v_mov_b32_e32 v17, 0
	ds_read_b32 v17, v17 offset:2340
	s_waitcnt lgkmcnt(0)
	v_mul_f32_e32 v16, v16, v17
	v_xor_b32_e32 v17, 0x80000000, v16
	ds_write_b32 v4, v17
.LBB113_980:
	s_or_b64 exec, exec, s[0:1]
	s_waitcnt lgkmcnt(0)
	s_barrier
	s_and_saveexec_b64 s[0:1], s[36:37]
	s_cbranch_execz .LBB113_982
; %bb.981:
	v_mov_b32_e32 v17, 0
	ds_read_b32 v17, v17 offset:2336
	ds_read_b32 v18, v4
	s_waitcnt lgkmcnt(0)
	v_fma_f32 v16, -v17, v18, v16
.LBB113_982:
	s_or_b64 exec, exec, s[0:1]
	s_barrier
	s_and_saveexec_b64 s[0:1], s[36:37]
	s_cbranch_execz .LBB113_984
; %bb.983:
	v_mov_b32_e32 v17, 0
	ds_read_b32 v17, v17 offset:2080
	s_waitcnt lgkmcnt(0)
	v_mul_f32_e32 v16, v16, v17
	v_xor_b32_e32 v17, 0x80000000, v16
	ds_write_b32 v4, v17
.LBB113_984:
	s_or_b64 exec, exec, s[0:1]
	s_waitcnt lgkmcnt(0)
	s_barrier
	s_barrier
	s_and_saveexec_b64 s[0:1], s[2:3]
; %bb.985:
	v_lshlrev_b32_e32 v17, 2, v1
	v_lshl_or_b32 v17, v3, 8, v17
	ds_write_b32 v17, v16 offset:2592
; %bb.986:
	s_or_b64 exec, exec, s[0:1]
	s_waitcnt lgkmcnt(0)
	s_barrier
	s_barrier
	s_and_saveexec_b64 s[0:1], s[40:41]
	s_cbranch_execz .LBB113_988
; %bb.987:
	v_lshlrev_b32_e32 v16, 2, v0
	s_movk_i32 s10, 0xfc
	v_mad_u32_u24 v17, v0, s10, v16
	ds_read_b32 v18, v17 offset:2592
	s_waitcnt lgkmcnt(0)
	ds_write_b32 v16, v18 offset:2088
	ds_read_b32 v17, v17 offset:2596
	s_waitcnt lgkmcnt(0)
	ds_write_b32 v16, v17 offset:2344
.LBB113_988:
	s_or_b64 exec, exec, s[0:1]
	s_waitcnt lgkmcnt(0)
	s_barrier
	s_and_saveexec_b64 s[0:1], vcc
	s_cbranch_execz .LBB113_990
; %bb.989:
	v_mov_b32_e32 v18, 0
	ds_read_b64 v[16:17], v18 offset:2336
	ds_read_b32 v18, v18 offset:2080
	s_movk_i32 s10, 0x800
	s_waitcnt lgkmcnt(0)
	v_mul_f32_e32 v17, v18, v17
	v_mul_f32_e32 v16, v16, v17
	v_add_u32_e64 v17, s10, 0
	ds_write2_b32 v17, v16, v16 offset0:9 offset1:72
.LBB113_990:
	s_or_b64 exec, exec, s[0:1]
	v_mov_b32_e32 v16, 0
	s_waitcnt lgkmcnt(0)
	s_barrier
	buffer_wbinvl1_vol
	s_and_saveexec_b64 s[0:1], s[8:9]
	s_cbranch_execz .LBB113_1000
; %bb.991:
	v_lshlrev_b32_e32 v18, 2, v13
	v_lshlrev_b32_e32 v17, 8, v14
	ds_read_b32 v16, v18 offset:2048
	ds_read_b32 v19, v17 offset:2080
	v_cmp_gt_u32_e64 s[10:11], 56, v5
	s_waitcnt lgkmcnt(0)
	v_fma_f32 v16, v16, v19, 0
	s_and_saveexec_b64 s[12:13], s[10:11]
	s_cbranch_execnz .LBB113_1248
; %bb.992:
	s_or_b64 exec, exec, s[12:13]
	v_cmp_gt_u32_e64 s[10:11], 48, v5
	s_and_saveexec_b64 s[12:13], s[10:11]
	s_cbranch_execnz .LBB113_1249
.LBB113_993:
	s_or_b64 exec, exec, s[12:13]
	v_cmp_gt_u32_e64 s[10:11], 40, v5
	s_and_saveexec_b64 s[12:13], s[10:11]
	s_cbranch_execnz .LBB113_1250
.LBB113_994:
	s_or_b64 exec, exec, s[12:13]
	v_cmp_gt_u32_e64 s[10:11], 32, v5
	s_and_saveexec_b64 s[12:13], s[10:11]
	s_cbranch_execnz .LBB113_1251
.LBB113_995:
	s_or_b64 exec, exec, s[12:13]
	v_cmp_gt_u32_e64 s[10:11], 24, v5
	s_and_saveexec_b64 s[12:13], s[10:11]
	s_cbranch_execnz .LBB113_1252
.LBB113_996:
	s_or_b64 exec, exec, s[12:13]
	s_and_saveexec_b64 s[10:11], s[18:19]
	s_cbranch_execnz .LBB113_1253
.LBB113_997:
	s_or_b64 exec, exec, s[10:11]
	v_cmp_gt_u32_e64 s[10:11], 8, v5
	s_and_saveexec_b64 s[12:13], s[10:11]
	s_cbranch_execz .LBB113_999
.LBB113_998:
	v_lshlrev_b32_e32 v17, 2, v0
	v_mov_b32_e32 v18, 0
	ds_read_b32 v17, v17 offset:3840
	ds_read_b32 v18, v18 offset:3900
	s_waitcnt lgkmcnt(0)
	v_fmac_f32_e32 v16, v17, v18
.LBB113_999:
	s_or_b64 exec, exec, s[12:13]
.LBB113_1000:
	s_or_b64 exec, exec, s[0:1]
	s_and_saveexec_b64 s[0:1], s[56:57]
	s_cbranch_execz .LBB113_1002
; %bb.1001:
	v_mov_b32_e32 v17, 0
	ds_read_b32 v17, v17 offset:1820
	s_waitcnt lgkmcnt(0)
	v_mul_f32_e32 v16, v16, v17
	v_xor_b32_e32 v17, 0x80000000, v16
	ds_write_b32 v15, v17
.LBB113_1002:
	s_or_b64 exec, exec, s[0:1]
	s_waitcnt lgkmcnt(0)
	s_barrier
	s_and_saveexec_b64 s[0:1], s[58:59]
	v_readlane_b32 s56, v27, 1
	v_readlane_b32 s57, v27, 2
	s_cbranch_execz .LBB113_1004
; %bb.1003:
	v_lshlrev_b32_e32 v17, 2, v13
	ds_read_b32 v17, v17 offset:1792
	ds_read_b32 v18, v15
	s_waitcnt lgkmcnt(0)
	v_fma_f32 v16, -v17, v18, v16
.LBB113_1004:
	s_or_b64 exec, exec, s[0:1]
	s_barrier
	s_and_saveexec_b64 s[0:1], s[60:61]
	s_cbranch_execz .LBB113_1006
; %bb.1005:
	v_mov_b32_e32 v17, 0
	ds_read_b32 v17, v17 offset:1560
	s_waitcnt lgkmcnt(0)
	v_mul_f32_e32 v16, v16, v17
	v_xor_b32_e32 v17, 0x80000000, v16
	ds_write_b32 v15, v17
.LBB113_1006:
	s_or_b64 exec, exec, s[0:1]
	s_waitcnt lgkmcnt(0)
	s_barrier
	s_and_saveexec_b64 s[0:1], s[62:63]
	s_cbranch_execz .LBB113_1008
; %bb.1007:
	v_lshlrev_b32_e32 v17, 2, v13
	ds_read_b32 v17, v17 offset:1536
	ds_read_b32 v18, v15
	s_waitcnt lgkmcnt(0)
	v_fma_f32 v16, -v17, v18, v16
.LBB113_1008:
	s_or_b64 exec, exec, s[0:1]
	s_barrier
	s_and_saveexec_b64 s[0:1], s[64:65]
	s_cbranch_execz .LBB113_1010
; %bb.1009:
	v_mov_b32_e32 v17, 0
	ds_read_b32 v17, v17 offset:1300
	s_waitcnt lgkmcnt(0)
	v_mul_f32_e32 v16, v16, v17
	v_xor_b32_e32 v17, 0x80000000, v16
	ds_write_b32 v15, v17
.LBB113_1010:
	s_or_b64 exec, exec, s[0:1]
	s_waitcnt lgkmcnt(0)
	s_barrier
	s_and_saveexec_b64 s[0:1], s[68:69]
	;; [unrolled: 24-line block ×6, first 2 shown]
	s_cbranch_execz .LBB113_1028
; %bb.1027:
	v_mov_b32_e32 v17, 0
	ds_read_b32 v17, v17 offset:256
	ds_read_b32 v18, v15
	s_waitcnt lgkmcnt(0)
	v_fma_f32 v16, -v17, v18, v16
.LBB113_1028:
	s_or_b64 exec, exec, s[0:1]
	s_barrier
	s_and_saveexec_b64 s[0:1], s[66:67]
	s_cbranch_execz .LBB113_1030
; %bb.1029:
	v_mov_b32_e32 v17, 0
	ds_read_b32 v17, v17
	s_waitcnt lgkmcnt(0)
	v_mul_f32_e32 v16, v16, v17
	v_xor_b32_e32 v17, 0x80000000, v16
	ds_write_b32 v15, v17
.LBB113_1030:
	s_or_b64 exec, exec, s[0:1]
	s_waitcnt lgkmcnt(0)
	s_barrier
	s_barrier
	s_and_saveexec_b64 s[0:1], s[8:9]
; %bb.1031:
	v_lshlrev_b32_e32 v13, 2, v13
	v_lshl_or_b32 v13, v14, 8, v13
	ds_write_b32 v13, v16 offset:2048
; %bb.1032:
	s_or_b64 exec, exec, s[0:1]
	s_waitcnt lgkmcnt(0)
	s_barrier
	s_barrier
	s_and_saveexec_b64 s[0:1], s[84:85]
	s_cbranch_execz .LBB113_1034
; %bb.1033:
	v_lshlrev_b32_e32 v13, 8, v0
	ds_read_b32 v14, v13 offset:2048
	s_movk_i32 s8, 0xff04
	v_mad_i32_i24 v15, v0, s8, v13
	s_waitcnt lgkmcnt(0)
	ds_write_b32 v15, v14 offset:32
	ds_read_b32 v14, v13 offset:2052
	s_waitcnt lgkmcnt(0)
	ds_write_b32 v15, v14 offset:288
	ds_read_b32 v14, v13 offset:2056
	;; [unrolled: 3-line block ×7, first 2 shown]
	s_waitcnt lgkmcnt(0)
	ds_write_b32 v15, v13 offset:1824
.LBB113_1034:
	s_or_b64 exec, exec, s[0:1]
	s_waitcnt lgkmcnt(0)
	s_barrier
	s_and_saveexec_b64 s[0:1], vcc
	s_cbranch_execz .LBB113_1036
; %bb.1035:
	v_mov_b32_e32 v15, 0
	ds_read_b64 v[13:14], v15 offset:1816
	ds_read_b32 v15, v15 offset:1560
	s_movk_i32 s8, 0x400
	s_waitcnt lgkmcnt(0)
	v_mul_f32_e32 v14, v15, v14
	v_mul_f32_e32 v13, v13, v14
	v_add_u32_e64 v14, s8, 0
	ds_write2_b32 v14, v13, v13 offset0:135 offset1:198
.LBB113_1036:
	s_or_b64 exec, exec, s[0:1]
	v_mov_b32_e32 v13, 0
	s_waitcnt lgkmcnt(0)
	s_barrier
	buffer_wbinvl1_vol
	s_and_saveexec_b64 s[0:1], s[2:3]
	s_cbranch_execz .LBB113_1040
; %bb.1037:
	v_lshlrev_b32_e32 v13, 8, v3
	v_lshlrev_b32_e32 v14, 2, v1
	ds_read_b32 v15, v14 offset:1552
	ds_read_b32 v13, v13 offset:1560
	v_mov_b32_e32 v14, 0
	v_cmp_gt_u32_e64 s[8:9], 2, v5
	s_waitcnt lgkmcnt(0)
	v_fma_f32 v13, v15, v13, 0
	s_and_saveexec_b64 s[10:11], s[8:9]
	s_cbranch_execz .LBB113_1039
; %bb.1038:
	v_lshlrev_b32_e32 v15, 2, v0
	ds_read_b32 v15, v15 offset:1808
	ds_read_b32 v14, v14 offset:1820
	s_waitcnt lgkmcnt(0)
	v_fmac_f32_e32 v13, v15, v14
.LBB113_1039:
	s_or_b64 exec, exec, s[10:11]
.LBB113_1040:
	s_or_b64 exec, exec, s[0:1]
	s_and_saveexec_b64 s[0:1], s[38:39]
	s_cbranch_execz .LBB113_1042
; %bb.1041:
	v_mov_b32_e32 v14, 0
	ds_read_b32 v14, v14 offset:1300
	s_waitcnt lgkmcnt(0)
	v_mul_f32_e32 v13, v13, v14
	v_xor_b32_e32 v14, 0x80000000, v13
	ds_write_b32 v4, v14
.LBB113_1042:
	s_or_b64 exec, exec, s[0:1]
	s_waitcnt lgkmcnt(0)
	s_barrier
	s_and_saveexec_b64 s[0:1], s[36:37]
	s_cbranch_execz .LBB113_1044
; %bb.1043:
	v_mov_b32_e32 v14, 0
	ds_read_b32 v14, v14 offset:1296
	ds_read_b32 v15, v4
	s_waitcnt lgkmcnt(0)
	v_fma_f32 v13, -v14, v15, v13
.LBB113_1044:
	s_or_b64 exec, exec, s[0:1]
	s_barrier
	s_and_saveexec_b64 s[0:1], s[36:37]
	s_cbranch_execz .LBB113_1046
; %bb.1045:
	v_mov_b32_e32 v14, 0
	ds_read_b32 v14, v14 offset:1040
	s_waitcnt lgkmcnt(0)
	v_mul_f32_e32 v13, v13, v14
	v_xor_b32_e32 v14, 0x80000000, v13
	ds_write_b32 v4, v14
.LBB113_1046:
	s_or_b64 exec, exec, s[0:1]
	s_waitcnt lgkmcnt(0)
	s_barrier
	s_barrier
	s_and_saveexec_b64 s[0:1], s[2:3]
; %bb.1047:
	v_lshlrev_b32_e32 v14, 2, v1
	v_lshl_or_b32 v14, v3, 8, v14
	ds_write_b32 v14, v13 offset:1552
; %bb.1048:
	s_or_b64 exec, exec, s[0:1]
	s_waitcnt lgkmcnt(0)
	s_barrier
	s_barrier
	s_and_saveexec_b64 s[0:1], s[40:41]
	s_cbranch_execz .LBB113_1050
; %bb.1049:
	v_lshlrev_b32_e32 v13, 2, v0
	s_movk_i32 s8, 0xfc
	v_mad_u32_u24 v14, v0, s8, v13
	ds_read_b32 v15, v14 offset:1552
	s_waitcnt lgkmcnt(0)
	ds_write_b32 v13, v15 offset:1048
	ds_read_b32 v14, v14 offset:1556
	s_waitcnt lgkmcnt(0)
	ds_write_b32 v13, v14 offset:1304
.LBB113_1050:
	s_or_b64 exec, exec, s[0:1]
	s_waitcnt lgkmcnt(0)
	s_barrier
	s_and_saveexec_b64 s[0:1], vcc
	s_cbranch_execz .LBB113_1052
; %bb.1051:
	v_mov_b32_e32 v15, 0
	ds_read_b64 v[13:14], v15 offset:1296
	ds_read_b32 v15, v15 offset:1040
	s_movk_i32 s8, 0x400
	s_waitcnt lgkmcnt(0)
	v_mul_f32_e32 v14, v15, v14
	v_mul_f32_e32 v13, v13, v14
	v_add_u32_e64 v14, s8, 0
	ds_write2_b32 v14, v13, v13 offset0:5 offset1:68
.LBB113_1052:
	s_or_b64 exec, exec, s[0:1]
	v_mov_b32_e32 v13, 0
	s_waitcnt lgkmcnt(0)
	s_barrier
	buffer_wbinvl1_vol
	s_and_saveexec_b64 s[0:1], s[18:19]
	s_cbranch_execz .LBB113_1058
; %bb.1053:
	v_lshlrev_b32_e32 v15, 2, v6
	v_lshlrev_b32_e32 v14, 8, v11
	ds_read_b32 v13, v15 offset:1024
	ds_read_b32 v16, v14 offset:1040
	v_cmp_gt_u32_e64 s[8:9], 12, v5
	s_waitcnt lgkmcnt(0)
	v_fma_f32 v13, v13, v16, 0
	s_and_saveexec_b64 s[10:11], s[8:9]
	s_cbranch_execnz .LBB113_1254
; %bb.1054:
	s_or_b64 exec, exec, s[10:11]
	v_cmp_gt_u32_e64 s[8:9], 8, v5
	s_and_saveexec_b64 s[10:11], s[8:9]
	s_cbranch_execnz .LBB113_1255
.LBB113_1055:
	s_or_b64 exec, exec, s[10:11]
	v_cmp_gt_u32_e64 s[8:9], 4, v5
	s_and_saveexec_b64 s[10:11], s[8:9]
	s_cbranch_execz .LBB113_1057
.LBB113_1056:
	v_lshlrev_b32_e32 v14, 2, v0
	v_mov_b32_e32 v15, 0
	ds_read_b32 v14, v14 offset:1792
	ds_read_b32 v15, v15 offset:1820
	s_waitcnt lgkmcnt(0)
	v_fmac_f32_e32 v13, v14, v15
.LBB113_1057:
	s_or_b64 exec, exec, s[10:11]
.LBB113_1058:
	s_or_b64 exec, exec, s[0:1]
	s_and_saveexec_b64 s[0:1], s[44:45]
	s_cbranch_execz .LBB113_1060
; %bb.1059:
	v_mov_b32_e32 v14, 0
	ds_read_b32 v14, v14 offset:780
	s_waitcnt lgkmcnt(0)
	v_mul_f32_e32 v13, v13, v14
	v_xor_b32_e32 v14, 0x80000000, v13
	ds_write_b32 v12, v14
.LBB113_1060:
	s_or_b64 exec, exec, s[0:1]
	s_waitcnt lgkmcnt(0)
	s_barrier
	s_and_saveexec_b64 s[0:1], s[46:47]
	v_readlane_b32 s44, v27, 0
	s_cbranch_execz .LBB113_1062
; %bb.1061:
	v_lshlrev_b32_e32 v14, 2, v6
	ds_read_b32 v14, v14 offset:768
	ds_read_b32 v15, v12
	s_waitcnt lgkmcnt(0)
	v_fma_f32 v13, -v14, v15, v13
.LBB113_1062:
	s_or_b64 exec, exec, s[0:1]
	s_barrier
	s_and_saveexec_b64 s[0:1], s[48:49]
	s_cbranch_execz .LBB113_1064
; %bb.1063:
	v_mov_b32_e32 v14, 0
	ds_read_b32 v14, v14 offset:520
	s_waitcnt lgkmcnt(0)
	v_mul_f32_e32 v13, v13, v14
	v_xor_b32_e32 v14, 0x80000000, v13
	ds_write_b32 v12, v14
.LBB113_1064:
	s_or_b64 exec, exec, s[0:1]
	s_waitcnt lgkmcnt(0)
	s_barrier
	s_and_saveexec_b64 s[0:1], s[50:51]
	s_cbranch_execz .LBB113_1066
; %bb.1065:
	v_lshlrev_b32_e32 v14, 2, v6
	ds_read_b32 v14, v14 offset:512
	ds_read_b32 v15, v12
	s_waitcnt lgkmcnt(0)
	v_fma_f32 v13, -v14, v15, v13
.LBB113_1066:
	s_or_b64 exec, exec, s[0:1]
	s_barrier
	s_and_saveexec_b64 s[0:1], s[52:53]
	s_cbranch_execz .LBB113_1068
; %bb.1067:
	v_mov_b32_e32 v14, 0
	ds_read_b32 v14, v14 offset:260
	s_waitcnt lgkmcnt(0)
	v_mul_f32_e32 v13, v13, v14
	v_xor_b32_e32 v14, 0x80000000, v13
	ds_write_b32 v12, v14
.LBB113_1068:
	s_or_b64 exec, exec, s[0:1]
	s_waitcnt lgkmcnt(0)
	s_barrier
	s_and_saveexec_b64 s[0:1], s[42:43]
	s_cbranch_execz .LBB113_1070
; %bb.1069:
	v_mov_b32_e32 v14, 0
	ds_read_b32 v14, v14 offset:256
	ds_read_b32 v15, v12
	s_waitcnt lgkmcnt(0)
	v_fma_f32 v13, -v14, v15, v13
.LBB113_1070:
	s_or_b64 exec, exec, s[0:1]
	s_barrier
	s_and_saveexec_b64 s[0:1], s[42:43]
	s_cbranch_execz .LBB113_1072
; %bb.1071:
	v_mov_b32_e32 v14, 0
	ds_read_b32 v14, v14
	s_waitcnt lgkmcnt(0)
	v_mul_f32_e32 v13, v13, v14
	v_xor_b32_e32 v14, 0x80000000, v13
	ds_write_b32 v12, v14
.LBB113_1072:
	s_or_b64 exec, exec, s[0:1]
	s_waitcnt lgkmcnt(0)
	s_barrier
	s_barrier
	s_and_saveexec_b64 s[0:1], s[18:19]
; %bb.1073:
	v_lshlrev_b32_e32 v6, 2, v6
	v_lshl_or_b32 v6, v11, 8, v6
	ds_write_b32 v6, v13 offset:1024
; %bb.1074:
	s_or_b64 exec, exec, s[0:1]
	s_waitcnt lgkmcnt(0)
	s_barrier
	s_barrier
	s_and_saveexec_b64 s[0:1], s[54:55]
	s_cbranch_execz .LBB113_1076
; %bb.1075:
	v_lshlrev_b32_e32 v6, 8, v0
	ds_read_b32 v11, v6 offset:1024
	s_movk_i32 s8, 0xff04
	v_mad_i32_i24 v12, v0, s8, v6
	s_waitcnt lgkmcnt(0)
	ds_write_b32 v12, v11 offset:16
	ds_read_b32 v11, v6 offset:1028
	s_waitcnt lgkmcnt(0)
	ds_write_b32 v12, v11 offset:272
	ds_read_b32 v11, v6 offset:1032
	;; [unrolled: 3-line block ×3, first 2 shown]
	s_waitcnt lgkmcnt(0)
	ds_write_b32 v12, v6 offset:784
.LBB113_1076:
	s_or_b64 exec, exec, s[0:1]
	s_waitcnt lgkmcnt(0)
	s_barrier
	s_and_saveexec_b64 s[0:1], vcc
	s_cbranch_execz .LBB113_1078
; %bb.1077:
	v_mov_b32_e32 v6, 0
	ds_read_b64 v[11:12], v6 offset:776
	ds_read_b32 v13, v6 offset:520
	s_waitcnt lgkmcnt(0)
	v_mul_f32_e32 v12, v13, v12
	v_mul_f32_e32 v11, v11, v12
	ds_write2_b32 v6, v11, v11 offset0:131 offset1:194
.LBB113_1078:
	s_or_b64 exec, exec, s[0:1]
	v_mov_b32_e32 v6, 0
	s_waitcnt lgkmcnt(0)
	s_barrier
	buffer_wbinvl1_vol
	s_and_saveexec_b64 s[0:1], s[2:3]
	s_cbranch_execz .LBB113_1082
; %bb.1079:
	v_lshlrev_b32_e32 v6, 8, v3
	v_lshlrev_b32_e32 v11, 2, v1
	ds_read_b32 v12, v11 offset:512
	ds_read_b32 v6, v6 offset:520
	v_mov_b32_e32 v11, 0
	v_cmp_gt_u32_e64 s[8:9], 2, v5
	s_waitcnt lgkmcnt(0)
	v_fma_f32 v6, v12, v6, 0
	s_and_saveexec_b64 s[10:11], s[8:9]
	s_cbranch_execz .LBB113_1081
; %bb.1080:
	v_lshlrev_b32_e32 v5, 2, v0
	ds_read_b32 v5, v5 offset:768
	ds_read_b32 v11, v11 offset:780
	s_waitcnt lgkmcnt(0)
	v_fmac_f32_e32 v6, v5, v11
.LBB113_1081:
	s_or_b64 exec, exec, s[10:11]
.LBB113_1082:
	s_or_b64 exec, exec, s[0:1]
	s_and_saveexec_b64 s[0:1], s[38:39]
	s_cbranch_execz .LBB113_1084
; %bb.1083:
	v_mov_b32_e32 v5, 0
	ds_read_b32 v5, v5 offset:260
	s_waitcnt lgkmcnt(0)
	v_mul_f32_e32 v6, v6, v5
	v_xor_b32_e32 v5, 0x80000000, v6
	ds_write_b32 v4, v5
.LBB113_1084:
	s_or_b64 exec, exec, s[0:1]
	s_waitcnt lgkmcnt(0)
	s_barrier
	s_and_saveexec_b64 s[0:1], s[36:37]
	s_cbranch_execz .LBB113_1086
; %bb.1085:
	v_mov_b32_e32 v5, 0
	ds_read_b32 v5, v5 offset:256
	ds_read_b32 v11, v4
	s_waitcnt lgkmcnt(0)
	v_fma_f32 v6, -v5, v11, v6
.LBB113_1086:
	s_or_b64 exec, exec, s[0:1]
	s_barrier
	s_and_saveexec_b64 s[0:1], s[36:37]
	s_cbranch_execz .LBB113_1088
; %bb.1087:
	v_mov_b32_e32 v5, 0
	ds_read_b32 v5, v5
	s_waitcnt lgkmcnt(0)
	v_mul_f32_e32 v6, v6, v5
	v_xor_b32_e32 v5, 0x80000000, v6
	ds_write_b32 v4, v5
.LBB113_1088:
	s_or_b64 exec, exec, s[0:1]
	s_waitcnt lgkmcnt(0)
	s_barrier
	s_barrier
	s_and_saveexec_b64 s[0:1], s[2:3]
; %bb.1089:
	v_lshlrev_b32_e32 v1, 2, v1
	v_lshl_or_b32 v1, v3, 8, v1
	ds_write_b32 v1, v6 offset:512
; %bb.1090:
	s_or_b64 exec, exec, s[0:1]
	s_waitcnt lgkmcnt(0)
	s_barrier
	s_barrier
	s_and_saveexec_b64 s[0:1], s[40:41]
	s_cbranch_execz .LBB113_1092
; %bb.1091:
	v_lshlrev_b32_e32 v1, 2, v0
	s_movk_i32 s2, 0xfc
	v_mad_u32_u24 v3, v0, s2, v1
	ds_read_b32 v4, v3 offset:512
	s_waitcnt lgkmcnt(0)
	ds_write_b32 v1, v4 offset:8
	ds_read_b32 v3, v3 offset:516
	s_waitcnt lgkmcnt(0)
	ds_write_b32 v1, v3 offset:264
.LBB113_1092:
	s_or_b64 exec, exec, s[0:1]
	s_waitcnt lgkmcnt(0)
	s_barrier
	s_and_saveexec_b64 s[0:1], vcc
	s_cbranch_execz .LBB113_1094
; %bb.1093:
	v_mov_b32_e32 v1, 0
	ds_read_b64 v[3:4], v1 offset:256
	ds_read_b32 v5, v1
	s_waitcnt lgkmcnt(0)
	v_mul_f32_e32 v4, v5, v4
	v_mul_f32_e32 v3, v3, v4
	ds_write2_b32 v1, v3, v3 offset0:1 offset1:64
.LBB113_1094:
	s_or_b64 exec, exec, s[0:1]
.LBB113_1095:
	s_load_dwordx4 s[0:3], s[4:5], 0x30
	v_cmp_le_i32_e32 vcc, s88, v0
	v_mov_b32_e32 v12, 0
	v_add_u32_e32 v3, s33, v0
	s_waitcnt lgkmcnt(0)
	s_lshl_b64 s[0:1], s[2:3], 2
	s_add_u32 s20, s34, s0
	s_addc_u32 s21, s35, s1
	s_and_b64 s[14:15], vcc, s[28:29]
	v_cmp_eq_u32_e64 s[2:3], 0, v2
	s_xor_b64 s[0:1], s[14:15], -1
	s_and_b64 s[8:9], s[2:3], s[0:1]
	s_barrier
	s_and_saveexec_b64 s[0:1], s[8:9]
	s_cbranch_execz .LBB113_1097
; %bb.1096:
	v_ashrrev_i32_e32 v1, 31, v3
	v_mul_lo_u32 v6, s27, v3
	v_mad_u64_u32 v[4:5], s[8:9], s26, v3, 0
	v_mul_lo_u32 v1, s26, v1
	s_load_dword s8, s[4:5], 0x28
	v_add3_u32 v5, v5, v1, v6
	v_lshlrev_b64 v[4:5], 2, v[4:5]
	v_mov_b32_e32 v1, s21
	v_add_co_u32_e32 v4, vcc, s20, v4
	v_addc_co_u32_e32 v5, vcc, v1, v5, vcc
	flat_load_dword v1, v[4:5]
	s_waitcnt vmcnt(0) lgkmcnt(0)
	v_mul_f32_e64 v12, v1, -s8
.LBB113_1097:
	s_or_b64 exec, exec, s[0:1]
	s_load_dwordx2 s[0:1], s[4:5], 0x50
	s_and_b32 s4, 0xffff, s91
	v_mad_u32_u24 v11, v2, s4, v0
	s_cmp_lt_i32 s6, 1
	v_cmp_eq_u32_e64 s[4:5], 0, v11
	s_cbranch_scc1 .LBB113_1123
; %bb.1098:
	v_mad_u64_u32 v[4:5], s[8:9], s30, v3, 0
	s_mov_b32 s22, 0
	v_cmp_gt_u32_e64 s[12:13], 64, v11
	v_mov_b32_e32 v1, v5
	v_mad_u64_u32 v[5:6], s[8:9], s31, v3, v[1:2]
	s_lshl_b64 s[8:9], s[24:25], 2
	s_waitcnt lgkmcnt(0)
	s_add_u32 s16, s0, s8
	s_addc_u32 s17, s1, s9
	v_cmp_gt_i32_e64 s[8:9], s7, v3
	v_lshlrev_b64 v[3:4], 2, v[4:5]
	v_mov_b32_e32 v6, 0x5000
	v_mov_b32_e32 v5, s90
	v_add_co_u32_e32 v14, vcc, s89, v3
	v_lshl_add_u32 v1, v11, 2, v6
	v_lshl_or_b32 v13, v2, 2, v6
	s_add_i32 s23, s6, -1
	v_addc_co_u32_e32 v15, vcc, v5, v4, vcc
	v_mov_b32_e32 v16, -1
	v_mov_b32_e32 v4, 0
	s_branch .LBB113_1101
.LBB113_1099:                           ;   in Loop: Header=BB113_1101 Depth=1
	ds_read_b32 v5, v13 offset:192
	s_waitcnt vmcnt(0) lgkmcnt(0)
	v_fmac_f32_e32 v12, v3, v5
.LBB113_1100:                           ;   in Loop: Header=BB113_1101 Depth=1
	s_or_b64 exec, exec, s[18:19]
	s_add_i32 s22, s22, 1
	s_cmp_eq_u32 s22, s6
	s_cbranch_scc1 .LBB113_1123
.LBB113_1101:                           ; =>This Loop Header: Depth=1
                                        ;     Child Loop BB113_1103 Depth 2
	v_cmp_gt_i32_e32 vcc, s22, v16
	s_and_b64 s[18:19], s[4:5], vcc
	s_and_saveexec_b64 s[10:11], s[18:19]
	s_cbranch_execz .LBB113_1104
; %bb.1102:                             ;   in Loop: Header=BB113_1101 Depth=1
	global_load_dword v16, v4, s[16:17]
	s_waitcnt vmcnt(0)
	v_cmp_le_i32_e32 vcc, s22, v16
	s_cbranch_vccnz .LBB113_1104
.LBB113_1103:                           ;   Parent Loop BB113_1101 Depth=1
                                        ; =>  This Inner Loop Header: Depth=2
	buffer_wbinvl1_vol
	global_load_dword v16, v4, s[16:17]
	s_waitcnt vmcnt(0)
	v_cmp_gt_i32_e32 vcc, s22, v16
	s_cbranch_vccnz .LBB113_1103
.LBB113_1104:                           ;   in Loop: Header=BB113_1101 Depth=1
	s_or_b64 exec, exec, s[10:11]
	s_lshl_b32 s30, s22, 6
	buffer_wbinvl1_vol
	s_barrier
	s_and_saveexec_b64 s[10:11], s[12:13]
	s_cbranch_execz .LBB113_1108
; %bb.1105:                             ;   in Loop: Header=BB113_1101 Depth=1
	v_or_b32_e32 v5, s30, v11
	v_cmp_gt_i32_e32 vcc, s7, v5
	v_mov_b32_e32 v3, 0
	s_and_saveexec_b64 s[18:19], vcc
	s_cbranch_execz .LBB113_1107
; %bb.1106:                             ;   in Loop: Header=BB113_1101 Depth=1
	v_mad_u64_u32 v[17:18], s[34:35], s26, v5, 0
	v_mov_b32_e32 v3, v18
	v_mad_u64_u32 v[5:6], s[34:35], s27, v5, v[3:4]
	v_mov_b32_e32 v3, s21
	v_mov_b32_e32 v18, v5
	v_lshlrev_b64 v[5:6], 2, v[17:18]
	v_add_co_u32_e32 v5, vcc, s20, v5
	v_addc_co_u32_e32 v6, vcc, v3, v6, vcc
	flat_load_dword v3, v[5:6]
.LBB113_1107:                           ;   in Loop: Header=BB113_1101 Depth=1
	s_or_b64 exec, exec, s[18:19]
	s_waitcnt vmcnt(0) lgkmcnt(0)
	ds_write_b32 v1, v3
.LBB113_1108:                           ;   in Loop: Header=BB113_1101 Depth=1
	s_or_b64 exec, exec, s[10:11]
	v_add_u32_e32 v3, s30, v2
	v_lshlrev_b64 v[5:6], 2, v[3:4]
	s_cmp_lg_u32 s22, s23
	v_add_co_u32_e32 v5, vcc, v14, v5
	s_cselect_b64 s[10:11], -1, 0
	v_addc_co_u32_e32 v6, vcc, v15, v6, vcc
	v_cmp_gt_i32_e32 vcc, s7, v3
	v_cndmask_b32_e64 v17, 0, 1, s[10:11]
	s_and_b64 s[30:31], vcc, s[8:9]
	v_cmp_ne_u32_e64 s[10:11], 1, v17
	s_waitcnt lgkmcnt(0)
	s_barrier
	s_and_saveexec_b64 s[18:19], s[30:31]
	s_cbranch_execz .LBB113_1112
; %bb.1109:                             ;   in Loop: Header=BB113_1101 Depth=1
	s_and_b64 vcc, exec, s[10:11]
	v_mov_b32_e32 v17, v8
	s_cbranch_vccnz .LBB113_1111
; %bb.1110:                             ;   in Loop: Header=BB113_1101 Depth=1
	flat_load_dword v17, v[5:6]
.LBB113_1111:                           ;   in Loop: Header=BB113_1101 Depth=1
	ds_read_b32 v18, v13
	s_waitcnt vmcnt(0) lgkmcnt(0)
	v_fmac_f32_e32 v12, v17, v18
.LBB113_1112:                           ;   in Loop: Header=BB113_1101 Depth=1
	s_or_b64 exec, exec, s[18:19]
	v_add_u32_e32 v17, 16, v3
	v_cmp_gt_i32_e32 vcc, s7, v17
	s_and_b64 s[30:31], vcc, s[8:9]
	s_and_saveexec_b64 s[18:19], s[30:31]
	s_cbranch_execz .LBB113_1116
; %bb.1113:                             ;   in Loop: Header=BB113_1101 Depth=1
	s_and_b64 vcc, exec, s[10:11]
	v_mov_b32_e32 v17, v7
	s_cbranch_vccnz .LBB113_1115
; %bb.1114:                             ;   in Loop: Header=BB113_1101 Depth=1
	flat_load_dword v17, v[5:6] offset:64
.LBB113_1115:                           ;   in Loop: Header=BB113_1101 Depth=1
	ds_read_b32 v18, v13 offset:64
	s_waitcnt vmcnt(0) lgkmcnt(0)
	v_fmac_f32_e32 v12, v17, v18
.LBB113_1116:                           ;   in Loop: Header=BB113_1101 Depth=1
	s_or_b64 exec, exec, s[18:19]
	v_add_u32_e32 v17, 32, v3
	v_cmp_gt_i32_e32 vcc, s7, v17
	s_and_b64 s[30:31], vcc, s[8:9]
	s_and_saveexec_b64 s[18:19], s[30:31]
	s_cbranch_execz .LBB113_1120
; %bb.1117:                             ;   in Loop: Header=BB113_1101 Depth=1
	s_and_b64 vcc, exec, s[10:11]
	v_mov_b32_e32 v17, v10
	s_cbranch_vccnz .LBB113_1119
; %bb.1118:                             ;   in Loop: Header=BB113_1101 Depth=1
	flat_load_dword v17, v[5:6] offset:128
.LBB113_1119:                           ;   in Loop: Header=BB113_1101 Depth=1
	ds_read_b32 v18, v13 offset:128
	s_waitcnt vmcnt(0) lgkmcnt(0)
	v_fmac_f32_e32 v12, v17, v18
.LBB113_1120:                           ;   in Loop: Header=BB113_1101 Depth=1
	s_or_b64 exec, exec, s[18:19]
	v_add_u32_e32 v3, 48, v3
	v_cmp_gt_i32_e32 vcc, s7, v3
	s_and_b64 s[30:31], vcc, s[8:9]
	s_and_saveexec_b64 s[18:19], s[30:31]
	s_cbranch_execz .LBB113_1100
; %bb.1121:                             ;   in Loop: Header=BB113_1101 Depth=1
	s_and_b64 vcc, exec, s[10:11]
	v_mov_b32_e32 v3, v9
	s_cbranch_vccnz .LBB113_1099
; %bb.1122:                             ;   in Loop: Header=BB113_1101 Depth=1
	flat_load_dword v3, v[5:6] offset:192
	s_branch .LBB113_1099
.LBB113_1123:
	v_lshl_add_u32 v1, v2, 6, v0
	s_xor_b64 s[4:5], s[28:29], -1
	v_lshlrev_b32_e32 v1, 2, v1
	ds_write_b32 v1, v12 offset:16384
	s_waitcnt lgkmcnt(0)
	s_barrier
	s_and_saveexec_b64 s[6:7], s[2:3]
	s_cbranch_execz .LBB113_1125
; %bb.1124:
	v_lshlrev_b32_e32 v15, 2, v0
	ds_read2st64_b32 v[3:4], v15 offset0:65 offset1:66
	ds_read2st64_b32 v[5:6], v15 offset0:67 offset1:68
	;; [unrolled: 1-line block ×5, first 2 shown]
	s_waitcnt lgkmcnt(4)
	v_add_f32_e32 v3, v12, v3
	v_add_f32_e32 v3, v3, v4
	s_waitcnt lgkmcnt(3)
	v_add_f32_e32 v3, v3, v5
	v_add_f32_e32 v3, v3, v6
	;; [unrolled: 3-line block ×4, first 2 shown]
	ds_read2st64_b32 v[3:4], v15 offset0:75 offset1:76
	ds_read2st64_b32 v[5:6], v15 offset0:77 offset1:78
	ds_read_b32 v8, v15 offset:20224
	s_waitcnt lgkmcnt(3)
	v_add_f32_e32 v7, v7, v13
	v_add_f32_e32 v7, v7, v14
	s_waitcnt lgkmcnt(2)
	v_add_f32_e32 v3, v7, v3
	v_add_f32_e32 v3, v3, v4
	s_waitcnt lgkmcnt(1)
	v_add_f32_e32 v3, v3, v5
	v_add_f32_e32 v3, v3, v6
	s_waitcnt lgkmcnt(0)
	v_add_f32_e32 v3, v3, v8
	v_cndmask_b32_e64 v12, -v3, 0, s[14:15]
.LBB113_1125:
	s_or_b64 exec, exec, s[6:7]
	s_and_b64 vcc, exec, s[56:57]
	s_cbranch_vccnz .LBB113_1138
; %bb.1126:
	v_mov_b32_e32 v3, 0x5000
	v_lshl_or_b32 v4, v2, 2, v3
	s_and_saveexec_b64 s[6:7], s[2:3]
; %bb.1127:
	v_lshl_add_u32 v3, v0, 2, v4
	ds_write_b32 v3, v12
; %bb.1128:
	s_or_b64 exec, exec, s[6:7]
	v_cmp_le_u32_e32 vcc, v2, v0
	v_mov_b32_e32 v3, 0
	s_waitcnt lgkmcnt(0)
	s_barrier
	s_and_saveexec_b64 s[6:7], vcc
	s_cbranch_execz .LBB113_1130
; %bb.1129:
	ds_read_b32 v3, v1
	ds_read_b32 v5, v4
	s_waitcnt lgkmcnt(0)
	v_fma_f32 v3, v3, v5, 0
.LBB113_1130:
	s_or_b64 exec, exec, s[6:7]
	v_add_u32_e32 v5, 16, v2
	v_cmp_ge_u32_e32 vcc, v0, v5
	s_and_saveexec_b64 s[6:7], vcc
	s_cbranch_execz .LBB113_1132
; %bb.1131:
	ds_read_b32 v5, v1 offset:4096
	ds_read_b32 v6, v4 offset:64
	s_waitcnt lgkmcnt(0)
	v_fmac_f32_e32 v3, v5, v6
.LBB113_1132:
	s_or_b64 exec, exec, s[6:7]
	v_add_u32_e32 v5, 32, v2
	v_cmp_ge_u32_e32 vcc, v0, v5
	s_and_saveexec_b64 s[6:7], vcc
	s_cbranch_execz .LBB113_1134
; %bb.1133:
	ds_read_b32 v5, v1 offset:8192
	ds_read_b32 v6, v4 offset:128
	s_waitcnt lgkmcnt(0)
	v_fmac_f32_e32 v3, v5, v6
.LBB113_1134:
	s_or_b64 exec, exec, s[6:7]
	v_add_u32_e32 v2, 48, v2
	v_add_u32_e32 v5, 0x4000, v1
	v_cmp_ge_u32_e32 vcc, v0, v2
	s_and_saveexec_b64 s[6:7], vcc
	s_cbranch_execz .LBB113_1136
; %bb.1135:
	ds_read_b32 v1, v1 offset:12288
	ds_read_b32 v2, v4 offset:192
	s_waitcnt lgkmcnt(0)
	v_fmac_f32_e32 v3, v1, v2
.LBB113_1136:
	s_or_b64 exec, exec, s[6:7]
	s_mov_b64 s[8:9], 0
	s_mov_b64 s[6:7], 0
	ds_write_b32 v5, v3
	s_waitcnt lgkmcnt(0)
	s_barrier
                                        ; implicit-def: $vgpr4
                                        ; implicit-def: $vgpr1_vgpr2
	s_and_saveexec_b64 s[10:11], s[2:3]
	s_cbranch_execz .LBB113_1195
; %bb.1137:
	v_lshlrev_b32_e32 v10, 2, v0
	ds_read2st64_b32 v[1:2], v10 offset0:65 offset1:66
	ds_read2st64_b32 v[4:5], v10 offset0:67 offset1:68
	;; [unrolled: 1-line block ×4, first 2 shown]
	s_mov_b64 s[6:7], exec
	s_waitcnt lgkmcnt(3)
	v_add_f32_e32 v1, v3, v1
	v_add_f32_e32 v1, v2, v1
	s_waitcnt lgkmcnt(2)
	v_add_f32_e32 v1, v4, v1
	v_add_f32_e32 v1, v5, v1
	ds_read2st64_b32 v[2:3], v10 offset0:73 offset1:74
	s_waitcnt lgkmcnt(2)
	v_add_f32_e32 v1, v6, v1
	v_add_f32_e32 v1, v7, v1
	s_waitcnt lgkmcnt(1)
	v_add_f32_e32 v1, v8, v1
	v_add_f32_e32 v1, v9, v1
	ds_read2st64_b32 v[4:5], v10 offset0:75 offset1:76
	ds_read2st64_b32 v[6:7], v10 offset0:77 offset1:78
	ds_read_b32 v8, v10 offset:20224
	v_add_u32_e32 v10, s33, v11
	s_waitcnt lgkmcnt(3)
	v_add_f32_e32 v9, v2, v1
	v_mad_u64_u32 v[1:2], s[12:13], s26, v10, 0
	v_add_f32_e32 v3, v3, v9
	s_waitcnt lgkmcnt(2)
	v_add_f32_e32 v3, v4, v3
	v_add_f32_e32 v4, v5, v3
	v_mad_u64_u32 v[2:3], s[12:13], s27, v10, v[2:3]
	s_waitcnt lgkmcnt(1)
	v_add_f32_e32 v3, v6, v4
	v_add_f32_e32 v3, v7, v3
	s_waitcnt lgkmcnt(0)
	v_add_f32_e32 v4, v8, v3
	s_or_b64 exec, exec, s[10:11]
	s_and_b64 vcc, exec, s[8:9]
	s_cbranch_vccnz .LBB113_1139
	s_branch .LBB113_1196
.LBB113_1138:
	s_mov_b64 s[6:7], 0
                                        ; implicit-def: $vgpr4
                                        ; implicit-def: $vgpr1_vgpr2
	s_cbranch_execz .LBB113_1196
.LBB113_1139:
	v_mul_u32_u24_e32 v1, 0x104, v0
	v_lshlrev_b32_e32 v2, 8, v0
	v_sub_u32_e32 v2, v1, v2
	s_mov_b32 s10, 0
	v_mov_b32_e32 v3, 0
	v_mov_b32_e32 v4, v0
	s_branch .LBB113_1141
.LBB113_1140:                           ;   in Loop: Header=BB113_1141 Depth=1
	s_or_b64 exec, exec, s[8:9]
	s_add_i32 s10, s10, 4
	v_add_u32_e32 v2, 0x400, v2
	s_cmp_lg_u32 s10, 64
	v_add_u32_e32 v4, -4, v4
	s_barrier
	s_cbranch_scc0 .LBB113_1157
.LBB113_1141:                           ; =>This Inner Loop Header: Depth=1
	v_cmp_eq_u32_e32 vcc, 0, v4
	s_and_b64 s[12:13], s[2:3], vcc
	s_and_saveexec_b64 s[8:9], s[12:13]
	s_cbranch_execz .LBB113_1143
; %bb.1142:                             ;   in Loop: Header=BB113_1141 Depth=1
	ds_read_b32 v5, v1
	s_waitcnt lgkmcnt(0)
	v_mul_f32_e32 v12, v12, v5
	ds_write_b32 v3, v12 offset:20736
.LBB113_1143:                           ;   in Loop: Header=BB113_1141 Depth=1
	s_or_b64 exec, exec, s[8:9]
	v_cmp_lt_u32_e32 vcc, s10, v0
	s_and_b64 s[12:13], s[2:3], vcc
	s_waitcnt lgkmcnt(0)
	s_barrier
	s_and_saveexec_b64 s[8:9], s[12:13]
	s_cbranch_execz .LBB113_1145
; %bb.1144:                             ;   in Loop: Header=BB113_1141 Depth=1
	ds_read_b32 v5, v2
	ds_read_b32 v6, v3 offset:20736
	s_waitcnt lgkmcnt(0)
	v_fmac_f32_e32 v12, v5, v6
.LBB113_1145:                           ;   in Loop: Header=BB113_1141 Depth=1
	s_or_b64 exec, exec, s[8:9]
	s_or_b32 s11, s10, 1
	v_cmp_eq_u32_e32 vcc, s11, v0
	s_and_b64 s[12:13], s[2:3], vcc
	s_barrier
	s_and_saveexec_b64 s[8:9], s[12:13]
	s_cbranch_execz .LBB113_1147
; %bb.1146:                             ;   in Loop: Header=BB113_1141 Depth=1
	ds_read_b32 v5, v1
	s_waitcnt lgkmcnt(0)
	v_mul_f32_e32 v12, v12, v5
	ds_write_b32 v3, v12 offset:20736
.LBB113_1147:                           ;   in Loop: Header=BB113_1141 Depth=1
	s_or_b64 exec, exec, s[8:9]
	v_cmp_lt_u32_e32 vcc, s11, v0
	s_and_b64 s[12:13], s[2:3], vcc
	s_waitcnt lgkmcnt(0)
	s_barrier
	s_and_saveexec_b64 s[8:9], s[12:13]
	s_cbranch_execz .LBB113_1149
; %bb.1148:                             ;   in Loop: Header=BB113_1141 Depth=1
	ds_read_b32 v5, v2 offset:256
	ds_read_b32 v6, v3 offset:20736
	s_waitcnt lgkmcnt(0)
	v_fmac_f32_e32 v12, v5, v6
.LBB113_1149:                           ;   in Loop: Header=BB113_1141 Depth=1
	s_or_b64 exec, exec, s[8:9]
	s_or_b32 s11, s10, 2
	v_cmp_eq_u32_e32 vcc, s11, v0
	s_and_b64 s[12:13], s[2:3], vcc
	s_barrier
	s_and_saveexec_b64 s[8:9], s[12:13]
	s_cbranch_execz .LBB113_1151
; %bb.1150:                             ;   in Loop: Header=BB113_1141 Depth=1
	ds_read_b32 v5, v1
	s_waitcnt lgkmcnt(0)
	v_mul_f32_e32 v12, v12, v5
	ds_write_b32 v3, v12 offset:20736
.LBB113_1151:                           ;   in Loop: Header=BB113_1141 Depth=1
	s_or_b64 exec, exec, s[8:9]
	v_cmp_lt_u32_e32 vcc, s11, v0
	s_and_b64 s[12:13], s[2:3], vcc
	s_waitcnt lgkmcnt(0)
	s_barrier
	s_and_saveexec_b64 s[8:9], s[12:13]
	s_cbranch_execz .LBB113_1153
; %bb.1152:                             ;   in Loop: Header=BB113_1141 Depth=1
	ds_read_b32 v5, v2 offset:512
	ds_read_b32 v6, v3 offset:20736
	s_waitcnt lgkmcnt(0)
	v_fmac_f32_e32 v12, v5, v6
.LBB113_1153:                           ;   in Loop: Header=BB113_1141 Depth=1
	s_or_b64 exec, exec, s[8:9]
	s_or_b32 s11, s10, 3
	v_cmp_eq_u32_e32 vcc, s11, v0
	s_and_b64 s[12:13], s[2:3], vcc
	s_barrier
	s_and_saveexec_b64 s[8:9], s[12:13]
	s_cbranch_execz .LBB113_1155
; %bb.1154:                             ;   in Loop: Header=BB113_1141 Depth=1
	ds_read_b32 v5, v1
	s_waitcnt lgkmcnt(0)
	v_mul_f32_e32 v12, v12, v5
	ds_write_b32 v3, v12 offset:20736
.LBB113_1155:                           ;   in Loop: Header=BB113_1141 Depth=1
	s_or_b64 exec, exec, s[8:9]
	v_cmp_lt_u32_e32 vcc, s11, v0
	s_and_b64 s[12:13], s[2:3], vcc
	s_waitcnt lgkmcnt(0)
	s_barrier
	s_and_saveexec_b64 s[8:9], s[12:13]
	s_cbranch_execz .LBB113_1140
; %bb.1156:                             ;   in Loop: Header=BB113_1141 Depth=1
	ds_read_b32 v5, v2 offset:768
	ds_read_b32 v6, v3 offset:20736
	s_waitcnt lgkmcnt(0)
	v_fmac_f32_e32 v12, v5, v6
	s_branch .LBB113_1140
.LBB113_1157:
	s_and_b64 vcc, exec, s[4:5]
	s_cbranch_vccz .LBB113_1197
; %bb.1158:
	s_and_b64 s[4:5], s[2:3], exec
	s_cbranch_execz .LBB113_1198
	s_branch .LBB113_1199
.LBB113_1159:
	v_cmp_ne_u32_e32 vcc, v0, v2
	s_and_saveexec_b64 s[12:13], vcc
	s_xor_b64 s[12:13], exec, s[12:13]
; %bb.1160:
	v_or_b32_e32 v1, v2, v0
	v_cmp_gt_u32_e32 vcc, 64, v1
	s_and_b64 s[10:11], vcc, exec
                                        ; implicit-def: $vgpr5_vgpr6
; %bb.1161:
	s_or_saveexec_b64 s[12:13], s[12:13]
	v_mov_b32_e32 v1, 0
	s_xor_b64 exec, exec, s[12:13]
	s_cbranch_execz .LBB113_1163
; %bb.1162:
	v_lshlrev_b64 v[5:6], 2, v[5:6]
	v_mov_b32_e32 v1, s90
	v_add_co_u32_e32 v5, vcc, s89, v5
	v_addc_co_u32_e32 v6, vcc, v1, v6, vcc
	flat_load_dword v1, v[5:6]
	s_or_b64 s[10:11], s[10:11], exec
	s_waitcnt vmcnt(0) lgkmcnt(0)
	v_div_scale_f32 v5, s[14:15], v1, v1, 1.0
	v_div_scale_f32 v6, vcc, 1.0, v1, 1.0
	v_rcp_f32_e32 v12, v5
	v_fma_f32 v13, -v5, v12, 1.0
	v_fmac_f32_e32 v12, v13, v12
	v_mul_f32_e32 v13, v6, v12
	v_fma_f32 v14, -v5, v13, v6
	v_fmac_f32_e32 v13, v14, v12
	v_fma_f32 v5, -v5, v13, v6
	v_div_fmas_f32 v5, v5, v12, v13
	v_div_fixup_f32 v1, v5, v1, 1.0
.LBB113_1163:
	s_or_b64 exec, exec, s[12:13]
	s_and_b64 s[10:11], s[10:11], exec
                                        ; implicit-def: $vgpr5_vgpr6
	s_andn2_saveexec_b64 s[8:9], s[8:9]
	s_cbranch_execz .LBB113_14
.LBB113_1164:
	v_lshlrev_b64 v[5:6], 2, v[5:6]
	v_mov_b32_e32 v1, s90
	v_add_co_u32_e32 v5, vcc, s89, v5
	v_addc_co_u32_e32 v6, vcc, v1, v6, vcc
	flat_load_dword v1, v[5:6]
	s_or_b64 s[10:11], s[10:11], exec
	s_waitcnt vmcnt(0) lgkmcnt(0)
	v_xor_b32_e32 v1, 0x80000000, v1
	s_or_b64 exec, exec, s[8:9]
	s_and_saveexec_b64 s[8:9], s[10:11]
	s_cbranch_execnz .LBB113_15
	s_branch .LBB113_16
.LBB113_1165:
	v_cmp_ne_u32_e32 vcc, v0, v1
	s_and_saveexec_b64 s[10:11], vcc
	s_xor_b64 s[10:11], exec, s[10:11]
; %bb.1166:
	v_or_b32_e32 v5, v1, v0
	v_cmp_gt_u32_e32 vcc, 64, v5
	s_and_b64 s[8:9], vcc, exec
                                        ; implicit-def: $vgpr5_vgpr6
; %bb.1167:
	s_or_saveexec_b64 s[10:11], s[10:11]
	v_mov_b32_e32 v12, 0
	s_xor_b64 exec, exec, s[10:11]
	s_cbranch_execz .LBB113_1169
; %bb.1168:
	v_lshlrev_b64 v[5:6], 2, v[5:6]
	v_mov_b32_e32 v12, s90
	v_add_co_u32_e32 v5, vcc, s89, v5
	v_addc_co_u32_e32 v6, vcc, v12, v6, vcc
	flat_load_dword v5, v[5:6]
	s_or_b64 s[8:9], s[8:9], exec
	s_waitcnt vmcnt(0) lgkmcnt(0)
	v_div_scale_f32 v6, s[12:13], v5, v5, 1.0
	v_div_scale_f32 v12, vcc, 1.0, v5, 1.0
	v_rcp_f32_e32 v13, v6
	v_fma_f32 v14, -v6, v13, 1.0
	v_fmac_f32_e32 v13, v14, v13
	v_mul_f32_e32 v14, v12, v13
	v_fma_f32 v15, -v6, v14, v12
	v_fmac_f32_e32 v14, v15, v13
	v_fma_f32 v6, -v6, v14, v12
	v_div_fmas_f32 v6, v6, v13, v14
	v_div_fixup_f32 v12, v6, v5, 1.0
.LBB113_1169:
	s_or_b64 exec, exec, s[10:11]
	s_and_b64 s[8:9], s[8:9], exec
                                        ; implicit-def: $vgpr5_vgpr6
	s_andn2_saveexec_b64 s[2:3], s[2:3]
	s_cbranch_execz .LBB113_18
.LBB113_1170:
	v_lshlrev_b64 v[5:6], 2, v[5:6]
	v_mov_b32_e32 v12, s90
	v_add_co_u32_e32 v5, vcc, s89, v5
	v_addc_co_u32_e32 v6, vcc, v12, v6, vcc
	flat_load_dword v5, v[5:6]
	s_or_b64 s[8:9], s[8:9], exec
	s_waitcnt vmcnt(0) lgkmcnt(0)
	v_xor_b32_e32 v12, 0x80000000, v5
	s_or_b64 exec, exec, s[2:3]
	s_and_saveexec_b64 s[2:3], s[8:9]
	s_cbranch_execnz .LBB113_19
	s_branch .LBB113_20
.LBB113_1171:
	v_cmp_ne_u32_e32 vcc, v0, v1
	s_and_saveexec_b64 s[10:11], vcc
	s_xor_b64 s[10:11], exec, s[10:11]
; %bb.1172:
	v_or_b32_e32 v5, v1, v0
	v_cmp_gt_u32_e32 vcc, 64, v5
	s_and_b64 s[8:9], vcc, exec
                                        ; implicit-def: $vgpr5_vgpr6
; %bb.1173:
	s_or_saveexec_b64 s[10:11], s[10:11]
	v_mov_b32_e32 v12, 0
	s_xor_b64 exec, exec, s[10:11]
	s_cbranch_execz .LBB113_1175
; %bb.1174:
	v_lshlrev_b64 v[5:6], 2, v[5:6]
	v_mov_b32_e32 v12, s90
	v_add_co_u32_e32 v5, vcc, s89, v5
	v_addc_co_u32_e32 v6, vcc, v12, v6, vcc
	flat_load_dword v5, v[5:6]
	s_or_b64 s[8:9], s[8:9], exec
	s_waitcnt vmcnt(0) lgkmcnt(0)
	v_div_scale_f32 v6, s[12:13], v5, v5, 1.0
	v_div_scale_f32 v12, vcc, 1.0, v5, 1.0
	v_rcp_f32_e32 v13, v6
	v_fma_f32 v14, -v6, v13, 1.0
	v_fmac_f32_e32 v13, v14, v13
	v_mul_f32_e32 v14, v12, v13
	v_fma_f32 v15, -v6, v14, v12
	v_fmac_f32_e32 v14, v15, v13
	v_fma_f32 v6, -v6, v14, v12
	v_div_fmas_f32 v6, v6, v13, v14
	v_div_fixup_f32 v12, v6, v5, 1.0
.LBB113_1175:
	s_or_b64 exec, exec, s[10:11]
	s_and_b64 s[8:9], s[8:9], exec
                                        ; implicit-def: $vgpr5_vgpr6
	s_andn2_saveexec_b64 s[2:3], s[2:3]
	s_cbranch_execz .LBB113_22
.LBB113_1176:
	v_lshlrev_b64 v[5:6], 2, v[5:6]
	v_mov_b32_e32 v12, s90
	v_add_co_u32_e32 v5, vcc, s89, v5
	v_addc_co_u32_e32 v6, vcc, v12, v6, vcc
	flat_load_dword v5, v[5:6]
	s_or_b64 s[8:9], s[8:9], exec
	s_waitcnt vmcnt(0) lgkmcnt(0)
	v_xor_b32_e32 v12, 0x80000000, v5
	s_or_b64 exec, exec, s[2:3]
	s_and_saveexec_b64 s[2:3], s[8:9]
	s_cbranch_execnz .LBB113_23
	s_branch .LBB113_24
.LBB113_1177:
	v_cmp_ne_u32_e32 vcc, v0, v2
	s_xor_b64 s[12:13], s[2:3], -1
	s_or_b64 s[14:15], s[12:13], vcc
	s_mov_b64 s[12:13], 0
	s_and_saveexec_b64 s[16:17], s[14:15]
	s_xor_b64 s[14:15], exec, s[16:17]
; %bb.1178:
	v_or_b32_e32 v1, v2, v0
	v_cmp_gt_u32_e32 vcc, 64, v1
	s_and_b64 s[12:13], vcc, exec
                                        ; implicit-def: $vgpr5_vgpr6
; %bb.1179:
	s_or_saveexec_b64 s[14:15], s[14:15]
	v_mov_b32_e32 v1, 0
	s_xor_b64 exec, exec, s[14:15]
	s_cbranch_execz .LBB113_1181
; %bb.1180:
	v_lshlrev_b64 v[5:6], 2, v[5:6]
	v_mov_b32_e32 v1, s90
	v_add_co_u32_e32 v5, vcc, s89, v5
	v_addc_co_u32_e32 v6, vcc, v1, v6, vcc
	flat_load_dword v1, v[5:6]
	s_or_b64 s[12:13], s[12:13], exec
	s_waitcnt vmcnt(0) lgkmcnt(0)
	v_div_scale_f32 v5, s[16:17], v1, v1, 1.0
	v_div_scale_f32 v6, vcc, 1.0, v1, 1.0
	v_rcp_f32_e32 v12, v5
	v_fma_f32 v13, -v5, v12, 1.0
	v_fmac_f32_e32 v12, v13, v12
	v_mul_f32_e32 v13, v6, v12
	v_fma_f32 v14, -v5, v13, v6
	v_fmac_f32_e32 v13, v14, v12
	v_fma_f32 v5, -v5, v13, v6
	v_div_fmas_f32 v5, v5, v12, v13
	v_div_fixup_f32 v1, v5, v1, 1.0
.LBB113_1181:
	s_or_b64 exec, exec, s[14:15]
	s_and_b64 s[12:13], s[12:13], exec
                                        ; implicit-def: $vgpr5_vgpr6
	s_andn2_saveexec_b64 s[8:9], s[8:9]
	s_cbranch_execz .LBB113_36
.LBB113_1182:
	v_lshlrev_b64 v[5:6], 2, v[5:6]
	v_mov_b32_e32 v1, s90
	v_add_co_u32_e32 v5, vcc, s89, v5
	v_addc_co_u32_e32 v6, vcc, v1, v6, vcc
	flat_load_dword v1, v[5:6]
	s_or_b64 s[12:13], s[12:13], exec
	s_waitcnt vmcnt(0) lgkmcnt(0)
	v_xor_b32_e32 v1, 0x80000000, v1
	s_or_b64 exec, exec, s[8:9]
	s_and_saveexec_b64 s[8:9], s[12:13]
	s_cbranch_execnz .LBB113_37
	s_branch .LBB113_38
.LBB113_1183:
	v_cmp_ne_u32_e32 vcc, v0, v1
	s_xor_b64 s[12:13], s[2:3], -1
	s_or_b64 s[14:15], s[12:13], vcc
	s_mov_b64 s[12:13], 0
	s_and_saveexec_b64 s[16:17], s[14:15]
	s_xor_b64 s[14:15], exec, s[16:17]
; %bb.1184:
	v_or_b32_e32 v5, v1, v0
	v_cmp_gt_u32_e32 vcc, 64, v5
	s_and_b64 s[12:13], vcc, exec
                                        ; implicit-def: $vgpr5_vgpr6
; %bb.1185:
	s_or_saveexec_b64 s[14:15], s[14:15]
	v_mov_b32_e32 v12, 0
	s_xor_b64 exec, exec, s[14:15]
	s_cbranch_execz .LBB113_1187
; %bb.1186:
	v_lshlrev_b64 v[5:6], 2, v[5:6]
	v_mov_b32_e32 v12, s90
	v_add_co_u32_e32 v5, vcc, s89, v5
	v_addc_co_u32_e32 v6, vcc, v12, v6, vcc
	flat_load_dword v5, v[5:6]
	s_or_b64 s[12:13], s[12:13], exec
	s_waitcnt vmcnt(0) lgkmcnt(0)
	v_div_scale_f32 v6, s[16:17], v5, v5, 1.0
	v_div_scale_f32 v12, vcc, 1.0, v5, 1.0
	v_rcp_f32_e32 v13, v6
	v_fma_f32 v14, -v6, v13, 1.0
	v_fmac_f32_e32 v13, v14, v13
	v_mul_f32_e32 v14, v12, v13
	v_fma_f32 v15, -v6, v14, v12
	v_fmac_f32_e32 v14, v15, v13
	v_fma_f32 v6, -v6, v14, v12
	v_div_fmas_f32 v6, v6, v13, v14
	v_div_fixup_f32 v12, v6, v5, 1.0
.LBB113_1187:
	s_or_b64 exec, exec, s[14:15]
	s_and_b64 s[12:13], s[12:13], exec
                                        ; implicit-def: $vgpr5_vgpr6
	s_andn2_saveexec_b64 s[8:9], s[8:9]
	s_cbranch_execz .LBB113_40
.LBB113_1188:
	v_lshlrev_b64 v[5:6], 2, v[5:6]
	v_mov_b32_e32 v12, s90
	v_add_co_u32_e32 v5, vcc, s89, v5
	v_addc_co_u32_e32 v6, vcc, v12, v6, vcc
	flat_load_dword v5, v[5:6]
	s_or_b64 s[12:13], s[12:13], exec
	s_waitcnt vmcnt(0) lgkmcnt(0)
	v_xor_b32_e32 v12, 0x80000000, v5
	s_or_b64 exec, exec, s[8:9]
	s_and_saveexec_b64 s[8:9], s[12:13]
	s_cbranch_execnz .LBB113_41
	s_branch .LBB113_42
.LBB113_1189:
	v_cmp_ne_u32_e32 vcc, v0, v1
	s_xor_b64 s[12:13], s[2:3], -1
	s_or_b64 s[14:15], s[12:13], vcc
	s_mov_b64 s[12:13], 0
	s_and_saveexec_b64 s[16:17], s[14:15]
	s_xor_b64 s[14:15], exec, s[16:17]
; %bb.1190:
	v_or_b32_e32 v5, v1, v0
	v_cmp_gt_u32_e32 vcc, 64, v5
	s_and_b64 s[12:13], vcc, exec
                                        ; implicit-def: $vgpr5_vgpr6
; %bb.1191:
	s_or_saveexec_b64 s[14:15], s[14:15]
	v_mov_b32_e32 v12, 0
	s_xor_b64 exec, exec, s[14:15]
	s_cbranch_execz .LBB113_1193
; %bb.1192:
	v_lshlrev_b64 v[5:6], 2, v[5:6]
	v_mov_b32_e32 v12, s90
	v_add_co_u32_e32 v5, vcc, s89, v5
	v_addc_co_u32_e32 v6, vcc, v12, v6, vcc
	flat_load_dword v5, v[5:6]
	s_or_b64 s[12:13], s[12:13], exec
	s_waitcnt vmcnt(0) lgkmcnt(0)
	v_div_scale_f32 v6, s[16:17], v5, v5, 1.0
	v_div_scale_f32 v12, vcc, 1.0, v5, 1.0
	v_rcp_f32_e32 v13, v6
	v_fma_f32 v14, -v6, v13, 1.0
	v_fmac_f32_e32 v13, v14, v13
	v_mul_f32_e32 v14, v12, v13
	v_fma_f32 v15, -v6, v14, v12
	v_fmac_f32_e32 v14, v15, v13
	v_fma_f32 v6, -v6, v14, v12
	v_div_fmas_f32 v6, v6, v13, v14
	v_div_fixup_f32 v12, v6, v5, 1.0
.LBB113_1193:
	s_or_b64 exec, exec, s[14:15]
	s_and_b64 s[12:13], s[12:13], exec
                                        ; implicit-def: $vgpr5_vgpr6
	s_andn2_saveexec_b64 s[8:9], s[8:9]
	s_cbranch_execz .LBB113_44
.LBB113_1194:
	v_lshlrev_b64 v[5:6], 2, v[5:6]
	v_mov_b32_e32 v12, s90
	v_add_co_u32_e32 v5, vcc, s89, v5
	v_addc_co_u32_e32 v6, vcc, v12, v6, vcc
	flat_load_dword v5, v[5:6]
	s_or_b64 s[12:13], s[12:13], exec
	s_waitcnt vmcnt(0) lgkmcnt(0)
	v_xor_b32_e32 v12, 0x80000000, v5
	s_or_b64 exec, exec, s[8:9]
	s_and_saveexec_b64 s[8:9], s[12:13]
	s_cbranch_execnz .LBB113_45
	s_branch .LBB113_46
.LBB113_1195:
	s_or_b64 exec, exec, s[10:11]
	s_and_b64 vcc, exec, s[8:9]
	s_cbranch_vccnz .LBB113_1139
.LBB113_1196:
	v_mov_b32_e32 v12, v4
	s_and_saveexec_b64 s[2:3], s[6:7]
	s_cbranch_execnz .LBB113_1202
	s_branch .LBB113_1203
.LBB113_1197:
	s_mov_b64 s[4:5], 0
.LBB113_1198:
	v_cmp_gt_i32_e32 vcc, s88, v0
	s_and_b64 s[2:3], s[2:3], vcc
	s_andn2_b64 s[4:5], s[4:5], exec
	s_and_b64 s[2:3], s[2:3], exec
	s_or_b64 s[4:5], s[4:5], s[2:3]
.LBB113_1199:
                                        ; implicit-def: $vgpr1_vgpr2
	s_and_saveexec_b64 s[2:3], s[4:5]
	s_cbranch_execz .LBB113_1201
; %bb.1200:
	v_mov_b32_e32 v0, s44
	v_add_co_u32_e32 v1, vcc, s33, v11
	v_addc_co_u32_e32 v0, vcc, 0, v0, vcc
	v_mul_lo_u32 v0, v0, s26
	v_mul_lo_u32 v3, v1, s27
	v_mad_u64_u32 v[1:2], s[4:5], v1, s26, 0
	s_or_b64 s[6:7], s[6:7], exec
	v_add3_u32 v2, v2, v3, v0
.LBB113_1201:
	s_or_b64 exec, exec, s[2:3]
	s_and_saveexec_b64 s[2:3], s[6:7]
	s_cbranch_execz .LBB113_1203
.LBB113_1202:
	v_lshlrev_b64 v[0:1], 2, v[1:2]
	v_mov_b32_e32 v2, s21
	v_add_co_u32_e32 v0, vcc, s20, v0
	v_addc_co_u32_e32 v1, vcc, v2, v1, vcc
	flat_store_dword v[0:1], v12
.LBB113_1203:
	s_or_b64 exec, exec, s[2:3]
	v_cmp_eq_u32_e32 vcc, 0, v11
	s_waitcnt vmcnt(0) lgkmcnt(0)
	buffer_wbinvl1_vol
	s_barrier
	s_and_saveexec_b64 s[2:3], vcc
	s_cbranch_execz .LBB113_1205
; %bb.1204:
	s_lshl_b64 s[4:5], s[24:25], 2
	s_add_u32 s0, s0, s4
	s_addc_u32 s1, s1, s5
	v_mov_b32_e32 v0, 0
	global_load_dword v1, v0, s[0:1]
	s_waitcnt vmcnt(0)
	v_add_u32_e32 v1, 1, v1
	global_store_dword v0, v1, s[0:1]
.LBB113_1205:
	s_or_b64 exec, exec, s[2:3]
	s_waitcnt vmcnt(0)
	buffer_wbinvl1_vol
	s_endpgm
.LBB113_1206:
	ds_read_b32 v16, v15 offset:15840
	ds_read_b32 v17, v14 offset:15604
	s_waitcnt lgkmcnt(0)
	v_fmac_f32_e32 v13, v16, v17
	s_or_b64 exec, exec, s[14:15]
	v_cmp_gt_u32_e64 s[10:11], 8, v5
	s_and_saveexec_b64 s[14:15], s[10:11]
	s_cbranch_execz .LBB113_79
.LBB113_1207:
	ds_read_b32 v15, v15 offset:16096
	ds_read_b32 v14, v14 offset:15608
	s_waitcnt lgkmcnt(0)
	v_fmac_f32_e32 v13, v15, v14
	s_or_b64 exec, exec, s[14:15]
	v_cmp_gt_u32_e64 s[10:11], 4, v5
	s_and_saveexec_b64 s[14:15], s[10:11]
	s_cbranch_execnz .LBB113_80
	s_branch .LBB113_81
.LBB113_1208:
	ds_read_b32 v19, v18 offset:14784
	ds_read_b32 v20, v17 offset:14564
	s_waitcnt lgkmcnt(0)
	v_fmac_f32_e32 v16, v19, v20
	s_or_b64 exec, exec, s[16:17]
	v_cmp_gt_u32_e64 s[14:15], 48, v5
	s_and_saveexec_b64 s[16:17], s[14:15]
	s_cbranch_execz .LBB113_121
.LBB113_1209:
	ds_read_b32 v19, v18 offset:15040
	ds_read_b32 v20, v17 offset:14568
	s_waitcnt lgkmcnt(0)
	v_fmac_f32_e32 v16, v19, v20
	s_or_b64 exec, exec, s[16:17]
	v_cmp_gt_u32_e64 s[14:15], 40, v5
	s_and_saveexec_b64 s[16:17], s[14:15]
	s_cbranch_execz .LBB113_122
.LBB113_1210:
	ds_read_b32 v19, v18 offset:15296
	ds_read_b32 v20, v17 offset:14572
	s_waitcnt lgkmcnt(0)
	v_fmac_f32_e32 v16, v19, v20
	s_or_b64 exec, exec, s[16:17]
	v_cmp_gt_u32_e64 s[14:15], 32, v5
	s_and_saveexec_b64 s[16:17], s[14:15]
	s_cbranch_execz .LBB113_123
.LBB113_1211:
	ds_read_b32 v19, v18 offset:15552
	ds_read_b32 v20, v17 offset:14576
	s_waitcnt lgkmcnt(0)
	v_fmac_f32_e32 v16, v19, v20
	s_or_b64 exec, exec, s[16:17]
	v_cmp_gt_u32_e64 s[14:15], 24, v5
	s_and_saveexec_b64 s[16:17], s[14:15]
	s_cbranch_execz .LBB113_124
.LBB113_1212:
	ds_read_b32 v19, v18 offset:15808
	ds_read_b32 v20, v17 offset:14580
	s_waitcnt lgkmcnt(0)
	v_fmac_f32_e32 v16, v19, v20
	s_or_b64 exec, exec, s[16:17]
	s_and_saveexec_b64 s[14:15], s[18:19]
	s_cbranch_execz .LBB113_125
.LBB113_1213:
	ds_read_b32 v18, v18 offset:16064
	ds_read_b32 v17, v17 offset:14584
	s_waitcnt lgkmcnt(0)
	v_fmac_f32_e32 v16, v18, v17
	s_or_b64 exec, exec, s[14:15]
	v_cmp_gt_u32_e64 s[14:15], 8, v5
	s_and_saveexec_b64 s[16:17], s[14:15]
	s_cbranch_execnz .LBB113_126
	s_branch .LBB113_127
.LBB113_1214:
	ds_read_b32 v19, v18 offset:13760
	ds_read_b32 v20, v17 offset:13524
	s_waitcnt lgkmcnt(0)
	v_fmac_f32_e32 v16, v19, v20
	s_or_b64 exec, exec, s[14:15]
	v_cmp_gt_u32_e64 s[10:11], 8, v5
	s_and_saveexec_b64 s[14:15], s[10:11]
	s_cbranch_execz .LBB113_183
.LBB113_1215:
	ds_read_b32 v18, v18 offset:14016
	ds_read_b32 v17, v17 offset:13528
	s_waitcnt lgkmcnt(0)
	v_fmac_f32_e32 v16, v18, v17
	s_or_b64 exec, exec, s[14:15]
	v_cmp_gt_u32_e64 s[10:11], 4, v5
	s_and_saveexec_b64 s[14:15], s[10:11]
	s_cbranch_execnz .LBB113_184
	s_branch .LBB113_185
.LBB113_1216:
	ds_read_b32 v22, v21 offset:15232
	ds_read_b32 v23, v20 offset:12524
	s_waitcnt lgkmcnt(0)
	v_fmac_f32_e32 v19, v22, v23
	s_or_b64 exec, exec, s[20:21]
	s_and_saveexec_b64 s[16:17], s[8:9]
	s_cbranch_execz .LBB113_245
.LBB113_1217:
	ds_read_b32 v22, v21 offset:15488
	ds_read_b32 v23, v20 offset:12528
	s_waitcnt lgkmcnt(0)
	v_fmac_f32_e32 v19, v22, v23
	s_or_b64 exec, exec, s[16:17]
	v_cmp_gt_u32_e64 s[16:17], 48, v5
	s_and_saveexec_b64 s[20:21], s[16:17]
	s_cbranch_execz .LBB113_246
.LBB113_1218:
	ds_read_b32 v22, v21 offset:15744
	ds_read_b32 v23, v20 offset:12532
	s_waitcnt lgkmcnt(0)
	v_fmac_f32_e32 v19, v22, v23
	s_or_b64 exec, exec, s[20:21]
	v_cmp_gt_u32_e64 s[16:17], 32, v5
	s_and_saveexec_b64 s[20:21], s[16:17]
	s_cbranch_execz .LBB113_247
.LBB113_1219:
	ds_read_b32 v21, v21 offset:16000
	ds_read_b32 v20, v20 offset:12536
	s_waitcnt lgkmcnt(0)
	v_fmac_f32_e32 v19, v21, v20
	s_or_b64 exec, exec, s[20:21]
	v_cmp_gt_u32_e64 s[16:17], 16, v5
	s_and_saveexec_b64 s[20:21], s[16:17]
	s_cbranch_execnz .LBB113_248
	s_branch .LBB113_249
.LBB113_1220:
	ds_read_b32 v22, v21 offset:11680
	ds_read_b32 v23, v20 offset:11444
	s_waitcnt lgkmcnt(0)
	v_fmac_f32_e32 v19, v22, v23
	s_or_b64 exec, exec, s[20:21]
	v_cmp_gt_u32_e64 s[14:15], 8, v5
	s_and_saveexec_b64 s[20:21], s[14:15]
	s_cbranch_execz .LBB113_337
.LBB113_1221:
	ds_read_b32 v21, v21 offset:11936
	ds_read_b32 v20, v20 offset:11448
	s_waitcnt lgkmcnt(0)
	v_fmac_f32_e32 v19, v21, v20
	s_or_b64 exec, exec, s[20:21]
	v_cmp_gt_u32_e64 s[14:15], 4, v5
	s_and_saveexec_b64 s[20:21], s[14:15]
	s_cbranch_execnz .LBB113_338
	s_branch .LBB113_339
.LBB113_1222:
	ds_read_b32 v22, v21 offset:10624
	ds_read_b32 v23, v20 offset:10404
	s_waitcnt lgkmcnt(0)
	v_fmac_f32_e32 v19, v22, v23
	s_or_b64 exec, exec, s[20:21]
	v_cmp_gt_u32_e64 s[14:15], 48, v5
	s_and_saveexec_b64 s[20:21], s[14:15]
	s_cbranch_execz .LBB113_379
.LBB113_1223:
	ds_read_b32 v22, v21 offset:10880
	ds_read_b32 v23, v20 offset:10408
	s_waitcnt lgkmcnt(0)
	v_fmac_f32_e32 v19, v22, v23
	s_or_b64 exec, exec, s[20:21]
	v_cmp_gt_u32_e64 s[14:15], 40, v5
	s_and_saveexec_b64 s[20:21], s[14:15]
	s_cbranch_execz .LBB113_380
.LBB113_1224:
	ds_read_b32 v22, v21 offset:11136
	ds_read_b32 v23, v20 offset:10412
	s_waitcnt lgkmcnt(0)
	v_fmac_f32_e32 v19, v22, v23
	s_or_b64 exec, exec, s[20:21]
	v_cmp_gt_u32_e64 s[14:15], 32, v5
	s_and_saveexec_b64 s[20:21], s[14:15]
	s_cbranch_execz .LBB113_381
.LBB113_1225:
	ds_read_b32 v22, v21 offset:11392
	ds_read_b32 v23, v20 offset:10416
	s_waitcnt lgkmcnt(0)
	v_fmac_f32_e32 v19, v22, v23
	s_or_b64 exec, exec, s[20:21]
	v_cmp_gt_u32_e64 s[14:15], 24, v5
	s_and_saveexec_b64 s[20:21], s[14:15]
	s_cbranch_execz .LBB113_382
.LBB113_1226:
	ds_read_b32 v22, v21 offset:11648
	ds_read_b32 v23, v20 offset:10420
	s_waitcnt lgkmcnt(0)
	v_fmac_f32_e32 v19, v22, v23
	s_or_b64 exec, exec, s[20:21]
	s_and_saveexec_b64 s[14:15], s[18:19]
	s_cbranch_execz .LBB113_383
.LBB113_1227:
	ds_read_b32 v21, v21 offset:11904
	ds_read_b32 v20, v20 offset:10424
	s_waitcnt lgkmcnt(0)
	v_fmac_f32_e32 v19, v21, v20
	s_or_b64 exec, exec, s[14:15]
	v_cmp_gt_u32_e64 s[14:15], 8, v5
	s_and_saveexec_b64 s[20:21], s[14:15]
	s_cbranch_execnz .LBB113_384
	s_branch .LBB113_385
.LBB113_1228:
	ds_read_b32 v22, v21 offset:9600
	ds_read_b32 v23, v20 offset:9364
	s_waitcnt lgkmcnt(0)
	v_fmac_f32_e32 v19, v22, v23
	s_or_b64 exec, exec, s[20:21]
	v_cmp_gt_u32_e64 s[14:15], 8, v5
	s_and_saveexec_b64 s[20:21], s[14:15]
	s_cbranch_execz .LBB113_441
.LBB113_1229:
	ds_read_b32 v21, v21 offset:9856
	ds_read_b32 v20, v20 offset:9368
	s_waitcnt lgkmcnt(0)
	v_fmac_f32_e32 v19, v21, v20
	s_or_b64 exec, exec, s[20:21]
	v_cmp_gt_u32_e64 s[14:15], 4, v5
	s_and_saveexec_b64 s[20:21], s[14:15]
	s_cbranch_execnz .LBB113_442
	s_branch .LBB113_443
.LBB113_1230:
	ds_read_b32 v25, v24 offset:15616
	ds_read_b32 v26, v23 offset:8436
	s_waitcnt lgkmcnt(0)
	v_fmac_f32_e32 v21, v25, v26
	s_or_b64 exec, exec, s[22:23]
	s_and_saveexec_b64 s[20:21], s[8:9]
	s_cbranch_execz .LBB113_539
.LBB113_1231:
	ds_read_b32 v24, v24 offset:15872
	ds_read_b32 v23, v23 offset:8440
	s_waitcnt lgkmcnt(0)
	v_fmac_f32_e32 v21, v24, v23
	s_or_b64 exec, exec, s[20:21]
	v_cmp_gt_u32_e64 s[20:21], 32, v5
	s_and_saveexec_b64 s[22:23], s[20:21]
	s_cbranch_execnz .LBB113_540
	s_branch .LBB113_541
.LBB113_1232:
	ds_read_b32 v22, v21 offset:7520
	ds_read_b32 v23, v20 offset:7284
	s_waitcnt lgkmcnt(0)
	v_fmac_f32_e32 v19, v22, v23
	s_or_b64 exec, exec, s[16:17]
	v_cmp_gt_u32_e64 s[12:13], 8, v5
	s_and_saveexec_b64 s[16:17], s[12:13]
	s_cbranch_execz .LBB113_693
.LBB113_1233:
	ds_read_b32 v21, v21 offset:7776
	ds_read_b32 v20, v20 offset:7288
	s_waitcnt lgkmcnt(0)
	v_fmac_f32_e32 v19, v21, v20
	s_or_b64 exec, exec, s[16:17]
	v_cmp_gt_u32_e64 s[12:13], 4, v5
	s_and_saveexec_b64 s[16:17], s[12:13]
	s_cbranch_execnz .LBB113_694
	s_branch .LBB113_695
.LBB113_1234:
	ds_read_b32 v22, v21 offset:6464
	ds_read_b32 v23, v20 offset:6244
	s_waitcnt lgkmcnt(0)
	v_fmac_f32_e32 v19, v22, v23
	s_or_b64 exec, exec, s[16:17]
	v_cmp_gt_u32_e64 s[12:13], 48, v5
	s_and_saveexec_b64 s[16:17], s[12:13]
	s_cbranch_execz .LBB113_735
.LBB113_1235:
	ds_read_b32 v22, v21 offset:6720
	ds_read_b32 v23, v20 offset:6248
	s_waitcnt lgkmcnt(0)
	v_fmac_f32_e32 v19, v22, v23
	s_or_b64 exec, exec, s[16:17]
	v_cmp_gt_u32_e64 s[12:13], 40, v5
	s_and_saveexec_b64 s[16:17], s[12:13]
	s_cbranch_execz .LBB113_736
.LBB113_1236:
	ds_read_b32 v22, v21 offset:6976
	ds_read_b32 v23, v20 offset:6252
	s_waitcnt lgkmcnt(0)
	v_fmac_f32_e32 v19, v22, v23
	s_or_b64 exec, exec, s[16:17]
	v_cmp_gt_u32_e64 s[12:13], 32, v5
	s_and_saveexec_b64 s[16:17], s[12:13]
	s_cbranch_execz .LBB113_737
.LBB113_1237:
	ds_read_b32 v22, v21 offset:7232
	ds_read_b32 v23, v20 offset:6256
	s_waitcnt lgkmcnt(0)
	v_fmac_f32_e32 v19, v22, v23
	s_or_b64 exec, exec, s[16:17]
	v_cmp_gt_u32_e64 s[12:13], 24, v5
	s_and_saveexec_b64 s[16:17], s[12:13]
	s_cbranch_execz .LBB113_738
.LBB113_1238:
	ds_read_b32 v22, v21 offset:7488
	ds_read_b32 v23, v20 offset:6260
	s_waitcnt lgkmcnt(0)
	v_fmac_f32_e32 v19, v22, v23
	s_or_b64 exec, exec, s[16:17]
	s_and_saveexec_b64 s[12:13], s[18:19]
	s_cbranch_execz .LBB113_739
.LBB113_1239:
	ds_read_b32 v21, v21 offset:7744
	ds_read_b32 v20, v20 offset:6264
	s_waitcnt lgkmcnt(0)
	v_fmac_f32_e32 v19, v21, v20
	s_or_b64 exec, exec, s[12:13]
	v_cmp_gt_u32_e64 s[12:13], 8, v5
	s_and_saveexec_b64 s[16:17], s[12:13]
	s_cbranch_execnz .LBB113_740
	s_branch .LBB113_741
.LBB113_1240:
	ds_read_b32 v22, v21 offset:5440
	ds_read_b32 v23, v20 offset:5204
	s_waitcnt lgkmcnt(0)
	v_fmac_f32_e32 v19, v22, v23
	s_or_b64 exec, exec, s[16:17]
	v_cmp_gt_u32_e64 s[12:13], 8, v5
	s_and_saveexec_b64 s[16:17], s[12:13]
	s_cbranch_execz .LBB113_797
.LBB113_1241:
	ds_read_b32 v21, v21 offset:5696
	ds_read_b32 v20, v20 offset:5208
	s_waitcnt lgkmcnt(0)
	v_fmac_f32_e32 v19, v21, v20
	s_or_b64 exec, exec, s[16:17]
	v_cmp_gt_u32_e64 s[12:13], 4, v5
	s_and_saveexec_b64 s[16:17], s[12:13]
	s_cbranch_execnz .LBB113_798
	s_branch .LBB113_799
.LBB113_1242:
	ds_read_b32 v22, v21 offset:6912
	ds_read_b32 v23, v20 offset:4204
	s_waitcnt lgkmcnt(0)
	v_fmac_f32_e32 v19, v22, v23
	s_or_b64 exec, exec, s[16:17]
	s_and_saveexec_b64 s[12:13], s[8:9]
	s_cbranch_execz .LBB113_859
.LBB113_1243:
	ds_read_b32 v22, v21 offset:7168
	ds_read_b32 v23, v20 offset:4208
	s_waitcnt lgkmcnt(0)
	v_fmac_f32_e32 v19, v22, v23
	s_or_b64 exec, exec, s[12:13]
	v_cmp_gt_u32_e64 s[12:13], 48, v5
	s_and_saveexec_b64 s[16:17], s[12:13]
	s_cbranch_execz .LBB113_860
.LBB113_1244:
	ds_read_b32 v22, v21 offset:7424
	ds_read_b32 v23, v20 offset:4212
	s_waitcnt lgkmcnt(0)
	v_fmac_f32_e32 v19, v22, v23
	s_or_b64 exec, exec, s[16:17]
	v_cmp_gt_u32_e64 s[12:13], 32, v5
	s_and_saveexec_b64 s[16:17], s[12:13]
	s_cbranch_execz .LBB113_861
.LBB113_1245:
	ds_read_b32 v21, v21 offset:7680
	ds_read_b32 v20, v20 offset:4216
	s_waitcnt lgkmcnt(0)
	v_fmac_f32_e32 v19, v21, v20
	s_or_b64 exec, exec, s[16:17]
	v_cmp_gt_u32_e64 s[12:13], 16, v5
	s_and_saveexec_b64 s[16:17], s[12:13]
	s_cbranch_execnz .LBB113_862
	s_branch .LBB113_863
.LBB113_1246:
	ds_read_b32 v19, v18 offset:3360
	ds_read_b32 v20, v17 offset:3124
	s_waitcnt lgkmcnt(0)
	v_fmac_f32_e32 v16, v19, v20
	s_or_b64 exec, exec, s[12:13]
	v_cmp_gt_u32_e64 s[10:11], 8, v5
	s_and_saveexec_b64 s[12:13], s[10:11]
	s_cbranch_execz .LBB113_951
.LBB113_1247:
	ds_read_b32 v18, v18 offset:3616
	ds_read_b32 v17, v17 offset:3128
	s_waitcnt lgkmcnt(0)
	v_fmac_f32_e32 v16, v18, v17
	s_or_b64 exec, exec, s[12:13]
	v_cmp_gt_u32_e64 s[10:11], 4, v5
	s_and_saveexec_b64 s[12:13], s[10:11]
	s_cbranch_execnz .LBB113_952
	s_branch .LBB113_953
.LBB113_1248:
	ds_read_b32 v19, v18 offset:2304
	ds_read_b32 v20, v17 offset:2084
	s_waitcnt lgkmcnt(0)
	v_fmac_f32_e32 v16, v19, v20
	s_or_b64 exec, exec, s[12:13]
	v_cmp_gt_u32_e64 s[10:11], 48, v5
	s_and_saveexec_b64 s[12:13], s[10:11]
	s_cbranch_execz .LBB113_993
.LBB113_1249:
	ds_read_b32 v19, v18 offset:2560
	ds_read_b32 v20, v17 offset:2088
	s_waitcnt lgkmcnt(0)
	v_fmac_f32_e32 v16, v19, v20
	s_or_b64 exec, exec, s[12:13]
	v_cmp_gt_u32_e64 s[10:11], 40, v5
	s_and_saveexec_b64 s[12:13], s[10:11]
	s_cbranch_execz .LBB113_994
.LBB113_1250:
	ds_read_b32 v19, v18 offset:2816
	ds_read_b32 v20, v17 offset:2092
	s_waitcnt lgkmcnt(0)
	v_fmac_f32_e32 v16, v19, v20
	s_or_b64 exec, exec, s[12:13]
	v_cmp_gt_u32_e64 s[10:11], 32, v5
	s_and_saveexec_b64 s[12:13], s[10:11]
	s_cbranch_execz .LBB113_995
.LBB113_1251:
	ds_read_b32 v19, v18 offset:3072
	ds_read_b32 v20, v17 offset:2096
	s_waitcnt lgkmcnt(0)
	v_fmac_f32_e32 v16, v19, v20
	s_or_b64 exec, exec, s[12:13]
	v_cmp_gt_u32_e64 s[10:11], 24, v5
	s_and_saveexec_b64 s[12:13], s[10:11]
	s_cbranch_execz .LBB113_996
.LBB113_1252:
	ds_read_b32 v19, v18 offset:3328
	ds_read_b32 v20, v17 offset:2100
	s_waitcnt lgkmcnt(0)
	v_fmac_f32_e32 v16, v19, v20
	s_or_b64 exec, exec, s[12:13]
	s_and_saveexec_b64 s[10:11], s[18:19]
	s_cbranch_execz .LBB113_997
.LBB113_1253:
	ds_read_b32 v18, v18 offset:3584
	ds_read_b32 v17, v17 offset:2104
	s_waitcnt lgkmcnt(0)
	v_fmac_f32_e32 v16, v18, v17
	s_or_b64 exec, exec, s[10:11]
	v_cmp_gt_u32_e64 s[10:11], 8, v5
	s_and_saveexec_b64 s[12:13], s[10:11]
	s_cbranch_execnz .LBB113_998
	s_branch .LBB113_999
.LBB113_1254:
	ds_read_b32 v16, v15 offset:1280
	ds_read_b32 v17, v14 offset:1044
	s_waitcnt lgkmcnt(0)
	v_fmac_f32_e32 v13, v16, v17
	s_or_b64 exec, exec, s[10:11]
	v_cmp_gt_u32_e64 s[8:9], 8, v5
	s_and_saveexec_b64 s[10:11], s[8:9]
	s_cbranch_execz .LBB113_1055
.LBB113_1255:
	ds_read_b32 v15, v15 offset:1536
	ds_read_b32 v14, v14 offset:1048
	s_waitcnt lgkmcnt(0)
	v_fmac_f32_e32 v13, v15, v14
	s_or_b64 exec, exec, s[10:11]
	v_cmp_gt_u32_e64 s[8:9], 4, v5
	s_and_saveexec_b64 s[10:11], s[8:9]
	s_cbranch_execnz .LBB113_1056
	s_branch .LBB113_1057
	.section	.rodata,"a",@progbits
	.p2align	6, 0x0
	.amdhsa_kernel _ZL19rocblas_trsv_deviceILi64ELi16ELb0ELb1ELb0ELb0EffPKPKfPKPfEviT7_lllT6_T8_lllPii
		.amdhsa_group_segment_fixed_size 20740
		.amdhsa_private_segment_fixed_size 0
		.amdhsa_kernarg_size 352
		.amdhsa_user_sgpr_count 6
		.amdhsa_user_sgpr_private_segment_buffer 1
		.amdhsa_user_sgpr_dispatch_ptr 0
		.amdhsa_user_sgpr_queue_ptr 0
		.amdhsa_user_sgpr_kernarg_segment_ptr 1
		.amdhsa_user_sgpr_dispatch_id 0
		.amdhsa_user_sgpr_flat_scratch_init 0
		.amdhsa_user_sgpr_private_segment_size 0
		.amdhsa_uses_dynamic_stack 0
		.amdhsa_system_sgpr_private_segment_wavefront_offset 0
		.amdhsa_system_sgpr_workgroup_id_x 1
		.amdhsa_system_sgpr_workgroup_id_y 0
		.amdhsa_system_sgpr_workgroup_id_z 1
		.amdhsa_system_sgpr_workgroup_info 0
		.amdhsa_system_vgpr_workitem_id 1
		.amdhsa_next_free_vgpr 29
		.amdhsa_next_free_sgpr 96
		.amdhsa_reserve_vcc 1
		.amdhsa_reserve_flat_scratch 0
		.amdhsa_float_round_mode_32 0
		.amdhsa_float_round_mode_16_64 0
		.amdhsa_float_denorm_mode_32 3
		.amdhsa_float_denorm_mode_16_64 3
		.amdhsa_dx10_clamp 1
		.amdhsa_ieee_mode 1
		.amdhsa_fp16_overflow 0
		.amdhsa_exception_fp_ieee_invalid_op 0
		.amdhsa_exception_fp_denorm_src 0
		.amdhsa_exception_fp_ieee_div_zero 0
		.amdhsa_exception_fp_ieee_overflow 0
		.amdhsa_exception_fp_ieee_underflow 0
		.amdhsa_exception_fp_ieee_inexact 0
		.amdhsa_exception_int_div_zero 0
	.end_amdhsa_kernel
	.section	.text._ZL19rocblas_trsv_deviceILi64ELi16ELb0ELb1ELb0ELb0EffPKPKfPKPfEviT7_lllT6_T8_lllPii,"axG",@progbits,_ZL19rocblas_trsv_deviceILi64ELi16ELb0ELb1ELb0ELb0EffPKPKfPKPfEviT7_lllT6_T8_lllPii,comdat
.Lfunc_end113:
	.size	_ZL19rocblas_trsv_deviceILi64ELi16ELb0ELb1ELb0ELb0EffPKPKfPKPfEviT7_lllT6_T8_lllPii, .Lfunc_end113-_ZL19rocblas_trsv_deviceILi64ELi16ELb0ELb1ELb0ELb0EffPKPKfPKPfEviT7_lllT6_T8_lllPii
                                        ; -- End function
	.set _ZL19rocblas_trsv_deviceILi64ELi16ELb0ELb1ELb0ELb0EffPKPKfPKPfEviT7_lllT6_T8_lllPii.num_vgpr, 28
	.set _ZL19rocblas_trsv_deviceILi64ELi16ELb0ELb1ELb0ELb0EffPKPKfPKPfEviT7_lllT6_T8_lllPii.num_agpr, 0
	.set _ZL19rocblas_trsv_deviceILi64ELi16ELb0ELb1ELb0ELb0EffPKPKfPKPfEviT7_lllT6_T8_lllPii.numbered_sgpr, 96
	.set _ZL19rocblas_trsv_deviceILi64ELi16ELb0ELb1ELb0ELb0EffPKPKfPKPfEviT7_lllT6_T8_lllPii.num_named_barrier, 0
	.set _ZL19rocblas_trsv_deviceILi64ELi16ELb0ELb1ELb0ELb0EffPKPKfPKPfEviT7_lllT6_T8_lllPii.private_seg_size, 0
	.set _ZL19rocblas_trsv_deviceILi64ELi16ELb0ELb1ELb0ELb0EffPKPKfPKPfEviT7_lllT6_T8_lllPii.uses_vcc, 1
	.set _ZL19rocblas_trsv_deviceILi64ELi16ELb0ELb1ELb0ELb0EffPKPKfPKPfEviT7_lllT6_T8_lllPii.uses_flat_scratch, 0
	.set _ZL19rocblas_trsv_deviceILi64ELi16ELb0ELb1ELb0ELb0EffPKPKfPKPfEviT7_lllT6_T8_lllPii.has_dyn_sized_stack, 0
	.set _ZL19rocblas_trsv_deviceILi64ELi16ELb0ELb1ELb0ELb0EffPKPKfPKPfEviT7_lllT6_T8_lllPii.has_recursion, 0
	.set _ZL19rocblas_trsv_deviceILi64ELi16ELb0ELb1ELb0ELb0EffPKPKfPKPfEviT7_lllT6_T8_lllPii.has_indirect_call, 0
	.section	.AMDGPU.csdata,"",@progbits
; Kernel info:
; codeLenInByte = 40632
; TotalNumSgprs: 100
; NumVgprs: 28
; ScratchSize: 0
; MemoryBound: 0
; FloatMode: 240
; IeeeMode: 1
; LDSByteSize: 20740 bytes/workgroup (compile time only)
; SGPRBlocks: 12
; VGPRBlocks: 7
; NumSGPRsForWavesPerEU: 100
; NumVGPRsForWavesPerEU: 29
; Occupancy: 8
; WaveLimiterHint : 1
; COMPUTE_PGM_RSRC2:SCRATCH_EN: 0
; COMPUTE_PGM_RSRC2:USER_SGPR: 6
; COMPUTE_PGM_RSRC2:TRAP_HANDLER: 0
; COMPUTE_PGM_RSRC2:TGID_X_EN: 1
; COMPUTE_PGM_RSRC2:TGID_Y_EN: 0
; COMPUTE_PGM_RSRC2:TGID_Z_EN: 1
; COMPUTE_PGM_RSRC2:TIDIG_COMP_CNT: 1
	.section	.text._ZL19rocblas_trsv_deviceILi64ELi16ELb0ELb1ELb1ELb0EffPKPKfPKPfEviT7_lllT6_T8_lllPii,"axG",@progbits,_ZL19rocblas_trsv_deviceILi64ELi16ELb0ELb1ELb1ELb0EffPKPKfPKPfEviT7_lllT6_T8_lllPii,comdat
	.globl	_ZL19rocblas_trsv_deviceILi64ELi16ELb0ELb1ELb1ELb0EffPKPKfPKPfEviT7_lllT6_T8_lllPii ; -- Begin function _ZL19rocblas_trsv_deviceILi64ELi16ELb0ELb1ELb1ELb0EffPKPKfPKPfEviT7_lllT6_T8_lllPii
	.p2align	8
	.type	_ZL19rocblas_trsv_deviceILi64ELi16ELb0ELb1ELb1ELb0EffPKPKfPKPfEviT7_lllT6_T8_lllPii,@function
_ZL19rocblas_trsv_deviceILi64ELi16ELb0ELb1ELb1ELb0EffPKPKfPKPfEviT7_lllT6_T8_lllPii: ; @_ZL19rocblas_trsv_deviceILi64ELi16ELb0ELb1ELb1ELb0EffPKPKfPKPfEviT7_lllT6_T8_lllPii
; %bb.0:
	s_load_dwordx4 s[0:3], s[4:5], 0x8
	s_mov_b32 s24, s7
	s_mov_b32 s25, 0
	s_lshl_b64 s[8:9], s[24:25], 3
	v_mov_b32_e32 v2, v1
	s_waitcnt lgkmcnt(0)
	s_add_u32 s0, s0, s8
	s_addc_u32 s1, s1, s9
	s_load_dwordx2 s[10:11], s[0:1], 0x0
	s_load_dword s7, s[4:5], 0x0
	s_load_dwordx4 s[12:15], s[4:5], 0x30
	s_load_dwordx2 s[30:31], s[4:5], 0x18
	s_lshl_b64 s[0:1], s[2:3], 2
	s_waitcnt lgkmcnt(0)
	s_add_u32 s89, s10, s0
	s_addc_u32 s90, s11, s1
	s_add_u32 s0, s12, s8
	s_addc_u32 s1, s13, s9
	s_load_dwordx2 s[34:35], s[0:1], 0x0
	s_load_dwordx2 s[26:27], s[4:5], 0x40
	s_load_dword s91, s[4:5], 0x6c
	s_cmp_eq_u32 s6, 0
	s_cbranch_scc1 .LBB114_10
; %bb.1:
	s_lshl_b32 s33, s6, 6
	v_add_u32_e32 v1, s33, v0
	v_ashrrev_i32_e32 v3, 31, v1
	v_mul_lo_u32 v7, s30, v3
	v_mul_lo_u32 v8, s31, v1
	v_mad_u64_u32 v[5:6], s[0:1], s30, v1, 0
	v_add_u32_e32 v3, s33, v2
	v_subrev_u32_e32 v3, 64, v3
	v_add3_u32 v6, v6, v7, v8
	v_lshlrev_b64 v[5:6], 2, v[5:6]
	v_ashrrev_i32_e32 v4, 31, v3
	v_cmp_gt_i32_e32 vcc, s7, v1
	v_mov_b32_e32 v1, s90
	v_add_co_u32_e64 v7, s[0:1], s89, v5
	v_lshlrev_b64 v[4:5], 2, v[3:4]
	v_addc_co_u32_e64 v1, s[0:1], v1, v6, s[0:1]
	v_add_co_u32_e64 v4, s[0:1], v7, v4
	v_addc_co_u32_e64 v5, s[0:1], v1, v5, s[0:1]
	v_cmp_gt_i32_e64 s[0:1], s7, v3
	s_and_b64 s[2:3], s[0:1], vcc
	v_mov_b32_e32 v7, 0
	v_mov_b32_e32 v8, 0
	s_waitcnt lgkmcnt(0)
	s_barrier
	s_and_saveexec_b64 s[0:1], s[2:3]
	s_cbranch_execz .LBB114_3
; %bb.2:
	flat_load_dword v8, v[4:5]
.LBB114_3:
	s_or_b64 exec, exec, s[0:1]
	v_add_u32_e32 v1, 16, v3
	v_cmp_gt_i32_e64 s[0:1], s7, v1
	s_and_b64 s[2:3], s[0:1], vcc
	s_waitcnt vmcnt(0) lgkmcnt(0)
	s_barrier
	s_and_saveexec_b64 s[0:1], s[2:3]
	s_cbranch_execz .LBB114_5
; %bb.4:
	flat_load_dword v7, v[4:5] offset:64
.LBB114_5:
	s_or_b64 exec, exec, s[0:1]
	v_add_u32_e32 v1, 32, v3
	v_cmp_gt_i32_e64 s[0:1], s7, v1
	s_and_b64 s[2:3], s[0:1], vcc
	v_mov_b32_e32 v9, 0
	v_mov_b32_e32 v10, 0
	s_waitcnt vmcnt(0) lgkmcnt(0)
	s_barrier
	s_and_saveexec_b64 s[0:1], s[2:3]
	s_cbranch_execz .LBB114_7
; %bb.6:
	flat_load_dword v10, v[4:5] offset:128
.LBB114_7:
	s_or_b64 exec, exec, s[0:1]
	v_add_u32_e32 v1, 48, v3
	v_cmp_gt_i32_e64 s[0:1], s7, v1
	s_and_b64 s[2:3], s[0:1], vcc
	s_waitcnt vmcnt(0) lgkmcnt(0)
	s_barrier
	s_and_saveexec_b64 s[0:1], s[2:3]
	s_cbranch_execz .LBB114_9
; %bb.8:
	flat_load_dword v9, v[4:5] offset:192
.LBB114_9:
	s_or_b64 exec, exec, s[0:1]
	s_branch .LBB114_11
.LBB114_10:
                                        ; implicit-def: $vgpr9
                                        ; implicit-def: $vgpr10
                                        ; implicit-def: $vgpr7
                                        ; implicit-def: $vgpr8
	s_mov_b32 s33, s25
.LBB114_11:
	s_ashr_i32 s0, s7, 31
	s_lshr_b32 s0, s0, 26
	s_add_i32 s0, s7, s0
	s_andn2_b32 s0, s0, 63
	s_sub_i32 s88, s7, s0
	s_add_i32 s0, s7, -1
	s_ashr_i32 s1, s0, 31
	s_lshr_b32 s1, s1, 26
	s_add_i32 s0, s0, s1
	s_ashr_i32 s0, s0, 6
	s_cmp_eq_u32 s0, s6
	s_cselect_b64 s[0:1], -1, 0
	s_cmp_lg_u32 s88, 0
	s_cselect_b64 s[2:3], -1, 0
	s_and_b64 s[28:29], s[2:3], s[0:1]
	s_cmp_lt_i32 s6, 5
	s_cselect_b64 s[2:3], -1, 0
	s_or_b64 s[0:1], s[2:3], s[28:29]
	s_ashr_i32 s44, s33, 31
	s_add_u32 s10, s30, 1
	v_mov_b32_e32 v1, 0
	v_mov_b32_e32 v3, s33
	v_mad_u64_u32 v[3:4], s[8:9], s10, v3, v[0:1]
	s_addc_u32 s11, s31, 0
	s_mul_i32 s8, s10, s44
	s_mul_i32 s11, s11, s33
	s_add_i32 s8, s8, s11
	s_mov_b64 s[12:13], -1
	v_lshlrev_b32_e32 v11, 6, v0
	v_add_u32_e32 v4, s8, v4
	s_and_b64 vcc, exec, s[28:29]
	v_cmp_le_u32_e64 s[8:9], v2, v0
	s_cbranch_vccnz .LBB114_33
; %bb.12:
	v_mad_u64_u32 v[5:6], s[10:11], s30, v2, v[3:4]
	v_mov_b32_e32 v1, v6
	v_mad_u64_u32 v[12:13], s[10:11], s31, v2, v[1:2]
	s_mov_b64 s[10:11], 0
                                        ; implicit-def: $vgpr1
	v_mov_b32_e32 v6, v12
	s_and_saveexec_b64 s[12:13], s[8:9]
	s_xor_b64 s[8:9], exec, s[12:13]
	s_cbranch_execnz .LBB114_1159
; %bb.13:
	s_andn2_saveexec_b64 s[8:9], s[8:9]
	s_cbranch_execnz .LBB114_1164
.LBB114_14:
	s_or_b64 exec, exec, s[8:9]
	s_and_saveexec_b64 s[8:9], s[10:11]
.LBB114_15:
	v_add_u32_e32 v5, v2, v11
	v_lshl_add_u32 v6, v2, 6, v0
	v_cndmask_b32_e64 v5, v6, v5, s[2:3]
	v_lshlrev_b32_e32 v5, 2, v5
	ds_write_b32 v5, v1
.LBB114_16:
	s_or_b64 exec, exec, s[8:9]
	v_add_u32_e32 v1, 16, v2
	v_mad_u64_u32 v[5:6], s[2:3], s30, v1, v[3:4]
	v_cmp_le_u32_e32 vcc, v1, v0
	s_mov_b64 s[8:9], 0
	v_mad_u64_u32 v[12:13], s[2:3], s31, v1, v[6:7]
	v_mov_b32_e32 v6, v12
                                        ; implicit-def: $vgpr12
	s_and_saveexec_b64 s[2:3], vcc
	s_xor_b64 s[2:3], exec, s[2:3]
	s_cbranch_execnz .LBB114_1165
; %bb.17:
	s_andn2_saveexec_b64 s[2:3], s[2:3]
	s_cbranch_execnz .LBB114_1170
.LBB114_18:
	s_or_b64 exec, exec, s[2:3]
	s_and_saveexec_b64 s[2:3], s[8:9]
.LBB114_19:
	v_add_u32_e32 v5, v1, v11
	v_lshl_add_u32 v1, v1, 6, v0
	v_cndmask_b32_e64 v1, v1, v5, s[0:1]
	v_lshlrev_b32_e32 v1, 2, v1
	ds_write_b32 v1, v12
.LBB114_20:
	s_or_b64 exec, exec, s[2:3]
	v_add_u32_e32 v1, 32, v2
	v_mad_u64_u32 v[5:6], s[2:3], s30, v1, v[3:4]
	v_cmp_le_u32_e32 vcc, v1, v0
	s_mov_b64 s[8:9], 0
	v_mad_u64_u32 v[12:13], s[2:3], s31, v1, v[6:7]
	v_mov_b32_e32 v6, v12
                                        ; implicit-def: $vgpr12
	s_and_saveexec_b64 s[2:3], vcc
	s_xor_b64 s[2:3], exec, s[2:3]
	s_cbranch_execnz .LBB114_1171
; %bb.21:
	s_andn2_saveexec_b64 s[2:3], s[2:3]
	s_cbranch_execnz .LBB114_1176
.LBB114_22:
	s_or_b64 exec, exec, s[2:3]
	s_and_saveexec_b64 s[2:3], s[8:9]
.LBB114_23:
	v_add_u32_e32 v5, v1, v11
	v_lshl_add_u32 v1, v1, 6, v0
	v_cndmask_b32_e64 v1, v1, v5, s[0:1]
	v_lshlrev_b32_e32 v1, 2, v1
	ds_write_b32 v1, v12
.LBB114_24:
	s_or_b64 exec, exec, s[2:3]
	v_add_u32_e32 v12, 48, v2
	v_mad_u64_u32 v[5:6], s[2:3], s30, v12, v[3:4]
	v_cmp_le_u32_e32 vcc, v12, v0
	s_mov_b64 s[10:11], 0
	v_mov_b32_e32 v1, v6
	v_mad_u64_u32 v[13:14], s[2:3], s31, v12, v[1:2]
                                        ; implicit-def: $vgpr1
	v_mov_b32_e32 v6, v13
	s_and_saveexec_b64 s[2:3], vcc
	s_xor_b64 s[2:3], exec, s[2:3]
	s_cbranch_execz .LBB114_30
; %bb.25:
	v_cmp_ne_u32_e32 vcc, v0, v12
	s_mov_b64 s[8:9], 0
	s_and_saveexec_b64 s[10:11], vcc
	s_xor_b64 s[10:11], exec, s[10:11]
; %bb.26:
	v_or_b32_e32 v1, v12, v0
	v_cmp_gt_u32_e32 vcc, 64, v1
	s_and_b64 s[8:9], vcc, exec
                                        ; implicit-def: $vgpr5_vgpr6
; %bb.27:
	s_or_saveexec_b64 s[10:11], s[10:11]
	v_mov_b32_e32 v1, 0
	s_xor_b64 exec, exec, s[10:11]
	s_cbranch_execz .LBB114_29
; %bb.28:
	v_lshlrev_b64 v[5:6], 2, v[5:6]
	v_mov_b32_e32 v1, s90
	v_add_co_u32_e32 v5, vcc, s89, v5
	v_addc_co_u32_e32 v6, vcc, v1, v6, vcc
	flat_load_dword v1, v[5:6]
	s_or_b64 s[8:9], s[8:9], exec
	s_waitcnt vmcnt(0) lgkmcnt(0)
	v_div_scale_f32 v5, s[12:13], v1, v1, 1.0
	v_div_scale_f32 v6, vcc, 1.0, v1, 1.0
	v_rcp_f32_e32 v13, v5
	v_fma_f32 v14, -v5, v13, 1.0
	v_fmac_f32_e32 v13, v14, v13
	v_mul_f32_e32 v14, v6, v13
	v_fma_f32 v15, -v5, v14, v6
	v_fmac_f32_e32 v14, v15, v13
	v_fma_f32 v5, -v5, v14, v6
	v_div_fmas_f32 v5, v5, v13, v14
	v_div_fixup_f32 v1, v5, v1, 1.0
.LBB114_29:
	s_or_b64 exec, exec, s[10:11]
	s_and_b64 s[10:11], s[8:9], exec
                                        ; implicit-def: $vgpr5_vgpr6
.LBB114_30:
	s_or_saveexec_b64 s[2:3], s[2:3]
	v_add_u32_e32 v13, v12, v11
	v_lshl_add_u32 v12, v12, 6, v0
	s_xor_b64 exec, exec, s[2:3]
	s_cbranch_execz .LBB114_32
; %bb.31:
	v_lshlrev_b64 v[5:6], 2, v[5:6]
	v_mov_b32_e32 v1, s90
	v_add_co_u32_e32 v5, vcc, s89, v5
	v_addc_co_u32_e32 v6, vcc, v1, v6, vcc
	flat_load_dword v1, v[5:6]
	s_or_b64 s[10:11], s[10:11], exec
	s_waitcnt vmcnt(0) lgkmcnt(0)
	v_xor_b32_e32 v1, 0x80000000, v1
.LBB114_32:
	s_or_b64 exec, exec, s[2:3]
	v_cndmask_b32_e64 v5, v12, v13, s[0:1]
	s_branch .LBB114_55
.LBB114_33:
	s_mov_b64 s[10:11], 0
                                        ; implicit-def: $vgpr1
                                        ; implicit-def: $vgpr5
	s_and_b64 vcc, exec, s[12:13]
	s_cbranch_vccz .LBB114_55
; %bb.34:
	v_mad_u64_u32 v[5:6], s[2:3], s30, v2, v[3:4]
	v_cmp_le_u32_e32 vcc, v2, v0
	v_cmp_gt_i32_e64 s[2:3], s88, v0
	v_mov_b32_e32 v1, v6
	v_mad_u64_u32 v[12:13], s[8:9], s31, v2, v[1:2]
	v_max_i32_e32 v1, v2, v0
	v_cmp_le_i32_e64 s[8:9], s88, v1
	v_mov_b32_e32 v6, v12
	s_or_b64 s[8:9], s[8:9], vcc
	s_mov_b64 s[12:13], 0
                                        ; implicit-def: $vgpr1
	s_and_saveexec_b64 s[14:15], s[8:9]
	s_xor_b64 s[8:9], exec, s[14:15]
	s_cbranch_execnz .LBB114_1177
; %bb.35:
	s_andn2_saveexec_b64 s[8:9], s[8:9]
	s_cbranch_execnz .LBB114_1182
.LBB114_36:
	s_or_b64 exec, exec, s[8:9]
	s_and_saveexec_b64 s[8:9], s[12:13]
.LBB114_37:
	v_lshlrev_b32_e32 v5, 2, v11
	v_lshl_add_u32 v5, v2, 2, v5
	ds_write_b32 v5, v1
.LBB114_38:
	s_or_b64 exec, exec, s[8:9]
	v_add_u32_e32 v1, 16, v2
	v_mad_u64_u32 v[5:6], s[8:9], s30, v1, v[3:4]
	v_cmp_gt_u32_e32 vcc, v1, v0
	s_mov_b64 s[12:13], 0
	v_mad_u64_u32 v[12:13], s[8:9], s31, v1, v[6:7]
	v_cmp_gt_i32_e64 s[8:9], s88, v1
	s_and_b64 s[8:9], vcc, s[8:9]
	s_and_b64 s[8:9], s[2:3], s[8:9]
	v_mov_b32_e32 v6, v12
	s_xor_b64 s[8:9], s[8:9], -1
                                        ; implicit-def: $vgpr12
	s_and_saveexec_b64 s[14:15], s[8:9]
	s_xor_b64 s[8:9], exec, s[14:15]
	s_cbranch_execnz .LBB114_1183
; %bb.39:
	s_andn2_saveexec_b64 s[8:9], s[8:9]
	s_cbranch_execnz .LBB114_1188
.LBB114_40:
	s_or_b64 exec, exec, s[8:9]
	s_and_saveexec_b64 s[8:9], s[12:13]
.LBB114_41:
	v_add_u32_e32 v5, v1, v11
	v_lshl_add_u32 v1, v1, 6, v0
	v_cndmask_b32_e64 v1, v1, v5, s[0:1]
	v_lshlrev_b32_e32 v1, 2, v1
	ds_write_b32 v1, v12
.LBB114_42:
	s_or_b64 exec, exec, s[8:9]
	v_add_u32_e32 v1, 32, v2
	v_mad_u64_u32 v[5:6], s[8:9], s30, v1, v[3:4]
	v_cmp_gt_u32_e32 vcc, v1, v0
	s_mov_b64 s[12:13], 0
	v_mad_u64_u32 v[12:13], s[8:9], s31, v1, v[6:7]
	v_cmp_gt_i32_e64 s[8:9], s88, v1
	s_and_b64 s[8:9], vcc, s[8:9]
	s_and_b64 s[8:9], s[2:3], s[8:9]
	v_mov_b32_e32 v6, v12
	s_xor_b64 s[8:9], s[8:9], -1
                                        ; implicit-def: $vgpr12
	s_and_saveexec_b64 s[14:15], s[8:9]
	s_xor_b64 s[8:9], exec, s[14:15]
	s_cbranch_execnz .LBB114_1189
; %bb.43:
	s_andn2_saveexec_b64 s[8:9], s[8:9]
	s_cbranch_execnz .LBB114_1194
.LBB114_44:
	s_or_b64 exec, exec, s[8:9]
	s_and_saveexec_b64 s[8:9], s[12:13]
.LBB114_45:
	v_add_u32_e32 v5, v1, v11
	v_lshl_add_u32 v1, v1, 6, v0
	v_cndmask_b32_e64 v1, v1, v5, s[0:1]
	v_lshlrev_b32_e32 v1, 2, v1
	ds_write_b32 v1, v12
.LBB114_46:
	s_or_b64 exec, exec, s[8:9]
	v_add_u32_e32 v5, 48, v2
	v_mad_u64_u32 v[3:4], s[8:9], s30, v5, v[3:4]
	v_cmp_gt_u32_e32 vcc, v5, v0
	v_mov_b32_e32 v1, v4
	v_mad_u64_u32 v[12:13], s[8:9], s31, v5, v[1:2]
	v_cmp_gt_i32_e64 s[8:9], s88, v5
	s_and_b64 s[8:9], vcc, s[8:9]
	s_and_b64 s[8:9], s[2:3], s[8:9]
	v_mov_b32_e32 v4, v12
	s_xor_b64 s[8:9], s[8:9], -1
                                        ; implicit-def: $vgpr1
	s_and_saveexec_b64 s[12:13], s[8:9]
	s_xor_b64 s[8:9], exec, s[12:13]
	s_cbranch_execz .LBB114_52
; %bb.47:
	v_cmp_ne_u32_e32 vcc, v0, v5
	s_xor_b64 s[2:3], s[2:3], -1
	s_or_b64 s[12:13], s[2:3], vcc
	s_mov_b64 s[2:3], s[10:11]
	s_and_saveexec_b64 s[14:15], s[12:13]
	s_xor_b64 s[12:13], exec, s[14:15]
; %bb.48:
	v_or_b32_e32 v1, v5, v0
	v_cmp_gt_u32_e32 vcc, 64, v1
	s_andn2_b64 s[2:3], s[10:11], exec
	s_and_b64 s[14:15], vcc, exec
	s_or_b64 s[2:3], s[2:3], s[14:15]
                                        ; implicit-def: $vgpr3_vgpr4
; %bb.49:
	s_or_saveexec_b64 s[12:13], s[12:13]
	v_mov_b32_e32 v1, 0
	s_xor_b64 exec, exec, s[12:13]
	s_cbranch_execz .LBB114_51
; %bb.50:
	v_lshlrev_b64 v[3:4], 2, v[3:4]
	v_mov_b32_e32 v1, s90
	v_add_co_u32_e32 v3, vcc, s89, v3
	v_addc_co_u32_e32 v4, vcc, v1, v4, vcc
	flat_load_dword v1, v[3:4]
	s_or_b64 s[2:3], s[2:3], exec
	s_waitcnt vmcnt(0) lgkmcnt(0)
	v_div_scale_f32 v3, s[14:15], v1, v1, 1.0
	v_div_scale_f32 v4, vcc, 1.0, v1, 1.0
	v_rcp_f32_e32 v6, v3
	v_fma_f32 v12, -v3, v6, 1.0
	v_fmac_f32_e32 v6, v12, v6
	v_mul_f32_e32 v12, v4, v6
	v_fma_f32 v13, -v3, v12, v4
	v_fmac_f32_e32 v12, v13, v6
	v_fma_f32 v3, -v3, v12, v4
	v_div_fmas_f32 v3, v3, v6, v12
	v_div_fixup_f32 v1, v3, v1, 1.0
.LBB114_51:
	s_or_b64 exec, exec, s[12:13]
	s_andn2_b64 s[10:11], s[10:11], exec
	s_and_b64 s[2:3], s[2:3], exec
	s_or_b64 s[10:11], s[10:11], s[2:3]
                                        ; implicit-def: $vgpr3_vgpr4
.LBB114_52:
	s_or_saveexec_b64 s[2:3], s[8:9]
	v_add_u32_e32 v6, v5, v11
	v_lshl_add_u32 v5, v5, 6, v0
	s_xor_b64 exec, exec, s[2:3]
	s_cbranch_execz .LBB114_54
; %bb.53:
	v_lshlrev_b64 v[3:4], 2, v[3:4]
	v_mov_b32_e32 v1, s90
	v_add_co_u32_e32 v3, vcc, s89, v3
	v_addc_co_u32_e32 v4, vcc, v1, v4, vcc
	flat_load_dword v1, v[3:4]
	s_or_b64 s[10:11], s[10:11], exec
	s_waitcnt vmcnt(0) lgkmcnt(0)
	v_xor_b32_e32 v1, 0x80000000, v1
.LBB114_54:
	s_or_b64 exec, exec, s[2:3]
	v_cndmask_b32_e64 v5, v5, v6, s[0:1]
.LBB114_55:
	s_xor_b64 s[0:1], s[0:1], -1
	s_and_saveexec_b64 s[2:3], s[10:11]
; %bb.56:
	v_lshlrev_b32_e32 v3, 2, v5
	ds_write_b32 v3, v1
; %bb.57:
	s_or_b64 exec, exec, s[2:3]
	v_cndmask_b32_e64 v1, 0, 1, s[0:1]
	v_cmp_ne_u32_e64 s[56:57], 1, v1
	s_andn2_b64 vcc, exec, s[0:1]
	s_waitcnt vmcnt(0) lgkmcnt(0)
	s_barrier
	s_cbranch_vccnz .LBB114_1095
; %bb.58:
	v_or_b32_e32 v1, v0, v2
	v_cmp_eq_u32_e32 vcc, 0, v1
	s_and_saveexec_b64 s[0:1], vcc
	s_cbranch_execz .LBB114_60
; %bb.59:
	v_mov_b32_e32 v1, 0
	ds_read_b64 v[3:4], v1 offset:16376
	ds_read_b32 v1, v1 offset:16120
	s_movk_i32 s2, 0x3c00
	s_waitcnt lgkmcnt(0)
	v_mul_f32_e32 v1, v1, v4
	v_mul_f32_e32 v1, v3, v1
	v_add_u32_e64 v3, s2, 0
	ds_write2_b32 v3, v1, v1 offset0:191 offset1:254
.LBB114_60:
	s_or_b64 exec, exec, s[0:1]
	v_lshlrev_b32_e32 v3, 6, v2
	v_add_u32_e32 v5, v3, v0
	v_and_b32_e32 v4, v3, v0
	v_xor_b32_e32 v3, v3, v0
	v_lshrrev_b16_e32 v3, 1, v3
	v_add_u16_e32 v4, v4, v3
	v_and_b32_e32 v1, 1, v0
	v_sub_u32_e32 v3, 1, v4
	v_cmp_lt_u32_e64 s[8:9], 3, v5
	v_cmp_gt_u32_e64 s[2:3], 4, v5
	v_mov_b32_e32 v6, 0
	s_waitcnt lgkmcnt(0)
	s_barrier
	buffer_wbinvl1_vol
	s_and_saveexec_b64 s[0:1], s[2:3]
	s_cbranch_execz .LBB114_64
; %bb.61:
	v_lshlrev_b32_e32 v6, 8, v3
	v_lshlrev_b32_e32 v11, 2, v1
	ds_read_b32 v12, v11 offset:16112
	ds_read_b32 v6, v6 offset:16120
	v_mov_b32_e32 v11, 0
	v_cmp_gt_u32_e64 s[10:11], 2, v5
	s_waitcnt lgkmcnt(0)
	v_fma_f32 v6, v12, v6, 0
	s_and_saveexec_b64 s[12:13], s[10:11]
	s_cbranch_execz .LBB114_63
; %bb.62:
	v_lshlrev_b32_e32 v12, 2, v0
	ds_read_b32 v12, v12 offset:16368
	ds_read_b32 v11, v11 offset:16380
	s_waitcnt lgkmcnt(0)
	v_fmac_f32_e32 v6, v12, v11
.LBB114_63:
	s_or_b64 exec, exec, s[12:13]
.LBB114_64:
	s_or_b64 exec, exec, s[0:1]
	v_mov_b32_e32 v11, 0x4000
	v_cmp_ne_u32_e64 s[10:11], 0, v1
	s_xor_b64 s[0:1], s[8:9], -1
	v_lshl_add_u32 v4, v4, 2, v11
	s_and_b64 s[38:39], s[10:11], s[0:1]
	s_and_saveexec_b64 s[8:9], s[38:39]
	s_cbranch_execz .LBB114_66
; %bb.65:
	v_mov_b32_e32 v11, 0
	ds_read_b32 v11, v11 offset:15860
	s_waitcnt lgkmcnt(0)
	v_mul_f32_e32 v6, v6, v11
	v_xor_b32_e32 v11, 0x80000000, v6
	ds_write_b32 v4, v11
.LBB114_66:
	s_or_b64 exec, exec, s[8:9]
	v_cmp_eq_u32_e64 s[8:9], 0, v1
	s_and_b64 s[36:37], s[8:9], s[0:1]
	s_waitcnt lgkmcnt(0)
	s_barrier
	s_and_saveexec_b64 s[0:1], s[36:37]
	s_cbranch_execz .LBB114_68
; %bb.67:
	v_mov_b32_e32 v11, 0
	ds_read_b32 v11, v11 offset:15856
	ds_read_b32 v12, v4
	s_waitcnt lgkmcnt(0)
	v_fma_f32 v6, -v11, v12, v6
.LBB114_68:
	s_or_b64 exec, exec, s[0:1]
	s_barrier
	s_and_saveexec_b64 s[0:1], s[36:37]
	s_cbranch_execz .LBB114_70
; %bb.69:
	v_mov_b32_e32 v11, 0
	ds_read_b32 v11, v11 offset:15600
	s_waitcnt lgkmcnt(0)
	v_mul_f32_e32 v6, v6, v11
	v_xor_b32_e32 v11, 0x80000000, v6
	ds_write_b32 v4, v11
.LBB114_70:
	s_or_b64 exec, exec, s[0:1]
	s_waitcnt lgkmcnt(0)
	s_barrier
	s_barrier
	s_and_saveexec_b64 s[0:1], s[2:3]
; %bb.71:
	v_lshlrev_b32_e32 v11, 2, v1
	v_lshl_or_b32 v11, v3, 8, v11
	ds_write_b32 v11, v6 offset:16112
; %bb.72:
	s_or_b64 exec, exec, s[0:1]
	v_cmp_eq_u32_e64 s[12:13], 0, v2
	v_cmp_gt_u32_e64 s[8:9], 2, v0
	s_and_b64 s[40:41], s[12:13], s[8:9]
	s_waitcnt lgkmcnt(0)
	s_barrier
	s_barrier
	s_and_saveexec_b64 s[0:1], s[40:41]
	s_cbranch_execz .LBB114_74
; %bb.73:
	v_lshlrev_b32_e32 v6, 2, v0
	s_movk_i32 s8, 0xfc
	v_mad_u32_u24 v11, v0, s8, v6
	ds_read_b32 v12, v11 offset:16112
	s_waitcnt lgkmcnt(0)
	ds_write_b32 v6, v12 offset:15608
	ds_read_b32 v11, v11 offset:16116
	s_waitcnt lgkmcnt(0)
	ds_write_b32 v6, v11 offset:15864
.LBB114_74:
	s_or_b64 exec, exec, s[0:1]
	s_waitcnt lgkmcnt(0)
	s_barrier
	s_and_saveexec_b64 s[0:1], vcc
	s_cbranch_execz .LBB114_76
; %bb.75:
	v_mov_b32_e32 v6, 0
	ds_read_b64 v[11:12], v6 offset:15856
	ds_read_b32 v6, v6 offset:15600
	s_movk_i32 s8, 0x3c00
	s_waitcnt lgkmcnt(0)
	v_mul_f32_e32 v6, v6, v12
	v_mul_f32_e32 v6, v11, v6
	v_add_u32_e64 v11, s8, 0
	ds_write2_b32 v11, v6, v6 offset0:61 offset1:124
.LBB114_76:
	s_or_b64 exec, exec, s[0:1]
	v_lshrrev_b32_e32 v12, 2, v5
	v_and_b32_e32 v6, 3, v0
	v_sub_u32_e32 v11, 3, v12
	v_cmp_lt_u32_e64 s[8:9], 15, v5
	v_cmp_gt_u32_e64 s[18:19], 16, v5
	v_mov_b32_e32 v13, 0
	s_waitcnt lgkmcnt(0)
	s_barrier
	buffer_wbinvl1_vol
	s_and_saveexec_b64 s[0:1], s[18:19]
	s_cbranch_execz .LBB114_82
; %bb.77:
	v_lshlrev_b32_e32 v15, 2, v6
	v_lshlrev_b32_e32 v14, 8, v11
	ds_read_b32 v13, v15 offset:15584
	ds_read_b32 v16, v14 offset:15600
	v_cmp_gt_u32_e64 s[10:11], 12, v5
	s_waitcnt lgkmcnt(0)
	v_fma_f32 v13, v13, v16, 0
	s_and_saveexec_b64 s[14:15], s[10:11]
	s_cbranch_execnz .LBB114_1206
; %bb.78:
	s_or_b64 exec, exec, s[14:15]
	v_cmp_gt_u32_e64 s[10:11], 8, v5
	s_and_saveexec_b64 s[14:15], s[10:11]
	s_cbranch_execnz .LBB114_1207
.LBB114_79:
	s_or_b64 exec, exec, s[14:15]
	v_cmp_gt_u32_e64 s[10:11], 4, v5
	s_and_saveexec_b64 s[14:15], s[10:11]
	s_cbranch_execz .LBB114_81
.LBB114_80:
	v_lshlrev_b32_e32 v14, 2, v0
	v_mov_b32_e32 v15, 0
	ds_read_b32 v14, v14 offset:16352
	ds_read_b32 v15, v15 offset:16380
	s_waitcnt lgkmcnt(0)
	v_fmac_f32_e32 v13, v14, v15
.LBB114_81:
	s_or_b64 exec, exec, s[14:15]
.LBB114_82:
                                        ; implicit-def: $vgpr27 : SGPR spill to VGPR lane
	v_writelane_b32 v27, s44, 0
	s_or_b64 exec, exec, s[0:1]
	v_mov_b32_e32 v14, 0x4000
	v_cmp_eq_u32_e64 s[10:11], 3, v6
	s_xor_b64 s[0:1], s[8:9], -1
	v_lshl_add_u32 v12, v12, 2, v14
	s_and_b64 s[44:45], s[10:11], s[0:1]
	s_and_saveexec_b64 s[8:9], s[44:45]
	s_cbranch_execz .LBB114_84
; %bb.83:
	v_mov_b32_e32 v14, 0
	ds_read_b32 v14, v14 offset:15340
	s_waitcnt lgkmcnt(0)
	v_mul_f32_e32 v13, v13, v14
	v_xor_b32_e32 v14, 0x80000000, v13
	ds_write_b32 v12, v14
.LBB114_84:
	s_or_b64 exec, exec, s[8:9]
	v_cmp_ne_u32_e64 s[8:9], 3, v6
	s_and_b64 s[46:47], s[8:9], s[0:1]
	s_waitcnt lgkmcnt(0)
	s_barrier
	s_and_saveexec_b64 s[8:9], s[46:47]
	s_cbranch_execz .LBB114_86
; %bb.85:
	v_lshlrev_b32_e32 v14, 2, v6
	ds_read_b32 v14, v14 offset:15328
	ds_read_b32 v15, v12
	s_waitcnt lgkmcnt(0)
	v_fma_f32 v13, -v14, v15, v13
.LBB114_86:
	s_or_b64 exec, exec, s[8:9]
	v_cmp_eq_u32_e64 s[8:9], 2, v6
	s_and_b64 s[48:49], s[8:9], s[0:1]
	s_barrier
	s_and_saveexec_b64 s[8:9], s[48:49]
	s_cbranch_execz .LBB114_88
; %bb.87:
	v_mov_b32_e32 v14, 0
	ds_read_b32 v14, v14 offset:15080
	s_waitcnt lgkmcnt(0)
	v_mul_f32_e32 v13, v13, v14
	v_xor_b32_e32 v14, 0x80000000, v13
	ds_write_b32 v12, v14
.LBB114_88:
	s_or_b64 exec, exec, s[8:9]
	v_cmp_gt_u32_e64 s[8:9], 2, v6
	s_and_b64 s[50:51], s[8:9], s[0:1]
	s_waitcnt lgkmcnt(0)
	s_barrier
	s_and_saveexec_b64 s[8:9], s[50:51]
	s_cbranch_execz .LBB114_90
; %bb.89:
	v_lshlrev_b32_e32 v14, 2, v6
	ds_read_b32 v14, v14 offset:15072
	ds_read_b32 v15, v12
	s_waitcnt lgkmcnt(0)
	v_fma_f32 v13, -v14, v15, v13
.LBB114_90:
	s_or_b64 exec, exec, s[8:9]
	v_cmp_eq_u32_e64 s[8:9], 1, v6
	s_and_b64 s[52:53], s[8:9], s[0:1]
	s_barrier
	s_and_saveexec_b64 s[8:9], s[52:53]
	s_cbranch_execz .LBB114_92
; %bb.91:
	v_mov_b32_e32 v14, 0
	ds_read_b32 v14, v14 offset:14820
	s_waitcnt lgkmcnt(0)
	v_mul_f32_e32 v13, v13, v14
	v_xor_b32_e32 v14, 0x80000000, v13
	ds_write_b32 v12, v14
.LBB114_92:
	s_or_b64 exec, exec, s[8:9]
	v_cmp_eq_u32_e64 s[8:9], 0, v6
	s_and_b64 s[42:43], s[8:9], s[0:1]
	s_waitcnt lgkmcnt(0)
	s_barrier
	s_and_saveexec_b64 s[0:1], s[42:43]
	s_cbranch_execz .LBB114_94
; %bb.93:
	v_mov_b32_e32 v14, 0
	ds_read_b32 v14, v14 offset:14816
	ds_read_b32 v15, v12
	s_waitcnt lgkmcnt(0)
	v_fma_f32 v13, -v14, v15, v13
.LBB114_94:
	s_or_b64 exec, exec, s[0:1]
	s_barrier
	s_and_saveexec_b64 s[0:1], s[42:43]
	s_cbranch_execz .LBB114_96
; %bb.95:
	v_mov_b32_e32 v14, 0
	ds_read_b32 v14, v14 offset:14560
	s_waitcnt lgkmcnt(0)
	v_mul_f32_e32 v13, v13, v14
	v_xor_b32_e32 v14, 0x80000000, v13
	ds_write_b32 v12, v14
.LBB114_96:
	s_or_b64 exec, exec, s[0:1]
	s_waitcnt lgkmcnt(0)
	s_barrier
	s_barrier
	s_and_saveexec_b64 s[0:1], s[18:19]
; %bb.97:
	v_lshlrev_b32_e32 v14, 2, v6
	v_lshl_or_b32 v14, v11, 8, v14
	ds_write_b32 v14, v13 offset:15584
; %bb.98:
	s_or_b64 exec, exec, s[0:1]
	v_cmp_gt_u32_e64 s[8:9], 4, v0
	s_and_b64 s[54:55], s[12:13], s[8:9]
	s_waitcnt lgkmcnt(0)
	s_barrier
	s_barrier
	s_and_saveexec_b64 s[0:1], s[54:55]
	s_cbranch_execz .LBB114_100
; %bb.99:
	v_lshlrev_b32_e32 v13, 8, v0
	ds_read_b32 v14, v13 offset:15584
	s_movk_i32 s8, 0xff04
	v_mad_i32_i24 v15, v0, s8, v13
	s_waitcnt lgkmcnt(0)
	ds_write_b32 v15, v14 offset:14576
	ds_read_b32 v14, v13 offset:15588
	s_waitcnt lgkmcnt(0)
	ds_write_b32 v15, v14 offset:14832
	ds_read_b32 v14, v13 offset:15592
	;; [unrolled: 3-line block ×3, first 2 shown]
	s_waitcnt lgkmcnt(0)
	ds_write_b32 v15, v13 offset:15344
.LBB114_100:
	s_or_b64 exec, exec, s[0:1]
	s_waitcnt lgkmcnt(0)
	s_barrier
	s_and_saveexec_b64 s[0:1], vcc
	s_cbranch_execz .LBB114_102
; %bb.101:
	v_mov_b32_e32 v15, 0
	ds_read_b64 v[13:14], v15 offset:15336
	ds_read_b32 v15, v15 offset:15080
	s_movk_i32 s8, 0x3800
	s_waitcnt lgkmcnt(0)
	v_mul_f32_e32 v14, v15, v14
	v_mul_f32_e32 v13, v13, v14
	v_add_u32_e64 v14, s8, 0
	ds_write2_b32 v14, v13, v13 offset0:187 offset1:250
.LBB114_102:
	s_or_b64 exec, exec, s[0:1]
	v_mov_b32_e32 v13, 0
	s_waitcnt lgkmcnt(0)
	s_barrier
	buffer_wbinvl1_vol
	s_and_saveexec_b64 s[0:1], s[2:3]
	s_cbranch_execz .LBB114_106
; %bb.103:
	v_lshlrev_b32_e32 v13, 8, v3
	v_lshlrev_b32_e32 v14, 2, v1
	ds_read_b32 v15, v14 offset:15072
	ds_read_b32 v13, v13 offset:15080
	v_mov_b32_e32 v14, 0
	v_cmp_gt_u32_e64 s[8:9], 2, v5
	s_waitcnt lgkmcnt(0)
	v_fma_f32 v13, v15, v13, 0
	s_and_saveexec_b64 s[10:11], s[8:9]
	s_cbranch_execz .LBB114_105
; %bb.104:
	v_lshlrev_b32_e32 v15, 2, v0
	ds_read_b32 v15, v15 offset:15328
	ds_read_b32 v14, v14 offset:15340
	s_waitcnt lgkmcnt(0)
	v_fmac_f32_e32 v13, v15, v14
.LBB114_105:
	s_or_b64 exec, exec, s[10:11]
.LBB114_106:
	s_or_b64 exec, exec, s[0:1]
	s_and_saveexec_b64 s[0:1], s[38:39]
	s_cbranch_execz .LBB114_108
; %bb.107:
	v_mov_b32_e32 v14, 0
	ds_read_b32 v14, v14 offset:14820
	s_waitcnt lgkmcnt(0)
	v_mul_f32_e32 v13, v13, v14
	v_xor_b32_e32 v14, 0x80000000, v13
	ds_write_b32 v4, v14
.LBB114_108:
	s_or_b64 exec, exec, s[0:1]
	s_waitcnt lgkmcnt(0)
	s_barrier
	s_and_saveexec_b64 s[0:1], s[36:37]
	s_cbranch_execz .LBB114_110
; %bb.109:
	v_mov_b32_e32 v14, 0
	ds_read_b32 v14, v14 offset:14816
	ds_read_b32 v15, v4
	s_waitcnt lgkmcnt(0)
	v_fma_f32 v13, -v14, v15, v13
.LBB114_110:
	s_or_b64 exec, exec, s[0:1]
	s_barrier
	s_and_saveexec_b64 s[0:1], s[36:37]
	s_cbranch_execz .LBB114_112
; %bb.111:
	v_mov_b32_e32 v14, 0
	ds_read_b32 v14, v14 offset:14560
	s_waitcnt lgkmcnt(0)
	v_mul_f32_e32 v13, v13, v14
	v_xor_b32_e32 v14, 0x80000000, v13
	ds_write_b32 v4, v14
.LBB114_112:
	s_or_b64 exec, exec, s[0:1]
	s_waitcnt lgkmcnt(0)
	s_barrier
	s_barrier
	s_and_saveexec_b64 s[0:1], s[2:3]
; %bb.113:
	v_lshlrev_b32_e32 v14, 2, v1
	v_lshl_or_b32 v14, v3, 8, v14
	ds_write_b32 v14, v13 offset:15072
; %bb.114:
	s_or_b64 exec, exec, s[0:1]
	s_waitcnt lgkmcnt(0)
	s_barrier
	s_barrier
	s_and_saveexec_b64 s[0:1], s[40:41]
	s_cbranch_execz .LBB114_116
; %bb.115:
	v_lshlrev_b32_e32 v13, 2, v0
	s_movk_i32 s8, 0xfc
	v_mad_u32_u24 v14, v0, s8, v13
	ds_read_b32 v15, v14 offset:15072
	s_waitcnt lgkmcnt(0)
	ds_write_b32 v13, v15 offset:14568
	ds_read_b32 v14, v14 offset:15076
	s_waitcnt lgkmcnt(0)
	ds_write_b32 v13, v14 offset:14824
.LBB114_116:
	s_or_b64 exec, exec, s[0:1]
	s_waitcnt lgkmcnt(0)
	s_barrier
	s_and_saveexec_b64 s[0:1], vcc
	s_cbranch_execz .LBB114_118
; %bb.117:
	v_mov_b32_e32 v15, 0
	ds_read_b64 v[13:14], v15 offset:14816
	ds_read_b32 v15, v15 offset:14560
	s_movk_i32 s8, 0x3800
	s_waitcnt lgkmcnt(0)
	v_mul_f32_e32 v14, v15, v14
	v_mul_f32_e32 v13, v13, v14
	v_add_u32_e64 v14, s8, 0
	ds_write2_b32 v14, v13, v13 offset0:57 offset1:120
.LBB114_118:
	s_or_b64 exec, exec, s[0:1]
	v_lshrrev_b32_e32 v15, 3, v5
	v_and_b32_e32 v13, 7, v0
	v_sub_u32_e32 v14, 7, v15
	v_cmp_lt_u32_e64 s[10:11], 63, v5
	v_cmp_gt_u32_e64 s[8:9], 64, v5
	v_mov_b32_e32 v16, 0
	s_waitcnt lgkmcnt(0)
	s_barrier
	buffer_wbinvl1_vol
	s_and_saveexec_b64 s[0:1], s[8:9]
	s_cbranch_execz .LBB114_128
; %bb.119:
	v_lshlrev_b32_e32 v18, 2, v13
	v_lshlrev_b32_e32 v17, 8, v14
	ds_read_b32 v16, v18 offset:14528
	ds_read_b32 v19, v17 offset:14560
	v_cmp_gt_u32_e64 s[14:15], 56, v5
	s_waitcnt lgkmcnt(0)
	v_fma_f32 v16, v16, v19, 0
	s_and_saveexec_b64 s[16:17], s[14:15]
	s_cbranch_execnz .LBB114_1208
; %bb.120:
	s_or_b64 exec, exec, s[16:17]
	v_cmp_gt_u32_e64 s[14:15], 48, v5
	s_and_saveexec_b64 s[16:17], s[14:15]
	s_cbranch_execnz .LBB114_1209
.LBB114_121:
	s_or_b64 exec, exec, s[16:17]
	v_cmp_gt_u32_e64 s[14:15], 40, v5
	s_and_saveexec_b64 s[16:17], s[14:15]
	s_cbranch_execnz .LBB114_1210
.LBB114_122:
	s_or_b64 exec, exec, s[16:17]
	v_cmp_gt_u32_e64 s[14:15], 32, v5
	s_and_saveexec_b64 s[16:17], s[14:15]
	s_cbranch_execnz .LBB114_1211
.LBB114_123:
	s_or_b64 exec, exec, s[16:17]
	v_cmp_gt_u32_e64 s[14:15], 24, v5
	s_and_saveexec_b64 s[16:17], s[14:15]
	s_cbranch_execnz .LBB114_1212
.LBB114_124:
	s_or_b64 exec, exec, s[16:17]
	s_and_saveexec_b64 s[14:15], s[18:19]
	s_cbranch_execnz .LBB114_1213
.LBB114_125:
	s_or_b64 exec, exec, s[14:15]
	v_cmp_gt_u32_e64 s[14:15], 8, v5
	s_and_saveexec_b64 s[16:17], s[14:15]
	s_cbranch_execz .LBB114_127
.LBB114_126:
	v_lshlrev_b32_e32 v17, 2, v0
	v_mov_b32_e32 v18, 0
	ds_read_b32 v17, v17 offset:16320
	ds_read_b32 v18, v18 offset:16380
	s_waitcnt lgkmcnt(0)
	v_fmac_f32_e32 v16, v17, v18
.LBB114_127:
	s_or_b64 exec, exec, s[16:17]
.LBB114_128:
	v_writelane_b32 v27, s56, 1
	v_writelane_b32 v27, s57, 2
	s_or_b64 exec, exec, s[0:1]
	v_mov_b32_e32 v17, 0x4000
	v_cmp_eq_u32_e64 s[14:15], 7, v13
	s_xor_b64 s[0:1], s[10:11], -1
	v_lshl_add_u32 v15, v15, 2, v17
	s_and_b64 s[56:57], s[14:15], s[0:1]
	s_and_saveexec_b64 s[10:11], s[56:57]
	s_cbranch_execz .LBB114_130
; %bb.129:
	v_mov_b32_e32 v17, 0
	ds_read_b32 v17, v17 offset:14300
	s_waitcnt lgkmcnt(0)
	v_mul_f32_e32 v16, v16, v17
	v_xor_b32_e32 v17, 0x80000000, v16
	ds_write_b32 v15, v17
.LBB114_130:
	s_or_b64 exec, exec, s[10:11]
	v_cmp_ne_u32_e64 s[10:11], 7, v13
	s_and_b64 s[58:59], s[10:11], s[0:1]
	s_waitcnt lgkmcnt(0)
	s_barrier
	s_and_saveexec_b64 s[10:11], s[58:59]
	s_cbranch_execz .LBB114_132
; %bb.131:
	v_lshlrev_b32_e32 v17, 2, v13
	ds_read_b32 v17, v17 offset:14272
	ds_read_b32 v18, v15
	s_waitcnt lgkmcnt(0)
	v_fma_f32 v16, -v17, v18, v16
.LBB114_132:
	s_or_b64 exec, exec, s[10:11]
	v_cmp_eq_u32_e64 s[10:11], 6, v13
	s_and_b64 s[60:61], s[10:11], s[0:1]
	s_barrier
	s_and_saveexec_b64 s[10:11], s[60:61]
	s_cbranch_execz .LBB114_134
; %bb.133:
	v_mov_b32_e32 v17, 0
	ds_read_b32 v17, v17 offset:14040
	s_waitcnt lgkmcnt(0)
	v_mul_f32_e32 v16, v16, v17
	v_xor_b32_e32 v17, 0x80000000, v16
	ds_write_b32 v15, v17
.LBB114_134:
	s_or_b64 exec, exec, s[10:11]
	v_cmp_gt_u32_e64 s[10:11], 6, v13
	s_and_b64 s[62:63], s[10:11], s[0:1]
	s_waitcnt lgkmcnt(0)
	s_barrier
	s_and_saveexec_b64 s[10:11], s[62:63]
	s_cbranch_execz .LBB114_136
; %bb.135:
	v_lshlrev_b32_e32 v17, 2, v13
	ds_read_b32 v17, v17 offset:14016
	ds_read_b32 v18, v15
	s_waitcnt lgkmcnt(0)
	v_fma_f32 v16, -v17, v18, v16
.LBB114_136:
	s_or_b64 exec, exec, s[10:11]
	v_cmp_eq_u32_e64 s[10:11], 5, v13
	s_and_b64 s[64:65], s[10:11], s[0:1]
	s_barrier
	s_and_saveexec_b64 s[10:11], s[64:65]
	s_cbranch_execz .LBB114_138
; %bb.137:
	v_mov_b32_e32 v17, 0
	ds_read_b32 v17, v17 offset:13780
	s_waitcnt lgkmcnt(0)
	v_mul_f32_e32 v16, v16, v17
	v_xor_b32_e32 v17, 0x80000000, v16
	ds_write_b32 v15, v17
.LBB114_138:
	s_or_b64 exec, exec, s[10:11]
	v_cmp_gt_u32_e64 s[10:11], 5, v13
	;; [unrolled: 28-line block ×5, first 2 shown]
	s_and_b64 s[80:81], s[10:11], s[0:1]
	s_waitcnt lgkmcnt(0)
	s_barrier
	s_and_saveexec_b64 s[10:11], s[80:81]
	s_cbranch_execz .LBB114_152
; %bb.151:
	v_lshlrev_b32_e32 v17, 2, v13
	ds_read_b32 v17, v17 offset:12992
	ds_read_b32 v18, v15
	s_waitcnt lgkmcnt(0)
	v_fma_f32 v16, -v17, v18, v16
.LBB114_152:
	s_or_b64 exec, exec, s[10:11]
	v_cmp_eq_u32_e64 s[10:11], 1, v13
	s_and_b64 s[82:83], s[10:11], s[0:1]
	s_barrier
	s_and_saveexec_b64 s[10:11], s[82:83]
	s_cbranch_execz .LBB114_154
; %bb.153:
	v_mov_b32_e32 v17, 0
	ds_read_b32 v17, v17 offset:12740
	s_waitcnt lgkmcnt(0)
	v_mul_f32_e32 v16, v16, v17
	v_xor_b32_e32 v17, 0x80000000, v16
	ds_write_b32 v15, v17
.LBB114_154:
	s_or_b64 exec, exec, s[10:11]
	v_cmp_eq_u32_e64 s[10:11], 0, v13
	s_and_b64 s[66:67], s[10:11], s[0:1]
	s_waitcnt lgkmcnt(0)
	s_barrier
	s_and_saveexec_b64 s[0:1], s[66:67]
	s_cbranch_execz .LBB114_156
; %bb.155:
	v_mov_b32_e32 v17, 0
	ds_read_b32 v17, v17 offset:12736
	ds_read_b32 v18, v15
	s_waitcnt lgkmcnt(0)
	v_fma_f32 v16, -v17, v18, v16
.LBB114_156:
	s_or_b64 exec, exec, s[0:1]
	s_barrier
	s_and_saveexec_b64 s[0:1], s[66:67]
	s_cbranch_execz .LBB114_158
; %bb.157:
	v_mov_b32_e32 v17, 0
	ds_read_b32 v17, v17 offset:12480
	s_waitcnt lgkmcnt(0)
	v_mul_f32_e32 v16, v16, v17
	v_xor_b32_e32 v17, 0x80000000, v16
	ds_write_b32 v15, v17
.LBB114_158:
	s_or_b64 exec, exec, s[0:1]
	s_waitcnt lgkmcnt(0)
	s_barrier
	s_barrier
	s_and_saveexec_b64 s[0:1], s[8:9]
; %bb.159:
	v_lshlrev_b32_e32 v17, 2, v13
	v_lshl_or_b32 v17, v14, 8, v17
	ds_write_b32 v17, v16 offset:14528
; %bb.160:
	s_or_b64 exec, exec, s[0:1]
	v_cmp_gt_u32_e64 s[10:11], 8, v0
	s_and_b64 s[84:85], s[12:13], s[10:11]
	s_waitcnt lgkmcnt(0)
	s_barrier
	s_barrier
	s_and_saveexec_b64 s[0:1], s[84:85]
	s_cbranch_execz .LBB114_162
; %bb.161:
	v_lshlrev_b32_e32 v16, 8, v0
	ds_read_b32 v17, v16 offset:14528
	s_movk_i32 s10, 0xff04
	v_mad_i32_i24 v18, v0, s10, v16
	s_waitcnt lgkmcnt(0)
	ds_write_b32 v18, v17 offset:12512
	ds_read_b32 v17, v16 offset:14532
	s_waitcnt lgkmcnt(0)
	ds_write_b32 v18, v17 offset:12768
	ds_read_b32 v17, v16 offset:14536
	;; [unrolled: 3-line block ×7, first 2 shown]
	s_waitcnt lgkmcnt(0)
	ds_write_b32 v18, v16 offset:14304
.LBB114_162:
	s_or_b64 exec, exec, s[0:1]
	s_waitcnt lgkmcnt(0)
	s_barrier
	s_and_saveexec_b64 s[0:1], vcc
	s_cbranch_execz .LBB114_164
; %bb.163:
	v_mov_b32_e32 v18, 0
	ds_read_b64 v[16:17], v18 offset:14296
	ds_read_b32 v18, v18 offset:14040
	s_movk_i32 s10, 0x3400
	s_waitcnt lgkmcnt(0)
	v_mul_f32_e32 v17, v18, v17
	v_mul_f32_e32 v16, v16, v17
	v_add_u32_e64 v17, s10, 0
	ds_write2_b32 v17, v16, v16 offset0:183 offset1:246
.LBB114_164:
	s_or_b64 exec, exec, s[0:1]
	v_mov_b32_e32 v16, 0
	s_waitcnt lgkmcnt(0)
	s_barrier
	buffer_wbinvl1_vol
	s_and_saveexec_b64 s[0:1], s[2:3]
	s_cbranch_execz .LBB114_168
; %bb.165:
	v_lshlrev_b32_e32 v16, 8, v3
	v_lshlrev_b32_e32 v17, 2, v1
	ds_read_b32 v18, v17 offset:14032
	ds_read_b32 v16, v16 offset:14040
	v_mov_b32_e32 v17, 0
	v_cmp_gt_u32_e64 s[10:11], 2, v5
	s_waitcnt lgkmcnt(0)
	v_fma_f32 v16, v18, v16, 0
	s_and_saveexec_b64 s[14:15], s[10:11]
	s_cbranch_execz .LBB114_167
; %bb.166:
	v_lshlrev_b32_e32 v18, 2, v0
	ds_read_b32 v18, v18 offset:14288
	ds_read_b32 v17, v17 offset:14300
	s_waitcnt lgkmcnt(0)
	v_fmac_f32_e32 v16, v18, v17
.LBB114_167:
	s_or_b64 exec, exec, s[14:15]
.LBB114_168:
	s_or_b64 exec, exec, s[0:1]
	s_and_saveexec_b64 s[0:1], s[38:39]
	s_cbranch_execz .LBB114_170
; %bb.169:
	v_mov_b32_e32 v17, 0
	ds_read_b32 v17, v17 offset:13780
	s_waitcnt lgkmcnt(0)
	v_mul_f32_e32 v16, v16, v17
	v_xor_b32_e32 v17, 0x80000000, v16
	ds_write_b32 v4, v17
.LBB114_170:
	s_or_b64 exec, exec, s[0:1]
	s_waitcnt lgkmcnt(0)
	s_barrier
	s_and_saveexec_b64 s[0:1], s[36:37]
	s_cbranch_execz .LBB114_172
; %bb.171:
	v_mov_b32_e32 v17, 0
	ds_read_b32 v17, v17 offset:13776
	ds_read_b32 v18, v4
	s_waitcnt lgkmcnt(0)
	v_fma_f32 v16, -v17, v18, v16
.LBB114_172:
	s_or_b64 exec, exec, s[0:1]
	s_barrier
	s_and_saveexec_b64 s[0:1], s[36:37]
	s_cbranch_execz .LBB114_174
; %bb.173:
	v_mov_b32_e32 v17, 0
	ds_read_b32 v17, v17 offset:13520
	s_waitcnt lgkmcnt(0)
	v_mul_f32_e32 v16, v16, v17
	v_xor_b32_e32 v17, 0x80000000, v16
	ds_write_b32 v4, v17
.LBB114_174:
	s_or_b64 exec, exec, s[0:1]
	s_waitcnt lgkmcnt(0)
	s_barrier
	s_barrier
	s_and_saveexec_b64 s[0:1], s[2:3]
; %bb.175:
	v_lshlrev_b32_e32 v17, 2, v1
	v_lshl_or_b32 v17, v3, 8, v17
	ds_write_b32 v17, v16 offset:14032
; %bb.176:
	s_or_b64 exec, exec, s[0:1]
	s_waitcnt lgkmcnt(0)
	s_barrier
	s_barrier
	s_and_saveexec_b64 s[0:1], s[40:41]
	s_cbranch_execz .LBB114_178
; %bb.177:
	v_lshlrev_b32_e32 v16, 2, v0
	s_movk_i32 s10, 0xfc
	v_mad_u32_u24 v17, v0, s10, v16
	ds_read_b32 v18, v17 offset:14032
	s_waitcnt lgkmcnt(0)
	ds_write_b32 v16, v18 offset:13528
	ds_read_b32 v17, v17 offset:14036
	s_waitcnt lgkmcnt(0)
	ds_write_b32 v16, v17 offset:13784
.LBB114_178:
	s_or_b64 exec, exec, s[0:1]
	s_waitcnt lgkmcnt(0)
	s_barrier
	s_and_saveexec_b64 s[0:1], vcc
	s_cbranch_execz .LBB114_180
; %bb.179:
	v_mov_b32_e32 v18, 0
	ds_read_b64 v[16:17], v18 offset:13776
	ds_read_b32 v18, v18 offset:13520
	s_movk_i32 s10, 0x3400
	s_waitcnt lgkmcnt(0)
	v_mul_f32_e32 v17, v18, v17
	v_mul_f32_e32 v16, v16, v17
	v_add_u32_e64 v17, s10, 0
	ds_write2_b32 v17, v16, v16 offset0:53 offset1:116
.LBB114_180:
	s_or_b64 exec, exec, s[0:1]
	v_mov_b32_e32 v16, 0
	s_waitcnt lgkmcnt(0)
	s_barrier
	buffer_wbinvl1_vol
	s_and_saveexec_b64 s[0:1], s[18:19]
	s_cbranch_execz .LBB114_186
; %bb.181:
	v_lshlrev_b32_e32 v18, 2, v6
	v_lshlrev_b32_e32 v17, 8, v11
	ds_read_b32 v16, v18 offset:13504
	ds_read_b32 v19, v17 offset:13520
	v_cmp_gt_u32_e64 s[10:11], 12, v5
	s_waitcnt lgkmcnt(0)
	v_fma_f32 v16, v16, v19, 0
	s_and_saveexec_b64 s[14:15], s[10:11]
	s_cbranch_execnz .LBB114_1214
; %bb.182:
	s_or_b64 exec, exec, s[14:15]
	v_cmp_gt_u32_e64 s[10:11], 8, v5
	s_and_saveexec_b64 s[14:15], s[10:11]
	s_cbranch_execnz .LBB114_1215
.LBB114_183:
	s_or_b64 exec, exec, s[14:15]
	v_cmp_gt_u32_e64 s[10:11], 4, v5
	s_and_saveexec_b64 s[14:15], s[10:11]
	s_cbranch_execz .LBB114_185
.LBB114_184:
	v_lshlrev_b32_e32 v17, 2, v0
	v_mov_b32_e32 v18, 0
	ds_read_b32 v17, v17 offset:14272
	ds_read_b32 v18, v18 offset:14300
	s_waitcnt lgkmcnt(0)
	v_fmac_f32_e32 v16, v17, v18
.LBB114_185:
	s_or_b64 exec, exec, s[14:15]
.LBB114_186:
	s_or_b64 exec, exec, s[0:1]
	s_and_saveexec_b64 s[0:1], s[44:45]
	s_cbranch_execz .LBB114_188
; %bb.187:
	v_mov_b32_e32 v17, 0
	ds_read_b32 v17, v17 offset:13260
	s_waitcnt lgkmcnt(0)
	v_mul_f32_e32 v16, v16, v17
	v_xor_b32_e32 v17, 0x80000000, v16
	ds_write_b32 v12, v17
.LBB114_188:
	s_or_b64 exec, exec, s[0:1]
	s_waitcnt lgkmcnt(0)
	s_barrier
	s_and_saveexec_b64 s[0:1], s[46:47]
	s_cbranch_execz .LBB114_190
; %bb.189:
	v_lshlrev_b32_e32 v17, 2, v6
	ds_read_b32 v17, v17 offset:13248
	ds_read_b32 v18, v12
	s_waitcnt lgkmcnt(0)
	v_fma_f32 v16, -v17, v18, v16
.LBB114_190:
	s_or_b64 exec, exec, s[0:1]
	s_barrier
	s_and_saveexec_b64 s[0:1], s[48:49]
	s_cbranch_execz .LBB114_192
; %bb.191:
	v_mov_b32_e32 v17, 0
	ds_read_b32 v17, v17 offset:13000
	s_waitcnt lgkmcnt(0)
	v_mul_f32_e32 v16, v16, v17
	v_xor_b32_e32 v17, 0x80000000, v16
	ds_write_b32 v12, v17
.LBB114_192:
	s_or_b64 exec, exec, s[0:1]
	s_waitcnt lgkmcnt(0)
	s_barrier
	s_and_saveexec_b64 s[0:1], s[50:51]
	s_cbranch_execz .LBB114_194
; %bb.193:
	v_lshlrev_b32_e32 v17, 2, v6
	ds_read_b32 v17, v17 offset:12992
	ds_read_b32 v18, v12
	s_waitcnt lgkmcnt(0)
	v_fma_f32 v16, -v17, v18, v16
.LBB114_194:
	s_or_b64 exec, exec, s[0:1]
	s_barrier
	s_and_saveexec_b64 s[0:1], s[52:53]
	s_cbranch_execz .LBB114_196
; %bb.195:
	v_mov_b32_e32 v17, 0
	ds_read_b32 v17, v17 offset:12740
	s_waitcnt lgkmcnt(0)
	v_mul_f32_e32 v16, v16, v17
	v_xor_b32_e32 v17, 0x80000000, v16
	ds_write_b32 v12, v17
.LBB114_196:
	s_or_b64 exec, exec, s[0:1]
	s_waitcnt lgkmcnt(0)
	s_barrier
	s_and_saveexec_b64 s[0:1], s[42:43]
	s_cbranch_execz .LBB114_198
; %bb.197:
	v_mov_b32_e32 v17, 0
	ds_read_b32 v17, v17 offset:12736
	ds_read_b32 v18, v12
	s_waitcnt lgkmcnt(0)
	v_fma_f32 v16, -v17, v18, v16
.LBB114_198:
	s_or_b64 exec, exec, s[0:1]
	s_barrier
	s_and_saveexec_b64 s[0:1], s[42:43]
	s_cbranch_execz .LBB114_200
; %bb.199:
	v_mov_b32_e32 v17, 0
	ds_read_b32 v17, v17 offset:12480
	s_waitcnt lgkmcnt(0)
	v_mul_f32_e32 v16, v16, v17
	v_xor_b32_e32 v17, 0x80000000, v16
	ds_write_b32 v12, v17
.LBB114_200:
	s_or_b64 exec, exec, s[0:1]
	s_waitcnt lgkmcnt(0)
	s_barrier
	s_barrier
	s_and_saveexec_b64 s[0:1], s[18:19]
; %bb.201:
	v_lshlrev_b32_e32 v17, 2, v6
	v_lshl_or_b32 v17, v11, 8, v17
	ds_write_b32 v17, v16 offset:13504
; %bb.202:
	s_or_b64 exec, exec, s[0:1]
	s_waitcnt lgkmcnt(0)
	s_barrier
	s_barrier
	s_and_saveexec_b64 s[0:1], s[54:55]
	s_cbranch_execz .LBB114_204
; %bb.203:
	v_lshlrev_b32_e32 v16, 8, v0
	ds_read_b32 v17, v16 offset:13504
	s_movk_i32 s10, 0xff04
	v_mad_i32_i24 v18, v0, s10, v16
	s_waitcnt lgkmcnt(0)
	ds_write_b32 v18, v17 offset:12496
	ds_read_b32 v17, v16 offset:13508
	s_waitcnt lgkmcnt(0)
	ds_write_b32 v18, v17 offset:12752
	ds_read_b32 v17, v16 offset:13512
	s_waitcnt lgkmcnt(0)
	ds_write_b32 v18, v17 offset:13008
	ds_read_b32 v16, v16 offset:13516
	s_waitcnt lgkmcnt(0)
	ds_write_b32 v18, v16 offset:13264
.LBB114_204:
	s_or_b64 exec, exec, s[0:1]
	s_waitcnt lgkmcnt(0)
	s_barrier
	s_and_saveexec_b64 s[0:1], vcc
	s_cbranch_execz .LBB114_206
; %bb.205:
	v_mov_b32_e32 v18, 0
	ds_read_b64 v[16:17], v18 offset:13256
	ds_read_b32 v18, v18 offset:13000
	s_movk_i32 s10, 0x3000
	s_waitcnt lgkmcnt(0)
	v_mul_f32_e32 v17, v18, v17
	v_mul_f32_e32 v16, v16, v17
	v_add_u32_e64 v17, s10, 0
	ds_write2_b32 v17, v16, v16 offset0:179 offset1:242
.LBB114_206:
	s_or_b64 exec, exec, s[0:1]
	v_mov_b32_e32 v16, 0
	s_waitcnt lgkmcnt(0)
	s_barrier
	buffer_wbinvl1_vol
	s_and_saveexec_b64 s[0:1], s[2:3]
	s_cbranch_execz .LBB114_210
; %bb.207:
	v_lshlrev_b32_e32 v16, 8, v3
	v_lshlrev_b32_e32 v17, 2, v1
	ds_read_b32 v18, v17 offset:12992
	ds_read_b32 v16, v16 offset:13000
	v_mov_b32_e32 v17, 0
	v_cmp_gt_u32_e64 s[10:11], 2, v5
	s_waitcnt lgkmcnt(0)
	v_fma_f32 v16, v18, v16, 0
	s_and_saveexec_b64 s[14:15], s[10:11]
	s_cbranch_execz .LBB114_209
; %bb.208:
	v_lshlrev_b32_e32 v18, 2, v0
	ds_read_b32 v18, v18 offset:13248
	ds_read_b32 v17, v17 offset:13260
	s_waitcnt lgkmcnt(0)
	v_fmac_f32_e32 v16, v18, v17
.LBB114_209:
	s_or_b64 exec, exec, s[14:15]
.LBB114_210:
	s_or_b64 exec, exec, s[0:1]
	s_and_saveexec_b64 s[0:1], s[38:39]
	s_cbranch_execz .LBB114_212
; %bb.211:
	v_mov_b32_e32 v17, 0
	ds_read_b32 v17, v17 offset:12740
	s_waitcnt lgkmcnt(0)
	v_mul_f32_e32 v16, v16, v17
	v_xor_b32_e32 v17, 0x80000000, v16
	ds_write_b32 v4, v17
.LBB114_212:
	s_or_b64 exec, exec, s[0:1]
	s_waitcnt lgkmcnt(0)
	s_barrier
	s_and_saveexec_b64 s[0:1], s[36:37]
	s_cbranch_execz .LBB114_214
; %bb.213:
	v_mov_b32_e32 v17, 0
	ds_read_b32 v17, v17 offset:12736
	ds_read_b32 v18, v4
	s_waitcnt lgkmcnt(0)
	v_fma_f32 v16, -v17, v18, v16
.LBB114_214:
	s_or_b64 exec, exec, s[0:1]
	s_barrier
	s_and_saveexec_b64 s[0:1], s[36:37]
	s_cbranch_execz .LBB114_216
; %bb.215:
	v_mov_b32_e32 v17, 0
	ds_read_b32 v17, v17 offset:12480
	s_waitcnt lgkmcnt(0)
	v_mul_f32_e32 v16, v16, v17
	v_xor_b32_e32 v17, 0x80000000, v16
	ds_write_b32 v4, v17
.LBB114_216:
	s_or_b64 exec, exec, s[0:1]
	s_waitcnt lgkmcnt(0)
	s_barrier
	s_barrier
	s_and_saveexec_b64 s[0:1], s[2:3]
; %bb.217:
	v_lshlrev_b32_e32 v17, 2, v1
	v_lshl_or_b32 v17, v3, 8, v17
	ds_write_b32 v17, v16 offset:12992
; %bb.218:
	s_or_b64 exec, exec, s[0:1]
	s_waitcnt lgkmcnt(0)
	s_barrier
	s_barrier
	s_and_saveexec_b64 s[0:1], s[40:41]
	s_cbranch_execz .LBB114_220
; %bb.219:
	v_lshlrev_b32_e32 v16, 2, v0
	s_movk_i32 s10, 0xfc
	v_mad_u32_u24 v17, v0, s10, v16
	ds_read_b32 v18, v17 offset:12992
	s_waitcnt lgkmcnt(0)
	ds_write_b32 v16, v18 offset:12488
	ds_read_b32 v17, v17 offset:12996
	s_waitcnt lgkmcnt(0)
	ds_write_b32 v16, v17 offset:12744
.LBB114_220:
	s_or_b64 exec, exec, s[0:1]
	s_waitcnt lgkmcnt(0)
	s_barrier
	s_and_saveexec_b64 s[0:1], vcc
	s_cbranch_execz .LBB114_222
; %bb.221:
	v_mov_b32_e32 v18, 0
	ds_read_b64 v[16:17], v18 offset:12736
	ds_read_b32 v18, v18 offset:12480
	s_movk_i32 s10, 0x3000
	s_waitcnt lgkmcnt(0)
	v_mul_f32_e32 v17, v18, v17
	v_mul_f32_e32 v16, v16, v17
	v_add_u32_e64 v17, s10, 0
	ds_write2_b32 v17, v16, v16 offset0:49 offset1:112
.LBB114_222:
	s_or_b64 exec, exec, s[0:1]
	s_movk_i32 s0, 0xff
	v_lshrrev_b32_e32 v18, 4, v5
	v_cmp_lt_u32_e64 s[14:15], s0, v5
	s_movk_i32 s0, 0x100
	v_and_b32_e32 v16, 15, v0
	v_sub_u32_e32 v17, 15, v18
	v_cmp_gt_u32_e64 s[10:11], s0, v5
	v_mov_b32_e32 v19, 0
	s_waitcnt lgkmcnt(0)
	s_barrier
	buffer_wbinvl1_vol
	s_and_saveexec_b64 s[0:1], s[10:11]
	s_cbranch_execz .LBB114_250
; %bb.223:
	v_lshlrev_b32_e32 v21, 2, v16
	v_lshlrev_b32_e32 v20, 8, v17
	ds_read_b32 v19, v21 offset:12416
	ds_read_b32 v22, v20 offset:12480
	s_movk_i32 s16, 0xf0
	v_cmp_gt_u32_e64 s[16:17], s16, v5
	s_waitcnt lgkmcnt(0)
	v_fma_f32 v19, v19, v22, 0
	s_and_saveexec_b64 s[20:21], s[16:17]
	s_cbranch_execz .LBB114_225
; %bb.224:
	ds_read_b32 v22, v21 offset:12672
	ds_read_b32 v23, v20 offset:12484
	s_waitcnt lgkmcnt(0)
	v_fmac_f32_e32 v19, v22, v23
.LBB114_225:
	s_or_b64 exec, exec, s[20:21]
	s_movk_i32 s16, 0xe0
	v_cmp_gt_u32_e64 s[16:17], s16, v5
	s_and_saveexec_b64 s[20:21], s[16:17]
	s_cbranch_execz .LBB114_227
; %bb.226:
	ds_read_b32 v22, v21 offset:12928
	ds_read_b32 v23, v20 offset:12488
	s_waitcnt lgkmcnt(0)
	v_fmac_f32_e32 v19, v22, v23
.LBB114_227:
	s_or_b64 exec, exec, s[20:21]
	s_movk_i32 s16, 0xd0
	v_cmp_gt_u32_e64 s[16:17], s16, v5
	;; [unrolled: 11-line block ×10, first 2 shown]
	s_and_saveexec_b64 s[20:21], s[16:17]
	s_cbranch_execnz .LBB114_1216
; %bb.244:
	s_or_b64 exec, exec, s[20:21]
	s_and_saveexec_b64 s[16:17], s[8:9]
	s_cbranch_execnz .LBB114_1217
.LBB114_245:
	s_or_b64 exec, exec, s[16:17]
	v_cmp_gt_u32_e64 s[16:17], 48, v5
	s_and_saveexec_b64 s[20:21], s[16:17]
	s_cbranch_execnz .LBB114_1218
.LBB114_246:
	s_or_b64 exec, exec, s[20:21]
	v_cmp_gt_u32_e64 s[16:17], 32, v5
	s_and_saveexec_b64 s[20:21], s[16:17]
	s_cbranch_execnz .LBB114_1219
.LBB114_247:
	s_or_b64 exec, exec, s[20:21]
	v_cmp_gt_u32_e64 s[16:17], 16, v5
	s_and_saveexec_b64 s[20:21], s[16:17]
	s_cbranch_execz .LBB114_249
.LBB114_248:
	v_lshlrev_b32_e32 v20, 2, v0
	v_mov_b32_e32 v21, 0
	ds_read_b32 v20, v20 offset:16256
	ds_read_b32 v21, v21 offset:16380
	s_waitcnt lgkmcnt(0)
	v_fmac_f32_e32 v19, v20, v21
.LBB114_249:
	s_or_b64 exec, exec, s[20:21]
.LBB114_250:
	s_or_b64 exec, exec, s[0:1]
	v_mov_b32_e32 v20, 0x4000
	v_lshl_add_u32 v18, v18, 2, v20
	v_cmp_eq_u32_e64 s[16:17], 15, v16
	s_xor_b64 s[20:21], s[14:15], -1
	s_and_b64 s[14:15], s[16:17], s[20:21]
	s_mov_b64 s[0:1], exec
	v_writelane_b32 v27, s14, 3
	v_writelane_b32 v27, s15, 4
	s_and_b64 s[14:15], s[0:1], s[14:15]
	s_mov_b64 exec, s[14:15]
	s_cbranch_execz .LBB114_252
; %bb.251:
	v_mov_b32_e32 v20, 0
	ds_read_b32 v20, v20 offset:12220
	s_waitcnt lgkmcnt(0)
	v_mul_f32_e32 v19, v19, v20
	v_xor_b32_e32 v20, 0x80000000, v19
	ds_write_b32 v18, v20
.LBB114_252:
	s_or_b64 exec, exec, s[0:1]
	v_cmp_ne_u32_e64 s[14:15], 15, v16
	s_waitcnt lgkmcnt(0)
	s_barrier
	s_and_b64 s[14:15], s[14:15], s[20:21]
	s_mov_b64 s[0:1], exec
	v_writelane_b32 v27, s14, 5
	v_writelane_b32 v27, s15, 6
	s_and_b64 s[14:15], s[0:1], s[14:15]
	s_mov_b64 exec, s[14:15]
	s_cbranch_execz .LBB114_254
; %bb.253:
	v_lshlrev_b32_e32 v20, 2, v16
	ds_read_b32 v20, v20 offset:12160
	ds_read_b32 v21, v18
	s_waitcnt lgkmcnt(0)
	v_fma_f32 v19, -v20, v21, v19
.LBB114_254:
	s_or_b64 exec, exec, s[0:1]
	v_cmp_eq_u32_e64 s[14:15], 14, v16
	s_barrier
	s_and_b64 s[14:15], s[14:15], s[20:21]
	s_mov_b64 s[0:1], exec
	v_writelane_b32 v27, s14, 7
	v_writelane_b32 v27, s15, 8
	s_and_b64 s[14:15], s[0:1], s[14:15]
	s_mov_b64 exec, s[14:15]
	s_cbranch_execz .LBB114_256
; %bb.255:
	v_mov_b32_e32 v20, 0
	ds_read_b32 v20, v20 offset:11960
	s_waitcnt lgkmcnt(0)
	v_mul_f32_e32 v19, v19, v20
	v_xor_b32_e32 v20, 0x80000000, v19
	ds_write_b32 v18, v20
.LBB114_256:
	s_or_b64 exec, exec, s[0:1]
	v_cmp_gt_u32_e64 s[14:15], 14, v16
	s_waitcnt lgkmcnt(0)
	s_barrier
	s_and_b64 s[14:15], s[14:15], s[20:21]
	s_mov_b64 s[0:1], exec
	v_writelane_b32 v27, s14, 9
	v_writelane_b32 v27, s15, 10
	s_and_b64 s[14:15], s[0:1], s[14:15]
	s_mov_b64 exec, s[14:15]
	s_cbranch_execz .LBB114_258
; %bb.257:
	v_lshlrev_b32_e32 v20, 2, v16
	ds_read_b32 v20, v20 offset:11904
	ds_read_b32 v21, v18
	s_waitcnt lgkmcnt(0)
	v_fma_f32 v19, -v20, v21, v19
.LBB114_258:
	s_or_b64 exec, exec, s[0:1]
	v_cmp_eq_u32_e64 s[14:15], 13, v16
	s_barrier
	s_and_b64 s[14:15], s[14:15], s[20:21]
	s_mov_b64 s[0:1], exec
	v_writelane_b32 v27, s14, 11
	v_writelane_b32 v27, s15, 12
	s_and_b64 s[14:15], s[0:1], s[14:15]
	s_mov_b64 exec, s[14:15]
	s_cbranch_execz .LBB114_260
; %bb.259:
	v_mov_b32_e32 v20, 0
	ds_read_b32 v20, v20 offset:11700
	s_waitcnt lgkmcnt(0)
	v_mul_f32_e32 v19, v19, v20
	v_xor_b32_e32 v20, 0x80000000, v19
	ds_write_b32 v18, v20
.LBB114_260:
	s_or_b64 exec, exec, s[0:1]
	v_cmp_gt_u32_e64 s[14:15], 13, v16
	;; [unrolled: 36-line block ×12, first 2 shown]
	s_waitcnt lgkmcnt(0)
	s_barrier
	s_and_b64 s[14:15], s[14:15], s[20:21]
	s_mov_b64 s[0:1], exec
	v_writelane_b32 v27, s14, 53
	v_writelane_b32 v27, s15, 54
	s_and_b64 s[14:15], s[0:1], s[14:15]
	s_mov_b64 exec, s[14:15]
	s_cbranch_execz .LBB114_302
; %bb.301:
	v_lshlrev_b32_e32 v20, 2, v16
	ds_read_b32 v20, v20 offset:9088
	ds_read_b32 v21, v18
	s_waitcnt lgkmcnt(0)
	v_fma_f32 v19, -v20, v21, v19
.LBB114_302:
	s_or_b64 exec, exec, s[0:1]
	v_cmp_eq_u32_e64 s[14:15], 2, v16
	s_and_b64 s[0:1], s[14:15], s[20:21]
	s_barrier
	s_and_saveexec_b64 s[14:15], s[0:1]
	s_cbranch_execz .LBB114_304
; %bb.303:
	v_mov_b32_e32 v20, 0
	ds_read_b32 v20, v20 offset:8840
	s_waitcnt lgkmcnt(0)
	v_mul_f32_e32 v19, v19, v20
	v_xor_b32_e32 v20, 0x80000000, v19
	ds_write_b32 v18, v20
.LBB114_304:
	s_or_b64 exec, exec, s[14:15]
	v_cmp_gt_u32_e64 s[14:15], 2, v16
	s_waitcnt lgkmcnt(0)
	s_barrier
	s_and_b64 s[16:17], s[14:15], s[20:21]
	s_mov_b64 s[14:15], exec
	v_writelane_b32 v27, s16, 55
	v_writelane_b32 v27, s17, 56
	s_and_b64 s[16:17], s[14:15], s[16:17]
	s_mov_b64 exec, s[16:17]
	s_cbranch_execz .LBB114_306
; %bb.305:
	v_lshlrev_b32_e32 v20, 2, v16
	ds_read_b32 v20, v20 offset:8832
	ds_read_b32 v21, v18
	s_waitcnt lgkmcnt(0)
	v_fma_f32 v19, -v20, v21, v19
.LBB114_306:
	s_or_b64 exec, exec, s[14:15]
	v_cmp_eq_u32_e64 s[14:15], 1, v16
	s_barrier
	s_and_b64 s[16:17], s[14:15], s[20:21]
	s_mov_b64 s[14:15], exec
	v_writelane_b32 v27, s16, 57
	v_writelane_b32 v27, s17, 58
	s_and_b64 s[16:17], s[14:15], s[16:17]
	s_mov_b64 exec, s[16:17]
	s_cbranch_execz .LBB114_308
; %bb.307:
	v_mov_b32_e32 v20, 0
	ds_read_b32 v20, v20 offset:8580
	s_waitcnt lgkmcnt(0)
	v_mul_f32_e32 v19, v19, v20
	v_xor_b32_e32 v20, 0x80000000, v19
	ds_write_b32 v18, v20
.LBB114_308:
	s_or_b64 exec, exec, s[14:15]
	v_cmp_eq_u32_e64 s[14:15], 0, v16
	s_and_b64 s[86:87], s[14:15], s[20:21]
	s_waitcnt lgkmcnt(0)
	s_barrier
	s_and_saveexec_b64 s[14:15], s[86:87]
	s_cbranch_execz .LBB114_310
; %bb.309:
	v_mov_b32_e32 v20, 0
	ds_read_b32 v20, v20 offset:8576
	ds_read_b32 v21, v18
	s_waitcnt lgkmcnt(0)
	v_fma_f32 v19, -v20, v21, v19
.LBB114_310:
	s_or_b64 exec, exec, s[14:15]
	s_barrier
	s_and_saveexec_b64 s[14:15], s[86:87]
	s_cbranch_execz .LBB114_312
; %bb.311:
	v_mov_b32_e32 v20, 0
	ds_read_b32 v20, v20 offset:8320
	s_waitcnt lgkmcnt(0)
	v_mul_f32_e32 v19, v19, v20
	v_xor_b32_e32 v20, 0x80000000, v19
	ds_write_b32 v18, v20
.LBB114_312:
	s_or_b64 exec, exec, s[14:15]
	s_waitcnt lgkmcnt(0)
	s_barrier
	s_barrier
	s_and_saveexec_b64 s[14:15], s[10:11]
; %bb.313:
	v_lshlrev_b32_e32 v20, 2, v16
	v_lshl_or_b32 v20, v17, 8, v20
	ds_write_b32 v20, v19 offset:12416
; %bb.314:
	s_or_b64 exec, exec, s[14:15]
	v_cmp_gt_u32_e64 s[14:15], 16, v0
	s_and_b64 s[92:93], s[12:13], s[14:15]
	s_waitcnt lgkmcnt(0)
	s_barrier
	s_barrier
	s_and_saveexec_b64 s[14:15], s[92:93]
	s_cbranch_execz .LBB114_316
; %bb.315:
	v_lshlrev_b32_e32 v19, 8, v0
	ds_read_b32 v20, v19 offset:12416
	s_movk_i32 s16, 0xff04
	v_mad_i32_i24 v21, v0, s16, v19
	s_waitcnt lgkmcnt(0)
	ds_write_b32 v21, v20 offset:8384
	ds_read_b32 v20, v19 offset:12420
	s_waitcnt lgkmcnt(0)
	ds_write_b32 v21, v20 offset:8640
	ds_read_b32 v20, v19 offset:12424
	;; [unrolled: 3-line block ×15, first 2 shown]
	s_waitcnt lgkmcnt(0)
	ds_write_b32 v21, v19 offset:12224
.LBB114_316:
	s_or_b64 exec, exec, s[14:15]
	s_waitcnt lgkmcnt(0)
	s_barrier
	s_and_saveexec_b64 s[14:15], vcc
	s_cbranch_execz .LBB114_318
; %bb.317:
	v_mov_b32_e32 v21, 0
	ds_read_b64 v[19:20], v21 offset:12216
	ds_read_b32 v21, v21 offset:11960
	s_movk_i32 s16, 0x2c00
	s_waitcnt lgkmcnt(0)
	v_mul_f32_e32 v20, v21, v20
	v_mul_f32_e32 v19, v19, v20
	v_add_u32_e64 v20, s16, 0
	ds_write2_b32 v20, v19, v19 offset0:175 offset1:238
.LBB114_318:
	s_or_b64 exec, exec, s[14:15]
	v_mov_b32_e32 v19, 0
	s_waitcnt lgkmcnt(0)
	s_barrier
	buffer_wbinvl1_vol
	s_and_saveexec_b64 s[16:17], s[2:3]
	s_cbranch_execz .LBB114_322
; %bb.319:
	v_lshlrev_b32_e32 v19, 8, v3
	v_lshlrev_b32_e32 v20, 2, v1
	ds_read_b32 v21, v20 offset:11952
	ds_read_b32 v19, v19 offset:11960
	v_mov_b32_e32 v20, 0
	v_cmp_gt_u32_e64 s[14:15], 2, v5
	s_waitcnt lgkmcnt(0)
	v_fma_f32 v19, v21, v19, 0
	s_and_saveexec_b64 s[20:21], s[14:15]
	s_cbranch_execz .LBB114_321
; %bb.320:
	v_lshlrev_b32_e32 v21, 2, v0
	ds_read_b32 v21, v21 offset:12208
	ds_read_b32 v20, v20 offset:12220
	s_waitcnt lgkmcnt(0)
	v_fmac_f32_e32 v19, v21, v20
.LBB114_321:
	s_or_b64 exec, exec, s[20:21]
.LBB114_322:
	s_or_b64 exec, exec, s[16:17]
	s_and_saveexec_b64 s[14:15], s[38:39]
	s_cbranch_execz .LBB114_324
; %bb.323:
	v_mov_b32_e32 v20, 0
	ds_read_b32 v20, v20 offset:11700
	s_waitcnt lgkmcnt(0)
	v_mul_f32_e32 v19, v19, v20
	v_xor_b32_e32 v20, 0x80000000, v19
	ds_write_b32 v4, v20
.LBB114_324:
	s_or_b64 exec, exec, s[14:15]
	s_waitcnt lgkmcnt(0)
	s_barrier
	s_and_saveexec_b64 s[14:15], s[36:37]
	s_cbranch_execz .LBB114_326
; %bb.325:
	v_mov_b32_e32 v20, 0
	ds_read_b32 v20, v20 offset:11696
	ds_read_b32 v21, v4
	s_waitcnt lgkmcnt(0)
	v_fma_f32 v19, -v20, v21, v19
.LBB114_326:
	s_or_b64 exec, exec, s[14:15]
	s_barrier
	s_and_saveexec_b64 s[14:15], s[36:37]
	s_cbranch_execz .LBB114_328
; %bb.327:
	v_mov_b32_e32 v20, 0
	ds_read_b32 v20, v20 offset:11440
	s_waitcnt lgkmcnt(0)
	v_mul_f32_e32 v19, v19, v20
	v_xor_b32_e32 v20, 0x80000000, v19
	ds_write_b32 v4, v20
.LBB114_328:
	s_or_b64 exec, exec, s[14:15]
	s_waitcnt lgkmcnt(0)
	s_barrier
	s_barrier
	s_and_saveexec_b64 s[14:15], s[2:3]
; %bb.329:
	v_lshlrev_b32_e32 v20, 2, v1
	v_lshl_or_b32 v20, v3, 8, v20
	ds_write_b32 v20, v19 offset:11952
; %bb.330:
	s_or_b64 exec, exec, s[14:15]
	s_waitcnt lgkmcnt(0)
	s_barrier
	s_barrier
	s_and_saveexec_b64 s[14:15], s[40:41]
	s_cbranch_execz .LBB114_332
; %bb.331:
	v_lshlrev_b32_e32 v19, 2, v0
	s_movk_i32 s16, 0xfc
	v_mad_u32_u24 v20, v0, s16, v19
	ds_read_b32 v21, v20 offset:11952
	s_waitcnt lgkmcnt(0)
	ds_write_b32 v19, v21 offset:11448
	ds_read_b32 v20, v20 offset:11956
	s_waitcnt lgkmcnt(0)
	ds_write_b32 v19, v20 offset:11704
.LBB114_332:
	s_or_b64 exec, exec, s[14:15]
	s_waitcnt lgkmcnt(0)
	s_barrier
	s_and_saveexec_b64 s[14:15], vcc
	s_cbranch_execz .LBB114_334
; %bb.333:
	v_mov_b32_e32 v21, 0
	ds_read_b64 v[19:20], v21 offset:11696
	ds_read_b32 v21, v21 offset:11440
	s_movk_i32 s16, 0x2c00
	s_waitcnt lgkmcnt(0)
	v_mul_f32_e32 v20, v21, v20
	v_mul_f32_e32 v19, v19, v20
	v_add_u32_e64 v20, s16, 0
	ds_write2_b32 v20, v19, v19 offset0:45 offset1:108
.LBB114_334:
	s_or_b64 exec, exec, s[14:15]
	v_mov_b32_e32 v19, 0
	s_waitcnt lgkmcnt(0)
	s_barrier
	buffer_wbinvl1_vol
	s_and_saveexec_b64 s[16:17], s[18:19]
	s_cbranch_execz .LBB114_340
; %bb.335:
	v_lshlrev_b32_e32 v21, 2, v6
	v_lshlrev_b32_e32 v20, 8, v11
	ds_read_b32 v19, v21 offset:11424
	ds_read_b32 v22, v20 offset:11440
	v_cmp_gt_u32_e64 s[14:15], 12, v5
	s_waitcnt lgkmcnt(0)
	v_fma_f32 v19, v19, v22, 0
	s_and_saveexec_b64 s[20:21], s[14:15]
	s_cbranch_execnz .LBB114_1220
; %bb.336:
	s_or_b64 exec, exec, s[20:21]
	v_cmp_gt_u32_e64 s[14:15], 8, v5
	s_and_saveexec_b64 s[20:21], s[14:15]
	s_cbranch_execnz .LBB114_1221
.LBB114_337:
	s_or_b64 exec, exec, s[20:21]
	v_cmp_gt_u32_e64 s[14:15], 4, v5
	s_and_saveexec_b64 s[20:21], s[14:15]
	s_cbranch_execz .LBB114_339
.LBB114_338:
	v_lshlrev_b32_e32 v20, 2, v0
	v_mov_b32_e32 v21, 0
	ds_read_b32 v20, v20 offset:12192
	ds_read_b32 v21, v21 offset:12220
	s_waitcnt lgkmcnt(0)
	v_fmac_f32_e32 v19, v20, v21
.LBB114_339:
	s_or_b64 exec, exec, s[20:21]
.LBB114_340:
	s_or_b64 exec, exec, s[16:17]
	s_and_saveexec_b64 s[14:15], s[44:45]
	s_cbranch_execz .LBB114_342
; %bb.341:
	v_mov_b32_e32 v20, 0
	ds_read_b32 v20, v20 offset:11180
	s_waitcnt lgkmcnt(0)
	v_mul_f32_e32 v19, v19, v20
	v_xor_b32_e32 v20, 0x80000000, v19
	ds_write_b32 v12, v20
.LBB114_342:
	s_or_b64 exec, exec, s[14:15]
	s_waitcnt lgkmcnt(0)
	s_barrier
	s_and_saveexec_b64 s[14:15], s[46:47]
	s_cbranch_execz .LBB114_344
; %bb.343:
	v_lshlrev_b32_e32 v20, 2, v6
	ds_read_b32 v20, v20 offset:11168
	ds_read_b32 v21, v12
	s_waitcnt lgkmcnt(0)
	v_fma_f32 v19, -v20, v21, v19
.LBB114_344:
	s_or_b64 exec, exec, s[14:15]
	s_barrier
	s_and_saveexec_b64 s[14:15], s[48:49]
	s_cbranch_execz .LBB114_346
; %bb.345:
	v_mov_b32_e32 v20, 0
	ds_read_b32 v20, v20 offset:10920
	s_waitcnt lgkmcnt(0)
	v_mul_f32_e32 v19, v19, v20
	v_xor_b32_e32 v20, 0x80000000, v19
	ds_write_b32 v12, v20
.LBB114_346:
	s_or_b64 exec, exec, s[14:15]
	s_waitcnt lgkmcnt(0)
	s_barrier
	s_and_saveexec_b64 s[14:15], s[50:51]
	s_cbranch_execz .LBB114_348
; %bb.347:
	v_lshlrev_b32_e32 v20, 2, v6
	ds_read_b32 v20, v20 offset:10912
	ds_read_b32 v21, v12
	s_waitcnt lgkmcnt(0)
	v_fma_f32 v19, -v20, v21, v19
.LBB114_348:
	s_or_b64 exec, exec, s[14:15]
	s_barrier
	s_and_saveexec_b64 s[14:15], s[52:53]
	s_cbranch_execz .LBB114_350
; %bb.349:
	v_mov_b32_e32 v20, 0
	ds_read_b32 v20, v20 offset:10660
	s_waitcnt lgkmcnt(0)
	v_mul_f32_e32 v19, v19, v20
	v_xor_b32_e32 v20, 0x80000000, v19
	ds_write_b32 v12, v20
.LBB114_350:
	s_or_b64 exec, exec, s[14:15]
	s_waitcnt lgkmcnt(0)
	s_barrier
	s_and_saveexec_b64 s[14:15], s[42:43]
	s_cbranch_execz .LBB114_352
; %bb.351:
	v_mov_b32_e32 v20, 0
	ds_read_b32 v20, v20 offset:10656
	ds_read_b32 v21, v12
	s_waitcnt lgkmcnt(0)
	v_fma_f32 v19, -v20, v21, v19
.LBB114_352:
	s_or_b64 exec, exec, s[14:15]
	s_barrier
	s_and_saveexec_b64 s[14:15], s[42:43]
	s_cbranch_execz .LBB114_354
; %bb.353:
	v_mov_b32_e32 v20, 0
	ds_read_b32 v20, v20 offset:10400
	s_waitcnt lgkmcnt(0)
	v_mul_f32_e32 v19, v19, v20
	v_xor_b32_e32 v20, 0x80000000, v19
	ds_write_b32 v12, v20
.LBB114_354:
	s_or_b64 exec, exec, s[14:15]
	s_waitcnt lgkmcnt(0)
	s_barrier
	s_barrier
	s_and_saveexec_b64 s[14:15], s[18:19]
; %bb.355:
	v_lshlrev_b32_e32 v20, 2, v6
	v_lshl_or_b32 v20, v11, 8, v20
	ds_write_b32 v20, v19 offset:11424
; %bb.356:
	s_or_b64 exec, exec, s[14:15]
	s_waitcnt lgkmcnt(0)
	s_barrier
	s_barrier
	s_and_saveexec_b64 s[14:15], s[54:55]
	s_cbranch_execz .LBB114_358
; %bb.357:
	v_lshlrev_b32_e32 v19, 8, v0
	ds_read_b32 v20, v19 offset:11424
	s_movk_i32 s16, 0xff04
	v_mad_i32_i24 v21, v0, s16, v19
	s_waitcnt lgkmcnt(0)
	ds_write_b32 v21, v20 offset:10416
	ds_read_b32 v20, v19 offset:11428
	s_waitcnt lgkmcnt(0)
	ds_write_b32 v21, v20 offset:10672
	ds_read_b32 v20, v19 offset:11432
	s_waitcnt lgkmcnt(0)
	ds_write_b32 v21, v20 offset:10928
	ds_read_b32 v19, v19 offset:11436
	s_waitcnt lgkmcnt(0)
	ds_write_b32 v21, v19 offset:11184
.LBB114_358:
	s_or_b64 exec, exec, s[14:15]
	s_waitcnt lgkmcnt(0)
	s_barrier
	s_and_saveexec_b64 s[14:15], vcc
	s_cbranch_execz .LBB114_360
; %bb.359:
	v_mov_b32_e32 v21, 0
	ds_read_b64 v[19:20], v21 offset:11176
	ds_read_b32 v21, v21 offset:10920
	s_movk_i32 s16, 0x2800
	s_waitcnt lgkmcnt(0)
	v_mul_f32_e32 v20, v21, v20
	v_mul_f32_e32 v19, v19, v20
	v_add_u32_e64 v20, s16, 0
	ds_write2_b32 v20, v19, v19 offset0:171 offset1:234
.LBB114_360:
	s_or_b64 exec, exec, s[14:15]
	v_mov_b32_e32 v19, 0
	s_waitcnt lgkmcnt(0)
	s_barrier
	buffer_wbinvl1_vol
	s_and_saveexec_b64 s[16:17], s[2:3]
	s_cbranch_execz .LBB114_364
; %bb.361:
	v_lshlrev_b32_e32 v19, 8, v3
	v_lshlrev_b32_e32 v20, 2, v1
	ds_read_b32 v21, v20 offset:10912
	ds_read_b32 v19, v19 offset:10920
	v_mov_b32_e32 v20, 0
	v_cmp_gt_u32_e64 s[14:15], 2, v5
	s_waitcnt lgkmcnt(0)
	v_fma_f32 v19, v21, v19, 0
	s_and_saveexec_b64 s[20:21], s[14:15]
	s_cbranch_execz .LBB114_363
; %bb.362:
	v_lshlrev_b32_e32 v21, 2, v0
	ds_read_b32 v21, v21 offset:11168
	ds_read_b32 v20, v20 offset:11180
	s_waitcnt lgkmcnt(0)
	v_fmac_f32_e32 v19, v21, v20
.LBB114_363:
	s_or_b64 exec, exec, s[20:21]
.LBB114_364:
	s_or_b64 exec, exec, s[16:17]
	s_and_saveexec_b64 s[14:15], s[38:39]
	s_cbranch_execz .LBB114_366
; %bb.365:
	v_mov_b32_e32 v20, 0
	ds_read_b32 v20, v20 offset:10660
	s_waitcnt lgkmcnt(0)
	v_mul_f32_e32 v19, v19, v20
	v_xor_b32_e32 v20, 0x80000000, v19
	ds_write_b32 v4, v20
.LBB114_366:
	s_or_b64 exec, exec, s[14:15]
	s_waitcnt lgkmcnt(0)
	s_barrier
	s_and_saveexec_b64 s[14:15], s[36:37]
	s_cbranch_execz .LBB114_368
; %bb.367:
	v_mov_b32_e32 v20, 0
	ds_read_b32 v20, v20 offset:10656
	ds_read_b32 v21, v4
	s_waitcnt lgkmcnt(0)
	v_fma_f32 v19, -v20, v21, v19
.LBB114_368:
	s_or_b64 exec, exec, s[14:15]
	s_barrier
	s_and_saveexec_b64 s[14:15], s[36:37]
	s_cbranch_execz .LBB114_370
; %bb.369:
	v_mov_b32_e32 v20, 0
	ds_read_b32 v20, v20 offset:10400
	s_waitcnt lgkmcnt(0)
	v_mul_f32_e32 v19, v19, v20
	v_xor_b32_e32 v20, 0x80000000, v19
	ds_write_b32 v4, v20
.LBB114_370:
	s_or_b64 exec, exec, s[14:15]
	s_waitcnt lgkmcnt(0)
	s_barrier
	s_barrier
	s_and_saveexec_b64 s[14:15], s[2:3]
; %bb.371:
	v_lshlrev_b32_e32 v20, 2, v1
	v_lshl_or_b32 v20, v3, 8, v20
	ds_write_b32 v20, v19 offset:10912
; %bb.372:
	s_or_b64 exec, exec, s[14:15]
	s_waitcnt lgkmcnt(0)
	s_barrier
	s_barrier
	s_and_saveexec_b64 s[14:15], s[40:41]
	s_cbranch_execz .LBB114_374
; %bb.373:
	v_lshlrev_b32_e32 v19, 2, v0
	s_movk_i32 s16, 0xfc
	v_mad_u32_u24 v20, v0, s16, v19
	ds_read_b32 v21, v20 offset:10912
	s_waitcnt lgkmcnt(0)
	ds_write_b32 v19, v21 offset:10408
	ds_read_b32 v20, v20 offset:10916
	s_waitcnt lgkmcnt(0)
	ds_write_b32 v19, v20 offset:10664
.LBB114_374:
	s_or_b64 exec, exec, s[14:15]
	s_waitcnt lgkmcnt(0)
	s_barrier
	s_and_saveexec_b64 s[14:15], vcc
	s_cbranch_execz .LBB114_376
; %bb.375:
	v_mov_b32_e32 v21, 0
	ds_read_b64 v[19:20], v21 offset:10656
	ds_read_b32 v21, v21 offset:10400
	s_movk_i32 s16, 0x2800
	s_waitcnt lgkmcnt(0)
	v_mul_f32_e32 v20, v21, v20
	v_mul_f32_e32 v19, v19, v20
	v_add_u32_e64 v20, s16, 0
	ds_write2_b32 v20, v19, v19 offset0:41 offset1:104
.LBB114_376:
	s_or_b64 exec, exec, s[14:15]
	v_mov_b32_e32 v19, 0
	s_waitcnt lgkmcnt(0)
	s_barrier
	buffer_wbinvl1_vol
	s_and_saveexec_b64 s[16:17], s[8:9]
	s_cbranch_execz .LBB114_386
; %bb.377:
	v_lshlrev_b32_e32 v21, 2, v13
	v_lshlrev_b32_e32 v20, 8, v14
	ds_read_b32 v19, v21 offset:10368
	ds_read_b32 v22, v20 offset:10400
	v_cmp_gt_u32_e64 s[14:15], 56, v5
	s_waitcnt lgkmcnt(0)
	v_fma_f32 v19, v19, v22, 0
	s_and_saveexec_b64 s[20:21], s[14:15]
	s_cbranch_execnz .LBB114_1222
; %bb.378:
	s_or_b64 exec, exec, s[20:21]
	v_cmp_gt_u32_e64 s[14:15], 48, v5
	s_and_saveexec_b64 s[20:21], s[14:15]
	s_cbranch_execnz .LBB114_1223
.LBB114_379:
	s_or_b64 exec, exec, s[20:21]
	v_cmp_gt_u32_e64 s[14:15], 40, v5
	s_and_saveexec_b64 s[20:21], s[14:15]
	s_cbranch_execnz .LBB114_1224
.LBB114_380:
	s_or_b64 exec, exec, s[20:21]
	v_cmp_gt_u32_e64 s[14:15], 32, v5
	s_and_saveexec_b64 s[20:21], s[14:15]
	s_cbranch_execnz .LBB114_1225
.LBB114_381:
	s_or_b64 exec, exec, s[20:21]
	v_cmp_gt_u32_e64 s[14:15], 24, v5
	s_and_saveexec_b64 s[20:21], s[14:15]
	s_cbranch_execnz .LBB114_1226
.LBB114_382:
	s_or_b64 exec, exec, s[20:21]
	s_and_saveexec_b64 s[14:15], s[18:19]
	s_cbranch_execnz .LBB114_1227
.LBB114_383:
	s_or_b64 exec, exec, s[14:15]
	v_cmp_gt_u32_e64 s[14:15], 8, v5
	s_and_saveexec_b64 s[20:21], s[14:15]
	s_cbranch_execz .LBB114_385
.LBB114_384:
	v_lshlrev_b32_e32 v20, 2, v0
	v_mov_b32_e32 v21, 0
	ds_read_b32 v20, v20 offset:12160
	ds_read_b32 v21, v21 offset:12220
	s_waitcnt lgkmcnt(0)
	v_fmac_f32_e32 v19, v20, v21
.LBB114_385:
	s_or_b64 exec, exec, s[20:21]
.LBB114_386:
	s_or_b64 exec, exec, s[16:17]
	s_and_saveexec_b64 s[14:15], s[56:57]
	s_cbranch_execz .LBB114_388
; %bb.387:
	v_mov_b32_e32 v20, 0
	ds_read_b32 v20, v20 offset:10140
	s_waitcnt lgkmcnt(0)
	v_mul_f32_e32 v19, v19, v20
	v_xor_b32_e32 v20, 0x80000000, v19
	ds_write_b32 v15, v20
.LBB114_388:
	s_or_b64 exec, exec, s[14:15]
	s_waitcnt lgkmcnt(0)
	s_barrier
	s_and_saveexec_b64 s[14:15], s[58:59]
	s_cbranch_execz .LBB114_390
; %bb.389:
	v_lshlrev_b32_e32 v20, 2, v13
	ds_read_b32 v20, v20 offset:10112
	ds_read_b32 v21, v15
	s_waitcnt lgkmcnt(0)
	v_fma_f32 v19, -v20, v21, v19
.LBB114_390:
	s_or_b64 exec, exec, s[14:15]
	s_barrier
	s_and_saveexec_b64 s[14:15], s[60:61]
	s_cbranch_execz .LBB114_392
; %bb.391:
	v_mov_b32_e32 v20, 0
	ds_read_b32 v20, v20 offset:9880
	s_waitcnt lgkmcnt(0)
	v_mul_f32_e32 v19, v19, v20
	v_xor_b32_e32 v20, 0x80000000, v19
	ds_write_b32 v15, v20
.LBB114_392:
	s_or_b64 exec, exec, s[14:15]
	s_waitcnt lgkmcnt(0)
	s_barrier
	s_and_saveexec_b64 s[14:15], s[62:63]
	s_cbranch_execz .LBB114_394
; %bb.393:
	v_lshlrev_b32_e32 v20, 2, v13
	ds_read_b32 v20, v20 offset:9856
	ds_read_b32 v21, v15
	s_waitcnt lgkmcnt(0)
	v_fma_f32 v19, -v20, v21, v19
.LBB114_394:
	s_or_b64 exec, exec, s[14:15]
	s_barrier
	;; [unrolled: 24-line block ×6, first 2 shown]
	s_and_saveexec_b64 s[14:15], s[82:83]
	s_cbranch_execz .LBB114_412
; %bb.411:
	v_mov_b32_e32 v20, 0
	ds_read_b32 v20, v20 offset:8580
	s_waitcnt lgkmcnt(0)
	v_mul_f32_e32 v19, v19, v20
	v_xor_b32_e32 v20, 0x80000000, v19
	ds_write_b32 v15, v20
.LBB114_412:
	s_or_b64 exec, exec, s[14:15]
	s_waitcnt lgkmcnt(0)
	s_barrier
	s_and_saveexec_b64 s[14:15], s[66:67]
	s_cbranch_execz .LBB114_414
; %bb.413:
	v_mov_b32_e32 v20, 0
	ds_read_b32 v20, v20 offset:8576
	ds_read_b32 v21, v15
	s_waitcnt lgkmcnt(0)
	v_fma_f32 v19, -v20, v21, v19
.LBB114_414:
	s_or_b64 exec, exec, s[14:15]
	s_barrier
	s_and_saveexec_b64 s[14:15], s[66:67]
	s_cbranch_execz .LBB114_416
; %bb.415:
	v_mov_b32_e32 v20, 0
	ds_read_b32 v20, v20 offset:8320
	s_waitcnt lgkmcnt(0)
	v_mul_f32_e32 v19, v19, v20
	v_xor_b32_e32 v20, 0x80000000, v19
	ds_write_b32 v15, v20
.LBB114_416:
	s_or_b64 exec, exec, s[14:15]
	s_waitcnt lgkmcnt(0)
	s_barrier
	s_barrier
	s_and_saveexec_b64 s[14:15], s[8:9]
; %bb.417:
	v_lshlrev_b32_e32 v20, 2, v13
	v_lshl_or_b32 v20, v14, 8, v20
	ds_write_b32 v20, v19 offset:10368
; %bb.418:
	s_or_b64 exec, exec, s[14:15]
	s_waitcnt lgkmcnt(0)
	s_barrier
	s_barrier
	s_and_saveexec_b64 s[14:15], s[84:85]
	s_cbranch_execz .LBB114_420
; %bb.419:
	v_lshlrev_b32_e32 v19, 8, v0
	ds_read_b32 v20, v19 offset:10368
	s_movk_i32 s16, 0xff04
	v_mad_i32_i24 v21, v0, s16, v19
	s_waitcnt lgkmcnt(0)
	ds_write_b32 v21, v20 offset:8352
	ds_read_b32 v20, v19 offset:10372
	s_waitcnt lgkmcnt(0)
	ds_write_b32 v21, v20 offset:8608
	ds_read_b32 v20, v19 offset:10376
	s_waitcnt lgkmcnt(0)
	ds_write_b32 v21, v20 offset:8864
	ds_read_b32 v20, v19 offset:10380
	s_waitcnt lgkmcnt(0)
	ds_write_b32 v21, v20 offset:9120
	ds_read_b32 v20, v19 offset:10384
	s_waitcnt lgkmcnt(0)
	ds_write_b32 v21, v20 offset:9376
	ds_read_b32 v20, v19 offset:10388
	s_waitcnt lgkmcnt(0)
	ds_write_b32 v21, v20 offset:9632
	ds_read_b32 v20, v19 offset:10392
	s_waitcnt lgkmcnt(0)
	ds_write_b32 v21, v20 offset:9888
	ds_read_b32 v19, v19 offset:10396
	s_waitcnt lgkmcnt(0)
	ds_write_b32 v21, v19 offset:10144
.LBB114_420:
	s_or_b64 exec, exec, s[14:15]
	s_waitcnt lgkmcnt(0)
	s_barrier
	s_and_saveexec_b64 s[14:15], vcc
	s_cbranch_execz .LBB114_422
; %bb.421:
	v_mov_b32_e32 v21, 0
	ds_read_b64 v[19:20], v21 offset:10136
	ds_read_b32 v21, v21 offset:9880
	s_movk_i32 s16, 0x2400
	s_waitcnt lgkmcnt(0)
	v_mul_f32_e32 v20, v21, v20
	v_mul_f32_e32 v19, v19, v20
	v_add_u32_e64 v20, s16, 0
	ds_write2_b32 v20, v19, v19 offset0:167 offset1:230
.LBB114_422:
	s_or_b64 exec, exec, s[14:15]
	v_mov_b32_e32 v19, 0
	s_waitcnt lgkmcnt(0)
	s_barrier
	buffer_wbinvl1_vol
	s_and_saveexec_b64 s[16:17], s[2:3]
	s_cbranch_execz .LBB114_426
; %bb.423:
	v_lshlrev_b32_e32 v19, 8, v3
	v_lshlrev_b32_e32 v20, 2, v1
	ds_read_b32 v21, v20 offset:9872
	ds_read_b32 v19, v19 offset:9880
	v_mov_b32_e32 v20, 0
	v_cmp_gt_u32_e64 s[14:15], 2, v5
	s_waitcnt lgkmcnt(0)
	v_fma_f32 v19, v21, v19, 0
	s_and_saveexec_b64 s[20:21], s[14:15]
	s_cbranch_execz .LBB114_425
; %bb.424:
	v_lshlrev_b32_e32 v21, 2, v0
	ds_read_b32 v21, v21 offset:10128
	ds_read_b32 v20, v20 offset:10140
	s_waitcnt lgkmcnt(0)
	v_fmac_f32_e32 v19, v21, v20
.LBB114_425:
	s_or_b64 exec, exec, s[20:21]
.LBB114_426:
	s_or_b64 exec, exec, s[16:17]
	s_and_saveexec_b64 s[14:15], s[38:39]
	s_cbranch_execz .LBB114_428
; %bb.427:
	v_mov_b32_e32 v20, 0
	ds_read_b32 v20, v20 offset:9620
	s_waitcnt lgkmcnt(0)
	v_mul_f32_e32 v19, v19, v20
	v_xor_b32_e32 v20, 0x80000000, v19
	ds_write_b32 v4, v20
.LBB114_428:
	s_or_b64 exec, exec, s[14:15]
	s_waitcnt lgkmcnt(0)
	s_barrier
	s_and_saveexec_b64 s[14:15], s[36:37]
	s_cbranch_execz .LBB114_430
; %bb.429:
	v_mov_b32_e32 v20, 0
	ds_read_b32 v20, v20 offset:9616
	ds_read_b32 v21, v4
	s_waitcnt lgkmcnt(0)
	v_fma_f32 v19, -v20, v21, v19
.LBB114_430:
	s_or_b64 exec, exec, s[14:15]
	s_barrier
	s_and_saveexec_b64 s[14:15], s[36:37]
	s_cbranch_execz .LBB114_432
; %bb.431:
	v_mov_b32_e32 v20, 0
	ds_read_b32 v20, v20 offset:9360
	s_waitcnt lgkmcnt(0)
	v_mul_f32_e32 v19, v19, v20
	v_xor_b32_e32 v20, 0x80000000, v19
	ds_write_b32 v4, v20
.LBB114_432:
	s_or_b64 exec, exec, s[14:15]
	s_waitcnt lgkmcnt(0)
	s_barrier
	s_barrier
	s_and_saveexec_b64 s[14:15], s[2:3]
; %bb.433:
	v_lshlrev_b32_e32 v20, 2, v1
	v_lshl_or_b32 v20, v3, 8, v20
	ds_write_b32 v20, v19 offset:9872
; %bb.434:
	s_or_b64 exec, exec, s[14:15]
	s_waitcnt lgkmcnt(0)
	s_barrier
	s_barrier
	s_and_saveexec_b64 s[14:15], s[40:41]
	s_cbranch_execz .LBB114_436
; %bb.435:
	v_lshlrev_b32_e32 v19, 2, v0
	s_movk_i32 s16, 0xfc
	v_mad_u32_u24 v20, v0, s16, v19
	ds_read_b32 v21, v20 offset:9872
	s_waitcnt lgkmcnt(0)
	ds_write_b32 v19, v21 offset:9368
	ds_read_b32 v20, v20 offset:9876
	s_waitcnt lgkmcnt(0)
	ds_write_b32 v19, v20 offset:9624
.LBB114_436:
	s_or_b64 exec, exec, s[14:15]
	s_waitcnt lgkmcnt(0)
	s_barrier
	s_and_saveexec_b64 s[14:15], vcc
	s_cbranch_execz .LBB114_438
; %bb.437:
	v_mov_b32_e32 v21, 0
	ds_read_b64 v[19:20], v21 offset:9616
	ds_read_b32 v21, v21 offset:9360
	s_movk_i32 s16, 0x2400
	s_waitcnt lgkmcnt(0)
	v_mul_f32_e32 v20, v21, v20
	v_mul_f32_e32 v19, v19, v20
	v_add_u32_e64 v20, s16, 0
	ds_write2_b32 v20, v19, v19 offset0:37 offset1:100
.LBB114_438:
	s_or_b64 exec, exec, s[14:15]
	v_mov_b32_e32 v19, 0
	s_waitcnt lgkmcnt(0)
	s_barrier
	buffer_wbinvl1_vol
	s_and_saveexec_b64 s[16:17], s[18:19]
	s_cbranch_execz .LBB114_444
; %bb.439:
	v_lshlrev_b32_e32 v21, 2, v6
	v_lshlrev_b32_e32 v20, 8, v11
	ds_read_b32 v19, v21 offset:9344
	ds_read_b32 v22, v20 offset:9360
	v_cmp_gt_u32_e64 s[14:15], 12, v5
	s_waitcnt lgkmcnt(0)
	v_fma_f32 v19, v19, v22, 0
	s_and_saveexec_b64 s[20:21], s[14:15]
	s_cbranch_execnz .LBB114_1228
; %bb.440:
	s_or_b64 exec, exec, s[20:21]
	v_cmp_gt_u32_e64 s[14:15], 8, v5
	s_and_saveexec_b64 s[20:21], s[14:15]
	s_cbranch_execnz .LBB114_1229
.LBB114_441:
	s_or_b64 exec, exec, s[20:21]
	v_cmp_gt_u32_e64 s[14:15], 4, v5
	s_and_saveexec_b64 s[20:21], s[14:15]
	s_cbranch_execz .LBB114_443
.LBB114_442:
	v_lshlrev_b32_e32 v20, 2, v0
	v_mov_b32_e32 v21, 0
	ds_read_b32 v20, v20 offset:10112
	ds_read_b32 v21, v21 offset:10140
	s_waitcnt lgkmcnt(0)
	v_fmac_f32_e32 v19, v20, v21
.LBB114_443:
	s_or_b64 exec, exec, s[20:21]
.LBB114_444:
	s_or_b64 exec, exec, s[16:17]
	s_and_saveexec_b64 s[14:15], s[44:45]
	s_cbranch_execz .LBB114_446
; %bb.445:
	v_mov_b32_e32 v20, 0
	ds_read_b32 v20, v20 offset:9100
	s_waitcnt lgkmcnt(0)
	v_mul_f32_e32 v19, v19, v20
	v_xor_b32_e32 v20, 0x80000000, v19
	ds_write_b32 v12, v20
.LBB114_446:
	s_or_b64 exec, exec, s[14:15]
	s_waitcnt lgkmcnt(0)
	s_barrier
	s_and_saveexec_b64 s[14:15], s[46:47]
	s_cbranch_execz .LBB114_448
; %bb.447:
	v_lshlrev_b32_e32 v20, 2, v6
	ds_read_b32 v20, v20 offset:9088
	ds_read_b32 v21, v12
	s_waitcnt lgkmcnt(0)
	v_fma_f32 v19, -v20, v21, v19
.LBB114_448:
	s_or_b64 exec, exec, s[14:15]
	s_barrier
	s_and_saveexec_b64 s[14:15], s[48:49]
	s_cbranch_execz .LBB114_450
; %bb.449:
	v_mov_b32_e32 v20, 0
	ds_read_b32 v20, v20 offset:8840
	s_waitcnt lgkmcnt(0)
	v_mul_f32_e32 v19, v19, v20
	v_xor_b32_e32 v20, 0x80000000, v19
	ds_write_b32 v12, v20
.LBB114_450:
	s_or_b64 exec, exec, s[14:15]
	s_waitcnt lgkmcnt(0)
	s_barrier
	s_and_saveexec_b64 s[14:15], s[50:51]
	s_cbranch_execz .LBB114_452
; %bb.451:
	v_lshlrev_b32_e32 v20, 2, v6
	ds_read_b32 v20, v20 offset:8832
	ds_read_b32 v21, v12
	s_waitcnt lgkmcnt(0)
	v_fma_f32 v19, -v20, v21, v19
.LBB114_452:
	s_or_b64 exec, exec, s[14:15]
	s_barrier
	s_and_saveexec_b64 s[14:15], s[52:53]
	s_cbranch_execz .LBB114_454
; %bb.453:
	v_mov_b32_e32 v20, 0
	ds_read_b32 v20, v20 offset:8580
	s_waitcnt lgkmcnt(0)
	v_mul_f32_e32 v19, v19, v20
	v_xor_b32_e32 v20, 0x80000000, v19
	ds_write_b32 v12, v20
.LBB114_454:
	s_or_b64 exec, exec, s[14:15]
	s_waitcnt lgkmcnt(0)
	s_barrier
	s_and_saveexec_b64 s[14:15], s[42:43]
	s_cbranch_execz .LBB114_456
; %bb.455:
	v_mov_b32_e32 v20, 0
	ds_read_b32 v20, v20 offset:8576
	ds_read_b32 v21, v12
	s_waitcnt lgkmcnt(0)
	v_fma_f32 v19, -v20, v21, v19
.LBB114_456:
	s_or_b64 exec, exec, s[14:15]
	s_barrier
	s_and_saveexec_b64 s[14:15], s[42:43]
	s_cbranch_execz .LBB114_458
; %bb.457:
	v_mov_b32_e32 v20, 0
	ds_read_b32 v20, v20 offset:8320
	s_waitcnt lgkmcnt(0)
	v_mul_f32_e32 v19, v19, v20
	v_xor_b32_e32 v20, 0x80000000, v19
	ds_write_b32 v12, v20
.LBB114_458:
	s_or_b64 exec, exec, s[14:15]
	s_waitcnt lgkmcnt(0)
	s_barrier
	s_barrier
	s_and_saveexec_b64 s[14:15], s[18:19]
; %bb.459:
	v_lshlrev_b32_e32 v20, 2, v6
	v_lshl_or_b32 v20, v11, 8, v20
	ds_write_b32 v20, v19 offset:9344
; %bb.460:
	s_or_b64 exec, exec, s[14:15]
	s_waitcnt lgkmcnt(0)
	s_barrier
	s_barrier
	s_and_saveexec_b64 s[14:15], s[54:55]
	s_cbranch_execz .LBB114_462
; %bb.461:
	v_lshlrev_b32_e32 v19, 8, v0
	ds_read_b32 v20, v19 offset:9344
	s_movk_i32 s16, 0xff04
	v_mad_i32_i24 v21, v0, s16, v19
	s_waitcnt lgkmcnt(0)
	ds_write_b32 v21, v20 offset:8336
	ds_read_b32 v20, v19 offset:9348
	s_waitcnt lgkmcnt(0)
	ds_write_b32 v21, v20 offset:8592
	ds_read_b32 v20, v19 offset:9352
	;; [unrolled: 3-line block ×3, first 2 shown]
	s_waitcnt lgkmcnt(0)
	ds_write_b32 v21, v19 offset:9104
.LBB114_462:
	s_or_b64 exec, exec, s[14:15]
	s_waitcnt lgkmcnt(0)
	s_barrier
	s_and_saveexec_b64 s[14:15], vcc
	s_cbranch_execz .LBB114_464
; %bb.463:
	v_mov_b32_e32 v21, 0
	ds_read_b64 v[19:20], v21 offset:9096
	ds_read_b32 v21, v21 offset:8840
	s_movk_i32 s16, 0x2000
	s_waitcnt lgkmcnt(0)
	v_mul_f32_e32 v20, v21, v20
	v_mul_f32_e32 v19, v19, v20
	v_add_u32_e64 v20, s16, 0
	ds_write2_b32 v20, v19, v19 offset0:163 offset1:226
.LBB114_464:
	s_or_b64 exec, exec, s[14:15]
	v_mov_b32_e32 v19, 0
	s_waitcnt lgkmcnt(0)
	s_barrier
	buffer_wbinvl1_vol
	s_and_saveexec_b64 s[16:17], s[2:3]
	s_cbranch_execz .LBB114_468
; %bb.465:
	v_lshlrev_b32_e32 v19, 8, v3
	v_lshlrev_b32_e32 v20, 2, v1
	ds_read_b32 v21, v20 offset:8832
	ds_read_b32 v19, v19 offset:8840
	v_mov_b32_e32 v20, 0
	v_cmp_gt_u32_e64 s[14:15], 2, v5
	s_waitcnt lgkmcnt(0)
	v_fma_f32 v19, v21, v19, 0
	s_and_saveexec_b64 s[20:21], s[14:15]
	s_cbranch_execz .LBB114_467
; %bb.466:
	v_lshlrev_b32_e32 v21, 2, v0
	ds_read_b32 v21, v21 offset:9088
	ds_read_b32 v20, v20 offset:9100
	s_waitcnt lgkmcnt(0)
	v_fmac_f32_e32 v19, v21, v20
.LBB114_467:
	s_or_b64 exec, exec, s[20:21]
.LBB114_468:
	s_or_b64 exec, exec, s[16:17]
	s_and_saveexec_b64 s[14:15], s[38:39]
	s_cbranch_execz .LBB114_470
; %bb.469:
	v_mov_b32_e32 v20, 0
	ds_read_b32 v20, v20 offset:8580
	s_waitcnt lgkmcnt(0)
	v_mul_f32_e32 v19, v19, v20
	v_xor_b32_e32 v20, 0x80000000, v19
	ds_write_b32 v4, v20
.LBB114_470:
	s_or_b64 exec, exec, s[14:15]
	s_waitcnt lgkmcnt(0)
	s_barrier
	s_and_saveexec_b64 s[14:15], s[36:37]
	s_cbranch_execz .LBB114_472
; %bb.471:
	v_mov_b32_e32 v20, 0
	ds_read_b32 v20, v20 offset:8576
	ds_read_b32 v21, v4
	s_waitcnt lgkmcnt(0)
	v_fma_f32 v19, -v20, v21, v19
.LBB114_472:
	s_or_b64 exec, exec, s[14:15]
	s_barrier
	s_and_saveexec_b64 s[14:15], s[36:37]
	s_cbranch_execz .LBB114_474
; %bb.473:
	v_mov_b32_e32 v20, 0
	ds_read_b32 v20, v20 offset:8320
	s_waitcnt lgkmcnt(0)
	v_mul_f32_e32 v19, v19, v20
	v_xor_b32_e32 v20, 0x80000000, v19
	ds_write_b32 v4, v20
.LBB114_474:
	s_or_b64 exec, exec, s[14:15]
	s_waitcnt lgkmcnt(0)
	s_barrier
	s_barrier
	s_and_saveexec_b64 s[14:15], s[2:3]
; %bb.475:
	v_lshlrev_b32_e32 v20, 2, v1
	v_lshl_or_b32 v20, v3, 8, v20
	ds_write_b32 v20, v19 offset:8832
; %bb.476:
	s_or_b64 exec, exec, s[14:15]
	s_waitcnt lgkmcnt(0)
	s_barrier
	s_barrier
	s_and_saveexec_b64 s[14:15], s[40:41]
	s_cbranch_execz .LBB114_478
; %bb.477:
	v_lshlrev_b32_e32 v19, 2, v0
	s_movk_i32 s16, 0xfc
	v_mad_u32_u24 v20, v0, s16, v19
	ds_read_b32 v21, v20 offset:8832
	s_waitcnt lgkmcnt(0)
	ds_write_b32 v19, v21 offset:8328
	ds_read_b32 v20, v20 offset:8836
	s_waitcnt lgkmcnt(0)
	ds_write_b32 v19, v20 offset:8584
.LBB114_478:
	s_or_b64 exec, exec, s[14:15]
	s_waitcnt lgkmcnt(0)
	s_barrier
	s_and_saveexec_b64 s[14:15], vcc
	s_cbranch_execz .LBB114_480
; %bb.479:
	v_mov_b32_e32 v21, 0
	ds_read_b64 v[19:20], v21 offset:8576
	ds_read_b32 v21, v21 offset:8320
	s_movk_i32 s16, 0x2000
	s_waitcnt lgkmcnt(0)
	v_mul_f32_e32 v20, v21, v20
	v_mul_f32_e32 v19, v19, v20
	v_add_u32_e64 v20, s16, 0
	ds_write2_b32 v20, v19, v19 offset0:33 offset1:96
.LBB114_480:
	s_or_b64 exec, exec, s[14:15]
	s_movk_i32 s14, 0x3ff
	v_lshrrev_b32_e32 v22, 5, v5
	v_cmp_lt_u32_e64 s[16:17], s14, v5
	s_movk_i32 s14, 0x400
	v_and_b32_e32 v19, 31, v0
	v_sub_u32_e32 v20, 31, v22
	v_cmp_gt_u32_e64 s[14:15], s14, v5
	v_mov_b32_e32 v21, 0
	s_waitcnt lgkmcnt(0)
	s_barrier
	buffer_wbinvl1_vol
	s_and_saveexec_b64 s[94:95], s[14:15]
	s_cbranch_execz .LBB114_542
; %bb.481:
	v_lshlrev_b32_e32 v24, 2, v19
	v_lshlrev_b32_e32 v23, 8, v20
	ds_read_b32 v21, v24 offset:8192
	ds_read_b32 v25, v23 offset:8320
	s_movk_i32 s20, 0x3e0
	v_cmp_gt_u32_e64 s[20:21], s20, v5
	s_waitcnt lgkmcnt(0)
	v_fma_f32 v21, v21, v25, 0
	s_and_saveexec_b64 s[22:23], s[20:21]
	s_cbranch_execz .LBB114_483
; %bb.482:
	ds_read_b32 v25, v24 offset:8448
	ds_read_b32 v26, v23 offset:8324
	s_waitcnt lgkmcnt(0)
	v_fmac_f32_e32 v21, v25, v26
.LBB114_483:
	s_or_b64 exec, exec, s[22:23]
	s_movk_i32 s20, 0x3c0
	v_cmp_gt_u32_e64 s[20:21], s20, v5
	s_and_saveexec_b64 s[22:23], s[20:21]
	s_cbranch_execz .LBB114_485
; %bb.484:
	ds_read_b32 v25, v24 offset:8704
	ds_read_b32 v26, v23 offset:8328
	s_waitcnt lgkmcnt(0)
	v_fmac_f32_e32 v21, v25, v26
.LBB114_485:
	s_or_b64 exec, exec, s[22:23]
	s_movk_i32 s20, 0x3a0
	v_cmp_gt_u32_e64 s[20:21], s20, v5
	;; [unrolled: 11-line block ×22, first 2 shown]
	s_and_saveexec_b64 s[22:23], s[20:21]
	s_cbranch_execz .LBB114_527
; %bb.526:
	ds_read_b32 v25, v24 offset:14080
	ds_read_b32 v26, v23 offset:8412
	s_waitcnt lgkmcnt(0)
	v_fmac_f32_e32 v21, v25, v26
.LBB114_527:
	s_or_b64 exec, exec, s[22:23]
	s_and_saveexec_b64 s[20:21], s[10:11]
	s_cbranch_execz .LBB114_529
; %bb.528:
	ds_read_b32 v25, v24 offset:14336
	ds_read_b32 v26, v23 offset:8416
	s_waitcnt lgkmcnt(0)
	v_fmac_f32_e32 v21, v25, v26
.LBB114_529:
	s_or_b64 exec, exec, s[20:21]
	s_movk_i32 s20, 0xe0
	v_cmp_gt_u32_e64 s[20:21], s20, v5
	s_and_saveexec_b64 s[22:23], s[20:21]
	s_cbranch_execz .LBB114_531
; %bb.530:
	ds_read_b32 v25, v24 offset:14592
	ds_read_b32 v26, v23 offset:8420
	s_waitcnt lgkmcnt(0)
	v_fmac_f32_e32 v21, v25, v26
.LBB114_531:
	s_or_b64 exec, exec, s[22:23]
	s_movk_i32 s20, 0xc0
	v_cmp_gt_u32_e64 s[20:21], s20, v5
	;; [unrolled: 11-line block ×5, first 2 shown]
	s_and_saveexec_b64 s[22:23], s[20:21]
	s_cbranch_execnz .LBB114_1230
; %bb.538:
	s_or_b64 exec, exec, s[22:23]
	s_and_saveexec_b64 s[20:21], s[8:9]
	s_cbranch_execnz .LBB114_1231
.LBB114_539:
	s_or_b64 exec, exec, s[20:21]
	v_cmp_gt_u32_e64 s[20:21], 32, v5
	s_and_saveexec_b64 s[22:23], s[20:21]
	s_cbranch_execz .LBB114_541
.LBB114_540:
	v_lshlrev_b32_e32 v23, 2, v0
	v_mov_b32_e32 v24, 0
	ds_read_b32 v23, v23 offset:16128
	ds_read_b32 v24, v24 offset:16380
	s_waitcnt lgkmcnt(0)
	v_fmac_f32_e32 v21, v23, v24
.LBB114_541:
	s_or_b64 exec, exec, s[22:23]
.LBB114_542:
	s_or_b64 exec, exec, s[94:95]
	v_mov_b32_e32 v23, 0x4000
	v_cmp_eq_u32_e64 s[20:21], 31, v19
	s_xor_b64 s[94:95], s[16:17], -1
	v_lshl_add_u32 v22, v22, 2, v23
	s_and_b64 s[20:21], s[20:21], s[94:95]
	s_and_saveexec_b64 s[16:17], s[20:21]
	s_cbranch_execz .LBB114_544
; %bb.543:
	v_mov_b32_e32 v23, 0
	ds_read_b32 v23, v23 offset:8060
	s_waitcnt lgkmcnt(0)
	v_mul_f32_e32 v21, v21, v23
	v_xor_b32_e32 v23, 0x80000000, v21
	ds_write_b32 v22, v23
.LBB114_544:
	s_or_b64 exec, exec, s[16:17]
	v_cmp_ne_u32_e64 s[16:17], 31, v19
	s_and_b64 s[20:21], s[16:17], s[94:95]
	s_waitcnt lgkmcnt(0)
	s_barrier
	s_and_saveexec_b64 s[16:17], s[20:21]
	s_cbranch_execz .LBB114_546
; %bb.545:
	v_lshlrev_b32_e32 v23, 2, v19
	ds_read_b32 v23, v23 offset:7936
	ds_read_b32 v24, v22
	s_waitcnt lgkmcnt(0)
	v_fma_f32 v21, -v23, v24, v21
.LBB114_546:
	s_or_b64 exec, exec, s[16:17]
	v_cmp_eq_u32_e64 s[16:17], 30, v19
	s_and_b64 s[20:21], s[16:17], s[94:95]
	s_barrier
	s_and_saveexec_b64 s[16:17], s[20:21]
	s_cbranch_execz .LBB114_548
; %bb.547:
	v_mov_b32_e32 v23, 0
	ds_read_b32 v23, v23 offset:7800
	s_waitcnt lgkmcnt(0)
	v_mul_f32_e32 v21, v21, v23
	v_xor_b32_e32 v23, 0x80000000, v21
	ds_write_b32 v22, v23
.LBB114_548:
	s_or_b64 exec, exec, s[16:17]
	v_cmp_gt_u32_e64 s[16:17], 30, v19
	s_and_b64 s[20:21], s[16:17], s[94:95]
	s_waitcnt lgkmcnt(0)
	s_barrier
	s_and_saveexec_b64 s[16:17], s[20:21]
	s_cbranch_execz .LBB114_550
; %bb.549:
	v_lshlrev_b32_e32 v23, 2, v19
	ds_read_b32 v23, v23 offset:7680
	ds_read_b32 v24, v22
	s_waitcnt lgkmcnt(0)
	v_fma_f32 v21, -v23, v24, v21
.LBB114_550:
	s_or_b64 exec, exec, s[16:17]
	v_cmp_eq_u32_e64 s[16:17], 29, v19
	s_and_b64 s[20:21], s[16:17], s[94:95]
	s_barrier
	s_and_saveexec_b64 s[16:17], s[20:21]
	s_cbranch_execz .LBB114_552
; %bb.551:
	v_mov_b32_e32 v23, 0
	ds_read_b32 v23, v23 offset:7540
	s_waitcnt lgkmcnt(0)
	v_mul_f32_e32 v21, v21, v23
	v_xor_b32_e32 v23, 0x80000000, v21
	ds_write_b32 v22, v23
.LBB114_552:
	s_or_b64 exec, exec, s[16:17]
	v_cmp_gt_u32_e64 s[16:17], 29, v19
	;; [unrolled: 28-line block ×29, first 2 shown]
	s_and_b64 s[20:21], s[16:17], s[94:95]
	s_waitcnt lgkmcnt(0)
	s_barrier
	s_and_saveexec_b64 s[16:17], s[20:21]
	s_cbranch_execz .LBB114_662
; %bb.661:
	v_lshlrev_b32_e32 v23, 2, v19
	ds_read_b32 v23, v23 offset:512
	ds_read_b32 v24, v22
	s_waitcnt lgkmcnt(0)
	v_fma_f32 v21, -v23, v24, v21
.LBB114_662:
	s_or_b64 exec, exec, s[16:17]
	v_cmp_eq_u32_e64 s[16:17], 1, v19
	s_and_b64 s[20:21], s[16:17], s[94:95]
	s_barrier
	s_and_saveexec_b64 s[16:17], s[20:21]
	s_cbranch_execz .LBB114_664
; %bb.663:
	v_mov_b32_e32 v23, 0
	ds_read_b32 v23, v23 offset:260
	s_waitcnt lgkmcnt(0)
	v_mul_f32_e32 v21, v21, v23
	v_xor_b32_e32 v23, 0x80000000, v21
	ds_write_b32 v22, v23
.LBB114_664:
	s_or_b64 exec, exec, s[16:17]
	v_cmp_eq_u32_e64 s[16:17], 0, v19
	s_and_b64 s[16:17], s[16:17], s[94:95]
	s_waitcnt lgkmcnt(0)
	s_barrier
	s_and_saveexec_b64 s[20:21], s[16:17]
	s_cbranch_execz .LBB114_666
; %bb.665:
	v_mov_b32_e32 v23, 0
	ds_read_b32 v23, v23 offset:256
	ds_read_b32 v24, v22
	s_waitcnt lgkmcnt(0)
	v_fma_f32 v21, -v23, v24, v21
.LBB114_666:
	s_or_b64 exec, exec, s[20:21]
	s_barrier
	s_and_saveexec_b64 s[20:21], s[16:17]
	s_cbranch_execz .LBB114_668
; %bb.667:
	v_mov_b32_e32 v23, 0
	ds_read_b32 v23, v23
	s_waitcnt lgkmcnt(0)
	v_mul_f32_e32 v21, v21, v23
	v_xor_b32_e32 v23, 0x80000000, v21
	ds_write_b32 v22, v23
.LBB114_668:
	s_or_b64 exec, exec, s[20:21]
	s_waitcnt lgkmcnt(0)
	s_barrier
	s_barrier
	s_and_saveexec_b64 s[16:17], s[14:15]
; %bb.669:
	v_lshlrev_b32_e32 v19, 2, v19
	v_lshl_or_b32 v19, v20, 8, v19
	ds_write_b32 v19, v21 offset:8192
; %bb.670:
	s_or_b64 exec, exec, s[16:17]
	v_cmp_gt_u32_e64 s[14:15], 32, v0
	s_and_b64 s[14:15], s[12:13], s[14:15]
	s_waitcnt lgkmcnt(0)
	s_barrier
	s_barrier
	s_and_saveexec_b64 s[12:13], s[14:15]
	s_cbranch_execz .LBB114_672
; %bb.671:
	v_lshlrev_b32_e32 v19, 8, v0
	ds_read_b32 v20, v19 offset:8192
	s_movk_i32 s14, 0xff04
	v_mad_i32_i24 v21, v0, s14, v19
	s_waitcnt lgkmcnt(0)
	ds_write_b32 v21, v20 offset:128
	ds_read_b32 v20, v19 offset:8196
	s_waitcnt lgkmcnt(0)
	ds_write_b32 v21, v20 offset:384
	ds_read_b32 v20, v19 offset:8200
	;; [unrolled: 3-line block ×31, first 2 shown]
	s_waitcnt lgkmcnt(0)
	ds_write_b32 v21, v19 offset:8064
.LBB114_672:
	s_or_b64 exec, exec, s[12:13]
	s_waitcnt lgkmcnt(0)
	s_barrier
	s_and_saveexec_b64 s[12:13], vcc
	s_cbranch_execz .LBB114_674
; %bb.673:
	v_mov_b32_e32 v21, 0
	ds_read_b64 v[19:20], v21 offset:8056
	ds_read_b32 v21, v21 offset:7800
	s_movk_i32 s14, 0x1c00
	s_waitcnt lgkmcnt(0)
	v_mul_f32_e32 v20, v21, v20
	v_mul_f32_e32 v19, v19, v20
	v_add_u32_e64 v20, s14, 0
	ds_write2_b32 v20, v19, v19 offset0:159 offset1:222
.LBB114_674:
	s_or_b64 exec, exec, s[12:13]
	v_mov_b32_e32 v19, 0
	s_waitcnt lgkmcnt(0)
	s_barrier
	buffer_wbinvl1_vol
	s_and_saveexec_b64 s[14:15], s[2:3]
	s_cbranch_execz .LBB114_678
; %bb.675:
	v_lshlrev_b32_e32 v19, 8, v3
	v_lshlrev_b32_e32 v20, 2, v1
	ds_read_b32 v21, v20 offset:7792
	ds_read_b32 v19, v19 offset:7800
	v_mov_b32_e32 v20, 0
	v_cmp_gt_u32_e64 s[12:13], 2, v5
	s_waitcnt lgkmcnt(0)
	v_fma_f32 v19, v21, v19, 0
	s_and_saveexec_b64 s[16:17], s[12:13]
	s_cbranch_execz .LBB114_677
; %bb.676:
	v_lshlrev_b32_e32 v21, 2, v0
	ds_read_b32 v21, v21 offset:8048
	ds_read_b32 v20, v20 offset:8060
	s_waitcnt lgkmcnt(0)
	v_fmac_f32_e32 v19, v21, v20
.LBB114_677:
	s_or_b64 exec, exec, s[16:17]
.LBB114_678:
	s_or_b64 exec, exec, s[14:15]
	s_and_saveexec_b64 s[12:13], s[38:39]
	s_cbranch_execz .LBB114_680
; %bb.679:
	v_mov_b32_e32 v20, 0
	ds_read_b32 v20, v20 offset:7540
	s_waitcnt lgkmcnt(0)
	v_mul_f32_e32 v19, v19, v20
	v_xor_b32_e32 v20, 0x80000000, v19
	ds_write_b32 v4, v20
.LBB114_680:
	s_or_b64 exec, exec, s[12:13]
	s_waitcnt lgkmcnt(0)
	s_barrier
	s_and_saveexec_b64 s[12:13], s[36:37]
	s_cbranch_execz .LBB114_682
; %bb.681:
	v_mov_b32_e32 v20, 0
	ds_read_b32 v20, v20 offset:7536
	ds_read_b32 v21, v4
	s_waitcnt lgkmcnt(0)
	v_fma_f32 v19, -v20, v21, v19
.LBB114_682:
	s_or_b64 exec, exec, s[12:13]
	s_barrier
	s_and_saveexec_b64 s[12:13], s[36:37]
	s_cbranch_execz .LBB114_684
; %bb.683:
	v_mov_b32_e32 v20, 0
	ds_read_b32 v20, v20 offset:7280
	s_waitcnt lgkmcnt(0)
	v_mul_f32_e32 v19, v19, v20
	v_xor_b32_e32 v20, 0x80000000, v19
	ds_write_b32 v4, v20
.LBB114_684:
	s_or_b64 exec, exec, s[12:13]
	s_waitcnt lgkmcnt(0)
	s_barrier
	s_barrier
	s_and_saveexec_b64 s[12:13], s[2:3]
; %bb.685:
	v_lshlrev_b32_e32 v20, 2, v1
	v_lshl_or_b32 v20, v3, 8, v20
	ds_write_b32 v20, v19 offset:7792
; %bb.686:
	s_or_b64 exec, exec, s[12:13]
	s_waitcnt lgkmcnt(0)
	s_barrier
	s_barrier
	s_and_saveexec_b64 s[12:13], s[40:41]
	s_cbranch_execz .LBB114_688
; %bb.687:
	v_lshlrev_b32_e32 v19, 2, v0
	s_movk_i32 s14, 0xfc
	v_mad_u32_u24 v20, v0, s14, v19
	ds_read_b32 v21, v20 offset:7792
	s_waitcnt lgkmcnt(0)
	ds_write_b32 v19, v21 offset:7288
	ds_read_b32 v20, v20 offset:7796
	s_waitcnt lgkmcnt(0)
	ds_write_b32 v19, v20 offset:7544
.LBB114_688:
	s_or_b64 exec, exec, s[12:13]
	s_waitcnt lgkmcnt(0)
	s_barrier
	s_and_saveexec_b64 s[12:13], vcc
	s_cbranch_execz .LBB114_690
; %bb.689:
	v_mov_b32_e32 v21, 0
	ds_read_b64 v[19:20], v21 offset:7536
	ds_read_b32 v21, v21 offset:7280
	s_movk_i32 s14, 0x1c00
	s_waitcnt lgkmcnt(0)
	v_mul_f32_e32 v20, v21, v20
	v_mul_f32_e32 v19, v19, v20
	v_add_u32_e64 v20, s14, 0
	ds_write2_b32 v20, v19, v19 offset0:29 offset1:92
.LBB114_690:
	s_or_b64 exec, exec, s[12:13]
	v_mov_b32_e32 v19, 0
	s_waitcnt lgkmcnt(0)
	s_barrier
	buffer_wbinvl1_vol
	s_and_saveexec_b64 s[14:15], s[18:19]
	s_cbranch_execz .LBB114_696
; %bb.691:
	v_lshlrev_b32_e32 v21, 2, v6
	v_lshlrev_b32_e32 v20, 8, v11
	ds_read_b32 v19, v21 offset:7264
	ds_read_b32 v22, v20 offset:7280
	v_cmp_gt_u32_e64 s[12:13], 12, v5
	s_waitcnt lgkmcnt(0)
	v_fma_f32 v19, v19, v22, 0
	s_and_saveexec_b64 s[16:17], s[12:13]
	s_cbranch_execnz .LBB114_1232
; %bb.692:
	s_or_b64 exec, exec, s[16:17]
	v_cmp_gt_u32_e64 s[12:13], 8, v5
	s_and_saveexec_b64 s[16:17], s[12:13]
	s_cbranch_execnz .LBB114_1233
.LBB114_693:
	s_or_b64 exec, exec, s[16:17]
	v_cmp_gt_u32_e64 s[12:13], 4, v5
	s_and_saveexec_b64 s[16:17], s[12:13]
	s_cbranch_execz .LBB114_695
.LBB114_694:
	v_lshlrev_b32_e32 v20, 2, v0
	v_mov_b32_e32 v21, 0
	ds_read_b32 v20, v20 offset:8032
	ds_read_b32 v21, v21 offset:8060
	s_waitcnt lgkmcnt(0)
	v_fmac_f32_e32 v19, v20, v21
.LBB114_695:
	s_or_b64 exec, exec, s[16:17]
.LBB114_696:
	s_or_b64 exec, exec, s[14:15]
	s_and_saveexec_b64 s[12:13], s[44:45]
	s_cbranch_execz .LBB114_698
; %bb.697:
	v_mov_b32_e32 v20, 0
	ds_read_b32 v20, v20 offset:7020
	s_waitcnt lgkmcnt(0)
	v_mul_f32_e32 v19, v19, v20
	v_xor_b32_e32 v20, 0x80000000, v19
	ds_write_b32 v12, v20
.LBB114_698:
	s_or_b64 exec, exec, s[12:13]
	s_waitcnt lgkmcnt(0)
	s_barrier
	s_and_saveexec_b64 s[12:13], s[46:47]
	s_cbranch_execz .LBB114_700
; %bb.699:
	v_lshlrev_b32_e32 v20, 2, v6
	ds_read_b32 v20, v20 offset:7008
	ds_read_b32 v21, v12
	s_waitcnt lgkmcnt(0)
	v_fma_f32 v19, -v20, v21, v19
.LBB114_700:
	s_or_b64 exec, exec, s[12:13]
	s_barrier
	s_and_saveexec_b64 s[12:13], s[48:49]
	s_cbranch_execz .LBB114_702
; %bb.701:
	v_mov_b32_e32 v20, 0
	ds_read_b32 v20, v20 offset:6760
	s_waitcnt lgkmcnt(0)
	v_mul_f32_e32 v19, v19, v20
	v_xor_b32_e32 v20, 0x80000000, v19
	ds_write_b32 v12, v20
.LBB114_702:
	s_or_b64 exec, exec, s[12:13]
	s_waitcnt lgkmcnt(0)
	s_barrier
	s_and_saveexec_b64 s[12:13], s[50:51]
	s_cbranch_execz .LBB114_704
; %bb.703:
	v_lshlrev_b32_e32 v20, 2, v6
	ds_read_b32 v20, v20 offset:6752
	ds_read_b32 v21, v12
	s_waitcnt lgkmcnt(0)
	v_fma_f32 v19, -v20, v21, v19
.LBB114_704:
	s_or_b64 exec, exec, s[12:13]
	s_barrier
	s_and_saveexec_b64 s[12:13], s[52:53]
	s_cbranch_execz .LBB114_706
; %bb.705:
	v_mov_b32_e32 v20, 0
	ds_read_b32 v20, v20 offset:6500
	s_waitcnt lgkmcnt(0)
	v_mul_f32_e32 v19, v19, v20
	v_xor_b32_e32 v20, 0x80000000, v19
	ds_write_b32 v12, v20
.LBB114_706:
	s_or_b64 exec, exec, s[12:13]
	s_waitcnt lgkmcnt(0)
	s_barrier
	s_and_saveexec_b64 s[12:13], s[42:43]
	s_cbranch_execz .LBB114_708
; %bb.707:
	v_mov_b32_e32 v20, 0
	ds_read_b32 v20, v20 offset:6496
	ds_read_b32 v21, v12
	s_waitcnt lgkmcnt(0)
	v_fma_f32 v19, -v20, v21, v19
.LBB114_708:
	s_or_b64 exec, exec, s[12:13]
	s_barrier
	s_and_saveexec_b64 s[12:13], s[42:43]
	s_cbranch_execz .LBB114_710
; %bb.709:
	v_mov_b32_e32 v20, 0
	ds_read_b32 v20, v20 offset:6240
	s_waitcnt lgkmcnt(0)
	v_mul_f32_e32 v19, v19, v20
	v_xor_b32_e32 v20, 0x80000000, v19
	ds_write_b32 v12, v20
.LBB114_710:
	s_or_b64 exec, exec, s[12:13]
	s_waitcnt lgkmcnt(0)
	s_barrier
	s_barrier
	s_and_saveexec_b64 s[12:13], s[18:19]
; %bb.711:
	v_lshlrev_b32_e32 v20, 2, v6
	v_lshl_or_b32 v20, v11, 8, v20
	ds_write_b32 v20, v19 offset:7264
; %bb.712:
	s_or_b64 exec, exec, s[12:13]
	s_waitcnt lgkmcnt(0)
	s_barrier
	s_barrier
	s_and_saveexec_b64 s[12:13], s[54:55]
	s_cbranch_execz .LBB114_714
; %bb.713:
	v_lshlrev_b32_e32 v19, 8, v0
	ds_read_b32 v20, v19 offset:7264
	s_movk_i32 s14, 0xff04
	v_mad_i32_i24 v21, v0, s14, v19
	s_waitcnt lgkmcnt(0)
	ds_write_b32 v21, v20 offset:6256
	ds_read_b32 v20, v19 offset:7268
	s_waitcnt lgkmcnt(0)
	ds_write_b32 v21, v20 offset:6512
	ds_read_b32 v20, v19 offset:7272
	;; [unrolled: 3-line block ×3, first 2 shown]
	s_waitcnt lgkmcnt(0)
	ds_write_b32 v21, v19 offset:7024
.LBB114_714:
	s_or_b64 exec, exec, s[12:13]
	s_waitcnt lgkmcnt(0)
	s_barrier
	s_and_saveexec_b64 s[12:13], vcc
	s_cbranch_execz .LBB114_716
; %bb.715:
	v_mov_b32_e32 v21, 0
	ds_read_b64 v[19:20], v21 offset:7016
	ds_read_b32 v21, v21 offset:6760
	s_movk_i32 s14, 0x1800
	s_waitcnt lgkmcnt(0)
	v_mul_f32_e32 v20, v21, v20
	v_mul_f32_e32 v19, v19, v20
	v_add_u32_e64 v20, s14, 0
	ds_write2_b32 v20, v19, v19 offset0:155 offset1:218
.LBB114_716:
	s_or_b64 exec, exec, s[12:13]
	v_mov_b32_e32 v19, 0
	s_waitcnt lgkmcnt(0)
	s_barrier
	buffer_wbinvl1_vol
	s_and_saveexec_b64 s[14:15], s[2:3]
	s_cbranch_execz .LBB114_720
; %bb.717:
	v_lshlrev_b32_e32 v19, 8, v3
	v_lshlrev_b32_e32 v20, 2, v1
	ds_read_b32 v21, v20 offset:6752
	ds_read_b32 v19, v19 offset:6760
	v_mov_b32_e32 v20, 0
	v_cmp_gt_u32_e64 s[12:13], 2, v5
	s_waitcnt lgkmcnt(0)
	v_fma_f32 v19, v21, v19, 0
	s_and_saveexec_b64 s[16:17], s[12:13]
	s_cbranch_execz .LBB114_719
; %bb.718:
	v_lshlrev_b32_e32 v21, 2, v0
	ds_read_b32 v21, v21 offset:7008
	ds_read_b32 v20, v20 offset:7020
	s_waitcnt lgkmcnt(0)
	v_fmac_f32_e32 v19, v21, v20
.LBB114_719:
	s_or_b64 exec, exec, s[16:17]
.LBB114_720:
	s_or_b64 exec, exec, s[14:15]
	s_and_saveexec_b64 s[12:13], s[38:39]
	s_cbranch_execz .LBB114_722
; %bb.721:
	v_mov_b32_e32 v20, 0
	ds_read_b32 v20, v20 offset:6500
	s_waitcnt lgkmcnt(0)
	v_mul_f32_e32 v19, v19, v20
	v_xor_b32_e32 v20, 0x80000000, v19
	ds_write_b32 v4, v20
.LBB114_722:
	s_or_b64 exec, exec, s[12:13]
	s_waitcnt lgkmcnt(0)
	s_barrier
	s_and_saveexec_b64 s[12:13], s[36:37]
	s_cbranch_execz .LBB114_724
; %bb.723:
	v_mov_b32_e32 v20, 0
	ds_read_b32 v20, v20 offset:6496
	ds_read_b32 v21, v4
	s_waitcnt lgkmcnt(0)
	v_fma_f32 v19, -v20, v21, v19
.LBB114_724:
	s_or_b64 exec, exec, s[12:13]
	s_barrier
	s_and_saveexec_b64 s[12:13], s[36:37]
	s_cbranch_execz .LBB114_726
; %bb.725:
	v_mov_b32_e32 v20, 0
	ds_read_b32 v20, v20 offset:6240
	s_waitcnt lgkmcnt(0)
	v_mul_f32_e32 v19, v19, v20
	v_xor_b32_e32 v20, 0x80000000, v19
	ds_write_b32 v4, v20
.LBB114_726:
	s_or_b64 exec, exec, s[12:13]
	s_waitcnt lgkmcnt(0)
	s_barrier
	s_barrier
	s_and_saveexec_b64 s[12:13], s[2:3]
; %bb.727:
	v_lshlrev_b32_e32 v20, 2, v1
	v_lshl_or_b32 v20, v3, 8, v20
	ds_write_b32 v20, v19 offset:6752
; %bb.728:
	s_or_b64 exec, exec, s[12:13]
	s_waitcnt lgkmcnt(0)
	s_barrier
	s_barrier
	s_and_saveexec_b64 s[12:13], s[40:41]
	s_cbranch_execz .LBB114_730
; %bb.729:
	v_lshlrev_b32_e32 v19, 2, v0
	s_movk_i32 s14, 0xfc
	v_mad_u32_u24 v20, v0, s14, v19
	ds_read_b32 v21, v20 offset:6752
	s_waitcnt lgkmcnt(0)
	ds_write_b32 v19, v21 offset:6248
	ds_read_b32 v20, v20 offset:6756
	s_waitcnt lgkmcnt(0)
	ds_write_b32 v19, v20 offset:6504
.LBB114_730:
	s_or_b64 exec, exec, s[12:13]
	s_waitcnt lgkmcnt(0)
	s_barrier
	s_and_saveexec_b64 s[12:13], vcc
	s_cbranch_execz .LBB114_732
; %bb.731:
	v_mov_b32_e32 v21, 0
	ds_read_b64 v[19:20], v21 offset:6496
	ds_read_b32 v21, v21 offset:6240
	s_movk_i32 s14, 0x1800
	s_waitcnt lgkmcnt(0)
	v_mul_f32_e32 v20, v21, v20
	v_mul_f32_e32 v19, v19, v20
	v_add_u32_e64 v20, s14, 0
	ds_write2_b32 v20, v19, v19 offset0:25 offset1:88
.LBB114_732:
	s_or_b64 exec, exec, s[12:13]
	v_mov_b32_e32 v19, 0
	s_waitcnt lgkmcnt(0)
	s_barrier
	buffer_wbinvl1_vol
	s_and_saveexec_b64 s[14:15], s[8:9]
	s_cbranch_execz .LBB114_742
; %bb.733:
	v_lshlrev_b32_e32 v21, 2, v13
	v_lshlrev_b32_e32 v20, 8, v14
	ds_read_b32 v19, v21 offset:6208
	ds_read_b32 v22, v20 offset:6240
	v_cmp_gt_u32_e64 s[12:13], 56, v5
	s_waitcnt lgkmcnt(0)
	v_fma_f32 v19, v19, v22, 0
	s_and_saveexec_b64 s[16:17], s[12:13]
	s_cbranch_execnz .LBB114_1234
; %bb.734:
	s_or_b64 exec, exec, s[16:17]
	v_cmp_gt_u32_e64 s[12:13], 48, v5
	s_and_saveexec_b64 s[16:17], s[12:13]
	s_cbranch_execnz .LBB114_1235
.LBB114_735:
	s_or_b64 exec, exec, s[16:17]
	v_cmp_gt_u32_e64 s[12:13], 40, v5
	s_and_saveexec_b64 s[16:17], s[12:13]
	s_cbranch_execnz .LBB114_1236
.LBB114_736:
	s_or_b64 exec, exec, s[16:17]
	v_cmp_gt_u32_e64 s[12:13], 32, v5
	s_and_saveexec_b64 s[16:17], s[12:13]
	s_cbranch_execnz .LBB114_1237
.LBB114_737:
	s_or_b64 exec, exec, s[16:17]
	v_cmp_gt_u32_e64 s[12:13], 24, v5
	s_and_saveexec_b64 s[16:17], s[12:13]
	s_cbranch_execnz .LBB114_1238
.LBB114_738:
	s_or_b64 exec, exec, s[16:17]
	s_and_saveexec_b64 s[12:13], s[18:19]
	s_cbranch_execnz .LBB114_1239
.LBB114_739:
	s_or_b64 exec, exec, s[12:13]
	v_cmp_gt_u32_e64 s[12:13], 8, v5
	s_and_saveexec_b64 s[16:17], s[12:13]
	s_cbranch_execz .LBB114_741
.LBB114_740:
	v_lshlrev_b32_e32 v20, 2, v0
	v_mov_b32_e32 v21, 0
	ds_read_b32 v20, v20 offset:8000
	ds_read_b32 v21, v21 offset:8060
	s_waitcnt lgkmcnt(0)
	v_fmac_f32_e32 v19, v20, v21
.LBB114_741:
	s_or_b64 exec, exec, s[16:17]
.LBB114_742:
	s_or_b64 exec, exec, s[14:15]
	s_and_saveexec_b64 s[12:13], s[56:57]
	s_cbranch_execz .LBB114_744
; %bb.743:
	v_mov_b32_e32 v20, 0
	ds_read_b32 v20, v20 offset:5980
	s_waitcnt lgkmcnt(0)
	v_mul_f32_e32 v19, v19, v20
	v_xor_b32_e32 v20, 0x80000000, v19
	ds_write_b32 v15, v20
.LBB114_744:
	s_or_b64 exec, exec, s[12:13]
	s_waitcnt lgkmcnt(0)
	s_barrier
	s_and_saveexec_b64 s[12:13], s[58:59]
	s_cbranch_execz .LBB114_746
; %bb.745:
	v_lshlrev_b32_e32 v20, 2, v13
	ds_read_b32 v20, v20 offset:5952
	ds_read_b32 v21, v15
	s_waitcnt lgkmcnt(0)
	v_fma_f32 v19, -v20, v21, v19
.LBB114_746:
	s_or_b64 exec, exec, s[12:13]
	s_barrier
	s_and_saveexec_b64 s[12:13], s[60:61]
	s_cbranch_execz .LBB114_748
; %bb.747:
	v_mov_b32_e32 v20, 0
	ds_read_b32 v20, v20 offset:5720
	s_waitcnt lgkmcnt(0)
	v_mul_f32_e32 v19, v19, v20
	v_xor_b32_e32 v20, 0x80000000, v19
	ds_write_b32 v15, v20
.LBB114_748:
	s_or_b64 exec, exec, s[12:13]
	s_waitcnt lgkmcnt(0)
	s_barrier
	s_and_saveexec_b64 s[12:13], s[62:63]
	s_cbranch_execz .LBB114_750
; %bb.749:
	v_lshlrev_b32_e32 v20, 2, v13
	ds_read_b32 v20, v20 offset:5696
	ds_read_b32 v21, v15
	s_waitcnt lgkmcnt(0)
	v_fma_f32 v19, -v20, v21, v19
.LBB114_750:
	s_or_b64 exec, exec, s[12:13]
	s_barrier
	;; [unrolled: 24-line block ×6, first 2 shown]
	s_and_saveexec_b64 s[12:13], s[82:83]
	s_cbranch_execz .LBB114_768
; %bb.767:
	v_mov_b32_e32 v20, 0
	ds_read_b32 v20, v20 offset:4420
	s_waitcnt lgkmcnt(0)
	v_mul_f32_e32 v19, v19, v20
	v_xor_b32_e32 v20, 0x80000000, v19
	ds_write_b32 v15, v20
.LBB114_768:
	s_or_b64 exec, exec, s[12:13]
	s_waitcnt lgkmcnt(0)
	s_barrier
	s_and_saveexec_b64 s[12:13], s[66:67]
	s_cbranch_execz .LBB114_770
; %bb.769:
	v_mov_b32_e32 v20, 0
	ds_read_b32 v20, v20 offset:4416
	ds_read_b32 v21, v15
	s_waitcnt lgkmcnt(0)
	v_fma_f32 v19, -v20, v21, v19
.LBB114_770:
	s_or_b64 exec, exec, s[12:13]
	s_barrier
	s_and_saveexec_b64 s[12:13], s[66:67]
	s_cbranch_execz .LBB114_772
; %bb.771:
	v_mov_b32_e32 v20, 0
	ds_read_b32 v20, v20 offset:4160
	s_waitcnt lgkmcnt(0)
	v_mul_f32_e32 v19, v19, v20
	v_xor_b32_e32 v20, 0x80000000, v19
	ds_write_b32 v15, v20
.LBB114_772:
	s_or_b64 exec, exec, s[12:13]
	s_waitcnt lgkmcnt(0)
	s_barrier
	s_barrier
	s_and_saveexec_b64 s[12:13], s[8:9]
; %bb.773:
	v_lshlrev_b32_e32 v20, 2, v13
	v_lshl_or_b32 v20, v14, 8, v20
	ds_write_b32 v20, v19 offset:6208
; %bb.774:
	s_or_b64 exec, exec, s[12:13]
	s_waitcnt lgkmcnt(0)
	s_barrier
	s_barrier
	s_and_saveexec_b64 s[12:13], s[84:85]
	s_cbranch_execz .LBB114_776
; %bb.775:
	v_lshlrev_b32_e32 v19, 8, v0
	ds_read_b32 v20, v19 offset:6208
	s_movk_i32 s14, 0xff04
	v_mad_i32_i24 v21, v0, s14, v19
	s_waitcnt lgkmcnt(0)
	ds_write_b32 v21, v20 offset:4192
	ds_read_b32 v20, v19 offset:6212
	s_waitcnt lgkmcnt(0)
	ds_write_b32 v21, v20 offset:4448
	ds_read_b32 v20, v19 offset:6216
	;; [unrolled: 3-line block ×7, first 2 shown]
	s_waitcnt lgkmcnt(0)
	ds_write_b32 v21, v19 offset:5984
.LBB114_776:
	s_or_b64 exec, exec, s[12:13]
	s_waitcnt lgkmcnt(0)
	s_barrier
	s_and_saveexec_b64 s[12:13], vcc
	s_cbranch_execz .LBB114_778
; %bb.777:
	v_mov_b32_e32 v21, 0
	ds_read_b64 v[19:20], v21 offset:5976
	ds_read_b32 v21, v21 offset:5720
	s_movk_i32 s14, 0x1400
	s_waitcnt lgkmcnt(0)
	v_mul_f32_e32 v20, v21, v20
	v_mul_f32_e32 v19, v19, v20
	v_add_u32_e64 v20, s14, 0
	ds_write2_b32 v20, v19, v19 offset0:151 offset1:214
.LBB114_778:
	s_or_b64 exec, exec, s[12:13]
	v_mov_b32_e32 v19, 0
	s_waitcnt lgkmcnt(0)
	s_barrier
	buffer_wbinvl1_vol
	s_and_saveexec_b64 s[14:15], s[2:3]
	s_cbranch_execz .LBB114_782
; %bb.779:
	v_lshlrev_b32_e32 v19, 8, v3
	v_lshlrev_b32_e32 v20, 2, v1
	ds_read_b32 v21, v20 offset:5712
	ds_read_b32 v19, v19 offset:5720
	v_mov_b32_e32 v20, 0
	v_cmp_gt_u32_e64 s[12:13], 2, v5
	s_waitcnt lgkmcnt(0)
	v_fma_f32 v19, v21, v19, 0
	s_and_saveexec_b64 s[16:17], s[12:13]
	s_cbranch_execz .LBB114_781
; %bb.780:
	v_lshlrev_b32_e32 v21, 2, v0
	ds_read_b32 v21, v21 offset:5968
	ds_read_b32 v20, v20 offset:5980
	s_waitcnt lgkmcnt(0)
	v_fmac_f32_e32 v19, v21, v20
.LBB114_781:
	s_or_b64 exec, exec, s[16:17]
.LBB114_782:
	s_or_b64 exec, exec, s[14:15]
	s_and_saveexec_b64 s[12:13], s[38:39]
	s_cbranch_execz .LBB114_784
; %bb.783:
	v_mov_b32_e32 v20, 0
	ds_read_b32 v20, v20 offset:5460
	s_waitcnt lgkmcnt(0)
	v_mul_f32_e32 v19, v19, v20
	v_xor_b32_e32 v20, 0x80000000, v19
	ds_write_b32 v4, v20
.LBB114_784:
	s_or_b64 exec, exec, s[12:13]
	s_waitcnt lgkmcnt(0)
	s_barrier
	s_and_saveexec_b64 s[12:13], s[36:37]
	s_cbranch_execz .LBB114_786
; %bb.785:
	v_mov_b32_e32 v20, 0
	ds_read_b32 v20, v20 offset:5456
	ds_read_b32 v21, v4
	s_waitcnt lgkmcnt(0)
	v_fma_f32 v19, -v20, v21, v19
.LBB114_786:
	s_or_b64 exec, exec, s[12:13]
	s_barrier
	s_and_saveexec_b64 s[12:13], s[36:37]
	s_cbranch_execz .LBB114_788
; %bb.787:
	v_mov_b32_e32 v20, 0
	ds_read_b32 v20, v20 offset:5200
	s_waitcnt lgkmcnt(0)
	v_mul_f32_e32 v19, v19, v20
	v_xor_b32_e32 v20, 0x80000000, v19
	ds_write_b32 v4, v20
.LBB114_788:
	s_or_b64 exec, exec, s[12:13]
	s_waitcnt lgkmcnt(0)
	s_barrier
	s_barrier
	s_and_saveexec_b64 s[12:13], s[2:3]
; %bb.789:
	v_lshlrev_b32_e32 v20, 2, v1
	v_lshl_or_b32 v20, v3, 8, v20
	ds_write_b32 v20, v19 offset:5712
; %bb.790:
	s_or_b64 exec, exec, s[12:13]
	s_waitcnt lgkmcnt(0)
	s_barrier
	s_barrier
	s_and_saveexec_b64 s[12:13], s[40:41]
	s_cbranch_execz .LBB114_792
; %bb.791:
	v_lshlrev_b32_e32 v19, 2, v0
	s_movk_i32 s14, 0xfc
	v_mad_u32_u24 v20, v0, s14, v19
	ds_read_b32 v21, v20 offset:5712
	s_waitcnt lgkmcnt(0)
	ds_write_b32 v19, v21 offset:5208
	ds_read_b32 v20, v20 offset:5716
	s_waitcnt lgkmcnt(0)
	ds_write_b32 v19, v20 offset:5464
.LBB114_792:
	s_or_b64 exec, exec, s[12:13]
	s_waitcnt lgkmcnt(0)
	s_barrier
	s_and_saveexec_b64 s[12:13], vcc
	s_cbranch_execz .LBB114_794
; %bb.793:
	v_mov_b32_e32 v21, 0
	ds_read_b64 v[19:20], v21 offset:5456
	ds_read_b32 v21, v21 offset:5200
	s_movk_i32 s14, 0x1400
	s_waitcnt lgkmcnt(0)
	v_mul_f32_e32 v20, v21, v20
	v_mul_f32_e32 v19, v19, v20
	v_add_u32_e64 v20, s14, 0
	ds_write2_b32 v20, v19, v19 offset0:21 offset1:84
.LBB114_794:
	s_or_b64 exec, exec, s[12:13]
	v_mov_b32_e32 v19, 0
	s_waitcnt lgkmcnt(0)
	s_barrier
	buffer_wbinvl1_vol
	s_and_saveexec_b64 s[14:15], s[18:19]
	s_cbranch_execz .LBB114_800
; %bb.795:
	v_lshlrev_b32_e32 v21, 2, v6
	v_lshlrev_b32_e32 v20, 8, v11
	ds_read_b32 v19, v21 offset:5184
	ds_read_b32 v22, v20 offset:5200
	v_cmp_gt_u32_e64 s[12:13], 12, v5
	s_waitcnt lgkmcnt(0)
	v_fma_f32 v19, v19, v22, 0
	s_and_saveexec_b64 s[16:17], s[12:13]
	s_cbranch_execnz .LBB114_1240
; %bb.796:
	s_or_b64 exec, exec, s[16:17]
	v_cmp_gt_u32_e64 s[12:13], 8, v5
	s_and_saveexec_b64 s[16:17], s[12:13]
	s_cbranch_execnz .LBB114_1241
.LBB114_797:
	s_or_b64 exec, exec, s[16:17]
	v_cmp_gt_u32_e64 s[12:13], 4, v5
	s_and_saveexec_b64 s[16:17], s[12:13]
	s_cbranch_execz .LBB114_799
.LBB114_798:
	v_lshlrev_b32_e32 v20, 2, v0
	v_mov_b32_e32 v21, 0
	ds_read_b32 v20, v20 offset:5952
	ds_read_b32 v21, v21 offset:5980
	s_waitcnt lgkmcnt(0)
	v_fmac_f32_e32 v19, v20, v21
.LBB114_799:
	s_or_b64 exec, exec, s[16:17]
.LBB114_800:
	s_or_b64 exec, exec, s[14:15]
	s_and_saveexec_b64 s[12:13], s[44:45]
	s_cbranch_execz .LBB114_802
; %bb.801:
	v_mov_b32_e32 v20, 0
	ds_read_b32 v20, v20 offset:4940
	s_waitcnt lgkmcnt(0)
	v_mul_f32_e32 v19, v19, v20
	v_xor_b32_e32 v20, 0x80000000, v19
	ds_write_b32 v12, v20
.LBB114_802:
	s_or_b64 exec, exec, s[12:13]
	s_waitcnt lgkmcnt(0)
	s_barrier
	s_and_saveexec_b64 s[12:13], s[46:47]
	s_cbranch_execz .LBB114_804
; %bb.803:
	v_lshlrev_b32_e32 v20, 2, v6
	ds_read_b32 v20, v20 offset:4928
	ds_read_b32 v21, v12
	s_waitcnt lgkmcnt(0)
	v_fma_f32 v19, -v20, v21, v19
.LBB114_804:
	s_or_b64 exec, exec, s[12:13]
	s_barrier
	s_and_saveexec_b64 s[12:13], s[48:49]
	s_cbranch_execz .LBB114_806
; %bb.805:
	v_mov_b32_e32 v20, 0
	ds_read_b32 v20, v20 offset:4680
	s_waitcnt lgkmcnt(0)
	v_mul_f32_e32 v19, v19, v20
	v_xor_b32_e32 v20, 0x80000000, v19
	ds_write_b32 v12, v20
.LBB114_806:
	s_or_b64 exec, exec, s[12:13]
	s_waitcnt lgkmcnt(0)
	s_barrier
	s_and_saveexec_b64 s[12:13], s[50:51]
	s_cbranch_execz .LBB114_808
; %bb.807:
	v_lshlrev_b32_e32 v20, 2, v6
	ds_read_b32 v20, v20 offset:4672
	ds_read_b32 v21, v12
	s_waitcnt lgkmcnt(0)
	v_fma_f32 v19, -v20, v21, v19
.LBB114_808:
	s_or_b64 exec, exec, s[12:13]
	s_barrier
	s_and_saveexec_b64 s[12:13], s[52:53]
	s_cbranch_execz .LBB114_810
; %bb.809:
	v_mov_b32_e32 v20, 0
	ds_read_b32 v20, v20 offset:4420
	s_waitcnt lgkmcnt(0)
	v_mul_f32_e32 v19, v19, v20
	v_xor_b32_e32 v20, 0x80000000, v19
	ds_write_b32 v12, v20
.LBB114_810:
	s_or_b64 exec, exec, s[12:13]
	s_waitcnt lgkmcnt(0)
	s_barrier
	s_and_saveexec_b64 s[12:13], s[42:43]
	s_cbranch_execz .LBB114_812
; %bb.811:
	v_mov_b32_e32 v20, 0
	ds_read_b32 v20, v20 offset:4416
	ds_read_b32 v21, v12
	s_waitcnt lgkmcnt(0)
	v_fma_f32 v19, -v20, v21, v19
.LBB114_812:
	s_or_b64 exec, exec, s[12:13]
	s_barrier
	s_and_saveexec_b64 s[12:13], s[42:43]
	s_cbranch_execz .LBB114_814
; %bb.813:
	v_mov_b32_e32 v20, 0
	ds_read_b32 v20, v20 offset:4160
	s_waitcnt lgkmcnt(0)
	v_mul_f32_e32 v19, v19, v20
	v_xor_b32_e32 v20, 0x80000000, v19
	ds_write_b32 v12, v20
.LBB114_814:
	s_or_b64 exec, exec, s[12:13]
	s_waitcnt lgkmcnt(0)
	s_barrier
	s_barrier
	s_and_saveexec_b64 s[12:13], s[18:19]
; %bb.815:
	v_lshlrev_b32_e32 v20, 2, v6
	v_lshl_or_b32 v20, v11, 8, v20
	ds_write_b32 v20, v19 offset:5184
; %bb.816:
	s_or_b64 exec, exec, s[12:13]
	s_waitcnt lgkmcnt(0)
	s_barrier
	s_barrier
	s_and_saveexec_b64 s[12:13], s[54:55]
	s_cbranch_execz .LBB114_818
; %bb.817:
	v_lshlrev_b32_e32 v19, 8, v0
	ds_read_b32 v20, v19 offset:5184
	s_movk_i32 s14, 0xff04
	v_mad_i32_i24 v21, v0, s14, v19
	s_waitcnt lgkmcnt(0)
	ds_write_b32 v21, v20 offset:4176
	ds_read_b32 v20, v19 offset:5188
	s_waitcnt lgkmcnt(0)
	ds_write_b32 v21, v20 offset:4432
	ds_read_b32 v20, v19 offset:5192
	;; [unrolled: 3-line block ×3, first 2 shown]
	s_waitcnt lgkmcnt(0)
	ds_write_b32 v21, v19 offset:4944
.LBB114_818:
	s_or_b64 exec, exec, s[12:13]
	s_waitcnt lgkmcnt(0)
	s_barrier
	s_and_saveexec_b64 s[12:13], vcc
	s_cbranch_execz .LBB114_820
; %bb.819:
	v_mov_b32_e32 v21, 0
	ds_read_b64 v[19:20], v21 offset:4936
	ds_read_b32 v21, v21 offset:4680
	s_movk_i32 s14, 0x1000
	s_waitcnt lgkmcnt(0)
	v_mul_f32_e32 v20, v21, v20
	v_mul_f32_e32 v19, v19, v20
	v_add_u32_e64 v20, s14, 0
	ds_write2_b32 v20, v19, v19 offset0:147 offset1:210
.LBB114_820:
	s_or_b64 exec, exec, s[12:13]
	v_mov_b32_e32 v19, 0
	s_waitcnt lgkmcnt(0)
	s_barrier
	buffer_wbinvl1_vol
	s_and_saveexec_b64 s[14:15], s[2:3]
	s_cbranch_execz .LBB114_824
; %bb.821:
	v_lshlrev_b32_e32 v19, 8, v3
	v_lshlrev_b32_e32 v20, 2, v1
	ds_read_b32 v21, v20 offset:4672
	ds_read_b32 v19, v19 offset:4680
	v_mov_b32_e32 v20, 0
	v_cmp_gt_u32_e64 s[12:13], 2, v5
	s_waitcnt lgkmcnt(0)
	v_fma_f32 v19, v21, v19, 0
	s_and_saveexec_b64 s[16:17], s[12:13]
	s_cbranch_execz .LBB114_823
; %bb.822:
	v_lshlrev_b32_e32 v21, 2, v0
	ds_read_b32 v21, v21 offset:4928
	ds_read_b32 v20, v20 offset:4940
	s_waitcnt lgkmcnt(0)
	v_fmac_f32_e32 v19, v21, v20
.LBB114_823:
	s_or_b64 exec, exec, s[16:17]
.LBB114_824:
	s_or_b64 exec, exec, s[14:15]
	s_and_saveexec_b64 s[12:13], s[38:39]
	s_cbranch_execz .LBB114_826
; %bb.825:
	v_mov_b32_e32 v20, 0
	ds_read_b32 v20, v20 offset:4420
	s_waitcnt lgkmcnt(0)
	v_mul_f32_e32 v19, v19, v20
	v_xor_b32_e32 v20, 0x80000000, v19
	ds_write_b32 v4, v20
.LBB114_826:
	s_or_b64 exec, exec, s[12:13]
	s_waitcnt lgkmcnt(0)
	s_barrier
	s_and_saveexec_b64 s[12:13], s[36:37]
	s_cbranch_execz .LBB114_828
; %bb.827:
	v_mov_b32_e32 v20, 0
	ds_read_b32 v20, v20 offset:4416
	ds_read_b32 v21, v4
	s_waitcnt lgkmcnt(0)
	v_fma_f32 v19, -v20, v21, v19
.LBB114_828:
	s_or_b64 exec, exec, s[12:13]
	s_barrier
	s_and_saveexec_b64 s[12:13], s[36:37]
	s_cbranch_execz .LBB114_830
; %bb.829:
	v_mov_b32_e32 v20, 0
	ds_read_b32 v20, v20 offset:4160
	s_waitcnt lgkmcnt(0)
	v_mul_f32_e32 v19, v19, v20
	v_xor_b32_e32 v20, 0x80000000, v19
	ds_write_b32 v4, v20
.LBB114_830:
	s_or_b64 exec, exec, s[12:13]
	s_waitcnt lgkmcnt(0)
	s_barrier
	s_barrier
	s_and_saveexec_b64 s[12:13], s[2:3]
; %bb.831:
	v_lshlrev_b32_e32 v20, 2, v1
	v_lshl_or_b32 v20, v3, 8, v20
	ds_write_b32 v20, v19 offset:4672
; %bb.832:
	s_or_b64 exec, exec, s[12:13]
	s_waitcnt lgkmcnt(0)
	s_barrier
	s_barrier
	s_and_saveexec_b64 s[12:13], s[40:41]
	s_cbranch_execz .LBB114_834
; %bb.833:
	v_lshlrev_b32_e32 v19, 2, v0
	s_movk_i32 s14, 0xfc
	v_mad_u32_u24 v20, v0, s14, v19
	ds_read_b32 v21, v20 offset:4672
	s_waitcnt lgkmcnt(0)
	ds_write_b32 v19, v21 offset:4168
	ds_read_b32 v20, v20 offset:4676
	s_waitcnt lgkmcnt(0)
	ds_write_b32 v19, v20 offset:4424
.LBB114_834:
	s_or_b64 exec, exec, s[12:13]
	s_waitcnt lgkmcnt(0)
	s_barrier
	s_and_saveexec_b64 s[12:13], vcc
	s_cbranch_execz .LBB114_836
; %bb.835:
	v_mov_b32_e32 v21, 0
	ds_read_b64 v[19:20], v21 offset:4416
	ds_read_b32 v21, v21 offset:4160
	s_movk_i32 s14, 0x1000
	s_waitcnt lgkmcnt(0)
	v_mul_f32_e32 v20, v21, v20
	v_mul_f32_e32 v19, v19, v20
	v_add_u32_e64 v20, s14, 0
	ds_write2_b32 v20, v19, v19 offset0:17 offset1:80
.LBB114_836:
	s_or_b64 exec, exec, s[12:13]
	v_mov_b32_e32 v19, 0
	s_waitcnt lgkmcnt(0)
	s_barrier
	buffer_wbinvl1_vol
	s_and_saveexec_b64 s[14:15], s[10:11]
	s_cbranch_execz .LBB114_864
; %bb.837:
	v_lshlrev_b32_e32 v21, 2, v16
	v_lshlrev_b32_e32 v20, 8, v17
	ds_read_b32 v19, v21 offset:4096
	ds_read_b32 v22, v20 offset:4160
	s_movk_i32 s12, 0xf0
	v_cmp_gt_u32_e64 s[12:13], s12, v5
	s_waitcnt lgkmcnt(0)
	v_fma_f32 v19, v19, v22, 0
	s_and_saveexec_b64 s[16:17], s[12:13]
	s_cbranch_execz .LBB114_839
; %bb.838:
	ds_read_b32 v22, v21 offset:4352
	ds_read_b32 v23, v20 offset:4164
	s_waitcnt lgkmcnt(0)
	v_fmac_f32_e32 v19, v22, v23
.LBB114_839:
	s_or_b64 exec, exec, s[16:17]
	s_movk_i32 s12, 0xe0
	v_cmp_gt_u32_e64 s[12:13], s12, v5
	s_and_saveexec_b64 s[16:17], s[12:13]
	s_cbranch_execz .LBB114_841
; %bb.840:
	ds_read_b32 v22, v21 offset:4608
	ds_read_b32 v23, v20 offset:4168
	s_waitcnt lgkmcnt(0)
	v_fmac_f32_e32 v19, v22, v23
.LBB114_841:
	s_or_b64 exec, exec, s[16:17]
	s_movk_i32 s12, 0xd0
	v_cmp_gt_u32_e64 s[12:13], s12, v5
	;; [unrolled: 11-line block ×10, first 2 shown]
	s_and_saveexec_b64 s[16:17], s[12:13]
	s_cbranch_execnz .LBB114_1242
; %bb.858:
	s_or_b64 exec, exec, s[16:17]
	s_and_saveexec_b64 s[12:13], s[8:9]
	s_cbranch_execnz .LBB114_1243
.LBB114_859:
	s_or_b64 exec, exec, s[12:13]
	v_cmp_gt_u32_e64 s[12:13], 48, v5
	s_and_saveexec_b64 s[16:17], s[12:13]
	s_cbranch_execnz .LBB114_1244
.LBB114_860:
	s_or_b64 exec, exec, s[16:17]
	v_cmp_gt_u32_e64 s[12:13], 32, v5
	s_and_saveexec_b64 s[16:17], s[12:13]
	s_cbranch_execnz .LBB114_1245
.LBB114_861:
	s_or_b64 exec, exec, s[16:17]
	v_cmp_gt_u32_e64 s[12:13], 16, v5
	s_and_saveexec_b64 s[16:17], s[12:13]
	s_cbranch_execz .LBB114_863
.LBB114_862:
	v_lshlrev_b32_e32 v20, 2, v0
	v_mov_b32_e32 v21, 0
	ds_read_b32 v20, v20 offset:7936
	ds_read_b32 v21, v21 offset:8060
	s_waitcnt lgkmcnt(0)
	v_fmac_f32_e32 v19, v20, v21
.LBB114_863:
	s_or_b64 exec, exec, s[16:17]
.LBB114_864:
	s_or_b64 exec, exec, s[14:15]
	s_mov_b64 s[12:13], exec
	v_readlane_b32 s14, v27, 3
	v_readlane_b32 s15, v27, 4
	s_and_b64 s[14:15], s[12:13], s[14:15]
	s_mov_b64 exec, s[14:15]
	s_cbranch_execz .LBB114_866
; %bb.865:
	v_mov_b32_e32 v20, 0
	ds_read_b32 v20, v20 offset:3900
	s_waitcnt lgkmcnt(0)
	v_mul_f32_e32 v19, v19, v20
	v_xor_b32_e32 v20, 0x80000000, v19
	ds_write_b32 v18, v20
.LBB114_866:
	s_or_b64 exec, exec, s[12:13]
	s_waitcnt lgkmcnt(0)
	s_barrier
	s_mov_b64 s[12:13], exec
	v_readlane_b32 s14, v27, 5
	v_readlane_b32 s15, v27, 6
	s_and_b64 s[14:15], s[12:13], s[14:15]
	s_mov_b64 exec, s[14:15]
	s_cbranch_execz .LBB114_868
; %bb.867:
	v_lshlrev_b32_e32 v20, 2, v16
	ds_read_b32 v20, v20 offset:3840
	ds_read_b32 v21, v18
	s_waitcnt lgkmcnt(0)
	v_fma_f32 v19, -v20, v21, v19
.LBB114_868:
	s_or_b64 exec, exec, s[12:13]
	s_barrier
	s_mov_b64 s[12:13], exec
	v_readlane_b32 s14, v27, 7
	v_readlane_b32 s15, v27, 8
	s_and_b64 s[14:15], s[12:13], s[14:15]
	s_mov_b64 exec, s[14:15]
	s_cbranch_execz .LBB114_870
; %bb.869:
	v_mov_b32_e32 v20, 0
	ds_read_b32 v20, v20 offset:3640
	s_waitcnt lgkmcnt(0)
	v_mul_f32_e32 v19, v19, v20
	v_xor_b32_e32 v20, 0x80000000, v19
	ds_write_b32 v18, v20
.LBB114_870:
	s_or_b64 exec, exec, s[12:13]
	s_waitcnt lgkmcnt(0)
	s_barrier
	s_mov_b64 s[12:13], exec
	v_readlane_b32 s14, v27, 9
	v_readlane_b32 s15, v27, 10
	s_and_b64 s[14:15], s[12:13], s[14:15]
	s_mov_b64 exec, s[14:15]
	s_cbranch_execz .LBB114_872
; %bb.871:
	v_lshlrev_b32_e32 v20, 2, v16
	ds_read_b32 v20, v20 offset:3584
	ds_read_b32 v21, v18
	s_waitcnt lgkmcnt(0)
	v_fma_f32 v19, -v20, v21, v19
.LBB114_872:
	s_or_b64 exec, exec, s[12:13]
	s_barrier
	;; [unrolled: 32-line block ×13, first 2 shown]
	s_and_saveexec_b64 s[12:13], s[0:1]
	s_cbranch_execz .LBB114_918
; %bb.917:
	v_mov_b32_e32 v20, 0
	ds_read_b32 v20, v20 offset:520
	s_waitcnt lgkmcnt(0)
	v_mul_f32_e32 v19, v19, v20
	v_xor_b32_e32 v20, 0x80000000, v19
	ds_write_b32 v18, v20
.LBB114_918:
	s_or_b64 exec, exec, s[12:13]
	s_waitcnt lgkmcnt(0)
	s_barrier
	s_mov_b64 s[0:1], exec
	v_readlane_b32 s12, v27, 55
	v_readlane_b32 s13, v27, 56
	s_and_b64 s[12:13], s[0:1], s[12:13]
	s_mov_b64 exec, s[12:13]
	s_cbranch_execz .LBB114_920
; %bb.919:
	v_lshlrev_b32_e32 v20, 2, v16
	ds_read_b32 v20, v20 offset:512
	ds_read_b32 v21, v18
	s_waitcnt lgkmcnt(0)
	v_fma_f32 v19, -v20, v21, v19
.LBB114_920:
	s_or_b64 exec, exec, s[0:1]
	s_barrier
	s_mov_b64 s[0:1], exec
	v_readlane_b32 s12, v27, 57
	v_readlane_b32 s13, v27, 58
	s_and_b64 s[12:13], s[0:1], s[12:13]
	s_mov_b64 exec, s[12:13]
	s_cbranch_execz .LBB114_922
; %bb.921:
	v_mov_b32_e32 v20, 0
	ds_read_b32 v20, v20 offset:260
	s_waitcnt lgkmcnt(0)
	v_mul_f32_e32 v19, v19, v20
	v_xor_b32_e32 v20, 0x80000000, v19
	ds_write_b32 v18, v20
.LBB114_922:
	s_or_b64 exec, exec, s[0:1]
	s_waitcnt lgkmcnt(0)
	s_barrier
	s_and_saveexec_b64 s[0:1], s[86:87]
	s_cbranch_execz .LBB114_924
; %bb.923:
	v_mov_b32_e32 v20, 0
	ds_read_b32 v20, v20 offset:256
	ds_read_b32 v21, v18
	s_waitcnt lgkmcnt(0)
	v_fma_f32 v19, -v20, v21, v19
.LBB114_924:
	s_or_b64 exec, exec, s[0:1]
	s_barrier
	s_and_saveexec_b64 s[0:1], s[86:87]
	s_cbranch_execz .LBB114_926
; %bb.925:
	v_mov_b32_e32 v20, 0
	ds_read_b32 v20, v20
	s_waitcnt lgkmcnt(0)
	v_mul_f32_e32 v19, v19, v20
	v_xor_b32_e32 v20, 0x80000000, v19
	ds_write_b32 v18, v20
.LBB114_926:
	s_or_b64 exec, exec, s[0:1]
	s_waitcnt lgkmcnt(0)
	s_barrier
	s_barrier
	s_and_saveexec_b64 s[0:1], s[10:11]
; %bb.927:
	v_lshlrev_b32_e32 v16, 2, v16
	v_lshl_or_b32 v16, v17, 8, v16
	ds_write_b32 v16, v19 offset:4096
; %bb.928:
	s_or_b64 exec, exec, s[0:1]
	s_waitcnt lgkmcnt(0)
	s_barrier
	s_barrier
	s_and_saveexec_b64 s[0:1], s[92:93]
	s_cbranch_execz .LBB114_930
; %bb.929:
	v_lshlrev_b32_e32 v16, 8, v0
	ds_read_b32 v17, v16 offset:4096
	s_movk_i32 s10, 0xff04
	v_mad_i32_i24 v18, v0, s10, v16
	s_waitcnt lgkmcnt(0)
	ds_write_b32 v18, v17 offset:64
	ds_read_b32 v17, v16 offset:4100
	s_waitcnt lgkmcnt(0)
	ds_write_b32 v18, v17 offset:320
	ds_read_b32 v17, v16 offset:4104
	;; [unrolled: 3-line block ×15, first 2 shown]
	s_waitcnt lgkmcnt(0)
	ds_write_b32 v18, v16 offset:3904
.LBB114_930:
	s_or_b64 exec, exec, s[0:1]
	s_waitcnt lgkmcnt(0)
	s_barrier
	s_and_saveexec_b64 s[0:1], vcc
	s_cbranch_execz .LBB114_932
; %bb.931:
	v_mov_b32_e32 v18, 0
	ds_read_b64 v[16:17], v18 offset:3896
	ds_read_b32 v18, v18 offset:3640
	s_movk_i32 s10, 0xc00
	s_waitcnt lgkmcnt(0)
	v_mul_f32_e32 v17, v18, v17
	v_mul_f32_e32 v16, v16, v17
	v_add_u32_e64 v17, s10, 0
	ds_write2_b32 v17, v16, v16 offset0:143 offset1:206
.LBB114_932:
	s_or_b64 exec, exec, s[0:1]
	v_mov_b32_e32 v16, 0
	s_waitcnt lgkmcnt(0)
	s_barrier
	buffer_wbinvl1_vol
	s_and_saveexec_b64 s[0:1], s[2:3]
	s_cbranch_execz .LBB114_936
; %bb.933:
	v_lshlrev_b32_e32 v16, 8, v3
	v_lshlrev_b32_e32 v17, 2, v1
	ds_read_b32 v18, v17 offset:3632
	ds_read_b32 v16, v16 offset:3640
	v_mov_b32_e32 v17, 0
	v_cmp_gt_u32_e64 s[10:11], 2, v5
	s_waitcnt lgkmcnt(0)
	v_fma_f32 v16, v18, v16, 0
	s_and_saveexec_b64 s[12:13], s[10:11]
	s_cbranch_execz .LBB114_935
; %bb.934:
	v_lshlrev_b32_e32 v18, 2, v0
	ds_read_b32 v18, v18 offset:3888
	ds_read_b32 v17, v17 offset:3900
	s_waitcnt lgkmcnt(0)
	v_fmac_f32_e32 v16, v18, v17
.LBB114_935:
	s_or_b64 exec, exec, s[12:13]
.LBB114_936:
	s_or_b64 exec, exec, s[0:1]
	s_and_saveexec_b64 s[0:1], s[38:39]
	s_cbranch_execz .LBB114_938
; %bb.937:
	v_mov_b32_e32 v17, 0
	ds_read_b32 v17, v17 offset:3380
	s_waitcnt lgkmcnt(0)
	v_mul_f32_e32 v16, v16, v17
	v_xor_b32_e32 v17, 0x80000000, v16
	ds_write_b32 v4, v17
.LBB114_938:
	s_or_b64 exec, exec, s[0:1]
	s_waitcnt lgkmcnt(0)
	s_barrier
	s_and_saveexec_b64 s[0:1], s[36:37]
	s_cbranch_execz .LBB114_940
; %bb.939:
	v_mov_b32_e32 v17, 0
	ds_read_b32 v17, v17 offset:3376
	ds_read_b32 v18, v4
	s_waitcnt lgkmcnt(0)
	v_fma_f32 v16, -v17, v18, v16
.LBB114_940:
	s_or_b64 exec, exec, s[0:1]
	s_barrier
	s_and_saveexec_b64 s[0:1], s[36:37]
	s_cbranch_execz .LBB114_942
; %bb.941:
	v_mov_b32_e32 v17, 0
	ds_read_b32 v17, v17 offset:3120
	s_waitcnt lgkmcnt(0)
	v_mul_f32_e32 v16, v16, v17
	v_xor_b32_e32 v17, 0x80000000, v16
	ds_write_b32 v4, v17
.LBB114_942:
	s_or_b64 exec, exec, s[0:1]
	s_waitcnt lgkmcnt(0)
	s_barrier
	s_barrier
	s_and_saveexec_b64 s[0:1], s[2:3]
; %bb.943:
	v_lshlrev_b32_e32 v17, 2, v1
	v_lshl_or_b32 v17, v3, 8, v17
	ds_write_b32 v17, v16 offset:3632
; %bb.944:
	s_or_b64 exec, exec, s[0:1]
	s_waitcnt lgkmcnt(0)
	s_barrier
	s_barrier
	s_and_saveexec_b64 s[0:1], s[40:41]
	s_cbranch_execz .LBB114_946
; %bb.945:
	v_lshlrev_b32_e32 v16, 2, v0
	s_movk_i32 s10, 0xfc
	v_mad_u32_u24 v17, v0, s10, v16
	ds_read_b32 v18, v17 offset:3632
	s_waitcnt lgkmcnt(0)
	ds_write_b32 v16, v18 offset:3128
	ds_read_b32 v17, v17 offset:3636
	s_waitcnt lgkmcnt(0)
	ds_write_b32 v16, v17 offset:3384
.LBB114_946:
	s_or_b64 exec, exec, s[0:1]
	s_waitcnt lgkmcnt(0)
	s_barrier
	s_and_saveexec_b64 s[0:1], vcc
	s_cbranch_execz .LBB114_948
; %bb.947:
	v_mov_b32_e32 v18, 0
	ds_read_b64 v[16:17], v18 offset:3376
	ds_read_b32 v18, v18 offset:3120
	s_movk_i32 s10, 0xc00
	s_waitcnt lgkmcnt(0)
	v_mul_f32_e32 v17, v18, v17
	v_mul_f32_e32 v16, v16, v17
	v_add_u32_e64 v17, s10, 0
	ds_write2_b32 v17, v16, v16 offset0:13 offset1:76
.LBB114_948:
	s_or_b64 exec, exec, s[0:1]
	v_mov_b32_e32 v16, 0
	s_waitcnt lgkmcnt(0)
	s_barrier
	buffer_wbinvl1_vol
	s_and_saveexec_b64 s[0:1], s[18:19]
	s_cbranch_execz .LBB114_954
; %bb.949:
	v_lshlrev_b32_e32 v18, 2, v6
	v_lshlrev_b32_e32 v17, 8, v11
	ds_read_b32 v16, v18 offset:3104
	ds_read_b32 v19, v17 offset:3120
	v_cmp_gt_u32_e64 s[10:11], 12, v5
	s_waitcnt lgkmcnt(0)
	v_fma_f32 v16, v16, v19, 0
	s_and_saveexec_b64 s[12:13], s[10:11]
	s_cbranch_execnz .LBB114_1246
; %bb.950:
	s_or_b64 exec, exec, s[12:13]
	v_cmp_gt_u32_e64 s[10:11], 8, v5
	s_and_saveexec_b64 s[12:13], s[10:11]
	s_cbranch_execnz .LBB114_1247
.LBB114_951:
	s_or_b64 exec, exec, s[12:13]
	v_cmp_gt_u32_e64 s[10:11], 4, v5
	s_and_saveexec_b64 s[12:13], s[10:11]
	s_cbranch_execz .LBB114_953
.LBB114_952:
	v_lshlrev_b32_e32 v17, 2, v0
	v_mov_b32_e32 v18, 0
	ds_read_b32 v17, v17 offset:3872
	ds_read_b32 v18, v18 offset:3900
	s_waitcnt lgkmcnt(0)
	v_fmac_f32_e32 v16, v17, v18
.LBB114_953:
	s_or_b64 exec, exec, s[12:13]
.LBB114_954:
	s_or_b64 exec, exec, s[0:1]
	s_and_saveexec_b64 s[0:1], s[44:45]
	s_cbranch_execz .LBB114_956
; %bb.955:
	v_mov_b32_e32 v17, 0
	ds_read_b32 v17, v17 offset:2860
	s_waitcnt lgkmcnt(0)
	v_mul_f32_e32 v16, v16, v17
	v_xor_b32_e32 v17, 0x80000000, v16
	ds_write_b32 v12, v17
.LBB114_956:
	s_or_b64 exec, exec, s[0:1]
	s_waitcnt lgkmcnt(0)
	s_barrier
	s_and_saveexec_b64 s[0:1], s[46:47]
	s_cbranch_execz .LBB114_958
; %bb.957:
	v_lshlrev_b32_e32 v17, 2, v6
	ds_read_b32 v17, v17 offset:2848
	ds_read_b32 v18, v12
	s_waitcnt lgkmcnt(0)
	v_fma_f32 v16, -v17, v18, v16
.LBB114_958:
	s_or_b64 exec, exec, s[0:1]
	s_barrier
	s_and_saveexec_b64 s[0:1], s[48:49]
	s_cbranch_execz .LBB114_960
; %bb.959:
	v_mov_b32_e32 v17, 0
	ds_read_b32 v17, v17 offset:2600
	s_waitcnt lgkmcnt(0)
	v_mul_f32_e32 v16, v16, v17
	v_xor_b32_e32 v17, 0x80000000, v16
	ds_write_b32 v12, v17
.LBB114_960:
	s_or_b64 exec, exec, s[0:1]
	s_waitcnt lgkmcnt(0)
	s_barrier
	s_and_saveexec_b64 s[0:1], s[50:51]
	s_cbranch_execz .LBB114_962
; %bb.961:
	v_lshlrev_b32_e32 v17, 2, v6
	ds_read_b32 v17, v17 offset:2592
	ds_read_b32 v18, v12
	s_waitcnt lgkmcnt(0)
	v_fma_f32 v16, -v17, v18, v16
.LBB114_962:
	s_or_b64 exec, exec, s[0:1]
	s_barrier
	s_and_saveexec_b64 s[0:1], s[52:53]
	s_cbranch_execz .LBB114_964
; %bb.963:
	v_mov_b32_e32 v17, 0
	ds_read_b32 v17, v17 offset:2340
	s_waitcnt lgkmcnt(0)
	v_mul_f32_e32 v16, v16, v17
	v_xor_b32_e32 v17, 0x80000000, v16
	ds_write_b32 v12, v17
.LBB114_964:
	s_or_b64 exec, exec, s[0:1]
	s_waitcnt lgkmcnt(0)
	s_barrier
	s_and_saveexec_b64 s[0:1], s[42:43]
	s_cbranch_execz .LBB114_966
; %bb.965:
	v_mov_b32_e32 v17, 0
	ds_read_b32 v17, v17 offset:2336
	ds_read_b32 v18, v12
	s_waitcnt lgkmcnt(0)
	v_fma_f32 v16, -v17, v18, v16
.LBB114_966:
	s_or_b64 exec, exec, s[0:1]
	s_barrier
	s_and_saveexec_b64 s[0:1], s[42:43]
	s_cbranch_execz .LBB114_968
; %bb.967:
	v_mov_b32_e32 v17, 0
	ds_read_b32 v17, v17 offset:2080
	s_waitcnt lgkmcnt(0)
	v_mul_f32_e32 v16, v16, v17
	v_xor_b32_e32 v17, 0x80000000, v16
	ds_write_b32 v12, v17
.LBB114_968:
	s_or_b64 exec, exec, s[0:1]
	s_waitcnt lgkmcnt(0)
	s_barrier
	s_barrier
	s_and_saveexec_b64 s[0:1], s[18:19]
; %bb.969:
	v_lshlrev_b32_e32 v17, 2, v6
	v_lshl_or_b32 v17, v11, 8, v17
	ds_write_b32 v17, v16 offset:3104
; %bb.970:
	s_or_b64 exec, exec, s[0:1]
	s_waitcnt lgkmcnt(0)
	s_barrier
	s_barrier
	s_and_saveexec_b64 s[0:1], s[54:55]
	s_cbranch_execz .LBB114_972
; %bb.971:
	v_lshlrev_b32_e32 v16, 8, v0
	ds_read_b32 v17, v16 offset:3104
	s_movk_i32 s10, 0xff04
	v_mad_i32_i24 v18, v0, s10, v16
	s_waitcnt lgkmcnt(0)
	ds_write_b32 v18, v17 offset:2096
	ds_read_b32 v17, v16 offset:3108
	s_waitcnt lgkmcnt(0)
	ds_write_b32 v18, v17 offset:2352
	ds_read_b32 v17, v16 offset:3112
	s_waitcnt lgkmcnt(0)
	ds_write_b32 v18, v17 offset:2608
	ds_read_b32 v16, v16 offset:3116
	s_waitcnt lgkmcnt(0)
	ds_write_b32 v18, v16 offset:2864
.LBB114_972:
	s_or_b64 exec, exec, s[0:1]
	s_waitcnt lgkmcnt(0)
	s_barrier
	s_and_saveexec_b64 s[0:1], vcc
	s_cbranch_execz .LBB114_974
; %bb.973:
	v_mov_b32_e32 v18, 0
	ds_read_b64 v[16:17], v18 offset:2856
	ds_read_b32 v18, v18 offset:2600
	s_movk_i32 s10, 0x800
	s_waitcnt lgkmcnt(0)
	v_mul_f32_e32 v17, v18, v17
	v_mul_f32_e32 v16, v16, v17
	v_add_u32_e64 v17, s10, 0
	ds_write2_b32 v17, v16, v16 offset0:139 offset1:202
.LBB114_974:
	s_or_b64 exec, exec, s[0:1]
	v_mov_b32_e32 v16, 0
	s_waitcnt lgkmcnt(0)
	s_barrier
	buffer_wbinvl1_vol
	s_and_saveexec_b64 s[0:1], s[2:3]
	s_cbranch_execz .LBB114_978
; %bb.975:
	v_lshlrev_b32_e32 v16, 8, v3
	v_lshlrev_b32_e32 v17, 2, v1
	ds_read_b32 v18, v17 offset:2592
	ds_read_b32 v16, v16 offset:2600
	v_mov_b32_e32 v17, 0
	v_cmp_gt_u32_e64 s[10:11], 2, v5
	s_waitcnt lgkmcnt(0)
	v_fma_f32 v16, v18, v16, 0
	s_and_saveexec_b64 s[12:13], s[10:11]
	s_cbranch_execz .LBB114_977
; %bb.976:
	v_lshlrev_b32_e32 v18, 2, v0
	ds_read_b32 v18, v18 offset:2848
	ds_read_b32 v17, v17 offset:2860
	s_waitcnt lgkmcnt(0)
	v_fmac_f32_e32 v16, v18, v17
.LBB114_977:
	s_or_b64 exec, exec, s[12:13]
.LBB114_978:
	s_or_b64 exec, exec, s[0:1]
	s_and_saveexec_b64 s[0:1], s[38:39]
	s_cbranch_execz .LBB114_980
; %bb.979:
	v_mov_b32_e32 v17, 0
	ds_read_b32 v17, v17 offset:2340
	s_waitcnt lgkmcnt(0)
	v_mul_f32_e32 v16, v16, v17
	v_xor_b32_e32 v17, 0x80000000, v16
	ds_write_b32 v4, v17
.LBB114_980:
	s_or_b64 exec, exec, s[0:1]
	s_waitcnt lgkmcnt(0)
	s_barrier
	s_and_saveexec_b64 s[0:1], s[36:37]
	s_cbranch_execz .LBB114_982
; %bb.981:
	v_mov_b32_e32 v17, 0
	ds_read_b32 v17, v17 offset:2336
	ds_read_b32 v18, v4
	s_waitcnt lgkmcnt(0)
	v_fma_f32 v16, -v17, v18, v16
.LBB114_982:
	s_or_b64 exec, exec, s[0:1]
	s_barrier
	s_and_saveexec_b64 s[0:1], s[36:37]
	s_cbranch_execz .LBB114_984
; %bb.983:
	v_mov_b32_e32 v17, 0
	ds_read_b32 v17, v17 offset:2080
	s_waitcnt lgkmcnt(0)
	v_mul_f32_e32 v16, v16, v17
	v_xor_b32_e32 v17, 0x80000000, v16
	ds_write_b32 v4, v17
.LBB114_984:
	s_or_b64 exec, exec, s[0:1]
	s_waitcnt lgkmcnt(0)
	s_barrier
	s_barrier
	s_and_saveexec_b64 s[0:1], s[2:3]
; %bb.985:
	v_lshlrev_b32_e32 v17, 2, v1
	v_lshl_or_b32 v17, v3, 8, v17
	ds_write_b32 v17, v16 offset:2592
; %bb.986:
	s_or_b64 exec, exec, s[0:1]
	s_waitcnt lgkmcnt(0)
	s_barrier
	s_barrier
	s_and_saveexec_b64 s[0:1], s[40:41]
	s_cbranch_execz .LBB114_988
; %bb.987:
	v_lshlrev_b32_e32 v16, 2, v0
	s_movk_i32 s10, 0xfc
	v_mad_u32_u24 v17, v0, s10, v16
	ds_read_b32 v18, v17 offset:2592
	s_waitcnt lgkmcnt(0)
	ds_write_b32 v16, v18 offset:2088
	ds_read_b32 v17, v17 offset:2596
	s_waitcnt lgkmcnt(0)
	ds_write_b32 v16, v17 offset:2344
.LBB114_988:
	s_or_b64 exec, exec, s[0:1]
	s_waitcnt lgkmcnt(0)
	s_barrier
	s_and_saveexec_b64 s[0:1], vcc
	s_cbranch_execz .LBB114_990
; %bb.989:
	v_mov_b32_e32 v18, 0
	ds_read_b64 v[16:17], v18 offset:2336
	ds_read_b32 v18, v18 offset:2080
	s_movk_i32 s10, 0x800
	s_waitcnt lgkmcnt(0)
	v_mul_f32_e32 v17, v18, v17
	v_mul_f32_e32 v16, v16, v17
	v_add_u32_e64 v17, s10, 0
	ds_write2_b32 v17, v16, v16 offset0:9 offset1:72
.LBB114_990:
	s_or_b64 exec, exec, s[0:1]
	v_mov_b32_e32 v16, 0
	s_waitcnt lgkmcnt(0)
	s_barrier
	buffer_wbinvl1_vol
	s_and_saveexec_b64 s[0:1], s[8:9]
	s_cbranch_execz .LBB114_1000
; %bb.991:
	v_lshlrev_b32_e32 v18, 2, v13
	v_lshlrev_b32_e32 v17, 8, v14
	ds_read_b32 v16, v18 offset:2048
	ds_read_b32 v19, v17 offset:2080
	v_cmp_gt_u32_e64 s[10:11], 56, v5
	s_waitcnt lgkmcnt(0)
	v_fma_f32 v16, v16, v19, 0
	s_and_saveexec_b64 s[12:13], s[10:11]
	s_cbranch_execnz .LBB114_1248
; %bb.992:
	s_or_b64 exec, exec, s[12:13]
	v_cmp_gt_u32_e64 s[10:11], 48, v5
	s_and_saveexec_b64 s[12:13], s[10:11]
	s_cbranch_execnz .LBB114_1249
.LBB114_993:
	s_or_b64 exec, exec, s[12:13]
	v_cmp_gt_u32_e64 s[10:11], 40, v5
	s_and_saveexec_b64 s[12:13], s[10:11]
	s_cbranch_execnz .LBB114_1250
.LBB114_994:
	s_or_b64 exec, exec, s[12:13]
	v_cmp_gt_u32_e64 s[10:11], 32, v5
	s_and_saveexec_b64 s[12:13], s[10:11]
	s_cbranch_execnz .LBB114_1251
.LBB114_995:
	s_or_b64 exec, exec, s[12:13]
	v_cmp_gt_u32_e64 s[10:11], 24, v5
	s_and_saveexec_b64 s[12:13], s[10:11]
	s_cbranch_execnz .LBB114_1252
.LBB114_996:
	s_or_b64 exec, exec, s[12:13]
	s_and_saveexec_b64 s[10:11], s[18:19]
	s_cbranch_execnz .LBB114_1253
.LBB114_997:
	s_or_b64 exec, exec, s[10:11]
	v_cmp_gt_u32_e64 s[10:11], 8, v5
	s_and_saveexec_b64 s[12:13], s[10:11]
	s_cbranch_execz .LBB114_999
.LBB114_998:
	v_lshlrev_b32_e32 v17, 2, v0
	v_mov_b32_e32 v18, 0
	ds_read_b32 v17, v17 offset:3840
	ds_read_b32 v18, v18 offset:3900
	s_waitcnt lgkmcnt(0)
	v_fmac_f32_e32 v16, v17, v18
.LBB114_999:
	s_or_b64 exec, exec, s[12:13]
.LBB114_1000:
	s_or_b64 exec, exec, s[0:1]
	s_and_saveexec_b64 s[0:1], s[56:57]
	s_cbranch_execz .LBB114_1002
; %bb.1001:
	v_mov_b32_e32 v17, 0
	ds_read_b32 v17, v17 offset:1820
	s_waitcnt lgkmcnt(0)
	v_mul_f32_e32 v16, v16, v17
	v_xor_b32_e32 v17, 0x80000000, v16
	ds_write_b32 v15, v17
.LBB114_1002:
	s_or_b64 exec, exec, s[0:1]
	s_waitcnt lgkmcnt(0)
	s_barrier
	s_and_saveexec_b64 s[0:1], s[58:59]
	v_readlane_b32 s56, v27, 1
	v_readlane_b32 s57, v27, 2
	s_cbranch_execz .LBB114_1004
; %bb.1003:
	v_lshlrev_b32_e32 v17, 2, v13
	ds_read_b32 v17, v17 offset:1792
	ds_read_b32 v18, v15
	s_waitcnt lgkmcnt(0)
	v_fma_f32 v16, -v17, v18, v16
.LBB114_1004:
	s_or_b64 exec, exec, s[0:1]
	s_barrier
	s_and_saveexec_b64 s[0:1], s[60:61]
	s_cbranch_execz .LBB114_1006
; %bb.1005:
	v_mov_b32_e32 v17, 0
	ds_read_b32 v17, v17 offset:1560
	s_waitcnt lgkmcnt(0)
	v_mul_f32_e32 v16, v16, v17
	v_xor_b32_e32 v17, 0x80000000, v16
	ds_write_b32 v15, v17
.LBB114_1006:
	s_or_b64 exec, exec, s[0:1]
	s_waitcnt lgkmcnt(0)
	s_barrier
	s_and_saveexec_b64 s[0:1], s[62:63]
	s_cbranch_execz .LBB114_1008
; %bb.1007:
	v_lshlrev_b32_e32 v17, 2, v13
	ds_read_b32 v17, v17 offset:1536
	ds_read_b32 v18, v15
	s_waitcnt lgkmcnt(0)
	v_fma_f32 v16, -v17, v18, v16
.LBB114_1008:
	s_or_b64 exec, exec, s[0:1]
	s_barrier
	s_and_saveexec_b64 s[0:1], s[64:65]
	s_cbranch_execz .LBB114_1010
; %bb.1009:
	v_mov_b32_e32 v17, 0
	ds_read_b32 v17, v17 offset:1300
	s_waitcnt lgkmcnt(0)
	v_mul_f32_e32 v16, v16, v17
	v_xor_b32_e32 v17, 0x80000000, v16
	ds_write_b32 v15, v17
.LBB114_1010:
	s_or_b64 exec, exec, s[0:1]
	s_waitcnt lgkmcnt(0)
	s_barrier
	s_and_saveexec_b64 s[0:1], s[68:69]
	;; [unrolled: 24-line block ×6, first 2 shown]
	s_cbranch_execz .LBB114_1028
; %bb.1027:
	v_mov_b32_e32 v17, 0
	ds_read_b32 v17, v17 offset:256
	ds_read_b32 v18, v15
	s_waitcnt lgkmcnt(0)
	v_fma_f32 v16, -v17, v18, v16
.LBB114_1028:
	s_or_b64 exec, exec, s[0:1]
	s_barrier
	s_and_saveexec_b64 s[0:1], s[66:67]
	s_cbranch_execz .LBB114_1030
; %bb.1029:
	v_mov_b32_e32 v17, 0
	ds_read_b32 v17, v17
	s_waitcnt lgkmcnt(0)
	v_mul_f32_e32 v16, v16, v17
	v_xor_b32_e32 v17, 0x80000000, v16
	ds_write_b32 v15, v17
.LBB114_1030:
	s_or_b64 exec, exec, s[0:1]
	s_waitcnt lgkmcnt(0)
	s_barrier
	s_barrier
	s_and_saveexec_b64 s[0:1], s[8:9]
; %bb.1031:
	v_lshlrev_b32_e32 v13, 2, v13
	v_lshl_or_b32 v13, v14, 8, v13
	ds_write_b32 v13, v16 offset:2048
; %bb.1032:
	s_or_b64 exec, exec, s[0:1]
	s_waitcnt lgkmcnt(0)
	s_barrier
	s_barrier
	s_and_saveexec_b64 s[0:1], s[84:85]
	s_cbranch_execz .LBB114_1034
; %bb.1033:
	v_lshlrev_b32_e32 v13, 8, v0
	ds_read_b32 v14, v13 offset:2048
	s_movk_i32 s8, 0xff04
	v_mad_i32_i24 v15, v0, s8, v13
	s_waitcnt lgkmcnt(0)
	ds_write_b32 v15, v14 offset:32
	ds_read_b32 v14, v13 offset:2052
	s_waitcnt lgkmcnt(0)
	ds_write_b32 v15, v14 offset:288
	ds_read_b32 v14, v13 offset:2056
	;; [unrolled: 3-line block ×7, first 2 shown]
	s_waitcnt lgkmcnt(0)
	ds_write_b32 v15, v13 offset:1824
.LBB114_1034:
	s_or_b64 exec, exec, s[0:1]
	s_waitcnt lgkmcnt(0)
	s_barrier
	s_and_saveexec_b64 s[0:1], vcc
	s_cbranch_execz .LBB114_1036
; %bb.1035:
	v_mov_b32_e32 v15, 0
	ds_read_b64 v[13:14], v15 offset:1816
	ds_read_b32 v15, v15 offset:1560
	s_movk_i32 s8, 0x400
	s_waitcnt lgkmcnt(0)
	v_mul_f32_e32 v14, v15, v14
	v_mul_f32_e32 v13, v13, v14
	v_add_u32_e64 v14, s8, 0
	ds_write2_b32 v14, v13, v13 offset0:135 offset1:198
.LBB114_1036:
	s_or_b64 exec, exec, s[0:1]
	v_mov_b32_e32 v13, 0
	s_waitcnt lgkmcnt(0)
	s_barrier
	buffer_wbinvl1_vol
	s_and_saveexec_b64 s[0:1], s[2:3]
	s_cbranch_execz .LBB114_1040
; %bb.1037:
	v_lshlrev_b32_e32 v13, 8, v3
	v_lshlrev_b32_e32 v14, 2, v1
	ds_read_b32 v15, v14 offset:1552
	ds_read_b32 v13, v13 offset:1560
	v_mov_b32_e32 v14, 0
	v_cmp_gt_u32_e64 s[8:9], 2, v5
	s_waitcnt lgkmcnt(0)
	v_fma_f32 v13, v15, v13, 0
	s_and_saveexec_b64 s[10:11], s[8:9]
	s_cbranch_execz .LBB114_1039
; %bb.1038:
	v_lshlrev_b32_e32 v15, 2, v0
	ds_read_b32 v15, v15 offset:1808
	ds_read_b32 v14, v14 offset:1820
	s_waitcnt lgkmcnt(0)
	v_fmac_f32_e32 v13, v15, v14
.LBB114_1039:
	s_or_b64 exec, exec, s[10:11]
.LBB114_1040:
	s_or_b64 exec, exec, s[0:1]
	s_and_saveexec_b64 s[0:1], s[38:39]
	s_cbranch_execz .LBB114_1042
; %bb.1041:
	v_mov_b32_e32 v14, 0
	ds_read_b32 v14, v14 offset:1300
	s_waitcnt lgkmcnt(0)
	v_mul_f32_e32 v13, v13, v14
	v_xor_b32_e32 v14, 0x80000000, v13
	ds_write_b32 v4, v14
.LBB114_1042:
	s_or_b64 exec, exec, s[0:1]
	s_waitcnt lgkmcnt(0)
	s_barrier
	s_and_saveexec_b64 s[0:1], s[36:37]
	s_cbranch_execz .LBB114_1044
; %bb.1043:
	v_mov_b32_e32 v14, 0
	ds_read_b32 v14, v14 offset:1296
	ds_read_b32 v15, v4
	s_waitcnt lgkmcnt(0)
	v_fma_f32 v13, -v14, v15, v13
.LBB114_1044:
	s_or_b64 exec, exec, s[0:1]
	s_barrier
	s_and_saveexec_b64 s[0:1], s[36:37]
	s_cbranch_execz .LBB114_1046
; %bb.1045:
	v_mov_b32_e32 v14, 0
	ds_read_b32 v14, v14 offset:1040
	s_waitcnt lgkmcnt(0)
	v_mul_f32_e32 v13, v13, v14
	v_xor_b32_e32 v14, 0x80000000, v13
	ds_write_b32 v4, v14
.LBB114_1046:
	s_or_b64 exec, exec, s[0:1]
	s_waitcnt lgkmcnt(0)
	s_barrier
	s_barrier
	s_and_saveexec_b64 s[0:1], s[2:3]
; %bb.1047:
	v_lshlrev_b32_e32 v14, 2, v1
	v_lshl_or_b32 v14, v3, 8, v14
	ds_write_b32 v14, v13 offset:1552
; %bb.1048:
	s_or_b64 exec, exec, s[0:1]
	s_waitcnt lgkmcnt(0)
	s_barrier
	s_barrier
	s_and_saveexec_b64 s[0:1], s[40:41]
	s_cbranch_execz .LBB114_1050
; %bb.1049:
	v_lshlrev_b32_e32 v13, 2, v0
	s_movk_i32 s8, 0xfc
	v_mad_u32_u24 v14, v0, s8, v13
	ds_read_b32 v15, v14 offset:1552
	s_waitcnt lgkmcnt(0)
	ds_write_b32 v13, v15 offset:1048
	ds_read_b32 v14, v14 offset:1556
	s_waitcnt lgkmcnt(0)
	ds_write_b32 v13, v14 offset:1304
.LBB114_1050:
	s_or_b64 exec, exec, s[0:1]
	s_waitcnt lgkmcnt(0)
	s_barrier
	s_and_saveexec_b64 s[0:1], vcc
	s_cbranch_execz .LBB114_1052
; %bb.1051:
	v_mov_b32_e32 v15, 0
	ds_read_b64 v[13:14], v15 offset:1296
	ds_read_b32 v15, v15 offset:1040
	s_movk_i32 s8, 0x400
	s_waitcnt lgkmcnt(0)
	v_mul_f32_e32 v14, v15, v14
	v_mul_f32_e32 v13, v13, v14
	v_add_u32_e64 v14, s8, 0
	ds_write2_b32 v14, v13, v13 offset0:5 offset1:68
.LBB114_1052:
	s_or_b64 exec, exec, s[0:1]
	v_mov_b32_e32 v13, 0
	s_waitcnt lgkmcnt(0)
	s_barrier
	buffer_wbinvl1_vol
	s_and_saveexec_b64 s[0:1], s[18:19]
	s_cbranch_execz .LBB114_1058
; %bb.1053:
	v_lshlrev_b32_e32 v15, 2, v6
	v_lshlrev_b32_e32 v14, 8, v11
	ds_read_b32 v13, v15 offset:1024
	ds_read_b32 v16, v14 offset:1040
	v_cmp_gt_u32_e64 s[8:9], 12, v5
	s_waitcnt lgkmcnt(0)
	v_fma_f32 v13, v13, v16, 0
	s_and_saveexec_b64 s[10:11], s[8:9]
	s_cbranch_execnz .LBB114_1254
; %bb.1054:
	s_or_b64 exec, exec, s[10:11]
	v_cmp_gt_u32_e64 s[8:9], 8, v5
	s_and_saveexec_b64 s[10:11], s[8:9]
	s_cbranch_execnz .LBB114_1255
.LBB114_1055:
	s_or_b64 exec, exec, s[10:11]
	v_cmp_gt_u32_e64 s[8:9], 4, v5
	s_and_saveexec_b64 s[10:11], s[8:9]
	s_cbranch_execz .LBB114_1057
.LBB114_1056:
	v_lshlrev_b32_e32 v14, 2, v0
	v_mov_b32_e32 v15, 0
	ds_read_b32 v14, v14 offset:1792
	ds_read_b32 v15, v15 offset:1820
	s_waitcnt lgkmcnt(0)
	v_fmac_f32_e32 v13, v14, v15
.LBB114_1057:
	s_or_b64 exec, exec, s[10:11]
.LBB114_1058:
	s_or_b64 exec, exec, s[0:1]
	s_and_saveexec_b64 s[0:1], s[44:45]
	s_cbranch_execz .LBB114_1060
; %bb.1059:
	v_mov_b32_e32 v14, 0
	ds_read_b32 v14, v14 offset:780
	s_waitcnt lgkmcnt(0)
	v_mul_f32_e32 v13, v13, v14
	v_xor_b32_e32 v14, 0x80000000, v13
	ds_write_b32 v12, v14
.LBB114_1060:
	s_or_b64 exec, exec, s[0:1]
	s_waitcnt lgkmcnt(0)
	s_barrier
	s_and_saveexec_b64 s[0:1], s[46:47]
	v_readlane_b32 s44, v27, 0
	s_cbranch_execz .LBB114_1062
; %bb.1061:
	v_lshlrev_b32_e32 v14, 2, v6
	ds_read_b32 v14, v14 offset:768
	ds_read_b32 v15, v12
	s_waitcnt lgkmcnt(0)
	v_fma_f32 v13, -v14, v15, v13
.LBB114_1062:
	s_or_b64 exec, exec, s[0:1]
	s_barrier
	s_and_saveexec_b64 s[0:1], s[48:49]
	s_cbranch_execz .LBB114_1064
; %bb.1063:
	v_mov_b32_e32 v14, 0
	ds_read_b32 v14, v14 offset:520
	s_waitcnt lgkmcnt(0)
	v_mul_f32_e32 v13, v13, v14
	v_xor_b32_e32 v14, 0x80000000, v13
	ds_write_b32 v12, v14
.LBB114_1064:
	s_or_b64 exec, exec, s[0:1]
	s_waitcnt lgkmcnt(0)
	s_barrier
	s_and_saveexec_b64 s[0:1], s[50:51]
	s_cbranch_execz .LBB114_1066
; %bb.1065:
	v_lshlrev_b32_e32 v14, 2, v6
	ds_read_b32 v14, v14 offset:512
	ds_read_b32 v15, v12
	s_waitcnt lgkmcnt(0)
	v_fma_f32 v13, -v14, v15, v13
.LBB114_1066:
	s_or_b64 exec, exec, s[0:1]
	s_barrier
	s_and_saveexec_b64 s[0:1], s[52:53]
	s_cbranch_execz .LBB114_1068
; %bb.1067:
	v_mov_b32_e32 v14, 0
	ds_read_b32 v14, v14 offset:260
	s_waitcnt lgkmcnt(0)
	v_mul_f32_e32 v13, v13, v14
	v_xor_b32_e32 v14, 0x80000000, v13
	ds_write_b32 v12, v14
.LBB114_1068:
	s_or_b64 exec, exec, s[0:1]
	s_waitcnt lgkmcnt(0)
	s_barrier
	s_and_saveexec_b64 s[0:1], s[42:43]
	s_cbranch_execz .LBB114_1070
; %bb.1069:
	v_mov_b32_e32 v14, 0
	ds_read_b32 v14, v14 offset:256
	ds_read_b32 v15, v12
	s_waitcnt lgkmcnt(0)
	v_fma_f32 v13, -v14, v15, v13
.LBB114_1070:
	s_or_b64 exec, exec, s[0:1]
	s_barrier
	s_and_saveexec_b64 s[0:1], s[42:43]
	s_cbranch_execz .LBB114_1072
; %bb.1071:
	v_mov_b32_e32 v14, 0
	ds_read_b32 v14, v14
	s_waitcnt lgkmcnt(0)
	v_mul_f32_e32 v13, v13, v14
	v_xor_b32_e32 v14, 0x80000000, v13
	ds_write_b32 v12, v14
.LBB114_1072:
	s_or_b64 exec, exec, s[0:1]
	s_waitcnt lgkmcnt(0)
	s_barrier
	s_barrier
	s_and_saveexec_b64 s[0:1], s[18:19]
; %bb.1073:
	v_lshlrev_b32_e32 v6, 2, v6
	v_lshl_or_b32 v6, v11, 8, v6
	ds_write_b32 v6, v13 offset:1024
; %bb.1074:
	s_or_b64 exec, exec, s[0:1]
	s_waitcnt lgkmcnt(0)
	s_barrier
	s_barrier
	s_and_saveexec_b64 s[0:1], s[54:55]
	s_cbranch_execz .LBB114_1076
; %bb.1075:
	v_lshlrev_b32_e32 v6, 8, v0
	ds_read_b32 v11, v6 offset:1024
	s_movk_i32 s8, 0xff04
	v_mad_i32_i24 v12, v0, s8, v6
	s_waitcnt lgkmcnt(0)
	ds_write_b32 v12, v11 offset:16
	ds_read_b32 v11, v6 offset:1028
	s_waitcnt lgkmcnt(0)
	ds_write_b32 v12, v11 offset:272
	ds_read_b32 v11, v6 offset:1032
	;; [unrolled: 3-line block ×3, first 2 shown]
	s_waitcnt lgkmcnt(0)
	ds_write_b32 v12, v6 offset:784
.LBB114_1076:
	s_or_b64 exec, exec, s[0:1]
	s_waitcnt lgkmcnt(0)
	s_barrier
	s_and_saveexec_b64 s[0:1], vcc
	s_cbranch_execz .LBB114_1078
; %bb.1077:
	v_mov_b32_e32 v6, 0
	ds_read_b64 v[11:12], v6 offset:776
	ds_read_b32 v13, v6 offset:520
	s_waitcnt lgkmcnt(0)
	v_mul_f32_e32 v12, v13, v12
	v_mul_f32_e32 v11, v11, v12
	ds_write2_b32 v6, v11, v11 offset0:131 offset1:194
.LBB114_1078:
	s_or_b64 exec, exec, s[0:1]
	v_mov_b32_e32 v6, 0
	s_waitcnt lgkmcnt(0)
	s_barrier
	buffer_wbinvl1_vol
	s_and_saveexec_b64 s[0:1], s[2:3]
	s_cbranch_execz .LBB114_1082
; %bb.1079:
	v_lshlrev_b32_e32 v6, 8, v3
	v_lshlrev_b32_e32 v11, 2, v1
	ds_read_b32 v12, v11 offset:512
	ds_read_b32 v6, v6 offset:520
	v_mov_b32_e32 v11, 0
	v_cmp_gt_u32_e64 s[8:9], 2, v5
	s_waitcnt lgkmcnt(0)
	v_fma_f32 v6, v12, v6, 0
	s_and_saveexec_b64 s[10:11], s[8:9]
	s_cbranch_execz .LBB114_1081
; %bb.1080:
	v_lshlrev_b32_e32 v5, 2, v0
	ds_read_b32 v5, v5 offset:768
	ds_read_b32 v11, v11 offset:780
	s_waitcnt lgkmcnt(0)
	v_fmac_f32_e32 v6, v5, v11
.LBB114_1081:
	s_or_b64 exec, exec, s[10:11]
.LBB114_1082:
	s_or_b64 exec, exec, s[0:1]
	s_and_saveexec_b64 s[0:1], s[38:39]
	s_cbranch_execz .LBB114_1084
; %bb.1083:
	v_mov_b32_e32 v5, 0
	ds_read_b32 v5, v5 offset:260
	s_waitcnt lgkmcnt(0)
	v_mul_f32_e32 v6, v6, v5
	v_xor_b32_e32 v5, 0x80000000, v6
	ds_write_b32 v4, v5
.LBB114_1084:
	s_or_b64 exec, exec, s[0:1]
	s_waitcnt lgkmcnt(0)
	s_barrier
	s_and_saveexec_b64 s[0:1], s[36:37]
	s_cbranch_execz .LBB114_1086
; %bb.1085:
	v_mov_b32_e32 v5, 0
	ds_read_b32 v5, v5 offset:256
	ds_read_b32 v11, v4
	s_waitcnt lgkmcnt(0)
	v_fma_f32 v6, -v5, v11, v6
.LBB114_1086:
	s_or_b64 exec, exec, s[0:1]
	s_barrier
	s_and_saveexec_b64 s[0:1], s[36:37]
	s_cbranch_execz .LBB114_1088
; %bb.1087:
	v_mov_b32_e32 v5, 0
	ds_read_b32 v5, v5
	s_waitcnt lgkmcnt(0)
	v_mul_f32_e32 v6, v6, v5
	v_xor_b32_e32 v5, 0x80000000, v6
	ds_write_b32 v4, v5
.LBB114_1088:
	s_or_b64 exec, exec, s[0:1]
	s_waitcnt lgkmcnt(0)
	s_barrier
	s_barrier
	s_and_saveexec_b64 s[0:1], s[2:3]
; %bb.1089:
	v_lshlrev_b32_e32 v1, 2, v1
	v_lshl_or_b32 v1, v3, 8, v1
	ds_write_b32 v1, v6 offset:512
; %bb.1090:
	s_or_b64 exec, exec, s[0:1]
	s_waitcnt lgkmcnt(0)
	s_barrier
	s_barrier
	s_and_saveexec_b64 s[0:1], s[40:41]
	s_cbranch_execz .LBB114_1092
; %bb.1091:
	v_lshlrev_b32_e32 v1, 2, v0
	s_movk_i32 s2, 0xfc
	v_mad_u32_u24 v3, v0, s2, v1
	ds_read_b32 v4, v3 offset:512
	s_waitcnt lgkmcnt(0)
	ds_write_b32 v1, v4 offset:8
	ds_read_b32 v3, v3 offset:516
	s_waitcnt lgkmcnt(0)
	ds_write_b32 v1, v3 offset:264
.LBB114_1092:
	s_or_b64 exec, exec, s[0:1]
	s_waitcnt lgkmcnt(0)
	s_barrier
	s_and_saveexec_b64 s[0:1], vcc
	s_cbranch_execz .LBB114_1094
; %bb.1093:
	v_mov_b32_e32 v1, 0
	ds_read_b64 v[3:4], v1 offset:256
	ds_read_b32 v5, v1
	s_waitcnt lgkmcnt(0)
	v_mul_f32_e32 v4, v5, v4
	v_mul_f32_e32 v3, v3, v4
	ds_write2_b32 v1, v3, v3 offset0:1 offset1:64
.LBB114_1094:
	s_or_b64 exec, exec, s[0:1]
.LBB114_1095:
	s_load_dwordx4 s[0:3], s[4:5], 0x30
	v_cmp_le_i32_e32 vcc, s88, v0
	v_mov_b32_e32 v12, 0
	v_add_u32_e32 v3, s33, v0
	s_waitcnt lgkmcnt(0)
	s_lshl_b64 s[0:1], s[2:3], 2
	s_add_u32 s20, s34, s0
	s_addc_u32 s21, s35, s1
	s_and_b64 s[14:15], vcc, s[28:29]
	v_cmp_eq_u32_e64 s[2:3], 0, v2
	s_xor_b64 s[0:1], s[14:15], -1
	s_and_b64 s[8:9], s[2:3], s[0:1]
	s_barrier
	s_and_saveexec_b64 s[0:1], s[8:9]
	s_cbranch_execz .LBB114_1097
; %bb.1096:
	v_ashrrev_i32_e32 v1, 31, v3
	v_mul_lo_u32 v6, s27, v3
	v_mad_u64_u32 v[4:5], s[8:9], s26, v3, 0
	v_mul_lo_u32 v1, s26, v1
	s_load_dword s8, s[4:5], 0x28
	v_add3_u32 v5, v5, v1, v6
	v_lshlrev_b64 v[4:5], 2, v[4:5]
	v_mov_b32_e32 v1, s21
	v_add_co_u32_e32 v4, vcc, s20, v4
	v_addc_co_u32_e32 v5, vcc, v1, v5, vcc
	flat_load_dword v1, v[4:5]
	s_waitcnt vmcnt(0) lgkmcnt(0)
	v_mul_f32_e64 v12, v1, -s8
.LBB114_1097:
	s_or_b64 exec, exec, s[0:1]
	s_load_dwordx2 s[0:1], s[4:5], 0x50
	s_and_b32 s4, 0xffff, s91
	v_mad_u32_u24 v11, v2, s4, v0
	s_cmp_lt_i32 s6, 1
	v_cmp_eq_u32_e64 s[4:5], 0, v11
	s_cbranch_scc1 .LBB114_1123
; %bb.1098:
	v_mad_u64_u32 v[4:5], s[8:9], s30, v3, 0
	s_mov_b32 s22, 0
	v_cmp_gt_u32_e64 s[12:13], 64, v11
	v_mov_b32_e32 v1, v5
	v_mad_u64_u32 v[5:6], s[8:9], s31, v3, v[1:2]
	s_lshl_b64 s[8:9], s[24:25], 2
	s_waitcnt lgkmcnt(0)
	s_add_u32 s16, s0, s8
	s_addc_u32 s17, s1, s9
	v_cmp_gt_i32_e64 s[8:9], s7, v3
	v_lshlrev_b64 v[3:4], 2, v[4:5]
	v_mov_b32_e32 v6, 0x5000
	v_mov_b32_e32 v5, s90
	v_add_co_u32_e32 v14, vcc, s89, v3
	v_lshl_add_u32 v1, v11, 2, v6
	v_lshl_or_b32 v13, v2, 2, v6
	s_add_i32 s23, s6, -1
	v_addc_co_u32_e32 v15, vcc, v5, v4, vcc
	v_mov_b32_e32 v16, -1
	v_mov_b32_e32 v4, 0
	s_branch .LBB114_1101
.LBB114_1099:                           ;   in Loop: Header=BB114_1101 Depth=1
	ds_read_b32 v5, v13 offset:192
	s_waitcnt vmcnt(0) lgkmcnt(0)
	v_fmac_f32_e32 v12, v3, v5
.LBB114_1100:                           ;   in Loop: Header=BB114_1101 Depth=1
	s_or_b64 exec, exec, s[18:19]
	s_add_i32 s22, s22, 1
	s_cmp_eq_u32 s22, s6
	s_cbranch_scc1 .LBB114_1123
.LBB114_1101:                           ; =>This Loop Header: Depth=1
                                        ;     Child Loop BB114_1103 Depth 2
	v_cmp_gt_i32_e32 vcc, s22, v16
	s_and_b64 s[18:19], s[4:5], vcc
	s_and_saveexec_b64 s[10:11], s[18:19]
	s_cbranch_execz .LBB114_1104
; %bb.1102:                             ;   in Loop: Header=BB114_1101 Depth=1
	global_load_dword v16, v4, s[16:17]
	s_waitcnt vmcnt(0)
	v_cmp_le_i32_e32 vcc, s22, v16
	s_cbranch_vccnz .LBB114_1104
.LBB114_1103:                           ;   Parent Loop BB114_1101 Depth=1
                                        ; =>  This Inner Loop Header: Depth=2
	buffer_wbinvl1_vol
	global_load_dword v16, v4, s[16:17]
	s_waitcnt vmcnt(0)
	v_cmp_gt_i32_e32 vcc, s22, v16
	s_cbranch_vccnz .LBB114_1103
.LBB114_1104:                           ;   in Loop: Header=BB114_1101 Depth=1
	s_or_b64 exec, exec, s[10:11]
	s_lshl_b32 s30, s22, 6
	buffer_wbinvl1_vol
	s_barrier
	s_and_saveexec_b64 s[10:11], s[12:13]
	s_cbranch_execz .LBB114_1108
; %bb.1105:                             ;   in Loop: Header=BB114_1101 Depth=1
	v_or_b32_e32 v5, s30, v11
	v_cmp_gt_i32_e32 vcc, s7, v5
	v_mov_b32_e32 v3, 0
	s_and_saveexec_b64 s[18:19], vcc
	s_cbranch_execz .LBB114_1107
; %bb.1106:                             ;   in Loop: Header=BB114_1101 Depth=1
	v_mad_u64_u32 v[17:18], s[34:35], s26, v5, 0
	v_mov_b32_e32 v3, v18
	v_mad_u64_u32 v[5:6], s[34:35], s27, v5, v[3:4]
	v_mov_b32_e32 v3, s21
	v_mov_b32_e32 v18, v5
	v_lshlrev_b64 v[5:6], 2, v[17:18]
	v_add_co_u32_e32 v5, vcc, s20, v5
	v_addc_co_u32_e32 v6, vcc, v3, v6, vcc
	flat_load_dword v3, v[5:6]
.LBB114_1107:                           ;   in Loop: Header=BB114_1101 Depth=1
	s_or_b64 exec, exec, s[18:19]
	s_waitcnt vmcnt(0) lgkmcnt(0)
	ds_write_b32 v1, v3
.LBB114_1108:                           ;   in Loop: Header=BB114_1101 Depth=1
	s_or_b64 exec, exec, s[10:11]
	v_add_u32_e32 v3, s30, v2
	v_lshlrev_b64 v[5:6], 2, v[3:4]
	s_cmp_lg_u32 s22, s23
	v_add_co_u32_e32 v5, vcc, v14, v5
	s_cselect_b64 s[10:11], -1, 0
	v_addc_co_u32_e32 v6, vcc, v15, v6, vcc
	v_cmp_gt_i32_e32 vcc, s7, v3
	v_cndmask_b32_e64 v17, 0, 1, s[10:11]
	s_and_b64 s[30:31], vcc, s[8:9]
	v_cmp_ne_u32_e64 s[10:11], 1, v17
	s_waitcnt lgkmcnt(0)
	s_barrier
	s_and_saveexec_b64 s[18:19], s[30:31]
	s_cbranch_execz .LBB114_1112
; %bb.1109:                             ;   in Loop: Header=BB114_1101 Depth=1
	s_and_b64 vcc, exec, s[10:11]
	v_mov_b32_e32 v17, v8
	s_cbranch_vccnz .LBB114_1111
; %bb.1110:                             ;   in Loop: Header=BB114_1101 Depth=1
	flat_load_dword v17, v[5:6]
.LBB114_1111:                           ;   in Loop: Header=BB114_1101 Depth=1
	ds_read_b32 v18, v13
	s_waitcnt vmcnt(0) lgkmcnt(0)
	v_fmac_f32_e32 v12, v17, v18
.LBB114_1112:                           ;   in Loop: Header=BB114_1101 Depth=1
	s_or_b64 exec, exec, s[18:19]
	v_add_u32_e32 v17, 16, v3
	v_cmp_gt_i32_e32 vcc, s7, v17
	s_and_b64 s[30:31], vcc, s[8:9]
	s_and_saveexec_b64 s[18:19], s[30:31]
	s_cbranch_execz .LBB114_1116
; %bb.1113:                             ;   in Loop: Header=BB114_1101 Depth=1
	s_and_b64 vcc, exec, s[10:11]
	v_mov_b32_e32 v17, v7
	s_cbranch_vccnz .LBB114_1115
; %bb.1114:                             ;   in Loop: Header=BB114_1101 Depth=1
	flat_load_dword v17, v[5:6] offset:64
.LBB114_1115:                           ;   in Loop: Header=BB114_1101 Depth=1
	ds_read_b32 v18, v13 offset:64
	s_waitcnt vmcnt(0) lgkmcnt(0)
	v_fmac_f32_e32 v12, v17, v18
.LBB114_1116:                           ;   in Loop: Header=BB114_1101 Depth=1
	s_or_b64 exec, exec, s[18:19]
	v_add_u32_e32 v17, 32, v3
	v_cmp_gt_i32_e32 vcc, s7, v17
	s_and_b64 s[30:31], vcc, s[8:9]
	s_and_saveexec_b64 s[18:19], s[30:31]
	s_cbranch_execz .LBB114_1120
; %bb.1117:                             ;   in Loop: Header=BB114_1101 Depth=1
	s_and_b64 vcc, exec, s[10:11]
	v_mov_b32_e32 v17, v10
	s_cbranch_vccnz .LBB114_1119
; %bb.1118:                             ;   in Loop: Header=BB114_1101 Depth=1
	flat_load_dword v17, v[5:6] offset:128
.LBB114_1119:                           ;   in Loop: Header=BB114_1101 Depth=1
	ds_read_b32 v18, v13 offset:128
	s_waitcnt vmcnt(0) lgkmcnt(0)
	v_fmac_f32_e32 v12, v17, v18
.LBB114_1120:                           ;   in Loop: Header=BB114_1101 Depth=1
	s_or_b64 exec, exec, s[18:19]
	v_add_u32_e32 v3, 48, v3
	v_cmp_gt_i32_e32 vcc, s7, v3
	s_and_b64 s[30:31], vcc, s[8:9]
	s_and_saveexec_b64 s[18:19], s[30:31]
	s_cbranch_execz .LBB114_1100
; %bb.1121:                             ;   in Loop: Header=BB114_1101 Depth=1
	s_and_b64 vcc, exec, s[10:11]
	v_mov_b32_e32 v3, v9
	s_cbranch_vccnz .LBB114_1099
; %bb.1122:                             ;   in Loop: Header=BB114_1101 Depth=1
	flat_load_dword v3, v[5:6] offset:192
	s_branch .LBB114_1099
.LBB114_1123:
	v_lshl_add_u32 v1, v2, 6, v0
	s_xor_b64 s[4:5], s[28:29], -1
	v_lshlrev_b32_e32 v1, 2, v1
	ds_write_b32 v1, v12 offset:16384
	s_waitcnt lgkmcnt(0)
	s_barrier
	s_and_saveexec_b64 s[6:7], s[2:3]
	s_cbranch_execz .LBB114_1125
; %bb.1124:
	v_lshlrev_b32_e32 v15, 2, v0
	ds_read2st64_b32 v[3:4], v15 offset0:65 offset1:66
	ds_read2st64_b32 v[5:6], v15 offset0:67 offset1:68
	;; [unrolled: 1-line block ×5, first 2 shown]
	s_waitcnt lgkmcnt(4)
	v_add_f32_e32 v3, v12, v3
	v_add_f32_e32 v3, v3, v4
	s_waitcnt lgkmcnt(3)
	v_add_f32_e32 v3, v3, v5
	v_add_f32_e32 v3, v3, v6
	;; [unrolled: 3-line block ×4, first 2 shown]
	ds_read2st64_b32 v[3:4], v15 offset0:75 offset1:76
	ds_read2st64_b32 v[5:6], v15 offset0:77 offset1:78
	ds_read_b32 v8, v15 offset:20224
	s_waitcnt lgkmcnt(3)
	v_add_f32_e32 v7, v7, v13
	v_add_f32_e32 v7, v7, v14
	s_waitcnt lgkmcnt(2)
	v_add_f32_e32 v3, v7, v3
	v_add_f32_e32 v3, v3, v4
	;; [unrolled: 3-line block ×3, first 2 shown]
	s_waitcnt lgkmcnt(0)
	v_add_f32_e32 v3, v3, v8
	v_cndmask_b32_e64 v12, -v3, 0, s[14:15]
.LBB114_1125:
	s_or_b64 exec, exec, s[6:7]
	s_and_b64 vcc, exec, s[56:57]
	s_cbranch_vccnz .LBB114_1138
; %bb.1126:
	v_mov_b32_e32 v3, 0x5000
	v_lshl_or_b32 v4, v2, 2, v3
	s_and_saveexec_b64 s[6:7], s[2:3]
; %bb.1127:
	v_lshl_add_u32 v3, v0, 2, v4
	ds_write_b32 v3, v12
; %bb.1128:
	s_or_b64 exec, exec, s[6:7]
	v_cmp_le_u32_e32 vcc, v2, v0
	v_mov_b32_e32 v3, 0
	s_waitcnt lgkmcnt(0)
	s_barrier
	s_and_saveexec_b64 s[6:7], vcc
	s_cbranch_execz .LBB114_1130
; %bb.1129:
	ds_read_b32 v3, v1
	ds_read_b32 v5, v4
	s_waitcnt lgkmcnt(0)
	v_fma_f32 v3, v3, v5, 0
.LBB114_1130:
	s_or_b64 exec, exec, s[6:7]
	v_add_u32_e32 v5, 16, v2
	v_cmp_ge_u32_e32 vcc, v0, v5
	s_and_saveexec_b64 s[6:7], vcc
	s_cbranch_execz .LBB114_1132
; %bb.1131:
	ds_read_b32 v5, v1 offset:4096
	ds_read_b32 v6, v4 offset:64
	s_waitcnt lgkmcnt(0)
	v_fmac_f32_e32 v3, v5, v6
.LBB114_1132:
	s_or_b64 exec, exec, s[6:7]
	v_add_u32_e32 v5, 32, v2
	v_cmp_ge_u32_e32 vcc, v0, v5
	s_and_saveexec_b64 s[6:7], vcc
	s_cbranch_execz .LBB114_1134
; %bb.1133:
	ds_read_b32 v5, v1 offset:8192
	ds_read_b32 v6, v4 offset:128
	s_waitcnt lgkmcnt(0)
	v_fmac_f32_e32 v3, v5, v6
.LBB114_1134:
	s_or_b64 exec, exec, s[6:7]
	v_add_u32_e32 v2, 48, v2
	v_add_u32_e32 v5, 0x4000, v1
	v_cmp_ge_u32_e32 vcc, v0, v2
	s_and_saveexec_b64 s[6:7], vcc
	s_cbranch_execz .LBB114_1136
; %bb.1135:
	ds_read_b32 v1, v1 offset:12288
	ds_read_b32 v2, v4 offset:192
	s_waitcnt lgkmcnt(0)
	v_fmac_f32_e32 v3, v1, v2
.LBB114_1136:
	s_or_b64 exec, exec, s[6:7]
	s_mov_b64 s[8:9], 0
	s_mov_b64 s[6:7], 0
	ds_write_b32 v5, v3
	s_waitcnt lgkmcnt(0)
	s_barrier
                                        ; implicit-def: $vgpr4
                                        ; implicit-def: $vgpr1_vgpr2
	s_and_saveexec_b64 s[10:11], s[2:3]
	s_cbranch_execz .LBB114_1195
; %bb.1137:
	v_lshlrev_b32_e32 v10, 2, v0
	ds_read2st64_b32 v[1:2], v10 offset0:65 offset1:66
	ds_read2st64_b32 v[4:5], v10 offset0:67 offset1:68
	;; [unrolled: 1-line block ×4, first 2 shown]
	s_mov_b64 s[6:7], exec
	s_waitcnt lgkmcnt(3)
	v_add_f32_e32 v1, v3, v1
	v_add_f32_e32 v1, v2, v1
	s_waitcnt lgkmcnt(2)
	v_add_f32_e32 v1, v4, v1
	v_add_f32_e32 v1, v5, v1
	ds_read2st64_b32 v[2:3], v10 offset0:73 offset1:74
	s_waitcnt lgkmcnt(2)
	v_add_f32_e32 v1, v6, v1
	v_add_f32_e32 v1, v7, v1
	s_waitcnt lgkmcnt(1)
	v_add_f32_e32 v1, v8, v1
	v_add_f32_e32 v1, v9, v1
	ds_read2st64_b32 v[4:5], v10 offset0:75 offset1:76
	ds_read2st64_b32 v[6:7], v10 offset0:77 offset1:78
	ds_read_b32 v8, v10 offset:20224
	v_add_u32_e32 v10, s33, v11
	s_waitcnt lgkmcnt(3)
	v_add_f32_e32 v9, v2, v1
	v_mad_u64_u32 v[1:2], s[12:13], s26, v10, 0
	v_add_f32_e32 v3, v3, v9
	s_waitcnt lgkmcnt(2)
	v_add_f32_e32 v3, v4, v3
	v_add_f32_e32 v4, v5, v3
	v_mad_u64_u32 v[2:3], s[12:13], s27, v10, v[2:3]
	s_waitcnt lgkmcnt(1)
	v_add_f32_e32 v3, v6, v4
	v_add_f32_e32 v3, v7, v3
	s_waitcnt lgkmcnt(0)
	v_add_f32_e32 v4, v8, v3
	s_or_b64 exec, exec, s[10:11]
	s_and_b64 vcc, exec, s[8:9]
	s_cbranch_vccnz .LBB114_1139
	s_branch .LBB114_1196
.LBB114_1138:
	s_mov_b64 s[6:7], 0
                                        ; implicit-def: $vgpr4
                                        ; implicit-def: $vgpr1_vgpr2
	s_cbranch_execz .LBB114_1196
.LBB114_1139:
	v_mul_u32_u24_e32 v1, 0x104, v0
	v_lshlrev_b32_e32 v2, 8, v0
	v_sub_u32_e32 v2, v1, v2
	s_mov_b32 s10, 0
	v_mov_b32_e32 v3, 0
	v_mov_b32_e32 v4, v0
	s_branch .LBB114_1141
.LBB114_1140:                           ;   in Loop: Header=BB114_1141 Depth=1
	s_or_b64 exec, exec, s[8:9]
	s_add_i32 s10, s10, 4
	v_add_u32_e32 v2, 0x400, v2
	s_cmp_lg_u32 s10, 64
	v_add_u32_e32 v4, -4, v4
	s_barrier
	s_cbranch_scc0 .LBB114_1157
.LBB114_1141:                           ; =>This Inner Loop Header: Depth=1
	v_cmp_eq_u32_e32 vcc, 0, v4
	s_and_b64 s[12:13], s[2:3], vcc
	s_and_saveexec_b64 s[8:9], s[12:13]
	s_cbranch_execz .LBB114_1143
; %bb.1142:                             ;   in Loop: Header=BB114_1141 Depth=1
	ds_read_b32 v5, v1
	s_waitcnt lgkmcnt(0)
	v_mul_f32_e32 v12, v12, v5
	ds_write_b32 v3, v12 offset:20736
.LBB114_1143:                           ;   in Loop: Header=BB114_1141 Depth=1
	s_or_b64 exec, exec, s[8:9]
	v_cmp_lt_u32_e32 vcc, s10, v0
	s_and_b64 s[12:13], s[2:3], vcc
	s_waitcnt lgkmcnt(0)
	s_barrier
	s_and_saveexec_b64 s[8:9], s[12:13]
	s_cbranch_execz .LBB114_1145
; %bb.1144:                             ;   in Loop: Header=BB114_1141 Depth=1
	ds_read_b32 v5, v2
	ds_read_b32 v6, v3 offset:20736
	s_waitcnt lgkmcnt(0)
	v_fmac_f32_e32 v12, v5, v6
.LBB114_1145:                           ;   in Loop: Header=BB114_1141 Depth=1
	s_or_b64 exec, exec, s[8:9]
	s_or_b32 s11, s10, 1
	v_cmp_eq_u32_e32 vcc, s11, v0
	s_and_b64 s[12:13], s[2:3], vcc
	s_barrier
	s_and_saveexec_b64 s[8:9], s[12:13]
	s_cbranch_execz .LBB114_1147
; %bb.1146:                             ;   in Loop: Header=BB114_1141 Depth=1
	ds_read_b32 v5, v1
	s_waitcnt lgkmcnt(0)
	v_mul_f32_e32 v12, v12, v5
	ds_write_b32 v3, v12 offset:20736
.LBB114_1147:                           ;   in Loop: Header=BB114_1141 Depth=1
	s_or_b64 exec, exec, s[8:9]
	v_cmp_lt_u32_e32 vcc, s11, v0
	s_and_b64 s[12:13], s[2:3], vcc
	s_waitcnt lgkmcnt(0)
	s_barrier
	s_and_saveexec_b64 s[8:9], s[12:13]
	s_cbranch_execz .LBB114_1149
; %bb.1148:                             ;   in Loop: Header=BB114_1141 Depth=1
	ds_read_b32 v5, v2 offset:256
	ds_read_b32 v6, v3 offset:20736
	s_waitcnt lgkmcnt(0)
	v_fmac_f32_e32 v12, v5, v6
.LBB114_1149:                           ;   in Loop: Header=BB114_1141 Depth=1
	s_or_b64 exec, exec, s[8:9]
	s_or_b32 s11, s10, 2
	v_cmp_eq_u32_e32 vcc, s11, v0
	s_and_b64 s[12:13], s[2:3], vcc
	s_barrier
	s_and_saveexec_b64 s[8:9], s[12:13]
	s_cbranch_execz .LBB114_1151
; %bb.1150:                             ;   in Loop: Header=BB114_1141 Depth=1
	ds_read_b32 v5, v1
	s_waitcnt lgkmcnt(0)
	v_mul_f32_e32 v12, v12, v5
	ds_write_b32 v3, v12 offset:20736
.LBB114_1151:                           ;   in Loop: Header=BB114_1141 Depth=1
	s_or_b64 exec, exec, s[8:9]
	v_cmp_lt_u32_e32 vcc, s11, v0
	s_and_b64 s[12:13], s[2:3], vcc
	s_waitcnt lgkmcnt(0)
	s_barrier
	s_and_saveexec_b64 s[8:9], s[12:13]
	s_cbranch_execz .LBB114_1153
; %bb.1152:                             ;   in Loop: Header=BB114_1141 Depth=1
	ds_read_b32 v5, v2 offset:512
	ds_read_b32 v6, v3 offset:20736
	s_waitcnt lgkmcnt(0)
	v_fmac_f32_e32 v12, v5, v6
.LBB114_1153:                           ;   in Loop: Header=BB114_1141 Depth=1
	s_or_b64 exec, exec, s[8:9]
	s_or_b32 s11, s10, 3
	v_cmp_eq_u32_e32 vcc, s11, v0
	s_and_b64 s[12:13], s[2:3], vcc
	s_barrier
	s_and_saveexec_b64 s[8:9], s[12:13]
	s_cbranch_execz .LBB114_1155
; %bb.1154:                             ;   in Loop: Header=BB114_1141 Depth=1
	ds_read_b32 v5, v1
	s_waitcnt lgkmcnt(0)
	v_mul_f32_e32 v12, v12, v5
	ds_write_b32 v3, v12 offset:20736
.LBB114_1155:                           ;   in Loop: Header=BB114_1141 Depth=1
	s_or_b64 exec, exec, s[8:9]
	v_cmp_lt_u32_e32 vcc, s11, v0
	s_and_b64 s[12:13], s[2:3], vcc
	s_waitcnt lgkmcnt(0)
	s_barrier
	s_and_saveexec_b64 s[8:9], s[12:13]
	s_cbranch_execz .LBB114_1140
; %bb.1156:                             ;   in Loop: Header=BB114_1141 Depth=1
	ds_read_b32 v5, v2 offset:768
	ds_read_b32 v6, v3 offset:20736
	s_waitcnt lgkmcnt(0)
	v_fmac_f32_e32 v12, v5, v6
	s_branch .LBB114_1140
.LBB114_1157:
	s_and_b64 vcc, exec, s[4:5]
	s_cbranch_vccz .LBB114_1197
; %bb.1158:
	s_and_b64 s[4:5], s[2:3], exec
	s_cbranch_execz .LBB114_1198
	s_branch .LBB114_1199
.LBB114_1159:
	v_cmp_ne_u32_e32 vcc, v0, v2
	s_and_saveexec_b64 s[12:13], vcc
	s_xor_b64 s[12:13], exec, s[12:13]
; %bb.1160:
	v_or_b32_e32 v1, v2, v0
	v_cmp_gt_u32_e32 vcc, 64, v1
	s_and_b64 s[10:11], vcc, exec
                                        ; implicit-def: $vgpr5_vgpr6
; %bb.1161:
	s_or_saveexec_b64 s[12:13], s[12:13]
	v_mov_b32_e32 v1, 0
	s_xor_b64 exec, exec, s[12:13]
	s_cbranch_execz .LBB114_1163
; %bb.1162:
	v_lshlrev_b64 v[5:6], 2, v[5:6]
	v_mov_b32_e32 v1, s90
	v_add_co_u32_e32 v5, vcc, s89, v5
	v_addc_co_u32_e32 v6, vcc, v1, v6, vcc
	flat_load_dword v1, v[5:6]
	s_or_b64 s[10:11], s[10:11], exec
	s_waitcnt vmcnt(0) lgkmcnt(0)
	v_div_scale_f32 v5, s[14:15], v1, v1, 1.0
	v_div_scale_f32 v6, vcc, 1.0, v1, 1.0
	v_rcp_f32_e32 v12, v5
	v_fma_f32 v13, -v5, v12, 1.0
	v_fmac_f32_e32 v12, v13, v12
	v_mul_f32_e32 v13, v6, v12
	v_fma_f32 v14, -v5, v13, v6
	v_fmac_f32_e32 v13, v14, v12
	v_fma_f32 v5, -v5, v13, v6
	v_div_fmas_f32 v5, v5, v12, v13
	v_div_fixup_f32 v1, v5, v1, 1.0
.LBB114_1163:
	s_or_b64 exec, exec, s[12:13]
	s_and_b64 s[10:11], s[10:11], exec
                                        ; implicit-def: $vgpr5_vgpr6
	s_andn2_saveexec_b64 s[8:9], s[8:9]
	s_cbranch_execz .LBB114_14
.LBB114_1164:
	v_lshlrev_b64 v[5:6], 2, v[5:6]
	v_mov_b32_e32 v1, s90
	v_add_co_u32_e32 v5, vcc, s89, v5
	v_addc_co_u32_e32 v6, vcc, v1, v6, vcc
	flat_load_dword v1, v[5:6]
	s_or_b64 s[10:11], s[10:11], exec
	s_waitcnt vmcnt(0) lgkmcnt(0)
	v_xor_b32_e32 v1, 0x80000000, v1
	s_or_b64 exec, exec, s[8:9]
	s_and_saveexec_b64 s[8:9], s[10:11]
	s_cbranch_execnz .LBB114_15
	s_branch .LBB114_16
.LBB114_1165:
	v_cmp_ne_u32_e32 vcc, v0, v1
	s_and_saveexec_b64 s[10:11], vcc
	s_xor_b64 s[10:11], exec, s[10:11]
; %bb.1166:
	v_or_b32_e32 v5, v1, v0
	v_cmp_gt_u32_e32 vcc, 64, v5
	s_and_b64 s[8:9], vcc, exec
                                        ; implicit-def: $vgpr5_vgpr6
; %bb.1167:
	s_or_saveexec_b64 s[10:11], s[10:11]
	v_mov_b32_e32 v12, 0
	s_xor_b64 exec, exec, s[10:11]
	s_cbranch_execz .LBB114_1169
; %bb.1168:
	v_lshlrev_b64 v[5:6], 2, v[5:6]
	v_mov_b32_e32 v12, s90
	v_add_co_u32_e32 v5, vcc, s89, v5
	v_addc_co_u32_e32 v6, vcc, v12, v6, vcc
	flat_load_dword v5, v[5:6]
	s_or_b64 s[8:9], s[8:9], exec
	s_waitcnt vmcnt(0) lgkmcnt(0)
	v_div_scale_f32 v6, s[12:13], v5, v5, 1.0
	v_div_scale_f32 v12, vcc, 1.0, v5, 1.0
	v_rcp_f32_e32 v13, v6
	v_fma_f32 v14, -v6, v13, 1.0
	v_fmac_f32_e32 v13, v14, v13
	v_mul_f32_e32 v14, v12, v13
	v_fma_f32 v15, -v6, v14, v12
	v_fmac_f32_e32 v14, v15, v13
	v_fma_f32 v6, -v6, v14, v12
	v_div_fmas_f32 v6, v6, v13, v14
	v_div_fixup_f32 v12, v6, v5, 1.0
.LBB114_1169:
	s_or_b64 exec, exec, s[10:11]
	s_and_b64 s[8:9], s[8:9], exec
                                        ; implicit-def: $vgpr5_vgpr6
	s_andn2_saveexec_b64 s[2:3], s[2:3]
	s_cbranch_execz .LBB114_18
.LBB114_1170:
	v_lshlrev_b64 v[5:6], 2, v[5:6]
	v_mov_b32_e32 v12, s90
	v_add_co_u32_e32 v5, vcc, s89, v5
	v_addc_co_u32_e32 v6, vcc, v12, v6, vcc
	flat_load_dword v5, v[5:6]
	s_or_b64 s[8:9], s[8:9], exec
	s_waitcnt vmcnt(0) lgkmcnt(0)
	v_xor_b32_e32 v12, 0x80000000, v5
	s_or_b64 exec, exec, s[2:3]
	s_and_saveexec_b64 s[2:3], s[8:9]
	s_cbranch_execnz .LBB114_19
	s_branch .LBB114_20
.LBB114_1171:
	v_cmp_ne_u32_e32 vcc, v0, v1
	s_and_saveexec_b64 s[10:11], vcc
	s_xor_b64 s[10:11], exec, s[10:11]
; %bb.1172:
	v_or_b32_e32 v5, v1, v0
	v_cmp_gt_u32_e32 vcc, 64, v5
	s_and_b64 s[8:9], vcc, exec
                                        ; implicit-def: $vgpr5_vgpr6
; %bb.1173:
	s_or_saveexec_b64 s[10:11], s[10:11]
	v_mov_b32_e32 v12, 0
	s_xor_b64 exec, exec, s[10:11]
	s_cbranch_execz .LBB114_1175
; %bb.1174:
	v_lshlrev_b64 v[5:6], 2, v[5:6]
	v_mov_b32_e32 v12, s90
	v_add_co_u32_e32 v5, vcc, s89, v5
	v_addc_co_u32_e32 v6, vcc, v12, v6, vcc
	flat_load_dword v5, v[5:6]
	s_or_b64 s[8:9], s[8:9], exec
	s_waitcnt vmcnt(0) lgkmcnt(0)
	v_div_scale_f32 v6, s[12:13], v5, v5, 1.0
	v_div_scale_f32 v12, vcc, 1.0, v5, 1.0
	v_rcp_f32_e32 v13, v6
	v_fma_f32 v14, -v6, v13, 1.0
	v_fmac_f32_e32 v13, v14, v13
	v_mul_f32_e32 v14, v12, v13
	v_fma_f32 v15, -v6, v14, v12
	v_fmac_f32_e32 v14, v15, v13
	v_fma_f32 v6, -v6, v14, v12
	v_div_fmas_f32 v6, v6, v13, v14
	v_div_fixup_f32 v12, v6, v5, 1.0
.LBB114_1175:
	s_or_b64 exec, exec, s[10:11]
	s_and_b64 s[8:9], s[8:9], exec
                                        ; implicit-def: $vgpr5_vgpr6
	s_andn2_saveexec_b64 s[2:3], s[2:3]
	s_cbranch_execz .LBB114_22
.LBB114_1176:
	v_lshlrev_b64 v[5:6], 2, v[5:6]
	v_mov_b32_e32 v12, s90
	v_add_co_u32_e32 v5, vcc, s89, v5
	v_addc_co_u32_e32 v6, vcc, v12, v6, vcc
	flat_load_dword v5, v[5:6]
	s_or_b64 s[8:9], s[8:9], exec
	s_waitcnt vmcnt(0) lgkmcnt(0)
	v_xor_b32_e32 v12, 0x80000000, v5
	s_or_b64 exec, exec, s[2:3]
	s_and_saveexec_b64 s[2:3], s[8:9]
	s_cbranch_execnz .LBB114_23
	s_branch .LBB114_24
.LBB114_1177:
	v_cmp_ne_u32_e32 vcc, v0, v2
	s_xor_b64 s[12:13], s[2:3], -1
	s_or_b64 s[14:15], s[12:13], vcc
	s_mov_b64 s[12:13], 0
	s_and_saveexec_b64 s[16:17], s[14:15]
	s_xor_b64 s[14:15], exec, s[16:17]
; %bb.1178:
	v_or_b32_e32 v1, v2, v0
	v_cmp_gt_u32_e32 vcc, 64, v1
	s_and_b64 s[12:13], vcc, exec
                                        ; implicit-def: $vgpr5_vgpr6
; %bb.1179:
	s_or_saveexec_b64 s[14:15], s[14:15]
	v_mov_b32_e32 v1, 0
	s_xor_b64 exec, exec, s[14:15]
	s_cbranch_execz .LBB114_1181
; %bb.1180:
	v_lshlrev_b64 v[5:6], 2, v[5:6]
	v_mov_b32_e32 v1, s90
	v_add_co_u32_e32 v5, vcc, s89, v5
	v_addc_co_u32_e32 v6, vcc, v1, v6, vcc
	flat_load_dword v1, v[5:6]
	s_or_b64 s[12:13], s[12:13], exec
	s_waitcnt vmcnt(0) lgkmcnt(0)
	v_div_scale_f32 v5, s[16:17], v1, v1, 1.0
	v_div_scale_f32 v6, vcc, 1.0, v1, 1.0
	v_rcp_f32_e32 v12, v5
	v_fma_f32 v13, -v5, v12, 1.0
	v_fmac_f32_e32 v12, v13, v12
	v_mul_f32_e32 v13, v6, v12
	v_fma_f32 v14, -v5, v13, v6
	v_fmac_f32_e32 v13, v14, v12
	v_fma_f32 v5, -v5, v13, v6
	v_div_fmas_f32 v5, v5, v12, v13
	v_div_fixup_f32 v1, v5, v1, 1.0
.LBB114_1181:
	s_or_b64 exec, exec, s[14:15]
	s_and_b64 s[12:13], s[12:13], exec
                                        ; implicit-def: $vgpr5_vgpr6
	s_andn2_saveexec_b64 s[8:9], s[8:9]
	s_cbranch_execz .LBB114_36
.LBB114_1182:
	v_lshlrev_b64 v[5:6], 2, v[5:6]
	v_mov_b32_e32 v1, s90
	v_add_co_u32_e32 v5, vcc, s89, v5
	v_addc_co_u32_e32 v6, vcc, v1, v6, vcc
	flat_load_dword v1, v[5:6]
	s_or_b64 s[12:13], s[12:13], exec
	s_waitcnt vmcnt(0) lgkmcnt(0)
	v_xor_b32_e32 v1, 0x80000000, v1
	s_or_b64 exec, exec, s[8:9]
	s_and_saveexec_b64 s[8:9], s[12:13]
	s_cbranch_execnz .LBB114_37
	s_branch .LBB114_38
.LBB114_1183:
	v_cmp_ne_u32_e32 vcc, v0, v1
	s_xor_b64 s[12:13], s[2:3], -1
	s_or_b64 s[14:15], s[12:13], vcc
	s_mov_b64 s[12:13], 0
	s_and_saveexec_b64 s[16:17], s[14:15]
	s_xor_b64 s[14:15], exec, s[16:17]
; %bb.1184:
	v_or_b32_e32 v5, v1, v0
	v_cmp_gt_u32_e32 vcc, 64, v5
	s_and_b64 s[12:13], vcc, exec
                                        ; implicit-def: $vgpr5_vgpr6
; %bb.1185:
	s_or_saveexec_b64 s[14:15], s[14:15]
	v_mov_b32_e32 v12, 0
	s_xor_b64 exec, exec, s[14:15]
	s_cbranch_execz .LBB114_1187
; %bb.1186:
	v_lshlrev_b64 v[5:6], 2, v[5:6]
	v_mov_b32_e32 v12, s90
	v_add_co_u32_e32 v5, vcc, s89, v5
	v_addc_co_u32_e32 v6, vcc, v12, v6, vcc
	flat_load_dword v5, v[5:6]
	s_or_b64 s[12:13], s[12:13], exec
	s_waitcnt vmcnt(0) lgkmcnt(0)
	v_div_scale_f32 v6, s[16:17], v5, v5, 1.0
	v_div_scale_f32 v12, vcc, 1.0, v5, 1.0
	v_rcp_f32_e32 v13, v6
	v_fma_f32 v14, -v6, v13, 1.0
	v_fmac_f32_e32 v13, v14, v13
	v_mul_f32_e32 v14, v12, v13
	v_fma_f32 v15, -v6, v14, v12
	v_fmac_f32_e32 v14, v15, v13
	v_fma_f32 v6, -v6, v14, v12
	v_div_fmas_f32 v6, v6, v13, v14
	v_div_fixup_f32 v12, v6, v5, 1.0
.LBB114_1187:
	s_or_b64 exec, exec, s[14:15]
	s_and_b64 s[12:13], s[12:13], exec
                                        ; implicit-def: $vgpr5_vgpr6
	s_andn2_saveexec_b64 s[8:9], s[8:9]
	s_cbranch_execz .LBB114_40
.LBB114_1188:
	v_lshlrev_b64 v[5:6], 2, v[5:6]
	v_mov_b32_e32 v12, s90
	v_add_co_u32_e32 v5, vcc, s89, v5
	v_addc_co_u32_e32 v6, vcc, v12, v6, vcc
	flat_load_dword v5, v[5:6]
	s_or_b64 s[12:13], s[12:13], exec
	s_waitcnt vmcnt(0) lgkmcnt(0)
	v_xor_b32_e32 v12, 0x80000000, v5
	s_or_b64 exec, exec, s[8:9]
	s_and_saveexec_b64 s[8:9], s[12:13]
	s_cbranch_execnz .LBB114_41
	s_branch .LBB114_42
.LBB114_1189:
	v_cmp_ne_u32_e32 vcc, v0, v1
	s_xor_b64 s[12:13], s[2:3], -1
	s_or_b64 s[14:15], s[12:13], vcc
	s_mov_b64 s[12:13], 0
	s_and_saveexec_b64 s[16:17], s[14:15]
	s_xor_b64 s[14:15], exec, s[16:17]
; %bb.1190:
	v_or_b32_e32 v5, v1, v0
	v_cmp_gt_u32_e32 vcc, 64, v5
	s_and_b64 s[12:13], vcc, exec
                                        ; implicit-def: $vgpr5_vgpr6
; %bb.1191:
	s_or_saveexec_b64 s[14:15], s[14:15]
	v_mov_b32_e32 v12, 0
	s_xor_b64 exec, exec, s[14:15]
	s_cbranch_execz .LBB114_1193
; %bb.1192:
	v_lshlrev_b64 v[5:6], 2, v[5:6]
	v_mov_b32_e32 v12, s90
	v_add_co_u32_e32 v5, vcc, s89, v5
	v_addc_co_u32_e32 v6, vcc, v12, v6, vcc
	flat_load_dword v5, v[5:6]
	s_or_b64 s[12:13], s[12:13], exec
	s_waitcnt vmcnt(0) lgkmcnt(0)
	v_div_scale_f32 v6, s[16:17], v5, v5, 1.0
	v_div_scale_f32 v12, vcc, 1.0, v5, 1.0
	v_rcp_f32_e32 v13, v6
	v_fma_f32 v14, -v6, v13, 1.0
	v_fmac_f32_e32 v13, v14, v13
	v_mul_f32_e32 v14, v12, v13
	v_fma_f32 v15, -v6, v14, v12
	v_fmac_f32_e32 v14, v15, v13
	v_fma_f32 v6, -v6, v14, v12
	v_div_fmas_f32 v6, v6, v13, v14
	v_div_fixup_f32 v12, v6, v5, 1.0
.LBB114_1193:
	s_or_b64 exec, exec, s[14:15]
	s_and_b64 s[12:13], s[12:13], exec
                                        ; implicit-def: $vgpr5_vgpr6
	s_andn2_saveexec_b64 s[8:9], s[8:9]
	s_cbranch_execz .LBB114_44
.LBB114_1194:
	v_lshlrev_b64 v[5:6], 2, v[5:6]
	v_mov_b32_e32 v12, s90
	v_add_co_u32_e32 v5, vcc, s89, v5
	v_addc_co_u32_e32 v6, vcc, v12, v6, vcc
	flat_load_dword v5, v[5:6]
	s_or_b64 s[12:13], s[12:13], exec
	s_waitcnt vmcnt(0) lgkmcnt(0)
	v_xor_b32_e32 v12, 0x80000000, v5
	s_or_b64 exec, exec, s[8:9]
	s_and_saveexec_b64 s[8:9], s[12:13]
	s_cbranch_execnz .LBB114_45
	s_branch .LBB114_46
.LBB114_1195:
	s_or_b64 exec, exec, s[10:11]
	s_and_b64 vcc, exec, s[8:9]
	s_cbranch_vccnz .LBB114_1139
.LBB114_1196:
	v_mov_b32_e32 v12, v4
	s_and_saveexec_b64 s[2:3], s[6:7]
	s_cbranch_execnz .LBB114_1202
	s_branch .LBB114_1203
.LBB114_1197:
	s_mov_b64 s[4:5], 0
.LBB114_1198:
	v_cmp_gt_i32_e32 vcc, s88, v0
	s_and_b64 s[2:3], s[2:3], vcc
	s_andn2_b64 s[4:5], s[4:5], exec
	s_and_b64 s[2:3], s[2:3], exec
	s_or_b64 s[4:5], s[4:5], s[2:3]
.LBB114_1199:
                                        ; implicit-def: $vgpr1_vgpr2
	s_and_saveexec_b64 s[2:3], s[4:5]
	s_cbranch_execz .LBB114_1201
; %bb.1200:
	v_mov_b32_e32 v0, s44
	v_add_co_u32_e32 v1, vcc, s33, v11
	v_addc_co_u32_e32 v0, vcc, 0, v0, vcc
	v_mul_lo_u32 v0, v0, s26
	v_mul_lo_u32 v3, v1, s27
	v_mad_u64_u32 v[1:2], s[4:5], v1, s26, 0
	s_or_b64 s[6:7], s[6:7], exec
	v_add3_u32 v2, v2, v3, v0
.LBB114_1201:
	s_or_b64 exec, exec, s[2:3]
	s_and_saveexec_b64 s[2:3], s[6:7]
	s_cbranch_execz .LBB114_1203
.LBB114_1202:
	v_lshlrev_b64 v[0:1], 2, v[1:2]
	v_mov_b32_e32 v2, s21
	v_add_co_u32_e32 v0, vcc, s20, v0
	v_addc_co_u32_e32 v1, vcc, v2, v1, vcc
	flat_store_dword v[0:1], v12
.LBB114_1203:
	s_or_b64 exec, exec, s[2:3]
	v_cmp_eq_u32_e32 vcc, 0, v11
	s_waitcnt vmcnt(0) lgkmcnt(0)
	buffer_wbinvl1_vol
	s_barrier
	s_and_saveexec_b64 s[2:3], vcc
	s_cbranch_execz .LBB114_1205
; %bb.1204:
	s_lshl_b64 s[4:5], s[24:25], 2
	s_add_u32 s0, s0, s4
	s_addc_u32 s1, s1, s5
	v_mov_b32_e32 v0, 0
	global_load_dword v1, v0, s[0:1]
	s_waitcnt vmcnt(0)
	v_add_u32_e32 v1, 1, v1
	global_store_dword v0, v1, s[0:1]
.LBB114_1205:
	s_or_b64 exec, exec, s[2:3]
	s_waitcnt vmcnt(0)
	buffer_wbinvl1_vol
	s_endpgm
.LBB114_1206:
	ds_read_b32 v16, v15 offset:15840
	ds_read_b32 v17, v14 offset:15604
	s_waitcnt lgkmcnt(0)
	v_fmac_f32_e32 v13, v16, v17
	s_or_b64 exec, exec, s[14:15]
	v_cmp_gt_u32_e64 s[10:11], 8, v5
	s_and_saveexec_b64 s[14:15], s[10:11]
	s_cbranch_execz .LBB114_79
.LBB114_1207:
	ds_read_b32 v15, v15 offset:16096
	ds_read_b32 v14, v14 offset:15608
	s_waitcnt lgkmcnt(0)
	v_fmac_f32_e32 v13, v15, v14
	s_or_b64 exec, exec, s[14:15]
	v_cmp_gt_u32_e64 s[10:11], 4, v5
	s_and_saveexec_b64 s[14:15], s[10:11]
	s_cbranch_execnz .LBB114_80
	s_branch .LBB114_81
.LBB114_1208:
	ds_read_b32 v19, v18 offset:14784
	ds_read_b32 v20, v17 offset:14564
	s_waitcnt lgkmcnt(0)
	v_fmac_f32_e32 v16, v19, v20
	s_or_b64 exec, exec, s[16:17]
	v_cmp_gt_u32_e64 s[14:15], 48, v5
	s_and_saveexec_b64 s[16:17], s[14:15]
	s_cbranch_execz .LBB114_121
.LBB114_1209:
	ds_read_b32 v19, v18 offset:15040
	ds_read_b32 v20, v17 offset:14568
	s_waitcnt lgkmcnt(0)
	v_fmac_f32_e32 v16, v19, v20
	s_or_b64 exec, exec, s[16:17]
	v_cmp_gt_u32_e64 s[14:15], 40, v5
	s_and_saveexec_b64 s[16:17], s[14:15]
	s_cbranch_execz .LBB114_122
.LBB114_1210:
	ds_read_b32 v19, v18 offset:15296
	ds_read_b32 v20, v17 offset:14572
	s_waitcnt lgkmcnt(0)
	v_fmac_f32_e32 v16, v19, v20
	s_or_b64 exec, exec, s[16:17]
	v_cmp_gt_u32_e64 s[14:15], 32, v5
	s_and_saveexec_b64 s[16:17], s[14:15]
	s_cbranch_execz .LBB114_123
.LBB114_1211:
	ds_read_b32 v19, v18 offset:15552
	ds_read_b32 v20, v17 offset:14576
	s_waitcnt lgkmcnt(0)
	v_fmac_f32_e32 v16, v19, v20
	s_or_b64 exec, exec, s[16:17]
	v_cmp_gt_u32_e64 s[14:15], 24, v5
	s_and_saveexec_b64 s[16:17], s[14:15]
	s_cbranch_execz .LBB114_124
.LBB114_1212:
	ds_read_b32 v19, v18 offset:15808
	ds_read_b32 v20, v17 offset:14580
	s_waitcnt lgkmcnt(0)
	v_fmac_f32_e32 v16, v19, v20
	s_or_b64 exec, exec, s[16:17]
	s_and_saveexec_b64 s[14:15], s[18:19]
	s_cbranch_execz .LBB114_125
.LBB114_1213:
	ds_read_b32 v18, v18 offset:16064
	ds_read_b32 v17, v17 offset:14584
	s_waitcnt lgkmcnt(0)
	v_fmac_f32_e32 v16, v18, v17
	s_or_b64 exec, exec, s[14:15]
	v_cmp_gt_u32_e64 s[14:15], 8, v5
	s_and_saveexec_b64 s[16:17], s[14:15]
	s_cbranch_execnz .LBB114_126
	s_branch .LBB114_127
.LBB114_1214:
	ds_read_b32 v19, v18 offset:13760
	ds_read_b32 v20, v17 offset:13524
	s_waitcnt lgkmcnt(0)
	v_fmac_f32_e32 v16, v19, v20
	s_or_b64 exec, exec, s[14:15]
	v_cmp_gt_u32_e64 s[10:11], 8, v5
	s_and_saveexec_b64 s[14:15], s[10:11]
	s_cbranch_execz .LBB114_183
.LBB114_1215:
	ds_read_b32 v18, v18 offset:14016
	ds_read_b32 v17, v17 offset:13528
	s_waitcnt lgkmcnt(0)
	v_fmac_f32_e32 v16, v18, v17
	s_or_b64 exec, exec, s[14:15]
	v_cmp_gt_u32_e64 s[10:11], 4, v5
	s_and_saveexec_b64 s[14:15], s[10:11]
	s_cbranch_execnz .LBB114_184
	s_branch .LBB114_185
.LBB114_1216:
	ds_read_b32 v22, v21 offset:15232
	ds_read_b32 v23, v20 offset:12524
	s_waitcnt lgkmcnt(0)
	v_fmac_f32_e32 v19, v22, v23
	s_or_b64 exec, exec, s[20:21]
	s_and_saveexec_b64 s[16:17], s[8:9]
	s_cbranch_execz .LBB114_245
.LBB114_1217:
	ds_read_b32 v22, v21 offset:15488
	ds_read_b32 v23, v20 offset:12528
	s_waitcnt lgkmcnt(0)
	v_fmac_f32_e32 v19, v22, v23
	s_or_b64 exec, exec, s[16:17]
	v_cmp_gt_u32_e64 s[16:17], 48, v5
	s_and_saveexec_b64 s[20:21], s[16:17]
	s_cbranch_execz .LBB114_246
.LBB114_1218:
	ds_read_b32 v22, v21 offset:15744
	ds_read_b32 v23, v20 offset:12532
	s_waitcnt lgkmcnt(0)
	v_fmac_f32_e32 v19, v22, v23
	s_or_b64 exec, exec, s[20:21]
	v_cmp_gt_u32_e64 s[16:17], 32, v5
	s_and_saveexec_b64 s[20:21], s[16:17]
	s_cbranch_execz .LBB114_247
.LBB114_1219:
	ds_read_b32 v21, v21 offset:16000
	ds_read_b32 v20, v20 offset:12536
	s_waitcnt lgkmcnt(0)
	v_fmac_f32_e32 v19, v21, v20
	s_or_b64 exec, exec, s[20:21]
	v_cmp_gt_u32_e64 s[16:17], 16, v5
	s_and_saveexec_b64 s[20:21], s[16:17]
	s_cbranch_execnz .LBB114_248
	s_branch .LBB114_249
.LBB114_1220:
	ds_read_b32 v22, v21 offset:11680
	ds_read_b32 v23, v20 offset:11444
	s_waitcnt lgkmcnt(0)
	v_fmac_f32_e32 v19, v22, v23
	s_or_b64 exec, exec, s[20:21]
	v_cmp_gt_u32_e64 s[14:15], 8, v5
	s_and_saveexec_b64 s[20:21], s[14:15]
	s_cbranch_execz .LBB114_337
.LBB114_1221:
	ds_read_b32 v21, v21 offset:11936
	ds_read_b32 v20, v20 offset:11448
	s_waitcnt lgkmcnt(0)
	v_fmac_f32_e32 v19, v21, v20
	s_or_b64 exec, exec, s[20:21]
	v_cmp_gt_u32_e64 s[14:15], 4, v5
	s_and_saveexec_b64 s[20:21], s[14:15]
	s_cbranch_execnz .LBB114_338
	s_branch .LBB114_339
.LBB114_1222:
	ds_read_b32 v22, v21 offset:10624
	ds_read_b32 v23, v20 offset:10404
	s_waitcnt lgkmcnt(0)
	v_fmac_f32_e32 v19, v22, v23
	s_or_b64 exec, exec, s[20:21]
	v_cmp_gt_u32_e64 s[14:15], 48, v5
	s_and_saveexec_b64 s[20:21], s[14:15]
	s_cbranch_execz .LBB114_379
.LBB114_1223:
	ds_read_b32 v22, v21 offset:10880
	ds_read_b32 v23, v20 offset:10408
	s_waitcnt lgkmcnt(0)
	v_fmac_f32_e32 v19, v22, v23
	s_or_b64 exec, exec, s[20:21]
	v_cmp_gt_u32_e64 s[14:15], 40, v5
	s_and_saveexec_b64 s[20:21], s[14:15]
	s_cbranch_execz .LBB114_380
.LBB114_1224:
	ds_read_b32 v22, v21 offset:11136
	ds_read_b32 v23, v20 offset:10412
	s_waitcnt lgkmcnt(0)
	v_fmac_f32_e32 v19, v22, v23
	s_or_b64 exec, exec, s[20:21]
	v_cmp_gt_u32_e64 s[14:15], 32, v5
	s_and_saveexec_b64 s[20:21], s[14:15]
	s_cbranch_execz .LBB114_381
.LBB114_1225:
	ds_read_b32 v22, v21 offset:11392
	ds_read_b32 v23, v20 offset:10416
	s_waitcnt lgkmcnt(0)
	v_fmac_f32_e32 v19, v22, v23
	s_or_b64 exec, exec, s[20:21]
	v_cmp_gt_u32_e64 s[14:15], 24, v5
	s_and_saveexec_b64 s[20:21], s[14:15]
	s_cbranch_execz .LBB114_382
.LBB114_1226:
	ds_read_b32 v22, v21 offset:11648
	ds_read_b32 v23, v20 offset:10420
	s_waitcnt lgkmcnt(0)
	v_fmac_f32_e32 v19, v22, v23
	s_or_b64 exec, exec, s[20:21]
	s_and_saveexec_b64 s[14:15], s[18:19]
	s_cbranch_execz .LBB114_383
.LBB114_1227:
	ds_read_b32 v21, v21 offset:11904
	ds_read_b32 v20, v20 offset:10424
	s_waitcnt lgkmcnt(0)
	v_fmac_f32_e32 v19, v21, v20
	s_or_b64 exec, exec, s[14:15]
	v_cmp_gt_u32_e64 s[14:15], 8, v5
	s_and_saveexec_b64 s[20:21], s[14:15]
	s_cbranch_execnz .LBB114_384
	s_branch .LBB114_385
.LBB114_1228:
	ds_read_b32 v22, v21 offset:9600
	ds_read_b32 v23, v20 offset:9364
	s_waitcnt lgkmcnt(0)
	v_fmac_f32_e32 v19, v22, v23
	s_or_b64 exec, exec, s[20:21]
	v_cmp_gt_u32_e64 s[14:15], 8, v5
	s_and_saveexec_b64 s[20:21], s[14:15]
	s_cbranch_execz .LBB114_441
.LBB114_1229:
	ds_read_b32 v21, v21 offset:9856
	ds_read_b32 v20, v20 offset:9368
	s_waitcnt lgkmcnt(0)
	v_fmac_f32_e32 v19, v21, v20
	s_or_b64 exec, exec, s[20:21]
	v_cmp_gt_u32_e64 s[14:15], 4, v5
	s_and_saveexec_b64 s[20:21], s[14:15]
	s_cbranch_execnz .LBB114_442
	s_branch .LBB114_443
.LBB114_1230:
	ds_read_b32 v25, v24 offset:15616
	ds_read_b32 v26, v23 offset:8436
	s_waitcnt lgkmcnt(0)
	v_fmac_f32_e32 v21, v25, v26
	s_or_b64 exec, exec, s[22:23]
	s_and_saveexec_b64 s[20:21], s[8:9]
	s_cbranch_execz .LBB114_539
.LBB114_1231:
	ds_read_b32 v24, v24 offset:15872
	ds_read_b32 v23, v23 offset:8440
	s_waitcnt lgkmcnt(0)
	v_fmac_f32_e32 v21, v24, v23
	s_or_b64 exec, exec, s[20:21]
	v_cmp_gt_u32_e64 s[20:21], 32, v5
	s_and_saveexec_b64 s[22:23], s[20:21]
	s_cbranch_execnz .LBB114_540
	s_branch .LBB114_541
.LBB114_1232:
	ds_read_b32 v22, v21 offset:7520
	ds_read_b32 v23, v20 offset:7284
	s_waitcnt lgkmcnt(0)
	v_fmac_f32_e32 v19, v22, v23
	s_or_b64 exec, exec, s[16:17]
	v_cmp_gt_u32_e64 s[12:13], 8, v5
	s_and_saveexec_b64 s[16:17], s[12:13]
	s_cbranch_execz .LBB114_693
.LBB114_1233:
	ds_read_b32 v21, v21 offset:7776
	ds_read_b32 v20, v20 offset:7288
	s_waitcnt lgkmcnt(0)
	v_fmac_f32_e32 v19, v21, v20
	s_or_b64 exec, exec, s[16:17]
	v_cmp_gt_u32_e64 s[12:13], 4, v5
	s_and_saveexec_b64 s[16:17], s[12:13]
	s_cbranch_execnz .LBB114_694
	s_branch .LBB114_695
.LBB114_1234:
	ds_read_b32 v22, v21 offset:6464
	ds_read_b32 v23, v20 offset:6244
	s_waitcnt lgkmcnt(0)
	v_fmac_f32_e32 v19, v22, v23
	s_or_b64 exec, exec, s[16:17]
	v_cmp_gt_u32_e64 s[12:13], 48, v5
	s_and_saveexec_b64 s[16:17], s[12:13]
	s_cbranch_execz .LBB114_735
.LBB114_1235:
	ds_read_b32 v22, v21 offset:6720
	ds_read_b32 v23, v20 offset:6248
	s_waitcnt lgkmcnt(0)
	v_fmac_f32_e32 v19, v22, v23
	s_or_b64 exec, exec, s[16:17]
	v_cmp_gt_u32_e64 s[12:13], 40, v5
	s_and_saveexec_b64 s[16:17], s[12:13]
	s_cbranch_execz .LBB114_736
.LBB114_1236:
	ds_read_b32 v22, v21 offset:6976
	ds_read_b32 v23, v20 offset:6252
	s_waitcnt lgkmcnt(0)
	v_fmac_f32_e32 v19, v22, v23
	s_or_b64 exec, exec, s[16:17]
	v_cmp_gt_u32_e64 s[12:13], 32, v5
	s_and_saveexec_b64 s[16:17], s[12:13]
	s_cbranch_execz .LBB114_737
.LBB114_1237:
	ds_read_b32 v22, v21 offset:7232
	ds_read_b32 v23, v20 offset:6256
	s_waitcnt lgkmcnt(0)
	v_fmac_f32_e32 v19, v22, v23
	s_or_b64 exec, exec, s[16:17]
	v_cmp_gt_u32_e64 s[12:13], 24, v5
	s_and_saveexec_b64 s[16:17], s[12:13]
	s_cbranch_execz .LBB114_738
.LBB114_1238:
	ds_read_b32 v22, v21 offset:7488
	ds_read_b32 v23, v20 offset:6260
	s_waitcnt lgkmcnt(0)
	v_fmac_f32_e32 v19, v22, v23
	s_or_b64 exec, exec, s[16:17]
	s_and_saveexec_b64 s[12:13], s[18:19]
	s_cbranch_execz .LBB114_739
.LBB114_1239:
	ds_read_b32 v21, v21 offset:7744
	ds_read_b32 v20, v20 offset:6264
	s_waitcnt lgkmcnt(0)
	v_fmac_f32_e32 v19, v21, v20
	s_or_b64 exec, exec, s[12:13]
	v_cmp_gt_u32_e64 s[12:13], 8, v5
	s_and_saveexec_b64 s[16:17], s[12:13]
	s_cbranch_execnz .LBB114_740
	s_branch .LBB114_741
.LBB114_1240:
	ds_read_b32 v22, v21 offset:5440
	ds_read_b32 v23, v20 offset:5204
	s_waitcnt lgkmcnt(0)
	v_fmac_f32_e32 v19, v22, v23
	s_or_b64 exec, exec, s[16:17]
	v_cmp_gt_u32_e64 s[12:13], 8, v5
	s_and_saveexec_b64 s[16:17], s[12:13]
	s_cbranch_execz .LBB114_797
.LBB114_1241:
	ds_read_b32 v21, v21 offset:5696
	ds_read_b32 v20, v20 offset:5208
	s_waitcnt lgkmcnt(0)
	v_fmac_f32_e32 v19, v21, v20
	s_or_b64 exec, exec, s[16:17]
	v_cmp_gt_u32_e64 s[12:13], 4, v5
	s_and_saveexec_b64 s[16:17], s[12:13]
	s_cbranch_execnz .LBB114_798
	s_branch .LBB114_799
.LBB114_1242:
	ds_read_b32 v22, v21 offset:6912
	ds_read_b32 v23, v20 offset:4204
	s_waitcnt lgkmcnt(0)
	v_fmac_f32_e32 v19, v22, v23
	s_or_b64 exec, exec, s[16:17]
	s_and_saveexec_b64 s[12:13], s[8:9]
	s_cbranch_execz .LBB114_859
.LBB114_1243:
	ds_read_b32 v22, v21 offset:7168
	ds_read_b32 v23, v20 offset:4208
	s_waitcnt lgkmcnt(0)
	v_fmac_f32_e32 v19, v22, v23
	s_or_b64 exec, exec, s[12:13]
	v_cmp_gt_u32_e64 s[12:13], 48, v5
	s_and_saveexec_b64 s[16:17], s[12:13]
	s_cbranch_execz .LBB114_860
.LBB114_1244:
	ds_read_b32 v22, v21 offset:7424
	ds_read_b32 v23, v20 offset:4212
	s_waitcnt lgkmcnt(0)
	v_fmac_f32_e32 v19, v22, v23
	s_or_b64 exec, exec, s[16:17]
	v_cmp_gt_u32_e64 s[12:13], 32, v5
	s_and_saveexec_b64 s[16:17], s[12:13]
	s_cbranch_execz .LBB114_861
.LBB114_1245:
	ds_read_b32 v21, v21 offset:7680
	ds_read_b32 v20, v20 offset:4216
	s_waitcnt lgkmcnt(0)
	v_fmac_f32_e32 v19, v21, v20
	s_or_b64 exec, exec, s[16:17]
	v_cmp_gt_u32_e64 s[12:13], 16, v5
	s_and_saveexec_b64 s[16:17], s[12:13]
	s_cbranch_execnz .LBB114_862
	s_branch .LBB114_863
.LBB114_1246:
	ds_read_b32 v19, v18 offset:3360
	ds_read_b32 v20, v17 offset:3124
	s_waitcnt lgkmcnt(0)
	v_fmac_f32_e32 v16, v19, v20
	s_or_b64 exec, exec, s[12:13]
	v_cmp_gt_u32_e64 s[10:11], 8, v5
	s_and_saveexec_b64 s[12:13], s[10:11]
	s_cbranch_execz .LBB114_951
.LBB114_1247:
	ds_read_b32 v18, v18 offset:3616
	ds_read_b32 v17, v17 offset:3128
	s_waitcnt lgkmcnt(0)
	v_fmac_f32_e32 v16, v18, v17
	s_or_b64 exec, exec, s[12:13]
	v_cmp_gt_u32_e64 s[10:11], 4, v5
	s_and_saveexec_b64 s[12:13], s[10:11]
	s_cbranch_execnz .LBB114_952
	s_branch .LBB114_953
.LBB114_1248:
	ds_read_b32 v19, v18 offset:2304
	ds_read_b32 v20, v17 offset:2084
	s_waitcnt lgkmcnt(0)
	v_fmac_f32_e32 v16, v19, v20
	s_or_b64 exec, exec, s[12:13]
	v_cmp_gt_u32_e64 s[10:11], 48, v5
	s_and_saveexec_b64 s[12:13], s[10:11]
	s_cbranch_execz .LBB114_993
.LBB114_1249:
	ds_read_b32 v19, v18 offset:2560
	ds_read_b32 v20, v17 offset:2088
	s_waitcnt lgkmcnt(0)
	v_fmac_f32_e32 v16, v19, v20
	s_or_b64 exec, exec, s[12:13]
	v_cmp_gt_u32_e64 s[10:11], 40, v5
	s_and_saveexec_b64 s[12:13], s[10:11]
	s_cbranch_execz .LBB114_994
.LBB114_1250:
	ds_read_b32 v19, v18 offset:2816
	ds_read_b32 v20, v17 offset:2092
	s_waitcnt lgkmcnt(0)
	v_fmac_f32_e32 v16, v19, v20
	s_or_b64 exec, exec, s[12:13]
	v_cmp_gt_u32_e64 s[10:11], 32, v5
	s_and_saveexec_b64 s[12:13], s[10:11]
	s_cbranch_execz .LBB114_995
.LBB114_1251:
	ds_read_b32 v19, v18 offset:3072
	ds_read_b32 v20, v17 offset:2096
	s_waitcnt lgkmcnt(0)
	v_fmac_f32_e32 v16, v19, v20
	s_or_b64 exec, exec, s[12:13]
	v_cmp_gt_u32_e64 s[10:11], 24, v5
	s_and_saveexec_b64 s[12:13], s[10:11]
	s_cbranch_execz .LBB114_996
.LBB114_1252:
	ds_read_b32 v19, v18 offset:3328
	ds_read_b32 v20, v17 offset:2100
	s_waitcnt lgkmcnt(0)
	v_fmac_f32_e32 v16, v19, v20
	s_or_b64 exec, exec, s[12:13]
	s_and_saveexec_b64 s[10:11], s[18:19]
	s_cbranch_execz .LBB114_997
.LBB114_1253:
	ds_read_b32 v18, v18 offset:3584
	ds_read_b32 v17, v17 offset:2104
	s_waitcnt lgkmcnt(0)
	v_fmac_f32_e32 v16, v18, v17
	s_or_b64 exec, exec, s[10:11]
	v_cmp_gt_u32_e64 s[10:11], 8, v5
	s_and_saveexec_b64 s[12:13], s[10:11]
	s_cbranch_execnz .LBB114_998
	s_branch .LBB114_999
.LBB114_1254:
	ds_read_b32 v16, v15 offset:1280
	ds_read_b32 v17, v14 offset:1044
	s_waitcnt lgkmcnt(0)
	v_fmac_f32_e32 v13, v16, v17
	s_or_b64 exec, exec, s[10:11]
	v_cmp_gt_u32_e64 s[8:9], 8, v5
	s_and_saveexec_b64 s[10:11], s[8:9]
	s_cbranch_execz .LBB114_1055
.LBB114_1255:
	ds_read_b32 v15, v15 offset:1536
	ds_read_b32 v14, v14 offset:1048
	s_waitcnt lgkmcnt(0)
	v_fmac_f32_e32 v13, v15, v14
	s_or_b64 exec, exec, s[10:11]
	v_cmp_gt_u32_e64 s[8:9], 4, v5
	s_and_saveexec_b64 s[10:11], s[8:9]
	s_cbranch_execnz .LBB114_1056
	s_branch .LBB114_1057
	.section	.rodata,"a",@progbits
	.p2align	6, 0x0
	.amdhsa_kernel _ZL19rocblas_trsv_deviceILi64ELi16ELb0ELb1ELb1ELb0EffPKPKfPKPfEviT7_lllT6_T8_lllPii
		.amdhsa_group_segment_fixed_size 20740
		.amdhsa_private_segment_fixed_size 0
		.amdhsa_kernarg_size 352
		.amdhsa_user_sgpr_count 6
		.amdhsa_user_sgpr_private_segment_buffer 1
		.amdhsa_user_sgpr_dispatch_ptr 0
		.amdhsa_user_sgpr_queue_ptr 0
		.amdhsa_user_sgpr_kernarg_segment_ptr 1
		.amdhsa_user_sgpr_dispatch_id 0
		.amdhsa_user_sgpr_flat_scratch_init 0
		.amdhsa_user_sgpr_private_segment_size 0
		.amdhsa_uses_dynamic_stack 0
		.amdhsa_system_sgpr_private_segment_wavefront_offset 0
		.amdhsa_system_sgpr_workgroup_id_x 1
		.amdhsa_system_sgpr_workgroup_id_y 0
		.amdhsa_system_sgpr_workgroup_id_z 1
		.amdhsa_system_sgpr_workgroup_info 0
		.amdhsa_system_vgpr_workitem_id 1
		.amdhsa_next_free_vgpr 29
		.amdhsa_next_free_sgpr 96
		.amdhsa_reserve_vcc 1
		.amdhsa_reserve_flat_scratch 0
		.amdhsa_float_round_mode_32 0
		.amdhsa_float_round_mode_16_64 0
		.amdhsa_float_denorm_mode_32 3
		.amdhsa_float_denorm_mode_16_64 3
		.amdhsa_dx10_clamp 1
		.amdhsa_ieee_mode 1
		.amdhsa_fp16_overflow 0
		.amdhsa_exception_fp_ieee_invalid_op 0
		.amdhsa_exception_fp_denorm_src 0
		.amdhsa_exception_fp_ieee_div_zero 0
		.amdhsa_exception_fp_ieee_overflow 0
		.amdhsa_exception_fp_ieee_underflow 0
		.amdhsa_exception_fp_ieee_inexact 0
		.amdhsa_exception_int_div_zero 0
	.end_amdhsa_kernel
	.section	.text._ZL19rocblas_trsv_deviceILi64ELi16ELb0ELb1ELb1ELb0EffPKPKfPKPfEviT7_lllT6_T8_lllPii,"axG",@progbits,_ZL19rocblas_trsv_deviceILi64ELi16ELb0ELb1ELb1ELb0EffPKPKfPKPfEviT7_lllT6_T8_lllPii,comdat
.Lfunc_end114:
	.size	_ZL19rocblas_trsv_deviceILi64ELi16ELb0ELb1ELb1ELb0EffPKPKfPKPfEviT7_lllT6_T8_lllPii, .Lfunc_end114-_ZL19rocblas_trsv_deviceILi64ELi16ELb0ELb1ELb1ELb0EffPKPKfPKPfEviT7_lllT6_T8_lllPii
                                        ; -- End function
	.set _ZL19rocblas_trsv_deviceILi64ELi16ELb0ELb1ELb1ELb0EffPKPKfPKPfEviT7_lllT6_T8_lllPii.num_vgpr, 28
	.set _ZL19rocblas_trsv_deviceILi64ELi16ELb0ELb1ELb1ELb0EffPKPKfPKPfEviT7_lllT6_T8_lllPii.num_agpr, 0
	.set _ZL19rocblas_trsv_deviceILi64ELi16ELb0ELb1ELb1ELb0EffPKPKfPKPfEviT7_lllT6_T8_lllPii.numbered_sgpr, 96
	.set _ZL19rocblas_trsv_deviceILi64ELi16ELb0ELb1ELb1ELb0EffPKPKfPKPfEviT7_lllT6_T8_lllPii.num_named_barrier, 0
	.set _ZL19rocblas_trsv_deviceILi64ELi16ELb0ELb1ELb1ELb0EffPKPKfPKPfEviT7_lllT6_T8_lllPii.private_seg_size, 0
	.set _ZL19rocblas_trsv_deviceILi64ELi16ELb0ELb1ELb1ELb0EffPKPKfPKPfEviT7_lllT6_T8_lllPii.uses_vcc, 1
	.set _ZL19rocblas_trsv_deviceILi64ELi16ELb0ELb1ELb1ELb0EffPKPKfPKPfEviT7_lllT6_T8_lllPii.uses_flat_scratch, 0
	.set _ZL19rocblas_trsv_deviceILi64ELi16ELb0ELb1ELb1ELb0EffPKPKfPKPfEviT7_lllT6_T8_lllPii.has_dyn_sized_stack, 0
	.set _ZL19rocblas_trsv_deviceILi64ELi16ELb0ELb1ELb1ELb0EffPKPKfPKPfEviT7_lllT6_T8_lllPii.has_recursion, 0
	.set _ZL19rocblas_trsv_deviceILi64ELi16ELb0ELb1ELb1ELb0EffPKPKfPKPfEviT7_lllT6_T8_lllPii.has_indirect_call, 0
	.section	.AMDGPU.csdata,"",@progbits
; Kernel info:
; codeLenInByte = 40632
; TotalNumSgprs: 100
; NumVgprs: 28
; ScratchSize: 0
; MemoryBound: 0
; FloatMode: 240
; IeeeMode: 1
; LDSByteSize: 20740 bytes/workgroup (compile time only)
; SGPRBlocks: 12
; VGPRBlocks: 7
; NumSGPRsForWavesPerEU: 100
; NumVGPRsForWavesPerEU: 29
; Occupancy: 8
; WaveLimiterHint : 1
; COMPUTE_PGM_RSRC2:SCRATCH_EN: 0
; COMPUTE_PGM_RSRC2:USER_SGPR: 6
; COMPUTE_PGM_RSRC2:TRAP_HANDLER: 0
; COMPUTE_PGM_RSRC2:TGID_X_EN: 1
; COMPUTE_PGM_RSRC2:TGID_Y_EN: 0
; COMPUTE_PGM_RSRC2:TGID_Z_EN: 1
; COMPUTE_PGM_RSRC2:TIDIG_COMP_CNT: 1
	.section	.text._ZL19rocblas_trsv_deviceILi64ELi16ELb1ELb0ELb0ELb1EffPKPKfPKPfEviT7_lllT6_T8_lllPii,"axG",@progbits,_ZL19rocblas_trsv_deviceILi64ELi16ELb1ELb0ELb0ELb1EffPKPKfPKPfEviT7_lllT6_T8_lllPii,comdat
	.globl	_ZL19rocblas_trsv_deviceILi64ELi16ELb1ELb0ELb0ELb1EffPKPKfPKPfEviT7_lllT6_T8_lllPii ; -- Begin function _ZL19rocblas_trsv_deviceILi64ELi16ELb1ELb0ELb0ELb1EffPKPKfPKPfEviT7_lllT6_T8_lllPii
	.p2align	8
	.type	_ZL19rocblas_trsv_deviceILi64ELi16ELb1ELb0ELb0ELb1EffPKPKfPKPfEviT7_lllT6_T8_lllPii,@function
_ZL19rocblas_trsv_deviceILi64ELi16ELb1ELb0ELb0ELb1EffPKPKfPKPfEviT7_lllT6_T8_lllPii: ; @_ZL19rocblas_trsv_deviceILi64ELi16ELb1ELb0ELb0ELb1EffPKPKfPKPfEviT7_lllT6_T8_lllPii
; %bb.0:
	s_load_dwordx4 s[0:3], s[4:5], 0x8
	s_mov_b32 s20, s7
	s_mov_b32 s21, 0
	s_lshl_b64 s[8:9], s[20:21], 3
	s_waitcnt lgkmcnt(0)
	s_add_u32 s0, s0, s8
	s_addc_u32 s1, s1, s9
	s_load_dwordx2 s[10:11], s[0:1], 0x0
	s_load_dword s33, s[4:5], 0x0
	s_load_dwordx4 s[12:15], s[4:5], 0x30
	s_load_dwordx2 s[24:25], s[4:5], 0x18
	s_lshl_b64 s[0:1], s[2:3], 2
	s_waitcnt lgkmcnt(0)
	s_add_u32 s84, s10, s0
	s_addc_u32 s85, s11, s1
	s_add_u32 s0, s12, s8
	s_addc_u32 s1, s13, s9
	s_load_dwordx2 s[28:29], s[0:1], 0x0
	s_load_dwordx2 s[22:23], s[4:5], 0x40
	s_load_dword s16, s[4:5], 0x6c
	s_cmp_eq_u32 s6, 0
	s_cbranch_scc1 .LBB115_10
; %bb.1:
	s_lshl_b32 s2, s6, 6
	v_add_u32_e32 v2, s2, v1
	v_subrev_u32_e32 v4, 64, v2
	v_ashrrev_i32_e32 v2, 31, v4
	v_mul_lo_u32 v7, s24, v2
	v_mul_lo_u32 v8, s25, v4
	v_mad_u64_u32 v[2:3], s[0:1], s24, v4, 0
	v_add_u32_e32 v5, s2, v0
	v_ashrrev_i32_e32 v6, 31, v5
	v_add3_u32 v3, v3, v7, v8
	v_lshlrev_b64 v[2:3], 2, v[2:3]
	v_mov_b32_e32 v7, s85
	v_add_co_u32_e64 v8, s[0:1], s84, v2
	v_addc_co_u32_e64 v7, s[0:1], v7, v3, s[0:1]
	v_lshlrev_b64 v[2:3], 2, v[5:6]
	v_cmp_gt_i32_e32 vcc, s33, v5
	v_add_co_u32_e64 v2, s[0:1], v8, v2
	v_addc_co_u32_e64 v3, s[0:1], v7, v3, s[0:1]
	v_cmp_gt_i32_e64 s[0:1], s33, v4
	s_and_b64 s[2:3], vcc, s[0:1]
	v_mov_b32_e32 v8, 0
	v_mov_b32_e32 v7, 0
	s_waitcnt lgkmcnt(0)
	s_barrier
	s_and_saveexec_b64 s[0:1], s[2:3]
	s_cbranch_execz .LBB115_3
; %bb.2:
	flat_load_dword v7, v[2:3]
.LBB115_3:
	s_or_b64 exec, exec, s[0:1]
	v_add_u32_e32 v5, 16, v4
	v_cmp_gt_i32_e64 s[0:1], s33, v5
	s_and_b64 s[0:1], vcc, s[0:1]
	s_waitcnt vmcnt(0) lgkmcnt(0)
	s_barrier
	s_and_saveexec_b64 s[2:3], s[0:1]
	s_cbranch_execz .LBB115_5
; %bb.4:
	s_lshl_b64 s[0:1], s[24:25], 6
	v_mov_b32_e32 v6, s1
	v_add_co_u32_e64 v5, s[0:1], s0, v2
	v_addc_co_u32_e64 v6, s[0:1], v3, v6, s[0:1]
	flat_load_dword v8, v[5:6]
.LBB115_5:
	s_or_b64 exec, exec, s[2:3]
	v_add_u32_e32 v5, 32, v4
	v_cmp_gt_i32_e64 s[0:1], s33, v5
	s_and_b64 s[0:1], vcc, s[0:1]
	v_mov_b32_e32 v9, 0
	v_mov_b32_e32 v10, 0
	s_waitcnt vmcnt(0) lgkmcnt(0)
	s_barrier
	s_and_saveexec_b64 s[2:3], s[0:1]
	s_cbranch_execz .LBB115_7
; %bb.6:
	s_lshl_b64 s[0:1], s[24:25], 7
	v_mov_b32_e32 v6, s1
	v_add_co_u32_e64 v5, s[0:1], s0, v2
	v_addc_co_u32_e64 v6, s[0:1], v3, v6, s[0:1]
	flat_load_dword v10, v[5:6]
.LBB115_7:
	s_or_b64 exec, exec, s[2:3]
	v_add_u32_e32 v4, 48, v4
	v_cmp_gt_i32_e64 s[0:1], s33, v4
	s_and_b64 s[2:3], vcc, s[0:1]
	s_waitcnt vmcnt(0) lgkmcnt(0)
	s_barrier
	s_and_saveexec_b64 s[0:1], s[2:3]
	s_cbranch_execz .LBB115_9
; %bb.8:
	v_mov_b32_e32 v4, 0xc0
	v_mad_u64_u32 v[2:3], s[2:3], s24, v4, v[2:3]
	s_mul_i32 s2, s25, 0xc0
	v_add_u32_e32 v3, s2, v3
	flat_load_dword v9, v[2:3]
.LBB115_9:
	s_or_b64 exec, exec, s[0:1]
	s_branch .LBB115_11
.LBB115_10:
                                        ; implicit-def: $vgpr9
                                        ; implicit-def: $vgpr10
                                        ; implicit-def: $vgpr8
                                        ; implicit-def: $vgpr7
.LBB115_11:
	s_ashr_i32 s0, s33, 31
	s_lshr_b32 s0, s0, 26
	s_add_i32 s0, s33, s0
	s_andn2_b32 s0, s0, 63
	s_sub_i32 s7, s33, s0
	s_add_i32 s0, s33, -1
	s_ashr_i32 s1, s0, 31
	s_lshr_b32 s1, s1, 26
	s_add_i32 s0, s0, s1
	s_ashr_i32 s0, s0, 6
	s_cmp_eq_u32 s0, s6
	s_cselect_b64 s[0:1], -1, 0
	s_cmp_lg_u32 s7, 0
	s_cselect_b64 s[2:3], -1, 0
	s_and_b64 s[26:27], s[2:3], s[0:1]
	s_mov_b64 s[2:3], -1
	s_and_b64 vcc, exec, s[26:27]
	v_cmp_le_u32_e64 s[0:1], v0, v1
	v_lshlrev_b32_e32 v6, 2, v0
	s_cbranch_vccnz .LBB115_27
; %bb.12:
	s_add_u32 s2, s24, 1
	s_addc_u32 s3, s25, 0
	s_lshl_b32 s8, s6, 6
	s_ashr_i32 s9, s8, 31
	s_mul_hi_u32 s10, s2, s8
	s_mul_i32 s9, s2, s9
	s_add_i32 s9, s10, s9
	s_mul_i32 s3, s3, s8
	s_add_i32 s3, s9, s3
	s_mul_i32 s2, s2, s8
	s_lshl_b64 s[2:3], s[2:3], 2
	s_add_u32 s2, s84, s2
	s_addc_u32 s3, s85, s3
	v_lshlrev_b32_e32 v4, 2, v0
	v_mov_b32_e32 v3, s3
	v_add_co_u32_e32 v2, vcc, s2, v4
	v_mov_b32_e32 v5, 0
	v_addc_co_u32_e32 v3, vcc, 0, v3, vcc
	s_mov_b64 s[2:3], 0
	s_and_saveexec_b64 s[8:9], s[0:1]
	s_xor_b64 s[0:1], exec, s[8:9]
	s_cbranch_execnz .LBB115_1087
; %bb.13:
	s_andn2_saveexec_b64 s[0:1], s[0:1]
	s_cbranch_execnz .LBB115_1088
.LBB115_14:
	s_or_b64 exec, exec, s[0:1]
	s_and_saveexec_b64 s[0:1], s[2:3]
.LBB115_15:
	v_lshl_add_u32 v11, v1, 8, v4
	ds_write_b32 v11, v5
.LBB115_16:
	s_or_b64 exec, exec, s[0:1]
	v_add_u32_e32 v5, 16, v1
	v_cmp_le_u32_e32 vcc, v0, v5
	s_mov_b64 s[0:1], 0
	s_and_saveexec_b64 s[2:3], vcc
	s_xor_b64 s[2:3], exec, s[2:3]
	s_cbranch_execnz .LBB115_1089
; %bb.17:
	s_or_saveexec_b64 s[2:3], s[2:3]
	v_mov_b32_e32 v11, 0
	s_xor_b64 exec, exec, s[2:3]
	s_cbranch_execnz .LBB115_1090
.LBB115_18:
	s_or_b64 exec, exec, s[2:3]
	s_and_saveexec_b64 s[2:3], s[0:1]
.LBB115_19:
	v_lshl_add_u32 v5, v5, 8, v4
	ds_write_b32 v5, v11
.LBB115_20:
	s_or_b64 exec, exec, s[2:3]
	v_add_u32_e32 v5, 32, v1
	v_cmp_le_u32_e32 vcc, v0, v5
	s_mov_b64 s[0:1], 0
	s_and_saveexec_b64 s[2:3], vcc
	s_xor_b64 s[2:3], exec, s[2:3]
	s_cbranch_execnz .LBB115_1091
; %bb.21:
	s_or_saveexec_b64 s[2:3], s[2:3]
	v_mov_b32_e32 v11, 0
	s_xor_b64 exec, exec, s[2:3]
	s_cbranch_execnz .LBB115_1092
.LBB115_22:
	s_or_b64 exec, exec, s[2:3]
	s_and_saveexec_b64 s[2:3], s[0:1]
.LBB115_23:
	v_lshl_add_u32 v4, v5, 8, v4
	ds_write_b32 v4, v11
.LBB115_24:
	s_or_b64 exec, exec, s[2:3]
	v_add_u32_e32 v4, 48, v1
	v_cmp_le_u32_e32 vcc, v0, v4
	s_mov_b64 s[0:1], -1
	s_mov_b64 s[2:3], 0
	s_mov_b64 s[8:9], 0
	s_and_saveexec_b64 s[10:11], vcc
	s_xor_b64 s[10:11], exec, s[10:11]
; %bb.25:
	v_or_b32_e32 v5, v4, v0
	v_cmp_gt_u32_e32 vcc, 64, v5
	s_and_b64 s[8:9], vcc, exec
	s_xor_b64 s[0:1], exec, -1
; %bb.26:
	s_or_b64 exec, exec, s[10:11]
	v_lshl_add_u32 v5, v4, 6, v0
	s_and_b64 vcc, exec, s[2:3]
	s_cbranch_vccnz .LBB115_28
	s_branch .LBB115_43
.LBB115_27:
	s_mov_b64 s[0:1], 0
	s_mov_b64 s[8:9], 0
                                        ; implicit-def: $vgpr5
                                        ; implicit-def: $vgpr2_vgpr3
                                        ; implicit-def: $vgpr4
	s_and_b64 vcc, exec, s[2:3]
	s_cbranch_vccz .LBB115_43
.LBB115_28:
	s_add_u32 s0, s24, 1
	s_addc_u32 s1, s25, 0
	s_lshl_b32 s2, s6, 6
	s_ashr_i32 s3, s2, 31
	s_mul_hi_u32 s10, s0, s2
	s_mul_i32 s3, s0, s3
	s_add_i32 s3, s10, s3
	s_mul_i32 s1, s1, s2
	s_add_i32 s1, s3, s1
	s_mul_i32 s0, s0, s2
	s_lshl_b64 s[0:1], s[0:1], 2
	s_add_u32 s0, s84, s0
	s_addc_u32 s1, s85, s1
	v_lshlrev_b32_e32 v4, 2, v0
	v_mov_b32_e32 v3, s1
	v_add_co_u32_e64 v2, s[0:1], s0, v4
	v_addc_co_u32_e64 v3, s[0:1], 0, v3, s[0:1]
	v_max_i32_e32 v11, v1, v0
	v_cmp_le_u32_e64 s[0:1], v0, v1
	v_cmp_le_i32_e64 s[2:3], s7, v11
	v_cmp_gt_i32_e32 vcc, s7, v0
	v_mov_b32_e32 v5, 0
	s_or_b64 s[0:1], s[2:3], s[0:1]
	s_mov_b64 s[2:3], 0
	s_and_saveexec_b64 s[10:11], s[0:1]
	s_xor_b64 s[10:11], exec, s[10:11]
	s_cbranch_execnz .LBB115_1093
; %bb.29:
	s_andn2_saveexec_b64 s[10:11], s[10:11]
	s_cbranch_execnz .LBB115_1094
.LBB115_30:
	s_or_b64 exec, exec, s[10:11]
	s_and_saveexec_b64 s[0:1], s[2:3]
.LBB115_31:
	v_lshl_add_u32 v11, v1, 8, v4
	ds_write_b32 v11, v5
.LBB115_32:
	s_or_b64 exec, exec, s[0:1]
	v_add_u32_e32 v5, 16, v1
	v_cmp_gt_u32_e64 s[0:1], v0, v5
	v_cmp_gt_i32_e64 s[2:3], s7, v5
	s_and_b64 s[0:1], s[0:1], s[2:3]
	s_and_b64 s[0:1], s[0:1], vcc
	s_xor_b64 s[0:1], s[0:1], -1
	s_mov_b64 s[2:3], 0
	s_and_saveexec_b64 s[10:11], s[0:1]
	s_xor_b64 s[10:11], exec, s[10:11]
	s_cbranch_execnz .LBB115_1095
; %bb.33:
	s_or_saveexec_b64 s[10:11], s[10:11]
	v_mov_b32_e32 v11, 0
	s_xor_b64 exec, exec, s[10:11]
	s_cbranch_execnz .LBB115_1096
.LBB115_34:
	s_or_b64 exec, exec, s[10:11]
	s_and_saveexec_b64 s[0:1], s[2:3]
.LBB115_35:
	v_lshl_add_u32 v5, v5, 8, v4
	ds_write_b32 v5, v11
.LBB115_36:
	s_or_b64 exec, exec, s[0:1]
	v_add_u32_e32 v5, 32, v1
	v_cmp_gt_u32_e64 s[0:1], v0, v5
	v_cmp_gt_i32_e64 s[2:3], s7, v5
	s_and_b64 s[0:1], s[0:1], s[2:3]
	s_and_b64 s[0:1], s[0:1], vcc
	s_xor_b64 s[0:1], s[0:1], -1
	s_mov_b64 s[2:3], 0
	s_and_saveexec_b64 s[10:11], s[0:1]
	s_xor_b64 s[10:11], exec, s[10:11]
	s_cbranch_execnz .LBB115_1097
; %bb.37:
	s_or_saveexec_b64 s[10:11], s[10:11]
	v_mov_b32_e32 v11, 0
	s_xor_b64 exec, exec, s[10:11]
	s_cbranch_execnz .LBB115_1098
.LBB115_38:
	s_or_b64 exec, exec, s[10:11]
	s_and_saveexec_b64 s[0:1], s[2:3]
.LBB115_39:
	v_lshl_add_u32 v4, v5, 8, v4
	ds_write_b32 v4, v11
.LBB115_40:
	s_or_b64 exec, exec, s[0:1]
	v_add_u32_e32 v4, 48, v1
	v_cmp_gt_u32_e64 s[0:1], v0, v4
	v_cmp_gt_i32_e64 s[2:3], s7, v4
	s_and_b64 s[0:1], s[0:1], s[2:3]
	s_and_b64 s[2:3], s[0:1], vcc
	s_mov_b64 s[0:1], -1
	s_xor_b64 s[10:11], s[2:3], -1
	s_and_saveexec_b64 s[2:3], s[10:11]
; %bb.41:
	v_or_b32_e32 v5, v4, v0
	v_cmp_gt_u32_e32 vcc, 64, v5
	s_andn2_b64 s[0:1], s[8:9], exec
	s_and_b64 s[8:9], vcc, exec
	s_or_b64 s[8:9], s[0:1], s[8:9]
	s_xor_b64 s[0:1], exec, -1
; %bb.42:
	s_or_b64 exec, exec, s[2:3]
	v_lshl_add_u32 v5, v4, 6, v0
.LBB115_43:
	v_mov_b32_e32 v11, 0
	s_and_saveexec_b64 s[2:3], s[0:1]
	s_cbranch_execnz .LBB115_1065
; %bb.44:
	s_or_b64 exec, exec, s[2:3]
	s_and_saveexec_b64 s[0:1], s[8:9]
.LBB115_45:
	v_lshlrev_b32_e32 v2, 2, v5
	ds_write_b32 v2, v11
.LBB115_46:
	s_or_b64 exec, exec, s[0:1]
	s_cmp_lt_i32 s6, 5
	s_cselect_b64 s[0:1], -1, 0
	s_or_b64 s[30:31], s[0:1], s[26:27]
	s_and_b64 vcc, exec, s[30:31]
	s_waitcnt vmcnt(0) lgkmcnt(0)
	s_barrier
	s_cbranch_vccnz .LBB115_1022
; %bb.47:
	v_or_b32_e32 v2, v0, v1
	v_cmp_eq_u32_e32 vcc, 0, v2
	s_and_saveexec_b64 s[0:1], vcc
; %bb.48:
	v_mov_b32_e32 v2, 1.0
	v_mov_b32_e32 v3, 0
	ds_write2_b32 v3, v2, v2 offset1:65
; %bb.49:
	s_or_b64 exec, exec, s[0:1]
	v_lshl_add_u32 v4, v1, 6, v0
	v_and_b32_e32 v12, 1, v0
	v_lshrrev_b32_e32 v5, 1, v4
	v_lshlrev_b32_e32 v2, 2, v12
	v_cmp_lt_u32_e64 s[2:3], 3, v4
	v_cmp_gt_u32_e64 s[0:1], 4, v4
	v_lshl_or_b32 v2, v5, 8, v2
	v_mov_b32_e32 v11, 0
	s_waitcnt lgkmcnt(0)
	s_barrier
	s_and_saveexec_b64 s[10:11], s[0:1]
	s_cbranch_execz .LBB115_53
; %bb.50:
	v_mul_u32_u24_e32 v3, 0x104, v5
	ds_read_b32 v13, v2 offset:8
	ds_read_b32 v3, v3
	v_mov_b32_e32 v11, 0
	v_cmp_gt_u32_e64 s[8:9], 2, v4
	s_waitcnt lgkmcnt(0)
	v_fma_f32 v3, v13, v3, 0
	s_and_saveexec_b64 s[12:13], s[8:9]
	s_cbranch_execz .LBB115_52
; %bb.51:
	v_lshlrev_b32_e32 v13, 2, v0
	ds_read_b32 v13, v13 offset:264
	ds_read_b32 v11, v11 offset:4
	s_waitcnt lgkmcnt(0)
	v_fmac_f32_e32 v3, v13, v11
.LBB115_52:
	s_or_b64 exec, exec, s[12:13]
	v_xor_b32_e32 v11, 0x80000000, v3
.LBB115_53:
	s_or_b64 exec, exec, s[10:11]
	v_mov_b32_e32 v3, 0x4000
	v_cmp_eq_u32_e64 s[8:9], 0, v12
	s_xor_b64 s[10:11], s[2:3], -1
	v_lshl_add_u32 v3, v5, 2, v3
	s_and_b64 s[36:37], s[8:9], s[10:11]
	s_and_saveexec_b64 s[2:3], s[36:37]
; %bb.54:
	ds_write_b32 v3, v11
; %bb.55:
	s_or_b64 exec, exec, s[2:3]
	v_cmp_ne_u32_e64 s[2:3], 0, v12
	s_and_b64 s[34:35], s[2:3], s[10:11]
	s_waitcnt lgkmcnt(0)
	s_barrier
	s_and_saveexec_b64 s[2:3], s[34:35]
	s_cbranch_execz .LBB115_57
; %bb.56:
	v_mov_b32_e32 v12, 0
	ds_read_b32 v12, v12 offset:524
	ds_read_b32 v13, v3
	s_waitcnt lgkmcnt(0)
	v_fmac_f32_e32 v11, v12, v13
.LBB115_57:
	s_or_b64 exec, exec, s[2:3]
	s_barrier
	s_and_saveexec_b64 s[2:3], s[34:35]
; %bb.58:
	ds_write_b32 v3, v11
; %bb.59:
	s_or_b64 exec, exec, s[2:3]
	s_waitcnt lgkmcnt(0)
	s_barrier
	s_barrier
	s_and_saveexec_b64 s[2:3], s[0:1]
; %bb.60:
	v_xor_b32_e32 v11, 0x80000000, v11
	ds_write_b32 v2, v11 offset:8
; %bb.61:
	s_or_b64 exec, exec, s[2:3]
	s_waitcnt lgkmcnt(0)
	s_barrier
	s_barrier
	s_and_saveexec_b64 s[2:3], vcc
; %bb.62:
	v_mov_b32_e32 v11, 1.0
	v_mov_b32_e32 v12, 0
	ds_write2_b32 v12, v11, v11 offset0:130 offset1:195
; %bb.63:
	s_or_b64 exec, exec, s[2:3]
	v_and_b32_e32 v14, 3, v0
	v_lshrrev_b32_e32 v15, 2, v4
	v_lshlrev_b32_e32 v12, 2, v14
	v_cmp_lt_u32_e64 s[8:9], 15, v4
	v_cmp_gt_u32_e64 s[2:3], 16, v4
	v_lshl_or_b32 v11, v15, 8, v12
	v_mov_b32_e32 v16, 0
	s_waitcnt lgkmcnt(0)
	s_barrier
	s_and_saveexec_b64 s[12:13], s[2:3]
	s_cbranch_execz .LBB115_69
; %bb.64:
	v_mul_u32_u24_e32 v16, 0x104, v15
	ds_read_b32 v13, v11 offset:16
	ds_read_b32 v17, v16
	v_cmp_gt_u32_e64 s[10:11], 12, v4
	s_waitcnt lgkmcnt(0)
	v_fma_f32 v13, v13, v17, 0
	s_and_saveexec_b64 s[14:15], s[10:11]
	s_cbranch_execnz .LBB115_1110
; %bb.65:
	s_or_b64 exec, exec, s[14:15]
	v_cmp_gt_u32_e64 s[10:11], 8, v4
	s_and_saveexec_b64 s[14:15], s[10:11]
	s_cbranch_execnz .LBB115_1111
.LBB115_66:
	s_or_b64 exec, exec, s[14:15]
	v_cmp_gt_u32_e64 s[10:11], 4, v4
	s_and_saveexec_b64 s[14:15], s[10:11]
	s_cbranch_execz .LBB115_68
.LBB115_67:
	v_lshlrev_b32_e32 v16, 2, v0
	v_mov_b32_e32 v17, 0
	ds_read_b32 v16, v16 offset:784
	ds_read_b32 v17, v17 offset:12
	s_waitcnt lgkmcnt(0)
	v_fmac_f32_e32 v13, v16, v17
.LBB115_68:
	s_or_b64 exec, exec, s[14:15]
	v_xor_b32_e32 v16, 0x80000000, v13
.LBB115_69:
	s_or_b64 exec, exec, s[12:13]
	v_mov_b32_e32 v13, 0x4000
	v_cmp_eq_u32_e64 s[10:11], 0, v14
	s_xor_b64 s[12:13], s[8:9], -1
	v_lshl_add_u32 v13, v15, 2, v13
	s_and_b64 s[40:41], s[10:11], s[12:13]
	s_and_saveexec_b64 s[8:9], s[40:41]
; %bb.70:
	ds_write_b32 v13, v16
; %bb.71:
	s_or_b64 exec, exec, s[8:9]
	v_cmp_ne_u32_e64 s[8:9], 0, v14
	s_and_b64 s[42:43], s[8:9], s[12:13]
	s_waitcnt lgkmcnt(0)
	s_barrier
	s_and_saveexec_b64 s[8:9], s[42:43]
	s_cbranch_execz .LBB115_73
; %bb.72:
	ds_read_b32 v17, v12 offset:1040
	ds_read_b32 v18, v13
	s_waitcnt lgkmcnt(0)
	v_fmac_f32_e32 v16, v17, v18
.LBB115_73:
	s_or_b64 exec, exec, s[8:9]
	v_cmp_eq_u32_e64 s[8:9], 1, v14
	s_and_b64 s[44:45], s[8:9], s[12:13]
	s_barrier
	s_and_saveexec_b64 s[8:9], s[44:45]
; %bb.74:
	ds_write_b32 v13, v16
; %bb.75:
	s_or_b64 exec, exec, s[8:9]
	v_cmp_lt_u32_e64 s[8:9], 1, v14
	s_and_b64 s[46:47], s[8:9], s[12:13]
	s_waitcnt lgkmcnt(0)
	s_barrier
	s_and_saveexec_b64 s[8:9], s[46:47]
	s_cbranch_execz .LBB115_77
; %bb.76:
	ds_read_b32 v17, v12 offset:1296
	ds_read_b32 v18, v13
	s_waitcnt lgkmcnt(0)
	v_fmac_f32_e32 v16, v17, v18
.LBB115_77:
	s_or_b64 exec, exec, s[8:9]
	v_cmp_eq_u32_e64 s[8:9], 2, v14
	s_and_b64 s[48:49], s[8:9], s[12:13]
	s_barrier
	s_and_saveexec_b64 s[8:9], s[48:49]
; %bb.78:
	ds_write_b32 v13, v16
; %bb.79:
	s_or_b64 exec, exec, s[8:9]
	v_cmp_eq_u32_e64 s[8:9], 3, v14
	s_and_b64 s[38:39], s[8:9], s[12:13]
	s_waitcnt lgkmcnt(0)
	s_barrier
	s_and_saveexec_b64 s[8:9], s[38:39]
	s_cbranch_execz .LBB115_81
; %bb.80:
	v_mov_b32_e32 v17, 0
	ds_read_b32 v17, v17 offset:1564
	ds_read_b32 v18, v13
	s_waitcnt lgkmcnt(0)
	v_fmac_f32_e32 v16, v17, v18
.LBB115_81:
	s_or_b64 exec, exec, s[8:9]
	s_barrier
	s_and_saveexec_b64 s[8:9], s[38:39]
; %bb.82:
	ds_write_b32 v13, v16
; %bb.83:
	s_or_b64 exec, exec, s[8:9]
	s_waitcnt lgkmcnt(0)
	s_barrier
	s_barrier
	s_and_saveexec_b64 s[8:9], s[2:3]
; %bb.84:
	v_xor_b32_e32 v16, 0x80000000, v16
	ds_write_b32 v11, v16 offset:16
; %bb.85:
	s_or_b64 exec, exec, s[8:9]
	s_waitcnt lgkmcnt(0)
	s_barrier
	s_barrier
	s_and_saveexec_b64 s[8:9], vcc
; %bb.86:
	s_movk_i32 s10, 0x400
	v_mov_b32_e32 v16, 1.0
	v_add_u32_e64 v17, s10, 0
	ds_write2_b32 v17, v16, v16 offset0:4 offset1:69
; %bb.87:
	s_or_b64 exec, exec, s[8:9]
	v_mov_b32_e32 v16, 0
	s_waitcnt lgkmcnt(0)
	s_barrier
	s_and_saveexec_b64 s[10:11], s[0:1]
	s_cbranch_execz .LBB115_91
; %bb.88:
	v_mul_u32_u24_e32 v16, 0x104, v5
	ds_read_b32 v18, v2 offset:1048
	ds_read_b32 v16, v16 offset:1040
	v_mov_b32_e32 v17, 0
	v_cmp_gt_u32_e64 s[8:9], 2, v4
	s_waitcnt lgkmcnt(0)
	v_fma_f32 v16, v18, v16, 0
	s_and_saveexec_b64 s[12:13], s[8:9]
	s_cbranch_execz .LBB115_90
; %bb.89:
	v_lshlrev_b32_e32 v18, 2, v0
	ds_read_b32 v18, v18 offset:1304
	ds_read_b32 v17, v17 offset:1044
	s_waitcnt lgkmcnt(0)
	v_fmac_f32_e32 v16, v18, v17
.LBB115_90:
	s_or_b64 exec, exec, s[12:13]
	v_xor_b32_e32 v16, 0x80000000, v16
.LBB115_91:
	s_or_b64 exec, exec, s[10:11]
	s_and_saveexec_b64 s[8:9], s[36:37]
; %bb.92:
	ds_write_b32 v3, v16
; %bb.93:
	s_or_b64 exec, exec, s[8:9]
	s_waitcnt lgkmcnt(0)
	s_barrier
	s_and_saveexec_b64 s[8:9], s[34:35]
	s_cbranch_execz .LBB115_95
; %bb.94:
	v_mov_b32_e32 v17, 0
	ds_read_b32 v17, v17 offset:1564
	ds_read_b32 v18, v3
	s_waitcnt lgkmcnt(0)
	v_fmac_f32_e32 v16, v17, v18
.LBB115_95:
	s_or_b64 exec, exec, s[8:9]
	s_barrier
	s_and_saveexec_b64 s[8:9], s[34:35]
; %bb.96:
	ds_write_b32 v3, v16
; %bb.97:
	s_or_b64 exec, exec, s[8:9]
	s_waitcnt lgkmcnt(0)
	s_barrier
	s_barrier
	s_and_saveexec_b64 s[8:9], s[0:1]
; %bb.98:
	v_xor_b32_e32 v16, 0x80000000, v16
	ds_write_b32 v2, v16 offset:1048
; %bb.99:
	s_or_b64 exec, exec, s[8:9]
	s_waitcnt lgkmcnt(0)
	s_barrier
	s_barrier
	s_and_saveexec_b64 s[8:9], vcc
; %bb.100:
	s_movk_i32 s10, 0x400
	v_mov_b32_e32 v16, 1.0
	v_add_u32_e64 v17, s10, 0
	ds_write2_b32 v17, v16, v16 offset0:134 offset1:199
; %bb.101:
	s_or_b64 exec, exec, s[8:9]
	v_and_b32_e32 v19, 7, v0
	v_lshrrev_b32_e32 v20, 3, v4
	v_lshlrev_b32_e32 v17, 2, v19
	v_cmp_lt_u32_e64 s[8:9], 63, v4
	v_cmp_gt_u32_e64 s[14:15], 64, v4
	v_lshl_or_b32 v16, v20, 8, v17
	v_mov_b32_e32 v21, 0
	s_waitcnt lgkmcnt(0)
	s_barrier
	s_and_saveexec_b64 s[12:13], s[14:15]
	s_cbranch_execz .LBB115_111
; %bb.102:
	v_mul_u32_u24_e32 v21, 0x104, v20
	ds_read_b32 v18, v16 offset:32
	ds_read_b32 v22, v21
	v_cmp_gt_u32_e64 s[10:11], 56, v4
	s_waitcnt lgkmcnt(0)
	v_fma_f32 v18, v18, v22, 0
	s_and_saveexec_b64 s[16:17], s[10:11]
	s_cbranch_execnz .LBB115_1112
; %bb.103:
	s_or_b64 exec, exec, s[16:17]
	v_cmp_gt_u32_e64 s[10:11], 48, v4
	s_and_saveexec_b64 s[16:17], s[10:11]
	s_cbranch_execnz .LBB115_1113
.LBB115_104:
	s_or_b64 exec, exec, s[16:17]
	v_cmp_gt_u32_e64 s[10:11], 40, v4
	s_and_saveexec_b64 s[16:17], s[10:11]
	s_cbranch_execnz .LBB115_1114
.LBB115_105:
	s_or_b64 exec, exec, s[16:17]
	v_cmp_gt_u32_e64 s[10:11], 32, v4
	s_and_saveexec_b64 s[16:17], s[10:11]
	s_cbranch_execnz .LBB115_1115
.LBB115_106:
	s_or_b64 exec, exec, s[16:17]
	v_cmp_gt_u32_e64 s[10:11], 24, v4
	s_and_saveexec_b64 s[16:17], s[10:11]
	s_cbranch_execnz .LBB115_1116
.LBB115_107:
	s_or_b64 exec, exec, s[16:17]
	v_cmp_gt_u32_e64 s[10:11], 16, v4
	s_and_saveexec_b64 s[16:17], s[10:11]
	s_cbranch_execnz .LBB115_1117
.LBB115_108:
	s_or_b64 exec, exec, s[16:17]
	v_cmp_gt_u32_e64 s[10:11], 8, v4
	s_and_saveexec_b64 s[16:17], s[10:11]
	s_cbranch_execz .LBB115_110
.LBB115_109:
	v_lshlrev_b32_e32 v21, 2, v0
	v_mov_b32_e32 v22, 0
	ds_read_b32 v21, v21 offset:1824
	ds_read_b32 v22, v22 offset:28
	s_waitcnt lgkmcnt(0)
	v_fmac_f32_e32 v18, v21, v22
.LBB115_110:
	s_or_b64 exec, exec, s[16:17]
	v_xor_b32_e32 v21, 0x80000000, v18
.LBB115_111:
	s_or_b64 exec, exec, s[12:13]
	v_mov_b32_e32 v18, 0x4000
	v_cmp_eq_u32_e64 s[10:11], 0, v19
	s_xor_b64 s[12:13], s[8:9], -1
	v_lshl_add_u32 v18, v20, 2, v18
	s_and_b64 s[50:51], s[10:11], s[12:13]
	s_and_saveexec_b64 s[8:9], s[50:51]
; %bb.112:
	ds_write_b32 v18, v21
; %bb.113:
	s_or_b64 exec, exec, s[8:9]
	v_cmp_ne_u32_e64 s[8:9], 0, v19
	s_and_b64 s[52:53], s[8:9], s[12:13]
	s_waitcnt lgkmcnt(0)
	s_barrier
	s_and_saveexec_b64 s[8:9], s[52:53]
	s_cbranch_execz .LBB115_115
; %bb.114:
	ds_read_b32 v22, v17 offset:2080
	ds_read_b32 v23, v18
	s_waitcnt lgkmcnt(0)
	v_fmac_f32_e32 v21, v22, v23
.LBB115_115:
	s_or_b64 exec, exec, s[8:9]
	v_cmp_eq_u32_e64 s[8:9], 1, v19
	s_and_b64 s[54:55], s[8:9], s[12:13]
	s_barrier
	s_and_saveexec_b64 s[8:9], s[54:55]
; %bb.116:
	ds_write_b32 v18, v21
; %bb.117:
	s_or_b64 exec, exec, s[8:9]
	v_cmp_lt_u32_e64 s[8:9], 1, v19
	s_and_b64 s[56:57], s[8:9], s[12:13]
	s_waitcnt lgkmcnt(0)
	s_barrier
	s_and_saveexec_b64 s[8:9], s[56:57]
	s_cbranch_execz .LBB115_119
; %bb.118:
	ds_read_b32 v22, v17 offset:2336
	ds_read_b32 v23, v18
	s_waitcnt lgkmcnt(0)
	v_fmac_f32_e32 v21, v22, v23
.LBB115_119:
	s_or_b64 exec, exec, s[8:9]
	v_cmp_eq_u32_e64 s[8:9], 2, v19
	s_and_b64 s[60:61], s[8:9], s[12:13]
	s_barrier
	s_and_saveexec_b64 s[8:9], s[60:61]
; %bb.120:
	ds_write_b32 v18, v21
; %bb.121:
	s_or_b64 exec, exec, s[8:9]
	v_cmp_lt_u32_e64 s[8:9], 2, v19
	;; [unrolled: 21-line block ×5, first 2 shown]
	s_and_b64 s[74:75], s[8:9], s[12:13]
	s_waitcnt lgkmcnt(0)
	s_barrier
	s_and_saveexec_b64 s[8:9], s[74:75]
	s_cbranch_execz .LBB115_135
; %bb.134:
	ds_read_b32 v22, v17 offset:3360
	ds_read_b32 v23, v18
	s_waitcnt lgkmcnt(0)
	v_fmac_f32_e32 v21, v22, v23
.LBB115_135:
	s_or_b64 exec, exec, s[8:9]
	v_cmp_eq_u32_e64 s[8:9], 6, v19
	s_and_b64 s[76:77], s[8:9], s[12:13]
	s_barrier
	s_and_saveexec_b64 s[8:9], s[76:77]
; %bb.136:
	ds_write_b32 v18, v21
; %bb.137:
	s_or_b64 exec, exec, s[8:9]
	v_cmp_eq_u32_e64 s[8:9], 7, v19
	s_and_b64 s[58:59], s[8:9], s[12:13]
	s_waitcnt lgkmcnt(0)
	s_barrier
	s_and_saveexec_b64 s[8:9], s[58:59]
	s_cbranch_execz .LBB115_139
; %bb.138:
	v_mov_b32_e32 v22, 0
	ds_read_b32 v22, v22 offset:3644
	ds_read_b32 v23, v18
	s_waitcnt lgkmcnt(0)
	v_fmac_f32_e32 v21, v22, v23
.LBB115_139:
	s_or_b64 exec, exec, s[8:9]
	s_barrier
	s_and_saveexec_b64 s[8:9], s[58:59]
; %bb.140:
	ds_write_b32 v18, v21
; %bb.141:
	s_or_b64 exec, exec, s[8:9]
	s_waitcnt lgkmcnt(0)
	s_barrier
	s_barrier
	s_and_saveexec_b64 s[8:9], s[14:15]
; %bb.142:
	v_xor_b32_e32 v21, 0x80000000, v21
	ds_write_b32 v16, v21 offset:32
; %bb.143:
	s_or_b64 exec, exec, s[8:9]
	s_waitcnt lgkmcnt(0)
	s_barrier
	s_barrier
	s_and_saveexec_b64 s[8:9], vcc
; %bb.144:
	s_movk_i32 s10, 0x800
	v_mov_b32_e32 v21, 1.0
	v_add_u32_e64 v22, s10, 0
	ds_write2_b32 v22, v21, v21 offset0:8 offset1:73
; %bb.145:
	s_or_b64 exec, exec, s[8:9]
	v_mov_b32_e32 v21, 0
	s_waitcnt lgkmcnt(0)
	s_barrier
	s_and_saveexec_b64 s[10:11], s[0:1]
	s_cbranch_execz .LBB115_149
; %bb.146:
	v_mul_u32_u24_e32 v21, 0x104, v5
	ds_read_b32 v23, v2 offset:2088
	ds_read_b32 v21, v21 offset:2080
	v_mov_b32_e32 v22, 0
	v_cmp_gt_u32_e64 s[8:9], 2, v4
	s_waitcnt lgkmcnt(0)
	v_fma_f32 v21, v23, v21, 0
	s_and_saveexec_b64 s[12:13], s[8:9]
	s_cbranch_execz .LBB115_148
; %bb.147:
	v_lshlrev_b32_e32 v23, 2, v0
	ds_read_b32 v23, v23 offset:2344
	ds_read_b32 v22, v22 offset:2084
	s_waitcnt lgkmcnt(0)
	v_fmac_f32_e32 v21, v23, v22
.LBB115_148:
	s_or_b64 exec, exec, s[12:13]
	v_xor_b32_e32 v21, 0x80000000, v21
.LBB115_149:
	s_or_b64 exec, exec, s[10:11]
	s_and_saveexec_b64 s[8:9], s[36:37]
; %bb.150:
	ds_write_b32 v3, v21
; %bb.151:
	s_or_b64 exec, exec, s[8:9]
	s_waitcnt lgkmcnt(0)
	s_barrier
	s_and_saveexec_b64 s[8:9], s[34:35]
	s_cbranch_execz .LBB115_153
; %bb.152:
	v_mov_b32_e32 v22, 0
	ds_read_b32 v22, v22 offset:2604
	ds_read_b32 v23, v3
	s_waitcnt lgkmcnt(0)
	v_fmac_f32_e32 v21, v22, v23
.LBB115_153:
	s_or_b64 exec, exec, s[8:9]
	s_barrier
	s_and_saveexec_b64 s[8:9], s[34:35]
; %bb.154:
	ds_write_b32 v3, v21
; %bb.155:
	s_or_b64 exec, exec, s[8:9]
	s_waitcnt lgkmcnt(0)
	s_barrier
	s_barrier
	s_and_saveexec_b64 s[8:9], s[0:1]
; %bb.156:
	v_xor_b32_e32 v21, 0x80000000, v21
	ds_write_b32 v2, v21 offset:2088
; %bb.157:
	s_or_b64 exec, exec, s[8:9]
	s_waitcnt lgkmcnt(0)
	s_barrier
	s_barrier
	s_and_saveexec_b64 s[8:9], vcc
; %bb.158:
	s_movk_i32 s10, 0x800
	v_mov_b32_e32 v21, 1.0
	v_add_u32_e64 v22, s10, 0
	ds_write2_b32 v22, v21, v21 offset0:138 offset1:203
; %bb.159:
	s_or_b64 exec, exec, s[8:9]
	v_mov_b32_e32 v21, 0
	s_waitcnt lgkmcnt(0)
	s_barrier
	s_and_saveexec_b64 s[10:11], s[2:3]
	s_cbranch_execz .LBB115_165
; %bb.160:
	v_mul_u32_u24_e32 v22, 0x104, v15
	ds_read_b32 v21, v11 offset:2096
	ds_read_b32 v23, v22 offset:2080
	v_cmp_gt_u32_e64 s[8:9], 12, v4
	s_waitcnt lgkmcnt(0)
	v_fma_f32 v21, v21, v23, 0
	s_and_saveexec_b64 s[12:13], s[8:9]
	s_cbranch_execnz .LBB115_1118
; %bb.161:
	s_or_b64 exec, exec, s[12:13]
	v_cmp_gt_u32_e64 s[8:9], 8, v4
	s_and_saveexec_b64 s[12:13], s[8:9]
	s_cbranch_execnz .LBB115_1119
.LBB115_162:
	s_or_b64 exec, exec, s[12:13]
	v_cmp_gt_u32_e64 s[8:9], 4, v4
	s_and_saveexec_b64 s[12:13], s[8:9]
	s_cbranch_execz .LBB115_164
.LBB115_163:
	v_lshlrev_b32_e32 v22, 2, v0
	v_mov_b32_e32 v23, 0
	ds_read_b32 v22, v22 offset:2864
	ds_read_b32 v23, v23 offset:2092
	s_waitcnt lgkmcnt(0)
	v_fmac_f32_e32 v21, v22, v23
.LBB115_164:
	s_or_b64 exec, exec, s[12:13]
	v_xor_b32_e32 v21, 0x80000000, v21
.LBB115_165:
	s_or_b64 exec, exec, s[10:11]
	s_and_saveexec_b64 s[8:9], s[40:41]
; %bb.166:
	ds_write_b32 v13, v21
; %bb.167:
	s_or_b64 exec, exec, s[8:9]
	s_waitcnt lgkmcnt(0)
	s_barrier
	s_and_saveexec_b64 s[8:9], s[42:43]
	s_cbranch_execz .LBB115_169
; %bb.168:
	ds_read_b32 v22, v12 offset:3120
	ds_read_b32 v23, v13
	s_waitcnt lgkmcnt(0)
	v_fmac_f32_e32 v21, v22, v23
.LBB115_169:
	s_or_b64 exec, exec, s[8:9]
	s_barrier
	s_and_saveexec_b64 s[8:9], s[44:45]
; %bb.170:
	ds_write_b32 v13, v21
; %bb.171:
	s_or_b64 exec, exec, s[8:9]
	s_waitcnt lgkmcnt(0)
	s_barrier
	s_and_saveexec_b64 s[8:9], s[46:47]
	s_cbranch_execz .LBB115_173
; %bb.172:
	ds_read_b32 v22, v12 offset:3376
	ds_read_b32 v23, v13
	s_waitcnt lgkmcnt(0)
	v_fmac_f32_e32 v21, v22, v23
.LBB115_173:
	s_or_b64 exec, exec, s[8:9]
	s_barrier
	s_and_saveexec_b64 s[8:9], s[48:49]
; %bb.174:
	ds_write_b32 v13, v21
; %bb.175:
	s_or_b64 exec, exec, s[8:9]
	s_waitcnt lgkmcnt(0)
	s_barrier
	s_and_saveexec_b64 s[8:9], s[38:39]
	s_cbranch_execz .LBB115_177
; %bb.176:
	v_mov_b32_e32 v22, 0
	ds_read_b32 v22, v22 offset:3644
	ds_read_b32 v23, v13
	s_waitcnt lgkmcnt(0)
	v_fmac_f32_e32 v21, v22, v23
.LBB115_177:
	s_or_b64 exec, exec, s[8:9]
	s_barrier
	s_and_saveexec_b64 s[8:9], s[38:39]
; %bb.178:
	ds_write_b32 v13, v21
; %bb.179:
	s_or_b64 exec, exec, s[8:9]
	s_waitcnt lgkmcnt(0)
	s_barrier
	s_barrier
	s_and_saveexec_b64 s[8:9], s[2:3]
; %bb.180:
	v_xor_b32_e32 v21, 0x80000000, v21
	ds_write_b32 v11, v21 offset:2096
; %bb.181:
	s_or_b64 exec, exec, s[8:9]
	s_waitcnt lgkmcnt(0)
	s_barrier
	s_barrier
	s_and_saveexec_b64 s[8:9], vcc
; %bb.182:
	s_movk_i32 s10, 0xc00
	v_mov_b32_e32 v21, 1.0
	v_add_u32_e64 v22, s10, 0
	ds_write2_b32 v22, v21, v21 offset0:12 offset1:77
; %bb.183:
	s_or_b64 exec, exec, s[8:9]
	v_mov_b32_e32 v21, 0
	s_waitcnt lgkmcnt(0)
	s_barrier
	s_and_saveexec_b64 s[10:11], s[0:1]
	s_cbranch_execz .LBB115_187
; %bb.184:
	v_mul_u32_u24_e32 v21, 0x104, v5
	ds_read_b32 v23, v2 offset:3128
	ds_read_b32 v21, v21 offset:3120
	v_mov_b32_e32 v22, 0
	v_cmp_gt_u32_e64 s[8:9], 2, v4
	s_waitcnt lgkmcnt(0)
	v_fma_f32 v21, v23, v21, 0
	s_and_saveexec_b64 s[12:13], s[8:9]
	s_cbranch_execz .LBB115_186
; %bb.185:
	v_lshlrev_b32_e32 v23, 2, v0
	ds_read_b32 v23, v23 offset:3384
	ds_read_b32 v22, v22 offset:3124
	s_waitcnt lgkmcnt(0)
	v_fmac_f32_e32 v21, v23, v22
.LBB115_186:
	s_or_b64 exec, exec, s[12:13]
	v_xor_b32_e32 v21, 0x80000000, v21
.LBB115_187:
	s_or_b64 exec, exec, s[10:11]
	s_and_saveexec_b64 s[8:9], s[36:37]
; %bb.188:
	ds_write_b32 v3, v21
; %bb.189:
	s_or_b64 exec, exec, s[8:9]
	s_waitcnt lgkmcnt(0)
	s_barrier
	s_and_saveexec_b64 s[8:9], s[34:35]
	s_cbranch_execz .LBB115_191
; %bb.190:
	v_mov_b32_e32 v22, 0
	ds_read_b32 v22, v22 offset:3644
	ds_read_b32 v23, v3
	s_waitcnt lgkmcnt(0)
	v_fmac_f32_e32 v21, v22, v23
.LBB115_191:
	s_or_b64 exec, exec, s[8:9]
	s_barrier
	s_and_saveexec_b64 s[8:9], s[34:35]
; %bb.192:
	ds_write_b32 v3, v21
; %bb.193:
	s_or_b64 exec, exec, s[8:9]
	s_waitcnt lgkmcnt(0)
	s_barrier
	s_barrier
	s_and_saveexec_b64 s[8:9], s[0:1]
; %bb.194:
	v_xor_b32_e32 v21, 0x80000000, v21
	ds_write_b32 v2, v21 offset:3128
; %bb.195:
	s_or_b64 exec, exec, s[8:9]
	s_waitcnt lgkmcnt(0)
	s_barrier
	s_barrier
	s_and_saveexec_b64 s[8:9], vcc
; %bb.196:
	s_movk_i32 s10, 0xc00
	v_mov_b32_e32 v21, 1.0
	v_add_u32_e64 v22, s10, 0
	ds_write2_b32 v22, v21, v21 offset0:142 offset1:207
; %bb.197:
	s_or_b64 exec, exec, s[8:9]
	v_lshrrev_b32_e32 v25, 4, v4
	v_and_b32_e32 v22, 15, v0
	s_movk_i32 s8, 0xff
	v_lshlrev_b32_e32 v24, 6, v25
	v_cmp_lt_u32_e64 s[10:11], s8, v4
	s_movk_i32 s8, 0x100
	v_or_b32_e32 v21, v24, v22
	v_cmp_gt_u32_e64 s[8:9], s8, v4
	v_lshlrev_b32_e32 v21, 2, v21
	v_mov_b32_e32 v26, 0
	s_waitcnt lgkmcnt(0)
	s_barrier
	s_and_saveexec_b64 s[16:17], s[8:9]
	s_cbranch_execz .LBB115_225
; %bb.198:
	v_mul_u32_u24_e32 v26, 0x104, v25
	ds_read_b32 v23, v21 offset:64
	ds_read_b32 v27, v26
	s_movk_i32 s12, 0xf0
	v_cmp_gt_u32_e64 s[12:13], s12, v4
	s_waitcnt lgkmcnt(0)
	v_fma_f32 v23, v23, v27, 0
	s_and_saveexec_b64 s[18:19], s[12:13]
	s_cbranch_execz .LBB115_200
; %bb.199:
	v_lshlrev_b32_e32 v27, 2, v25
	v_sub_u32_e32 v27, v26, v27
	v_lshl_add_u32 v27, v22, 2, v27
	ds_read_b32 v27, v27 offset:320
	ds_read_b32 v28, v26 offset:4
	s_waitcnt lgkmcnt(0)
	v_fmac_f32_e32 v23, v27, v28
.LBB115_200:
	s_or_b64 exec, exec, s[18:19]
	s_movk_i32 s12, 0xe0
	v_cmp_gt_u32_e64 s[12:13], s12, v4
	s_and_saveexec_b64 s[18:19], s[12:13]
	s_cbranch_execz .LBB115_202
; %bb.201:
	v_lshlrev_b32_e32 v27, 2, v25
	v_sub_u32_e32 v27, v26, v27
	v_lshl_add_u32 v27, v22, 2, v27
	ds_read_b32 v27, v27 offset:576
	ds_read_b32 v28, v26 offset:8
	s_waitcnt lgkmcnt(0)
	v_fmac_f32_e32 v23, v27, v28
.LBB115_202:
	s_or_b64 exec, exec, s[18:19]
	s_movk_i32 s12, 0xd0
	v_cmp_gt_u32_e64 s[12:13], s12, v4
	;; [unrolled: 14-line block ×7, first 2 shown]
	s_and_saveexec_b64 s[18:19], s[12:13]
	s_cbranch_execz .LBB115_214
; %bb.213:
	ds_read_b32 v27, v21 offset:2112
	ds_read_b32 v28, v26 offset:32
	s_waitcnt lgkmcnt(0)
	v_fmac_f32_e32 v23, v27, v28
.LBB115_214:
	s_or_b64 exec, exec, s[18:19]
	s_movk_i32 s12, 0x70
	v_cmp_gt_u32_e64 s[12:13], s12, v4
	s_and_saveexec_b64 s[18:19], s[12:13]
	s_cbranch_execz .LBB115_216
; %bb.215:
	v_lshlrev_b32_e32 v27, 2, v25
	v_sub_u32_e32 v27, v26, v27
	v_lshl_add_u32 v27, v22, 2, v27
	ds_read_b32 v27, v27 offset:2368
	ds_read_b32 v28, v26 offset:36
	s_waitcnt lgkmcnt(0)
	v_fmac_f32_e32 v23, v27, v28
.LBB115_216:
	s_or_b64 exec, exec, s[18:19]
	s_movk_i32 s12, 0x60
	v_cmp_gt_u32_e64 s[12:13], s12, v4
	s_and_saveexec_b64 s[18:19], s[12:13]
	s_cbranch_execz .LBB115_218
; %bb.217:
	v_lshlrev_b32_e32 v27, 2, v22
	v_lshl_add_u32 v27, v24, 2, v27
	ds_read_b32 v27, v27 offset:2624
	ds_read_b32 v28, v26 offset:40
	s_waitcnt lgkmcnt(0)
	v_fmac_f32_e32 v23, v27, v28
.LBB115_218:
	s_or_b64 exec, exec, s[18:19]
	s_movk_i32 s12, 0x50
	v_cmp_gt_u32_e64 s[12:13], s12, v4
	s_and_saveexec_b64 s[18:19], s[12:13]
	s_cbranch_execnz .LBB115_1120
; %bb.219:
	s_or_b64 exec, exec, s[18:19]
	v_cmp_gt_u32_e64 s[12:13], 64, v4
	s_and_saveexec_b64 s[18:19], s[12:13]
	s_cbranch_execnz .LBB115_1121
.LBB115_220:
	s_or_b64 exec, exec, s[18:19]
	v_cmp_gt_u32_e64 s[12:13], 48, v4
	s_and_saveexec_b64 s[18:19], s[12:13]
	s_cbranch_execnz .LBB115_1122
.LBB115_221:
	s_or_b64 exec, exec, s[18:19]
	v_cmp_gt_u32_e64 s[12:13], 32, v4
	s_and_saveexec_b64 s[18:19], s[12:13]
	s_cbranch_execnz .LBB115_1123
.LBB115_222:
	s_or_b64 exec, exec, s[18:19]
	v_cmp_gt_u32_e64 s[12:13], 16, v4
	s_and_saveexec_b64 s[18:19], s[12:13]
	s_cbranch_execz .LBB115_224
.LBB115_223:
	v_lshlrev_b32_e32 v26, 2, v0
	v_mov_b32_e32 v27, 0
	ds_read_b32 v26, v26 offset:3904
	ds_read_b32 v27, v27 offset:60
	s_waitcnt lgkmcnt(0)
	v_fmac_f32_e32 v23, v26, v27
.LBB115_224:
	s_or_b64 exec, exec, s[18:19]
	v_xor_b32_e32 v26, 0x80000000, v23
.LBB115_225:
	s_or_b64 exec, exec, s[16:17]
	v_mov_b32_e32 v23, 0x4000
	v_lshl_add_u32 v23, v25, 2, v23
	v_cmp_eq_u32_e64 s[12:13], 0, v22
	s_xor_b64 s[16:17], s[10:11], -1
	s_and_b64 s[12:13], s[12:13], s[16:17]
	s_mov_b64 s[10:11], exec
                                        ; implicit-def: $vgpr34 : SGPR spill to VGPR lane
	v_writelane_b32 v34, s12, 0
	v_writelane_b32 v34, s13, 1
	s_and_b64 s[12:13], s[10:11], s[12:13]
	s_mov_b64 exec, s[12:13]
; %bb.226:
	ds_write_b32 v23, v26
; %bb.227:
	s_or_b64 exec, exec, s[10:11]
	v_cmp_ne_u32_e64 s[10:11], 0, v22
	s_waitcnt lgkmcnt(0)
	s_barrier
	s_and_b64 s[12:13], s[10:11], s[16:17]
	s_mov_b64 s[10:11], exec
	v_writelane_b32 v34, s12, 2
	v_writelane_b32 v34, s13, 3
	s_and_b64 s[12:13], s[10:11], s[12:13]
	s_mov_b64 exec, s[12:13]
	s_cbranch_execz .LBB115_229
; %bb.228:
	v_lshlrev_b32_e32 v27, 2, v22
	ds_read_b32 v27, v27 offset:4160
	ds_read_b32 v28, v23
	s_waitcnt lgkmcnt(0)
	v_fmac_f32_e32 v26, v27, v28
.LBB115_229:
	s_or_b64 exec, exec, s[10:11]
	v_cmp_eq_u32_e64 s[10:11], 1, v22
	s_barrier
	s_and_b64 s[12:13], s[10:11], s[16:17]
	s_mov_b64 s[10:11], exec
	v_writelane_b32 v34, s12, 4
	v_writelane_b32 v34, s13, 5
	s_and_b64 s[12:13], s[10:11], s[12:13]
	s_mov_b64 exec, s[12:13]
; %bb.230:
	ds_write_b32 v23, v26
; %bb.231:
	s_or_b64 exec, exec, s[10:11]
	v_cmp_lt_u32_e64 s[10:11], 1, v22
	s_waitcnt lgkmcnt(0)
	s_barrier
	s_and_b64 s[12:13], s[10:11], s[16:17]
	s_mov_b64 s[10:11], exec
	v_writelane_b32 v34, s12, 6
	v_writelane_b32 v34, s13, 7
	s_and_b64 s[12:13], s[10:11], s[12:13]
	s_mov_b64 exec, s[12:13]
	s_cbranch_execz .LBB115_233
; %bb.232:
	v_lshlrev_b32_e32 v27, 2, v22
	ds_read_b32 v27, v27 offset:4416
	ds_read_b32 v28, v23
	s_waitcnt lgkmcnt(0)
	v_fmac_f32_e32 v26, v27, v28
.LBB115_233:
	s_or_b64 exec, exec, s[10:11]
	v_cmp_eq_u32_e64 s[10:11], 2, v22
	s_barrier
	s_and_b64 s[12:13], s[10:11], s[16:17]
	s_mov_b64 s[10:11], exec
	v_writelane_b32 v34, s12, 8
	v_writelane_b32 v34, s13, 9
	s_and_b64 s[12:13], s[10:11], s[12:13]
	s_mov_b64 exec, s[12:13]
; %bb.234:
	ds_write_b32 v23, v26
; %bb.235:
	s_or_b64 exec, exec, s[10:11]
	v_cmp_lt_u32_e64 s[10:11], 2, v22
	;; [unrolled: 30-line block ×11, first 2 shown]
	s_and_b64 s[86:87], s[10:11], s[16:17]
	s_waitcnt lgkmcnt(0)
	s_barrier
	s_and_saveexec_b64 s[10:11], s[86:87]
	s_cbranch_execz .LBB115_273
; %bb.272:
	v_lshlrev_b32_e32 v27, 2, v22
	ds_read_b32 v27, v27 offset:6976
	ds_read_b32 v28, v23
	s_waitcnt lgkmcnt(0)
	v_fmac_f32_e32 v26, v27, v28
.LBB115_273:
	s_or_b64 exec, exec, s[10:11]
	v_cmp_eq_u32_e64 s[10:11], 12, v22
	s_and_b64 s[88:89], s[10:11], s[16:17]
	s_barrier
	s_and_saveexec_b64 s[10:11], s[88:89]
; %bb.274:
	ds_write_b32 v23, v26
; %bb.275:
	s_or_b64 exec, exec, s[10:11]
	v_cmp_lt_u32_e64 s[10:11], 12, v22
	s_and_b64 s[90:91], s[10:11], s[16:17]
	s_waitcnt lgkmcnt(0)
	s_barrier
	s_and_saveexec_b64 s[10:11], s[90:91]
	s_cbranch_execz .LBB115_277
; %bb.276:
	v_lshlrev_b32_e32 v27, 2, v22
	ds_read_b32 v27, v27 offset:7232
	ds_read_b32 v28, v23
	s_waitcnt lgkmcnt(0)
	v_fmac_f32_e32 v26, v27, v28
.LBB115_277:
	s_or_b64 exec, exec, s[10:11]
	v_cmp_eq_u32_e64 s[10:11], 13, v22
	s_and_b64 s[92:93], s[10:11], s[16:17]
	s_barrier
	s_and_saveexec_b64 s[10:11], s[92:93]
; %bb.278:
	ds_write_b32 v23, v26
; %bb.279:
	s_or_b64 exec, exec, s[10:11]
	v_cmp_lt_u32_e64 s[10:11], 13, v22
	s_and_b64 s[94:95], s[10:11], s[16:17]
	s_waitcnt lgkmcnt(0)
	s_barrier
	s_and_saveexec_b64 s[10:11], s[94:95]
	s_cbranch_execz .LBB115_281
; %bb.280:
	v_lshlrev_b32_e32 v27, 2, v22
	ds_read_b32 v27, v27 offset:7488
	ds_read_b32 v28, v23
	s_waitcnt lgkmcnt(0)
	v_fmac_f32_e32 v26, v27, v28
.LBB115_281:
	s_or_b64 exec, exec, s[10:11]
	v_cmp_eq_u32_e64 s[10:11], 14, v22
	s_and_b64 s[18:19], s[10:11], s[16:17]
	s_barrier
	s_and_saveexec_b64 s[10:11], s[18:19]
; %bb.282:
	ds_write_b32 v23, v26
; %bb.283:
	s_or_b64 exec, exec, s[10:11]
	v_cmp_eq_u32_e64 s[10:11], 15, v22
	s_and_b64 s[78:79], s[10:11], s[16:17]
	s_waitcnt lgkmcnt(0)
	s_barrier
	s_and_saveexec_b64 s[10:11], s[78:79]
	s_cbranch_execz .LBB115_285
; %bb.284:
	v_mov_b32_e32 v27, 0
	ds_read_b32 v27, v27 offset:7804
	ds_read_b32 v28, v23
	s_waitcnt lgkmcnt(0)
	v_fmac_f32_e32 v26, v27, v28
.LBB115_285:
	s_or_b64 exec, exec, s[10:11]
	s_barrier
	s_and_saveexec_b64 s[10:11], s[78:79]
; %bb.286:
	ds_write_b32 v23, v26
; %bb.287:
	s_or_b64 exec, exec, s[10:11]
	s_waitcnt lgkmcnt(0)
	s_barrier
	s_barrier
	s_and_saveexec_b64 s[10:11], s[8:9]
; %bb.288:
	v_xor_b32_e32 v26, 0x80000000, v26
	ds_write_b32 v21, v26 offset:64
; %bb.289:
	s_or_b64 exec, exec, s[10:11]
	s_waitcnt lgkmcnt(0)
	s_barrier
	s_barrier
	s_and_saveexec_b64 s[10:11], vcc
; %bb.290:
	s_movk_i32 s12, 0x1000
	v_mov_b32_e32 v26, 1.0
	v_add_u32_e64 v27, s12, 0
	ds_write2_b32 v27, v26, v26 offset0:16 offset1:81
; %bb.291:
	s_or_b64 exec, exec, s[10:11]
	v_mov_b32_e32 v26, 0
	s_waitcnt lgkmcnt(0)
	s_barrier
	s_and_saveexec_b64 s[12:13], s[0:1]
	s_cbranch_execz .LBB115_295
; %bb.292:
	v_mul_u32_u24_e32 v26, 0x104, v5
	ds_read_b32 v28, v2 offset:4168
	ds_read_b32 v26, v26 offset:4160
	v_mov_b32_e32 v27, 0
	v_cmp_gt_u32_e64 s[10:11], 2, v4
	s_waitcnt lgkmcnt(0)
	v_fma_f32 v26, v28, v26, 0
	s_and_saveexec_b64 s[16:17], s[10:11]
	s_cbranch_execz .LBB115_294
; %bb.293:
	v_lshlrev_b32_e32 v28, 2, v0
	ds_read_b32 v28, v28 offset:4424
	ds_read_b32 v27, v27 offset:4164
	s_waitcnt lgkmcnt(0)
	v_fmac_f32_e32 v26, v28, v27
.LBB115_294:
	s_or_b64 exec, exec, s[16:17]
	v_xor_b32_e32 v26, 0x80000000, v26
.LBB115_295:
	s_or_b64 exec, exec, s[12:13]
	s_and_saveexec_b64 s[10:11], s[36:37]
; %bb.296:
	ds_write_b32 v3, v26
; %bb.297:
	s_or_b64 exec, exec, s[10:11]
	s_waitcnt lgkmcnt(0)
	s_barrier
	s_and_saveexec_b64 s[10:11], s[34:35]
	s_cbranch_execz .LBB115_299
; %bb.298:
	v_mov_b32_e32 v27, 0
	ds_read_b32 v27, v27 offset:4684
	ds_read_b32 v28, v3
	s_waitcnt lgkmcnt(0)
	v_fmac_f32_e32 v26, v27, v28
.LBB115_299:
	s_or_b64 exec, exec, s[10:11]
	s_barrier
	s_and_saveexec_b64 s[10:11], s[34:35]
; %bb.300:
	ds_write_b32 v3, v26
; %bb.301:
	s_or_b64 exec, exec, s[10:11]
	s_waitcnt lgkmcnt(0)
	s_barrier
	s_barrier
	s_and_saveexec_b64 s[10:11], s[0:1]
; %bb.302:
	v_xor_b32_e32 v26, 0x80000000, v26
	ds_write_b32 v2, v26 offset:4168
; %bb.303:
	s_or_b64 exec, exec, s[10:11]
	s_waitcnt lgkmcnt(0)
	s_barrier
	s_barrier
	s_and_saveexec_b64 s[10:11], vcc
; %bb.304:
	s_movk_i32 s12, 0x1000
	v_mov_b32_e32 v26, 1.0
	v_add_u32_e64 v27, s12, 0
	ds_write2_b32 v27, v26, v26 offset0:146 offset1:211
; %bb.305:
	s_or_b64 exec, exec, s[10:11]
	v_mov_b32_e32 v26, 0
	s_waitcnt lgkmcnt(0)
	s_barrier
	s_and_saveexec_b64 s[12:13], s[2:3]
	s_cbranch_execz .LBB115_311
; %bb.306:
	v_mul_u32_u24_e32 v27, 0x104, v15
	ds_read_b32 v26, v11 offset:4176
	ds_read_b32 v28, v27 offset:4160
	v_cmp_gt_u32_e64 s[10:11], 12, v4
	s_waitcnt lgkmcnt(0)
	v_fma_f32 v26, v26, v28, 0
	s_and_saveexec_b64 s[16:17], s[10:11]
	s_cbranch_execnz .LBB115_1124
; %bb.307:
	s_or_b64 exec, exec, s[16:17]
	v_cmp_gt_u32_e64 s[10:11], 8, v4
	s_and_saveexec_b64 s[16:17], s[10:11]
	s_cbranch_execnz .LBB115_1125
.LBB115_308:
	s_or_b64 exec, exec, s[16:17]
	v_cmp_gt_u32_e64 s[10:11], 4, v4
	s_and_saveexec_b64 s[16:17], s[10:11]
	s_cbranch_execz .LBB115_310
.LBB115_309:
	v_lshlrev_b32_e32 v27, 2, v0
	v_mov_b32_e32 v28, 0
	ds_read_b32 v27, v27 offset:4944
	ds_read_b32 v28, v28 offset:4172
	s_waitcnt lgkmcnt(0)
	v_fmac_f32_e32 v26, v27, v28
.LBB115_310:
	s_or_b64 exec, exec, s[16:17]
	v_xor_b32_e32 v26, 0x80000000, v26
.LBB115_311:
	s_or_b64 exec, exec, s[12:13]
	s_and_saveexec_b64 s[10:11], s[40:41]
; %bb.312:
	ds_write_b32 v13, v26
; %bb.313:
	s_or_b64 exec, exec, s[10:11]
	s_waitcnt lgkmcnt(0)
	s_barrier
	s_and_saveexec_b64 s[10:11], s[42:43]
	s_cbranch_execz .LBB115_315
; %bb.314:
	ds_read_b32 v27, v12 offset:5200
	ds_read_b32 v28, v13
	s_waitcnt lgkmcnt(0)
	v_fmac_f32_e32 v26, v27, v28
.LBB115_315:
	s_or_b64 exec, exec, s[10:11]
	s_barrier
	s_and_saveexec_b64 s[10:11], s[44:45]
; %bb.316:
	ds_write_b32 v13, v26
; %bb.317:
	s_or_b64 exec, exec, s[10:11]
	s_waitcnt lgkmcnt(0)
	s_barrier
	s_and_saveexec_b64 s[10:11], s[46:47]
	s_cbranch_execz .LBB115_319
; %bb.318:
	ds_read_b32 v27, v12 offset:5456
	ds_read_b32 v28, v13
	s_waitcnt lgkmcnt(0)
	v_fmac_f32_e32 v26, v27, v28
.LBB115_319:
	s_or_b64 exec, exec, s[10:11]
	s_barrier
	s_and_saveexec_b64 s[10:11], s[48:49]
; %bb.320:
	ds_write_b32 v13, v26
; %bb.321:
	s_or_b64 exec, exec, s[10:11]
	s_waitcnt lgkmcnt(0)
	s_barrier
	s_and_saveexec_b64 s[10:11], s[38:39]
	s_cbranch_execz .LBB115_323
; %bb.322:
	v_mov_b32_e32 v27, 0
	ds_read_b32 v27, v27 offset:5724
	ds_read_b32 v28, v13
	s_waitcnt lgkmcnt(0)
	v_fmac_f32_e32 v26, v27, v28
.LBB115_323:
	s_or_b64 exec, exec, s[10:11]
	s_barrier
	s_and_saveexec_b64 s[10:11], s[38:39]
; %bb.324:
	ds_write_b32 v13, v26
; %bb.325:
	s_or_b64 exec, exec, s[10:11]
	s_waitcnt lgkmcnt(0)
	s_barrier
	s_barrier
	s_and_saveexec_b64 s[10:11], s[2:3]
; %bb.326:
	v_xor_b32_e32 v26, 0x80000000, v26
	ds_write_b32 v11, v26 offset:4176
; %bb.327:
	s_or_b64 exec, exec, s[10:11]
	s_waitcnt lgkmcnt(0)
	s_barrier
	s_barrier
	s_and_saveexec_b64 s[10:11], vcc
; %bb.328:
	s_movk_i32 s12, 0x1400
	v_mov_b32_e32 v26, 1.0
	v_add_u32_e64 v27, s12, 0
	ds_write2_b32 v27, v26, v26 offset0:20 offset1:85
; %bb.329:
	s_or_b64 exec, exec, s[10:11]
	v_mov_b32_e32 v26, 0
	s_waitcnt lgkmcnt(0)
	s_barrier
	s_and_saveexec_b64 s[12:13], s[0:1]
	s_cbranch_execz .LBB115_333
; %bb.330:
	v_mul_u32_u24_e32 v26, 0x104, v5
	ds_read_b32 v28, v2 offset:5208
	ds_read_b32 v26, v26 offset:5200
	v_mov_b32_e32 v27, 0
	v_cmp_gt_u32_e64 s[10:11], 2, v4
	s_waitcnt lgkmcnt(0)
	v_fma_f32 v26, v28, v26, 0
	s_and_saveexec_b64 s[16:17], s[10:11]
	s_cbranch_execz .LBB115_332
; %bb.331:
	v_lshlrev_b32_e32 v28, 2, v0
	ds_read_b32 v28, v28 offset:5464
	ds_read_b32 v27, v27 offset:5204
	s_waitcnt lgkmcnt(0)
	v_fmac_f32_e32 v26, v28, v27
.LBB115_332:
	s_or_b64 exec, exec, s[16:17]
	v_xor_b32_e32 v26, 0x80000000, v26
.LBB115_333:
	s_or_b64 exec, exec, s[12:13]
	s_and_saveexec_b64 s[10:11], s[36:37]
; %bb.334:
	ds_write_b32 v3, v26
; %bb.335:
	s_or_b64 exec, exec, s[10:11]
	s_waitcnt lgkmcnt(0)
	s_barrier
	s_and_saveexec_b64 s[10:11], s[34:35]
	s_cbranch_execz .LBB115_337
; %bb.336:
	v_mov_b32_e32 v27, 0
	ds_read_b32 v27, v27 offset:5724
	ds_read_b32 v28, v3
	s_waitcnt lgkmcnt(0)
	v_fmac_f32_e32 v26, v27, v28
.LBB115_337:
	s_or_b64 exec, exec, s[10:11]
	s_barrier
	s_and_saveexec_b64 s[10:11], s[34:35]
; %bb.338:
	ds_write_b32 v3, v26
; %bb.339:
	s_or_b64 exec, exec, s[10:11]
	s_waitcnt lgkmcnt(0)
	s_barrier
	s_barrier
	s_and_saveexec_b64 s[10:11], s[0:1]
; %bb.340:
	v_xor_b32_e32 v26, 0x80000000, v26
	ds_write_b32 v2, v26 offset:5208
; %bb.341:
	s_or_b64 exec, exec, s[10:11]
	s_waitcnt lgkmcnt(0)
	s_barrier
	s_barrier
	s_and_saveexec_b64 s[10:11], vcc
; %bb.342:
	s_movk_i32 s12, 0x1400
	v_mov_b32_e32 v26, 1.0
	v_add_u32_e64 v27, s12, 0
	ds_write2_b32 v27, v26, v26 offset0:150 offset1:215
; %bb.343:
	s_or_b64 exec, exec, s[10:11]
	v_mov_b32_e32 v26, 0
	s_waitcnt lgkmcnt(0)
	s_barrier
	s_and_saveexec_b64 s[12:13], s[14:15]
	s_cbranch_execz .LBB115_353
; %bb.344:
	v_mul_u32_u24_e32 v27, 0x104, v20
	ds_read_b32 v26, v16 offset:4192
	ds_read_b32 v28, v27 offset:4160
	v_cmp_gt_u32_e64 s[10:11], 56, v4
	s_waitcnt lgkmcnt(0)
	v_fma_f32 v26, v26, v28, 0
	s_and_saveexec_b64 s[16:17], s[10:11]
	s_cbranch_execnz .LBB115_1126
; %bb.345:
	s_or_b64 exec, exec, s[16:17]
	v_cmp_gt_u32_e64 s[10:11], 48, v4
	s_and_saveexec_b64 s[16:17], s[10:11]
	s_cbranch_execnz .LBB115_1127
.LBB115_346:
	s_or_b64 exec, exec, s[16:17]
	v_cmp_gt_u32_e64 s[10:11], 40, v4
	s_and_saveexec_b64 s[16:17], s[10:11]
	s_cbranch_execnz .LBB115_1128
.LBB115_347:
	s_or_b64 exec, exec, s[16:17]
	v_cmp_gt_u32_e64 s[10:11], 32, v4
	s_and_saveexec_b64 s[16:17], s[10:11]
	s_cbranch_execnz .LBB115_1129
.LBB115_348:
	s_or_b64 exec, exec, s[16:17]
	v_cmp_gt_u32_e64 s[10:11], 24, v4
	s_and_saveexec_b64 s[16:17], s[10:11]
	s_cbranch_execnz .LBB115_1130
.LBB115_349:
	s_or_b64 exec, exec, s[16:17]
	v_cmp_gt_u32_e64 s[10:11], 16, v4
	s_and_saveexec_b64 s[16:17], s[10:11]
	s_cbranch_execnz .LBB115_1131
.LBB115_350:
	s_or_b64 exec, exec, s[16:17]
	v_cmp_gt_u32_e64 s[10:11], 8, v4
	s_and_saveexec_b64 s[16:17], s[10:11]
	s_cbranch_execz .LBB115_352
.LBB115_351:
	v_lshlrev_b32_e32 v27, 2, v0
	v_mov_b32_e32 v28, 0
	ds_read_b32 v27, v27 offset:5984
	ds_read_b32 v28, v28 offset:4188
	s_waitcnt lgkmcnt(0)
	v_fmac_f32_e32 v26, v27, v28
.LBB115_352:
	s_or_b64 exec, exec, s[16:17]
	v_xor_b32_e32 v26, 0x80000000, v26
.LBB115_353:
	s_or_b64 exec, exec, s[12:13]
	s_and_saveexec_b64 s[10:11], s[50:51]
; %bb.354:
	ds_write_b32 v18, v26
; %bb.355:
	s_or_b64 exec, exec, s[10:11]
	s_waitcnt lgkmcnt(0)
	s_barrier
	s_and_saveexec_b64 s[10:11], s[52:53]
	s_cbranch_execz .LBB115_357
; %bb.356:
	ds_read_b32 v27, v17 offset:6240
	ds_read_b32 v28, v18
	s_waitcnt lgkmcnt(0)
	v_fmac_f32_e32 v26, v27, v28
.LBB115_357:
	s_or_b64 exec, exec, s[10:11]
	s_barrier
	s_and_saveexec_b64 s[10:11], s[54:55]
; %bb.358:
	ds_write_b32 v18, v26
; %bb.359:
	s_or_b64 exec, exec, s[10:11]
	s_waitcnt lgkmcnt(0)
	s_barrier
	s_and_saveexec_b64 s[10:11], s[56:57]
	s_cbranch_execz .LBB115_361
; %bb.360:
	ds_read_b32 v27, v17 offset:6496
	ds_read_b32 v28, v18
	s_waitcnt lgkmcnt(0)
	v_fmac_f32_e32 v26, v27, v28
.LBB115_361:
	s_or_b64 exec, exec, s[10:11]
	s_barrier
	;; [unrolled: 17-line block ×6, first 2 shown]
	s_and_saveexec_b64 s[10:11], s[76:77]
; %bb.378:
	ds_write_b32 v18, v26
; %bb.379:
	s_or_b64 exec, exec, s[10:11]
	s_waitcnt lgkmcnt(0)
	s_barrier
	s_and_saveexec_b64 s[10:11], s[58:59]
	s_cbranch_execz .LBB115_381
; %bb.380:
	v_mov_b32_e32 v27, 0
	ds_read_b32 v27, v27 offset:7804
	ds_read_b32 v28, v18
	s_waitcnt lgkmcnt(0)
	v_fmac_f32_e32 v26, v27, v28
.LBB115_381:
	s_or_b64 exec, exec, s[10:11]
	s_barrier
	s_and_saveexec_b64 s[10:11], s[58:59]
; %bb.382:
	ds_write_b32 v18, v26
; %bb.383:
	s_or_b64 exec, exec, s[10:11]
	s_waitcnt lgkmcnt(0)
	s_barrier
	s_barrier
	s_and_saveexec_b64 s[10:11], s[14:15]
; %bb.384:
	v_xor_b32_e32 v26, 0x80000000, v26
	ds_write_b32 v16, v26 offset:4192
; %bb.385:
	s_or_b64 exec, exec, s[10:11]
	s_waitcnt lgkmcnt(0)
	s_barrier
	s_barrier
	s_and_saveexec_b64 s[10:11], vcc
; %bb.386:
	s_movk_i32 s12, 0x1800
	v_mov_b32_e32 v26, 1.0
	v_add_u32_e64 v27, s12, 0
	ds_write2_b32 v27, v26, v26 offset0:24 offset1:89
; %bb.387:
	s_or_b64 exec, exec, s[10:11]
	v_mov_b32_e32 v26, 0
	s_waitcnt lgkmcnt(0)
	s_barrier
	s_and_saveexec_b64 s[12:13], s[0:1]
	s_cbranch_execz .LBB115_391
; %bb.388:
	v_mul_u32_u24_e32 v26, 0x104, v5
	ds_read_b32 v28, v2 offset:6248
	ds_read_b32 v26, v26 offset:6240
	v_mov_b32_e32 v27, 0
	v_cmp_gt_u32_e64 s[10:11], 2, v4
	s_waitcnt lgkmcnt(0)
	v_fma_f32 v26, v28, v26, 0
	s_and_saveexec_b64 s[16:17], s[10:11]
	s_cbranch_execz .LBB115_390
; %bb.389:
	v_lshlrev_b32_e32 v28, 2, v0
	ds_read_b32 v28, v28 offset:6504
	ds_read_b32 v27, v27 offset:6244
	s_waitcnt lgkmcnt(0)
	v_fmac_f32_e32 v26, v28, v27
.LBB115_390:
	s_or_b64 exec, exec, s[16:17]
	v_xor_b32_e32 v26, 0x80000000, v26
.LBB115_391:
	s_or_b64 exec, exec, s[12:13]
	s_and_saveexec_b64 s[10:11], s[36:37]
; %bb.392:
	ds_write_b32 v3, v26
; %bb.393:
	s_or_b64 exec, exec, s[10:11]
	s_waitcnt lgkmcnt(0)
	s_barrier
	s_and_saveexec_b64 s[10:11], s[34:35]
	s_cbranch_execz .LBB115_395
; %bb.394:
	v_mov_b32_e32 v27, 0
	ds_read_b32 v27, v27 offset:6764
	ds_read_b32 v28, v3
	s_waitcnt lgkmcnt(0)
	v_fmac_f32_e32 v26, v27, v28
.LBB115_395:
	s_or_b64 exec, exec, s[10:11]
	s_barrier
	s_and_saveexec_b64 s[10:11], s[34:35]
; %bb.396:
	ds_write_b32 v3, v26
; %bb.397:
	s_or_b64 exec, exec, s[10:11]
	s_waitcnt lgkmcnt(0)
	s_barrier
	s_barrier
	s_and_saveexec_b64 s[10:11], s[0:1]
; %bb.398:
	v_xor_b32_e32 v26, 0x80000000, v26
	ds_write_b32 v2, v26 offset:6248
; %bb.399:
	s_or_b64 exec, exec, s[10:11]
	s_waitcnt lgkmcnt(0)
	s_barrier
	s_barrier
	s_and_saveexec_b64 s[10:11], vcc
; %bb.400:
	s_movk_i32 s12, 0x1800
	v_mov_b32_e32 v26, 1.0
	v_add_u32_e64 v27, s12, 0
	ds_write2_b32 v27, v26, v26 offset0:154 offset1:219
; %bb.401:
	s_or_b64 exec, exec, s[10:11]
	v_mov_b32_e32 v26, 0
	s_waitcnt lgkmcnt(0)
	s_barrier
	s_and_saveexec_b64 s[12:13], s[2:3]
	s_cbranch_execz .LBB115_407
; %bb.402:
	v_mul_u32_u24_e32 v27, 0x104, v15
	ds_read_b32 v26, v11 offset:6256
	ds_read_b32 v28, v27 offset:6240
	v_cmp_gt_u32_e64 s[10:11], 12, v4
	s_waitcnt lgkmcnt(0)
	v_fma_f32 v26, v26, v28, 0
	s_and_saveexec_b64 s[16:17], s[10:11]
	s_cbranch_execnz .LBB115_1132
; %bb.403:
	s_or_b64 exec, exec, s[16:17]
	v_cmp_gt_u32_e64 s[10:11], 8, v4
	s_and_saveexec_b64 s[16:17], s[10:11]
	s_cbranch_execnz .LBB115_1133
.LBB115_404:
	s_or_b64 exec, exec, s[16:17]
	v_cmp_gt_u32_e64 s[10:11], 4, v4
	s_and_saveexec_b64 s[16:17], s[10:11]
	s_cbranch_execz .LBB115_406
.LBB115_405:
	v_lshlrev_b32_e32 v27, 2, v0
	v_mov_b32_e32 v28, 0
	ds_read_b32 v27, v27 offset:7024
	ds_read_b32 v28, v28 offset:6252
	s_waitcnt lgkmcnt(0)
	v_fmac_f32_e32 v26, v27, v28
.LBB115_406:
	s_or_b64 exec, exec, s[16:17]
	v_xor_b32_e32 v26, 0x80000000, v26
.LBB115_407:
	s_or_b64 exec, exec, s[12:13]
	s_and_saveexec_b64 s[10:11], s[40:41]
; %bb.408:
	ds_write_b32 v13, v26
; %bb.409:
	s_or_b64 exec, exec, s[10:11]
	s_waitcnt lgkmcnt(0)
	s_barrier
	s_and_saveexec_b64 s[10:11], s[42:43]
	s_cbranch_execz .LBB115_411
; %bb.410:
	ds_read_b32 v27, v12 offset:7280
	ds_read_b32 v28, v13
	s_waitcnt lgkmcnt(0)
	v_fmac_f32_e32 v26, v27, v28
.LBB115_411:
	s_or_b64 exec, exec, s[10:11]
	s_barrier
	s_and_saveexec_b64 s[10:11], s[44:45]
; %bb.412:
	ds_write_b32 v13, v26
; %bb.413:
	s_or_b64 exec, exec, s[10:11]
	s_waitcnt lgkmcnt(0)
	s_barrier
	s_and_saveexec_b64 s[10:11], s[46:47]
	s_cbranch_execz .LBB115_415
; %bb.414:
	ds_read_b32 v27, v12 offset:7536
	ds_read_b32 v28, v13
	s_waitcnt lgkmcnt(0)
	v_fmac_f32_e32 v26, v27, v28
.LBB115_415:
	s_or_b64 exec, exec, s[10:11]
	s_barrier
	s_and_saveexec_b64 s[10:11], s[48:49]
; %bb.416:
	ds_write_b32 v13, v26
; %bb.417:
	s_or_b64 exec, exec, s[10:11]
	s_waitcnt lgkmcnt(0)
	s_barrier
	s_and_saveexec_b64 s[10:11], s[38:39]
	s_cbranch_execz .LBB115_419
; %bb.418:
	v_mov_b32_e32 v27, 0
	ds_read_b32 v27, v27 offset:7804
	ds_read_b32 v28, v13
	s_waitcnt lgkmcnt(0)
	v_fmac_f32_e32 v26, v27, v28
.LBB115_419:
	s_or_b64 exec, exec, s[10:11]
	s_barrier
	s_and_saveexec_b64 s[10:11], s[38:39]
; %bb.420:
	ds_write_b32 v13, v26
; %bb.421:
	s_or_b64 exec, exec, s[10:11]
	s_waitcnt lgkmcnt(0)
	s_barrier
	s_barrier
	s_and_saveexec_b64 s[10:11], s[2:3]
; %bb.422:
	v_xor_b32_e32 v26, 0x80000000, v26
	ds_write_b32 v11, v26 offset:6256
; %bb.423:
	s_or_b64 exec, exec, s[10:11]
	s_waitcnt lgkmcnt(0)
	s_barrier
	s_barrier
	s_and_saveexec_b64 s[10:11], vcc
; %bb.424:
	s_movk_i32 s12, 0x1c00
	v_mov_b32_e32 v26, 1.0
	v_add_u32_e64 v27, s12, 0
	ds_write2_b32 v27, v26, v26 offset0:28 offset1:93
; %bb.425:
	s_or_b64 exec, exec, s[10:11]
	v_mov_b32_e32 v26, 0
	s_waitcnt lgkmcnt(0)
	s_barrier
	s_and_saveexec_b64 s[12:13], s[0:1]
	s_cbranch_execz .LBB115_429
; %bb.426:
	v_mul_u32_u24_e32 v26, 0x104, v5
	ds_read_b32 v28, v2 offset:7288
	ds_read_b32 v26, v26 offset:7280
	v_mov_b32_e32 v27, 0
	v_cmp_gt_u32_e64 s[10:11], 2, v4
	s_waitcnt lgkmcnt(0)
	v_fma_f32 v26, v28, v26, 0
	s_and_saveexec_b64 s[16:17], s[10:11]
	s_cbranch_execz .LBB115_428
; %bb.427:
	v_lshlrev_b32_e32 v28, 2, v0
	ds_read_b32 v28, v28 offset:7544
	ds_read_b32 v27, v27 offset:7284
	s_waitcnt lgkmcnt(0)
	v_fmac_f32_e32 v26, v28, v27
.LBB115_428:
	s_or_b64 exec, exec, s[16:17]
	v_xor_b32_e32 v26, 0x80000000, v26
.LBB115_429:
	s_or_b64 exec, exec, s[12:13]
	s_and_saveexec_b64 s[10:11], s[36:37]
; %bb.430:
	ds_write_b32 v3, v26
; %bb.431:
	s_or_b64 exec, exec, s[10:11]
	s_waitcnt lgkmcnt(0)
	s_barrier
	s_and_saveexec_b64 s[10:11], s[34:35]
	s_cbranch_execz .LBB115_433
; %bb.432:
	v_mov_b32_e32 v27, 0
	ds_read_b32 v27, v27 offset:7804
	ds_read_b32 v28, v3
	s_waitcnt lgkmcnt(0)
	v_fmac_f32_e32 v26, v27, v28
.LBB115_433:
	s_or_b64 exec, exec, s[10:11]
	s_barrier
	s_and_saveexec_b64 s[10:11], s[34:35]
; %bb.434:
	ds_write_b32 v3, v26
; %bb.435:
	s_or_b64 exec, exec, s[10:11]
	s_waitcnt lgkmcnt(0)
	s_barrier
	s_barrier
	s_and_saveexec_b64 s[10:11], s[0:1]
; %bb.436:
	v_xor_b32_e32 v26, 0x80000000, v26
	ds_write_b32 v2, v26 offset:7288
; %bb.437:
	s_or_b64 exec, exec, s[10:11]
	s_waitcnt lgkmcnt(0)
	s_barrier
	s_barrier
	s_and_saveexec_b64 s[10:11], vcc
; %bb.438:
	s_movk_i32 s12, 0x1c00
	v_mov_b32_e32 v26, 1.0
	v_add_u32_e64 v27, s12, 0
	ds_write2_b32 v27, v26, v26 offset0:158 offset1:223
; %bb.439:
	s_or_b64 exec, exec, s[10:11]
	v_and_b32_e32 v27, 31, v0
	s_movk_i32 s10, 0x3ff
	v_lshrrev_b32_e32 v30, 5, v4
	v_cmp_lt_u32_e64 s[12:13], s10, v4
	s_movk_i32 s10, 0x400
	v_lshlrev_b32_e32 v28, 2, v27
	v_cmp_gt_u32_e64 s[10:11], s10, v4
	v_lshl_or_b32 v26, v30, 8, v28
	v_mov_b32_e32 v29, 0
	s_waitcnt lgkmcnt(0)
	s_barrier
	s_and_saveexec_b64 s[80:81], s[10:11]
	s_cbranch_execz .LBB115_501
; %bb.440:
	v_mul_u32_u24_e32 v31, 0x104, v30
	ds_read_b32 v29, v26 offset:128
	ds_read_b32 v32, v31
	s_movk_i32 s16, 0x3e0
	v_cmp_gt_u32_e64 s[16:17], s16, v4
	s_waitcnt lgkmcnt(0)
	v_fma_f32 v29, v29, v32, 0
	s_and_saveexec_b64 s[82:83], s[16:17]
	s_cbranch_execz .LBB115_442
; %bb.441:
	ds_read_b32 v32, v26 offset:384
	ds_read_b32 v33, v31 offset:4
	s_waitcnt lgkmcnt(0)
	v_fmac_f32_e32 v29, v32, v33
.LBB115_442:
	s_or_b64 exec, exec, s[82:83]
	s_movk_i32 s16, 0x3c0
	v_cmp_gt_u32_e64 s[16:17], s16, v4
	s_and_saveexec_b64 s[82:83], s[16:17]
	s_cbranch_execz .LBB115_444
; %bb.443:
	ds_read_b32 v32, v26 offset:640
	ds_read_b32 v33, v31 offset:8
	s_waitcnt lgkmcnt(0)
	v_fmac_f32_e32 v29, v32, v33
.LBB115_444:
	s_or_b64 exec, exec, s[82:83]
	s_movk_i32 s16, 0x3a0
	v_cmp_gt_u32_e64 s[16:17], s16, v4
	;; [unrolled: 11-line block ×28, first 2 shown]
	s_and_saveexec_b64 s[82:83], s[16:17]
	s_cbranch_execnz .LBB115_1134
; %bb.497:
	s_or_b64 exec, exec, s[82:83]
	v_cmp_gt_u32_e64 s[16:17], 64, v4
	s_and_saveexec_b64 s[82:83], s[16:17]
	s_cbranch_execnz .LBB115_1135
.LBB115_498:
	s_or_b64 exec, exec, s[82:83]
	v_cmp_gt_u32_e64 s[16:17], 32, v4
	s_and_saveexec_b64 s[82:83], s[16:17]
	s_cbranch_execz .LBB115_500
.LBB115_499:
	v_lshlrev_b32_e32 v31, 2, v0
	v_mov_b32_e32 v32, 0
	ds_read_b32 v31, v31 offset:8064
	ds_read_b32 v32, v32 offset:124
	s_waitcnt lgkmcnt(0)
	v_fmac_f32_e32 v29, v31, v32
.LBB115_500:
	s_or_b64 exec, exec, s[82:83]
	v_xor_b32_e32 v29, 0x80000000, v29
.LBB115_501:
	s_or_b64 exec, exec, s[80:81]
	v_mov_b32_e32 v31, 0x4000
	v_cmp_eq_u32_e64 s[16:17], 0, v27
	s_xor_b64 s[80:81], s[12:13], -1
	v_lshl_or_b32 v30, v30, 2, v31
	s_and_b64 s[16:17], s[16:17], s[80:81]
	s_and_saveexec_b64 s[12:13], s[16:17]
; %bb.502:
	ds_write_b32 v30, v29
; %bb.503:
	s_or_b64 exec, exec, s[12:13]
	v_cmp_ne_u32_e64 s[12:13], 0, v27
	s_and_b64 s[16:17], s[12:13], s[80:81]
	s_waitcnt lgkmcnt(0)
	s_barrier
	s_and_saveexec_b64 s[12:13], s[16:17]
	s_cbranch_execz .LBB115_505
; %bb.504:
	ds_read_b32 v31, v28 offset:8320
	ds_read_b32 v32, v30
	s_waitcnt lgkmcnt(0)
	v_fmac_f32_e32 v29, v31, v32
.LBB115_505:
	s_or_b64 exec, exec, s[12:13]
	v_cmp_eq_u32_e64 s[12:13], 1, v27
	s_and_b64 s[16:17], s[12:13], s[80:81]
	s_barrier
	s_and_saveexec_b64 s[12:13], s[16:17]
; %bb.506:
	ds_write_b32 v30, v29
; %bb.507:
	s_or_b64 exec, exec, s[12:13]
	v_cmp_lt_u32_e64 s[12:13], 1, v27
	s_and_b64 s[16:17], s[12:13], s[80:81]
	s_waitcnt lgkmcnt(0)
	s_barrier
	s_and_saveexec_b64 s[12:13], s[16:17]
	s_cbranch_execz .LBB115_509
; %bb.508:
	ds_read_b32 v31, v28 offset:8576
	ds_read_b32 v32, v30
	s_waitcnt lgkmcnt(0)
	v_fmac_f32_e32 v29, v31, v32
.LBB115_509:
	s_or_b64 exec, exec, s[12:13]
	v_cmp_eq_u32_e64 s[12:13], 2, v27
	s_and_b64 s[16:17], s[12:13], s[80:81]
	s_barrier
	s_and_saveexec_b64 s[12:13], s[16:17]
; %bb.510:
	ds_write_b32 v30, v29
; %bb.511:
	s_or_b64 exec, exec, s[12:13]
	v_cmp_lt_u32_e64 s[12:13], 2, v27
	;; [unrolled: 21-line block ×29, first 2 shown]
	s_and_b64 s[16:17], s[12:13], s[80:81]
	s_waitcnt lgkmcnt(0)
	s_barrier
	s_and_saveexec_b64 s[12:13], s[16:17]
	s_cbranch_execz .LBB115_621
; %bb.620:
	ds_read_b32 v28, v28 offset:15744
	ds_read_b32 v31, v30
	s_waitcnt lgkmcnt(0)
	v_fmac_f32_e32 v29, v28, v31
.LBB115_621:
	s_or_b64 exec, exec, s[12:13]
	v_cmp_eq_u32_e64 s[12:13], 30, v27
	s_and_b64 s[16:17], s[12:13], s[80:81]
	s_barrier
	s_and_saveexec_b64 s[12:13], s[16:17]
; %bb.622:
	ds_write_b32 v30, v29
; %bb.623:
	s_or_b64 exec, exec, s[12:13]
	v_cmp_eq_u32_e64 s[12:13], 31, v27
	s_and_b64 s[12:13], s[12:13], s[80:81]
	s_waitcnt lgkmcnt(0)
	s_barrier
	s_and_saveexec_b64 s[16:17], s[12:13]
	s_cbranch_execz .LBB115_625
; %bb.624:
	v_mov_b32_e32 v27, 0
	ds_read_b32 v27, v27 offset:16124
	ds_read_b32 v28, v30
	s_waitcnt lgkmcnt(0)
	v_fmac_f32_e32 v29, v27, v28
.LBB115_625:
	s_or_b64 exec, exec, s[16:17]
	s_barrier
	s_and_saveexec_b64 s[16:17], s[12:13]
; %bb.626:
	ds_write_b32 v30, v29
; %bb.627:
	s_or_b64 exec, exec, s[16:17]
	s_waitcnt lgkmcnt(0)
	s_barrier
	s_barrier
	s_and_saveexec_b64 s[12:13], s[10:11]
; %bb.628:
	v_xor_b32_e32 v27, 0x80000000, v29
	ds_write_b32 v26, v27 offset:128
; %bb.629:
	s_or_b64 exec, exec, s[12:13]
	s_waitcnt lgkmcnt(0)
	s_barrier
	s_barrier
	s_and_saveexec_b64 s[10:11], vcc
; %bb.630:
	s_movk_i32 s12, 0x2000
	v_mov_b32_e32 v26, 1.0
	v_add_u32_e64 v27, s12, 0
	ds_write2_b32 v27, v26, v26 offset0:32 offset1:97
; %bb.631:
	s_or_b64 exec, exec, s[10:11]
	v_mov_b32_e32 v26, 0
	s_waitcnt lgkmcnt(0)
	s_barrier
	s_and_saveexec_b64 s[12:13], s[0:1]
	s_cbranch_execz .LBB115_635
; %bb.632:
	v_mul_u32_u24_e32 v26, 0x104, v5
	ds_read_b32 v28, v2 offset:8328
	ds_read_b32 v26, v26 offset:8320
	v_mov_b32_e32 v27, 0
	v_cmp_gt_u32_e64 s[10:11], 2, v4
	s_waitcnt lgkmcnt(0)
	v_fma_f32 v26, v28, v26, 0
	s_and_saveexec_b64 s[16:17], s[10:11]
	s_cbranch_execz .LBB115_634
; %bb.633:
	v_lshlrev_b32_e32 v28, 2, v0
	ds_read_b32 v28, v28 offset:8584
	ds_read_b32 v27, v27 offset:8324
	s_waitcnt lgkmcnt(0)
	v_fmac_f32_e32 v26, v28, v27
.LBB115_634:
	s_or_b64 exec, exec, s[16:17]
	v_xor_b32_e32 v26, 0x80000000, v26
.LBB115_635:
	s_or_b64 exec, exec, s[12:13]
	s_and_saveexec_b64 s[10:11], s[36:37]
; %bb.636:
	ds_write_b32 v3, v26
; %bb.637:
	s_or_b64 exec, exec, s[10:11]
	s_waitcnt lgkmcnt(0)
	s_barrier
	s_and_saveexec_b64 s[10:11], s[34:35]
	s_cbranch_execz .LBB115_639
; %bb.638:
	v_mov_b32_e32 v27, 0
	ds_read_b32 v27, v27 offset:8844
	ds_read_b32 v28, v3
	s_waitcnt lgkmcnt(0)
	v_fmac_f32_e32 v26, v27, v28
.LBB115_639:
	s_or_b64 exec, exec, s[10:11]
	s_barrier
	s_and_saveexec_b64 s[10:11], s[34:35]
; %bb.640:
	ds_write_b32 v3, v26
; %bb.641:
	s_or_b64 exec, exec, s[10:11]
	s_waitcnt lgkmcnt(0)
	s_barrier
	s_barrier
	s_and_saveexec_b64 s[10:11], s[0:1]
; %bb.642:
	v_xor_b32_e32 v26, 0x80000000, v26
	ds_write_b32 v2, v26 offset:8328
; %bb.643:
	s_or_b64 exec, exec, s[10:11]
	s_waitcnt lgkmcnt(0)
	s_barrier
	s_barrier
	s_and_saveexec_b64 s[10:11], vcc
; %bb.644:
	s_movk_i32 s12, 0x2000
	v_mov_b32_e32 v26, 1.0
	v_add_u32_e64 v27, s12, 0
	ds_write2_b32 v27, v26, v26 offset0:162 offset1:227
; %bb.645:
	s_or_b64 exec, exec, s[10:11]
	v_mov_b32_e32 v26, 0
	s_waitcnt lgkmcnt(0)
	s_barrier
	s_and_saveexec_b64 s[12:13], s[2:3]
	s_cbranch_execz .LBB115_651
; %bb.646:
	v_mul_u32_u24_e32 v27, 0x104, v15
	ds_read_b32 v26, v11 offset:8336
	ds_read_b32 v28, v27 offset:8320
	v_cmp_gt_u32_e64 s[10:11], 12, v4
	s_waitcnt lgkmcnt(0)
	v_fma_f32 v26, v26, v28, 0
	s_and_saveexec_b64 s[16:17], s[10:11]
	s_cbranch_execnz .LBB115_1136
; %bb.647:
	s_or_b64 exec, exec, s[16:17]
	v_cmp_gt_u32_e64 s[10:11], 8, v4
	s_and_saveexec_b64 s[16:17], s[10:11]
	s_cbranch_execnz .LBB115_1137
.LBB115_648:
	s_or_b64 exec, exec, s[16:17]
	v_cmp_gt_u32_e64 s[10:11], 4, v4
	s_and_saveexec_b64 s[16:17], s[10:11]
	s_cbranch_execz .LBB115_650
.LBB115_649:
	v_lshlrev_b32_e32 v27, 2, v0
	v_mov_b32_e32 v28, 0
	ds_read_b32 v27, v27 offset:9104
	ds_read_b32 v28, v28 offset:8332
	s_waitcnt lgkmcnt(0)
	v_fmac_f32_e32 v26, v27, v28
.LBB115_650:
	s_or_b64 exec, exec, s[16:17]
	v_xor_b32_e32 v26, 0x80000000, v26
.LBB115_651:
	s_or_b64 exec, exec, s[12:13]
	s_and_saveexec_b64 s[10:11], s[40:41]
; %bb.652:
	ds_write_b32 v13, v26
; %bb.653:
	s_or_b64 exec, exec, s[10:11]
	s_waitcnt lgkmcnt(0)
	s_barrier
	s_and_saveexec_b64 s[10:11], s[42:43]
	s_cbranch_execz .LBB115_655
; %bb.654:
	ds_read_b32 v27, v12 offset:9360
	ds_read_b32 v28, v13
	s_waitcnt lgkmcnt(0)
	v_fmac_f32_e32 v26, v27, v28
.LBB115_655:
	s_or_b64 exec, exec, s[10:11]
	s_barrier
	s_and_saveexec_b64 s[10:11], s[44:45]
; %bb.656:
	ds_write_b32 v13, v26
; %bb.657:
	s_or_b64 exec, exec, s[10:11]
	s_waitcnt lgkmcnt(0)
	s_barrier
	s_and_saveexec_b64 s[10:11], s[46:47]
	s_cbranch_execz .LBB115_659
; %bb.658:
	ds_read_b32 v27, v12 offset:9616
	ds_read_b32 v28, v13
	s_waitcnt lgkmcnt(0)
	v_fmac_f32_e32 v26, v27, v28
.LBB115_659:
	s_or_b64 exec, exec, s[10:11]
	s_barrier
	s_and_saveexec_b64 s[10:11], s[48:49]
; %bb.660:
	ds_write_b32 v13, v26
; %bb.661:
	s_or_b64 exec, exec, s[10:11]
	s_waitcnt lgkmcnt(0)
	s_barrier
	s_and_saveexec_b64 s[10:11], s[38:39]
	s_cbranch_execz .LBB115_663
; %bb.662:
	v_mov_b32_e32 v27, 0
	ds_read_b32 v27, v27 offset:9884
	ds_read_b32 v28, v13
	s_waitcnt lgkmcnt(0)
	v_fmac_f32_e32 v26, v27, v28
.LBB115_663:
	s_or_b64 exec, exec, s[10:11]
	s_barrier
	s_and_saveexec_b64 s[10:11], s[38:39]
; %bb.664:
	ds_write_b32 v13, v26
; %bb.665:
	s_or_b64 exec, exec, s[10:11]
	s_waitcnt lgkmcnt(0)
	s_barrier
	s_barrier
	s_and_saveexec_b64 s[10:11], s[2:3]
; %bb.666:
	v_xor_b32_e32 v26, 0x80000000, v26
	ds_write_b32 v11, v26 offset:8336
; %bb.667:
	s_or_b64 exec, exec, s[10:11]
	s_waitcnt lgkmcnt(0)
	s_barrier
	s_barrier
	s_and_saveexec_b64 s[10:11], vcc
; %bb.668:
	s_movk_i32 s12, 0x2400
	v_mov_b32_e32 v26, 1.0
	v_add_u32_e64 v27, s12, 0
	ds_write2_b32 v27, v26, v26 offset0:36 offset1:101
; %bb.669:
	s_or_b64 exec, exec, s[10:11]
	v_mov_b32_e32 v26, 0
	s_waitcnt lgkmcnt(0)
	s_barrier
	s_and_saveexec_b64 s[12:13], s[0:1]
	s_cbranch_execz .LBB115_673
; %bb.670:
	v_mul_u32_u24_e32 v26, 0x104, v5
	ds_read_b32 v28, v2 offset:9368
	ds_read_b32 v26, v26 offset:9360
	v_mov_b32_e32 v27, 0
	v_cmp_gt_u32_e64 s[10:11], 2, v4
	s_waitcnt lgkmcnt(0)
	v_fma_f32 v26, v28, v26, 0
	s_and_saveexec_b64 s[16:17], s[10:11]
	s_cbranch_execz .LBB115_672
; %bb.671:
	v_lshlrev_b32_e32 v28, 2, v0
	ds_read_b32 v28, v28 offset:9624
	ds_read_b32 v27, v27 offset:9364
	s_waitcnt lgkmcnt(0)
	v_fmac_f32_e32 v26, v28, v27
.LBB115_672:
	s_or_b64 exec, exec, s[16:17]
	v_xor_b32_e32 v26, 0x80000000, v26
.LBB115_673:
	s_or_b64 exec, exec, s[12:13]
	s_and_saveexec_b64 s[10:11], s[36:37]
; %bb.674:
	ds_write_b32 v3, v26
; %bb.675:
	s_or_b64 exec, exec, s[10:11]
	s_waitcnt lgkmcnt(0)
	s_barrier
	s_and_saveexec_b64 s[10:11], s[34:35]
	s_cbranch_execz .LBB115_677
; %bb.676:
	v_mov_b32_e32 v27, 0
	ds_read_b32 v27, v27 offset:9884
	ds_read_b32 v28, v3
	s_waitcnt lgkmcnt(0)
	v_fmac_f32_e32 v26, v27, v28
.LBB115_677:
	s_or_b64 exec, exec, s[10:11]
	s_barrier
	s_and_saveexec_b64 s[10:11], s[34:35]
; %bb.678:
	ds_write_b32 v3, v26
; %bb.679:
	s_or_b64 exec, exec, s[10:11]
	s_waitcnt lgkmcnt(0)
	s_barrier
	s_barrier
	s_and_saveexec_b64 s[10:11], s[0:1]
; %bb.680:
	v_xor_b32_e32 v26, 0x80000000, v26
	ds_write_b32 v2, v26 offset:9368
; %bb.681:
	s_or_b64 exec, exec, s[10:11]
	s_waitcnt lgkmcnt(0)
	s_barrier
	s_barrier
	s_and_saveexec_b64 s[10:11], vcc
; %bb.682:
	s_movk_i32 s12, 0x2400
	v_mov_b32_e32 v26, 1.0
	v_add_u32_e64 v27, s12, 0
	ds_write2_b32 v27, v26, v26 offset0:166 offset1:231
; %bb.683:
	s_or_b64 exec, exec, s[10:11]
	v_mov_b32_e32 v26, 0
	s_waitcnt lgkmcnt(0)
	s_barrier
	s_and_saveexec_b64 s[12:13], s[14:15]
	s_cbranch_execz .LBB115_693
; %bb.684:
	v_mul_u32_u24_e32 v27, 0x104, v20
	ds_read_b32 v26, v16 offset:8352
	ds_read_b32 v28, v27 offset:8320
	v_cmp_gt_u32_e64 s[10:11], 56, v4
	s_waitcnt lgkmcnt(0)
	v_fma_f32 v26, v26, v28, 0
	s_and_saveexec_b64 s[16:17], s[10:11]
	s_cbranch_execnz .LBB115_1138
; %bb.685:
	s_or_b64 exec, exec, s[16:17]
	v_cmp_gt_u32_e64 s[10:11], 48, v4
	s_and_saveexec_b64 s[16:17], s[10:11]
	s_cbranch_execnz .LBB115_1139
.LBB115_686:
	s_or_b64 exec, exec, s[16:17]
	v_cmp_gt_u32_e64 s[10:11], 40, v4
	s_and_saveexec_b64 s[16:17], s[10:11]
	s_cbranch_execnz .LBB115_1140
.LBB115_687:
	s_or_b64 exec, exec, s[16:17]
	v_cmp_gt_u32_e64 s[10:11], 32, v4
	s_and_saveexec_b64 s[16:17], s[10:11]
	s_cbranch_execnz .LBB115_1141
.LBB115_688:
	s_or_b64 exec, exec, s[16:17]
	v_cmp_gt_u32_e64 s[10:11], 24, v4
	s_and_saveexec_b64 s[16:17], s[10:11]
	s_cbranch_execnz .LBB115_1142
.LBB115_689:
	s_or_b64 exec, exec, s[16:17]
	v_cmp_gt_u32_e64 s[10:11], 16, v4
	s_and_saveexec_b64 s[16:17], s[10:11]
	s_cbranch_execnz .LBB115_1143
.LBB115_690:
	s_or_b64 exec, exec, s[16:17]
	v_cmp_gt_u32_e64 s[10:11], 8, v4
	s_and_saveexec_b64 s[16:17], s[10:11]
	s_cbranch_execz .LBB115_692
.LBB115_691:
	v_lshlrev_b32_e32 v27, 2, v0
	v_mov_b32_e32 v28, 0
	ds_read_b32 v27, v27 offset:10144
	ds_read_b32 v28, v28 offset:8348
	s_waitcnt lgkmcnt(0)
	v_fmac_f32_e32 v26, v27, v28
.LBB115_692:
	s_or_b64 exec, exec, s[16:17]
	v_xor_b32_e32 v26, 0x80000000, v26
.LBB115_693:
	s_or_b64 exec, exec, s[12:13]
	s_and_saveexec_b64 s[10:11], s[50:51]
; %bb.694:
	ds_write_b32 v18, v26
; %bb.695:
	s_or_b64 exec, exec, s[10:11]
	s_waitcnt lgkmcnt(0)
	s_barrier
	s_and_saveexec_b64 s[10:11], s[52:53]
	s_cbranch_execz .LBB115_697
; %bb.696:
	ds_read_b32 v27, v17 offset:10400
	ds_read_b32 v28, v18
	s_waitcnt lgkmcnt(0)
	v_fmac_f32_e32 v26, v27, v28
.LBB115_697:
	s_or_b64 exec, exec, s[10:11]
	s_barrier
	s_and_saveexec_b64 s[10:11], s[54:55]
; %bb.698:
	ds_write_b32 v18, v26
; %bb.699:
	s_or_b64 exec, exec, s[10:11]
	s_waitcnt lgkmcnt(0)
	s_barrier
	s_and_saveexec_b64 s[10:11], s[56:57]
	s_cbranch_execz .LBB115_701
; %bb.700:
	ds_read_b32 v27, v17 offset:10656
	ds_read_b32 v28, v18
	s_waitcnt lgkmcnt(0)
	v_fmac_f32_e32 v26, v27, v28
.LBB115_701:
	s_or_b64 exec, exec, s[10:11]
	s_barrier
	;; [unrolled: 17-line block ×6, first 2 shown]
	s_and_saveexec_b64 s[10:11], s[76:77]
; %bb.718:
	ds_write_b32 v18, v26
; %bb.719:
	s_or_b64 exec, exec, s[10:11]
	s_waitcnt lgkmcnt(0)
	s_barrier
	s_and_saveexec_b64 s[10:11], s[58:59]
	s_cbranch_execz .LBB115_721
; %bb.720:
	v_mov_b32_e32 v27, 0
	ds_read_b32 v27, v27 offset:11964
	ds_read_b32 v28, v18
	s_waitcnt lgkmcnt(0)
	v_fmac_f32_e32 v26, v27, v28
.LBB115_721:
	s_or_b64 exec, exec, s[10:11]
	s_barrier
	s_and_saveexec_b64 s[10:11], s[58:59]
; %bb.722:
	ds_write_b32 v18, v26
; %bb.723:
	s_or_b64 exec, exec, s[10:11]
	s_waitcnt lgkmcnt(0)
	s_barrier
	s_barrier
	s_and_saveexec_b64 s[10:11], s[14:15]
; %bb.724:
	v_xor_b32_e32 v26, 0x80000000, v26
	ds_write_b32 v16, v26 offset:8352
; %bb.725:
	s_or_b64 exec, exec, s[10:11]
	s_waitcnt lgkmcnt(0)
	s_barrier
	s_barrier
	s_and_saveexec_b64 s[10:11], vcc
; %bb.726:
	s_movk_i32 s12, 0x2800
	v_mov_b32_e32 v26, 1.0
	v_add_u32_e64 v27, s12, 0
	ds_write2_b32 v27, v26, v26 offset0:40 offset1:105
; %bb.727:
	s_or_b64 exec, exec, s[10:11]
	v_mov_b32_e32 v26, 0
	s_waitcnt lgkmcnt(0)
	s_barrier
	s_and_saveexec_b64 s[12:13], s[0:1]
	s_cbranch_execz .LBB115_731
; %bb.728:
	v_mul_u32_u24_e32 v26, 0x104, v5
	ds_read_b32 v28, v2 offset:10408
	ds_read_b32 v26, v26 offset:10400
	v_mov_b32_e32 v27, 0
	v_cmp_gt_u32_e64 s[10:11], 2, v4
	s_waitcnt lgkmcnt(0)
	v_fma_f32 v26, v28, v26, 0
	s_and_saveexec_b64 s[16:17], s[10:11]
	s_cbranch_execz .LBB115_730
; %bb.729:
	v_lshlrev_b32_e32 v28, 2, v0
	ds_read_b32 v28, v28 offset:10664
	ds_read_b32 v27, v27 offset:10404
	s_waitcnt lgkmcnt(0)
	v_fmac_f32_e32 v26, v28, v27
.LBB115_730:
	s_or_b64 exec, exec, s[16:17]
	v_xor_b32_e32 v26, 0x80000000, v26
.LBB115_731:
	s_or_b64 exec, exec, s[12:13]
	s_and_saveexec_b64 s[10:11], s[36:37]
; %bb.732:
	ds_write_b32 v3, v26
; %bb.733:
	s_or_b64 exec, exec, s[10:11]
	s_waitcnt lgkmcnt(0)
	s_barrier
	s_and_saveexec_b64 s[10:11], s[34:35]
	s_cbranch_execz .LBB115_735
; %bb.734:
	v_mov_b32_e32 v27, 0
	ds_read_b32 v27, v27 offset:10924
	ds_read_b32 v28, v3
	s_waitcnt lgkmcnt(0)
	v_fmac_f32_e32 v26, v27, v28
.LBB115_735:
	s_or_b64 exec, exec, s[10:11]
	s_barrier
	s_and_saveexec_b64 s[10:11], s[34:35]
; %bb.736:
	ds_write_b32 v3, v26
; %bb.737:
	s_or_b64 exec, exec, s[10:11]
	s_waitcnt lgkmcnt(0)
	s_barrier
	s_barrier
	s_and_saveexec_b64 s[10:11], s[0:1]
; %bb.738:
	v_xor_b32_e32 v26, 0x80000000, v26
	ds_write_b32 v2, v26 offset:10408
; %bb.739:
	s_or_b64 exec, exec, s[10:11]
	s_waitcnt lgkmcnt(0)
	s_barrier
	s_barrier
	s_and_saveexec_b64 s[10:11], vcc
; %bb.740:
	s_movk_i32 s12, 0x2800
	v_mov_b32_e32 v26, 1.0
	v_add_u32_e64 v27, s12, 0
	ds_write2_b32 v27, v26, v26 offset0:170 offset1:235
; %bb.741:
	s_or_b64 exec, exec, s[10:11]
	v_mov_b32_e32 v26, 0
	s_waitcnt lgkmcnt(0)
	s_barrier
	s_and_saveexec_b64 s[12:13], s[2:3]
	s_cbranch_execz .LBB115_747
; %bb.742:
	v_mul_u32_u24_e32 v27, 0x104, v15
	ds_read_b32 v26, v11 offset:10416
	ds_read_b32 v28, v27 offset:10400
	v_cmp_gt_u32_e64 s[10:11], 12, v4
	s_waitcnt lgkmcnt(0)
	v_fma_f32 v26, v26, v28, 0
	s_and_saveexec_b64 s[16:17], s[10:11]
	s_cbranch_execnz .LBB115_1144
; %bb.743:
	s_or_b64 exec, exec, s[16:17]
	v_cmp_gt_u32_e64 s[10:11], 8, v4
	s_and_saveexec_b64 s[16:17], s[10:11]
	s_cbranch_execnz .LBB115_1145
.LBB115_744:
	s_or_b64 exec, exec, s[16:17]
	v_cmp_gt_u32_e64 s[10:11], 4, v4
	s_and_saveexec_b64 s[16:17], s[10:11]
	s_cbranch_execz .LBB115_746
.LBB115_745:
	v_lshlrev_b32_e32 v27, 2, v0
	v_mov_b32_e32 v28, 0
	ds_read_b32 v27, v27 offset:11184
	ds_read_b32 v28, v28 offset:10412
	s_waitcnt lgkmcnt(0)
	v_fmac_f32_e32 v26, v27, v28
.LBB115_746:
	s_or_b64 exec, exec, s[16:17]
	v_xor_b32_e32 v26, 0x80000000, v26
.LBB115_747:
	s_or_b64 exec, exec, s[12:13]
	s_and_saveexec_b64 s[10:11], s[40:41]
; %bb.748:
	ds_write_b32 v13, v26
; %bb.749:
	s_or_b64 exec, exec, s[10:11]
	s_waitcnt lgkmcnt(0)
	s_barrier
	s_and_saveexec_b64 s[10:11], s[42:43]
	s_cbranch_execz .LBB115_751
; %bb.750:
	ds_read_b32 v27, v12 offset:11440
	ds_read_b32 v28, v13
	s_waitcnt lgkmcnt(0)
	v_fmac_f32_e32 v26, v27, v28
.LBB115_751:
	s_or_b64 exec, exec, s[10:11]
	s_barrier
	s_and_saveexec_b64 s[10:11], s[44:45]
; %bb.752:
	ds_write_b32 v13, v26
; %bb.753:
	s_or_b64 exec, exec, s[10:11]
	s_waitcnt lgkmcnt(0)
	s_barrier
	s_and_saveexec_b64 s[10:11], s[46:47]
	s_cbranch_execz .LBB115_755
; %bb.754:
	ds_read_b32 v27, v12 offset:11696
	ds_read_b32 v28, v13
	s_waitcnt lgkmcnt(0)
	v_fmac_f32_e32 v26, v27, v28
.LBB115_755:
	s_or_b64 exec, exec, s[10:11]
	s_barrier
	s_and_saveexec_b64 s[10:11], s[48:49]
; %bb.756:
	ds_write_b32 v13, v26
; %bb.757:
	s_or_b64 exec, exec, s[10:11]
	s_waitcnt lgkmcnt(0)
	s_barrier
	s_and_saveexec_b64 s[10:11], s[38:39]
	s_cbranch_execz .LBB115_759
; %bb.758:
	v_mov_b32_e32 v27, 0
	ds_read_b32 v27, v27 offset:11964
	ds_read_b32 v28, v13
	s_waitcnt lgkmcnt(0)
	v_fmac_f32_e32 v26, v27, v28
.LBB115_759:
	s_or_b64 exec, exec, s[10:11]
	s_barrier
	s_and_saveexec_b64 s[10:11], s[38:39]
; %bb.760:
	ds_write_b32 v13, v26
; %bb.761:
	s_or_b64 exec, exec, s[10:11]
	s_waitcnt lgkmcnt(0)
	s_barrier
	s_barrier
	s_and_saveexec_b64 s[10:11], s[2:3]
; %bb.762:
	v_xor_b32_e32 v26, 0x80000000, v26
	ds_write_b32 v11, v26 offset:10416
; %bb.763:
	s_or_b64 exec, exec, s[10:11]
	s_waitcnt lgkmcnt(0)
	s_barrier
	s_barrier
	s_and_saveexec_b64 s[10:11], vcc
; %bb.764:
	s_movk_i32 s12, 0x2c00
	v_mov_b32_e32 v26, 1.0
	v_add_u32_e64 v27, s12, 0
	ds_write2_b32 v27, v26, v26 offset0:44 offset1:109
; %bb.765:
	s_or_b64 exec, exec, s[10:11]
	v_mov_b32_e32 v26, 0
	s_waitcnt lgkmcnt(0)
	s_barrier
	s_and_saveexec_b64 s[12:13], s[0:1]
	s_cbranch_execz .LBB115_769
; %bb.766:
	v_mul_u32_u24_e32 v26, 0x104, v5
	ds_read_b32 v28, v2 offset:11448
	ds_read_b32 v26, v26 offset:11440
	v_mov_b32_e32 v27, 0
	v_cmp_gt_u32_e64 s[10:11], 2, v4
	s_waitcnt lgkmcnt(0)
	v_fma_f32 v26, v28, v26, 0
	s_and_saveexec_b64 s[16:17], s[10:11]
	s_cbranch_execz .LBB115_768
; %bb.767:
	v_lshlrev_b32_e32 v28, 2, v0
	ds_read_b32 v28, v28 offset:11704
	ds_read_b32 v27, v27 offset:11444
	s_waitcnt lgkmcnt(0)
	v_fmac_f32_e32 v26, v28, v27
.LBB115_768:
	s_or_b64 exec, exec, s[16:17]
	v_xor_b32_e32 v26, 0x80000000, v26
.LBB115_769:
	s_or_b64 exec, exec, s[12:13]
	s_and_saveexec_b64 s[10:11], s[36:37]
; %bb.770:
	ds_write_b32 v3, v26
; %bb.771:
	s_or_b64 exec, exec, s[10:11]
	s_waitcnt lgkmcnt(0)
	s_barrier
	s_and_saveexec_b64 s[10:11], s[34:35]
	s_cbranch_execz .LBB115_773
; %bb.772:
	v_mov_b32_e32 v27, 0
	ds_read_b32 v27, v27 offset:11964
	ds_read_b32 v28, v3
	s_waitcnt lgkmcnt(0)
	v_fmac_f32_e32 v26, v27, v28
.LBB115_773:
	s_or_b64 exec, exec, s[10:11]
	s_barrier
	s_and_saveexec_b64 s[10:11], s[34:35]
; %bb.774:
	ds_write_b32 v3, v26
; %bb.775:
	s_or_b64 exec, exec, s[10:11]
	s_waitcnt lgkmcnt(0)
	s_barrier
	s_barrier
	s_and_saveexec_b64 s[10:11], s[0:1]
; %bb.776:
	v_xor_b32_e32 v26, 0x80000000, v26
	ds_write_b32 v2, v26 offset:11448
; %bb.777:
	s_or_b64 exec, exec, s[10:11]
	s_waitcnt lgkmcnt(0)
	s_barrier
	s_barrier
	s_and_saveexec_b64 s[10:11], vcc
; %bb.778:
	s_movk_i32 s12, 0x2c00
	v_mov_b32_e32 v26, 1.0
	v_add_u32_e64 v27, s12, 0
	ds_write2_b32 v27, v26, v26 offset0:174 offset1:239
; %bb.779:
	s_or_b64 exec, exec, s[10:11]
	v_mov_b32_e32 v26, 0
	s_waitcnt lgkmcnt(0)
	s_barrier
	s_and_saveexec_b64 s[12:13], s[8:9]
	s_cbranch_execz .LBB115_807
; %bb.780:
	v_mul_u32_u24_e32 v27, 0x104, v25
	ds_read_b32 v26, v21 offset:8384
	ds_read_b32 v28, v27 offset:8320
	s_movk_i32 s10, 0xf0
	v_cmp_gt_u32_e64 s[10:11], s10, v4
	s_waitcnt lgkmcnt(0)
	v_fma_f32 v26, v26, v28, 0
	s_and_saveexec_b64 s[16:17], s[10:11]
	s_cbranch_execz .LBB115_782
; %bb.781:
	v_lshlrev_b32_e32 v28, 2, v25
	v_sub_u32_e32 v28, v27, v28
	v_lshl_add_u32 v28, v22, 2, v28
	ds_read_b32 v28, v28 offset:8640
	ds_read_b32 v29, v27 offset:8324
	s_waitcnt lgkmcnt(0)
	v_fmac_f32_e32 v26, v28, v29
.LBB115_782:
	s_or_b64 exec, exec, s[16:17]
	s_movk_i32 s10, 0xe0
	v_cmp_gt_u32_e64 s[10:11], s10, v4
	s_and_saveexec_b64 s[16:17], s[10:11]
	s_cbranch_execz .LBB115_784
; %bb.783:
	v_lshlrev_b32_e32 v28, 2, v25
	v_sub_u32_e32 v28, v27, v28
	v_lshl_add_u32 v28, v22, 2, v28
	ds_read_b32 v28, v28 offset:8896
	ds_read_b32 v29, v27 offset:8328
	s_waitcnt lgkmcnt(0)
	v_fmac_f32_e32 v26, v28, v29
.LBB115_784:
	s_or_b64 exec, exec, s[16:17]
	s_movk_i32 s10, 0xd0
	v_cmp_gt_u32_e64 s[10:11], s10, v4
	;; [unrolled: 14-line block ×7, first 2 shown]
	s_and_saveexec_b64 s[16:17], s[10:11]
	s_cbranch_execz .LBB115_796
; %bb.795:
	ds_read_b32 v25, v21 offset:10432
	ds_read_b32 v28, v27 offset:8352
	s_waitcnt lgkmcnt(0)
	v_fmac_f32_e32 v26, v25, v28
.LBB115_796:
	s_or_b64 exec, exec, s[16:17]
	s_movk_i32 s10, 0x70
	v_cmp_gt_u32_e64 s[10:11], s10, v4
	s_and_saveexec_b64 s[16:17], s[10:11]
	s_cbranch_execz .LBB115_798
; %bb.797:
	v_lshlrev_b32_e32 v25, 2, v22
	v_lshl_add_u32 v25, v24, 2, v25
	ds_read_b32 v25, v25 offset:10688
	ds_read_b32 v28, v27 offset:8356
	s_waitcnt lgkmcnt(0)
	v_fmac_f32_e32 v26, v25, v28
.LBB115_798:
	s_or_b64 exec, exec, s[16:17]
	s_movk_i32 s10, 0x60
	v_cmp_gt_u32_e64 s[10:11], s10, v4
	s_and_saveexec_b64 s[16:17], s[10:11]
	s_cbranch_execz .LBB115_800
; %bb.799:
	v_lshlrev_b32_e32 v25, 2, v22
	v_lshl_add_u32 v25, v24, 2, v25
	ds_read_b32 v25, v25 offset:10944
	ds_read_b32 v28, v27 offset:8360
	s_waitcnt lgkmcnt(0)
	v_fmac_f32_e32 v26, v25, v28
.LBB115_800:
	s_or_b64 exec, exec, s[16:17]
	s_movk_i32 s10, 0x50
	v_cmp_gt_u32_e64 s[10:11], s10, v4
	s_and_saveexec_b64 s[16:17], s[10:11]
	s_cbranch_execnz .LBB115_1146
; %bb.801:
	s_or_b64 exec, exec, s[16:17]
	v_cmp_gt_u32_e64 s[10:11], 64, v4
	s_and_saveexec_b64 s[16:17], s[10:11]
	s_cbranch_execnz .LBB115_1147
.LBB115_802:
	s_or_b64 exec, exec, s[16:17]
	v_cmp_gt_u32_e64 s[10:11], 48, v4
	s_and_saveexec_b64 s[16:17], s[10:11]
	s_cbranch_execnz .LBB115_1148
.LBB115_803:
	s_or_b64 exec, exec, s[16:17]
	v_cmp_gt_u32_e64 s[10:11], 32, v4
	s_and_saveexec_b64 s[16:17], s[10:11]
	s_cbranch_execnz .LBB115_1149
.LBB115_804:
	s_or_b64 exec, exec, s[16:17]
	v_cmp_gt_u32_e64 s[10:11], 16, v4
	s_and_saveexec_b64 s[16:17], s[10:11]
	s_cbranch_execz .LBB115_806
.LBB115_805:
	v_lshlrev_b32_e32 v24, 2, v0
	v_mov_b32_e32 v25, 0
	ds_read_b32 v24, v24 offset:12224
	ds_read_b32 v25, v25 offset:8380
	s_waitcnt lgkmcnt(0)
	v_fmac_f32_e32 v26, v24, v25
.LBB115_806:
	s_or_b64 exec, exec, s[16:17]
	v_xor_b32_e32 v26, 0x80000000, v26
.LBB115_807:
	s_or_b64 exec, exec, s[12:13]
	s_mov_b64 s[10:11], exec
	v_readlane_b32 s12, v34, 0
	v_readlane_b32 s13, v34, 1
	s_and_b64 s[12:13], s[10:11], s[12:13]
	s_mov_b64 exec, s[12:13]
; %bb.808:
	ds_write_b32 v23, v26
; %bb.809:
	s_or_b64 exec, exec, s[10:11]
	s_waitcnt lgkmcnt(0)
	s_barrier
	s_mov_b64 s[10:11], exec
	v_readlane_b32 s12, v34, 2
	v_readlane_b32 s13, v34, 3
	s_and_b64 s[12:13], s[10:11], s[12:13]
	s_mov_b64 exec, s[12:13]
	s_cbranch_execz .LBB115_811
; %bb.810:
	v_lshlrev_b32_e32 v24, 2, v22
	ds_read_b32 v24, v24 offset:12480
	ds_read_b32 v25, v23
	s_waitcnt lgkmcnt(0)
	v_fmac_f32_e32 v26, v24, v25
.LBB115_811:
	s_or_b64 exec, exec, s[10:11]
	s_barrier
	s_mov_b64 s[10:11], exec
	v_readlane_b32 s12, v34, 4
	v_readlane_b32 s13, v34, 5
	s_and_b64 s[12:13], s[10:11], s[12:13]
	s_mov_b64 exec, s[12:13]
; %bb.812:
	ds_write_b32 v23, v26
; %bb.813:
	s_or_b64 exec, exec, s[10:11]
	s_waitcnt lgkmcnt(0)
	s_barrier
	s_mov_b64 s[10:11], exec
	v_readlane_b32 s12, v34, 6
	v_readlane_b32 s13, v34, 7
	s_and_b64 s[12:13], s[10:11], s[12:13]
	s_mov_b64 exec, s[12:13]
	s_cbranch_execz .LBB115_815
; %bb.814:
	v_lshlrev_b32_e32 v24, 2, v22
	ds_read_b32 v24, v24 offset:12736
	ds_read_b32 v25, v23
	s_waitcnt lgkmcnt(0)
	v_fmac_f32_e32 v26, v24, v25
.LBB115_815:
	s_or_b64 exec, exec, s[10:11]
	s_barrier
	;; [unrolled: 26-line block ×11, first 2 shown]
	s_mov_b64 s[10:11], exec
	v_readlane_b32 s12, v34, 44
	v_readlane_b32 s13, v34, 45
	s_and_b64 s[12:13], s[10:11], s[12:13]
	s_mov_b64 exec, s[12:13]
; %bb.852:
	ds_write_b32 v23, v26
; %bb.853:
	s_or_b64 exec, exec, s[10:11]
	s_waitcnt lgkmcnt(0)
	s_barrier
	s_and_saveexec_b64 s[10:11], s[86:87]
	s_cbranch_execz .LBB115_855
; %bb.854:
	v_lshlrev_b32_e32 v24, 2, v22
	ds_read_b32 v24, v24 offset:15296
	ds_read_b32 v25, v23
	s_waitcnt lgkmcnt(0)
	v_fmac_f32_e32 v26, v24, v25
.LBB115_855:
	s_or_b64 exec, exec, s[10:11]
	s_barrier
	s_and_saveexec_b64 s[10:11], s[88:89]
; %bb.856:
	ds_write_b32 v23, v26
; %bb.857:
	s_or_b64 exec, exec, s[10:11]
	s_waitcnt lgkmcnt(0)
	s_barrier
	s_and_saveexec_b64 s[10:11], s[90:91]
	s_cbranch_execz .LBB115_859
; %bb.858:
	v_lshlrev_b32_e32 v24, 2, v22
	ds_read_b32 v24, v24 offset:15552
	ds_read_b32 v25, v23
	s_waitcnt lgkmcnt(0)
	v_fmac_f32_e32 v26, v24, v25
.LBB115_859:
	s_or_b64 exec, exec, s[10:11]
	s_barrier
	s_and_saveexec_b64 s[10:11], s[92:93]
	;; [unrolled: 18-line block ×3, first 2 shown]
; %bb.864:
	ds_write_b32 v23, v26
; %bb.865:
	s_or_b64 exec, exec, s[10:11]
	s_waitcnt lgkmcnt(0)
	s_barrier
	s_and_saveexec_b64 s[10:11], s[78:79]
	s_cbranch_execz .LBB115_867
; %bb.866:
	v_mov_b32_e32 v22, 0
	ds_read_b32 v22, v22 offset:16124
	ds_read_b32 v24, v23
	s_waitcnt lgkmcnt(0)
	v_fmac_f32_e32 v26, v22, v24
.LBB115_867:
	s_or_b64 exec, exec, s[10:11]
	s_barrier
	s_and_saveexec_b64 s[10:11], s[78:79]
; %bb.868:
	ds_write_b32 v23, v26
; %bb.869:
	s_or_b64 exec, exec, s[10:11]
	s_waitcnt lgkmcnt(0)
	s_barrier
	s_barrier
	s_and_saveexec_b64 s[10:11], s[8:9]
; %bb.870:
	v_xor_b32_e32 v22, 0x80000000, v26
	ds_write_b32 v21, v22 offset:8384
; %bb.871:
	s_or_b64 exec, exec, s[10:11]
	s_waitcnt lgkmcnt(0)
	s_barrier
	s_barrier
	s_and_saveexec_b64 s[8:9], vcc
; %bb.872:
	s_movk_i32 s10, 0x3000
	v_mov_b32_e32 v21, 1.0
	v_add_u32_e64 v22, s10, 0
	ds_write2_b32 v22, v21, v21 offset0:48 offset1:113
; %bb.873:
	s_or_b64 exec, exec, s[8:9]
	v_mov_b32_e32 v21, 0
	s_waitcnt lgkmcnt(0)
	s_barrier
	s_and_saveexec_b64 s[10:11], s[0:1]
	s_cbranch_execz .LBB115_877
; %bb.874:
	v_mul_u32_u24_e32 v21, 0x104, v5
	ds_read_b32 v23, v2 offset:12488
	ds_read_b32 v21, v21 offset:12480
	v_mov_b32_e32 v22, 0
	v_cmp_gt_u32_e64 s[8:9], 2, v4
	s_waitcnt lgkmcnt(0)
	v_fma_f32 v21, v23, v21, 0
	s_and_saveexec_b64 s[12:13], s[8:9]
	s_cbranch_execz .LBB115_876
; %bb.875:
	v_lshlrev_b32_e32 v23, 2, v0
	ds_read_b32 v23, v23 offset:12744
	ds_read_b32 v22, v22 offset:12484
	s_waitcnt lgkmcnt(0)
	v_fmac_f32_e32 v21, v23, v22
.LBB115_876:
	s_or_b64 exec, exec, s[12:13]
	v_xor_b32_e32 v21, 0x80000000, v21
.LBB115_877:
	s_or_b64 exec, exec, s[10:11]
	s_and_saveexec_b64 s[8:9], s[36:37]
; %bb.878:
	ds_write_b32 v3, v21
; %bb.879:
	s_or_b64 exec, exec, s[8:9]
	s_waitcnt lgkmcnt(0)
	s_barrier
	s_and_saveexec_b64 s[8:9], s[34:35]
	s_cbranch_execz .LBB115_881
; %bb.880:
	v_mov_b32_e32 v22, 0
	ds_read_b32 v22, v22 offset:13004
	ds_read_b32 v23, v3
	s_waitcnt lgkmcnt(0)
	v_fmac_f32_e32 v21, v22, v23
.LBB115_881:
	s_or_b64 exec, exec, s[8:9]
	s_barrier
	s_and_saveexec_b64 s[8:9], s[34:35]
; %bb.882:
	ds_write_b32 v3, v21
; %bb.883:
	s_or_b64 exec, exec, s[8:9]
	s_waitcnt lgkmcnt(0)
	s_barrier
	s_barrier
	s_and_saveexec_b64 s[8:9], s[0:1]
; %bb.884:
	v_xor_b32_e32 v21, 0x80000000, v21
	ds_write_b32 v2, v21 offset:12488
; %bb.885:
	s_or_b64 exec, exec, s[8:9]
	s_waitcnt lgkmcnt(0)
	s_barrier
	s_barrier
	s_and_saveexec_b64 s[8:9], vcc
; %bb.886:
	s_movk_i32 s10, 0x3000
	v_mov_b32_e32 v21, 1.0
	v_add_u32_e64 v22, s10, 0
	ds_write2_b32 v22, v21, v21 offset0:178 offset1:243
; %bb.887:
	s_or_b64 exec, exec, s[8:9]
	v_mov_b32_e32 v21, 0
	s_waitcnt lgkmcnt(0)
	s_barrier
	s_and_saveexec_b64 s[10:11], s[2:3]
	s_cbranch_execz .LBB115_893
; %bb.888:
	v_mul_u32_u24_e32 v22, 0x104, v15
	ds_read_b32 v21, v11 offset:12496
	ds_read_b32 v23, v22 offset:12480
	v_cmp_gt_u32_e64 s[8:9], 12, v4
	s_waitcnt lgkmcnt(0)
	v_fma_f32 v21, v21, v23, 0
	s_and_saveexec_b64 s[12:13], s[8:9]
	s_cbranch_execnz .LBB115_1150
; %bb.889:
	s_or_b64 exec, exec, s[12:13]
	v_cmp_gt_u32_e64 s[8:9], 8, v4
	s_and_saveexec_b64 s[12:13], s[8:9]
	s_cbranch_execnz .LBB115_1151
.LBB115_890:
	s_or_b64 exec, exec, s[12:13]
	v_cmp_gt_u32_e64 s[8:9], 4, v4
	s_and_saveexec_b64 s[12:13], s[8:9]
	s_cbranch_execz .LBB115_892
.LBB115_891:
	v_lshlrev_b32_e32 v22, 2, v0
	v_mov_b32_e32 v23, 0
	ds_read_b32 v22, v22 offset:13264
	ds_read_b32 v23, v23 offset:12492
	s_waitcnt lgkmcnt(0)
	v_fmac_f32_e32 v21, v22, v23
.LBB115_892:
	s_or_b64 exec, exec, s[12:13]
	v_xor_b32_e32 v21, 0x80000000, v21
.LBB115_893:
	s_or_b64 exec, exec, s[10:11]
	s_and_saveexec_b64 s[8:9], s[40:41]
; %bb.894:
	ds_write_b32 v13, v21
; %bb.895:
	s_or_b64 exec, exec, s[8:9]
	s_waitcnt lgkmcnt(0)
	s_barrier
	s_and_saveexec_b64 s[8:9], s[42:43]
	s_cbranch_execz .LBB115_897
; %bb.896:
	ds_read_b32 v22, v12 offset:13520
	ds_read_b32 v23, v13
	s_waitcnt lgkmcnt(0)
	v_fmac_f32_e32 v21, v22, v23
.LBB115_897:
	s_or_b64 exec, exec, s[8:9]
	s_barrier
	s_and_saveexec_b64 s[8:9], s[44:45]
; %bb.898:
	ds_write_b32 v13, v21
; %bb.899:
	s_or_b64 exec, exec, s[8:9]
	s_waitcnt lgkmcnt(0)
	s_barrier
	s_and_saveexec_b64 s[8:9], s[46:47]
	s_cbranch_execz .LBB115_901
; %bb.900:
	ds_read_b32 v22, v12 offset:13776
	ds_read_b32 v23, v13
	s_waitcnt lgkmcnt(0)
	v_fmac_f32_e32 v21, v22, v23
.LBB115_901:
	s_or_b64 exec, exec, s[8:9]
	s_barrier
	s_and_saveexec_b64 s[8:9], s[48:49]
; %bb.902:
	ds_write_b32 v13, v21
; %bb.903:
	s_or_b64 exec, exec, s[8:9]
	s_waitcnt lgkmcnt(0)
	s_barrier
	s_and_saveexec_b64 s[8:9], s[38:39]
	s_cbranch_execz .LBB115_905
; %bb.904:
	v_mov_b32_e32 v22, 0
	ds_read_b32 v22, v22 offset:14044
	ds_read_b32 v23, v13
	s_waitcnt lgkmcnt(0)
	v_fmac_f32_e32 v21, v22, v23
.LBB115_905:
	s_or_b64 exec, exec, s[8:9]
	s_barrier
	s_and_saveexec_b64 s[8:9], s[38:39]
; %bb.906:
	ds_write_b32 v13, v21
; %bb.907:
	s_or_b64 exec, exec, s[8:9]
	s_waitcnt lgkmcnt(0)
	s_barrier
	s_barrier
	s_and_saveexec_b64 s[8:9], s[2:3]
; %bb.908:
	v_xor_b32_e32 v21, 0x80000000, v21
	ds_write_b32 v11, v21 offset:12496
; %bb.909:
	s_or_b64 exec, exec, s[8:9]
	s_waitcnt lgkmcnt(0)
	s_barrier
	s_barrier
	s_and_saveexec_b64 s[8:9], vcc
; %bb.910:
	s_movk_i32 s10, 0x3400
	v_mov_b32_e32 v21, 1.0
	v_add_u32_e64 v22, s10, 0
	ds_write2_b32 v22, v21, v21 offset0:52 offset1:117
; %bb.911:
	s_or_b64 exec, exec, s[8:9]
	v_mov_b32_e32 v21, 0
	s_waitcnt lgkmcnt(0)
	s_barrier
	s_and_saveexec_b64 s[10:11], s[0:1]
	s_cbranch_execz .LBB115_915
; %bb.912:
	v_mul_u32_u24_e32 v21, 0x104, v5
	ds_read_b32 v23, v2 offset:13528
	ds_read_b32 v21, v21 offset:13520
	v_mov_b32_e32 v22, 0
	v_cmp_gt_u32_e64 s[8:9], 2, v4
	s_waitcnt lgkmcnt(0)
	v_fma_f32 v21, v23, v21, 0
	s_and_saveexec_b64 s[12:13], s[8:9]
	s_cbranch_execz .LBB115_914
; %bb.913:
	v_lshlrev_b32_e32 v23, 2, v0
	ds_read_b32 v23, v23 offset:13784
	ds_read_b32 v22, v22 offset:13524
	s_waitcnt lgkmcnt(0)
	v_fmac_f32_e32 v21, v23, v22
.LBB115_914:
	s_or_b64 exec, exec, s[12:13]
	v_xor_b32_e32 v21, 0x80000000, v21
.LBB115_915:
	s_or_b64 exec, exec, s[10:11]
	s_and_saveexec_b64 s[8:9], s[36:37]
; %bb.916:
	ds_write_b32 v3, v21
; %bb.917:
	s_or_b64 exec, exec, s[8:9]
	s_waitcnt lgkmcnt(0)
	s_barrier
	s_and_saveexec_b64 s[8:9], s[34:35]
	s_cbranch_execz .LBB115_919
; %bb.918:
	v_mov_b32_e32 v22, 0
	ds_read_b32 v22, v22 offset:14044
	ds_read_b32 v23, v3
	s_waitcnt lgkmcnt(0)
	v_fmac_f32_e32 v21, v22, v23
.LBB115_919:
	s_or_b64 exec, exec, s[8:9]
	s_barrier
	s_and_saveexec_b64 s[8:9], s[34:35]
; %bb.920:
	ds_write_b32 v3, v21
; %bb.921:
	s_or_b64 exec, exec, s[8:9]
	s_waitcnt lgkmcnt(0)
	s_barrier
	s_barrier
	s_and_saveexec_b64 s[8:9], s[0:1]
; %bb.922:
	v_xor_b32_e32 v21, 0x80000000, v21
	ds_write_b32 v2, v21 offset:13528
; %bb.923:
	s_or_b64 exec, exec, s[8:9]
	s_waitcnt lgkmcnt(0)
	s_barrier
	s_barrier
	s_and_saveexec_b64 s[8:9], vcc
; %bb.924:
	s_movk_i32 s10, 0x3400
	v_mov_b32_e32 v21, 1.0
	v_add_u32_e64 v22, s10, 0
	ds_write2_b32 v22, v21, v21 offset0:182 offset1:247
; %bb.925:
	s_or_b64 exec, exec, s[8:9]
	v_mov_b32_e32 v21, 0
	s_waitcnt lgkmcnt(0)
	s_barrier
	s_and_saveexec_b64 s[10:11], s[14:15]
	s_cbranch_execz .LBB115_935
; %bb.926:
	v_mul_u32_u24_e32 v22, 0x104, v20
	ds_read_b32 v21, v16 offset:12512
	ds_read_b32 v23, v22 offset:12480
	v_cmp_gt_u32_e64 s[8:9], 56, v4
	s_waitcnt lgkmcnt(0)
	v_fma_f32 v21, v21, v23, 0
	s_and_saveexec_b64 s[12:13], s[8:9]
	s_cbranch_execnz .LBB115_1152
; %bb.927:
	s_or_b64 exec, exec, s[12:13]
	v_cmp_gt_u32_e64 s[8:9], 48, v4
	s_and_saveexec_b64 s[12:13], s[8:9]
	s_cbranch_execnz .LBB115_1153
.LBB115_928:
	s_or_b64 exec, exec, s[12:13]
	v_cmp_gt_u32_e64 s[8:9], 40, v4
	s_and_saveexec_b64 s[12:13], s[8:9]
	s_cbranch_execnz .LBB115_1154
.LBB115_929:
	s_or_b64 exec, exec, s[12:13]
	v_cmp_gt_u32_e64 s[8:9], 32, v4
	s_and_saveexec_b64 s[12:13], s[8:9]
	s_cbranch_execnz .LBB115_1155
.LBB115_930:
	s_or_b64 exec, exec, s[12:13]
	v_cmp_gt_u32_e64 s[8:9], 24, v4
	s_and_saveexec_b64 s[12:13], s[8:9]
	s_cbranch_execnz .LBB115_1156
.LBB115_931:
	s_or_b64 exec, exec, s[12:13]
	v_cmp_gt_u32_e64 s[8:9], 16, v4
	s_and_saveexec_b64 s[12:13], s[8:9]
	s_cbranch_execnz .LBB115_1157
.LBB115_932:
	s_or_b64 exec, exec, s[12:13]
	v_cmp_gt_u32_e64 s[8:9], 8, v4
	s_and_saveexec_b64 s[12:13], s[8:9]
	s_cbranch_execz .LBB115_934
.LBB115_933:
	v_lshlrev_b32_e32 v19, 2, v0
	v_mov_b32_e32 v20, 0
	ds_read_b32 v19, v19 offset:14304
	ds_read_b32 v20, v20 offset:12508
	s_waitcnt lgkmcnt(0)
	v_fmac_f32_e32 v21, v19, v20
.LBB115_934:
	s_or_b64 exec, exec, s[12:13]
	v_xor_b32_e32 v21, 0x80000000, v21
.LBB115_935:
	s_or_b64 exec, exec, s[10:11]
	s_and_saveexec_b64 s[8:9], s[50:51]
; %bb.936:
	ds_write_b32 v18, v21
; %bb.937:
	s_or_b64 exec, exec, s[8:9]
	s_waitcnt lgkmcnt(0)
	s_barrier
	s_and_saveexec_b64 s[8:9], s[52:53]
	s_cbranch_execz .LBB115_939
; %bb.938:
	ds_read_b32 v19, v17 offset:14560
	ds_read_b32 v20, v18
	s_waitcnt lgkmcnt(0)
	v_fmac_f32_e32 v21, v19, v20
.LBB115_939:
	s_or_b64 exec, exec, s[8:9]
	s_barrier
	s_and_saveexec_b64 s[8:9], s[54:55]
; %bb.940:
	ds_write_b32 v18, v21
; %bb.941:
	s_or_b64 exec, exec, s[8:9]
	s_waitcnt lgkmcnt(0)
	s_barrier
	s_and_saveexec_b64 s[8:9], s[56:57]
	s_cbranch_execz .LBB115_943
; %bb.942:
	ds_read_b32 v19, v17 offset:14816
	ds_read_b32 v20, v18
	s_waitcnt lgkmcnt(0)
	v_fmac_f32_e32 v21, v19, v20
.LBB115_943:
	s_or_b64 exec, exec, s[8:9]
	s_barrier
	;; [unrolled: 17-line block ×6, first 2 shown]
	s_and_saveexec_b64 s[8:9], s[76:77]
; %bb.960:
	ds_write_b32 v18, v21
; %bb.961:
	s_or_b64 exec, exec, s[8:9]
	s_waitcnt lgkmcnt(0)
	s_barrier
	s_and_saveexec_b64 s[8:9], s[58:59]
	s_cbranch_execz .LBB115_963
; %bb.962:
	v_mov_b32_e32 v17, 0
	ds_read_b32 v17, v17 offset:16124
	ds_read_b32 v19, v18
	s_waitcnt lgkmcnt(0)
	v_fmac_f32_e32 v21, v17, v19
.LBB115_963:
	s_or_b64 exec, exec, s[8:9]
	s_barrier
	s_and_saveexec_b64 s[8:9], s[58:59]
; %bb.964:
	ds_write_b32 v18, v21
; %bb.965:
	s_or_b64 exec, exec, s[8:9]
	s_waitcnt lgkmcnt(0)
	s_barrier
	s_barrier
	s_and_saveexec_b64 s[8:9], s[14:15]
; %bb.966:
	v_xor_b32_e32 v17, 0x80000000, v21
	ds_write_b32 v16, v17 offset:12512
; %bb.967:
	s_or_b64 exec, exec, s[8:9]
	s_waitcnt lgkmcnt(0)
	s_barrier
	s_barrier
	s_and_saveexec_b64 s[8:9], vcc
; %bb.968:
	s_movk_i32 s10, 0x3800
	v_mov_b32_e32 v16, 1.0
	v_add_u32_e64 v17, s10, 0
	ds_write2_b32 v17, v16, v16 offset0:56 offset1:121
; %bb.969:
	s_or_b64 exec, exec, s[8:9]
	v_mov_b32_e32 v16, 0
	s_waitcnt lgkmcnt(0)
	s_barrier
	s_and_saveexec_b64 s[10:11], s[0:1]
	s_cbranch_execz .LBB115_973
; %bb.970:
	v_mul_u32_u24_e32 v16, 0x104, v5
	ds_read_b32 v18, v2 offset:14568
	ds_read_b32 v16, v16 offset:14560
	v_mov_b32_e32 v17, 0
	v_cmp_gt_u32_e64 s[8:9], 2, v4
	s_waitcnt lgkmcnt(0)
	v_fma_f32 v16, v18, v16, 0
	s_and_saveexec_b64 s[12:13], s[8:9]
	s_cbranch_execz .LBB115_972
; %bb.971:
	v_lshlrev_b32_e32 v18, 2, v0
	ds_read_b32 v18, v18 offset:14824
	ds_read_b32 v17, v17 offset:14564
	s_waitcnt lgkmcnt(0)
	v_fmac_f32_e32 v16, v18, v17
.LBB115_972:
	s_or_b64 exec, exec, s[12:13]
	v_xor_b32_e32 v16, 0x80000000, v16
.LBB115_973:
	s_or_b64 exec, exec, s[10:11]
	s_and_saveexec_b64 s[8:9], s[36:37]
; %bb.974:
	ds_write_b32 v3, v16
; %bb.975:
	s_or_b64 exec, exec, s[8:9]
	s_waitcnt lgkmcnt(0)
	s_barrier
	s_and_saveexec_b64 s[8:9], s[34:35]
	s_cbranch_execz .LBB115_977
; %bb.976:
	v_mov_b32_e32 v17, 0
	ds_read_b32 v17, v17 offset:15084
	ds_read_b32 v18, v3
	s_waitcnt lgkmcnt(0)
	v_fmac_f32_e32 v16, v17, v18
.LBB115_977:
	s_or_b64 exec, exec, s[8:9]
	s_barrier
	s_and_saveexec_b64 s[8:9], s[34:35]
; %bb.978:
	ds_write_b32 v3, v16
; %bb.979:
	s_or_b64 exec, exec, s[8:9]
	s_waitcnt lgkmcnt(0)
	s_barrier
	s_barrier
	s_and_saveexec_b64 s[8:9], s[0:1]
; %bb.980:
	v_xor_b32_e32 v16, 0x80000000, v16
	ds_write_b32 v2, v16 offset:14568
; %bb.981:
	s_or_b64 exec, exec, s[8:9]
	s_waitcnt lgkmcnt(0)
	s_barrier
	s_barrier
	s_and_saveexec_b64 s[8:9], vcc
; %bb.982:
	s_movk_i32 s10, 0x3800
	v_mov_b32_e32 v16, 1.0
	v_add_u32_e64 v17, s10, 0
	ds_write2_b32 v17, v16, v16 offset0:186 offset1:251
; %bb.983:
	s_or_b64 exec, exec, s[8:9]
	v_mov_b32_e32 v16, 0
	s_waitcnt lgkmcnt(0)
	s_barrier
	s_and_saveexec_b64 s[10:11], s[2:3]
	s_cbranch_execz .LBB115_989
; %bb.984:
	v_mul_u32_u24_e32 v17, 0x104, v15
	ds_read_b32 v16, v11 offset:14576
	ds_read_b32 v18, v17 offset:14560
	v_cmp_gt_u32_e64 s[8:9], 12, v4
	s_waitcnt lgkmcnt(0)
	v_fma_f32 v16, v16, v18, 0
	s_and_saveexec_b64 s[12:13], s[8:9]
	s_cbranch_execnz .LBB115_1158
; %bb.985:
	s_or_b64 exec, exec, s[12:13]
	v_cmp_gt_u32_e64 s[8:9], 8, v4
	s_and_saveexec_b64 s[12:13], s[8:9]
	s_cbranch_execnz .LBB115_1159
.LBB115_986:
	s_or_b64 exec, exec, s[12:13]
	v_cmp_gt_u32_e64 s[8:9], 4, v4
	s_and_saveexec_b64 s[12:13], s[8:9]
	s_cbranch_execz .LBB115_988
.LBB115_987:
	v_lshlrev_b32_e32 v14, 2, v0
	v_mov_b32_e32 v15, 0
	ds_read_b32 v14, v14 offset:15344
	ds_read_b32 v15, v15 offset:14572
	s_waitcnt lgkmcnt(0)
	v_fmac_f32_e32 v16, v14, v15
.LBB115_988:
	s_or_b64 exec, exec, s[12:13]
	v_xor_b32_e32 v16, 0x80000000, v16
.LBB115_989:
	s_or_b64 exec, exec, s[10:11]
	s_and_saveexec_b64 s[8:9], s[40:41]
; %bb.990:
	ds_write_b32 v13, v16
; %bb.991:
	s_or_b64 exec, exec, s[8:9]
	s_waitcnt lgkmcnt(0)
	s_barrier
	s_and_saveexec_b64 s[8:9], s[42:43]
	s_load_dword s16, s[4:5], 0x6c
	s_cbranch_execz .LBB115_993
; %bb.992:
	ds_read_b32 v14, v12 offset:15600
	ds_read_b32 v15, v13
	s_waitcnt lgkmcnt(0)
	v_fmac_f32_e32 v16, v14, v15
.LBB115_993:
	s_or_b64 exec, exec, s[8:9]
	s_waitcnt lgkmcnt(0)
	s_barrier
	s_and_saveexec_b64 s[8:9], s[44:45]
; %bb.994:
	ds_write_b32 v13, v16
; %bb.995:
	s_or_b64 exec, exec, s[8:9]
	s_waitcnt lgkmcnt(0)
	s_barrier
	s_and_saveexec_b64 s[8:9], s[46:47]
	s_cbranch_execz .LBB115_997
; %bb.996:
	ds_read_b32 v12, v12 offset:15856
	ds_read_b32 v14, v13
	s_waitcnt lgkmcnt(0)
	v_fmac_f32_e32 v16, v12, v14
.LBB115_997:
	s_or_b64 exec, exec, s[8:9]
	s_barrier
	s_and_saveexec_b64 s[8:9], s[48:49]
; %bb.998:
	ds_write_b32 v13, v16
; %bb.999:
	s_or_b64 exec, exec, s[8:9]
	s_waitcnt lgkmcnt(0)
	s_barrier
	s_and_saveexec_b64 s[8:9], s[38:39]
	s_cbranch_execz .LBB115_1001
; %bb.1000:
	v_mov_b32_e32 v12, 0
	ds_read_b32 v12, v12 offset:16124
	ds_read_b32 v14, v13
	s_waitcnt lgkmcnt(0)
	v_fmac_f32_e32 v16, v12, v14
.LBB115_1001:
	s_or_b64 exec, exec, s[8:9]
	s_barrier
	s_and_saveexec_b64 s[8:9], s[38:39]
; %bb.1002:
	ds_write_b32 v13, v16
; %bb.1003:
	s_or_b64 exec, exec, s[8:9]
	s_waitcnt lgkmcnt(0)
	s_barrier
	s_barrier
	s_and_saveexec_b64 s[8:9], s[2:3]
; %bb.1004:
	v_xor_b32_e32 v12, 0x80000000, v16
	ds_write_b32 v11, v12 offset:14576
; %bb.1005:
	s_or_b64 exec, exec, s[8:9]
	s_waitcnt lgkmcnt(0)
	s_barrier
	s_barrier
	s_and_saveexec_b64 s[2:3], vcc
; %bb.1006:
	s_movk_i32 s8, 0x3c00
	v_mov_b32_e32 v11, 1.0
	v_add_u32_e64 v12, s8, 0
	ds_write2_b32 v12, v11, v11 offset0:60 offset1:125
; %bb.1007:
	s_or_b64 exec, exec, s[2:3]
	v_mov_b32_e32 v11, 0
	s_waitcnt lgkmcnt(0)
	s_barrier
	s_and_saveexec_b64 s[8:9], s[0:1]
	s_cbranch_execz .LBB115_1011
; %bb.1008:
	v_mul_u32_u24_e32 v5, 0x104, v5
	ds_read_b32 v12, v2 offset:15608
	ds_read_b32 v5, v5 offset:15600
	v_mov_b32_e32 v11, 0
	v_cmp_gt_u32_e64 s[2:3], 2, v4
	s_waitcnt lgkmcnt(0)
	v_fma_f32 v5, v12, v5, 0
	s_and_saveexec_b64 s[10:11], s[2:3]
	s_cbranch_execz .LBB115_1010
; %bb.1009:
	v_lshlrev_b32_e32 v4, 2, v0
	ds_read_b32 v4, v4 offset:15864
	ds_read_b32 v11, v11 offset:15604
	s_waitcnt lgkmcnt(0)
	v_fmac_f32_e32 v5, v4, v11
.LBB115_1010:
	s_or_b64 exec, exec, s[10:11]
	v_xor_b32_e32 v11, 0x80000000, v5
.LBB115_1011:
	s_or_b64 exec, exec, s[8:9]
	s_and_saveexec_b64 s[2:3], s[36:37]
; %bb.1012:
	ds_write_b32 v3, v11
; %bb.1013:
	s_or_b64 exec, exec, s[2:3]
	s_waitcnt lgkmcnt(0)
	s_barrier
	s_and_saveexec_b64 s[2:3], s[34:35]
	s_load_dwordx4 s[12:15], s[4:5], 0x30
	s_cbranch_execz .LBB115_1015
; %bb.1014:
	v_mov_b32_e32 v4, 0
	ds_read_b32 v4, v4 offset:16124
	ds_read_b32 v5, v3
	s_waitcnt lgkmcnt(0)
	v_fmac_f32_e32 v11, v4, v5
.LBB115_1015:
	s_or_b64 exec, exec, s[2:3]
	s_waitcnt lgkmcnt(0)
	s_barrier
	s_and_saveexec_b64 s[2:3], s[34:35]
; %bb.1016:
	ds_write_b32 v3, v11
; %bb.1017:
	s_or_b64 exec, exec, s[2:3]
	s_waitcnt lgkmcnt(0)
	s_barrier
	s_barrier
	s_and_saveexec_b64 s[2:3], s[0:1]
; %bb.1018:
	v_xor_b32_e32 v3, 0x80000000, v11
	ds_write_b32 v2, v3 offset:15608
; %bb.1019:
	s_or_b64 exec, exec, s[2:3]
	s_waitcnt lgkmcnt(0)
	s_barrier
	s_barrier
	s_and_saveexec_b64 s[0:1], vcc
; %bb.1020:
	s_movk_i32 s2, 0x3c00
	v_mov_b32_e32 v2, 1.0
	v_add_u32_e64 v3, s2, 0
	ds_write2_b32 v3, v2, v2 offset0:190 offset1:255
; %bb.1021:
	s_or_b64 exec, exec, s[0:1]
.LBB115_1022:
	s_lshl_b64 s[0:1], s[14:15], 2
	s_add_u32 s36, s28, s0
	v_cmp_le_i32_e32 vcc, s7, v0
	s_addc_u32 s37, s29, s1
	s_and_b64 s[14:15], vcc, s[26:27]
	v_cmp_eq_u32_e64 s[0:1], 0, v1
	s_xor_b64 s[2:3], s[14:15], -1
	s_and_b64 s[8:9], s[0:1], s[2:3]
	v_mov_b32_e32 v12, 0
	v_lshl_add_u32 v2, s6, 6, v0
	s_waitcnt lgkmcnt(0)
	s_barrier
	s_and_saveexec_b64 s[2:3], s[8:9]
	s_cbranch_execz .LBB115_1024
; %bb.1023:
	v_ashrrev_i32_e32 v5, 31, v2
	v_mul_lo_u32 v11, s23, v2
	v_mad_u64_u32 v[3:4], s[8:9], s22, v2, 0
	v_mul_lo_u32 v5, s22, v5
	s_load_dword s8, s[4:5], 0x28
	v_add3_u32 v4, v4, v5, v11
	v_lshlrev_b64 v[3:4], 2, v[3:4]
	v_mov_b32_e32 v5, s37
	v_add_co_u32_e32 v3, vcc, s36, v3
	v_addc_co_u32_e32 v4, vcc, v5, v4, vcc
	flat_load_dword v3, v[3:4]
	s_waitcnt vmcnt(0) lgkmcnt(0)
	v_mul_f32_e64 v12, v3, -s8
.LBB115_1024:
	s_or_b64 exec, exec, s[2:3]
	s_load_dwordx2 s[12:13], s[4:5], 0x50
	s_and_b32 s2, 0xffff, s16
	v_mad_u32_u24 v11, v1, s2, v0
	s_cmp_lt_i32 s6, 1
	v_cmp_eq_u32_e64 s[2:3], 0, v11
	s_cbranch_scc1 .LBB115_1050
; %bb.1025:
	v_mov_b32_e32 v3, 0
	v_mov_b32_e32 v4, 0x5000
	v_lshl_add_u32 v13, v11, 2, v4
	v_lshl_or_b32 v14, v1, 2, v4
	v_lshlrev_b64 v[4:5], 2, v[2:3]
	s_lshl_b64 s[4:5], s[20:21], 2
	s_waitcnt lgkmcnt(0)
	s_add_u32 s16, s12, s4
	v_cmp_gt_i32_e64 s[10:11], s33, v2
	v_mov_b32_e32 v15, s85
	v_add_co_u32_e32 v2, vcc, s84, v4
	s_mul_i32 s8, s25, 0xc0
	s_mul_hi_u32 s9, s24, 0xc0
	s_mov_b32 s38, 0
	s_addc_u32 s17, s13, s5
	v_cmp_gt_u32_e64 s[4:5], 64, v11
	s_add_i32 s39, s6, -1
	v_addc_co_u32_e32 v15, vcc, v15, v5, vcc
	s_lshl_b64 s[18:19], s[24:25], 6
	s_lshl_b64 s[28:29], s[24:25], 7
	s_add_i32 s40, s9, s8
	s_mul_i32 s41, s24, 0xc0
	v_mov_b32_e32 v16, -1
	s_branch .LBB115_1028
.LBB115_1026:                           ;   in Loop: Header=BB115_1028 Depth=1
	ds_read_b32 v4, v14 offset:192
	s_waitcnt vmcnt(0) lgkmcnt(0)
	v_fmac_f32_e32 v12, v17, v4
.LBB115_1027:                           ;   in Loop: Header=BB115_1028 Depth=1
	s_or_b64 exec, exec, s[34:35]
	s_add_i32 s38, s38, 1
	s_cmp_eq_u32 s38, s6
	s_cbranch_scc1 .LBB115_1050
.LBB115_1028:                           ; =>This Loop Header: Depth=1
                                        ;     Child Loop BB115_1030 Depth 2
	v_cmp_gt_i32_e32 vcc, s38, v16
	s_and_b64 s[34:35], s[2:3], vcc
	s_and_saveexec_b64 s[8:9], s[34:35]
	s_cbranch_execz .LBB115_1031
; %bb.1029:                             ;   in Loop: Header=BB115_1028 Depth=1
	global_load_dword v16, v3, s[16:17]
	s_waitcnt vmcnt(0)
	v_cmp_le_i32_e32 vcc, s38, v16
	s_cbranch_vccnz .LBB115_1031
.LBB115_1030:                           ;   Parent Loop BB115_1028 Depth=1
                                        ; =>  This Inner Loop Header: Depth=2
	buffer_wbinvl1_vol
	global_load_dword v16, v3, s[16:17]
	s_waitcnt vmcnt(0)
	v_cmp_gt_i32_e32 vcc, s38, v16
	s_cbranch_vccnz .LBB115_1030
.LBB115_1031:                           ;   in Loop: Header=BB115_1028 Depth=1
	s_or_b64 exec, exec, s[8:9]
	s_lshl_b32 s42, s38, 6
	buffer_wbinvl1_vol
	s_barrier
	s_and_saveexec_b64 s[8:9], s[4:5]
	s_cbranch_execz .LBB115_1035
; %bb.1032:                             ;   in Loop: Header=BB115_1028 Depth=1
	v_or_b32_e32 v5, s42, v11
	v_cmp_gt_i32_e32 vcc, s33, v5
	v_mov_b32_e32 v4, 0
	s_and_saveexec_b64 s[34:35], vcc
	s_cbranch_execz .LBB115_1034
; %bb.1033:                             ;   in Loop: Header=BB115_1028 Depth=1
	v_mad_u64_u32 v[17:18], s[44:45], s22, v5, 0
	v_mov_b32_e32 v19, s37
	v_mov_b32_e32 v4, v18
	v_mad_u64_u32 v[4:5], s[44:45], s23, v5, v[4:5]
	v_mov_b32_e32 v18, v4
	v_lshlrev_b64 v[4:5], 2, v[17:18]
	v_add_co_u32_e32 v4, vcc, s36, v4
	v_addc_co_u32_e32 v5, vcc, v19, v5, vcc
	flat_load_dword v4, v[4:5]
.LBB115_1034:                           ;   in Loop: Header=BB115_1028 Depth=1
	s_or_b64 exec, exec, s[34:35]
	s_waitcnt vmcnt(0) lgkmcnt(0)
	ds_write_b32 v13, v4
.LBB115_1035:                           ;   in Loop: Header=BB115_1028 Depth=1
	s_or_b64 exec, exec, s[8:9]
	v_add_u32_e32 v17, s42, v1
	v_mad_u64_u32 v[4:5], s[8:9], s24, v17, 0
	s_cmp_lg_u32 s38, s39
	s_waitcnt lgkmcnt(0)
	v_mad_u64_u32 v[18:19], s[8:9], s25, v17, v[5:6]
	s_cselect_b64 s[8:9], -1, 0
	s_barrier
	v_mov_b32_e32 v5, v18
	v_lshlrev_b64 v[4:5], 2, v[4:5]
	v_cndmask_b32_e64 v18, 0, 1, s[8:9]
	v_add_co_u32_e32 v4, vcc, v2, v4
	v_addc_co_u32_e32 v5, vcc, v15, v5, vcc
	v_cmp_gt_i32_e32 vcc, s33, v17
	s_and_b64 s[42:43], s[10:11], vcc
	v_cmp_ne_u32_e64 s[8:9], 1, v18
	s_and_saveexec_b64 s[34:35], s[42:43]
	s_cbranch_execz .LBB115_1039
; %bb.1036:                             ;   in Loop: Header=BB115_1028 Depth=1
	s_and_b64 vcc, exec, s[8:9]
	v_mov_b32_e32 v18, v7
	s_cbranch_vccnz .LBB115_1038
; %bb.1037:                             ;   in Loop: Header=BB115_1028 Depth=1
	flat_load_dword v18, v[4:5]
.LBB115_1038:                           ;   in Loop: Header=BB115_1028 Depth=1
	ds_read_b32 v19, v14
	s_waitcnt vmcnt(0) lgkmcnt(0)
	v_fmac_f32_e32 v12, v18, v19
.LBB115_1039:                           ;   in Loop: Header=BB115_1028 Depth=1
	s_or_b64 exec, exec, s[34:35]
	v_add_u32_e32 v18, 16, v17
	v_cmp_gt_i32_e32 vcc, s33, v18
	s_and_b64 s[42:43], s[10:11], vcc
	s_and_saveexec_b64 s[34:35], s[42:43]
	s_cbranch_execz .LBB115_1043
; %bb.1040:                             ;   in Loop: Header=BB115_1028 Depth=1
	s_and_b64 vcc, exec, s[8:9]
	v_mov_b32_e32 v18, v8
	s_cbranch_vccnz .LBB115_1042
; %bb.1041:                             ;   in Loop: Header=BB115_1028 Depth=1
	v_mov_b32_e32 v19, s19
	v_add_co_u32_e32 v18, vcc, s18, v4
	v_addc_co_u32_e32 v19, vcc, v5, v19, vcc
	flat_load_dword v18, v[18:19]
.LBB115_1042:                           ;   in Loop: Header=BB115_1028 Depth=1
	ds_read_b32 v19, v14 offset:64
	s_waitcnt vmcnt(0) lgkmcnt(0)
	v_fmac_f32_e32 v12, v18, v19
.LBB115_1043:                           ;   in Loop: Header=BB115_1028 Depth=1
	s_or_b64 exec, exec, s[34:35]
	v_add_u32_e32 v18, 32, v17
	v_cmp_gt_i32_e32 vcc, s33, v18
	s_and_b64 s[42:43], s[10:11], vcc
	s_and_saveexec_b64 s[34:35], s[42:43]
	s_cbranch_execz .LBB115_1047
; %bb.1044:                             ;   in Loop: Header=BB115_1028 Depth=1
	s_and_b64 vcc, exec, s[8:9]
	v_mov_b32_e32 v18, v10
	s_cbranch_vccnz .LBB115_1046
; %bb.1045:                             ;   in Loop: Header=BB115_1028 Depth=1
	v_mov_b32_e32 v19, s29
	v_add_co_u32_e32 v18, vcc, s28, v4
	v_addc_co_u32_e32 v19, vcc, v5, v19, vcc
	flat_load_dword v18, v[18:19]
.LBB115_1046:                           ;   in Loop: Header=BB115_1028 Depth=1
	ds_read_b32 v19, v14 offset:128
	s_waitcnt vmcnt(0) lgkmcnt(0)
	v_fmac_f32_e32 v12, v18, v19
.LBB115_1047:                           ;   in Loop: Header=BB115_1028 Depth=1
	s_or_b64 exec, exec, s[34:35]
	v_add_u32_e32 v17, 48, v17
	v_cmp_gt_i32_e32 vcc, s33, v17
	s_and_b64 s[42:43], s[10:11], vcc
	s_and_saveexec_b64 s[34:35], s[42:43]
	s_cbranch_execz .LBB115_1027
; %bb.1048:                             ;   in Loop: Header=BB115_1028 Depth=1
	s_and_b64 vcc, exec, s[8:9]
	v_mov_b32_e32 v17, v9
	s_cbranch_vccnz .LBB115_1026
; %bb.1049:                             ;   in Loop: Header=BB115_1028 Depth=1
	v_mov_b32_e32 v17, s40
	v_add_co_u32_e32 v4, vcc, s41, v4
	v_addc_co_u32_e32 v5, vcc, v5, v17, vcc
	flat_load_dword v17, v[4:5]
	s_branch .LBB115_1026
.LBB115_1050:
	v_lshl_add_u32 v2, v1, 6, v0
	s_xor_b64 s[2:3], s[26:27], -1
	s_xor_b64 s[4:5], s[30:31], -1
	v_lshlrev_b32_e32 v2, 2, v2
	ds_write_b32 v2, v12 offset:16384
	s_waitcnt lgkmcnt(0)
	s_barrier
	s_and_saveexec_b64 s[8:9], s[0:1]
	s_cbranch_execz .LBB115_1052
; %bb.1051:
	v_lshlrev_b32_e32 v5, 2, v0
	ds_read2st64_b32 v[3:4], v5 offset0:65 offset1:66
	ds_read2st64_b32 v[7:8], v5 offset0:67 offset1:68
	;; [unrolled: 1-line block ×5, first 2 shown]
	s_waitcnt lgkmcnt(4)
	v_add_f32_e32 v3, v12, v3
	v_add_f32_e32 v3, v3, v4
	s_waitcnt lgkmcnt(3)
	v_add_f32_e32 v3, v3, v7
	v_add_f32_e32 v3, v3, v8
	;; [unrolled: 3-line block ×4, first 2 shown]
	ds_read2st64_b32 v[3:4], v5 offset0:75 offset1:76
	ds_read2st64_b32 v[7:8], v5 offset0:77 offset1:78
	ds_read_b32 v5, v5 offset:20224
	s_waitcnt lgkmcnt(3)
	v_add_f32_e32 v9, v9, v15
	v_add_f32_e32 v9, v9, v16
	s_waitcnt lgkmcnt(2)
	v_add_f32_e32 v3, v9, v3
	v_add_f32_e32 v3, v3, v4
	;; [unrolled: 3-line block ×3, first 2 shown]
	s_waitcnt lgkmcnt(0)
	v_add_f32_e32 v3, v3, v5
	v_cndmask_b32_e64 v12, -v3, 0, s[14:15]
.LBB115_1052:
	s_or_b64 exec, exec, s[8:9]
	s_andn2_b64 vcc, exec, s[4:5]
	s_cbranch_vccnz .LBB115_1066
; %bb.1053:
	v_mov_b32_e32 v3, 0x5000
	v_lshl_or_b32 v4, v1, 2, v3
	s_and_saveexec_b64 s[4:5], s[0:1]
; %bb.1054:
	v_lshl_add_u32 v3, v0, 2, v4
	ds_write_b32 v3, v12
; %bb.1055:
	s_or_b64 exec, exec, s[4:5]
	v_cmp_ge_u32_e32 vcc, v0, v1
	v_mov_b32_e32 v3, 0
	s_waitcnt lgkmcnt(0)
	s_barrier
	s_and_saveexec_b64 s[4:5], vcc
	s_cbranch_execz .LBB115_1057
; %bb.1056:
	ds_read_b32 v3, v2
	ds_read_b32 v5, v4
	s_waitcnt lgkmcnt(0)
	v_fma_f32 v3, v3, v5, 0
.LBB115_1057:
	s_or_b64 exec, exec, s[4:5]
	v_add_u32_e32 v5, 16, v1
	v_cmp_ge_u32_e32 vcc, v0, v5
	s_and_saveexec_b64 s[4:5], vcc
	s_cbranch_execz .LBB115_1059
; %bb.1058:
	ds_read_b32 v5, v2 offset:4096
	ds_read_b32 v7, v4 offset:64
	s_waitcnt lgkmcnt(0)
	v_fmac_f32_e32 v3, v5, v7
.LBB115_1059:
	s_or_b64 exec, exec, s[4:5]
	v_add_u32_e32 v5, 32, v1
	v_cmp_ge_u32_e32 vcc, v0, v5
	s_and_saveexec_b64 s[4:5], vcc
	s_cbranch_execz .LBB115_1061
; %bb.1060:
	ds_read_b32 v5, v2 offset:8192
	ds_read_b32 v7, v4 offset:128
	s_waitcnt lgkmcnt(0)
	v_fmac_f32_e32 v3, v5, v7
.LBB115_1061:
	s_or_b64 exec, exec, s[4:5]
	v_add_u32_e32 v1, 48, v1
	v_add_u32_e32 v5, 0x4000, v2
	v_cmp_ge_u32_e32 vcc, v0, v1
	s_and_saveexec_b64 s[4:5], vcc
	s_cbranch_execz .LBB115_1063
; %bb.1062:
	ds_read_b32 v1, v2 offset:12288
	ds_read_b32 v2, v4 offset:192
	s_waitcnt lgkmcnt(0)
	v_fmac_f32_e32 v3, v1, v2
.LBB115_1063:
	s_or_b64 exec, exec, s[4:5]
	s_mov_b64 s[8:9], 0
	s_mov_b64 s[4:5], 0
	ds_write_b32 v5, v3
	s_waitcnt lgkmcnt(0)
	s_barrier
                                        ; implicit-def: $vgpr4
                                        ; implicit-def: $vgpr1_vgpr2
	s_and_saveexec_b64 s[10:11], s[0:1]
	s_cbranch_execz .LBB115_1099
; %bb.1064:
	v_lshlrev_b32_e32 v13, 2, v0
	ds_read2st64_b32 v[1:2], v13 offset0:65 offset1:66
	ds_read2st64_b32 v[4:5], v13 offset0:67 offset1:68
	;; [unrolled: 1-line block ×4, first 2 shown]
	s_mov_b64 s[4:5], exec
	s_waitcnt lgkmcnt(3)
	v_add_f32_e32 v1, v3, v1
	v_add_f32_e32 v1, v2, v1
	s_waitcnt lgkmcnt(2)
	v_add_f32_e32 v1, v4, v1
	v_add_f32_e32 v1, v5, v1
	ds_read2st64_b32 v[2:3], v13 offset0:73 offset1:74
	s_waitcnt lgkmcnt(2)
	v_add_f32_e32 v1, v7, v1
	v_add_f32_e32 v1, v8, v1
	s_waitcnt lgkmcnt(1)
	v_add_f32_e32 v1, v9, v1
	v_add_f32_e32 v1, v10, v1
	ds_read2st64_b32 v[4:5], v13 offset0:75 offset1:76
	ds_read2st64_b32 v[7:8], v13 offset0:77 offset1:78
	ds_read_b32 v9, v13 offset:20224
	v_lshl_add_u32 v13, s6, 6, v11
	s_waitcnt lgkmcnt(3)
	v_add_f32_e32 v10, v2, v1
	v_mad_u64_u32 v[1:2], s[14:15], s22, v13, 0
	v_add_f32_e32 v3, v3, v10
	s_waitcnt lgkmcnt(2)
	v_add_f32_e32 v3, v4, v3
	v_add_f32_e32 v4, v5, v3
	v_mad_u64_u32 v[2:3], s[14:15], s23, v13, v[2:3]
	s_waitcnt lgkmcnt(1)
	v_add_f32_e32 v3, v7, v4
	v_add_f32_e32 v3, v8, v3
	s_waitcnt lgkmcnt(0)
	v_add_f32_e32 v4, v9, v3
	s_or_b64 exec, exec, s[10:11]
	s_and_b64 vcc, exec, s[8:9]
	s_cbranch_vccnz .LBB115_1067
	s_branch .LBB115_1100
.LBB115_1065:
	v_mad_u64_u32 v[11:12], s[0:1], s24, v4, 0
	s_or_b64 s[8:9], s[8:9], exec
	v_mad_u64_u32 v[12:13], s[0:1], s25, v4, v[12:13]
	v_lshlrev_b64 v[11:12], 2, v[11:12]
	v_add_co_u32_e32 v2, vcc, v2, v11
	v_addc_co_u32_e32 v3, vcc, v3, v12, vcc
	flat_load_dword v2, v[2:3]
	s_waitcnt vmcnt(0) lgkmcnt(0)
	v_xor_b32_e32 v11, 0x80000000, v2
	s_or_b64 exec, exec, s[2:3]
	s_and_saveexec_b64 s[0:1], s[8:9]
	s_cbranch_execnz .LBB115_45
	s_branch .LBB115_46
.LBB115_1066:
	s_mov_b64 s[4:5], 0
                                        ; implicit-def: $vgpr4
                                        ; implicit-def: $vgpr1_vgpr2
	s_cbranch_execz .LBB115_1100
.LBB115_1067:
	s_mov_b32 s10, 0
	v_mov_b32_e32 v1, 0
	v_mov_b32_e32 v2, v0
	s_branch .LBB115_1069
.LBB115_1068:                           ;   in Loop: Header=BB115_1069 Depth=1
	s_or_b64 exec, exec, s[8:9]
	s_add_i32 s10, s10, 4
	v_add_u32_e32 v6, 0x400, v6
	s_cmp_lg_u32 s10, 64
	v_add_u32_e32 v2, -4, v2
	s_barrier
	s_cbranch_scc0 .LBB115_1085
.LBB115_1069:                           ; =>This Inner Loop Header: Depth=1
	v_cmp_eq_u32_e32 vcc, 0, v2
	s_and_b64 s[14:15], s[0:1], vcc
	s_and_saveexec_b64 s[8:9], s[14:15]
; %bb.1070:                             ;   in Loop: Header=BB115_1069 Depth=1
	ds_write_b32 v1, v12 offset:20736
; %bb.1071:                             ;   in Loop: Header=BB115_1069 Depth=1
	s_or_b64 exec, exec, s[8:9]
	v_cmp_lt_u32_e32 vcc, s10, v0
	s_and_b64 s[14:15], s[0:1], vcc
	s_waitcnt lgkmcnt(0)
	s_barrier
	s_and_saveexec_b64 s[8:9], s[14:15]
	s_cbranch_execz .LBB115_1073
; %bb.1072:                             ;   in Loop: Header=BB115_1069 Depth=1
	ds_read_b32 v3, v6
	ds_read_b32 v4, v1 offset:20736
	s_waitcnt lgkmcnt(0)
	v_fmac_f32_e32 v12, v3, v4
.LBB115_1073:                           ;   in Loop: Header=BB115_1069 Depth=1
	s_or_b64 exec, exec, s[8:9]
	s_or_b32 s11, s10, 1
	v_cmp_eq_u32_e32 vcc, s11, v0
	s_and_b64 s[14:15], s[0:1], vcc
	s_barrier
	s_and_saveexec_b64 s[8:9], s[14:15]
; %bb.1074:                             ;   in Loop: Header=BB115_1069 Depth=1
	ds_write_b32 v1, v12 offset:20736
; %bb.1075:                             ;   in Loop: Header=BB115_1069 Depth=1
	s_or_b64 exec, exec, s[8:9]
	v_cmp_lt_u32_e32 vcc, s11, v0
	s_and_b64 s[14:15], s[0:1], vcc
	s_waitcnt lgkmcnt(0)
	s_barrier
	s_and_saveexec_b64 s[8:9], s[14:15]
	s_cbranch_execz .LBB115_1077
; %bb.1076:                             ;   in Loop: Header=BB115_1069 Depth=1
	ds_read_b32 v3, v6 offset:256
	ds_read_b32 v4, v1 offset:20736
	s_waitcnt lgkmcnt(0)
	v_fmac_f32_e32 v12, v3, v4
.LBB115_1077:                           ;   in Loop: Header=BB115_1069 Depth=1
	s_or_b64 exec, exec, s[8:9]
	s_or_b32 s11, s10, 2
	v_cmp_eq_u32_e32 vcc, s11, v0
	s_and_b64 s[14:15], s[0:1], vcc
	s_barrier
	s_and_saveexec_b64 s[8:9], s[14:15]
; %bb.1078:                             ;   in Loop: Header=BB115_1069 Depth=1
	ds_write_b32 v1, v12 offset:20736
; %bb.1079:                             ;   in Loop: Header=BB115_1069 Depth=1
	s_or_b64 exec, exec, s[8:9]
	v_cmp_lt_u32_e32 vcc, s11, v0
	s_and_b64 s[14:15], s[0:1], vcc
	s_waitcnt lgkmcnt(0)
	s_barrier
	s_and_saveexec_b64 s[8:9], s[14:15]
	s_cbranch_execz .LBB115_1081
; %bb.1080:                             ;   in Loop: Header=BB115_1069 Depth=1
	ds_read_b32 v3, v6 offset:512
	ds_read_b32 v4, v1 offset:20736
	s_waitcnt lgkmcnt(0)
	v_fmac_f32_e32 v12, v3, v4
.LBB115_1081:                           ;   in Loop: Header=BB115_1069 Depth=1
	s_or_b64 exec, exec, s[8:9]
	s_or_b32 s11, s10, 3
	v_cmp_eq_u32_e32 vcc, s11, v0
	s_and_b64 s[14:15], s[0:1], vcc
	s_barrier
	s_and_saveexec_b64 s[8:9], s[14:15]
; %bb.1082:                             ;   in Loop: Header=BB115_1069 Depth=1
	ds_write_b32 v1, v12 offset:20736
; %bb.1083:                             ;   in Loop: Header=BB115_1069 Depth=1
	s_or_b64 exec, exec, s[8:9]
	v_cmp_lt_u32_e32 vcc, s11, v0
	s_and_b64 s[14:15], s[0:1], vcc
	s_waitcnt lgkmcnt(0)
	s_barrier
	s_and_saveexec_b64 s[8:9], s[14:15]
	s_cbranch_execz .LBB115_1068
; %bb.1084:                             ;   in Loop: Header=BB115_1069 Depth=1
	ds_read_b32 v3, v6 offset:768
	ds_read_b32 v4, v1 offset:20736
	s_waitcnt lgkmcnt(0)
	v_fmac_f32_e32 v12, v3, v4
	s_branch .LBB115_1068
.LBB115_1085:
	s_and_b64 vcc, exec, s[2:3]
	s_cbranch_vccz .LBB115_1101
; %bb.1086:
	s_and_b64 s[2:3], s[0:1], exec
	s_cbranch_execz .LBB115_1102
	s_branch .LBB115_1103
.LBB115_1087:
	v_or_b32_e32 v11, v1, v0
	v_cmp_gt_u32_e32 vcc, 64, v11
	s_and_b64 s[2:3], vcc, exec
	s_andn2_saveexec_b64 s[0:1], s[0:1]
	s_cbranch_execz .LBB115_14
.LBB115_1088:
	v_mad_u64_u32 v[11:12], s[8:9], s24, v1, 0
	s_or_b64 s[2:3], s[2:3], exec
	v_mov_b32_e32 v5, v12
	v_mad_u64_u32 v[12:13], s[8:9], s25, v1, v[5:6]
	v_lshlrev_b64 v[11:12], 2, v[11:12]
	v_add_co_u32_e32 v11, vcc, v2, v11
	v_addc_co_u32_e32 v12, vcc, v3, v12, vcc
	flat_load_dword v5, v[11:12]
	s_waitcnt vmcnt(0) lgkmcnt(0)
	v_xor_b32_e32 v5, 0x80000000, v5
	s_or_b64 exec, exec, s[0:1]
	s_and_saveexec_b64 s[0:1], s[2:3]
	s_cbranch_execnz .LBB115_15
	s_branch .LBB115_16
.LBB115_1089:
	v_or_b32_e32 v11, v5, v0
	v_cmp_gt_u32_e32 vcc, 64, v11
	s_and_b64 s[0:1], vcc, exec
	s_or_saveexec_b64 s[2:3], s[2:3]
	v_mov_b32_e32 v11, 0
	s_xor_b64 exec, exec, s[2:3]
	s_cbranch_execz .LBB115_18
.LBB115_1090:
	v_mad_u64_u32 v[11:12], s[8:9], s24, v5, 0
	s_or_b64 s[0:1], s[0:1], exec
	v_mad_u64_u32 v[12:13], s[8:9], s25, v5, v[12:13]
	v_lshlrev_b64 v[11:12], 2, v[11:12]
	v_add_co_u32_e32 v11, vcc, v2, v11
	v_addc_co_u32_e32 v12, vcc, v3, v12, vcc
	flat_load_dword v11, v[11:12]
	s_waitcnt vmcnt(0) lgkmcnt(0)
	v_xor_b32_e32 v11, 0x80000000, v11
	s_or_b64 exec, exec, s[2:3]
	s_and_saveexec_b64 s[2:3], s[0:1]
	s_cbranch_execnz .LBB115_19
	s_branch .LBB115_20
.LBB115_1091:
	v_or_b32_e32 v11, v5, v0
	v_cmp_gt_u32_e32 vcc, 64, v11
	s_and_b64 s[0:1], vcc, exec
	s_or_saveexec_b64 s[2:3], s[2:3]
	v_mov_b32_e32 v11, 0
	s_xor_b64 exec, exec, s[2:3]
	s_cbranch_execz .LBB115_22
.LBB115_1092:
	v_mad_u64_u32 v[11:12], s[8:9], s24, v5, 0
	s_or_b64 s[0:1], s[0:1], exec
	v_mad_u64_u32 v[12:13], s[8:9], s25, v5, v[12:13]
	v_lshlrev_b64 v[11:12], 2, v[11:12]
	v_add_co_u32_e32 v11, vcc, v2, v11
	v_addc_co_u32_e32 v12, vcc, v3, v12, vcc
	flat_load_dword v11, v[11:12]
	s_waitcnt vmcnt(0) lgkmcnt(0)
	v_xor_b32_e32 v11, 0x80000000, v11
	s_or_b64 exec, exec, s[2:3]
	s_and_saveexec_b64 s[2:3], s[0:1]
	s_cbranch_execnz .LBB115_23
	s_branch .LBB115_24
.LBB115_1093:
	v_or_b32_e32 v11, v1, v0
	v_cmp_gt_u32_e64 s[0:1], 64, v11
	s_and_b64 s[2:3], s[0:1], exec
	s_andn2_saveexec_b64 s[10:11], s[10:11]
	s_cbranch_execz .LBB115_30
.LBB115_1094:
	v_mad_u64_u32 v[11:12], s[0:1], s24, v1, 0
	s_or_b64 s[2:3], s[2:3], exec
	v_mov_b32_e32 v5, v12
	v_mad_u64_u32 v[12:13], s[0:1], s25, v1, v[5:6]
	v_lshlrev_b64 v[11:12], 2, v[11:12]
	v_add_co_u32_e64 v11, s[0:1], v2, v11
	v_addc_co_u32_e64 v12, s[0:1], v3, v12, s[0:1]
	flat_load_dword v5, v[11:12]
	s_waitcnt vmcnt(0) lgkmcnt(0)
	v_xor_b32_e32 v5, 0x80000000, v5
	s_or_b64 exec, exec, s[10:11]
	s_and_saveexec_b64 s[0:1], s[2:3]
	s_cbranch_execnz .LBB115_31
	s_branch .LBB115_32
.LBB115_1095:
	v_or_b32_e32 v11, v5, v0
	v_cmp_gt_u32_e64 s[0:1], 64, v11
	s_and_b64 s[2:3], s[0:1], exec
	s_or_saveexec_b64 s[10:11], s[10:11]
	v_mov_b32_e32 v11, 0
	s_xor_b64 exec, exec, s[10:11]
	s_cbranch_execz .LBB115_34
.LBB115_1096:
	v_mad_u64_u32 v[11:12], s[0:1], s24, v5, 0
	s_or_b64 s[2:3], s[2:3], exec
	v_mad_u64_u32 v[12:13], s[0:1], s25, v5, v[12:13]
	v_lshlrev_b64 v[11:12], 2, v[11:12]
	v_add_co_u32_e64 v11, s[0:1], v2, v11
	v_addc_co_u32_e64 v12, s[0:1], v3, v12, s[0:1]
	flat_load_dword v11, v[11:12]
	s_waitcnt vmcnt(0) lgkmcnt(0)
	v_xor_b32_e32 v11, 0x80000000, v11
	s_or_b64 exec, exec, s[10:11]
	s_and_saveexec_b64 s[0:1], s[2:3]
	s_cbranch_execnz .LBB115_35
	s_branch .LBB115_36
.LBB115_1097:
	v_or_b32_e32 v11, v5, v0
	v_cmp_gt_u32_e64 s[0:1], 64, v11
	s_and_b64 s[2:3], s[0:1], exec
	s_or_saveexec_b64 s[10:11], s[10:11]
	v_mov_b32_e32 v11, 0
	s_xor_b64 exec, exec, s[10:11]
	s_cbranch_execz .LBB115_38
.LBB115_1098:
	v_mad_u64_u32 v[11:12], s[0:1], s24, v5, 0
	s_or_b64 s[2:3], s[2:3], exec
	v_mad_u64_u32 v[12:13], s[0:1], s25, v5, v[12:13]
	v_lshlrev_b64 v[11:12], 2, v[11:12]
	v_add_co_u32_e64 v11, s[0:1], v2, v11
	v_addc_co_u32_e64 v12, s[0:1], v3, v12, s[0:1]
	flat_load_dword v11, v[11:12]
	s_waitcnt vmcnt(0) lgkmcnt(0)
	v_xor_b32_e32 v11, 0x80000000, v11
	s_or_b64 exec, exec, s[10:11]
	s_and_saveexec_b64 s[0:1], s[2:3]
	s_cbranch_execnz .LBB115_39
	s_branch .LBB115_40
.LBB115_1099:
	s_or_b64 exec, exec, s[10:11]
	s_and_b64 vcc, exec, s[8:9]
	s_cbranch_vccnz .LBB115_1067
.LBB115_1100:
	v_mov_b32_e32 v12, v4
	s_and_saveexec_b64 s[0:1], s[4:5]
	s_cbranch_execnz .LBB115_1106
	s_branch .LBB115_1107
.LBB115_1101:
	s_mov_b64 s[2:3], 0
.LBB115_1102:
	v_cmp_gt_i32_e32 vcc, s7, v0
	s_and_b64 s[0:1], s[0:1], vcc
	s_andn2_b64 s[2:3], s[2:3], exec
	s_and_b64 s[0:1], s[0:1], exec
	s_or_b64 s[2:3], s[2:3], s[0:1]
.LBB115_1103:
                                        ; implicit-def: $vgpr1_vgpr2
	s_and_saveexec_b64 s[0:1], s[2:3]
	s_cbranch_execz .LBB115_1105
; %bb.1104:
	s_lshl_b32 s2, s6, 6
	s_ashr_i32 s3, s2, 31
	v_mov_b32_e32 v0, s3
	v_add_co_u32_e32 v1, vcc, s2, v11
	v_addc_co_u32_e32 v0, vcc, 0, v0, vcc
	v_mul_lo_u32 v0, v0, s22
	v_mul_lo_u32 v3, v1, s23
	v_mad_u64_u32 v[1:2], s[2:3], v1, s22, 0
	s_or_b64 s[4:5], s[4:5], exec
	v_add3_u32 v2, v2, v3, v0
.LBB115_1105:
	s_or_b64 exec, exec, s[0:1]
	s_and_saveexec_b64 s[0:1], s[4:5]
	s_cbranch_execz .LBB115_1107
.LBB115_1106:
	v_lshlrev_b64 v[0:1], 2, v[1:2]
	v_mov_b32_e32 v2, s37
	v_add_co_u32_e32 v0, vcc, s36, v0
	v_addc_co_u32_e32 v1, vcc, v2, v1, vcc
	flat_store_dword v[0:1], v12
.LBB115_1107:
	s_or_b64 exec, exec, s[0:1]
	v_cmp_eq_u32_e32 vcc, 0, v11
	s_waitcnt vmcnt(0) lgkmcnt(0)
	buffer_wbinvl1_vol
	s_barrier
	s_and_saveexec_b64 s[0:1], vcc
	s_cbranch_execz .LBB115_1109
; %bb.1108:
	s_lshl_b64 s[2:3], s[20:21], 2
	s_add_u32 s2, s12, s2
	s_addc_u32 s3, s13, s3
	v_mov_b32_e32 v0, 0
	global_load_dword v1, v0, s[2:3]
	s_waitcnt vmcnt(0)
	v_add_u32_e32 v1, 1, v1
	global_store_dword v0, v1, s[2:3]
.LBB115_1109:
	s_or_b64 exec, exec, s[0:1]
	s_waitcnt vmcnt(0)
	buffer_wbinvl1_vol
	s_endpgm
.LBB115_1110:
	v_lshlrev_b32_e32 v17, 2, v15
	v_sub_u32_e32 v17, v16, v17
	v_lshl_add_u32 v17, v14, 2, v17
	ds_read_b32 v17, v17 offset:272
	ds_read_b32 v18, v16 offset:4
	s_waitcnt lgkmcnt(0)
	v_fmac_f32_e32 v13, v17, v18
	s_or_b64 exec, exec, s[14:15]
	v_cmp_gt_u32_e64 s[10:11], 8, v4
	s_and_saveexec_b64 s[14:15], s[10:11]
	s_cbranch_execz .LBB115_66
.LBB115_1111:
	ds_read_b32 v17, v11 offset:528
	ds_read_b32 v16, v16 offset:8
	s_waitcnt lgkmcnt(0)
	v_fmac_f32_e32 v13, v17, v16
	s_or_b64 exec, exec, s[14:15]
	v_cmp_gt_u32_e64 s[10:11], 4, v4
	s_and_saveexec_b64 s[14:15], s[10:11]
	s_cbranch_execnz .LBB115_67
	s_branch .LBB115_68
.LBB115_1112:
	v_lshlrev_b32_e32 v22, 2, v20
	v_sub_u32_e32 v22, v21, v22
	v_lshl_add_u32 v22, v19, 2, v22
	ds_read_b32 v22, v22 offset:288
	ds_read_b32 v23, v21 offset:4
	s_waitcnt lgkmcnt(0)
	v_fmac_f32_e32 v18, v22, v23
	s_or_b64 exec, exec, s[16:17]
	v_cmp_gt_u32_e64 s[10:11], 48, v4
	s_and_saveexec_b64 s[16:17], s[10:11]
	s_cbranch_execz .LBB115_104
.LBB115_1113:
	v_lshlrev_b32_e32 v22, 2, v20
	v_sub_u32_e32 v22, v21, v22
	v_lshl_add_u32 v22, v19, 2, v22
	ds_read_b32 v22, v22 offset:544
	ds_read_b32 v23, v21 offset:8
	s_waitcnt lgkmcnt(0)
	v_fmac_f32_e32 v18, v22, v23
	s_or_b64 exec, exec, s[16:17]
	v_cmp_gt_u32_e64 s[10:11], 40, v4
	s_and_saveexec_b64 s[16:17], s[10:11]
	s_cbranch_execz .LBB115_105
.LBB115_1114:
	v_lshlrev_b32_e32 v22, 2, v20
	v_sub_u32_e32 v22, v21, v22
	v_lshl_add_u32 v22, v19, 2, v22
	ds_read_b32 v22, v22 offset:800
	ds_read_b32 v23, v21 offset:12
	s_waitcnt lgkmcnt(0)
	v_fmac_f32_e32 v18, v22, v23
	s_or_b64 exec, exec, s[16:17]
	v_cmp_gt_u32_e64 s[10:11], 32, v4
	s_and_saveexec_b64 s[16:17], s[10:11]
	s_cbranch_execz .LBB115_106
.LBB115_1115:
	ds_read_b32 v22, v16 offset:1056
	ds_read_b32 v23, v21 offset:16
	s_waitcnt lgkmcnt(0)
	v_fmac_f32_e32 v18, v22, v23
	s_or_b64 exec, exec, s[16:17]
	v_cmp_gt_u32_e64 s[10:11], 24, v4
	s_and_saveexec_b64 s[16:17], s[10:11]
	s_cbranch_execz .LBB115_107
.LBB115_1116:
	v_lshlrev_b32_e32 v22, 2, v20
	v_sub_u32_e32 v22, v21, v22
	v_lshl_add_u32 v22, v19, 2, v22
	ds_read_b32 v22, v22 offset:1312
	ds_read_b32 v23, v21 offset:20
	s_waitcnt lgkmcnt(0)
	v_fmac_f32_e32 v18, v22, v23
	s_or_b64 exec, exec, s[16:17]
	v_cmp_gt_u32_e64 s[10:11], 16, v4
	s_and_saveexec_b64 s[16:17], s[10:11]
	s_cbranch_execz .LBB115_108
.LBB115_1117:
	ds_read_b32 v22, v16 offset:1568
	ds_read_b32 v21, v21 offset:24
	s_waitcnt lgkmcnt(0)
	v_fmac_f32_e32 v18, v22, v21
	s_or_b64 exec, exec, s[16:17]
	v_cmp_gt_u32_e64 s[10:11], 8, v4
	s_and_saveexec_b64 s[16:17], s[10:11]
	s_cbranch_execnz .LBB115_109
	s_branch .LBB115_110
.LBB115_1118:
	v_lshlrev_b32_e32 v23, 2, v15
	v_sub_u32_e32 v23, v22, v23
	v_lshl_add_u32 v23, v14, 2, v23
	ds_read_b32 v23, v23 offset:2352
	ds_read_b32 v24, v22 offset:2084
	s_waitcnt lgkmcnt(0)
	v_fmac_f32_e32 v21, v23, v24
	s_or_b64 exec, exec, s[12:13]
	v_cmp_gt_u32_e64 s[8:9], 8, v4
	s_and_saveexec_b64 s[12:13], s[8:9]
	s_cbranch_execz .LBB115_162
.LBB115_1119:
	ds_read_b32 v23, v11 offset:2608
	ds_read_b32 v22, v22 offset:2088
	s_waitcnt lgkmcnt(0)
	v_fmac_f32_e32 v21, v23, v22
	s_or_b64 exec, exec, s[12:13]
	v_cmp_gt_u32_e64 s[8:9], 4, v4
	s_and_saveexec_b64 s[12:13], s[8:9]
	s_cbranch_execnz .LBB115_163
	s_branch .LBB115_164
.LBB115_1120:
	v_lshlrev_b32_e32 v27, 2, v22
	v_lshl_add_u32 v27, v24, 2, v27
	ds_read_b32 v27, v27 offset:2880
	ds_read_b32 v28, v26 offset:44
	s_waitcnt lgkmcnt(0)
	v_fmac_f32_e32 v23, v27, v28
	s_or_b64 exec, exec, s[18:19]
	v_cmp_gt_u32_e64 s[12:13], 64, v4
	s_and_saveexec_b64 s[18:19], s[12:13]
	s_cbranch_execz .LBB115_220
.LBB115_1121:
	ds_read_b32 v27, v21 offset:3136
	ds_read_b32 v28, v26 offset:48
	s_waitcnt lgkmcnt(0)
	v_fmac_f32_e32 v23, v27, v28
	s_or_b64 exec, exec, s[18:19]
	v_cmp_gt_u32_e64 s[12:13], 48, v4
	s_and_saveexec_b64 s[18:19], s[12:13]
	s_cbranch_execz .LBB115_221
.LBB115_1122:
	v_lshlrev_b32_e32 v27, 2, v22
	v_lshl_add_u32 v27, v24, 2, v27
	ds_read_b32 v27, v27 offset:3392
	ds_read_b32 v28, v26 offset:52
	s_waitcnt lgkmcnt(0)
	v_fmac_f32_e32 v23, v27, v28
	s_or_b64 exec, exec, s[18:19]
	v_cmp_gt_u32_e64 s[12:13], 32, v4
	s_and_saveexec_b64 s[18:19], s[12:13]
	s_cbranch_execz .LBB115_222
.LBB115_1123:
	ds_read_b32 v27, v21 offset:3648
	ds_read_b32 v26, v26 offset:56
	s_waitcnt lgkmcnt(0)
	v_fmac_f32_e32 v23, v27, v26
	s_or_b64 exec, exec, s[18:19]
	v_cmp_gt_u32_e64 s[12:13], 16, v4
	s_and_saveexec_b64 s[18:19], s[12:13]
	s_cbranch_execnz .LBB115_223
	s_branch .LBB115_224
.LBB115_1124:
	v_lshlrev_b32_e32 v28, 2, v15
	v_sub_u32_e32 v28, v27, v28
	v_lshl_add_u32 v28, v14, 2, v28
	ds_read_b32 v28, v28 offset:4432
	ds_read_b32 v29, v27 offset:4164
	s_waitcnt lgkmcnt(0)
	v_fmac_f32_e32 v26, v28, v29
	s_or_b64 exec, exec, s[16:17]
	v_cmp_gt_u32_e64 s[10:11], 8, v4
	s_and_saveexec_b64 s[16:17], s[10:11]
	s_cbranch_execz .LBB115_308
.LBB115_1125:
	ds_read_b32 v28, v11 offset:4688
	ds_read_b32 v27, v27 offset:4168
	s_waitcnt lgkmcnt(0)
	v_fmac_f32_e32 v26, v28, v27
	s_or_b64 exec, exec, s[16:17]
	v_cmp_gt_u32_e64 s[10:11], 4, v4
	s_and_saveexec_b64 s[16:17], s[10:11]
	s_cbranch_execnz .LBB115_309
	s_branch .LBB115_310
.LBB115_1126:
	v_lshlrev_b32_e32 v28, 2, v20
	v_sub_u32_e32 v28, v27, v28
	v_lshl_add_u32 v28, v19, 2, v28
	ds_read_b32 v28, v28 offset:4448
	ds_read_b32 v29, v27 offset:4164
	s_waitcnt lgkmcnt(0)
	v_fmac_f32_e32 v26, v28, v29
	s_or_b64 exec, exec, s[16:17]
	v_cmp_gt_u32_e64 s[10:11], 48, v4
	s_and_saveexec_b64 s[16:17], s[10:11]
	s_cbranch_execz .LBB115_346
.LBB115_1127:
	v_lshlrev_b32_e32 v28, 2, v20
	v_sub_u32_e32 v28, v27, v28
	v_lshl_add_u32 v28, v19, 2, v28
	ds_read_b32 v28, v28 offset:4704
	ds_read_b32 v29, v27 offset:4168
	s_waitcnt lgkmcnt(0)
	v_fmac_f32_e32 v26, v28, v29
	s_or_b64 exec, exec, s[16:17]
	v_cmp_gt_u32_e64 s[10:11], 40, v4
	s_and_saveexec_b64 s[16:17], s[10:11]
	s_cbranch_execz .LBB115_347
.LBB115_1128:
	v_lshlrev_b32_e32 v28, 2, v20
	v_sub_u32_e32 v28, v27, v28
	v_lshl_add_u32 v28, v19, 2, v28
	ds_read_b32 v28, v28 offset:4960
	ds_read_b32 v29, v27 offset:4172
	s_waitcnt lgkmcnt(0)
	v_fmac_f32_e32 v26, v28, v29
	s_or_b64 exec, exec, s[16:17]
	v_cmp_gt_u32_e64 s[10:11], 32, v4
	s_and_saveexec_b64 s[16:17], s[10:11]
	s_cbranch_execz .LBB115_348
.LBB115_1129:
	ds_read_b32 v28, v16 offset:5216
	ds_read_b32 v29, v27 offset:4176
	s_waitcnt lgkmcnt(0)
	v_fmac_f32_e32 v26, v28, v29
	s_or_b64 exec, exec, s[16:17]
	v_cmp_gt_u32_e64 s[10:11], 24, v4
	s_and_saveexec_b64 s[16:17], s[10:11]
	s_cbranch_execz .LBB115_349
.LBB115_1130:
	v_lshlrev_b32_e32 v28, 2, v20
	v_sub_u32_e32 v28, v27, v28
	v_lshl_add_u32 v28, v19, 2, v28
	ds_read_b32 v28, v28 offset:5472
	ds_read_b32 v29, v27 offset:4180
	s_waitcnt lgkmcnt(0)
	v_fmac_f32_e32 v26, v28, v29
	s_or_b64 exec, exec, s[16:17]
	v_cmp_gt_u32_e64 s[10:11], 16, v4
	s_and_saveexec_b64 s[16:17], s[10:11]
	s_cbranch_execz .LBB115_350
.LBB115_1131:
	ds_read_b32 v28, v16 offset:5728
	ds_read_b32 v27, v27 offset:4184
	s_waitcnt lgkmcnt(0)
	v_fmac_f32_e32 v26, v28, v27
	s_or_b64 exec, exec, s[16:17]
	v_cmp_gt_u32_e64 s[10:11], 8, v4
	s_and_saveexec_b64 s[16:17], s[10:11]
	s_cbranch_execnz .LBB115_351
	s_branch .LBB115_352
.LBB115_1132:
	v_lshlrev_b32_e32 v28, 2, v15
	v_sub_u32_e32 v28, v27, v28
	v_lshl_add_u32 v28, v14, 2, v28
	ds_read_b32 v28, v28 offset:6512
	ds_read_b32 v29, v27 offset:6244
	s_waitcnt lgkmcnt(0)
	v_fmac_f32_e32 v26, v28, v29
	s_or_b64 exec, exec, s[16:17]
	v_cmp_gt_u32_e64 s[10:11], 8, v4
	s_and_saveexec_b64 s[16:17], s[10:11]
	s_cbranch_execz .LBB115_404
.LBB115_1133:
	ds_read_b32 v28, v11 offset:6768
	ds_read_b32 v27, v27 offset:6248
	s_waitcnt lgkmcnt(0)
	v_fmac_f32_e32 v26, v28, v27
	s_or_b64 exec, exec, s[16:17]
	v_cmp_gt_u32_e64 s[10:11], 4, v4
	s_and_saveexec_b64 s[16:17], s[10:11]
	s_cbranch_execnz .LBB115_405
	s_branch .LBB115_406
.LBB115_1134:
	ds_read_b32 v32, v26 offset:7552
	ds_read_b32 v33, v31 offset:116
	s_waitcnt lgkmcnt(0)
	v_fmac_f32_e32 v29, v32, v33
	s_or_b64 exec, exec, s[82:83]
	v_cmp_gt_u32_e64 s[16:17], 64, v4
	s_and_saveexec_b64 s[82:83], s[16:17]
	s_cbranch_execz .LBB115_498
.LBB115_1135:
	ds_read_b32 v32, v26 offset:7808
	ds_read_b32 v31, v31 offset:120
	s_waitcnt lgkmcnt(0)
	v_fmac_f32_e32 v29, v32, v31
	s_or_b64 exec, exec, s[82:83]
	v_cmp_gt_u32_e64 s[16:17], 32, v4
	s_and_saveexec_b64 s[82:83], s[16:17]
	s_cbranch_execnz .LBB115_499
	s_branch .LBB115_500
.LBB115_1136:
	v_lshlrev_b32_e32 v28, 2, v15
	v_sub_u32_e32 v28, v27, v28
	v_lshl_add_u32 v28, v14, 2, v28
	ds_read_b32 v28, v28 offset:8592
	ds_read_b32 v29, v27 offset:8324
	s_waitcnt lgkmcnt(0)
	v_fmac_f32_e32 v26, v28, v29
	s_or_b64 exec, exec, s[16:17]
	v_cmp_gt_u32_e64 s[10:11], 8, v4
	s_and_saveexec_b64 s[16:17], s[10:11]
	s_cbranch_execz .LBB115_648
.LBB115_1137:
	ds_read_b32 v28, v11 offset:8848
	ds_read_b32 v27, v27 offset:8328
	s_waitcnt lgkmcnt(0)
	v_fmac_f32_e32 v26, v28, v27
	s_or_b64 exec, exec, s[16:17]
	v_cmp_gt_u32_e64 s[10:11], 4, v4
	s_and_saveexec_b64 s[16:17], s[10:11]
	s_cbranch_execnz .LBB115_649
	s_branch .LBB115_650
.LBB115_1138:
	v_lshlrev_b32_e32 v28, 2, v20
	v_sub_u32_e32 v28, v27, v28
	v_lshl_add_u32 v28, v19, 2, v28
	ds_read_b32 v28, v28 offset:8608
	ds_read_b32 v29, v27 offset:8324
	s_waitcnt lgkmcnt(0)
	v_fmac_f32_e32 v26, v28, v29
	s_or_b64 exec, exec, s[16:17]
	v_cmp_gt_u32_e64 s[10:11], 48, v4
	s_and_saveexec_b64 s[16:17], s[10:11]
	s_cbranch_execz .LBB115_686
.LBB115_1139:
	v_lshlrev_b32_e32 v28, 2, v20
	v_sub_u32_e32 v28, v27, v28
	v_lshl_add_u32 v28, v19, 2, v28
	ds_read_b32 v28, v28 offset:8864
	ds_read_b32 v29, v27 offset:8328
	s_waitcnt lgkmcnt(0)
	v_fmac_f32_e32 v26, v28, v29
	s_or_b64 exec, exec, s[16:17]
	v_cmp_gt_u32_e64 s[10:11], 40, v4
	s_and_saveexec_b64 s[16:17], s[10:11]
	s_cbranch_execz .LBB115_687
.LBB115_1140:
	v_lshlrev_b32_e32 v28, 2, v20
	v_sub_u32_e32 v28, v27, v28
	v_lshl_add_u32 v28, v19, 2, v28
	ds_read_b32 v28, v28 offset:9120
	ds_read_b32 v29, v27 offset:8332
	s_waitcnt lgkmcnt(0)
	v_fmac_f32_e32 v26, v28, v29
	s_or_b64 exec, exec, s[16:17]
	v_cmp_gt_u32_e64 s[10:11], 32, v4
	s_and_saveexec_b64 s[16:17], s[10:11]
	s_cbranch_execz .LBB115_688
.LBB115_1141:
	ds_read_b32 v28, v16 offset:9376
	ds_read_b32 v29, v27 offset:8336
	s_waitcnt lgkmcnt(0)
	v_fmac_f32_e32 v26, v28, v29
	s_or_b64 exec, exec, s[16:17]
	v_cmp_gt_u32_e64 s[10:11], 24, v4
	s_and_saveexec_b64 s[16:17], s[10:11]
	s_cbranch_execz .LBB115_689
.LBB115_1142:
	v_lshlrev_b32_e32 v28, 2, v20
	v_sub_u32_e32 v28, v27, v28
	v_lshl_add_u32 v28, v19, 2, v28
	ds_read_b32 v28, v28 offset:9632
	ds_read_b32 v29, v27 offset:8340
	s_waitcnt lgkmcnt(0)
	v_fmac_f32_e32 v26, v28, v29
	s_or_b64 exec, exec, s[16:17]
	v_cmp_gt_u32_e64 s[10:11], 16, v4
	s_and_saveexec_b64 s[16:17], s[10:11]
	s_cbranch_execz .LBB115_690
.LBB115_1143:
	ds_read_b32 v28, v16 offset:9888
	ds_read_b32 v27, v27 offset:8344
	s_waitcnt lgkmcnt(0)
	v_fmac_f32_e32 v26, v28, v27
	s_or_b64 exec, exec, s[16:17]
	v_cmp_gt_u32_e64 s[10:11], 8, v4
	s_and_saveexec_b64 s[16:17], s[10:11]
	s_cbranch_execnz .LBB115_691
	s_branch .LBB115_692
.LBB115_1144:
	v_lshlrev_b32_e32 v28, 2, v15
	v_sub_u32_e32 v28, v27, v28
	v_lshl_add_u32 v28, v14, 2, v28
	ds_read_b32 v28, v28 offset:10672
	ds_read_b32 v29, v27 offset:10404
	s_waitcnt lgkmcnt(0)
	v_fmac_f32_e32 v26, v28, v29
	s_or_b64 exec, exec, s[16:17]
	v_cmp_gt_u32_e64 s[10:11], 8, v4
	s_and_saveexec_b64 s[16:17], s[10:11]
	s_cbranch_execz .LBB115_744
.LBB115_1145:
	ds_read_b32 v28, v11 offset:10928
	ds_read_b32 v27, v27 offset:10408
	s_waitcnt lgkmcnt(0)
	v_fmac_f32_e32 v26, v28, v27
	s_or_b64 exec, exec, s[16:17]
	v_cmp_gt_u32_e64 s[10:11], 4, v4
	s_and_saveexec_b64 s[16:17], s[10:11]
	s_cbranch_execnz .LBB115_745
	s_branch .LBB115_746
.LBB115_1146:
	v_lshlrev_b32_e32 v25, 2, v22
	v_lshl_add_u32 v25, v24, 2, v25
	ds_read_b32 v25, v25 offset:11200
	ds_read_b32 v28, v27 offset:8364
	s_waitcnt lgkmcnt(0)
	v_fmac_f32_e32 v26, v25, v28
	s_or_b64 exec, exec, s[16:17]
	v_cmp_gt_u32_e64 s[10:11], 64, v4
	s_and_saveexec_b64 s[16:17], s[10:11]
	s_cbranch_execz .LBB115_802
.LBB115_1147:
	ds_read_b32 v25, v21 offset:11456
	ds_read_b32 v28, v27 offset:8368
	s_waitcnt lgkmcnt(0)
	v_fmac_f32_e32 v26, v25, v28
	s_or_b64 exec, exec, s[16:17]
	v_cmp_gt_u32_e64 s[10:11], 48, v4
	s_and_saveexec_b64 s[16:17], s[10:11]
	s_cbranch_execz .LBB115_803
.LBB115_1148:
	v_lshlrev_b32_e32 v25, 2, v22
	v_lshl_add_u32 v24, v24, 2, v25
	ds_read_b32 v24, v24 offset:11712
	ds_read_b32 v25, v27 offset:8372
	s_waitcnt lgkmcnt(0)
	v_fmac_f32_e32 v26, v24, v25
	s_or_b64 exec, exec, s[16:17]
	v_cmp_gt_u32_e64 s[10:11], 32, v4
	s_and_saveexec_b64 s[16:17], s[10:11]
	s_cbranch_execz .LBB115_804
.LBB115_1149:
	ds_read_b32 v24, v21 offset:11968
	ds_read_b32 v25, v27 offset:8376
	s_waitcnt lgkmcnt(0)
	v_fmac_f32_e32 v26, v24, v25
	s_or_b64 exec, exec, s[16:17]
	v_cmp_gt_u32_e64 s[10:11], 16, v4
	s_and_saveexec_b64 s[16:17], s[10:11]
	s_cbranch_execnz .LBB115_805
	s_branch .LBB115_806
.LBB115_1150:
	v_lshlrev_b32_e32 v23, 2, v15
	v_sub_u32_e32 v23, v22, v23
	v_lshl_add_u32 v23, v14, 2, v23
	ds_read_b32 v23, v23 offset:12752
	ds_read_b32 v24, v22 offset:12484
	s_waitcnt lgkmcnt(0)
	v_fmac_f32_e32 v21, v23, v24
	s_or_b64 exec, exec, s[12:13]
	v_cmp_gt_u32_e64 s[8:9], 8, v4
	s_and_saveexec_b64 s[12:13], s[8:9]
	s_cbranch_execz .LBB115_890
.LBB115_1151:
	ds_read_b32 v23, v11 offset:13008
	ds_read_b32 v22, v22 offset:12488
	s_waitcnt lgkmcnt(0)
	v_fmac_f32_e32 v21, v23, v22
	s_or_b64 exec, exec, s[12:13]
	v_cmp_gt_u32_e64 s[8:9], 4, v4
	s_and_saveexec_b64 s[12:13], s[8:9]
	s_cbranch_execnz .LBB115_891
	s_branch .LBB115_892
.LBB115_1152:
	v_lshlrev_b32_e32 v23, 2, v20
	v_sub_u32_e32 v23, v22, v23
	v_lshl_add_u32 v23, v19, 2, v23
	ds_read_b32 v23, v23 offset:12768
	ds_read_b32 v24, v22 offset:12484
	s_waitcnt lgkmcnt(0)
	v_fmac_f32_e32 v21, v23, v24
	s_or_b64 exec, exec, s[12:13]
	v_cmp_gt_u32_e64 s[8:9], 48, v4
	s_and_saveexec_b64 s[12:13], s[8:9]
	s_cbranch_execz .LBB115_928
.LBB115_1153:
	v_lshlrev_b32_e32 v23, 2, v20
	v_sub_u32_e32 v23, v22, v23
	v_lshl_add_u32 v23, v19, 2, v23
	ds_read_b32 v23, v23 offset:13024
	ds_read_b32 v24, v22 offset:12488
	s_waitcnt lgkmcnt(0)
	v_fmac_f32_e32 v21, v23, v24
	s_or_b64 exec, exec, s[12:13]
	v_cmp_gt_u32_e64 s[8:9], 40, v4
	s_and_saveexec_b64 s[12:13], s[8:9]
	s_cbranch_execz .LBB115_929
.LBB115_1154:
	v_lshlrev_b32_e32 v23, 2, v20
	v_sub_u32_e32 v23, v22, v23
	v_lshl_add_u32 v23, v19, 2, v23
	ds_read_b32 v23, v23 offset:13280
	ds_read_b32 v24, v22 offset:12492
	s_waitcnt lgkmcnt(0)
	v_fmac_f32_e32 v21, v23, v24
	s_or_b64 exec, exec, s[12:13]
	v_cmp_gt_u32_e64 s[8:9], 32, v4
	s_and_saveexec_b64 s[12:13], s[8:9]
	s_cbranch_execz .LBB115_930
.LBB115_1155:
	ds_read_b32 v23, v16 offset:13536
	ds_read_b32 v24, v22 offset:12496
	s_waitcnt lgkmcnt(0)
	v_fmac_f32_e32 v21, v23, v24
	s_or_b64 exec, exec, s[12:13]
	v_cmp_gt_u32_e64 s[8:9], 24, v4
	s_and_saveexec_b64 s[12:13], s[8:9]
	s_cbranch_execz .LBB115_931
.LBB115_1156:
	v_lshlrev_b32_e32 v20, 2, v20
	v_sub_u32_e32 v20, v22, v20
	v_lshl_add_u32 v19, v19, 2, v20
	ds_read_b32 v19, v19 offset:13792
	ds_read_b32 v20, v22 offset:12500
	s_waitcnt lgkmcnt(0)
	v_fmac_f32_e32 v21, v19, v20
	s_or_b64 exec, exec, s[12:13]
	v_cmp_gt_u32_e64 s[8:9], 16, v4
	s_and_saveexec_b64 s[12:13], s[8:9]
	s_cbranch_execz .LBB115_932
.LBB115_1157:
	ds_read_b32 v19, v16 offset:14048
	ds_read_b32 v20, v22 offset:12504
	s_waitcnt lgkmcnt(0)
	v_fmac_f32_e32 v21, v19, v20
	s_or_b64 exec, exec, s[12:13]
	v_cmp_gt_u32_e64 s[8:9], 8, v4
	s_and_saveexec_b64 s[12:13], s[8:9]
	s_cbranch_execnz .LBB115_933
	s_branch .LBB115_934
.LBB115_1158:
	v_lshlrev_b32_e32 v15, 2, v15
	v_sub_u32_e32 v15, v17, v15
	v_lshl_add_u32 v14, v14, 2, v15
	ds_read_b32 v14, v14 offset:14832
	ds_read_b32 v15, v17 offset:14564
	s_waitcnt lgkmcnt(0)
	v_fmac_f32_e32 v16, v14, v15
	s_or_b64 exec, exec, s[12:13]
	v_cmp_gt_u32_e64 s[8:9], 8, v4
	s_and_saveexec_b64 s[12:13], s[8:9]
	s_cbranch_execz .LBB115_986
.LBB115_1159:
	ds_read_b32 v14, v11 offset:15088
	ds_read_b32 v15, v17 offset:14568
	s_waitcnt lgkmcnt(0)
	v_fmac_f32_e32 v16, v14, v15
	s_or_b64 exec, exec, s[12:13]
	v_cmp_gt_u32_e64 s[8:9], 4, v4
	s_and_saveexec_b64 s[12:13], s[8:9]
	s_cbranch_execnz .LBB115_987
	s_branch .LBB115_988
	.section	.rodata,"a",@progbits
	.p2align	6, 0x0
	.amdhsa_kernel _ZL19rocblas_trsv_deviceILi64ELi16ELb1ELb0ELb0ELb1EffPKPKfPKPfEviT7_lllT6_T8_lllPii
		.amdhsa_group_segment_fixed_size 20740
		.amdhsa_private_segment_fixed_size 0
		.amdhsa_kernarg_size 352
		.amdhsa_user_sgpr_count 6
		.amdhsa_user_sgpr_private_segment_buffer 1
		.amdhsa_user_sgpr_dispatch_ptr 0
		.amdhsa_user_sgpr_queue_ptr 0
		.amdhsa_user_sgpr_kernarg_segment_ptr 1
		.amdhsa_user_sgpr_dispatch_id 0
		.amdhsa_user_sgpr_flat_scratch_init 0
		.amdhsa_user_sgpr_private_segment_size 0
		.amdhsa_uses_dynamic_stack 0
		.amdhsa_system_sgpr_private_segment_wavefront_offset 0
		.amdhsa_system_sgpr_workgroup_id_x 1
		.amdhsa_system_sgpr_workgroup_id_y 0
		.amdhsa_system_sgpr_workgroup_id_z 1
		.amdhsa_system_sgpr_workgroup_info 0
		.amdhsa_system_vgpr_workitem_id 1
		.amdhsa_next_free_vgpr 35
		.amdhsa_next_free_sgpr 96
		.amdhsa_reserve_vcc 1
		.amdhsa_reserve_flat_scratch 0
		.amdhsa_float_round_mode_32 0
		.amdhsa_float_round_mode_16_64 0
		.amdhsa_float_denorm_mode_32 3
		.amdhsa_float_denorm_mode_16_64 3
		.amdhsa_dx10_clamp 1
		.amdhsa_ieee_mode 1
		.amdhsa_fp16_overflow 0
		.amdhsa_exception_fp_ieee_invalid_op 0
		.amdhsa_exception_fp_denorm_src 0
		.amdhsa_exception_fp_ieee_div_zero 0
		.amdhsa_exception_fp_ieee_overflow 0
		.amdhsa_exception_fp_ieee_underflow 0
		.amdhsa_exception_fp_ieee_inexact 0
		.amdhsa_exception_int_div_zero 0
	.end_amdhsa_kernel
	.section	.text._ZL19rocblas_trsv_deviceILi64ELi16ELb1ELb0ELb0ELb1EffPKPKfPKPfEviT7_lllT6_T8_lllPii,"axG",@progbits,_ZL19rocblas_trsv_deviceILi64ELi16ELb1ELb0ELb0ELb1EffPKPKfPKPfEviT7_lllT6_T8_lllPii,comdat
.Lfunc_end115:
	.size	_ZL19rocblas_trsv_deviceILi64ELi16ELb1ELb0ELb0ELb1EffPKPKfPKPfEviT7_lllT6_T8_lllPii, .Lfunc_end115-_ZL19rocblas_trsv_deviceILi64ELi16ELb1ELb0ELb0ELb1EffPKPKfPKPfEviT7_lllT6_T8_lllPii
                                        ; -- End function
	.set _ZL19rocblas_trsv_deviceILi64ELi16ELb1ELb0ELb0ELb1EffPKPKfPKPfEviT7_lllT6_T8_lllPii.num_vgpr, 35
	.set _ZL19rocblas_trsv_deviceILi64ELi16ELb1ELb0ELb0ELb1EffPKPKfPKPfEviT7_lllT6_T8_lllPii.num_agpr, 0
	.set _ZL19rocblas_trsv_deviceILi64ELi16ELb1ELb0ELb0ELb1EffPKPKfPKPfEviT7_lllT6_T8_lllPii.numbered_sgpr, 96
	.set _ZL19rocblas_trsv_deviceILi64ELi16ELb1ELb0ELb0ELb1EffPKPKfPKPfEviT7_lllT6_T8_lllPii.num_named_barrier, 0
	.set _ZL19rocblas_trsv_deviceILi64ELi16ELb1ELb0ELb0ELb1EffPKPKfPKPfEviT7_lllT6_T8_lllPii.private_seg_size, 0
	.set _ZL19rocblas_trsv_deviceILi64ELi16ELb1ELb0ELb0ELb1EffPKPKfPKPfEviT7_lllT6_T8_lllPii.uses_vcc, 1
	.set _ZL19rocblas_trsv_deviceILi64ELi16ELb1ELb0ELb0ELb1EffPKPKfPKPfEviT7_lllT6_T8_lllPii.uses_flat_scratch, 0
	.set _ZL19rocblas_trsv_deviceILi64ELi16ELb1ELb0ELb0ELb1EffPKPKfPKPfEviT7_lllT6_T8_lllPii.has_dyn_sized_stack, 0
	.set _ZL19rocblas_trsv_deviceILi64ELi16ELb1ELb0ELb0ELb1EffPKPKfPKPfEviT7_lllT6_T8_lllPii.has_recursion, 0
	.set _ZL19rocblas_trsv_deviceILi64ELi16ELb1ELb0ELb0ELb1EffPKPKfPKPfEviT7_lllT6_T8_lllPii.has_indirect_call, 0
	.section	.AMDGPU.csdata,"",@progbits
; Kernel info:
; codeLenInByte = 28624
; TotalNumSgprs: 100
; NumVgprs: 35
; ScratchSize: 0
; MemoryBound: 0
; FloatMode: 240
; IeeeMode: 1
; LDSByteSize: 20740 bytes/workgroup (compile time only)
; SGPRBlocks: 12
; VGPRBlocks: 8
; NumSGPRsForWavesPerEU: 100
; NumVGPRsForWavesPerEU: 35
; Occupancy: 7
; WaveLimiterHint : 1
; COMPUTE_PGM_RSRC2:SCRATCH_EN: 0
; COMPUTE_PGM_RSRC2:USER_SGPR: 6
; COMPUTE_PGM_RSRC2:TRAP_HANDLER: 0
; COMPUTE_PGM_RSRC2:TGID_X_EN: 1
; COMPUTE_PGM_RSRC2:TGID_Y_EN: 0
; COMPUTE_PGM_RSRC2:TGID_Z_EN: 1
; COMPUTE_PGM_RSRC2:TIDIG_COMP_CNT: 1
	.section	.text._ZL19rocblas_trsv_deviceILi64ELi16ELb1ELb1ELb0ELb1EffPKPKfPKPfEviT7_lllT6_T8_lllPii,"axG",@progbits,_ZL19rocblas_trsv_deviceILi64ELi16ELb1ELb1ELb0ELb1EffPKPKfPKPfEviT7_lllT6_T8_lllPii,comdat
	.globl	_ZL19rocblas_trsv_deviceILi64ELi16ELb1ELb1ELb0ELb1EffPKPKfPKPfEviT7_lllT6_T8_lllPii ; -- Begin function _ZL19rocblas_trsv_deviceILi64ELi16ELb1ELb1ELb0ELb1EffPKPKfPKPfEviT7_lllT6_T8_lllPii
	.p2align	8
	.type	_ZL19rocblas_trsv_deviceILi64ELi16ELb1ELb1ELb0ELb1EffPKPKfPKPfEviT7_lllT6_T8_lllPii,@function
_ZL19rocblas_trsv_deviceILi64ELi16ELb1ELb1ELb0ELb1EffPKPKfPKPfEviT7_lllT6_T8_lllPii: ; @_ZL19rocblas_trsv_deviceILi64ELi16ELb1ELb1ELb0ELb1EffPKPKfPKPfEviT7_lllT6_T8_lllPii
; %bb.0:
	s_load_dwordx4 s[0:3], s[4:5], 0x8
	s_mov_b32 s24, s7
	s_mov_b32 s25, 0
	s_lshl_b64 s[8:9], s[24:25], 3
	s_waitcnt lgkmcnt(0)
	s_add_u32 s0, s0, s8
	s_addc_u32 s1, s1, s9
	s_load_dwordx2 s[10:11], s[0:1], 0x0
	s_load_dword s28, s[4:5], 0x0
	s_load_dwordx4 s[12:15], s[4:5], 0x30
	s_load_dwordx2 s[34:35], s[4:5], 0x18
	s_lshl_b64 s[0:1], s[2:3], 2
	s_waitcnt lgkmcnt(0)
	s_add_u32 s89, s10, s0
	s_addc_u32 s90, s11, s1
	s_add_u32 s0, s12, s8
	s_load_dword s7, s[4:5], 0x60
	s_addc_u32 s1, s13, s9
	s_load_dwordx2 s[36:37], s[0:1], 0x0
	s_load_dwordx2 s[26:27], s[4:5], 0x40
	s_load_dword s91, s[4:5], 0x6c
	s_waitcnt lgkmcnt(0)
	s_add_i32 s7, s7, -1
	s_sub_i32 s33, s7, s6
	s_cmp_eq_u32 s6, 0
	s_cbranch_scc1 .LBB116_10
; %bb.1:
	s_lshl_b32 s2, s33, 6
	v_add_u32_e32 v6, s2, v0
	v_ashrrev_i32_e32 v2, 31, v6
	v_mul_lo_u32 v7, s34, v2
	v_mul_lo_u32 v8, s35, v6
	v_mad_u64_u32 v[4:5], s[0:1], s34, v6, 0
	v_add3_u32 v2, v1, s2, 64
	v_ashrrev_i32_e32 v3, 31, v2
	v_add3_u32 v5, v5, v7, v8
	v_lshlrev_b64 v[4:5], 2, v[4:5]
	v_cmp_gt_i32_e32 vcc, s28, v6
	v_mov_b32_e32 v6, s90
	v_add_co_u32_e64 v7, s[0:1], s89, v4
	v_lshlrev_b64 v[3:4], 2, v[2:3]
	v_addc_co_u32_e64 v5, s[0:1], v6, v5, s[0:1]
	v_add_co_u32_e64 v3, s[0:1], v7, v3
	v_addc_co_u32_e64 v4, s[0:1], v5, v4, s[0:1]
	v_cmp_gt_i32_e64 s[0:1], s28, v2
	s_and_b64 s[2:3], s[0:1], vcc
	v_mov_b32_e32 v6, 0
	v_mov_b32_e32 v7, 0
	s_barrier
	s_and_saveexec_b64 s[0:1], s[2:3]
	s_cbranch_execz .LBB116_3
; %bb.2:
	flat_load_dword v7, v[3:4]
.LBB116_3:
	s_or_b64 exec, exec, s[0:1]
	v_add_u32_e32 v5, 16, v2
	v_cmp_gt_i32_e64 s[0:1], s28, v5
	s_and_b64 s[2:3], s[0:1], vcc
	s_waitcnt vmcnt(0) lgkmcnt(0)
	s_barrier
	s_and_saveexec_b64 s[0:1], s[2:3]
	s_cbranch_execz .LBB116_5
; %bb.4:
	flat_load_dword v6, v[3:4] offset:64
.LBB116_5:
	s_or_b64 exec, exec, s[0:1]
	v_add_u32_e32 v5, 32, v2
	v_cmp_gt_i32_e64 s[0:1], s28, v5
	s_and_b64 s[2:3], s[0:1], vcc
	v_mov_b32_e32 v8, 0
	v_mov_b32_e32 v9, 0
	s_waitcnt vmcnt(0) lgkmcnt(0)
	s_barrier
	s_and_saveexec_b64 s[0:1], s[2:3]
	s_cbranch_execz .LBB116_7
; %bb.6:
	flat_load_dword v9, v[3:4] offset:128
.LBB116_7:
	s_or_b64 exec, exec, s[0:1]
	v_add_u32_e32 v2, 48, v2
	v_cmp_gt_i32_e64 s[0:1], s28, v2
	s_and_b64 s[2:3], s[0:1], vcc
	s_waitcnt vmcnt(0) lgkmcnt(0)
	s_barrier
	s_and_saveexec_b64 s[0:1], s[2:3]
	s_cbranch_execz .LBB116_9
; %bb.8:
	flat_load_dword v8, v[3:4] offset:192
.LBB116_9:
	s_or_b64 exec, exec, s[0:1]
	s_branch .LBB116_11
.LBB116_10:
                                        ; implicit-def: $vgpr8
                                        ; implicit-def: $vgpr9
                                        ; implicit-def: $vgpr6
                                        ; implicit-def: $vgpr7
.LBB116_11:
	s_ashr_i32 s29, s28, 31
	s_lshr_b32 s0, s29, 26
	s_add_i32 s0, s28, s0
	s_andn2_b32 s0, s0, 63
	s_sub_i32 s88, s28, s0
	s_add_i32 s0, s28, -1
	s_ashr_i32 s1, s0, 31
	s_lshr_b32 s1, s1, 26
	s_add_i32 s0, s0, s1
	s_ashr_i32 s0, s0, 6
	s_cmp_eq_u32 s0, s33
	s_cselect_b64 s[0:1], -1, 0
	s_cmp_lg_u32 s88, 0
	s_cselect_b64 s[2:3], -1, 0
	s_and_b64 s[30:31], s[2:3], s[0:1]
	s_cmp_lt_i32 s6, 5
	s_cselect_b64 s[2:3], -1, 0
	s_mov_b64 s[12:13], -1
	s_or_b64 s[0:1], s[2:3], s[30:31]
	v_lshlrev_b32_e32 v4, 6, v0
	s_and_b64 vcc, exec, s[30:31]
	v_cmp_le_u32_e64 s[8:9], v0, v1
	s_cbranch_vccnz .LBB116_27
; %bb.12:
	s_add_u32 s10, s34, 1
	s_addc_u32 s11, s35, 0
	s_lshl_b32 s12, s33, 6
	s_ashr_i32 s13, s12, 31
	s_mul_hi_u32 s14, s10, s12
	s_mul_i32 s13, s10, s13
	s_add_i32 s13, s14, s13
	s_mul_i32 s11, s11, s12
	s_add_i32 s11, s13, s11
	s_mul_i32 s10, s10, s12
	s_lshl_b64 s[10:11], s[10:11], 2
	s_add_u32 s10, s89, s10
	s_addc_u32 s11, s90, s11
	v_lshlrev_b32_e32 v2, 2, v0
	v_mov_b32_e32 v3, s11
	v_add_co_u32_e32 v2, vcc, s10, v2
	v_mov_b32_e32 v5, 0
	v_addc_co_u32_e32 v3, vcc, 0, v3, vcc
	s_mov_b64 s[10:11], 0
	s_and_saveexec_b64 s[12:13], s[8:9]
	s_xor_b64 s[8:9], exec, s[12:13]
	s_cbranch_execnz .LBB116_1154
; %bb.13:
	s_andn2_saveexec_b64 s[8:9], s[8:9]
	s_cbranch_execnz .LBB116_1155
.LBB116_14:
	s_or_b64 exec, exec, s[8:9]
	s_and_saveexec_b64 s[8:9], s[10:11]
.LBB116_15:
	v_add_u32_e32 v10, v1, v4
	v_lshl_add_u32 v11, v1, 6, v0
	v_cndmask_b32_e64 v10, v11, v10, s[2:3]
	v_lshlrev_b32_e32 v10, 2, v10
	ds_write_b32 v10, v5
.LBB116_16:
	s_or_b64 exec, exec, s[8:9]
	v_add_u32_e32 v5, 16, v1
	v_cmp_le_u32_e32 vcc, v0, v5
	s_mov_b64 s[2:3], 0
	s_and_saveexec_b64 s[8:9], vcc
	s_xor_b64 s[8:9], exec, s[8:9]
	s_cbranch_execnz .LBB116_1156
; %bb.17:
	s_or_saveexec_b64 s[8:9], s[8:9]
	v_mov_b32_e32 v10, 0
	s_xor_b64 exec, exec, s[8:9]
	s_cbranch_execnz .LBB116_1157
.LBB116_18:
	s_or_b64 exec, exec, s[8:9]
	s_and_saveexec_b64 s[8:9], s[2:3]
.LBB116_19:
	v_add_u32_e32 v11, v5, v4
	v_lshl_add_u32 v5, v5, 6, v0
	v_cndmask_b32_e64 v5, v5, v11, s[0:1]
	v_lshlrev_b32_e32 v5, 2, v5
	ds_write_b32 v5, v10
.LBB116_20:
	s_or_b64 exec, exec, s[8:9]
	v_add_u32_e32 v5, 32, v1
	v_cmp_le_u32_e32 vcc, v0, v5
	s_mov_b64 s[2:3], 0
	s_and_saveexec_b64 s[8:9], vcc
	s_xor_b64 s[8:9], exec, s[8:9]
	s_cbranch_execnz .LBB116_1158
; %bb.21:
	s_or_saveexec_b64 s[8:9], s[8:9]
	v_mov_b32_e32 v10, 0
	s_xor_b64 exec, exec, s[8:9]
	s_cbranch_execnz .LBB116_1159
.LBB116_22:
	s_or_b64 exec, exec, s[8:9]
	s_and_saveexec_b64 s[8:9], s[2:3]
.LBB116_23:
	v_add_u32_e32 v11, v5, v4
	v_lshl_add_u32 v5, v5, 6, v0
	v_cndmask_b32_e64 v5, v5, v11, s[0:1]
	v_lshlrev_b32_e32 v5, 2, v5
	ds_write_b32 v5, v10
.LBB116_24:
	s_or_b64 exec, exec, s[8:9]
	v_add_u32_e32 v5, 48, v1
	v_add_u32_e32 v10, v5, v4
	v_lshl_add_u32 v11, v5, 6, v0
	v_cmp_le_u32_e32 vcc, v0, v5
	s_mov_b64 s[2:3], -1
	s_mov_b64 s[12:13], 0
	s_mov_b64 s[10:11], 0
	s_and_saveexec_b64 s[8:9], vcc
	s_xor_b64 s[8:9], exec, s[8:9]
; %bb.25:
	v_or_b32_e32 v12, v5, v0
	v_cmp_gt_u32_e32 vcc, 64, v12
	s_and_b64 s[10:11], vcc, exec
	s_xor_b64 s[2:3], exec, -1
; %bb.26:
	s_or_b64 exec, exec, s[8:9]
	v_cndmask_b32_e64 v10, v11, v10, s[0:1]
	s_and_b64 vcc, exec, s[12:13]
	s_cbranch_vccnz .LBB116_28
	s_branch .LBB116_43
.LBB116_27:
	s_mov_b64 s[2:3], 0
	s_mov_b64 s[10:11], 0
                                        ; implicit-def: $vgpr10
                                        ; implicit-def: $vgpr2_vgpr3
                                        ; implicit-def: $vgpr5
	s_and_b64 vcc, exec, s[12:13]
	s_cbranch_vccz .LBB116_43
.LBB116_28:
	s_add_u32 s2, s34, 1
	s_addc_u32 s3, s35, 0
	s_lshl_b32 s8, s33, 6
	s_ashr_i32 s9, s8, 31
	s_mul_hi_u32 s12, s2, s8
	s_mul_i32 s9, s2, s9
	s_add_i32 s9, s12, s9
	s_mul_i32 s3, s3, s8
	s_add_i32 s3, s9, s3
	s_mul_i32 s2, s2, s8
	s_lshl_b64 s[2:3], s[2:3], 2
	s_add_u32 s2, s89, s2
	s_addc_u32 s3, s90, s3
	v_lshlrev_b32_e32 v2, 2, v0
	v_mov_b32_e32 v3, s3
	v_add_co_u32_e64 v2, s[2:3], s2, v2
	v_addc_co_u32_e64 v3, s[2:3], 0, v3, s[2:3]
	v_max_i32_e32 v10, v1, v0
	v_cmp_le_u32_e64 s[2:3], v0, v1
	v_cmp_le_i32_e64 s[8:9], s88, v10
	v_cmp_gt_i32_e32 vcc, s88, v0
	v_mov_b32_e32 v5, 0
	s_or_b64 s[2:3], s[8:9], s[2:3]
	s_mov_b64 s[8:9], 0
	s_and_saveexec_b64 s[12:13], s[2:3]
	s_xor_b64 s[12:13], exec, s[12:13]
	s_cbranch_execnz .LBB116_1160
; %bb.29:
	s_andn2_saveexec_b64 s[12:13], s[12:13]
	s_cbranch_execnz .LBB116_1161
.LBB116_30:
	s_or_b64 exec, exec, s[12:13]
	s_and_saveexec_b64 s[2:3], s[8:9]
.LBB116_31:
	v_lshlrev_b32_e32 v10, 2, v4
	v_lshl_add_u32 v10, v1, 2, v10
	ds_write_b32 v10, v5
.LBB116_32:
	s_or_b64 exec, exec, s[2:3]
	v_add_u32_e32 v5, 16, v1
	v_cmp_gt_u32_e64 s[2:3], v0, v5
	v_cmp_gt_i32_e64 s[8:9], s88, v5
	s_and_b64 s[2:3], s[2:3], s[8:9]
	s_and_b64 s[2:3], s[2:3], vcc
	s_xor_b64 s[2:3], s[2:3], -1
	s_mov_b64 s[8:9], 0
	s_and_saveexec_b64 s[12:13], s[2:3]
	s_xor_b64 s[12:13], exec, s[12:13]
	s_cbranch_execnz .LBB116_1162
; %bb.33:
	s_or_saveexec_b64 s[12:13], s[12:13]
	v_mov_b32_e32 v10, 0
	s_xor_b64 exec, exec, s[12:13]
	s_cbranch_execnz .LBB116_1163
.LBB116_34:
	s_or_b64 exec, exec, s[12:13]
	s_and_saveexec_b64 s[2:3], s[8:9]
.LBB116_35:
	v_add_u32_e32 v11, v5, v4
	v_lshl_add_u32 v5, v5, 6, v0
	v_cndmask_b32_e64 v5, v5, v11, s[0:1]
	v_lshlrev_b32_e32 v5, 2, v5
	ds_write_b32 v5, v10
.LBB116_36:
	s_or_b64 exec, exec, s[2:3]
	v_add_u32_e32 v5, 32, v1
	v_cmp_gt_u32_e64 s[2:3], v0, v5
	v_cmp_gt_i32_e64 s[8:9], s88, v5
	s_and_b64 s[2:3], s[2:3], s[8:9]
	s_and_b64 s[2:3], s[2:3], vcc
	s_xor_b64 s[2:3], s[2:3], -1
	s_mov_b64 s[8:9], 0
	s_and_saveexec_b64 s[12:13], s[2:3]
	s_xor_b64 s[12:13], exec, s[12:13]
	s_cbranch_execnz .LBB116_1164
; %bb.37:
	s_or_saveexec_b64 s[12:13], s[12:13]
	v_mov_b32_e32 v10, 0
	s_xor_b64 exec, exec, s[12:13]
	s_cbranch_execnz .LBB116_1165
.LBB116_38:
	s_or_b64 exec, exec, s[12:13]
	s_and_saveexec_b64 s[2:3], s[8:9]
.LBB116_39:
	v_add_u32_e32 v11, v5, v4
	v_lshl_add_u32 v5, v5, 6, v0
	v_cndmask_b32_e64 v5, v5, v11, s[0:1]
	v_lshlrev_b32_e32 v5, 2, v5
	ds_write_b32 v5, v10
.LBB116_40:
	s_or_b64 exec, exec, s[2:3]
	v_add_u32_e32 v5, 48, v1
	v_cmp_gt_u32_e64 s[2:3], v0, v5
	v_cmp_gt_i32_e64 s[8:9], s88, v5
	s_and_b64 s[2:3], s[2:3], s[8:9]
	s_and_b64 s[8:9], s[2:3], vcc
	v_add_u32_e32 v4, v5, v4
	v_lshl_add_u32 v10, v5, 6, v0
	s_mov_b64 s[2:3], -1
	s_xor_b64 s[12:13], s[8:9], -1
	s_and_saveexec_b64 s[8:9], s[12:13]
; %bb.41:
	v_or_b32_e32 v11, v5, v0
	v_cmp_gt_u32_e32 vcc, 64, v11
	s_andn2_b64 s[2:3], s[10:11], exec
	s_and_b64 s[10:11], vcc, exec
	s_or_b64 s[10:11], s[2:3], s[10:11]
	s_xor_b64 s[2:3], exec, -1
; %bb.42:
	s_or_b64 exec, exec, s[8:9]
	v_cndmask_b32_e64 v10, v10, v4, s[0:1]
.LBB116_43:
	v_mov_b32_e32 v4, 0
	s_and_saveexec_b64 s[8:9], s[2:3]
	s_cbranch_execnz .LBB116_1127
; %bb.44:
	s_or_b64 exec, exec, s[8:9]
	s_xor_b64 s[0:1], s[0:1], -1
	s_and_saveexec_b64 s[2:3], s[10:11]
.LBB116_45:
	v_lshlrev_b32_e32 v2, 2, v10
	ds_write_b32 v2, v4
.LBB116_46:
	s_or_b64 exec, exec, s[2:3]
	v_cndmask_b32_e64 v2, 0, 1, s[0:1]
	v_cmp_ne_u32_e64 s[40:41], 1, v2
	s_andn2_b64 vcc, exec, s[0:1]
	s_waitcnt vmcnt(0) lgkmcnt(0)
	s_barrier
	s_cbranch_vccnz .LBB116_1084
; %bb.47:
	v_or_b32_e32 v2, v0, v1
	v_cmp_eq_u32_e32 vcc, 0, v2
	s_and_saveexec_b64 s[0:1], vcc
	s_cbranch_execz .LBB116_49
; %bb.48:
	v_mov_b32_e32 v4, 0
	ds_read_b32 v2, v4 offset:4
	v_mov_b32_e32 v3, 1.0
	ds_write_b32 v4, v3
	s_waitcnt lgkmcnt(1)
	ds_write_b64 v4, v[2:3] offset:256
.LBB116_49:
	s_or_b64 exec, exec, s[0:1]
	v_lshl_add_u32 v4, v1, 6, v0
	v_and_b32_e32 v11, 1, v0
	v_lshrrev_b32_e32 v5, 1, v4
	v_lshlrev_b32_e32 v2, 2, v11
	v_cmp_lt_u32_e64 s[8:9], 3, v4
	v_cmp_gt_u32_e64 s[2:3], 4, v4
	v_lshl_or_b32 v2, v5, 8, v2
	v_mov_b32_e32 v10, 0
	s_waitcnt lgkmcnt(0)
	s_barrier
	s_and_saveexec_b64 s[0:1], s[2:3]
	s_cbranch_execz .LBB116_53
; %bb.50:
	v_mul_u32_u24_e32 v3, 0x104, v5
	ds_read_b32 v12, v2 offset:8
	ds_read_b32 v3, v3
	v_mov_b32_e32 v10, 0
	v_cmp_gt_u32_e64 s[10:11], 2, v4
	s_waitcnt lgkmcnt(0)
	v_fma_f32 v3, v12, v3, 0
	s_and_saveexec_b64 s[12:13], s[10:11]
	s_cbranch_execz .LBB116_52
; %bb.51:
	v_lshlrev_b32_e32 v12, 2, v0
	ds_read_b32 v12, v12 offset:264
	ds_read_b32 v10, v10 offset:4
	s_waitcnt lgkmcnt(0)
	v_fmac_f32_e32 v3, v12, v10
.LBB116_52:
	s_or_b64 exec, exec, s[12:13]
	v_xor_b32_e32 v10, 0x80000000, v3
.LBB116_53:
                                        ; implicit-def: $vgpr33 : SGPR spill to VGPR lane
	v_writelane_b32 v33, s40, 0
	v_writelane_b32 v33, s41, 1
	s_or_b64 exec, exec, s[0:1]
	v_mov_b32_e32 v3, 0x4000
	v_cmp_eq_u32_e64 s[10:11], 0, v11
	s_xor_b64 s[0:1], s[8:9], -1
	v_lshl_add_u32 v3, v5, 2, v3
	s_and_b64 s[40:41], s[10:11], s[0:1]
	s_and_saveexec_b64 s[8:9], s[40:41]
; %bb.54:
	ds_write_b32 v3, v10
; %bb.55:
	s_or_b64 exec, exec, s[8:9]
	v_cmp_ne_u32_e64 s[8:9], 0, v11
	s_and_b64 s[38:39], s[8:9], s[0:1]
	s_waitcnt lgkmcnt(0)
	s_barrier
	s_and_saveexec_b64 s[0:1], s[38:39]
	s_cbranch_execz .LBB116_57
; %bb.56:
	v_mov_b32_e32 v11, 0
	ds_read_b32 v11, v11 offset:524
	ds_read_b32 v12, v3
	s_waitcnt lgkmcnt(0)
	v_fmac_f32_e32 v10, v11, v12
.LBB116_57:
	s_or_b64 exec, exec, s[0:1]
	s_barrier
	s_and_saveexec_b64 s[0:1], s[38:39]
; %bb.58:
	ds_write_b32 v3, v10
; %bb.59:
	s_or_b64 exec, exec, s[0:1]
	s_waitcnt lgkmcnt(0)
	s_barrier
	s_barrier
	s_and_saveexec_b64 s[0:1], s[2:3]
; %bb.60:
	v_xor_b32_e32 v10, 0x80000000, v10
	ds_write_b32 v2, v10 offset:8
; %bb.61:
	s_or_b64 exec, exec, s[0:1]
	v_cmp_eq_u32_e64 s[12:13], 0, v1
	v_cmp_gt_u32_e64 s[8:9], 2, v0
	s_and_b64 s[42:43], s[12:13], s[8:9]
	s_waitcnt lgkmcnt(0)
	s_barrier
	s_barrier
	s_and_saveexec_b64 s[0:1], s[42:43]
	s_cbranch_execz .LBB116_63
; %bb.62:
	v_lshlrev_b32_e32 v10, 2, v0
	s_movk_i32 s8, 0xfc
	v_mad_u32_u24 v11, v0, s8, v10
	ds_read_b32 v12, v11 offset:8
	s_waitcnt lgkmcnt(0)
	ds_write_b32 v10, v12 offset:512
	ds_read_b32 v11, v11 offset:12
	s_waitcnt lgkmcnt(0)
	ds_write_b32 v10, v11 offset:768
.LBB116_63:
	s_or_b64 exec, exec, s[0:1]
	s_waitcnt lgkmcnt(0)
	s_barrier
	s_and_saveexec_b64 s[0:1], vcc
	s_cbranch_execz .LBB116_65
; %bb.64:
	v_mov_b32_e32 v12, 0
	ds_read_b32 v10, v12 offset:524
	v_mov_b32_e32 v11, 1.0
	ds_write_b32 v12, v11 offset:520
	s_waitcnt lgkmcnt(1)
	ds_write_b64 v12, v[10:11] offset:776
.LBB116_65:
	s_or_b64 exec, exec, s[0:1]
	v_and_b32_e32 v13, 3, v0
	v_lshrrev_b32_e32 v14, 2, v4
	v_lshlrev_b32_e32 v11, 2, v13
	v_cmp_lt_u32_e64 s[8:9], 15, v4
	v_cmp_gt_u32_e64 s[18:19], 16, v4
	v_lshl_or_b32 v10, v14, 8, v11
	v_mov_b32_e32 v15, 0
	s_waitcnt lgkmcnt(0)
	s_barrier
	s_and_saveexec_b64 s[0:1], s[18:19]
	s_cbranch_execz .LBB116_71
; %bb.66:
	v_mul_u32_u24_e32 v15, 0x104, v14
	ds_read_b32 v12, v10 offset:16
	ds_read_b32 v16, v15
	v_cmp_gt_u32_e64 s[10:11], 12, v4
	s_waitcnt lgkmcnt(0)
	v_fma_f32 v12, v12, v16, 0
	s_and_saveexec_b64 s[14:15], s[10:11]
	s_cbranch_execnz .LBB116_1170
; %bb.67:
	s_or_b64 exec, exec, s[14:15]
	v_cmp_gt_u32_e64 s[10:11], 8, v4
	s_and_saveexec_b64 s[14:15], s[10:11]
	s_cbranch_execnz .LBB116_1171
.LBB116_68:
	s_or_b64 exec, exec, s[14:15]
	v_cmp_gt_u32_e64 s[10:11], 4, v4
	s_and_saveexec_b64 s[14:15], s[10:11]
	s_cbranch_execz .LBB116_70
.LBB116_69:
	v_lshlrev_b32_e32 v15, 2, v0
	v_mov_b32_e32 v16, 0
	ds_read_b32 v15, v15 offset:784
	ds_read_b32 v16, v16 offset:12
	s_waitcnt lgkmcnt(0)
	v_fmac_f32_e32 v12, v15, v16
.LBB116_70:
	s_or_b64 exec, exec, s[14:15]
	v_xor_b32_e32 v15, 0x80000000, v12
.LBB116_71:
	s_or_b64 exec, exec, s[0:1]
	v_mov_b32_e32 v12, 0x4000
	v_cmp_eq_u32_e64 s[10:11], 0, v13
	s_xor_b64 s[0:1], s[8:9], -1
	v_lshl_add_u32 v12, v14, 2, v12
	s_and_b64 s[46:47], s[10:11], s[0:1]
	s_and_saveexec_b64 s[8:9], s[46:47]
; %bb.72:
	ds_write_b32 v12, v15
; %bb.73:
	s_or_b64 exec, exec, s[8:9]
	v_cmp_ne_u32_e64 s[8:9], 0, v13
	s_and_b64 s[48:49], s[8:9], s[0:1]
	s_waitcnt lgkmcnt(0)
	s_barrier
	s_and_saveexec_b64 s[8:9], s[48:49]
	s_cbranch_execz .LBB116_75
; %bb.74:
	ds_read_b32 v16, v11 offset:1040
	ds_read_b32 v17, v12
	s_waitcnt lgkmcnt(0)
	v_fmac_f32_e32 v15, v16, v17
.LBB116_75:
	s_or_b64 exec, exec, s[8:9]
	v_cmp_eq_u32_e64 s[8:9], 1, v13
	s_and_b64 s[50:51], s[8:9], s[0:1]
	s_barrier
	s_and_saveexec_b64 s[8:9], s[50:51]
; %bb.76:
	ds_write_b32 v12, v15
; %bb.77:
	s_or_b64 exec, exec, s[8:9]
	v_cmp_lt_u32_e64 s[8:9], 1, v13
	s_and_b64 s[52:53], s[8:9], s[0:1]
	s_waitcnt lgkmcnt(0)
	s_barrier
	s_and_saveexec_b64 s[8:9], s[52:53]
	s_cbranch_execz .LBB116_79
; %bb.78:
	ds_read_b32 v16, v11 offset:1296
	ds_read_b32 v17, v12
	s_waitcnt lgkmcnt(0)
	v_fmac_f32_e32 v15, v16, v17
.LBB116_79:
	s_or_b64 exec, exec, s[8:9]
	v_cmp_eq_u32_e64 s[8:9], 2, v13
	s_and_b64 s[54:55], s[8:9], s[0:1]
	s_barrier
	s_and_saveexec_b64 s[8:9], s[54:55]
; %bb.80:
	ds_write_b32 v12, v15
; %bb.81:
	s_or_b64 exec, exec, s[8:9]
	v_cmp_eq_u32_e64 s[8:9], 3, v13
	s_and_b64 s[44:45], s[8:9], s[0:1]
	s_waitcnt lgkmcnt(0)
	s_barrier
	s_and_saveexec_b64 s[0:1], s[44:45]
	s_cbranch_execz .LBB116_83
; %bb.82:
	v_mov_b32_e32 v16, 0
	ds_read_b32 v16, v16 offset:1564
	ds_read_b32 v17, v12
	s_waitcnt lgkmcnt(0)
	v_fmac_f32_e32 v15, v16, v17
.LBB116_83:
	s_or_b64 exec, exec, s[0:1]
	s_barrier
	s_and_saveexec_b64 s[0:1], s[44:45]
; %bb.84:
	ds_write_b32 v12, v15
; %bb.85:
	s_or_b64 exec, exec, s[0:1]
	s_waitcnt lgkmcnt(0)
	s_barrier
	s_barrier
	s_and_saveexec_b64 s[0:1], s[18:19]
; %bb.86:
	v_xor_b32_e32 v15, 0x80000000, v15
	ds_write_b32 v10, v15 offset:16
; %bb.87:
	s_or_b64 exec, exec, s[0:1]
	v_cmp_gt_u32_e64 s[8:9], 4, v0
	s_and_b64 s[56:57], s[12:13], s[8:9]
	s_waitcnt lgkmcnt(0)
	s_barrier
	s_barrier
	s_and_saveexec_b64 s[0:1], s[56:57]
	s_cbranch_execz .LBB116_89
; %bb.88:
	v_lshlrev_b32_e32 v15, 8, v0
	ds_read_b32 v16, v15 offset:16
	s_movk_i32 s8, 0xff04
	v_mad_i32_i24 v17, v0, s8, v15
	s_waitcnt lgkmcnt(0)
	ds_write_b32 v17, v16 offset:1024
	ds_read_b32 v16, v15 offset:20
	s_waitcnt lgkmcnt(0)
	ds_write_b32 v17, v16 offset:1280
	ds_read_b32 v16, v15 offset:24
	;; [unrolled: 3-line block ×3, first 2 shown]
	s_waitcnt lgkmcnt(0)
	ds_write_b32 v17, v15 offset:1792
.LBB116_89:
	s_or_b64 exec, exec, s[0:1]
	s_waitcnt lgkmcnt(0)
	s_barrier
	s_and_saveexec_b64 s[0:1], vcc
	s_cbranch_execz .LBB116_91
; %bb.90:
	v_mov_b32_e32 v17, 0
	ds_read_b32 v15, v17 offset:1044
	v_mov_b32_e32 v16, 1.0
	ds_write_b32 v17, v16 offset:1040
	s_waitcnt lgkmcnt(1)
	ds_write_b64 v17, v[15:16] offset:1296
.LBB116_91:
	s_or_b64 exec, exec, s[0:1]
	v_mov_b32_e32 v15, 0
	s_waitcnt lgkmcnt(0)
	s_barrier
	s_and_saveexec_b64 s[0:1], s[2:3]
	s_cbranch_execz .LBB116_95
; %bb.92:
	v_mul_u32_u24_e32 v15, 0x104, v5
	ds_read_b32 v17, v2 offset:1048
	ds_read_b32 v15, v15 offset:1040
	v_mov_b32_e32 v16, 0
	v_cmp_gt_u32_e64 s[8:9], 2, v4
	s_waitcnt lgkmcnt(0)
	v_fma_f32 v15, v17, v15, 0
	s_and_saveexec_b64 s[10:11], s[8:9]
	s_cbranch_execz .LBB116_94
; %bb.93:
	v_lshlrev_b32_e32 v17, 2, v0
	ds_read_b32 v17, v17 offset:1304
	ds_read_b32 v16, v16 offset:1044
	s_waitcnt lgkmcnt(0)
	v_fmac_f32_e32 v15, v17, v16
.LBB116_94:
	s_or_b64 exec, exec, s[10:11]
	v_xor_b32_e32 v15, 0x80000000, v15
.LBB116_95:
	s_or_b64 exec, exec, s[0:1]
	s_and_saveexec_b64 s[0:1], s[40:41]
; %bb.96:
	ds_write_b32 v3, v15
; %bb.97:
	s_or_b64 exec, exec, s[0:1]
	s_waitcnt lgkmcnt(0)
	s_barrier
	s_and_saveexec_b64 s[0:1], s[38:39]
	s_cbranch_execz .LBB116_99
; %bb.98:
	v_mov_b32_e32 v16, 0
	ds_read_b32 v16, v16 offset:1564
	ds_read_b32 v17, v3
	s_waitcnt lgkmcnt(0)
	v_fmac_f32_e32 v15, v16, v17
.LBB116_99:
	s_or_b64 exec, exec, s[0:1]
	s_barrier
	s_and_saveexec_b64 s[0:1], s[38:39]
; %bb.100:
	ds_write_b32 v3, v15
; %bb.101:
	s_or_b64 exec, exec, s[0:1]
	s_waitcnt lgkmcnt(0)
	s_barrier
	s_barrier
	s_and_saveexec_b64 s[0:1], s[2:3]
; %bb.102:
	v_xor_b32_e32 v15, 0x80000000, v15
	ds_write_b32 v2, v15 offset:1048
; %bb.103:
	s_or_b64 exec, exec, s[0:1]
	s_waitcnt lgkmcnt(0)
	s_barrier
	s_barrier
	s_and_saveexec_b64 s[0:1], s[42:43]
	s_cbranch_execz .LBB116_105
; %bb.104:
	v_lshlrev_b32_e32 v15, 2, v0
	s_movk_i32 s8, 0xfc
	v_mad_u32_u24 v16, v0, s8, v15
	ds_read_b32 v17, v16 offset:1048
	s_waitcnt lgkmcnt(0)
	ds_write_b32 v15, v17 offset:1552
	ds_read_b32 v16, v16 offset:1052
	s_waitcnt lgkmcnt(0)
	ds_write_b32 v15, v16 offset:1808
.LBB116_105:
	s_or_b64 exec, exec, s[0:1]
	s_waitcnt lgkmcnt(0)
	s_barrier
	s_and_saveexec_b64 s[0:1], vcc
	s_cbranch_execz .LBB116_107
; %bb.106:
	v_mov_b32_e32 v17, 0
	ds_read_b32 v15, v17 offset:1564
	v_mov_b32_e32 v16, 1.0
	ds_write_b32 v17, v16 offset:1560
	s_waitcnt lgkmcnt(1)
	ds_write_b64 v17, v[15:16] offset:1816
.LBB116_107:
	s_or_b64 exec, exec, s[0:1]
	v_and_b32_e32 v18, 7, v0
	v_lshrrev_b32_e32 v19, 3, v4
	v_lshlrev_b32_e32 v16, 2, v18
	v_cmp_lt_u32_e64 s[10:11], 63, v4
	v_cmp_gt_u32_e64 s[8:9], 64, v4
	v_lshl_or_b32 v15, v19, 8, v16
	v_mov_b32_e32 v20, 0
	s_waitcnt lgkmcnt(0)
	s_barrier
	s_and_saveexec_b64 s[0:1], s[8:9]
	s_cbranch_execz .LBB116_117
; %bb.108:
	v_mul_u32_u24_e32 v20, 0x104, v19
	ds_read_b32 v17, v15 offset:32
	ds_read_b32 v21, v20
	v_cmp_gt_u32_e64 s[14:15], 56, v4
	s_waitcnt lgkmcnt(0)
	v_fma_f32 v17, v17, v21, 0
	s_and_saveexec_b64 s[16:17], s[14:15]
	s_cbranch_execnz .LBB116_1172
; %bb.109:
	s_or_b64 exec, exec, s[16:17]
	v_cmp_gt_u32_e64 s[14:15], 48, v4
	s_and_saveexec_b64 s[16:17], s[14:15]
	s_cbranch_execnz .LBB116_1173
.LBB116_110:
	s_or_b64 exec, exec, s[16:17]
	v_cmp_gt_u32_e64 s[14:15], 40, v4
	s_and_saveexec_b64 s[16:17], s[14:15]
	s_cbranch_execnz .LBB116_1174
.LBB116_111:
	s_or_b64 exec, exec, s[16:17]
	v_cmp_gt_u32_e64 s[14:15], 32, v4
	s_and_saveexec_b64 s[16:17], s[14:15]
	s_cbranch_execnz .LBB116_1175
.LBB116_112:
	s_or_b64 exec, exec, s[16:17]
	v_cmp_gt_u32_e64 s[14:15], 24, v4
	s_and_saveexec_b64 s[16:17], s[14:15]
	s_cbranch_execnz .LBB116_1176
.LBB116_113:
	s_or_b64 exec, exec, s[16:17]
	v_cmp_gt_u32_e64 s[14:15], 16, v4
	s_and_saveexec_b64 s[16:17], s[14:15]
	s_cbranch_execnz .LBB116_1177
.LBB116_114:
	s_or_b64 exec, exec, s[16:17]
	v_cmp_gt_u32_e64 s[14:15], 8, v4
	s_and_saveexec_b64 s[16:17], s[14:15]
	s_cbranch_execz .LBB116_116
.LBB116_115:
	v_lshlrev_b32_e32 v20, 2, v0
	v_mov_b32_e32 v21, 0
	ds_read_b32 v20, v20 offset:1824
	ds_read_b32 v21, v21 offset:28
	s_waitcnt lgkmcnt(0)
	v_fmac_f32_e32 v17, v20, v21
.LBB116_116:
	s_or_b64 exec, exec, s[16:17]
	v_xor_b32_e32 v20, 0x80000000, v17
.LBB116_117:
	s_or_b64 exec, exec, s[0:1]
	v_mov_b32_e32 v17, 0x4000
	v_cmp_eq_u32_e64 s[14:15], 0, v18
	s_xor_b64 s[0:1], s[10:11], -1
	v_lshl_add_u32 v17, v19, 2, v17
	s_and_b64 s[58:59], s[14:15], s[0:1]
	s_and_saveexec_b64 s[10:11], s[58:59]
; %bb.118:
	ds_write_b32 v17, v20
; %bb.119:
	s_or_b64 exec, exec, s[10:11]
	v_cmp_ne_u32_e64 s[10:11], 0, v18
	s_and_b64 s[60:61], s[10:11], s[0:1]
	s_waitcnt lgkmcnt(0)
	s_barrier
	s_and_saveexec_b64 s[10:11], s[60:61]
	s_cbranch_execz .LBB116_121
; %bb.120:
	ds_read_b32 v21, v16 offset:2080
	ds_read_b32 v22, v17
	s_waitcnt lgkmcnt(0)
	v_fmac_f32_e32 v20, v21, v22
.LBB116_121:
	s_or_b64 exec, exec, s[10:11]
	v_cmp_eq_u32_e64 s[10:11], 1, v18
	s_and_b64 s[62:63], s[10:11], s[0:1]
	s_barrier
	s_and_saveexec_b64 s[10:11], s[62:63]
; %bb.122:
	ds_write_b32 v17, v20
; %bb.123:
	s_or_b64 exec, exec, s[10:11]
	v_cmp_lt_u32_e64 s[10:11], 1, v18
	s_and_b64 s[64:65], s[10:11], s[0:1]
	s_waitcnt lgkmcnt(0)
	s_barrier
	s_and_saveexec_b64 s[10:11], s[64:65]
	s_cbranch_execz .LBB116_125
; %bb.124:
	ds_read_b32 v21, v16 offset:2336
	ds_read_b32 v22, v17
	s_waitcnt lgkmcnt(0)
	v_fmac_f32_e32 v20, v21, v22
.LBB116_125:
	s_or_b64 exec, exec, s[10:11]
	v_cmp_eq_u32_e64 s[10:11], 2, v18
	s_and_b64 s[68:69], s[10:11], s[0:1]
	s_barrier
	s_and_saveexec_b64 s[10:11], s[68:69]
; %bb.126:
	ds_write_b32 v17, v20
; %bb.127:
	s_or_b64 exec, exec, s[10:11]
	v_cmp_lt_u32_e64 s[10:11], 2, v18
	;; [unrolled: 21-line block ×5, first 2 shown]
	s_and_b64 s[82:83], s[10:11], s[0:1]
	s_waitcnt lgkmcnt(0)
	s_barrier
	s_and_saveexec_b64 s[10:11], s[82:83]
	s_cbranch_execz .LBB116_141
; %bb.140:
	ds_read_b32 v21, v16 offset:3360
	ds_read_b32 v22, v17
	s_waitcnt lgkmcnt(0)
	v_fmac_f32_e32 v20, v21, v22
.LBB116_141:
	s_or_b64 exec, exec, s[10:11]
	v_cmp_eq_u32_e64 s[10:11], 6, v18
	s_and_b64 s[84:85], s[10:11], s[0:1]
	s_barrier
	s_and_saveexec_b64 s[10:11], s[84:85]
; %bb.142:
	ds_write_b32 v17, v20
; %bb.143:
	s_or_b64 exec, exec, s[10:11]
	v_cmp_eq_u32_e64 s[10:11], 7, v18
	s_and_b64 s[66:67], s[10:11], s[0:1]
	s_waitcnt lgkmcnt(0)
	s_barrier
	s_and_saveexec_b64 s[0:1], s[66:67]
	s_cbranch_execz .LBB116_145
; %bb.144:
	v_mov_b32_e32 v21, 0
	ds_read_b32 v21, v21 offset:3644
	ds_read_b32 v22, v17
	s_waitcnt lgkmcnt(0)
	v_fmac_f32_e32 v20, v21, v22
.LBB116_145:
	s_or_b64 exec, exec, s[0:1]
	s_barrier
	s_and_saveexec_b64 s[0:1], s[66:67]
; %bb.146:
	ds_write_b32 v17, v20
; %bb.147:
	s_or_b64 exec, exec, s[0:1]
	s_waitcnt lgkmcnt(0)
	s_barrier
	s_barrier
	s_and_saveexec_b64 s[0:1], s[8:9]
; %bb.148:
	v_xor_b32_e32 v20, 0x80000000, v20
	ds_write_b32 v15, v20 offset:32
; %bb.149:
	s_or_b64 exec, exec, s[0:1]
	v_cmp_gt_u32_e64 s[10:11], 8, v0
	s_and_b64 s[86:87], s[12:13], s[10:11]
	s_waitcnt lgkmcnt(0)
	s_barrier
	s_barrier
	s_and_saveexec_b64 s[0:1], s[86:87]
	s_cbranch_execz .LBB116_151
; %bb.150:
	v_lshlrev_b32_e32 v20, 8, v0
	ds_read_b32 v21, v20 offset:32
	s_movk_i32 s10, 0xff04
	v_mad_i32_i24 v22, v0, s10, v20
	s_waitcnt lgkmcnt(0)
	ds_write_b32 v22, v21 offset:2048
	ds_read_b32 v21, v20 offset:36
	s_waitcnt lgkmcnt(0)
	ds_write_b32 v22, v21 offset:2304
	ds_read_b32 v21, v20 offset:40
	;; [unrolled: 3-line block ×7, first 2 shown]
	s_waitcnt lgkmcnt(0)
	ds_write_b32 v22, v20 offset:3840
.LBB116_151:
	s_or_b64 exec, exec, s[0:1]
	s_waitcnt lgkmcnt(0)
	s_barrier
	s_and_saveexec_b64 s[0:1], vcc
	s_cbranch_execz .LBB116_153
; %bb.152:
	v_mov_b32_e32 v22, 0
	ds_read_b32 v20, v22 offset:2084
	v_mov_b32_e32 v21, 1.0
	ds_write_b32 v22, v21 offset:2080
	s_waitcnt lgkmcnt(1)
	ds_write_b64 v22, v[20:21] offset:2336
.LBB116_153:
	s_or_b64 exec, exec, s[0:1]
	v_mov_b32_e32 v20, 0
	s_waitcnt lgkmcnt(0)
	s_barrier
	s_and_saveexec_b64 s[0:1], s[2:3]
	s_cbranch_execz .LBB116_157
; %bb.154:
	v_mul_u32_u24_e32 v20, 0x104, v5
	ds_read_b32 v22, v2 offset:2088
	ds_read_b32 v20, v20 offset:2080
	v_mov_b32_e32 v21, 0
	v_cmp_gt_u32_e64 s[10:11], 2, v4
	s_waitcnt lgkmcnt(0)
	v_fma_f32 v20, v22, v20, 0
	s_and_saveexec_b64 s[14:15], s[10:11]
	s_cbranch_execz .LBB116_156
; %bb.155:
	v_lshlrev_b32_e32 v22, 2, v0
	ds_read_b32 v22, v22 offset:2344
	ds_read_b32 v21, v21 offset:2084
	s_waitcnt lgkmcnt(0)
	v_fmac_f32_e32 v20, v22, v21
.LBB116_156:
	s_or_b64 exec, exec, s[14:15]
	v_xor_b32_e32 v20, 0x80000000, v20
.LBB116_157:
	s_or_b64 exec, exec, s[0:1]
	s_and_saveexec_b64 s[0:1], s[40:41]
; %bb.158:
	ds_write_b32 v3, v20
; %bb.159:
	s_or_b64 exec, exec, s[0:1]
	s_waitcnt lgkmcnt(0)
	s_barrier
	s_and_saveexec_b64 s[0:1], s[38:39]
	s_cbranch_execz .LBB116_161
; %bb.160:
	v_mov_b32_e32 v21, 0
	ds_read_b32 v21, v21 offset:2604
	ds_read_b32 v22, v3
	s_waitcnt lgkmcnt(0)
	v_fmac_f32_e32 v20, v21, v22
.LBB116_161:
	s_or_b64 exec, exec, s[0:1]
	s_barrier
	s_and_saveexec_b64 s[0:1], s[38:39]
; %bb.162:
	ds_write_b32 v3, v20
; %bb.163:
	s_or_b64 exec, exec, s[0:1]
	s_waitcnt lgkmcnt(0)
	s_barrier
	s_barrier
	s_and_saveexec_b64 s[0:1], s[2:3]
; %bb.164:
	v_xor_b32_e32 v20, 0x80000000, v20
	ds_write_b32 v2, v20 offset:2088
; %bb.165:
	s_or_b64 exec, exec, s[0:1]
	s_waitcnt lgkmcnt(0)
	s_barrier
	s_barrier
	s_and_saveexec_b64 s[0:1], s[42:43]
	s_cbranch_execz .LBB116_167
; %bb.166:
	v_lshlrev_b32_e32 v20, 2, v0
	s_movk_i32 s10, 0xfc
	v_mad_u32_u24 v21, v0, s10, v20
	ds_read_b32 v22, v21 offset:2088
	s_waitcnt lgkmcnt(0)
	ds_write_b32 v20, v22 offset:2592
	ds_read_b32 v21, v21 offset:2092
	s_waitcnt lgkmcnt(0)
	ds_write_b32 v20, v21 offset:2848
.LBB116_167:
	s_or_b64 exec, exec, s[0:1]
	s_waitcnt lgkmcnt(0)
	s_barrier
	s_and_saveexec_b64 s[0:1], vcc
	s_cbranch_execz .LBB116_169
; %bb.168:
	v_mov_b32_e32 v22, 0
	ds_read_b32 v20, v22 offset:2604
	v_mov_b32_e32 v21, 1.0
	ds_write_b32 v22, v21 offset:2600
	s_waitcnt lgkmcnt(1)
	ds_write_b64 v22, v[20:21] offset:2856
.LBB116_169:
	s_or_b64 exec, exec, s[0:1]
	v_mov_b32_e32 v20, 0
	s_waitcnt lgkmcnt(0)
	s_barrier
	s_and_saveexec_b64 s[0:1], s[18:19]
	s_cbranch_execz .LBB116_175
; %bb.170:
	v_mul_u32_u24_e32 v21, 0x104, v14
	ds_read_b32 v20, v10 offset:2096
	ds_read_b32 v22, v21 offset:2080
	v_cmp_gt_u32_e64 s[10:11], 12, v4
	s_waitcnt lgkmcnt(0)
	v_fma_f32 v20, v20, v22, 0
	s_and_saveexec_b64 s[14:15], s[10:11]
	s_cbranch_execnz .LBB116_1178
; %bb.171:
	s_or_b64 exec, exec, s[14:15]
	v_cmp_gt_u32_e64 s[10:11], 8, v4
	s_and_saveexec_b64 s[14:15], s[10:11]
	s_cbranch_execnz .LBB116_1179
.LBB116_172:
	s_or_b64 exec, exec, s[14:15]
	v_cmp_gt_u32_e64 s[10:11], 4, v4
	s_and_saveexec_b64 s[14:15], s[10:11]
	s_cbranch_execz .LBB116_174
.LBB116_173:
	v_lshlrev_b32_e32 v21, 2, v0
	v_mov_b32_e32 v22, 0
	ds_read_b32 v21, v21 offset:2864
	ds_read_b32 v22, v22 offset:2092
	s_waitcnt lgkmcnt(0)
	v_fmac_f32_e32 v20, v21, v22
.LBB116_174:
	s_or_b64 exec, exec, s[14:15]
	v_xor_b32_e32 v20, 0x80000000, v20
.LBB116_175:
	s_or_b64 exec, exec, s[0:1]
	s_and_saveexec_b64 s[0:1], s[46:47]
; %bb.176:
	ds_write_b32 v12, v20
; %bb.177:
	s_or_b64 exec, exec, s[0:1]
	s_waitcnt lgkmcnt(0)
	s_barrier
	s_and_saveexec_b64 s[0:1], s[48:49]
	s_cbranch_execz .LBB116_179
; %bb.178:
	ds_read_b32 v21, v11 offset:3120
	ds_read_b32 v22, v12
	s_waitcnt lgkmcnt(0)
	v_fmac_f32_e32 v20, v21, v22
.LBB116_179:
	s_or_b64 exec, exec, s[0:1]
	s_barrier
	s_and_saveexec_b64 s[0:1], s[50:51]
; %bb.180:
	ds_write_b32 v12, v20
; %bb.181:
	s_or_b64 exec, exec, s[0:1]
	s_waitcnt lgkmcnt(0)
	s_barrier
	s_and_saveexec_b64 s[0:1], s[52:53]
	s_cbranch_execz .LBB116_183
; %bb.182:
	ds_read_b32 v21, v11 offset:3376
	ds_read_b32 v22, v12
	s_waitcnt lgkmcnt(0)
	v_fmac_f32_e32 v20, v21, v22
.LBB116_183:
	s_or_b64 exec, exec, s[0:1]
	s_barrier
	s_and_saveexec_b64 s[0:1], s[54:55]
; %bb.184:
	ds_write_b32 v12, v20
; %bb.185:
	s_or_b64 exec, exec, s[0:1]
	s_waitcnt lgkmcnt(0)
	s_barrier
	s_and_saveexec_b64 s[0:1], s[44:45]
	s_cbranch_execz .LBB116_187
; %bb.186:
	v_mov_b32_e32 v21, 0
	ds_read_b32 v21, v21 offset:3644
	ds_read_b32 v22, v12
	s_waitcnt lgkmcnt(0)
	v_fmac_f32_e32 v20, v21, v22
.LBB116_187:
	s_or_b64 exec, exec, s[0:1]
	s_barrier
	s_and_saveexec_b64 s[0:1], s[44:45]
; %bb.188:
	ds_write_b32 v12, v20
; %bb.189:
	s_or_b64 exec, exec, s[0:1]
	s_waitcnt lgkmcnt(0)
	s_barrier
	s_barrier
	s_and_saveexec_b64 s[0:1], s[18:19]
; %bb.190:
	v_xor_b32_e32 v20, 0x80000000, v20
	ds_write_b32 v10, v20 offset:2096
; %bb.191:
	s_or_b64 exec, exec, s[0:1]
	s_waitcnt lgkmcnt(0)
	s_barrier
	s_barrier
	s_and_saveexec_b64 s[0:1], s[56:57]
	s_cbranch_execz .LBB116_193
; %bb.192:
	v_lshlrev_b32_e32 v20, 8, v0
	ds_read_b32 v21, v20 offset:2096
	s_movk_i32 s10, 0xff04
	v_mad_i32_i24 v22, v0, s10, v20
	s_waitcnt lgkmcnt(0)
	ds_write_b32 v22, v21 offset:3104
	ds_read_b32 v21, v20 offset:2100
	s_waitcnt lgkmcnt(0)
	ds_write_b32 v22, v21 offset:3360
	ds_read_b32 v21, v20 offset:2104
	;; [unrolled: 3-line block ×3, first 2 shown]
	s_waitcnt lgkmcnt(0)
	ds_write_b32 v22, v20 offset:3872
.LBB116_193:
	s_or_b64 exec, exec, s[0:1]
	s_waitcnt lgkmcnt(0)
	s_barrier
	s_and_saveexec_b64 s[0:1], vcc
	s_cbranch_execz .LBB116_195
; %bb.194:
	v_mov_b32_e32 v22, 0
	ds_read_b32 v20, v22 offset:3124
	v_mov_b32_e32 v21, 1.0
	ds_write_b32 v22, v21 offset:3120
	s_waitcnt lgkmcnt(1)
	ds_write_b64 v22, v[20:21] offset:3376
.LBB116_195:
	s_or_b64 exec, exec, s[0:1]
	v_mov_b32_e32 v20, 0
	s_waitcnt lgkmcnt(0)
	s_barrier
	s_and_saveexec_b64 s[0:1], s[2:3]
	s_cbranch_execz .LBB116_199
; %bb.196:
	v_mul_u32_u24_e32 v20, 0x104, v5
	ds_read_b32 v22, v2 offset:3128
	ds_read_b32 v20, v20 offset:3120
	v_mov_b32_e32 v21, 0
	v_cmp_gt_u32_e64 s[10:11], 2, v4
	s_waitcnt lgkmcnt(0)
	v_fma_f32 v20, v22, v20, 0
	s_and_saveexec_b64 s[14:15], s[10:11]
	s_cbranch_execz .LBB116_198
; %bb.197:
	v_lshlrev_b32_e32 v22, 2, v0
	ds_read_b32 v22, v22 offset:3384
	ds_read_b32 v21, v21 offset:3124
	s_waitcnt lgkmcnt(0)
	v_fmac_f32_e32 v20, v22, v21
.LBB116_198:
	s_or_b64 exec, exec, s[14:15]
	v_xor_b32_e32 v20, 0x80000000, v20
.LBB116_199:
	s_or_b64 exec, exec, s[0:1]
	s_and_saveexec_b64 s[0:1], s[40:41]
; %bb.200:
	ds_write_b32 v3, v20
; %bb.201:
	s_or_b64 exec, exec, s[0:1]
	s_waitcnt lgkmcnt(0)
	s_barrier
	s_and_saveexec_b64 s[0:1], s[38:39]
	s_cbranch_execz .LBB116_203
; %bb.202:
	v_mov_b32_e32 v21, 0
	ds_read_b32 v21, v21 offset:3644
	ds_read_b32 v22, v3
	s_waitcnt lgkmcnt(0)
	v_fmac_f32_e32 v20, v21, v22
.LBB116_203:
	s_or_b64 exec, exec, s[0:1]
	s_barrier
	s_and_saveexec_b64 s[0:1], s[38:39]
; %bb.204:
	ds_write_b32 v3, v20
; %bb.205:
	s_or_b64 exec, exec, s[0:1]
	s_waitcnt lgkmcnt(0)
	s_barrier
	s_barrier
	s_and_saveexec_b64 s[0:1], s[2:3]
; %bb.206:
	v_xor_b32_e32 v20, 0x80000000, v20
	ds_write_b32 v2, v20 offset:3128
; %bb.207:
	s_or_b64 exec, exec, s[0:1]
	s_waitcnt lgkmcnt(0)
	s_barrier
	s_barrier
	s_and_saveexec_b64 s[0:1], s[42:43]
	s_cbranch_execz .LBB116_209
; %bb.208:
	v_lshlrev_b32_e32 v20, 2, v0
	s_movk_i32 s10, 0xfc
	v_mad_u32_u24 v21, v0, s10, v20
	ds_read_b32 v22, v21 offset:3128
	s_waitcnt lgkmcnt(0)
	ds_write_b32 v20, v22 offset:3632
	ds_read_b32 v21, v21 offset:3132
	s_waitcnt lgkmcnt(0)
	ds_write_b32 v20, v21 offset:3888
.LBB116_209:
	s_or_b64 exec, exec, s[0:1]
	s_waitcnt lgkmcnt(0)
	s_barrier
	s_and_saveexec_b64 s[0:1], vcc
	s_cbranch_execz .LBB116_211
; %bb.210:
	v_mov_b32_e32 v22, 0
	ds_read_b32 v20, v22 offset:3644
	v_mov_b32_e32 v21, 1.0
	ds_write_b32 v22, v21 offset:3640
	s_waitcnt lgkmcnt(1)
	ds_write_b64 v22, v[20:21] offset:3896
.LBB116_211:
	s_or_b64 exec, exec, s[0:1]
	v_lshrrev_b32_e32 v24, 4, v4
	v_and_b32_e32 v21, 15, v0
	s_movk_i32 s0, 0xff
	v_lshlrev_b32_e32 v23, 6, v24
	v_cmp_lt_u32_e64 s[14:15], s0, v4
	s_movk_i32 s0, 0x100
	v_or_b32_e32 v20, v23, v21
	v_cmp_gt_u32_e64 s[10:11], s0, v4
	v_lshlrev_b32_e32 v20, 2, v20
	v_mov_b32_e32 v25, 0
	s_waitcnt lgkmcnt(0)
	s_barrier
	s_and_saveexec_b64 s[0:1], s[10:11]
	s_cbranch_execz .LBB116_239
; %bb.212:
	v_mul_u32_u24_e32 v25, 0x104, v24
	ds_read_b32 v22, v20 offset:64
	ds_read_b32 v26, v25
	s_movk_i32 s16, 0xf0
	v_cmp_gt_u32_e64 s[16:17], s16, v4
	s_waitcnt lgkmcnt(0)
	v_fma_f32 v22, v22, v26, 0
	s_and_saveexec_b64 s[20:21], s[16:17]
	s_cbranch_execz .LBB116_214
; %bb.213:
	v_lshlrev_b32_e32 v26, 2, v24
	v_sub_u32_e32 v26, v25, v26
	v_lshl_add_u32 v26, v21, 2, v26
	ds_read_b32 v26, v26 offset:320
	ds_read_b32 v27, v25 offset:4
	s_waitcnt lgkmcnt(0)
	v_fmac_f32_e32 v22, v26, v27
.LBB116_214:
	s_or_b64 exec, exec, s[20:21]
	s_movk_i32 s16, 0xe0
	v_cmp_gt_u32_e64 s[16:17], s16, v4
	s_and_saveexec_b64 s[20:21], s[16:17]
	s_cbranch_execz .LBB116_216
; %bb.215:
	v_lshlrev_b32_e32 v26, 2, v24
	v_sub_u32_e32 v26, v25, v26
	v_lshl_add_u32 v26, v21, 2, v26
	ds_read_b32 v26, v26 offset:576
	ds_read_b32 v27, v25 offset:8
	s_waitcnt lgkmcnt(0)
	v_fmac_f32_e32 v22, v26, v27
.LBB116_216:
	s_or_b64 exec, exec, s[20:21]
	s_movk_i32 s16, 0xd0
	v_cmp_gt_u32_e64 s[16:17], s16, v4
	;; [unrolled: 14-line block ×7, first 2 shown]
	s_and_saveexec_b64 s[20:21], s[16:17]
	s_cbranch_execz .LBB116_228
; %bb.227:
	ds_read_b32 v26, v20 offset:2112
	ds_read_b32 v27, v25 offset:32
	s_waitcnt lgkmcnt(0)
	v_fmac_f32_e32 v22, v26, v27
.LBB116_228:
	s_or_b64 exec, exec, s[20:21]
	s_movk_i32 s16, 0x70
	v_cmp_gt_u32_e64 s[16:17], s16, v4
	s_and_saveexec_b64 s[20:21], s[16:17]
	s_cbranch_execz .LBB116_230
; %bb.229:
	v_lshlrev_b32_e32 v26, 2, v24
	v_sub_u32_e32 v26, v25, v26
	v_lshl_add_u32 v26, v21, 2, v26
	ds_read_b32 v26, v26 offset:2368
	ds_read_b32 v27, v25 offset:36
	s_waitcnt lgkmcnt(0)
	v_fmac_f32_e32 v22, v26, v27
.LBB116_230:
	s_or_b64 exec, exec, s[20:21]
	s_movk_i32 s16, 0x60
	v_cmp_gt_u32_e64 s[16:17], s16, v4
	s_and_saveexec_b64 s[20:21], s[16:17]
	s_cbranch_execz .LBB116_232
; %bb.231:
	v_lshlrev_b32_e32 v26, 2, v21
	v_lshl_add_u32 v26, v23, 2, v26
	ds_read_b32 v26, v26 offset:2624
	ds_read_b32 v27, v25 offset:40
	s_waitcnt lgkmcnt(0)
	v_fmac_f32_e32 v22, v26, v27
.LBB116_232:
	s_or_b64 exec, exec, s[20:21]
	s_movk_i32 s16, 0x50
	v_cmp_gt_u32_e64 s[16:17], s16, v4
	s_and_saveexec_b64 s[20:21], s[16:17]
	s_cbranch_execnz .LBB116_1180
; %bb.233:
	s_or_b64 exec, exec, s[20:21]
	v_cmp_gt_u32_e64 s[16:17], 64, v4
	s_and_saveexec_b64 s[20:21], s[16:17]
	s_cbranch_execnz .LBB116_1181
.LBB116_234:
	s_or_b64 exec, exec, s[20:21]
	v_cmp_gt_u32_e64 s[16:17], 48, v4
	s_and_saveexec_b64 s[20:21], s[16:17]
	s_cbranch_execnz .LBB116_1182
.LBB116_235:
	s_or_b64 exec, exec, s[20:21]
	v_cmp_gt_u32_e64 s[16:17], 32, v4
	s_and_saveexec_b64 s[20:21], s[16:17]
	s_cbranch_execnz .LBB116_1183
.LBB116_236:
	s_or_b64 exec, exec, s[20:21]
	v_cmp_gt_u32_e64 s[16:17], 16, v4
	s_and_saveexec_b64 s[20:21], s[16:17]
	s_cbranch_execz .LBB116_238
.LBB116_237:
	v_lshlrev_b32_e32 v25, 2, v0
	v_mov_b32_e32 v26, 0
	ds_read_b32 v25, v25 offset:3904
	ds_read_b32 v26, v26 offset:60
	s_waitcnt lgkmcnt(0)
	v_fmac_f32_e32 v22, v25, v26
.LBB116_238:
	s_or_b64 exec, exec, s[20:21]
	v_xor_b32_e32 v25, 0x80000000, v22
.LBB116_239:
	s_or_b64 exec, exec, s[0:1]
	v_mov_b32_e32 v22, 0x4000
	v_lshl_add_u32 v22, v24, 2, v22
	v_cmp_eq_u32_e64 s[16:17], 0, v21
	s_xor_b64 s[20:21], s[14:15], -1
	s_and_b64 s[14:15], s[16:17], s[20:21]
	s_mov_b64 s[0:1], exec
	v_writelane_b32 v33, s14, 2
	v_writelane_b32 v33, s15, 3
	s_and_b64 s[14:15], s[0:1], s[14:15]
	s_mov_b64 exec, s[14:15]
; %bb.240:
	ds_write_b32 v22, v25
; %bb.241:
	s_or_b64 exec, exec, s[0:1]
	v_cmp_ne_u32_e64 s[14:15], 0, v21
	s_waitcnt lgkmcnt(0)
	s_barrier
	s_and_b64 s[14:15], s[14:15], s[20:21]
	s_mov_b64 s[0:1], exec
	v_writelane_b32 v33, s14, 4
	v_writelane_b32 v33, s15, 5
	s_and_b64 s[14:15], s[0:1], s[14:15]
	s_mov_b64 exec, s[14:15]
	s_cbranch_execz .LBB116_243
; %bb.242:
	v_lshlrev_b32_e32 v26, 2, v21
	ds_read_b32 v26, v26 offset:4160
	ds_read_b32 v27, v22
	s_waitcnt lgkmcnt(0)
	v_fmac_f32_e32 v25, v26, v27
.LBB116_243:
	s_or_b64 exec, exec, s[0:1]
	v_cmp_eq_u32_e64 s[14:15], 1, v21
	s_barrier
	s_and_b64 s[14:15], s[14:15], s[20:21]
	s_mov_b64 s[0:1], exec
	v_writelane_b32 v33, s14, 6
	v_writelane_b32 v33, s15, 7
	s_and_b64 s[14:15], s[0:1], s[14:15]
	s_mov_b64 exec, s[14:15]
; %bb.244:
	ds_write_b32 v22, v25
; %bb.245:
	s_or_b64 exec, exec, s[0:1]
	v_cmp_lt_u32_e64 s[14:15], 1, v21
	s_waitcnt lgkmcnt(0)
	s_barrier
	s_and_b64 s[14:15], s[14:15], s[20:21]
	s_mov_b64 s[0:1], exec
	v_writelane_b32 v33, s14, 8
	v_writelane_b32 v33, s15, 9
	s_and_b64 s[14:15], s[0:1], s[14:15]
	s_mov_b64 exec, s[14:15]
	s_cbranch_execz .LBB116_247
; %bb.246:
	v_lshlrev_b32_e32 v26, 2, v21
	ds_read_b32 v26, v26 offset:4416
	ds_read_b32 v27, v22
	s_waitcnt lgkmcnt(0)
	v_fmac_f32_e32 v25, v26, v27
.LBB116_247:
	s_or_b64 exec, exec, s[0:1]
	v_cmp_eq_u32_e64 s[14:15], 2, v21
	s_barrier
	s_and_b64 s[14:15], s[14:15], s[20:21]
	s_mov_b64 s[0:1], exec
	v_writelane_b32 v33, s14, 10
	v_writelane_b32 v33, s15, 11
	s_and_b64 s[14:15], s[0:1], s[14:15]
	s_mov_b64 exec, s[14:15]
; %bb.248:
	ds_write_b32 v22, v25
; %bb.249:
	s_or_b64 exec, exec, s[0:1]
	v_cmp_lt_u32_e64 s[14:15], 2, v21
	;; [unrolled: 30-line block ×13, first 2 shown]
	s_and_b64 s[0:1], s[14:15], s[20:21]
	s_waitcnt lgkmcnt(0)
	s_barrier
	s_and_saveexec_b64 s[14:15], s[0:1]
	s_cbranch_execz .LBB116_295
; %bb.294:
	v_lshlrev_b32_e32 v26, 2, v21
	ds_read_b32 v26, v26 offset:7488
	ds_read_b32 v27, v22
	s_waitcnt lgkmcnt(0)
	v_fmac_f32_e32 v25, v26, v27
.LBB116_295:
	s_or_b64 exec, exec, s[14:15]
	v_cmp_eq_u32_e64 s[14:15], 14, v21
	s_barrier
	s_and_b64 s[16:17], s[14:15], s[20:21]
	s_mov_b64 s[14:15], exec
	v_writelane_b32 v33, s16, 56
	v_writelane_b32 v33, s17, 57
	s_and_b64 s[16:17], s[14:15], s[16:17]
	s_mov_b64 exec, s[16:17]
; %bb.296:
	ds_write_b32 v22, v25
; %bb.297:
	s_or_b64 exec, exec, s[14:15]
	v_cmp_eq_u32_e64 s[14:15], 15, v21
	s_and_b64 s[92:93], s[14:15], s[20:21]
	s_waitcnt lgkmcnt(0)
	s_barrier
	s_and_saveexec_b64 s[14:15], s[92:93]
	s_cbranch_execz .LBB116_299
; %bb.298:
	v_mov_b32_e32 v26, 0
	ds_read_b32 v26, v26 offset:7804
	ds_read_b32 v27, v22
	s_waitcnt lgkmcnt(0)
	v_fmac_f32_e32 v25, v26, v27
.LBB116_299:
	s_or_b64 exec, exec, s[14:15]
	s_barrier
	s_and_saveexec_b64 s[14:15], s[92:93]
; %bb.300:
	ds_write_b32 v22, v25
; %bb.301:
	s_or_b64 exec, exec, s[14:15]
	s_waitcnt lgkmcnt(0)
	s_barrier
	s_barrier
	s_and_saveexec_b64 s[14:15], s[10:11]
; %bb.302:
	v_xor_b32_e32 v25, 0x80000000, v25
	ds_write_b32 v20, v25 offset:64
; %bb.303:
	s_or_b64 exec, exec, s[14:15]
	v_cmp_gt_u32_e64 s[14:15], 16, v0
	s_waitcnt lgkmcnt(0)
	s_barrier
	s_barrier
	s_and_b64 s[16:17], s[12:13], s[14:15]
	s_mov_b64 s[14:15], exec
	v_writelane_b32 v33, s16, 58
	v_writelane_b32 v33, s17, 59
	s_and_b64 s[16:17], s[14:15], s[16:17]
	s_mov_b64 exec, s[16:17]
	s_cbranch_execz .LBB116_305
; %bb.304:
	v_lshlrev_b32_e32 v25, 8, v0
	ds_read_b32 v26, v25 offset:64
	s_movk_i32 s16, 0xff04
	v_mad_i32_i24 v27, v0, s16, v25
	s_waitcnt lgkmcnt(0)
	ds_write_b32 v27, v26 offset:4096
	ds_read_b32 v26, v25 offset:68
	s_waitcnt lgkmcnt(0)
	ds_write_b32 v27, v26 offset:4352
	ds_read_b32 v26, v25 offset:72
	;; [unrolled: 3-line block ×15, first 2 shown]
	s_waitcnt lgkmcnt(0)
	ds_write_b32 v27, v25 offset:7936
.LBB116_305:
	s_or_b64 exec, exec, s[14:15]
	s_waitcnt lgkmcnt(0)
	s_barrier
	s_and_saveexec_b64 s[14:15], vcc
	s_cbranch_execz .LBB116_307
; %bb.306:
	v_mov_b32_e32 v27, 0
	ds_read_b32 v25, v27 offset:4164
	v_mov_b32_e32 v26, 1.0
	ds_write_b32 v27, v26 offset:4160
	s_waitcnt lgkmcnt(1)
	ds_write_b64 v27, v[25:26] offset:4416
.LBB116_307:
	s_or_b64 exec, exec, s[14:15]
	v_mov_b32_e32 v25, 0
	s_waitcnt lgkmcnt(0)
	s_barrier
	s_and_saveexec_b64 s[16:17], s[2:3]
	s_cbranch_execz .LBB116_311
; %bb.308:
	v_mul_u32_u24_e32 v25, 0x104, v5
	ds_read_b32 v27, v2 offset:4168
	ds_read_b32 v25, v25 offset:4160
	v_mov_b32_e32 v26, 0
	v_cmp_gt_u32_e64 s[14:15], 2, v4
	s_waitcnt lgkmcnt(0)
	v_fma_f32 v25, v27, v25, 0
	s_and_saveexec_b64 s[20:21], s[14:15]
	s_cbranch_execz .LBB116_310
; %bb.309:
	v_lshlrev_b32_e32 v27, 2, v0
	ds_read_b32 v27, v27 offset:4424
	ds_read_b32 v26, v26 offset:4164
	s_waitcnt lgkmcnt(0)
	v_fmac_f32_e32 v25, v27, v26
.LBB116_310:
	s_or_b64 exec, exec, s[20:21]
	v_xor_b32_e32 v25, 0x80000000, v25
.LBB116_311:
	s_or_b64 exec, exec, s[16:17]
	s_and_saveexec_b64 s[14:15], s[40:41]
; %bb.312:
	ds_write_b32 v3, v25
; %bb.313:
	s_or_b64 exec, exec, s[14:15]
	s_waitcnt lgkmcnt(0)
	s_barrier
	s_and_saveexec_b64 s[14:15], s[38:39]
	s_cbranch_execz .LBB116_315
; %bb.314:
	v_mov_b32_e32 v26, 0
	ds_read_b32 v26, v26 offset:4684
	ds_read_b32 v27, v3
	s_waitcnt lgkmcnt(0)
	v_fmac_f32_e32 v25, v26, v27
.LBB116_315:
	s_or_b64 exec, exec, s[14:15]
	s_barrier
	s_and_saveexec_b64 s[14:15], s[38:39]
; %bb.316:
	ds_write_b32 v3, v25
; %bb.317:
	s_or_b64 exec, exec, s[14:15]
	s_waitcnt lgkmcnt(0)
	s_barrier
	s_barrier
	s_and_saveexec_b64 s[14:15], s[2:3]
; %bb.318:
	v_xor_b32_e32 v25, 0x80000000, v25
	ds_write_b32 v2, v25 offset:4168
; %bb.319:
	s_or_b64 exec, exec, s[14:15]
	s_waitcnt lgkmcnt(0)
	s_barrier
	s_barrier
	s_and_saveexec_b64 s[14:15], s[42:43]
	s_cbranch_execz .LBB116_321
; %bb.320:
	v_lshlrev_b32_e32 v25, 2, v0
	s_movk_i32 s16, 0xfc
	v_mad_u32_u24 v26, v0, s16, v25
	ds_read_b32 v27, v26 offset:4168
	s_waitcnt lgkmcnt(0)
	ds_write_b32 v25, v27 offset:4672
	ds_read_b32 v26, v26 offset:4172
	s_waitcnt lgkmcnt(0)
	ds_write_b32 v25, v26 offset:4928
.LBB116_321:
	s_or_b64 exec, exec, s[14:15]
	s_waitcnt lgkmcnt(0)
	s_barrier
	s_and_saveexec_b64 s[14:15], vcc
	s_cbranch_execz .LBB116_323
; %bb.322:
	v_mov_b32_e32 v27, 0
	ds_read_b32 v25, v27 offset:4684
	v_mov_b32_e32 v26, 1.0
	ds_write_b32 v27, v26 offset:4680
	s_waitcnt lgkmcnt(1)
	ds_write_b64 v27, v[25:26] offset:4936
.LBB116_323:
	s_or_b64 exec, exec, s[14:15]
	v_mov_b32_e32 v25, 0
	s_waitcnt lgkmcnt(0)
	s_barrier
	s_and_saveexec_b64 s[16:17], s[18:19]
	s_cbranch_execz .LBB116_329
; %bb.324:
	v_mul_u32_u24_e32 v26, 0x104, v14
	ds_read_b32 v25, v10 offset:4176
	ds_read_b32 v27, v26 offset:4160
	v_cmp_gt_u32_e64 s[14:15], 12, v4
	s_waitcnt lgkmcnt(0)
	v_fma_f32 v25, v25, v27, 0
	s_and_saveexec_b64 s[20:21], s[14:15]
	s_cbranch_execnz .LBB116_1184
; %bb.325:
	s_or_b64 exec, exec, s[20:21]
	v_cmp_gt_u32_e64 s[14:15], 8, v4
	s_and_saveexec_b64 s[20:21], s[14:15]
	s_cbranch_execnz .LBB116_1185
.LBB116_326:
	s_or_b64 exec, exec, s[20:21]
	v_cmp_gt_u32_e64 s[14:15], 4, v4
	s_and_saveexec_b64 s[20:21], s[14:15]
	s_cbranch_execz .LBB116_328
.LBB116_327:
	v_lshlrev_b32_e32 v26, 2, v0
	v_mov_b32_e32 v27, 0
	ds_read_b32 v26, v26 offset:4944
	ds_read_b32 v27, v27 offset:4172
	s_waitcnt lgkmcnt(0)
	v_fmac_f32_e32 v25, v26, v27
.LBB116_328:
	s_or_b64 exec, exec, s[20:21]
	v_xor_b32_e32 v25, 0x80000000, v25
.LBB116_329:
	s_or_b64 exec, exec, s[16:17]
	s_and_saveexec_b64 s[14:15], s[46:47]
; %bb.330:
	ds_write_b32 v12, v25
; %bb.331:
	s_or_b64 exec, exec, s[14:15]
	s_waitcnt lgkmcnt(0)
	s_barrier
	s_and_saveexec_b64 s[14:15], s[48:49]
	s_cbranch_execz .LBB116_333
; %bb.332:
	ds_read_b32 v26, v11 offset:5200
	ds_read_b32 v27, v12
	s_waitcnt lgkmcnt(0)
	v_fmac_f32_e32 v25, v26, v27
.LBB116_333:
	s_or_b64 exec, exec, s[14:15]
	s_barrier
	s_and_saveexec_b64 s[14:15], s[50:51]
; %bb.334:
	ds_write_b32 v12, v25
; %bb.335:
	s_or_b64 exec, exec, s[14:15]
	s_waitcnt lgkmcnt(0)
	s_barrier
	s_and_saveexec_b64 s[14:15], s[52:53]
	s_cbranch_execz .LBB116_337
; %bb.336:
	ds_read_b32 v26, v11 offset:5456
	ds_read_b32 v27, v12
	s_waitcnt lgkmcnt(0)
	v_fmac_f32_e32 v25, v26, v27
.LBB116_337:
	s_or_b64 exec, exec, s[14:15]
	s_barrier
	s_and_saveexec_b64 s[14:15], s[54:55]
; %bb.338:
	ds_write_b32 v12, v25
; %bb.339:
	s_or_b64 exec, exec, s[14:15]
	s_waitcnt lgkmcnt(0)
	s_barrier
	s_and_saveexec_b64 s[14:15], s[44:45]
	s_cbranch_execz .LBB116_341
; %bb.340:
	v_mov_b32_e32 v26, 0
	ds_read_b32 v26, v26 offset:5724
	ds_read_b32 v27, v12
	s_waitcnt lgkmcnt(0)
	v_fmac_f32_e32 v25, v26, v27
.LBB116_341:
	s_or_b64 exec, exec, s[14:15]
	s_barrier
	s_and_saveexec_b64 s[14:15], s[44:45]
; %bb.342:
	ds_write_b32 v12, v25
; %bb.343:
	s_or_b64 exec, exec, s[14:15]
	s_waitcnt lgkmcnt(0)
	s_barrier
	s_barrier
	s_and_saveexec_b64 s[14:15], s[18:19]
; %bb.344:
	v_xor_b32_e32 v25, 0x80000000, v25
	ds_write_b32 v10, v25 offset:4176
; %bb.345:
	s_or_b64 exec, exec, s[14:15]
	s_waitcnt lgkmcnt(0)
	s_barrier
	s_barrier
	s_and_saveexec_b64 s[14:15], s[56:57]
	s_cbranch_execz .LBB116_347
; %bb.346:
	v_lshlrev_b32_e32 v25, 8, v0
	ds_read_b32 v26, v25 offset:4176
	s_movk_i32 s16, 0xff04
	v_mad_i32_i24 v27, v0, s16, v25
	s_waitcnt lgkmcnt(0)
	ds_write_b32 v27, v26 offset:5184
	ds_read_b32 v26, v25 offset:4180
	s_waitcnt lgkmcnt(0)
	ds_write_b32 v27, v26 offset:5440
	ds_read_b32 v26, v25 offset:4184
	;; [unrolled: 3-line block ×3, first 2 shown]
	s_waitcnt lgkmcnt(0)
	ds_write_b32 v27, v25 offset:5952
.LBB116_347:
	s_or_b64 exec, exec, s[14:15]
	s_waitcnt lgkmcnt(0)
	s_barrier
	s_and_saveexec_b64 s[14:15], vcc
	s_cbranch_execz .LBB116_349
; %bb.348:
	v_mov_b32_e32 v27, 0
	ds_read_b32 v25, v27 offset:5204
	v_mov_b32_e32 v26, 1.0
	ds_write_b32 v27, v26 offset:5200
	s_waitcnt lgkmcnt(1)
	ds_write_b64 v27, v[25:26] offset:5456
.LBB116_349:
	s_or_b64 exec, exec, s[14:15]
	v_mov_b32_e32 v25, 0
	s_waitcnt lgkmcnt(0)
	s_barrier
	s_and_saveexec_b64 s[16:17], s[2:3]
	s_cbranch_execz .LBB116_353
; %bb.350:
	v_mul_u32_u24_e32 v25, 0x104, v5
	ds_read_b32 v27, v2 offset:5208
	ds_read_b32 v25, v25 offset:5200
	v_mov_b32_e32 v26, 0
	v_cmp_gt_u32_e64 s[14:15], 2, v4
	s_waitcnt lgkmcnt(0)
	v_fma_f32 v25, v27, v25, 0
	s_and_saveexec_b64 s[20:21], s[14:15]
	s_cbranch_execz .LBB116_352
; %bb.351:
	v_lshlrev_b32_e32 v27, 2, v0
	ds_read_b32 v27, v27 offset:5464
	ds_read_b32 v26, v26 offset:5204
	s_waitcnt lgkmcnt(0)
	v_fmac_f32_e32 v25, v27, v26
.LBB116_352:
	s_or_b64 exec, exec, s[20:21]
	v_xor_b32_e32 v25, 0x80000000, v25
.LBB116_353:
	s_or_b64 exec, exec, s[16:17]
	s_and_saveexec_b64 s[14:15], s[40:41]
; %bb.354:
	ds_write_b32 v3, v25
; %bb.355:
	s_or_b64 exec, exec, s[14:15]
	s_waitcnt lgkmcnt(0)
	s_barrier
	s_and_saveexec_b64 s[14:15], s[38:39]
	s_cbranch_execz .LBB116_357
; %bb.356:
	v_mov_b32_e32 v26, 0
	ds_read_b32 v26, v26 offset:5724
	ds_read_b32 v27, v3
	s_waitcnt lgkmcnt(0)
	v_fmac_f32_e32 v25, v26, v27
.LBB116_357:
	s_or_b64 exec, exec, s[14:15]
	s_barrier
	s_and_saveexec_b64 s[14:15], s[38:39]
; %bb.358:
	ds_write_b32 v3, v25
; %bb.359:
	s_or_b64 exec, exec, s[14:15]
	s_waitcnt lgkmcnt(0)
	s_barrier
	s_barrier
	s_and_saveexec_b64 s[14:15], s[2:3]
; %bb.360:
	v_xor_b32_e32 v25, 0x80000000, v25
	ds_write_b32 v2, v25 offset:5208
; %bb.361:
	s_or_b64 exec, exec, s[14:15]
	s_waitcnt lgkmcnt(0)
	s_barrier
	s_barrier
	s_and_saveexec_b64 s[14:15], s[42:43]
	s_cbranch_execz .LBB116_363
; %bb.362:
	v_lshlrev_b32_e32 v25, 2, v0
	s_movk_i32 s16, 0xfc
	v_mad_u32_u24 v26, v0, s16, v25
	ds_read_b32 v27, v26 offset:5208
	s_waitcnt lgkmcnt(0)
	ds_write_b32 v25, v27 offset:5712
	ds_read_b32 v26, v26 offset:5212
	s_waitcnt lgkmcnt(0)
	ds_write_b32 v25, v26 offset:5968
.LBB116_363:
	s_or_b64 exec, exec, s[14:15]
	s_waitcnt lgkmcnt(0)
	s_barrier
	s_and_saveexec_b64 s[14:15], vcc
	s_cbranch_execz .LBB116_365
; %bb.364:
	v_mov_b32_e32 v27, 0
	ds_read_b32 v25, v27 offset:5724
	v_mov_b32_e32 v26, 1.0
	ds_write_b32 v27, v26 offset:5720
	s_waitcnt lgkmcnt(1)
	ds_write_b64 v27, v[25:26] offset:5976
.LBB116_365:
	s_or_b64 exec, exec, s[14:15]
	v_mov_b32_e32 v25, 0
	s_waitcnt lgkmcnt(0)
	s_barrier
	s_and_saveexec_b64 s[16:17], s[8:9]
	s_cbranch_execz .LBB116_375
; %bb.366:
	v_mul_u32_u24_e32 v26, 0x104, v19
	ds_read_b32 v25, v15 offset:4192
	ds_read_b32 v27, v26 offset:4160
	v_cmp_gt_u32_e64 s[14:15], 56, v4
	s_waitcnt lgkmcnt(0)
	v_fma_f32 v25, v25, v27, 0
	s_and_saveexec_b64 s[20:21], s[14:15]
	s_cbranch_execnz .LBB116_1186
; %bb.367:
	s_or_b64 exec, exec, s[20:21]
	v_cmp_gt_u32_e64 s[14:15], 48, v4
	s_and_saveexec_b64 s[20:21], s[14:15]
	s_cbranch_execnz .LBB116_1187
.LBB116_368:
	s_or_b64 exec, exec, s[20:21]
	v_cmp_gt_u32_e64 s[14:15], 40, v4
	s_and_saveexec_b64 s[20:21], s[14:15]
	s_cbranch_execnz .LBB116_1188
.LBB116_369:
	s_or_b64 exec, exec, s[20:21]
	v_cmp_gt_u32_e64 s[14:15], 32, v4
	s_and_saveexec_b64 s[20:21], s[14:15]
	s_cbranch_execnz .LBB116_1189
.LBB116_370:
	s_or_b64 exec, exec, s[20:21]
	v_cmp_gt_u32_e64 s[14:15], 24, v4
	s_and_saveexec_b64 s[20:21], s[14:15]
	s_cbranch_execnz .LBB116_1190
.LBB116_371:
	s_or_b64 exec, exec, s[20:21]
	v_cmp_gt_u32_e64 s[14:15], 16, v4
	s_and_saveexec_b64 s[20:21], s[14:15]
	s_cbranch_execnz .LBB116_1191
.LBB116_372:
	s_or_b64 exec, exec, s[20:21]
	v_cmp_gt_u32_e64 s[14:15], 8, v4
	s_and_saveexec_b64 s[20:21], s[14:15]
	s_cbranch_execz .LBB116_374
.LBB116_373:
	v_lshlrev_b32_e32 v26, 2, v0
	v_mov_b32_e32 v27, 0
	ds_read_b32 v26, v26 offset:5984
	ds_read_b32 v27, v27 offset:4188
	s_waitcnt lgkmcnt(0)
	v_fmac_f32_e32 v25, v26, v27
.LBB116_374:
	s_or_b64 exec, exec, s[20:21]
	v_xor_b32_e32 v25, 0x80000000, v25
.LBB116_375:
	s_or_b64 exec, exec, s[16:17]
	s_and_saveexec_b64 s[14:15], s[58:59]
; %bb.376:
	ds_write_b32 v17, v25
; %bb.377:
	s_or_b64 exec, exec, s[14:15]
	s_waitcnt lgkmcnt(0)
	s_barrier
	s_and_saveexec_b64 s[14:15], s[60:61]
	s_cbranch_execz .LBB116_379
; %bb.378:
	ds_read_b32 v26, v16 offset:6240
	ds_read_b32 v27, v17
	s_waitcnt lgkmcnt(0)
	v_fmac_f32_e32 v25, v26, v27
.LBB116_379:
	s_or_b64 exec, exec, s[14:15]
	s_barrier
	s_and_saveexec_b64 s[14:15], s[62:63]
; %bb.380:
	ds_write_b32 v17, v25
; %bb.381:
	s_or_b64 exec, exec, s[14:15]
	s_waitcnt lgkmcnt(0)
	s_barrier
	s_and_saveexec_b64 s[14:15], s[64:65]
	s_cbranch_execz .LBB116_383
; %bb.382:
	ds_read_b32 v26, v16 offset:6496
	ds_read_b32 v27, v17
	s_waitcnt lgkmcnt(0)
	v_fmac_f32_e32 v25, v26, v27
.LBB116_383:
	s_or_b64 exec, exec, s[14:15]
	s_barrier
	;; [unrolled: 17-line block ×6, first 2 shown]
	s_and_saveexec_b64 s[14:15], s[84:85]
; %bb.400:
	ds_write_b32 v17, v25
; %bb.401:
	s_or_b64 exec, exec, s[14:15]
	s_waitcnt lgkmcnt(0)
	s_barrier
	s_and_saveexec_b64 s[14:15], s[66:67]
	s_cbranch_execz .LBB116_403
; %bb.402:
	v_mov_b32_e32 v26, 0
	ds_read_b32 v26, v26 offset:7804
	ds_read_b32 v27, v17
	s_waitcnt lgkmcnt(0)
	v_fmac_f32_e32 v25, v26, v27
.LBB116_403:
	s_or_b64 exec, exec, s[14:15]
	s_barrier
	s_and_saveexec_b64 s[14:15], s[66:67]
; %bb.404:
	ds_write_b32 v17, v25
; %bb.405:
	s_or_b64 exec, exec, s[14:15]
	s_waitcnt lgkmcnt(0)
	s_barrier
	s_barrier
	s_and_saveexec_b64 s[14:15], s[8:9]
; %bb.406:
	v_xor_b32_e32 v25, 0x80000000, v25
	ds_write_b32 v15, v25 offset:4192
; %bb.407:
	s_or_b64 exec, exec, s[14:15]
	s_waitcnt lgkmcnt(0)
	s_barrier
	s_barrier
	s_and_saveexec_b64 s[14:15], s[86:87]
	s_cbranch_execz .LBB116_409
; %bb.408:
	v_lshlrev_b32_e32 v25, 8, v0
	ds_read_b32 v26, v25 offset:4192
	s_movk_i32 s16, 0xff04
	v_mad_i32_i24 v27, v0, s16, v25
	s_waitcnt lgkmcnt(0)
	ds_write_b32 v27, v26 offset:6208
	ds_read_b32 v26, v25 offset:4196
	s_waitcnt lgkmcnt(0)
	ds_write_b32 v27, v26 offset:6464
	ds_read_b32 v26, v25 offset:4200
	;; [unrolled: 3-line block ×7, first 2 shown]
	s_waitcnt lgkmcnt(0)
	ds_write_b32 v27, v25 offset:8000
.LBB116_409:
	s_or_b64 exec, exec, s[14:15]
	s_waitcnt lgkmcnt(0)
	s_barrier
	s_and_saveexec_b64 s[14:15], vcc
	s_cbranch_execz .LBB116_411
; %bb.410:
	v_mov_b32_e32 v27, 0
	ds_read_b32 v25, v27 offset:6244
	v_mov_b32_e32 v26, 1.0
	ds_write_b32 v27, v26 offset:6240
	s_waitcnt lgkmcnt(1)
	ds_write_b64 v27, v[25:26] offset:6496
.LBB116_411:
	s_or_b64 exec, exec, s[14:15]
	v_mov_b32_e32 v25, 0
	s_waitcnt lgkmcnt(0)
	s_barrier
	s_and_saveexec_b64 s[16:17], s[2:3]
	s_cbranch_execz .LBB116_415
; %bb.412:
	v_mul_u32_u24_e32 v25, 0x104, v5
	ds_read_b32 v27, v2 offset:6248
	ds_read_b32 v25, v25 offset:6240
	v_mov_b32_e32 v26, 0
	v_cmp_gt_u32_e64 s[14:15], 2, v4
	s_waitcnt lgkmcnt(0)
	v_fma_f32 v25, v27, v25, 0
	s_and_saveexec_b64 s[20:21], s[14:15]
	s_cbranch_execz .LBB116_414
; %bb.413:
	v_lshlrev_b32_e32 v27, 2, v0
	ds_read_b32 v27, v27 offset:6504
	ds_read_b32 v26, v26 offset:6244
	s_waitcnt lgkmcnt(0)
	v_fmac_f32_e32 v25, v27, v26
.LBB116_414:
	s_or_b64 exec, exec, s[20:21]
	v_xor_b32_e32 v25, 0x80000000, v25
.LBB116_415:
	s_or_b64 exec, exec, s[16:17]
	s_and_saveexec_b64 s[14:15], s[40:41]
; %bb.416:
	ds_write_b32 v3, v25
; %bb.417:
	s_or_b64 exec, exec, s[14:15]
	s_waitcnt lgkmcnt(0)
	s_barrier
	s_and_saveexec_b64 s[14:15], s[38:39]
	s_cbranch_execz .LBB116_419
; %bb.418:
	v_mov_b32_e32 v26, 0
	ds_read_b32 v26, v26 offset:6764
	ds_read_b32 v27, v3
	s_waitcnt lgkmcnt(0)
	v_fmac_f32_e32 v25, v26, v27
.LBB116_419:
	s_or_b64 exec, exec, s[14:15]
	s_barrier
	s_and_saveexec_b64 s[14:15], s[38:39]
; %bb.420:
	ds_write_b32 v3, v25
; %bb.421:
	s_or_b64 exec, exec, s[14:15]
	s_waitcnt lgkmcnt(0)
	s_barrier
	s_barrier
	s_and_saveexec_b64 s[14:15], s[2:3]
; %bb.422:
	v_xor_b32_e32 v25, 0x80000000, v25
	ds_write_b32 v2, v25 offset:6248
; %bb.423:
	s_or_b64 exec, exec, s[14:15]
	s_waitcnt lgkmcnt(0)
	s_barrier
	s_barrier
	s_and_saveexec_b64 s[14:15], s[42:43]
	s_cbranch_execz .LBB116_425
; %bb.424:
	v_lshlrev_b32_e32 v25, 2, v0
	s_movk_i32 s16, 0xfc
	v_mad_u32_u24 v26, v0, s16, v25
	ds_read_b32 v27, v26 offset:6248
	s_waitcnt lgkmcnt(0)
	ds_write_b32 v25, v27 offset:6752
	ds_read_b32 v26, v26 offset:6252
	s_waitcnt lgkmcnt(0)
	ds_write_b32 v25, v26 offset:7008
.LBB116_425:
	s_or_b64 exec, exec, s[14:15]
	s_waitcnt lgkmcnt(0)
	s_barrier
	s_and_saveexec_b64 s[14:15], vcc
	s_cbranch_execz .LBB116_427
; %bb.426:
	v_mov_b32_e32 v27, 0
	ds_read_b32 v25, v27 offset:6764
	v_mov_b32_e32 v26, 1.0
	ds_write_b32 v27, v26 offset:6760
	s_waitcnt lgkmcnt(1)
	ds_write_b64 v27, v[25:26] offset:7016
.LBB116_427:
	s_or_b64 exec, exec, s[14:15]
	v_mov_b32_e32 v25, 0
	s_waitcnt lgkmcnt(0)
	s_barrier
	s_and_saveexec_b64 s[16:17], s[18:19]
	s_cbranch_execz .LBB116_433
; %bb.428:
	v_mul_u32_u24_e32 v26, 0x104, v14
	ds_read_b32 v25, v10 offset:6256
	ds_read_b32 v27, v26 offset:6240
	v_cmp_gt_u32_e64 s[14:15], 12, v4
	s_waitcnt lgkmcnt(0)
	v_fma_f32 v25, v25, v27, 0
	s_and_saveexec_b64 s[20:21], s[14:15]
	s_cbranch_execnz .LBB116_1192
; %bb.429:
	s_or_b64 exec, exec, s[20:21]
	v_cmp_gt_u32_e64 s[14:15], 8, v4
	s_and_saveexec_b64 s[20:21], s[14:15]
	s_cbranch_execnz .LBB116_1193
.LBB116_430:
	s_or_b64 exec, exec, s[20:21]
	v_cmp_gt_u32_e64 s[14:15], 4, v4
	s_and_saveexec_b64 s[20:21], s[14:15]
	s_cbranch_execz .LBB116_432
.LBB116_431:
	v_lshlrev_b32_e32 v26, 2, v0
	v_mov_b32_e32 v27, 0
	ds_read_b32 v26, v26 offset:7024
	ds_read_b32 v27, v27 offset:6252
	s_waitcnt lgkmcnt(0)
	v_fmac_f32_e32 v25, v26, v27
.LBB116_432:
	s_or_b64 exec, exec, s[20:21]
	v_xor_b32_e32 v25, 0x80000000, v25
.LBB116_433:
	s_or_b64 exec, exec, s[16:17]
	s_and_saveexec_b64 s[14:15], s[46:47]
; %bb.434:
	ds_write_b32 v12, v25
; %bb.435:
	s_or_b64 exec, exec, s[14:15]
	s_waitcnt lgkmcnt(0)
	s_barrier
	s_and_saveexec_b64 s[14:15], s[48:49]
	s_cbranch_execz .LBB116_437
; %bb.436:
	ds_read_b32 v26, v11 offset:7280
	ds_read_b32 v27, v12
	s_waitcnt lgkmcnt(0)
	v_fmac_f32_e32 v25, v26, v27
.LBB116_437:
	s_or_b64 exec, exec, s[14:15]
	s_barrier
	s_and_saveexec_b64 s[14:15], s[50:51]
; %bb.438:
	ds_write_b32 v12, v25
; %bb.439:
	s_or_b64 exec, exec, s[14:15]
	s_waitcnt lgkmcnt(0)
	s_barrier
	s_and_saveexec_b64 s[14:15], s[52:53]
	s_cbranch_execz .LBB116_441
; %bb.440:
	ds_read_b32 v26, v11 offset:7536
	ds_read_b32 v27, v12
	s_waitcnt lgkmcnt(0)
	v_fmac_f32_e32 v25, v26, v27
.LBB116_441:
	s_or_b64 exec, exec, s[14:15]
	s_barrier
	s_and_saveexec_b64 s[14:15], s[54:55]
; %bb.442:
	ds_write_b32 v12, v25
; %bb.443:
	s_or_b64 exec, exec, s[14:15]
	s_waitcnt lgkmcnt(0)
	s_barrier
	s_and_saveexec_b64 s[14:15], s[44:45]
	s_cbranch_execz .LBB116_445
; %bb.444:
	v_mov_b32_e32 v26, 0
	ds_read_b32 v26, v26 offset:7804
	ds_read_b32 v27, v12
	s_waitcnt lgkmcnt(0)
	v_fmac_f32_e32 v25, v26, v27
.LBB116_445:
	s_or_b64 exec, exec, s[14:15]
	s_barrier
	s_and_saveexec_b64 s[14:15], s[44:45]
; %bb.446:
	ds_write_b32 v12, v25
; %bb.447:
	s_or_b64 exec, exec, s[14:15]
	s_waitcnt lgkmcnt(0)
	s_barrier
	s_barrier
	s_and_saveexec_b64 s[14:15], s[18:19]
; %bb.448:
	v_xor_b32_e32 v25, 0x80000000, v25
	ds_write_b32 v10, v25 offset:6256
; %bb.449:
	s_or_b64 exec, exec, s[14:15]
	s_waitcnt lgkmcnt(0)
	s_barrier
	s_barrier
	s_and_saveexec_b64 s[14:15], s[56:57]
	s_cbranch_execz .LBB116_451
; %bb.450:
	v_lshlrev_b32_e32 v25, 8, v0
	ds_read_b32 v26, v25 offset:6256
	s_movk_i32 s16, 0xff04
	v_mad_i32_i24 v27, v0, s16, v25
	s_waitcnt lgkmcnt(0)
	ds_write_b32 v27, v26 offset:7264
	ds_read_b32 v26, v25 offset:6260
	s_waitcnt lgkmcnt(0)
	ds_write_b32 v27, v26 offset:7520
	ds_read_b32 v26, v25 offset:6264
	s_waitcnt lgkmcnt(0)
	ds_write_b32 v27, v26 offset:7776
	ds_read_b32 v25, v25 offset:6268
	s_waitcnt lgkmcnt(0)
	ds_write_b32 v27, v25 offset:8032
.LBB116_451:
	s_or_b64 exec, exec, s[14:15]
	s_waitcnt lgkmcnt(0)
	s_barrier
	s_and_saveexec_b64 s[14:15], vcc
	s_cbranch_execz .LBB116_453
; %bb.452:
	v_mov_b32_e32 v27, 0
	ds_read_b32 v25, v27 offset:7284
	v_mov_b32_e32 v26, 1.0
	ds_write_b32 v27, v26 offset:7280
	s_waitcnt lgkmcnt(1)
	ds_write_b64 v27, v[25:26] offset:7536
.LBB116_453:
	s_or_b64 exec, exec, s[14:15]
	v_mov_b32_e32 v25, 0
	s_waitcnt lgkmcnt(0)
	s_barrier
	s_and_saveexec_b64 s[16:17], s[2:3]
	s_cbranch_execz .LBB116_457
; %bb.454:
	v_mul_u32_u24_e32 v25, 0x104, v5
	ds_read_b32 v27, v2 offset:7288
	ds_read_b32 v25, v25 offset:7280
	v_mov_b32_e32 v26, 0
	v_cmp_gt_u32_e64 s[14:15], 2, v4
	s_waitcnt lgkmcnt(0)
	v_fma_f32 v25, v27, v25, 0
	s_and_saveexec_b64 s[20:21], s[14:15]
	s_cbranch_execz .LBB116_456
; %bb.455:
	v_lshlrev_b32_e32 v27, 2, v0
	ds_read_b32 v27, v27 offset:7544
	ds_read_b32 v26, v26 offset:7284
	s_waitcnt lgkmcnt(0)
	v_fmac_f32_e32 v25, v27, v26
.LBB116_456:
	s_or_b64 exec, exec, s[20:21]
	v_xor_b32_e32 v25, 0x80000000, v25
.LBB116_457:
	s_or_b64 exec, exec, s[16:17]
	s_and_saveexec_b64 s[14:15], s[40:41]
; %bb.458:
	ds_write_b32 v3, v25
; %bb.459:
	s_or_b64 exec, exec, s[14:15]
	s_waitcnt lgkmcnt(0)
	s_barrier
	s_and_saveexec_b64 s[14:15], s[38:39]
	s_cbranch_execz .LBB116_461
; %bb.460:
	v_mov_b32_e32 v26, 0
	ds_read_b32 v26, v26 offset:7804
	ds_read_b32 v27, v3
	s_waitcnt lgkmcnt(0)
	v_fmac_f32_e32 v25, v26, v27
.LBB116_461:
	s_or_b64 exec, exec, s[14:15]
	s_barrier
	s_and_saveexec_b64 s[14:15], s[38:39]
; %bb.462:
	ds_write_b32 v3, v25
; %bb.463:
	s_or_b64 exec, exec, s[14:15]
	s_waitcnt lgkmcnt(0)
	s_barrier
	s_barrier
	s_and_saveexec_b64 s[14:15], s[2:3]
; %bb.464:
	v_xor_b32_e32 v25, 0x80000000, v25
	ds_write_b32 v2, v25 offset:7288
; %bb.465:
	s_or_b64 exec, exec, s[14:15]
	s_waitcnt lgkmcnt(0)
	s_barrier
	s_barrier
	s_and_saveexec_b64 s[14:15], s[42:43]
	s_cbranch_execz .LBB116_467
; %bb.466:
	v_lshlrev_b32_e32 v25, 2, v0
	s_movk_i32 s16, 0xfc
	v_mad_u32_u24 v26, v0, s16, v25
	ds_read_b32 v27, v26 offset:7288
	s_waitcnt lgkmcnt(0)
	ds_write_b32 v25, v27 offset:7792
	ds_read_b32 v26, v26 offset:7292
	s_waitcnt lgkmcnt(0)
	ds_write_b32 v25, v26 offset:8048
.LBB116_467:
	s_or_b64 exec, exec, s[14:15]
	s_waitcnt lgkmcnt(0)
	s_barrier
	s_and_saveexec_b64 s[14:15], vcc
	s_cbranch_execz .LBB116_469
; %bb.468:
	v_mov_b32_e32 v27, 0
	ds_read_b32 v25, v27 offset:7804
	v_mov_b32_e32 v26, 1.0
	ds_write_b32 v27, v26 offset:7800
	s_waitcnt lgkmcnt(1)
	ds_write_b64 v27, v[25:26] offset:8056
.LBB116_469:
	s_or_b64 exec, exec, s[14:15]
	v_and_b32_e32 v26, 31, v0
	s_movk_i32 s14, 0x3ff
	v_lshrrev_b32_e32 v29, 5, v4
	v_cmp_lt_u32_e64 s[16:17], s14, v4
	s_movk_i32 s14, 0x400
	v_lshlrev_b32_e32 v27, 2, v26
	v_cmp_gt_u32_e64 s[14:15], s14, v4
	v_lshl_or_b32 v25, v29, 8, v27
	v_mov_b32_e32 v28, 0
	s_waitcnt lgkmcnt(0)
	s_barrier
	s_and_saveexec_b64 s[94:95], s[14:15]
	s_cbranch_execz .LBB116_531
; %bb.470:
	v_mul_u32_u24_e32 v30, 0x104, v29
	ds_read_b32 v28, v25 offset:128
	ds_read_b32 v31, v30
	s_movk_i32 s20, 0x3e0
	v_cmp_gt_u32_e64 s[20:21], s20, v4
	s_waitcnt lgkmcnt(0)
	v_fma_f32 v28, v28, v31, 0
	s_and_saveexec_b64 s[22:23], s[20:21]
	s_cbranch_execz .LBB116_472
; %bb.471:
	ds_read_b32 v31, v25 offset:384
	ds_read_b32 v32, v30 offset:4
	s_waitcnt lgkmcnt(0)
	v_fmac_f32_e32 v28, v31, v32
.LBB116_472:
	s_or_b64 exec, exec, s[22:23]
	s_movk_i32 s20, 0x3c0
	v_cmp_gt_u32_e64 s[20:21], s20, v4
	s_and_saveexec_b64 s[22:23], s[20:21]
	s_cbranch_execz .LBB116_474
; %bb.473:
	ds_read_b32 v31, v25 offset:640
	ds_read_b32 v32, v30 offset:8
	s_waitcnt lgkmcnt(0)
	v_fmac_f32_e32 v28, v31, v32
.LBB116_474:
	s_or_b64 exec, exec, s[22:23]
	s_movk_i32 s20, 0x3a0
	v_cmp_gt_u32_e64 s[20:21], s20, v4
	;; [unrolled: 11-line block ×28, first 2 shown]
	s_and_saveexec_b64 s[22:23], s[20:21]
	s_cbranch_execnz .LBB116_1194
; %bb.527:
	s_or_b64 exec, exec, s[22:23]
	v_cmp_gt_u32_e64 s[20:21], 64, v4
	s_and_saveexec_b64 s[22:23], s[20:21]
	s_cbranch_execnz .LBB116_1195
.LBB116_528:
	s_or_b64 exec, exec, s[22:23]
	v_cmp_gt_u32_e64 s[20:21], 32, v4
	s_and_saveexec_b64 s[22:23], s[20:21]
	s_cbranch_execz .LBB116_530
.LBB116_529:
	v_lshlrev_b32_e32 v30, 2, v0
	v_mov_b32_e32 v31, 0
	ds_read_b32 v30, v30 offset:8064
	ds_read_b32 v31, v31 offset:124
	s_waitcnt lgkmcnt(0)
	v_fmac_f32_e32 v28, v30, v31
.LBB116_530:
	s_or_b64 exec, exec, s[22:23]
	v_xor_b32_e32 v28, 0x80000000, v28
.LBB116_531:
	s_or_b64 exec, exec, s[94:95]
	v_mov_b32_e32 v30, 0x4000
	v_cmp_eq_u32_e64 s[20:21], 0, v26
	s_xor_b64 s[94:95], s[16:17], -1
	v_lshl_or_b32 v29, v29, 2, v30
	s_and_b64 s[20:21], s[20:21], s[94:95]
	s_and_saveexec_b64 s[16:17], s[20:21]
; %bb.532:
	ds_write_b32 v29, v28
; %bb.533:
	s_or_b64 exec, exec, s[16:17]
	v_cmp_ne_u32_e64 s[16:17], 0, v26
	s_and_b64 s[20:21], s[16:17], s[94:95]
	s_waitcnt lgkmcnt(0)
	s_barrier
	s_and_saveexec_b64 s[16:17], s[20:21]
	s_cbranch_execz .LBB116_535
; %bb.534:
	ds_read_b32 v30, v27 offset:8320
	ds_read_b32 v31, v29
	s_waitcnt lgkmcnt(0)
	v_fmac_f32_e32 v28, v30, v31
.LBB116_535:
	s_or_b64 exec, exec, s[16:17]
	v_cmp_eq_u32_e64 s[16:17], 1, v26
	s_and_b64 s[20:21], s[16:17], s[94:95]
	s_barrier
	s_and_saveexec_b64 s[16:17], s[20:21]
; %bb.536:
	ds_write_b32 v29, v28
; %bb.537:
	s_or_b64 exec, exec, s[16:17]
	v_cmp_lt_u32_e64 s[16:17], 1, v26
	s_and_b64 s[20:21], s[16:17], s[94:95]
	s_waitcnt lgkmcnt(0)
	s_barrier
	s_and_saveexec_b64 s[16:17], s[20:21]
	s_cbranch_execz .LBB116_539
; %bb.538:
	ds_read_b32 v30, v27 offset:8576
	ds_read_b32 v31, v29
	s_waitcnt lgkmcnt(0)
	v_fmac_f32_e32 v28, v30, v31
.LBB116_539:
	s_or_b64 exec, exec, s[16:17]
	v_cmp_eq_u32_e64 s[16:17], 2, v26
	s_and_b64 s[20:21], s[16:17], s[94:95]
	s_barrier
	s_and_saveexec_b64 s[16:17], s[20:21]
; %bb.540:
	ds_write_b32 v29, v28
; %bb.541:
	s_or_b64 exec, exec, s[16:17]
	v_cmp_lt_u32_e64 s[16:17], 2, v26
	;; [unrolled: 21-line block ×29, first 2 shown]
	s_and_b64 s[20:21], s[16:17], s[94:95]
	s_waitcnt lgkmcnt(0)
	s_barrier
	s_and_saveexec_b64 s[16:17], s[20:21]
	s_cbranch_execz .LBB116_651
; %bb.650:
	ds_read_b32 v27, v27 offset:15744
	ds_read_b32 v30, v29
	s_waitcnt lgkmcnt(0)
	v_fmac_f32_e32 v28, v27, v30
.LBB116_651:
	s_or_b64 exec, exec, s[16:17]
	v_cmp_eq_u32_e64 s[16:17], 30, v26
	s_and_b64 s[20:21], s[16:17], s[94:95]
	s_barrier
	s_and_saveexec_b64 s[16:17], s[20:21]
; %bb.652:
	ds_write_b32 v29, v28
; %bb.653:
	s_or_b64 exec, exec, s[16:17]
	v_cmp_eq_u32_e64 s[16:17], 31, v26
	s_and_b64 s[16:17], s[16:17], s[94:95]
	s_waitcnt lgkmcnt(0)
	s_barrier
	s_and_saveexec_b64 s[20:21], s[16:17]
	s_cbranch_execz .LBB116_655
; %bb.654:
	v_mov_b32_e32 v26, 0
	ds_read_b32 v26, v26 offset:16124
	ds_read_b32 v27, v29
	s_waitcnt lgkmcnt(0)
	v_fmac_f32_e32 v28, v26, v27
.LBB116_655:
	s_or_b64 exec, exec, s[20:21]
	s_barrier
	s_and_saveexec_b64 s[20:21], s[16:17]
; %bb.656:
	ds_write_b32 v29, v28
; %bb.657:
	s_or_b64 exec, exec, s[20:21]
	s_waitcnt lgkmcnt(0)
	s_barrier
	s_barrier
	s_and_saveexec_b64 s[16:17], s[14:15]
; %bb.658:
	v_xor_b32_e32 v26, 0x80000000, v28
	ds_write_b32 v25, v26 offset:128
; %bb.659:
	s_or_b64 exec, exec, s[16:17]
	v_cmp_gt_u32_e64 s[14:15], 32, v0
	s_and_b64 s[14:15], s[12:13], s[14:15]
	s_waitcnt lgkmcnt(0)
	s_barrier
	s_barrier
	s_and_saveexec_b64 s[12:13], s[14:15]
	s_cbranch_execz .LBB116_661
; %bb.660:
	v_lshlrev_b32_e32 v25, 8, v0
	ds_read_b32 v26, v25 offset:128
	s_movk_i32 s14, 0xff04
	v_mad_i32_i24 v27, v0, s14, v25
	s_waitcnt lgkmcnt(0)
	ds_write_b32 v27, v26 offset:8192
	ds_read_b32 v26, v25 offset:132
	s_waitcnt lgkmcnt(0)
	ds_write_b32 v27, v26 offset:8448
	ds_read_b32 v26, v25 offset:136
	;; [unrolled: 3-line block ×31, first 2 shown]
	s_waitcnt lgkmcnt(0)
	ds_write_b32 v27, v25 offset:16128
.LBB116_661:
	s_or_b64 exec, exec, s[12:13]
	s_waitcnt lgkmcnt(0)
	s_barrier
	s_and_saveexec_b64 s[12:13], vcc
	s_cbranch_execz .LBB116_663
; %bb.662:
	v_mov_b32_e32 v27, 0
	ds_read_b32 v25, v27 offset:8324
	v_mov_b32_e32 v26, 1.0
	ds_write_b32 v27, v26 offset:8320
	s_waitcnt lgkmcnt(1)
	ds_write_b64 v27, v[25:26] offset:8576
.LBB116_663:
	s_or_b64 exec, exec, s[12:13]
	v_mov_b32_e32 v25, 0
	s_waitcnt lgkmcnt(0)
	s_barrier
	s_and_saveexec_b64 s[14:15], s[2:3]
	s_cbranch_execz .LBB116_667
; %bb.664:
	v_mul_u32_u24_e32 v25, 0x104, v5
	ds_read_b32 v27, v2 offset:8328
	ds_read_b32 v25, v25 offset:8320
	v_mov_b32_e32 v26, 0
	v_cmp_gt_u32_e64 s[12:13], 2, v4
	s_waitcnt lgkmcnt(0)
	v_fma_f32 v25, v27, v25, 0
	s_and_saveexec_b64 s[16:17], s[12:13]
	s_cbranch_execz .LBB116_666
; %bb.665:
	v_lshlrev_b32_e32 v27, 2, v0
	ds_read_b32 v27, v27 offset:8584
	ds_read_b32 v26, v26 offset:8324
	s_waitcnt lgkmcnt(0)
	v_fmac_f32_e32 v25, v27, v26
.LBB116_666:
	s_or_b64 exec, exec, s[16:17]
	v_xor_b32_e32 v25, 0x80000000, v25
.LBB116_667:
	s_or_b64 exec, exec, s[14:15]
	s_and_saveexec_b64 s[12:13], s[40:41]
; %bb.668:
	ds_write_b32 v3, v25
; %bb.669:
	s_or_b64 exec, exec, s[12:13]
	s_waitcnt lgkmcnt(0)
	s_barrier
	s_and_saveexec_b64 s[12:13], s[38:39]
	s_cbranch_execz .LBB116_671
; %bb.670:
	v_mov_b32_e32 v26, 0
	ds_read_b32 v26, v26 offset:8844
	ds_read_b32 v27, v3
	s_waitcnt lgkmcnt(0)
	v_fmac_f32_e32 v25, v26, v27
.LBB116_671:
	s_or_b64 exec, exec, s[12:13]
	s_barrier
	s_and_saveexec_b64 s[12:13], s[38:39]
; %bb.672:
	ds_write_b32 v3, v25
; %bb.673:
	s_or_b64 exec, exec, s[12:13]
	s_waitcnt lgkmcnt(0)
	s_barrier
	s_barrier
	s_and_saveexec_b64 s[12:13], s[2:3]
; %bb.674:
	v_xor_b32_e32 v25, 0x80000000, v25
	ds_write_b32 v2, v25 offset:8328
; %bb.675:
	s_or_b64 exec, exec, s[12:13]
	s_waitcnt lgkmcnt(0)
	s_barrier
	s_barrier
	s_and_saveexec_b64 s[12:13], s[42:43]
	s_cbranch_execz .LBB116_677
; %bb.676:
	v_lshlrev_b32_e32 v25, 2, v0
	s_movk_i32 s14, 0xfc
	v_mad_u32_u24 v26, v0, s14, v25
	ds_read_b32 v27, v26 offset:8328
	s_waitcnt lgkmcnt(0)
	ds_write_b32 v25, v27 offset:8832
	ds_read_b32 v26, v26 offset:8332
	s_waitcnt lgkmcnt(0)
	ds_write_b32 v25, v26 offset:9088
.LBB116_677:
	s_or_b64 exec, exec, s[12:13]
	s_waitcnt lgkmcnt(0)
	s_barrier
	s_and_saveexec_b64 s[12:13], vcc
	s_cbranch_execz .LBB116_679
; %bb.678:
	v_mov_b32_e32 v27, 0
	ds_read_b32 v25, v27 offset:8844
	v_mov_b32_e32 v26, 1.0
	ds_write_b32 v27, v26 offset:8840
	s_waitcnt lgkmcnt(1)
	ds_write_b64 v27, v[25:26] offset:9096
.LBB116_679:
	s_or_b64 exec, exec, s[12:13]
	v_mov_b32_e32 v25, 0
	s_waitcnt lgkmcnt(0)
	s_barrier
	s_and_saveexec_b64 s[14:15], s[18:19]
	s_cbranch_execz .LBB116_685
; %bb.680:
	v_mul_u32_u24_e32 v26, 0x104, v14
	ds_read_b32 v25, v10 offset:8336
	ds_read_b32 v27, v26 offset:8320
	v_cmp_gt_u32_e64 s[12:13], 12, v4
	s_waitcnt lgkmcnt(0)
	v_fma_f32 v25, v25, v27, 0
	s_and_saveexec_b64 s[16:17], s[12:13]
	s_cbranch_execnz .LBB116_1196
; %bb.681:
	s_or_b64 exec, exec, s[16:17]
	v_cmp_gt_u32_e64 s[12:13], 8, v4
	s_and_saveexec_b64 s[16:17], s[12:13]
	s_cbranch_execnz .LBB116_1197
.LBB116_682:
	s_or_b64 exec, exec, s[16:17]
	v_cmp_gt_u32_e64 s[12:13], 4, v4
	s_and_saveexec_b64 s[16:17], s[12:13]
	s_cbranch_execz .LBB116_684
.LBB116_683:
	v_lshlrev_b32_e32 v26, 2, v0
	v_mov_b32_e32 v27, 0
	ds_read_b32 v26, v26 offset:9104
	ds_read_b32 v27, v27 offset:8332
	s_waitcnt lgkmcnt(0)
	v_fmac_f32_e32 v25, v26, v27
.LBB116_684:
	s_or_b64 exec, exec, s[16:17]
	v_xor_b32_e32 v25, 0x80000000, v25
.LBB116_685:
	s_or_b64 exec, exec, s[14:15]
	s_and_saveexec_b64 s[12:13], s[46:47]
; %bb.686:
	ds_write_b32 v12, v25
; %bb.687:
	s_or_b64 exec, exec, s[12:13]
	s_waitcnt lgkmcnt(0)
	s_barrier
	s_and_saveexec_b64 s[12:13], s[48:49]
	s_cbranch_execz .LBB116_689
; %bb.688:
	ds_read_b32 v26, v11 offset:9360
	ds_read_b32 v27, v12
	s_waitcnt lgkmcnt(0)
	v_fmac_f32_e32 v25, v26, v27
.LBB116_689:
	s_or_b64 exec, exec, s[12:13]
	s_barrier
	s_and_saveexec_b64 s[12:13], s[50:51]
; %bb.690:
	ds_write_b32 v12, v25
; %bb.691:
	s_or_b64 exec, exec, s[12:13]
	s_waitcnt lgkmcnt(0)
	s_barrier
	s_and_saveexec_b64 s[12:13], s[52:53]
	s_cbranch_execz .LBB116_693
; %bb.692:
	ds_read_b32 v26, v11 offset:9616
	ds_read_b32 v27, v12
	s_waitcnt lgkmcnt(0)
	v_fmac_f32_e32 v25, v26, v27
.LBB116_693:
	s_or_b64 exec, exec, s[12:13]
	s_barrier
	s_and_saveexec_b64 s[12:13], s[54:55]
; %bb.694:
	ds_write_b32 v12, v25
; %bb.695:
	s_or_b64 exec, exec, s[12:13]
	s_waitcnt lgkmcnt(0)
	s_barrier
	s_and_saveexec_b64 s[12:13], s[44:45]
	s_cbranch_execz .LBB116_697
; %bb.696:
	v_mov_b32_e32 v26, 0
	ds_read_b32 v26, v26 offset:9884
	ds_read_b32 v27, v12
	s_waitcnt lgkmcnt(0)
	v_fmac_f32_e32 v25, v26, v27
.LBB116_697:
	s_or_b64 exec, exec, s[12:13]
	s_barrier
	s_and_saveexec_b64 s[12:13], s[44:45]
; %bb.698:
	ds_write_b32 v12, v25
; %bb.699:
	s_or_b64 exec, exec, s[12:13]
	s_waitcnt lgkmcnt(0)
	s_barrier
	s_barrier
	s_and_saveexec_b64 s[12:13], s[18:19]
; %bb.700:
	v_xor_b32_e32 v25, 0x80000000, v25
	ds_write_b32 v10, v25 offset:8336
; %bb.701:
	s_or_b64 exec, exec, s[12:13]
	s_waitcnt lgkmcnt(0)
	s_barrier
	s_barrier
	s_and_saveexec_b64 s[12:13], s[56:57]
	s_cbranch_execz .LBB116_703
; %bb.702:
	v_lshlrev_b32_e32 v25, 8, v0
	ds_read_b32 v26, v25 offset:8336
	s_movk_i32 s14, 0xff04
	v_mad_i32_i24 v27, v0, s14, v25
	s_waitcnt lgkmcnt(0)
	ds_write_b32 v27, v26 offset:9344
	ds_read_b32 v26, v25 offset:8340
	s_waitcnt lgkmcnt(0)
	ds_write_b32 v27, v26 offset:9600
	ds_read_b32 v26, v25 offset:8344
	;; [unrolled: 3-line block ×3, first 2 shown]
	s_waitcnt lgkmcnt(0)
	ds_write_b32 v27, v25 offset:10112
.LBB116_703:
	s_or_b64 exec, exec, s[12:13]
	s_waitcnt lgkmcnt(0)
	s_barrier
	s_and_saveexec_b64 s[12:13], vcc
	s_cbranch_execz .LBB116_705
; %bb.704:
	v_mov_b32_e32 v27, 0
	ds_read_b32 v25, v27 offset:9364
	v_mov_b32_e32 v26, 1.0
	ds_write_b32 v27, v26 offset:9360
	s_waitcnt lgkmcnt(1)
	ds_write_b64 v27, v[25:26] offset:9616
.LBB116_705:
	s_or_b64 exec, exec, s[12:13]
	v_mov_b32_e32 v25, 0
	s_waitcnt lgkmcnt(0)
	s_barrier
	s_and_saveexec_b64 s[14:15], s[2:3]
	s_cbranch_execz .LBB116_709
; %bb.706:
	v_mul_u32_u24_e32 v25, 0x104, v5
	ds_read_b32 v27, v2 offset:9368
	ds_read_b32 v25, v25 offset:9360
	v_mov_b32_e32 v26, 0
	v_cmp_gt_u32_e64 s[12:13], 2, v4
	s_waitcnt lgkmcnt(0)
	v_fma_f32 v25, v27, v25, 0
	s_and_saveexec_b64 s[16:17], s[12:13]
	s_cbranch_execz .LBB116_708
; %bb.707:
	v_lshlrev_b32_e32 v27, 2, v0
	ds_read_b32 v27, v27 offset:9624
	ds_read_b32 v26, v26 offset:9364
	s_waitcnt lgkmcnt(0)
	v_fmac_f32_e32 v25, v27, v26
.LBB116_708:
	s_or_b64 exec, exec, s[16:17]
	v_xor_b32_e32 v25, 0x80000000, v25
.LBB116_709:
	s_or_b64 exec, exec, s[14:15]
	s_and_saveexec_b64 s[12:13], s[40:41]
; %bb.710:
	ds_write_b32 v3, v25
; %bb.711:
	s_or_b64 exec, exec, s[12:13]
	s_waitcnt lgkmcnt(0)
	s_barrier
	s_and_saveexec_b64 s[12:13], s[38:39]
	s_cbranch_execz .LBB116_713
; %bb.712:
	v_mov_b32_e32 v26, 0
	ds_read_b32 v26, v26 offset:9884
	ds_read_b32 v27, v3
	s_waitcnt lgkmcnt(0)
	v_fmac_f32_e32 v25, v26, v27
.LBB116_713:
	s_or_b64 exec, exec, s[12:13]
	s_barrier
	s_and_saveexec_b64 s[12:13], s[38:39]
; %bb.714:
	ds_write_b32 v3, v25
; %bb.715:
	s_or_b64 exec, exec, s[12:13]
	s_waitcnt lgkmcnt(0)
	s_barrier
	s_barrier
	s_and_saveexec_b64 s[12:13], s[2:3]
; %bb.716:
	v_xor_b32_e32 v25, 0x80000000, v25
	ds_write_b32 v2, v25 offset:9368
; %bb.717:
	s_or_b64 exec, exec, s[12:13]
	s_waitcnt lgkmcnt(0)
	s_barrier
	s_barrier
	s_and_saveexec_b64 s[12:13], s[42:43]
	s_cbranch_execz .LBB116_719
; %bb.718:
	v_lshlrev_b32_e32 v25, 2, v0
	s_movk_i32 s14, 0xfc
	v_mad_u32_u24 v26, v0, s14, v25
	ds_read_b32 v27, v26 offset:9368
	s_waitcnt lgkmcnt(0)
	ds_write_b32 v25, v27 offset:9872
	ds_read_b32 v26, v26 offset:9372
	s_waitcnt lgkmcnt(0)
	ds_write_b32 v25, v26 offset:10128
.LBB116_719:
	s_or_b64 exec, exec, s[12:13]
	s_waitcnt lgkmcnt(0)
	s_barrier
	s_and_saveexec_b64 s[12:13], vcc
	s_cbranch_execz .LBB116_721
; %bb.720:
	v_mov_b32_e32 v27, 0
	ds_read_b32 v25, v27 offset:9884
	v_mov_b32_e32 v26, 1.0
	ds_write_b32 v27, v26 offset:9880
	s_waitcnt lgkmcnt(1)
	ds_write_b64 v27, v[25:26] offset:10136
.LBB116_721:
	s_or_b64 exec, exec, s[12:13]
	v_mov_b32_e32 v25, 0
	s_waitcnt lgkmcnt(0)
	s_barrier
	s_and_saveexec_b64 s[14:15], s[8:9]
	s_cbranch_execz .LBB116_731
; %bb.722:
	v_mul_u32_u24_e32 v26, 0x104, v19
	ds_read_b32 v25, v15 offset:8352
	ds_read_b32 v27, v26 offset:8320
	v_cmp_gt_u32_e64 s[12:13], 56, v4
	s_waitcnt lgkmcnt(0)
	v_fma_f32 v25, v25, v27, 0
	s_and_saveexec_b64 s[16:17], s[12:13]
	s_cbranch_execnz .LBB116_1198
; %bb.723:
	s_or_b64 exec, exec, s[16:17]
	v_cmp_gt_u32_e64 s[12:13], 48, v4
	s_and_saveexec_b64 s[16:17], s[12:13]
	s_cbranch_execnz .LBB116_1199
.LBB116_724:
	s_or_b64 exec, exec, s[16:17]
	v_cmp_gt_u32_e64 s[12:13], 40, v4
	s_and_saveexec_b64 s[16:17], s[12:13]
	s_cbranch_execnz .LBB116_1200
.LBB116_725:
	s_or_b64 exec, exec, s[16:17]
	v_cmp_gt_u32_e64 s[12:13], 32, v4
	s_and_saveexec_b64 s[16:17], s[12:13]
	s_cbranch_execnz .LBB116_1201
.LBB116_726:
	s_or_b64 exec, exec, s[16:17]
	v_cmp_gt_u32_e64 s[12:13], 24, v4
	s_and_saveexec_b64 s[16:17], s[12:13]
	s_cbranch_execnz .LBB116_1202
.LBB116_727:
	s_or_b64 exec, exec, s[16:17]
	v_cmp_gt_u32_e64 s[12:13], 16, v4
	s_and_saveexec_b64 s[16:17], s[12:13]
	s_cbranch_execnz .LBB116_1203
.LBB116_728:
	s_or_b64 exec, exec, s[16:17]
	v_cmp_gt_u32_e64 s[12:13], 8, v4
	s_and_saveexec_b64 s[16:17], s[12:13]
	s_cbranch_execz .LBB116_730
.LBB116_729:
	v_lshlrev_b32_e32 v26, 2, v0
	v_mov_b32_e32 v27, 0
	ds_read_b32 v26, v26 offset:10144
	ds_read_b32 v27, v27 offset:8348
	s_waitcnt lgkmcnt(0)
	v_fmac_f32_e32 v25, v26, v27
.LBB116_730:
	s_or_b64 exec, exec, s[16:17]
	v_xor_b32_e32 v25, 0x80000000, v25
.LBB116_731:
	s_or_b64 exec, exec, s[14:15]
	s_and_saveexec_b64 s[12:13], s[58:59]
; %bb.732:
	ds_write_b32 v17, v25
; %bb.733:
	s_or_b64 exec, exec, s[12:13]
	s_waitcnt lgkmcnt(0)
	s_barrier
	s_and_saveexec_b64 s[12:13], s[60:61]
	s_cbranch_execz .LBB116_735
; %bb.734:
	ds_read_b32 v26, v16 offset:10400
	ds_read_b32 v27, v17
	s_waitcnt lgkmcnt(0)
	v_fmac_f32_e32 v25, v26, v27
.LBB116_735:
	s_or_b64 exec, exec, s[12:13]
	s_barrier
	s_and_saveexec_b64 s[12:13], s[62:63]
; %bb.736:
	ds_write_b32 v17, v25
; %bb.737:
	s_or_b64 exec, exec, s[12:13]
	s_waitcnt lgkmcnt(0)
	s_barrier
	s_and_saveexec_b64 s[12:13], s[64:65]
	s_cbranch_execz .LBB116_739
; %bb.738:
	ds_read_b32 v26, v16 offset:10656
	ds_read_b32 v27, v17
	s_waitcnt lgkmcnt(0)
	v_fmac_f32_e32 v25, v26, v27
.LBB116_739:
	s_or_b64 exec, exec, s[12:13]
	s_barrier
	;; [unrolled: 17-line block ×6, first 2 shown]
	s_and_saveexec_b64 s[12:13], s[84:85]
; %bb.756:
	ds_write_b32 v17, v25
; %bb.757:
	s_or_b64 exec, exec, s[12:13]
	s_waitcnt lgkmcnt(0)
	s_barrier
	s_and_saveexec_b64 s[12:13], s[66:67]
	s_cbranch_execz .LBB116_759
; %bb.758:
	v_mov_b32_e32 v26, 0
	ds_read_b32 v26, v26 offset:11964
	ds_read_b32 v27, v17
	s_waitcnt lgkmcnt(0)
	v_fmac_f32_e32 v25, v26, v27
.LBB116_759:
	s_or_b64 exec, exec, s[12:13]
	s_barrier
	s_and_saveexec_b64 s[12:13], s[66:67]
; %bb.760:
	ds_write_b32 v17, v25
; %bb.761:
	s_or_b64 exec, exec, s[12:13]
	s_waitcnt lgkmcnt(0)
	s_barrier
	s_barrier
	s_and_saveexec_b64 s[12:13], s[8:9]
; %bb.762:
	v_xor_b32_e32 v25, 0x80000000, v25
	ds_write_b32 v15, v25 offset:8352
; %bb.763:
	s_or_b64 exec, exec, s[12:13]
	s_waitcnt lgkmcnt(0)
	s_barrier
	s_barrier
	s_and_saveexec_b64 s[12:13], s[86:87]
	s_cbranch_execz .LBB116_765
; %bb.764:
	v_lshlrev_b32_e32 v25, 8, v0
	ds_read_b32 v26, v25 offset:8352
	s_movk_i32 s14, 0xff04
	v_mad_i32_i24 v27, v0, s14, v25
	s_waitcnt lgkmcnt(0)
	ds_write_b32 v27, v26 offset:10368
	ds_read_b32 v26, v25 offset:8356
	s_waitcnt lgkmcnt(0)
	ds_write_b32 v27, v26 offset:10624
	ds_read_b32 v26, v25 offset:8360
	;; [unrolled: 3-line block ×7, first 2 shown]
	s_waitcnt lgkmcnt(0)
	ds_write_b32 v27, v25 offset:12160
.LBB116_765:
	s_or_b64 exec, exec, s[12:13]
	s_waitcnt lgkmcnt(0)
	s_barrier
	s_and_saveexec_b64 s[12:13], vcc
	s_cbranch_execz .LBB116_767
; %bb.766:
	v_mov_b32_e32 v27, 0
	ds_read_b32 v25, v27 offset:10404
	v_mov_b32_e32 v26, 1.0
	ds_write_b32 v27, v26 offset:10400
	s_waitcnt lgkmcnt(1)
	ds_write_b64 v27, v[25:26] offset:10656
.LBB116_767:
	s_or_b64 exec, exec, s[12:13]
	v_mov_b32_e32 v25, 0
	s_waitcnt lgkmcnt(0)
	s_barrier
	s_and_saveexec_b64 s[14:15], s[2:3]
	s_cbranch_execz .LBB116_771
; %bb.768:
	v_mul_u32_u24_e32 v25, 0x104, v5
	ds_read_b32 v27, v2 offset:10408
	ds_read_b32 v25, v25 offset:10400
	v_mov_b32_e32 v26, 0
	v_cmp_gt_u32_e64 s[12:13], 2, v4
	s_waitcnt lgkmcnt(0)
	v_fma_f32 v25, v27, v25, 0
	s_and_saveexec_b64 s[16:17], s[12:13]
	s_cbranch_execz .LBB116_770
; %bb.769:
	v_lshlrev_b32_e32 v27, 2, v0
	ds_read_b32 v27, v27 offset:10664
	ds_read_b32 v26, v26 offset:10404
	s_waitcnt lgkmcnt(0)
	v_fmac_f32_e32 v25, v27, v26
.LBB116_770:
	s_or_b64 exec, exec, s[16:17]
	v_xor_b32_e32 v25, 0x80000000, v25
.LBB116_771:
	s_or_b64 exec, exec, s[14:15]
	s_and_saveexec_b64 s[12:13], s[40:41]
; %bb.772:
	ds_write_b32 v3, v25
; %bb.773:
	s_or_b64 exec, exec, s[12:13]
	s_waitcnt lgkmcnt(0)
	s_barrier
	s_and_saveexec_b64 s[12:13], s[38:39]
	s_cbranch_execz .LBB116_775
; %bb.774:
	v_mov_b32_e32 v26, 0
	ds_read_b32 v26, v26 offset:10924
	ds_read_b32 v27, v3
	s_waitcnt lgkmcnt(0)
	v_fmac_f32_e32 v25, v26, v27
.LBB116_775:
	s_or_b64 exec, exec, s[12:13]
	s_barrier
	s_and_saveexec_b64 s[12:13], s[38:39]
; %bb.776:
	ds_write_b32 v3, v25
; %bb.777:
	s_or_b64 exec, exec, s[12:13]
	s_waitcnt lgkmcnt(0)
	s_barrier
	s_barrier
	s_and_saveexec_b64 s[12:13], s[2:3]
; %bb.778:
	v_xor_b32_e32 v25, 0x80000000, v25
	ds_write_b32 v2, v25 offset:10408
; %bb.779:
	s_or_b64 exec, exec, s[12:13]
	s_waitcnt lgkmcnt(0)
	s_barrier
	s_barrier
	s_and_saveexec_b64 s[12:13], s[42:43]
	s_cbranch_execz .LBB116_781
; %bb.780:
	v_lshlrev_b32_e32 v25, 2, v0
	s_movk_i32 s14, 0xfc
	v_mad_u32_u24 v26, v0, s14, v25
	ds_read_b32 v27, v26 offset:10408
	s_waitcnt lgkmcnt(0)
	ds_write_b32 v25, v27 offset:10912
	ds_read_b32 v26, v26 offset:10412
	s_waitcnt lgkmcnt(0)
	ds_write_b32 v25, v26 offset:11168
.LBB116_781:
	s_or_b64 exec, exec, s[12:13]
	s_waitcnt lgkmcnt(0)
	s_barrier
	s_and_saveexec_b64 s[12:13], vcc
	s_cbranch_execz .LBB116_783
; %bb.782:
	v_mov_b32_e32 v27, 0
	ds_read_b32 v25, v27 offset:10924
	v_mov_b32_e32 v26, 1.0
	ds_write_b32 v27, v26 offset:10920
	s_waitcnt lgkmcnt(1)
	ds_write_b64 v27, v[25:26] offset:11176
.LBB116_783:
	s_or_b64 exec, exec, s[12:13]
	v_mov_b32_e32 v25, 0
	s_waitcnt lgkmcnt(0)
	s_barrier
	s_and_saveexec_b64 s[14:15], s[18:19]
	s_cbranch_execz .LBB116_789
; %bb.784:
	v_mul_u32_u24_e32 v26, 0x104, v14
	ds_read_b32 v25, v10 offset:10416
	ds_read_b32 v27, v26 offset:10400
	v_cmp_gt_u32_e64 s[12:13], 12, v4
	s_waitcnt lgkmcnt(0)
	v_fma_f32 v25, v25, v27, 0
	s_and_saveexec_b64 s[16:17], s[12:13]
	s_cbranch_execnz .LBB116_1204
; %bb.785:
	s_or_b64 exec, exec, s[16:17]
	v_cmp_gt_u32_e64 s[12:13], 8, v4
	s_and_saveexec_b64 s[16:17], s[12:13]
	s_cbranch_execnz .LBB116_1205
.LBB116_786:
	s_or_b64 exec, exec, s[16:17]
	v_cmp_gt_u32_e64 s[12:13], 4, v4
	s_and_saveexec_b64 s[16:17], s[12:13]
	s_cbranch_execz .LBB116_788
.LBB116_787:
	v_lshlrev_b32_e32 v26, 2, v0
	v_mov_b32_e32 v27, 0
	ds_read_b32 v26, v26 offset:11184
	ds_read_b32 v27, v27 offset:10412
	s_waitcnt lgkmcnt(0)
	v_fmac_f32_e32 v25, v26, v27
.LBB116_788:
	s_or_b64 exec, exec, s[16:17]
	v_xor_b32_e32 v25, 0x80000000, v25
.LBB116_789:
	s_or_b64 exec, exec, s[14:15]
	s_and_saveexec_b64 s[12:13], s[46:47]
; %bb.790:
	ds_write_b32 v12, v25
; %bb.791:
	s_or_b64 exec, exec, s[12:13]
	s_waitcnt lgkmcnt(0)
	s_barrier
	s_and_saveexec_b64 s[12:13], s[48:49]
	s_cbranch_execz .LBB116_793
; %bb.792:
	ds_read_b32 v26, v11 offset:11440
	ds_read_b32 v27, v12
	s_waitcnt lgkmcnt(0)
	v_fmac_f32_e32 v25, v26, v27
.LBB116_793:
	s_or_b64 exec, exec, s[12:13]
	s_barrier
	s_and_saveexec_b64 s[12:13], s[50:51]
; %bb.794:
	ds_write_b32 v12, v25
; %bb.795:
	s_or_b64 exec, exec, s[12:13]
	s_waitcnt lgkmcnt(0)
	s_barrier
	s_and_saveexec_b64 s[12:13], s[52:53]
	s_cbranch_execz .LBB116_797
; %bb.796:
	ds_read_b32 v26, v11 offset:11696
	ds_read_b32 v27, v12
	s_waitcnt lgkmcnt(0)
	v_fmac_f32_e32 v25, v26, v27
.LBB116_797:
	s_or_b64 exec, exec, s[12:13]
	s_barrier
	s_and_saveexec_b64 s[12:13], s[54:55]
; %bb.798:
	ds_write_b32 v12, v25
; %bb.799:
	s_or_b64 exec, exec, s[12:13]
	s_waitcnt lgkmcnt(0)
	s_barrier
	s_and_saveexec_b64 s[12:13], s[44:45]
	s_cbranch_execz .LBB116_801
; %bb.800:
	v_mov_b32_e32 v26, 0
	ds_read_b32 v26, v26 offset:11964
	ds_read_b32 v27, v12
	s_waitcnt lgkmcnt(0)
	v_fmac_f32_e32 v25, v26, v27
.LBB116_801:
	s_or_b64 exec, exec, s[12:13]
	s_barrier
	s_and_saveexec_b64 s[12:13], s[44:45]
; %bb.802:
	ds_write_b32 v12, v25
; %bb.803:
	s_or_b64 exec, exec, s[12:13]
	s_waitcnt lgkmcnt(0)
	s_barrier
	s_barrier
	s_and_saveexec_b64 s[12:13], s[18:19]
; %bb.804:
	v_xor_b32_e32 v25, 0x80000000, v25
	ds_write_b32 v10, v25 offset:10416
; %bb.805:
	s_or_b64 exec, exec, s[12:13]
	s_waitcnt lgkmcnt(0)
	s_barrier
	s_barrier
	s_and_saveexec_b64 s[12:13], s[56:57]
	s_cbranch_execz .LBB116_807
; %bb.806:
	v_lshlrev_b32_e32 v25, 8, v0
	ds_read_b32 v26, v25 offset:10416
	s_movk_i32 s14, 0xff04
	v_mad_i32_i24 v27, v0, s14, v25
	s_waitcnt lgkmcnt(0)
	ds_write_b32 v27, v26 offset:11424
	ds_read_b32 v26, v25 offset:10420
	s_waitcnt lgkmcnt(0)
	ds_write_b32 v27, v26 offset:11680
	ds_read_b32 v26, v25 offset:10424
	;; [unrolled: 3-line block ×3, first 2 shown]
	s_waitcnt lgkmcnt(0)
	ds_write_b32 v27, v25 offset:12192
.LBB116_807:
	s_or_b64 exec, exec, s[12:13]
	s_waitcnt lgkmcnt(0)
	s_barrier
	s_and_saveexec_b64 s[12:13], vcc
	s_cbranch_execz .LBB116_809
; %bb.808:
	v_mov_b32_e32 v27, 0
	ds_read_b32 v25, v27 offset:11444
	v_mov_b32_e32 v26, 1.0
	ds_write_b32 v27, v26 offset:11440
	s_waitcnt lgkmcnt(1)
	ds_write_b64 v27, v[25:26] offset:11696
.LBB116_809:
	s_or_b64 exec, exec, s[12:13]
	v_mov_b32_e32 v25, 0
	s_waitcnt lgkmcnt(0)
	s_barrier
	s_and_saveexec_b64 s[14:15], s[2:3]
	s_cbranch_execz .LBB116_813
; %bb.810:
	v_mul_u32_u24_e32 v25, 0x104, v5
	ds_read_b32 v27, v2 offset:11448
	ds_read_b32 v25, v25 offset:11440
	v_mov_b32_e32 v26, 0
	v_cmp_gt_u32_e64 s[12:13], 2, v4
	s_waitcnt lgkmcnt(0)
	v_fma_f32 v25, v27, v25, 0
	s_and_saveexec_b64 s[16:17], s[12:13]
	s_cbranch_execz .LBB116_812
; %bb.811:
	v_lshlrev_b32_e32 v27, 2, v0
	ds_read_b32 v27, v27 offset:11704
	ds_read_b32 v26, v26 offset:11444
	s_waitcnt lgkmcnt(0)
	v_fmac_f32_e32 v25, v27, v26
.LBB116_812:
	s_or_b64 exec, exec, s[16:17]
	v_xor_b32_e32 v25, 0x80000000, v25
.LBB116_813:
	s_or_b64 exec, exec, s[14:15]
	s_and_saveexec_b64 s[12:13], s[40:41]
; %bb.814:
	ds_write_b32 v3, v25
; %bb.815:
	s_or_b64 exec, exec, s[12:13]
	s_waitcnt lgkmcnt(0)
	s_barrier
	s_and_saveexec_b64 s[12:13], s[38:39]
	s_cbranch_execz .LBB116_817
; %bb.816:
	v_mov_b32_e32 v26, 0
	ds_read_b32 v26, v26 offset:11964
	ds_read_b32 v27, v3
	s_waitcnt lgkmcnt(0)
	v_fmac_f32_e32 v25, v26, v27
.LBB116_817:
	s_or_b64 exec, exec, s[12:13]
	s_barrier
	s_and_saveexec_b64 s[12:13], s[38:39]
; %bb.818:
	ds_write_b32 v3, v25
; %bb.819:
	s_or_b64 exec, exec, s[12:13]
	s_waitcnt lgkmcnt(0)
	s_barrier
	s_barrier
	s_and_saveexec_b64 s[12:13], s[2:3]
; %bb.820:
	v_xor_b32_e32 v25, 0x80000000, v25
	ds_write_b32 v2, v25 offset:11448
; %bb.821:
	s_or_b64 exec, exec, s[12:13]
	s_waitcnt lgkmcnt(0)
	s_barrier
	s_barrier
	s_and_saveexec_b64 s[12:13], s[42:43]
	s_cbranch_execz .LBB116_823
; %bb.822:
	v_lshlrev_b32_e32 v25, 2, v0
	s_movk_i32 s14, 0xfc
	v_mad_u32_u24 v26, v0, s14, v25
	ds_read_b32 v27, v26 offset:11448
	s_waitcnt lgkmcnt(0)
	ds_write_b32 v25, v27 offset:11952
	ds_read_b32 v26, v26 offset:11452
	s_waitcnt lgkmcnt(0)
	ds_write_b32 v25, v26 offset:12208
.LBB116_823:
	s_or_b64 exec, exec, s[12:13]
	s_waitcnt lgkmcnt(0)
	s_barrier
	s_and_saveexec_b64 s[12:13], vcc
	s_cbranch_execz .LBB116_825
; %bb.824:
	v_mov_b32_e32 v27, 0
	ds_read_b32 v25, v27 offset:11964
	v_mov_b32_e32 v26, 1.0
	ds_write_b32 v27, v26 offset:11960
	s_waitcnt lgkmcnt(1)
	ds_write_b64 v27, v[25:26] offset:12216
.LBB116_825:
	s_or_b64 exec, exec, s[12:13]
	v_mov_b32_e32 v25, 0
	s_waitcnt lgkmcnt(0)
	s_barrier
	s_and_saveexec_b64 s[14:15], s[10:11]
	s_cbranch_execz .LBB116_853
; %bb.826:
	v_mul_u32_u24_e32 v26, 0x104, v24
	ds_read_b32 v25, v20 offset:8384
	ds_read_b32 v27, v26 offset:8320
	s_movk_i32 s12, 0xf0
	v_cmp_gt_u32_e64 s[12:13], s12, v4
	s_waitcnt lgkmcnt(0)
	v_fma_f32 v25, v25, v27, 0
	s_and_saveexec_b64 s[16:17], s[12:13]
	s_cbranch_execz .LBB116_828
; %bb.827:
	v_lshlrev_b32_e32 v27, 2, v24
	v_sub_u32_e32 v27, v26, v27
	v_lshl_add_u32 v27, v21, 2, v27
	ds_read_b32 v27, v27 offset:8640
	ds_read_b32 v28, v26 offset:8324
	s_waitcnt lgkmcnt(0)
	v_fmac_f32_e32 v25, v27, v28
.LBB116_828:
	s_or_b64 exec, exec, s[16:17]
	s_movk_i32 s12, 0xe0
	v_cmp_gt_u32_e64 s[12:13], s12, v4
	s_and_saveexec_b64 s[16:17], s[12:13]
	s_cbranch_execz .LBB116_830
; %bb.829:
	v_lshlrev_b32_e32 v27, 2, v24
	v_sub_u32_e32 v27, v26, v27
	v_lshl_add_u32 v27, v21, 2, v27
	ds_read_b32 v27, v27 offset:8896
	ds_read_b32 v28, v26 offset:8328
	s_waitcnt lgkmcnt(0)
	v_fmac_f32_e32 v25, v27, v28
.LBB116_830:
	s_or_b64 exec, exec, s[16:17]
	s_movk_i32 s12, 0xd0
	v_cmp_gt_u32_e64 s[12:13], s12, v4
	;; [unrolled: 14-line block ×7, first 2 shown]
	s_and_saveexec_b64 s[16:17], s[12:13]
	s_cbranch_execz .LBB116_842
; %bb.841:
	ds_read_b32 v24, v20 offset:10432
	ds_read_b32 v27, v26 offset:8352
	s_waitcnt lgkmcnt(0)
	v_fmac_f32_e32 v25, v24, v27
.LBB116_842:
	s_or_b64 exec, exec, s[16:17]
	s_movk_i32 s12, 0x70
	v_cmp_gt_u32_e64 s[12:13], s12, v4
	s_and_saveexec_b64 s[16:17], s[12:13]
	s_cbranch_execz .LBB116_844
; %bb.843:
	v_lshlrev_b32_e32 v24, 2, v21
	v_lshl_add_u32 v24, v23, 2, v24
	ds_read_b32 v24, v24 offset:10688
	ds_read_b32 v27, v26 offset:8356
	s_waitcnt lgkmcnt(0)
	v_fmac_f32_e32 v25, v24, v27
.LBB116_844:
	s_or_b64 exec, exec, s[16:17]
	s_movk_i32 s12, 0x60
	v_cmp_gt_u32_e64 s[12:13], s12, v4
	s_and_saveexec_b64 s[16:17], s[12:13]
	s_cbranch_execz .LBB116_846
; %bb.845:
	v_lshlrev_b32_e32 v24, 2, v21
	v_lshl_add_u32 v24, v23, 2, v24
	ds_read_b32 v24, v24 offset:10944
	ds_read_b32 v27, v26 offset:8360
	s_waitcnt lgkmcnt(0)
	v_fmac_f32_e32 v25, v24, v27
.LBB116_846:
	s_or_b64 exec, exec, s[16:17]
	s_movk_i32 s12, 0x50
	v_cmp_gt_u32_e64 s[12:13], s12, v4
	s_and_saveexec_b64 s[16:17], s[12:13]
	s_cbranch_execnz .LBB116_1206
; %bb.847:
	s_or_b64 exec, exec, s[16:17]
	v_cmp_gt_u32_e64 s[12:13], 64, v4
	s_and_saveexec_b64 s[16:17], s[12:13]
	s_cbranch_execnz .LBB116_1207
.LBB116_848:
	s_or_b64 exec, exec, s[16:17]
	v_cmp_gt_u32_e64 s[12:13], 48, v4
	s_and_saveexec_b64 s[16:17], s[12:13]
	s_cbranch_execnz .LBB116_1208
.LBB116_849:
	s_or_b64 exec, exec, s[16:17]
	v_cmp_gt_u32_e64 s[12:13], 32, v4
	s_and_saveexec_b64 s[16:17], s[12:13]
	s_cbranch_execnz .LBB116_1209
.LBB116_850:
	s_or_b64 exec, exec, s[16:17]
	v_cmp_gt_u32_e64 s[12:13], 16, v4
	s_and_saveexec_b64 s[16:17], s[12:13]
	s_cbranch_execz .LBB116_852
.LBB116_851:
	v_lshlrev_b32_e32 v23, 2, v0
	v_mov_b32_e32 v24, 0
	ds_read_b32 v23, v23 offset:12224
	ds_read_b32 v24, v24 offset:8380
	s_waitcnt lgkmcnt(0)
	v_fmac_f32_e32 v25, v23, v24
.LBB116_852:
	s_or_b64 exec, exec, s[16:17]
	v_xor_b32_e32 v25, 0x80000000, v25
.LBB116_853:
	s_or_b64 exec, exec, s[14:15]
	s_mov_b64 s[12:13], exec
	v_readlane_b32 s14, v33, 2
	v_readlane_b32 s15, v33, 3
	s_and_b64 s[14:15], s[12:13], s[14:15]
	s_mov_b64 exec, s[14:15]
; %bb.854:
	ds_write_b32 v22, v25
; %bb.855:
	s_or_b64 exec, exec, s[12:13]
	s_waitcnt lgkmcnt(0)
	s_barrier
	s_mov_b64 s[12:13], exec
	v_readlane_b32 s14, v33, 4
	v_readlane_b32 s15, v33, 5
	s_and_b64 s[14:15], s[12:13], s[14:15]
	s_mov_b64 exec, s[14:15]
	s_cbranch_execz .LBB116_857
; %bb.856:
	v_lshlrev_b32_e32 v23, 2, v21
	ds_read_b32 v23, v23 offset:12480
	ds_read_b32 v24, v22
	s_waitcnt lgkmcnt(0)
	v_fmac_f32_e32 v25, v23, v24
.LBB116_857:
	s_or_b64 exec, exec, s[12:13]
	s_barrier
	s_mov_b64 s[12:13], exec
	v_readlane_b32 s14, v33, 6
	v_readlane_b32 s15, v33, 7
	s_and_b64 s[14:15], s[12:13], s[14:15]
	s_mov_b64 exec, s[14:15]
; %bb.858:
	ds_write_b32 v22, v25
; %bb.859:
	s_or_b64 exec, exec, s[12:13]
	s_waitcnt lgkmcnt(0)
	s_barrier
	s_mov_b64 s[12:13], exec
	v_readlane_b32 s14, v33, 8
	v_readlane_b32 s15, v33, 9
	s_and_b64 s[14:15], s[12:13], s[14:15]
	s_mov_b64 exec, s[14:15]
	s_cbranch_execz .LBB116_861
; %bb.860:
	v_lshlrev_b32_e32 v23, 2, v21
	ds_read_b32 v23, v23 offset:12736
	ds_read_b32 v24, v22
	s_waitcnt lgkmcnt(0)
	v_fmac_f32_e32 v25, v23, v24
.LBB116_861:
	s_or_b64 exec, exec, s[12:13]
	s_barrier
	;; [unrolled: 26-line block ×13, first 2 shown]
	s_mov_b64 s[12:13], exec
	v_readlane_b32 s14, v33, 54
	v_readlane_b32 s15, v33, 55
	s_and_b64 s[14:15], s[12:13], s[14:15]
	s_mov_b64 exec, s[14:15]
; %bb.906:
	ds_write_b32 v22, v25
; %bb.907:
	s_or_b64 exec, exec, s[12:13]
	s_waitcnt lgkmcnt(0)
	s_barrier
	s_and_saveexec_b64 s[12:13], s[0:1]
	s_cbranch_execz .LBB116_909
; %bb.908:
	v_lshlrev_b32_e32 v21, 2, v21
	ds_read_b32 v21, v21 offset:15808
	ds_read_b32 v23, v22
	s_waitcnt lgkmcnt(0)
	v_fmac_f32_e32 v25, v21, v23
.LBB116_909:
	s_or_b64 exec, exec, s[12:13]
	s_barrier
	s_mov_b64 s[0:1], exec
	v_readlane_b32 s12, v33, 56
	v_readlane_b32 s13, v33, 57
	s_and_b64 s[12:13], s[0:1], s[12:13]
	s_mov_b64 exec, s[12:13]
; %bb.910:
	ds_write_b32 v22, v25
; %bb.911:
	s_or_b64 exec, exec, s[0:1]
	s_waitcnt lgkmcnt(0)
	s_barrier
	s_and_saveexec_b64 s[0:1], s[92:93]
	s_cbranch_execz .LBB116_913
; %bb.912:
	v_mov_b32_e32 v21, 0
	ds_read_b32 v21, v21 offset:16124
	ds_read_b32 v23, v22
	s_waitcnt lgkmcnt(0)
	v_fmac_f32_e32 v25, v21, v23
.LBB116_913:
	s_or_b64 exec, exec, s[0:1]
	s_barrier
	s_and_saveexec_b64 s[0:1], s[92:93]
; %bb.914:
	ds_write_b32 v22, v25
; %bb.915:
	s_or_b64 exec, exec, s[0:1]
	s_waitcnt lgkmcnt(0)
	s_barrier
	s_barrier
	s_and_saveexec_b64 s[0:1], s[10:11]
; %bb.916:
	v_xor_b32_e32 v21, 0x80000000, v25
	ds_write_b32 v20, v21 offset:8384
; %bb.917:
	s_or_b64 exec, exec, s[0:1]
	s_waitcnt lgkmcnt(0)
	s_barrier
	s_barrier
	s_mov_b64 s[0:1], exec
	v_readlane_b32 s10, v33, 58
	v_readlane_b32 s11, v33, 59
	s_and_b64 s[10:11], s[0:1], s[10:11]
	s_mov_b64 exec, s[10:11]
	s_cbranch_execz .LBB116_919
; %bb.918:
	v_lshlrev_b32_e32 v20, 8, v0
	ds_read_b32 v21, v20 offset:8384
	s_movk_i32 s10, 0xff04
	v_mad_i32_i24 v22, v0, s10, v20
	s_waitcnt lgkmcnt(0)
	ds_write_b32 v22, v21 offset:12416
	ds_read_b32 v21, v20 offset:8388
	s_waitcnt lgkmcnt(0)
	ds_write_b32 v22, v21 offset:12672
	ds_read_b32 v21, v20 offset:8392
	;; [unrolled: 3-line block ×15, first 2 shown]
	s_waitcnt lgkmcnt(0)
	ds_write_b32 v22, v20 offset:16256
.LBB116_919:
	s_or_b64 exec, exec, s[0:1]
	s_waitcnt lgkmcnt(0)
	s_barrier
	s_and_saveexec_b64 s[0:1], vcc
	s_cbranch_execz .LBB116_921
; %bb.920:
	v_mov_b32_e32 v22, 0
	ds_read_b32 v20, v22 offset:12484
	v_mov_b32_e32 v21, 1.0
	ds_write_b32 v22, v21 offset:12480
	s_waitcnt lgkmcnt(1)
	ds_write_b64 v22, v[20:21] offset:12736
.LBB116_921:
	s_or_b64 exec, exec, s[0:1]
	v_mov_b32_e32 v20, 0
	s_waitcnt lgkmcnt(0)
	s_barrier
	s_and_saveexec_b64 s[0:1], s[2:3]
	s_cbranch_execz .LBB116_925
; %bb.922:
	v_mul_u32_u24_e32 v20, 0x104, v5
	ds_read_b32 v22, v2 offset:12488
	ds_read_b32 v20, v20 offset:12480
	v_mov_b32_e32 v21, 0
	v_cmp_gt_u32_e64 s[10:11], 2, v4
	s_waitcnt lgkmcnt(0)
	v_fma_f32 v20, v22, v20, 0
	s_and_saveexec_b64 s[12:13], s[10:11]
	s_cbranch_execz .LBB116_924
; %bb.923:
	v_lshlrev_b32_e32 v22, 2, v0
	ds_read_b32 v22, v22 offset:12744
	ds_read_b32 v21, v21 offset:12484
	s_waitcnt lgkmcnt(0)
	v_fmac_f32_e32 v20, v22, v21
.LBB116_924:
	s_or_b64 exec, exec, s[12:13]
	v_xor_b32_e32 v20, 0x80000000, v20
.LBB116_925:
	s_or_b64 exec, exec, s[0:1]
	s_and_saveexec_b64 s[0:1], s[40:41]
; %bb.926:
	ds_write_b32 v3, v20
; %bb.927:
	s_or_b64 exec, exec, s[0:1]
	s_waitcnt lgkmcnt(0)
	s_barrier
	s_and_saveexec_b64 s[0:1], s[38:39]
	s_cbranch_execz .LBB116_929
; %bb.928:
	v_mov_b32_e32 v21, 0
	ds_read_b32 v21, v21 offset:13004
	ds_read_b32 v22, v3
	s_waitcnt lgkmcnt(0)
	v_fmac_f32_e32 v20, v21, v22
.LBB116_929:
	s_or_b64 exec, exec, s[0:1]
	s_barrier
	s_and_saveexec_b64 s[0:1], s[38:39]
; %bb.930:
	ds_write_b32 v3, v20
; %bb.931:
	s_or_b64 exec, exec, s[0:1]
	s_waitcnt lgkmcnt(0)
	s_barrier
	s_barrier
	s_and_saveexec_b64 s[0:1], s[2:3]
; %bb.932:
	v_xor_b32_e32 v20, 0x80000000, v20
	ds_write_b32 v2, v20 offset:12488
; %bb.933:
	s_or_b64 exec, exec, s[0:1]
	s_waitcnt lgkmcnt(0)
	s_barrier
	s_barrier
	s_and_saveexec_b64 s[0:1], s[42:43]
	s_cbranch_execz .LBB116_935
; %bb.934:
	v_lshlrev_b32_e32 v20, 2, v0
	s_movk_i32 s10, 0xfc
	v_mad_u32_u24 v21, v0, s10, v20
	ds_read_b32 v22, v21 offset:12488
	s_waitcnt lgkmcnt(0)
	ds_write_b32 v20, v22 offset:12992
	ds_read_b32 v21, v21 offset:12492
	s_waitcnt lgkmcnt(0)
	ds_write_b32 v20, v21 offset:13248
.LBB116_935:
	s_or_b64 exec, exec, s[0:1]
	s_waitcnt lgkmcnt(0)
	s_barrier
	s_and_saveexec_b64 s[0:1], vcc
	s_cbranch_execz .LBB116_937
; %bb.936:
	v_mov_b32_e32 v22, 0
	ds_read_b32 v20, v22 offset:13004
	v_mov_b32_e32 v21, 1.0
	ds_write_b32 v22, v21 offset:13000
	s_waitcnt lgkmcnt(1)
	ds_write_b64 v22, v[20:21] offset:13256
.LBB116_937:
	s_or_b64 exec, exec, s[0:1]
	v_mov_b32_e32 v20, 0
	s_waitcnt lgkmcnt(0)
	s_barrier
	s_and_saveexec_b64 s[0:1], s[18:19]
	s_cbranch_execz .LBB116_943
; %bb.938:
	v_mul_u32_u24_e32 v21, 0x104, v14
	ds_read_b32 v20, v10 offset:12496
	ds_read_b32 v22, v21 offset:12480
	v_cmp_gt_u32_e64 s[10:11], 12, v4
	s_waitcnt lgkmcnt(0)
	v_fma_f32 v20, v20, v22, 0
	s_and_saveexec_b64 s[12:13], s[10:11]
	s_cbranch_execnz .LBB116_1210
; %bb.939:
	s_or_b64 exec, exec, s[12:13]
	v_cmp_gt_u32_e64 s[10:11], 8, v4
	s_and_saveexec_b64 s[12:13], s[10:11]
	s_cbranch_execnz .LBB116_1211
.LBB116_940:
	s_or_b64 exec, exec, s[12:13]
	v_cmp_gt_u32_e64 s[10:11], 4, v4
	s_and_saveexec_b64 s[12:13], s[10:11]
	s_cbranch_execz .LBB116_942
.LBB116_941:
	v_lshlrev_b32_e32 v21, 2, v0
	v_mov_b32_e32 v22, 0
	ds_read_b32 v21, v21 offset:13264
	ds_read_b32 v22, v22 offset:12492
	s_waitcnt lgkmcnt(0)
	v_fmac_f32_e32 v20, v21, v22
.LBB116_942:
	s_or_b64 exec, exec, s[12:13]
	v_xor_b32_e32 v20, 0x80000000, v20
.LBB116_943:
	s_or_b64 exec, exec, s[0:1]
	s_and_saveexec_b64 s[0:1], s[46:47]
; %bb.944:
	ds_write_b32 v12, v20
; %bb.945:
	s_or_b64 exec, exec, s[0:1]
	s_waitcnt lgkmcnt(0)
	s_barrier
	s_and_saveexec_b64 s[0:1], s[48:49]
	s_cbranch_execz .LBB116_947
; %bb.946:
	ds_read_b32 v21, v11 offset:13520
	ds_read_b32 v22, v12
	s_waitcnt lgkmcnt(0)
	v_fmac_f32_e32 v20, v21, v22
.LBB116_947:
	s_or_b64 exec, exec, s[0:1]
	s_barrier
	s_and_saveexec_b64 s[0:1], s[50:51]
; %bb.948:
	ds_write_b32 v12, v20
; %bb.949:
	s_or_b64 exec, exec, s[0:1]
	s_waitcnt lgkmcnt(0)
	s_barrier
	s_and_saveexec_b64 s[0:1], s[52:53]
	s_cbranch_execz .LBB116_951
; %bb.950:
	ds_read_b32 v21, v11 offset:13776
	ds_read_b32 v22, v12
	s_waitcnt lgkmcnt(0)
	v_fmac_f32_e32 v20, v21, v22
.LBB116_951:
	s_or_b64 exec, exec, s[0:1]
	s_barrier
	s_and_saveexec_b64 s[0:1], s[54:55]
; %bb.952:
	ds_write_b32 v12, v20
; %bb.953:
	s_or_b64 exec, exec, s[0:1]
	s_waitcnt lgkmcnt(0)
	s_barrier
	s_and_saveexec_b64 s[0:1], s[44:45]
	s_cbranch_execz .LBB116_955
; %bb.954:
	v_mov_b32_e32 v21, 0
	ds_read_b32 v21, v21 offset:14044
	ds_read_b32 v22, v12
	s_waitcnt lgkmcnt(0)
	v_fmac_f32_e32 v20, v21, v22
.LBB116_955:
	s_or_b64 exec, exec, s[0:1]
	s_barrier
	s_and_saveexec_b64 s[0:1], s[44:45]
; %bb.956:
	ds_write_b32 v12, v20
; %bb.957:
	s_or_b64 exec, exec, s[0:1]
	s_waitcnt lgkmcnt(0)
	s_barrier
	s_barrier
	s_and_saveexec_b64 s[0:1], s[18:19]
; %bb.958:
	v_xor_b32_e32 v20, 0x80000000, v20
	ds_write_b32 v10, v20 offset:12496
; %bb.959:
	s_or_b64 exec, exec, s[0:1]
	s_waitcnt lgkmcnt(0)
	s_barrier
	s_barrier
	s_and_saveexec_b64 s[0:1], s[56:57]
	s_cbranch_execz .LBB116_961
; %bb.960:
	v_lshlrev_b32_e32 v20, 8, v0
	ds_read_b32 v21, v20 offset:12496
	s_movk_i32 s10, 0xff04
	v_mad_i32_i24 v22, v0, s10, v20
	s_waitcnt lgkmcnt(0)
	ds_write_b32 v22, v21 offset:13504
	ds_read_b32 v21, v20 offset:12500
	s_waitcnt lgkmcnt(0)
	ds_write_b32 v22, v21 offset:13760
	ds_read_b32 v21, v20 offset:12504
	s_waitcnt lgkmcnt(0)
	ds_write_b32 v22, v21 offset:14016
	ds_read_b32 v20, v20 offset:12508
	s_waitcnt lgkmcnt(0)
	ds_write_b32 v22, v20 offset:14272
.LBB116_961:
	s_or_b64 exec, exec, s[0:1]
	s_waitcnt lgkmcnt(0)
	s_barrier
	s_and_saveexec_b64 s[0:1], vcc
	s_cbranch_execz .LBB116_963
; %bb.962:
	v_mov_b32_e32 v22, 0
	ds_read_b32 v20, v22 offset:13524
	v_mov_b32_e32 v21, 1.0
	ds_write_b32 v22, v21 offset:13520
	s_waitcnt lgkmcnt(1)
	ds_write_b64 v22, v[20:21] offset:13776
.LBB116_963:
	s_or_b64 exec, exec, s[0:1]
	v_mov_b32_e32 v20, 0
	s_waitcnt lgkmcnt(0)
	s_barrier
	s_and_saveexec_b64 s[0:1], s[2:3]
	s_cbranch_execz .LBB116_967
; %bb.964:
	v_mul_u32_u24_e32 v20, 0x104, v5
	ds_read_b32 v22, v2 offset:13528
	ds_read_b32 v20, v20 offset:13520
	v_mov_b32_e32 v21, 0
	v_cmp_gt_u32_e64 s[10:11], 2, v4
	s_waitcnt lgkmcnt(0)
	v_fma_f32 v20, v22, v20, 0
	s_and_saveexec_b64 s[12:13], s[10:11]
	s_cbranch_execz .LBB116_966
; %bb.965:
	v_lshlrev_b32_e32 v22, 2, v0
	ds_read_b32 v22, v22 offset:13784
	ds_read_b32 v21, v21 offset:13524
	s_waitcnt lgkmcnt(0)
	v_fmac_f32_e32 v20, v22, v21
.LBB116_966:
	s_or_b64 exec, exec, s[12:13]
	v_xor_b32_e32 v20, 0x80000000, v20
.LBB116_967:
	s_or_b64 exec, exec, s[0:1]
	s_and_saveexec_b64 s[0:1], s[40:41]
; %bb.968:
	ds_write_b32 v3, v20
; %bb.969:
	s_or_b64 exec, exec, s[0:1]
	s_waitcnt lgkmcnt(0)
	s_barrier
	s_and_saveexec_b64 s[0:1], s[38:39]
	s_cbranch_execz .LBB116_971
; %bb.970:
	v_mov_b32_e32 v21, 0
	ds_read_b32 v21, v21 offset:14044
	ds_read_b32 v22, v3
	s_waitcnt lgkmcnt(0)
	v_fmac_f32_e32 v20, v21, v22
.LBB116_971:
	s_or_b64 exec, exec, s[0:1]
	s_barrier
	s_and_saveexec_b64 s[0:1], s[38:39]
; %bb.972:
	ds_write_b32 v3, v20
; %bb.973:
	s_or_b64 exec, exec, s[0:1]
	s_waitcnt lgkmcnt(0)
	s_barrier
	s_barrier
	s_and_saveexec_b64 s[0:1], s[2:3]
; %bb.974:
	v_xor_b32_e32 v20, 0x80000000, v20
	ds_write_b32 v2, v20 offset:13528
; %bb.975:
	s_or_b64 exec, exec, s[0:1]
	s_waitcnt lgkmcnt(0)
	s_barrier
	s_barrier
	s_and_saveexec_b64 s[0:1], s[42:43]
	s_cbranch_execz .LBB116_977
; %bb.976:
	v_lshlrev_b32_e32 v20, 2, v0
	s_movk_i32 s10, 0xfc
	v_mad_u32_u24 v21, v0, s10, v20
	ds_read_b32 v22, v21 offset:13528
	s_waitcnt lgkmcnt(0)
	ds_write_b32 v20, v22 offset:14032
	ds_read_b32 v21, v21 offset:13532
	s_waitcnt lgkmcnt(0)
	ds_write_b32 v20, v21 offset:14288
.LBB116_977:
	s_or_b64 exec, exec, s[0:1]
	s_waitcnt lgkmcnt(0)
	s_barrier
	s_and_saveexec_b64 s[0:1], vcc
	s_cbranch_execz .LBB116_979
; %bb.978:
	v_mov_b32_e32 v22, 0
	ds_read_b32 v20, v22 offset:14044
	v_mov_b32_e32 v21, 1.0
	ds_write_b32 v22, v21 offset:14040
	s_waitcnt lgkmcnt(1)
	ds_write_b64 v22, v[20:21] offset:14296
.LBB116_979:
	s_or_b64 exec, exec, s[0:1]
	v_mov_b32_e32 v20, 0
	s_waitcnt lgkmcnt(0)
	s_barrier
	s_and_saveexec_b64 s[0:1], s[8:9]
	s_cbranch_execz .LBB116_989
; %bb.980:
	v_mul_u32_u24_e32 v21, 0x104, v19
	ds_read_b32 v20, v15 offset:12512
	ds_read_b32 v22, v21 offset:12480
	v_cmp_gt_u32_e64 s[10:11], 56, v4
	s_waitcnt lgkmcnt(0)
	v_fma_f32 v20, v20, v22, 0
	s_and_saveexec_b64 s[12:13], s[10:11]
	s_cbranch_execnz .LBB116_1212
; %bb.981:
	s_or_b64 exec, exec, s[12:13]
	v_cmp_gt_u32_e64 s[10:11], 48, v4
	s_and_saveexec_b64 s[12:13], s[10:11]
	s_cbranch_execnz .LBB116_1213
.LBB116_982:
	s_or_b64 exec, exec, s[12:13]
	v_cmp_gt_u32_e64 s[10:11], 40, v4
	s_and_saveexec_b64 s[12:13], s[10:11]
	s_cbranch_execnz .LBB116_1214
.LBB116_983:
	s_or_b64 exec, exec, s[12:13]
	v_cmp_gt_u32_e64 s[10:11], 32, v4
	s_and_saveexec_b64 s[12:13], s[10:11]
	s_cbranch_execnz .LBB116_1215
.LBB116_984:
	s_or_b64 exec, exec, s[12:13]
	v_cmp_gt_u32_e64 s[10:11], 24, v4
	s_and_saveexec_b64 s[12:13], s[10:11]
	s_cbranch_execnz .LBB116_1216
.LBB116_985:
	s_or_b64 exec, exec, s[12:13]
	v_cmp_gt_u32_e64 s[10:11], 16, v4
	s_and_saveexec_b64 s[12:13], s[10:11]
	s_cbranch_execnz .LBB116_1217
.LBB116_986:
	s_or_b64 exec, exec, s[12:13]
	v_cmp_gt_u32_e64 s[10:11], 8, v4
	s_and_saveexec_b64 s[12:13], s[10:11]
	s_cbranch_execz .LBB116_988
.LBB116_987:
	v_lshlrev_b32_e32 v18, 2, v0
	v_mov_b32_e32 v19, 0
	ds_read_b32 v18, v18 offset:14304
	ds_read_b32 v19, v19 offset:12508
	s_waitcnt lgkmcnt(0)
	v_fmac_f32_e32 v20, v18, v19
.LBB116_988:
	s_or_b64 exec, exec, s[12:13]
	v_xor_b32_e32 v20, 0x80000000, v20
.LBB116_989:
	s_or_b64 exec, exec, s[0:1]
	s_and_saveexec_b64 s[0:1], s[58:59]
; %bb.990:
	ds_write_b32 v17, v20
; %bb.991:
	s_or_b64 exec, exec, s[0:1]
	s_waitcnt lgkmcnt(0)
	s_barrier
	s_and_saveexec_b64 s[0:1], s[60:61]
	s_cbranch_execz .LBB116_993
; %bb.992:
	ds_read_b32 v18, v16 offset:14560
	ds_read_b32 v19, v17
	s_waitcnt lgkmcnt(0)
	v_fmac_f32_e32 v20, v18, v19
.LBB116_993:
	s_or_b64 exec, exec, s[0:1]
	s_barrier
	s_and_saveexec_b64 s[0:1], s[62:63]
; %bb.994:
	ds_write_b32 v17, v20
; %bb.995:
	s_or_b64 exec, exec, s[0:1]
	s_waitcnt lgkmcnt(0)
	s_barrier
	s_and_saveexec_b64 s[0:1], s[64:65]
	s_cbranch_execz .LBB116_997
; %bb.996:
	ds_read_b32 v18, v16 offset:14816
	ds_read_b32 v19, v17
	s_waitcnt lgkmcnt(0)
	v_fmac_f32_e32 v20, v18, v19
.LBB116_997:
	s_or_b64 exec, exec, s[0:1]
	s_barrier
	;; [unrolled: 17-line block ×6, first 2 shown]
	s_and_saveexec_b64 s[0:1], s[84:85]
; %bb.1014:
	ds_write_b32 v17, v20
; %bb.1015:
	s_or_b64 exec, exec, s[0:1]
	s_waitcnt lgkmcnt(0)
	s_barrier
	s_and_saveexec_b64 s[0:1], s[66:67]
	s_cbranch_execz .LBB116_1017
; %bb.1016:
	v_mov_b32_e32 v16, 0
	ds_read_b32 v16, v16 offset:16124
	ds_read_b32 v18, v17
	s_waitcnt lgkmcnt(0)
	v_fmac_f32_e32 v20, v16, v18
.LBB116_1017:
	s_or_b64 exec, exec, s[0:1]
	s_barrier
	s_and_saveexec_b64 s[0:1], s[66:67]
; %bb.1018:
	ds_write_b32 v17, v20
; %bb.1019:
	s_or_b64 exec, exec, s[0:1]
	s_waitcnt lgkmcnt(0)
	s_barrier
	s_barrier
	s_and_saveexec_b64 s[0:1], s[8:9]
; %bb.1020:
	v_xor_b32_e32 v16, 0x80000000, v20
	ds_write_b32 v15, v16 offset:12512
; %bb.1021:
	s_or_b64 exec, exec, s[0:1]
	s_waitcnt lgkmcnt(0)
	s_barrier
	s_barrier
	s_and_saveexec_b64 s[0:1], s[86:87]
	s_cbranch_execz .LBB116_1023
; %bb.1022:
	v_lshlrev_b32_e32 v15, 8, v0
	ds_read_b32 v16, v15 offset:12512
	s_movk_i32 s8, 0xff04
	v_mad_i32_i24 v17, v0, s8, v15
	s_waitcnt lgkmcnt(0)
	ds_write_b32 v17, v16 offset:14528
	ds_read_b32 v16, v15 offset:12516
	s_waitcnt lgkmcnt(0)
	ds_write_b32 v17, v16 offset:14784
	ds_read_b32 v16, v15 offset:12520
	s_waitcnt lgkmcnt(0)
	ds_write_b32 v17, v16 offset:15040
	ds_read_b32 v16, v15 offset:12524
	s_waitcnt lgkmcnt(0)
	ds_write_b32 v17, v16 offset:15296
	ds_read_b32 v16, v15 offset:12528
	s_waitcnt lgkmcnt(0)
	ds_write_b32 v17, v16 offset:15552
	ds_read_b32 v16, v15 offset:12532
	s_waitcnt lgkmcnt(0)
	ds_write_b32 v17, v16 offset:15808
	ds_read_b32 v16, v15 offset:12536
	s_waitcnt lgkmcnt(0)
	ds_write_b32 v17, v16 offset:16064
	ds_read_b32 v15, v15 offset:12540
	s_waitcnt lgkmcnt(0)
	ds_write_b32 v17, v15 offset:16320
.LBB116_1023:
	s_or_b64 exec, exec, s[0:1]
	s_waitcnt lgkmcnt(0)
	s_barrier
	s_and_saveexec_b64 s[0:1], vcc
	s_cbranch_execz .LBB116_1025
; %bb.1024:
	v_mov_b32_e32 v17, 0
	ds_read_b32 v15, v17 offset:14564
	v_mov_b32_e32 v16, 1.0
	ds_write_b32 v17, v16 offset:14560
	s_waitcnt lgkmcnt(1)
	ds_write_b64 v17, v[15:16] offset:14816
.LBB116_1025:
	s_or_b64 exec, exec, s[0:1]
	v_mov_b32_e32 v15, 0
	s_waitcnt lgkmcnt(0)
	s_barrier
	s_and_saveexec_b64 s[0:1], s[2:3]
	s_cbranch_execz .LBB116_1029
; %bb.1026:
	v_mul_u32_u24_e32 v15, 0x104, v5
	ds_read_b32 v17, v2 offset:14568
	ds_read_b32 v15, v15 offset:14560
	v_mov_b32_e32 v16, 0
	v_cmp_gt_u32_e64 s[8:9], 2, v4
	s_waitcnt lgkmcnt(0)
	v_fma_f32 v15, v17, v15, 0
	s_and_saveexec_b64 s[10:11], s[8:9]
	s_cbranch_execz .LBB116_1028
; %bb.1027:
	v_lshlrev_b32_e32 v17, 2, v0
	ds_read_b32 v17, v17 offset:14824
	ds_read_b32 v16, v16 offset:14564
	s_waitcnt lgkmcnt(0)
	v_fmac_f32_e32 v15, v17, v16
.LBB116_1028:
	s_or_b64 exec, exec, s[10:11]
	v_xor_b32_e32 v15, 0x80000000, v15
.LBB116_1029:
	s_or_b64 exec, exec, s[0:1]
	s_and_saveexec_b64 s[0:1], s[40:41]
; %bb.1030:
	ds_write_b32 v3, v15
; %bb.1031:
	s_or_b64 exec, exec, s[0:1]
	s_waitcnt lgkmcnt(0)
	s_barrier
	s_and_saveexec_b64 s[0:1], s[38:39]
	s_cbranch_execz .LBB116_1033
; %bb.1032:
	v_mov_b32_e32 v16, 0
	ds_read_b32 v16, v16 offset:15084
	ds_read_b32 v17, v3
	s_waitcnt lgkmcnt(0)
	v_fmac_f32_e32 v15, v16, v17
.LBB116_1033:
	s_or_b64 exec, exec, s[0:1]
	s_barrier
	s_and_saveexec_b64 s[0:1], s[38:39]
; %bb.1034:
	ds_write_b32 v3, v15
; %bb.1035:
	s_or_b64 exec, exec, s[0:1]
	s_waitcnt lgkmcnt(0)
	s_barrier
	s_barrier
	s_and_saveexec_b64 s[0:1], s[2:3]
; %bb.1036:
	v_xor_b32_e32 v15, 0x80000000, v15
	ds_write_b32 v2, v15 offset:14568
; %bb.1037:
	s_or_b64 exec, exec, s[0:1]
	s_waitcnt lgkmcnt(0)
	s_barrier
	s_barrier
	s_and_saveexec_b64 s[0:1], s[42:43]
	s_cbranch_execz .LBB116_1039
; %bb.1038:
	v_lshlrev_b32_e32 v15, 2, v0
	s_movk_i32 s8, 0xfc
	v_mad_u32_u24 v16, v0, s8, v15
	ds_read_b32 v17, v16 offset:14568
	s_waitcnt lgkmcnt(0)
	ds_write_b32 v15, v17 offset:15072
	ds_read_b32 v16, v16 offset:14572
	s_waitcnt lgkmcnt(0)
	ds_write_b32 v15, v16 offset:15328
.LBB116_1039:
	s_or_b64 exec, exec, s[0:1]
	s_waitcnt lgkmcnt(0)
	s_barrier
	s_and_saveexec_b64 s[0:1], vcc
	s_cbranch_execz .LBB116_1041
; %bb.1040:
	v_mov_b32_e32 v17, 0
	ds_read_b32 v15, v17 offset:15084
	v_mov_b32_e32 v16, 1.0
	ds_write_b32 v17, v16 offset:15080
	s_waitcnt lgkmcnt(1)
	ds_write_b64 v17, v[15:16] offset:15336
.LBB116_1041:
	s_or_b64 exec, exec, s[0:1]
	v_mov_b32_e32 v15, 0
	s_waitcnt lgkmcnt(0)
	s_barrier
	s_and_saveexec_b64 s[0:1], s[18:19]
	s_cbranch_execz .LBB116_1047
; %bb.1042:
	v_mul_u32_u24_e32 v16, 0x104, v14
	ds_read_b32 v15, v10 offset:14576
	ds_read_b32 v17, v16 offset:14560
	v_cmp_gt_u32_e64 s[8:9], 12, v4
	s_waitcnt lgkmcnt(0)
	v_fma_f32 v15, v15, v17, 0
	s_and_saveexec_b64 s[10:11], s[8:9]
	s_cbranch_execnz .LBB116_1218
; %bb.1043:
	s_or_b64 exec, exec, s[10:11]
	v_cmp_gt_u32_e64 s[8:9], 8, v4
	s_and_saveexec_b64 s[10:11], s[8:9]
	s_cbranch_execnz .LBB116_1219
.LBB116_1044:
	s_or_b64 exec, exec, s[10:11]
	v_cmp_gt_u32_e64 s[8:9], 4, v4
	s_and_saveexec_b64 s[10:11], s[8:9]
	s_cbranch_execz .LBB116_1046
.LBB116_1045:
	v_lshlrev_b32_e32 v13, 2, v0
	v_mov_b32_e32 v14, 0
	ds_read_b32 v13, v13 offset:15344
	ds_read_b32 v14, v14 offset:14572
	s_waitcnt lgkmcnt(0)
	v_fmac_f32_e32 v15, v13, v14
.LBB116_1046:
	s_or_b64 exec, exec, s[10:11]
	v_xor_b32_e32 v15, 0x80000000, v15
.LBB116_1047:
	s_or_b64 exec, exec, s[0:1]
	s_and_saveexec_b64 s[0:1], s[46:47]
; %bb.1048:
	ds_write_b32 v12, v15
; %bb.1049:
	s_or_b64 exec, exec, s[0:1]
	s_waitcnt lgkmcnt(0)
	s_barrier
	s_and_saveexec_b64 s[0:1], s[48:49]
	s_cbranch_execz .LBB116_1051
; %bb.1050:
	ds_read_b32 v13, v11 offset:15600
	ds_read_b32 v14, v12
	s_waitcnt lgkmcnt(0)
	v_fmac_f32_e32 v15, v13, v14
.LBB116_1051:
	s_or_b64 exec, exec, s[0:1]
	s_barrier
	s_and_saveexec_b64 s[0:1], s[50:51]
; %bb.1052:
	ds_write_b32 v12, v15
; %bb.1053:
	s_or_b64 exec, exec, s[0:1]
	s_waitcnt lgkmcnt(0)
	s_barrier
	s_and_saveexec_b64 s[0:1], s[52:53]
	s_cbranch_execz .LBB116_1055
; %bb.1054:
	ds_read_b32 v11, v11 offset:15856
	ds_read_b32 v13, v12
	s_waitcnt lgkmcnt(0)
	v_fmac_f32_e32 v15, v11, v13
.LBB116_1055:
	s_or_b64 exec, exec, s[0:1]
	s_barrier
	s_and_saveexec_b64 s[0:1], s[54:55]
; %bb.1056:
	ds_write_b32 v12, v15
; %bb.1057:
	s_or_b64 exec, exec, s[0:1]
	s_waitcnt lgkmcnt(0)
	s_barrier
	s_and_saveexec_b64 s[0:1], s[44:45]
	s_cbranch_execz .LBB116_1059
; %bb.1058:
	v_mov_b32_e32 v11, 0
	ds_read_b32 v11, v11 offset:16124
	ds_read_b32 v13, v12
	s_waitcnt lgkmcnt(0)
	v_fmac_f32_e32 v15, v11, v13
.LBB116_1059:
	s_or_b64 exec, exec, s[0:1]
	s_barrier
	s_and_saveexec_b64 s[0:1], s[44:45]
; %bb.1060:
	ds_write_b32 v12, v15
; %bb.1061:
	s_or_b64 exec, exec, s[0:1]
	s_waitcnt lgkmcnt(0)
	s_barrier
	s_barrier
	s_and_saveexec_b64 s[0:1], s[18:19]
; %bb.1062:
	v_xor_b32_e32 v11, 0x80000000, v15
	ds_write_b32 v10, v11 offset:14576
; %bb.1063:
	s_or_b64 exec, exec, s[0:1]
	s_waitcnt lgkmcnt(0)
	s_barrier
	s_barrier
	s_and_saveexec_b64 s[0:1], s[56:57]
	s_cbranch_execz .LBB116_1065
; %bb.1064:
	v_lshlrev_b32_e32 v10, 8, v0
	ds_read_b32 v11, v10 offset:14576
	s_movk_i32 s8, 0xff04
	v_mad_i32_i24 v12, v0, s8, v10
	s_waitcnt lgkmcnt(0)
	ds_write_b32 v12, v11 offset:15584
	ds_read_b32 v11, v10 offset:14580
	s_waitcnt lgkmcnt(0)
	ds_write_b32 v12, v11 offset:15840
	ds_read_b32 v11, v10 offset:14584
	;; [unrolled: 3-line block ×3, first 2 shown]
	s_waitcnt lgkmcnt(0)
	ds_write_b32 v12, v10 offset:16352
.LBB116_1065:
	s_or_b64 exec, exec, s[0:1]
	s_waitcnt lgkmcnt(0)
	s_barrier
	s_and_saveexec_b64 s[0:1], vcc
	s_cbranch_execz .LBB116_1067
; %bb.1066:
	v_mov_b32_e32 v12, 0
	ds_read_b32 v10, v12 offset:15604
	v_mov_b32_e32 v11, 1.0
	ds_write_b32 v12, v11 offset:15600
	s_waitcnt lgkmcnt(1)
	ds_write_b64 v12, v[10:11] offset:15856
.LBB116_1067:
	s_or_b64 exec, exec, s[0:1]
	v_mov_b32_e32 v10, 0
	s_waitcnt lgkmcnt(0)
	s_barrier
	s_and_saveexec_b64 s[0:1], s[2:3]
	s_cbranch_execz .LBB116_1071
; %bb.1068:
	v_mul_u32_u24_e32 v5, 0x104, v5
	ds_read_b32 v11, v2 offset:15608
	ds_read_b32 v5, v5 offset:15600
	v_mov_b32_e32 v10, 0
	v_cmp_gt_u32_e64 s[8:9], 2, v4
	s_waitcnt lgkmcnt(0)
	v_fma_f32 v5, v11, v5, 0
	s_and_saveexec_b64 s[10:11], s[8:9]
	s_cbranch_execz .LBB116_1070
; %bb.1069:
	v_lshlrev_b32_e32 v4, 2, v0
	ds_read_b32 v4, v4 offset:15864
	ds_read_b32 v10, v10 offset:15604
	s_waitcnt lgkmcnt(0)
	v_fmac_f32_e32 v5, v4, v10
.LBB116_1070:
	s_or_b64 exec, exec, s[10:11]
	v_xor_b32_e32 v10, 0x80000000, v5
.LBB116_1071:
	s_or_b64 exec, exec, s[0:1]
	s_and_saveexec_b64 s[0:1], s[40:41]
; %bb.1072:
	ds_write_b32 v3, v10
; %bb.1073:
	s_or_b64 exec, exec, s[0:1]
	s_waitcnt lgkmcnt(0)
	s_barrier
	s_and_saveexec_b64 s[0:1], s[38:39]
	v_readlane_b32 s40, v33, 0
	v_readlane_b32 s41, v33, 1
	s_cbranch_execz .LBB116_1075
; %bb.1074:
	v_mov_b32_e32 v4, 0
	ds_read_b32 v4, v4 offset:16124
	ds_read_b32 v5, v3
	s_waitcnt lgkmcnt(0)
	v_fmac_f32_e32 v10, v4, v5
.LBB116_1075:
	s_or_b64 exec, exec, s[0:1]
	s_barrier
	s_and_saveexec_b64 s[0:1], s[38:39]
; %bb.1076:
	ds_write_b32 v3, v10
; %bb.1077:
	s_or_b64 exec, exec, s[0:1]
	s_waitcnt lgkmcnt(0)
	s_barrier
	s_barrier
	s_and_saveexec_b64 s[0:1], s[2:3]
; %bb.1078:
	v_xor_b32_e32 v3, 0x80000000, v10
	ds_write_b32 v2, v3 offset:15608
; %bb.1079:
	s_or_b64 exec, exec, s[0:1]
	s_waitcnt lgkmcnt(0)
	s_barrier
	s_barrier
	s_and_saveexec_b64 s[0:1], s[42:43]
	s_cbranch_execz .LBB116_1081
; %bb.1080:
	v_lshlrev_b32_e32 v2, 2, v0
	s_movk_i32 s2, 0xfc
	v_mad_u32_u24 v3, v0, s2, v2
	ds_read_b32 v4, v3 offset:15608
	s_waitcnt lgkmcnt(0)
	ds_write_b32 v2, v4 offset:16112
	ds_read_b32 v3, v3 offset:15612
	s_waitcnt lgkmcnt(0)
	ds_write_b32 v2, v3 offset:16368
.LBB116_1081:
	s_or_b64 exec, exec, s[0:1]
	s_waitcnt lgkmcnt(0)
	s_barrier
	s_and_saveexec_b64 s[0:1], vcc
	s_cbranch_execz .LBB116_1083
; %bb.1082:
	v_mov_b32_e32 v4, 0
	ds_read_b32 v2, v4 offset:16124
	v_mov_b32_e32 v3, 1.0
	ds_write_b32 v4, v3 offset:16120
	s_waitcnt lgkmcnt(1)
	ds_write_b64 v4, v[2:3] offset:16376
.LBB116_1083:
	s_or_b64 exec, exec, s[0:1]
.LBB116_1084:
	s_load_dwordx4 s[0:3], s[4:5], 0x30
	v_cmp_le_i32_e32 vcc, s88, v0
	v_mov_b32_e32 v11, 0
	v_lshl_add_u32 v2, s33, 6, v0
	s_waitcnt lgkmcnt(0)
	s_lshl_b64 s[0:1], s[2:3], 2
	s_add_u32 s20, s36, s0
	s_addc_u32 s21, s37, s1
	s_and_b64 s[14:15], vcc, s[30:31]
	v_cmp_eq_u32_e64 s[2:3], 0, v1
	s_xor_b64 s[0:1], s[14:15], -1
	s_and_b64 s[8:9], s[2:3], s[0:1]
	s_barrier
	s_and_saveexec_b64 s[0:1], s[8:9]
	s_cbranch_execz .LBB116_1086
; %bb.1085:
	v_ashrrev_i32_e32 v5, 31, v2
	v_mul_lo_u32 v10, s27, v2
	v_mad_u64_u32 v[3:4], s[8:9], s26, v2, 0
	v_mul_lo_u32 v5, s26, v5
	s_load_dword s8, s[4:5], 0x28
	v_add3_u32 v4, v4, v5, v10
	v_lshlrev_b64 v[3:4], 2, v[3:4]
	v_mov_b32_e32 v5, s21
	v_add_co_u32_e32 v3, vcc, s20, v3
	v_addc_co_u32_e32 v4, vcc, v5, v4, vcc
	flat_load_dword v3, v[3:4]
	s_waitcnt vmcnt(0) lgkmcnt(0)
	v_mul_f32_e64 v11, v3, -s8
.LBB116_1086:
	s_or_b64 exec, exec, s[0:1]
	s_load_dwordx2 s[0:1], s[4:5], 0x50
	s_and_b32 s4, 0xffff, s91
	v_mad_u32_u24 v10, v1, s4, v0
	s_cmp_lt_i32 s6, 1
	v_cmp_eq_u32_e64 s[4:5], 0, v10
	s_cbranch_scc1 .LBB116_1112
; %bb.1087:
	v_ashrrev_i32_e32 v5, 31, v2
	v_mul_lo_u32 v12, s35, v2
	v_mad_u64_u32 v[3:4], s[8:9], s34, v2, 0
	v_mul_lo_u32 v5, s34, v5
	s_lshl_b64 s[8:9], s[24:25], 2
	s_waitcnt lgkmcnt(0)
	s_add_u32 s16, s0, s8
	s_addc_u32 s17, s1, s9
	v_add3_u32 v4, v4, v5, v12
	v_cmp_gt_i32_e64 s[8:9], s28, v2
	v_lshlrev_b64 v[2:3], 2, v[3:4]
	v_mov_b32_e32 v5, 0x5000
	v_mov_b32_e32 v4, s90
	v_add_co_u32_e32 v14, vcc, s89, v2
	s_mov_b32 s22, 0
	v_cmp_gt_u32_e64 s[12:13], 64, v10
	v_lshl_add_u32 v12, v10, 2, v5
	v_lshl_or_b32 v13, v1, 2, v5
	s_add_i32 s23, s33, 1
	v_addc_co_u32_e32 v15, vcc, v4, v3, vcc
	v_mov_b32_e32 v17, -1
	v_mov_b32_e32 v16, 0
	s_branch .LBB116_1090
.LBB116_1088:                           ;   in Loop: Header=BB116_1090 Depth=1
	ds_read_b32 v2, v13 offset:192
	s_waitcnt vmcnt(0) lgkmcnt(0)
	v_fmac_f32_e32 v11, v4, v2
.LBB116_1089:                           ;   in Loop: Header=BB116_1090 Depth=1
	s_or_b64 exec, exec, s[18:19]
	s_add_i32 s22, s22, 1
	s_cmp_eq_u32 s22, s6
	s_cbranch_scc1 .LBB116_1112
.LBB116_1090:                           ; =>This Loop Header: Depth=1
                                        ;     Child Loop BB116_1092 Depth 2
	v_cmp_gt_i32_e32 vcc, s22, v17
	s_and_b64 s[18:19], s[4:5], vcc
	s_and_saveexec_b64 s[10:11], s[18:19]
	s_cbranch_execz .LBB116_1093
; %bb.1091:                             ;   in Loop: Header=BB116_1090 Depth=1
	global_load_dword v17, v16, s[16:17]
	s_waitcnt vmcnt(0)
	v_cmp_le_i32_e32 vcc, s22, v17
	s_cbranch_vccnz .LBB116_1093
.LBB116_1092:                           ;   Parent Loop BB116_1090 Depth=1
                                        ; =>  This Inner Loop Header: Depth=2
	buffer_wbinvl1_vol
	global_load_dword v17, v16, s[16:17]
	s_waitcnt vmcnt(0)
	v_cmp_gt_i32_e32 vcc, s22, v17
	s_cbranch_vccnz .LBB116_1092
.LBB116_1093:                           ;   in Loop: Header=BB116_1090 Depth=1
	s_or_b64 exec, exec, s[10:11]
	s_sub_i32 s34, s7, s22
	s_lshl_b32 s35, s34, 6
	buffer_wbinvl1_vol
	s_barrier
	s_and_saveexec_b64 s[10:11], s[12:13]
	s_cbranch_execz .LBB116_1097
; %bb.1094:                             ;   in Loop: Header=BB116_1090 Depth=1
	s_ashr_i32 s18, s35, 31
	v_mov_b32_e32 v3, s18
	v_or_b32_e32 v2, s35, v10
	v_cmp_gt_i64_e32 vcc, s[28:29], v[2:3]
	v_mov_b32_e32 v4, 0
	s_and_saveexec_b64 s[18:19], vcc
	s_cbranch_execz .LBB116_1096
; %bb.1095:                             ;   in Loop: Header=BB116_1090 Depth=1
	v_mul_lo_u32 v4, v3, s26
	v_mul_lo_u32 v5, v2, s27
	v_mad_u64_u32 v[2:3], s[36:37], v2, s26, 0
	v_add3_u32 v3, v3, v5, v4
	v_lshlrev_b64 v[2:3], 2, v[2:3]
	v_mov_b32_e32 v4, s21
	v_add_co_u32_e32 v2, vcc, s20, v2
	v_addc_co_u32_e32 v3, vcc, v4, v3, vcc
	flat_load_dword v4, v[2:3]
.LBB116_1096:                           ;   in Loop: Header=BB116_1090 Depth=1
	s_or_b64 exec, exec, s[18:19]
	s_waitcnt vmcnt(0) lgkmcnt(0)
	ds_write_b32 v12, v4
.LBB116_1097:                           ;   in Loop: Header=BB116_1090 Depth=1
	s_or_b64 exec, exec, s[10:11]
	v_add_u32_e32 v4, s35, v1
	v_ashrrev_i32_e32 v5, 31, v4
	v_lshlrev_b64 v[2:3], 2, v[4:5]
	s_cmp_lg_u32 s34, s23
	v_add_co_u32_e32 v2, vcc, v14, v2
	s_cselect_b64 s[10:11], -1, 0
	v_addc_co_u32_e32 v3, vcc, v15, v3, vcc
	v_cmp_gt_i32_e32 vcc, s28, v4
	v_cndmask_b32_e64 v5, 0, 1, s[10:11]
	s_and_b64 s[34:35], vcc, s[8:9]
	v_cmp_ne_u32_e64 s[10:11], 1, v5
	s_waitcnt lgkmcnt(0)
	s_barrier
	s_and_saveexec_b64 s[18:19], s[34:35]
	s_cbranch_execz .LBB116_1101
; %bb.1098:                             ;   in Loop: Header=BB116_1090 Depth=1
	s_and_b64 vcc, exec, s[10:11]
	v_mov_b32_e32 v5, v7
	s_cbranch_vccnz .LBB116_1100
; %bb.1099:                             ;   in Loop: Header=BB116_1090 Depth=1
	flat_load_dword v5, v[2:3]
.LBB116_1100:                           ;   in Loop: Header=BB116_1090 Depth=1
	ds_read_b32 v18, v13
	s_waitcnt vmcnt(0) lgkmcnt(0)
	v_fmac_f32_e32 v11, v5, v18
.LBB116_1101:                           ;   in Loop: Header=BB116_1090 Depth=1
	s_or_b64 exec, exec, s[18:19]
	v_add_u32_e32 v5, 16, v4
	v_cmp_gt_i32_e32 vcc, s28, v5
	s_and_b64 s[34:35], vcc, s[8:9]
	s_and_saveexec_b64 s[18:19], s[34:35]
	s_cbranch_execz .LBB116_1105
; %bb.1102:                             ;   in Loop: Header=BB116_1090 Depth=1
	s_and_b64 vcc, exec, s[10:11]
	v_mov_b32_e32 v5, v6
	s_cbranch_vccnz .LBB116_1104
; %bb.1103:                             ;   in Loop: Header=BB116_1090 Depth=1
	flat_load_dword v5, v[2:3] offset:64
.LBB116_1104:                           ;   in Loop: Header=BB116_1090 Depth=1
	ds_read_b32 v18, v13 offset:64
	s_waitcnt vmcnt(0) lgkmcnt(0)
	v_fmac_f32_e32 v11, v5, v18
.LBB116_1105:                           ;   in Loop: Header=BB116_1090 Depth=1
	s_or_b64 exec, exec, s[18:19]
	v_add_u32_e32 v5, 32, v4
	v_cmp_gt_i32_e32 vcc, s28, v5
	s_and_b64 s[34:35], vcc, s[8:9]
	s_and_saveexec_b64 s[18:19], s[34:35]
	s_cbranch_execz .LBB116_1109
; %bb.1106:                             ;   in Loop: Header=BB116_1090 Depth=1
	s_and_b64 vcc, exec, s[10:11]
	v_mov_b32_e32 v5, v9
	s_cbranch_vccnz .LBB116_1108
; %bb.1107:                             ;   in Loop: Header=BB116_1090 Depth=1
	flat_load_dword v5, v[2:3] offset:128
.LBB116_1108:                           ;   in Loop: Header=BB116_1090 Depth=1
	ds_read_b32 v18, v13 offset:128
	s_waitcnt vmcnt(0) lgkmcnt(0)
	v_fmac_f32_e32 v11, v5, v18
.LBB116_1109:                           ;   in Loop: Header=BB116_1090 Depth=1
	s_or_b64 exec, exec, s[18:19]
	v_add_u32_e32 v4, 48, v4
	v_cmp_gt_i32_e32 vcc, s28, v4
	s_and_b64 s[34:35], vcc, s[8:9]
	s_and_saveexec_b64 s[18:19], s[34:35]
	s_cbranch_execz .LBB116_1089
; %bb.1110:                             ;   in Loop: Header=BB116_1090 Depth=1
	s_and_b64 vcc, exec, s[10:11]
	v_mov_b32_e32 v4, v8
	s_cbranch_vccnz .LBB116_1088
; %bb.1111:                             ;   in Loop: Header=BB116_1090 Depth=1
	flat_load_dword v4, v[2:3] offset:192
	s_branch .LBB116_1088
.LBB116_1112:
	v_lshl_add_u32 v2, v1, 6, v0
	s_xor_b64 s[4:5], s[30:31], -1
	v_lshlrev_b32_e32 v2, 2, v2
	ds_write_b32 v2, v11 offset:16384
	s_waitcnt lgkmcnt(0)
	s_barrier
	s_and_saveexec_b64 s[6:7], s[2:3]
	s_cbranch_execz .LBB116_1114
; %bb.1113:
	v_lshlrev_b32_e32 v9, 2, v0
	ds_read2st64_b32 v[3:4], v9 offset0:65 offset1:66
	ds_read2st64_b32 v[5:6], v9 offset0:67 offset1:68
	;; [unrolled: 1-line block ×5, first 2 shown]
	s_waitcnt lgkmcnt(4)
	v_add_f32_e32 v3, v11, v3
	v_add_f32_e32 v3, v3, v4
	s_waitcnt lgkmcnt(3)
	v_add_f32_e32 v3, v3, v5
	v_add_f32_e32 v3, v3, v6
	;; [unrolled: 3-line block ×4, first 2 shown]
	ds_read2st64_b32 v[3:4], v9 offset0:75 offset1:76
	ds_read2st64_b32 v[5:6], v9 offset0:77 offset1:78
	ds_read_b32 v8, v9 offset:20224
	s_waitcnt lgkmcnt(3)
	v_add_f32_e32 v7, v7, v14
	v_add_f32_e32 v7, v7, v15
	s_waitcnt lgkmcnt(2)
	v_add_f32_e32 v3, v7, v3
	v_add_f32_e32 v3, v3, v4
	;; [unrolled: 3-line block ×3, first 2 shown]
	s_waitcnt lgkmcnt(0)
	v_add_f32_e32 v3, v3, v8
	v_cndmask_b32_e64 v11, -v3, 0, s[14:15]
.LBB116_1114:
	s_or_b64 exec, exec, s[6:7]
	s_and_b64 vcc, exec, s[40:41]
	s_cbranch_vccnz .LBB116_1128
; %bb.1115:
	v_mov_b32_e32 v3, 0x5000
	v_lshl_or_b32 v4, v1, 2, v3
	s_and_saveexec_b64 s[6:7], s[2:3]
; %bb.1116:
	v_lshl_add_u32 v3, v0, 2, v4
	ds_write_b32 v3, v11
; %bb.1117:
	s_or_b64 exec, exec, s[6:7]
	v_cmp_le_u32_e32 vcc, v0, v1
	v_mov_b32_e32 v3, 0
	s_waitcnt lgkmcnt(0)
	s_barrier
	s_and_saveexec_b64 s[6:7], vcc
	s_cbranch_execz .LBB116_1119
; %bb.1118:
	ds_read_b32 v3, v2
	ds_read_b32 v5, v4
	s_waitcnt lgkmcnt(0)
	v_fma_f32 v3, v3, v5, 0
.LBB116_1119:
	s_or_b64 exec, exec, s[6:7]
	v_add_u32_e32 v5, 16, v1
	v_cmp_le_u32_e32 vcc, v0, v5
	s_and_saveexec_b64 s[6:7], vcc
	s_cbranch_execz .LBB116_1121
; %bb.1120:
	ds_read_b32 v5, v2 offset:4096
	ds_read_b32 v6, v4 offset:64
	s_waitcnt lgkmcnt(0)
	v_fmac_f32_e32 v3, v5, v6
.LBB116_1121:
	s_or_b64 exec, exec, s[6:7]
	v_add_u32_e32 v5, 32, v1
	v_cmp_le_u32_e32 vcc, v0, v5
	s_and_saveexec_b64 s[6:7], vcc
	s_cbranch_execz .LBB116_1123
; %bb.1122:
	ds_read_b32 v5, v2 offset:8192
	ds_read_b32 v6, v4 offset:128
	s_waitcnt lgkmcnt(0)
	v_fmac_f32_e32 v3, v5, v6
.LBB116_1123:
	s_or_b64 exec, exec, s[6:7]
	v_add_u32_e32 v1, 48, v1
	v_add_u32_e32 v5, 0x4000, v2
	v_cmp_le_u32_e32 vcc, v0, v1
	s_and_saveexec_b64 s[6:7], vcc
	s_cbranch_execz .LBB116_1125
; %bb.1124:
	ds_read_b32 v1, v2 offset:12288
	ds_read_b32 v2, v4 offset:192
	s_waitcnt lgkmcnt(0)
	v_fmac_f32_e32 v3, v1, v2
.LBB116_1125:
	s_or_b64 exec, exec, s[6:7]
	s_mov_b64 s[8:9], 0
	s_mov_b64 s[6:7], 0
	ds_write_b32 v5, v3
	s_waitcnt lgkmcnt(0)
	s_barrier
                                        ; implicit-def: $vgpr1
	s_and_saveexec_b64 s[10:11], s[2:3]
	s_cbranch_execz .LBB116_1166
; %bb.1126:
	v_lshlrev_b32_e32 v12, 2, v0
	ds_read2st64_b32 v[1:2], v12 offset0:65 offset1:66
	ds_read2st64_b32 v[4:5], v12 offset0:67 offset1:68
	;; [unrolled: 1-line block ×4, first 2 shown]
	s_mov_b64 s[6:7], exec
	s_waitcnt lgkmcnt(3)
	v_add_f32_e32 v1, v3, v1
	v_add_f32_e32 v1, v2, v1
	s_waitcnt lgkmcnt(2)
	v_add_f32_e32 v1, v4, v1
	v_add_f32_e32 v1, v5, v1
	;; [unrolled: 3-line block ×3, first 2 shown]
	s_waitcnt lgkmcnt(0)
	v_add_f32_e32 v3, v8, v1
	ds_read2st64_b32 v[1:2], v12 offset0:73 offset1:74
	v_add_f32_e32 v7, v9, v3
	ds_read2st64_b32 v[3:4], v12 offset0:75 offset1:76
	ds_read2st64_b32 v[5:6], v12 offset0:77 offset1:78
	ds_read_b32 v8, v12 offset:20224
	s_waitcnt lgkmcnt(3)
	v_add_f32_e32 v1, v1, v7
	v_add_f32_e32 v1, v2, v1
	s_waitcnt lgkmcnt(2)
	v_add_f32_e32 v1, v3, v1
	v_add_f32_e32 v1, v4, v1
	s_waitcnt lgkmcnt(1)
	v_add_f32_e32 v1, v5, v1
	v_add_f32_e32 v1, v6, v1
	s_waitcnt lgkmcnt(0)
	v_add_f32_e32 v1, v8, v1
	s_or_b64 exec, exec, s[10:11]
	s_and_b64 vcc, exec, s[8:9]
	s_cbranch_vccnz .LBB116_1129
	s_branch .LBB116_1167
.LBB116_1127:
	v_mad_u64_u32 v[11:12], s[2:3], s34, v5, 0
	s_or_b64 s[10:11], s[10:11], exec
	v_mov_b32_e32 v4, v12
	v_mad_u64_u32 v[4:5], s[2:3], s35, v5, v[4:5]
	v_mov_b32_e32 v12, v4
	v_lshlrev_b64 v[4:5], 2, v[11:12]
	v_add_co_u32_e32 v2, vcc, v2, v4
	v_addc_co_u32_e32 v3, vcc, v3, v5, vcc
	flat_load_dword v2, v[2:3]
	s_waitcnt vmcnt(0) lgkmcnt(0)
	v_xor_b32_e32 v4, 0x80000000, v2
	s_or_b64 exec, exec, s[8:9]
	s_xor_b64 s[0:1], s[0:1], -1
	s_and_saveexec_b64 s[2:3], s[10:11]
	s_cbranch_execnz .LBB116_45
	s_branch .LBB116_46
.LBB116_1128:
	s_mov_b64 s[6:7], 0
                                        ; implicit-def: $vgpr1
	s_cbranch_execz .LBB116_1167
.LBB116_1129:
	v_mov_b32_e32 v1, 0x3c00
	v_lshl_add_u32 v1, v0, 2, v1
	v_mov_b32_e32 v3, 63
	v_mov_b32_e32 v2, 0
	s_branch .LBB116_1131
.LBB116_1130:                           ;   in Loop: Header=BB116_1131 Depth=1
	s_or_b64 exec, exec, s[8:9]
	v_subrev_co_u32_e32 v3, vcc, 1, v3
	s_andn2_b64 vcc, exec, vcc
	v_add_u32_e32 v1, 0xfffffc00, v1
	s_barrier
	s_cbranch_vccz .LBB116_1147
.LBB116_1131:                           ; =>This Inner Loop Header: Depth=1
	v_cmp_eq_u32_e32 vcc, v0, v3
	s_and_b64 s[10:11], s[2:3], vcc
	s_and_saveexec_b64 s[8:9], s[10:11]
; %bb.1132:                             ;   in Loop: Header=BB116_1131 Depth=1
	ds_write_b32 v2, v11 offset:20736
; %bb.1133:                             ;   in Loop: Header=BB116_1131 Depth=1
	s_or_b64 exec, exec, s[8:9]
	v_cmp_lt_u32_e32 vcc, v0, v3
	s_and_b64 s[10:11], s[2:3], vcc
	s_waitcnt lgkmcnt(0)
	s_barrier
	s_and_saveexec_b64 s[8:9], s[10:11]
	s_cbranch_execz .LBB116_1135
; %bb.1134:                             ;   in Loop: Header=BB116_1131 Depth=1
	ds_read_b32 v4, v1 offset:768
	ds_read_b32 v5, v2 offset:20736
	s_waitcnt lgkmcnt(0)
	v_fmac_f32_e32 v11, v4, v5
.LBB116_1135:                           ;   in Loop: Header=BB116_1131 Depth=1
	s_or_b64 exec, exec, s[8:9]
	v_add_u32_e32 v3, -1, v3
	v_cmp_eq_u32_e32 vcc, v0, v3
	s_and_b64 s[10:11], s[2:3], vcc
	s_barrier
	s_and_saveexec_b64 s[8:9], s[10:11]
; %bb.1136:                             ;   in Loop: Header=BB116_1131 Depth=1
	ds_write_b32 v2, v11 offset:20736
; %bb.1137:                             ;   in Loop: Header=BB116_1131 Depth=1
	s_or_b64 exec, exec, s[8:9]
	v_cmp_lt_u32_e32 vcc, v0, v3
	s_and_b64 s[10:11], s[2:3], vcc
	s_waitcnt lgkmcnt(0)
	s_barrier
	s_and_saveexec_b64 s[8:9], s[10:11]
	s_cbranch_execz .LBB116_1139
; %bb.1138:                             ;   in Loop: Header=BB116_1131 Depth=1
	ds_read_b32 v4, v1 offset:512
	ds_read_b32 v5, v2 offset:20736
	s_waitcnt lgkmcnt(0)
	v_fmac_f32_e32 v11, v4, v5
.LBB116_1139:                           ;   in Loop: Header=BB116_1131 Depth=1
	s_or_b64 exec, exec, s[8:9]
	v_add_u32_e32 v3, -1, v3
	v_cmp_eq_u32_e32 vcc, v0, v3
	s_and_b64 s[10:11], s[2:3], vcc
	s_barrier
	;; [unrolled: 22-line block ×3, first 2 shown]
	s_and_saveexec_b64 s[8:9], s[10:11]
; %bb.1144:                             ;   in Loop: Header=BB116_1131 Depth=1
	ds_write_b32 v2, v11 offset:20736
; %bb.1145:                             ;   in Loop: Header=BB116_1131 Depth=1
	s_or_b64 exec, exec, s[8:9]
	v_cmp_lt_u32_e32 vcc, v0, v3
	s_and_b64 s[10:11], s[2:3], vcc
	s_waitcnt lgkmcnt(0)
	s_barrier
	s_and_saveexec_b64 s[8:9], s[10:11]
	s_cbranch_execz .LBB116_1130
; %bb.1146:                             ;   in Loop: Header=BB116_1131 Depth=1
	ds_read_b32 v4, v1
	ds_read_b32 v5, v2 offset:20736
	s_waitcnt lgkmcnt(0)
	v_fmac_f32_e32 v11, v4, v5
	s_branch .LBB116_1130
.LBB116_1147:
	s_mov_b64 s[8:9], -1
	s_and_b64 vcc, exec, s[4:5]
	s_cbranch_vccnz .LBB116_1168
; %bb.1148:
	s_andn2_b64 vcc, exec, s[8:9]
	s_cbranch_vccz .LBB116_1169
.LBB116_1149:
	s_and_saveexec_b64 s[2:3], s[6:7]
	s_cbranch_execz .LBB116_1151
.LBB116_1150:
	s_lshl_b32 s4, s33, 6
	s_ashr_i32 s5, s4, 31
	v_mov_b32_e32 v0, s5
	v_add_co_u32_e32 v1, vcc, s4, v10
	v_addc_co_u32_e32 v0, vcc, 0, v0, vcc
	v_mul_lo_u32 v2, v0, s26
	v_mul_lo_u32 v3, v1, s27
	v_mad_u64_u32 v[0:1], s[4:5], v1, s26, 0
	v_add3_u32 v1, v1, v3, v2
	v_lshlrev_b64 v[0:1], 2, v[0:1]
	v_mov_b32_e32 v2, s21
	v_add_co_u32_e32 v0, vcc, s20, v0
	v_addc_co_u32_e32 v1, vcc, v2, v1, vcc
	flat_store_dword v[0:1], v11
.LBB116_1151:
	s_or_b64 exec, exec, s[2:3]
	v_cmp_eq_u32_e32 vcc, 0, v10
	s_waitcnt vmcnt(0) lgkmcnt(0)
	buffer_wbinvl1_vol
	s_barrier
	s_and_saveexec_b64 s[2:3], vcc
	s_cbranch_execz .LBB116_1153
; %bb.1152:
	s_lshl_b64 s[4:5], s[24:25], 2
	s_add_u32 s0, s0, s4
	s_addc_u32 s1, s1, s5
	v_mov_b32_e32 v0, 0
	global_load_dword v1, v0, s[0:1]
	s_waitcnt vmcnt(0)
	v_add_u32_e32 v1, 1, v1
	global_store_dword v0, v1, s[0:1]
.LBB116_1153:
	s_or_b64 exec, exec, s[2:3]
	s_waitcnt vmcnt(0)
	buffer_wbinvl1_vol
	s_endpgm
.LBB116_1154:
	v_or_b32_e32 v10, v1, v0
	v_cmp_gt_u32_e32 vcc, 64, v10
	s_and_b64 s[10:11], vcc, exec
	s_andn2_saveexec_b64 s[8:9], s[8:9]
	s_cbranch_execz .LBB116_14
.LBB116_1155:
	v_mad_u64_u32 v[10:11], s[12:13], s34, v1, 0
	s_or_b64 s[10:11], s[10:11], exec
	v_mov_b32_e32 v5, v11
	v_mad_u64_u32 v[11:12], s[12:13], s35, v1, v[5:6]
	v_lshlrev_b64 v[10:11], 2, v[10:11]
	v_add_co_u32_e32 v10, vcc, v2, v10
	v_addc_co_u32_e32 v11, vcc, v3, v11, vcc
	flat_load_dword v5, v[10:11]
	s_waitcnt vmcnt(0) lgkmcnt(0)
	v_xor_b32_e32 v5, 0x80000000, v5
	s_or_b64 exec, exec, s[8:9]
	s_and_saveexec_b64 s[8:9], s[10:11]
	s_cbranch_execnz .LBB116_15
	s_branch .LBB116_16
.LBB116_1156:
	v_or_b32_e32 v10, v5, v0
	v_cmp_gt_u32_e32 vcc, 64, v10
	s_and_b64 s[2:3], vcc, exec
	s_or_saveexec_b64 s[8:9], s[8:9]
	v_mov_b32_e32 v10, 0
	s_xor_b64 exec, exec, s[8:9]
	s_cbranch_execz .LBB116_18
.LBB116_1157:
	v_mad_u64_u32 v[10:11], s[10:11], s34, v5, 0
	s_or_b64 s[2:3], s[2:3], exec
	v_mad_u64_u32 v[11:12], s[10:11], s35, v5, v[11:12]
	v_lshlrev_b64 v[10:11], 2, v[10:11]
	v_add_co_u32_e32 v10, vcc, v2, v10
	v_addc_co_u32_e32 v11, vcc, v3, v11, vcc
	flat_load_dword v10, v[10:11]
	s_waitcnt vmcnt(0) lgkmcnt(0)
	v_xor_b32_e32 v10, 0x80000000, v10
	s_or_b64 exec, exec, s[8:9]
	s_and_saveexec_b64 s[8:9], s[2:3]
	s_cbranch_execnz .LBB116_19
	s_branch .LBB116_20
.LBB116_1158:
	v_or_b32_e32 v10, v5, v0
	v_cmp_gt_u32_e32 vcc, 64, v10
	s_and_b64 s[2:3], vcc, exec
	s_or_saveexec_b64 s[8:9], s[8:9]
	v_mov_b32_e32 v10, 0
	s_xor_b64 exec, exec, s[8:9]
	s_cbranch_execz .LBB116_22
.LBB116_1159:
	v_mad_u64_u32 v[10:11], s[10:11], s34, v5, 0
	s_or_b64 s[2:3], s[2:3], exec
	v_mad_u64_u32 v[11:12], s[10:11], s35, v5, v[11:12]
	v_lshlrev_b64 v[10:11], 2, v[10:11]
	v_add_co_u32_e32 v10, vcc, v2, v10
	v_addc_co_u32_e32 v11, vcc, v3, v11, vcc
	flat_load_dword v10, v[10:11]
	s_waitcnt vmcnt(0) lgkmcnt(0)
	v_xor_b32_e32 v10, 0x80000000, v10
	s_or_b64 exec, exec, s[8:9]
	s_and_saveexec_b64 s[8:9], s[2:3]
	s_cbranch_execnz .LBB116_23
	s_branch .LBB116_24
.LBB116_1160:
	v_or_b32_e32 v10, v1, v0
	v_cmp_gt_u32_e64 s[2:3], 64, v10
	s_and_b64 s[8:9], s[2:3], exec
	s_andn2_saveexec_b64 s[12:13], s[12:13]
	s_cbranch_execz .LBB116_30
.LBB116_1161:
	v_mad_u64_u32 v[10:11], s[2:3], s34, v1, 0
	s_or_b64 s[8:9], s[8:9], exec
	v_mov_b32_e32 v5, v11
	v_mad_u64_u32 v[11:12], s[2:3], s35, v1, v[5:6]
	v_lshlrev_b64 v[10:11], 2, v[10:11]
	v_add_co_u32_e64 v10, s[2:3], v2, v10
	v_addc_co_u32_e64 v11, s[2:3], v3, v11, s[2:3]
	flat_load_dword v5, v[10:11]
	s_waitcnt vmcnt(0) lgkmcnt(0)
	v_xor_b32_e32 v5, 0x80000000, v5
	s_or_b64 exec, exec, s[12:13]
	s_and_saveexec_b64 s[2:3], s[8:9]
	s_cbranch_execnz .LBB116_31
	s_branch .LBB116_32
.LBB116_1162:
	v_or_b32_e32 v10, v5, v0
	v_cmp_gt_u32_e64 s[2:3], 64, v10
	s_and_b64 s[8:9], s[2:3], exec
	s_or_saveexec_b64 s[12:13], s[12:13]
	v_mov_b32_e32 v10, 0
	s_xor_b64 exec, exec, s[12:13]
	s_cbranch_execz .LBB116_34
.LBB116_1163:
	v_mad_u64_u32 v[10:11], s[2:3], s34, v5, 0
	s_or_b64 s[8:9], s[8:9], exec
	v_mad_u64_u32 v[11:12], s[2:3], s35, v5, v[11:12]
	v_lshlrev_b64 v[10:11], 2, v[10:11]
	v_add_co_u32_e64 v10, s[2:3], v2, v10
	v_addc_co_u32_e64 v11, s[2:3], v3, v11, s[2:3]
	flat_load_dword v10, v[10:11]
	s_waitcnt vmcnt(0) lgkmcnt(0)
	v_xor_b32_e32 v10, 0x80000000, v10
	s_or_b64 exec, exec, s[12:13]
	s_and_saveexec_b64 s[2:3], s[8:9]
	s_cbranch_execnz .LBB116_35
	s_branch .LBB116_36
.LBB116_1164:
	v_or_b32_e32 v10, v5, v0
	v_cmp_gt_u32_e64 s[2:3], 64, v10
	s_and_b64 s[8:9], s[2:3], exec
	s_or_saveexec_b64 s[12:13], s[12:13]
	v_mov_b32_e32 v10, 0
	s_xor_b64 exec, exec, s[12:13]
	s_cbranch_execz .LBB116_38
.LBB116_1165:
	v_mad_u64_u32 v[10:11], s[2:3], s34, v5, 0
	s_or_b64 s[8:9], s[8:9], exec
	v_mad_u64_u32 v[11:12], s[2:3], s35, v5, v[11:12]
	v_lshlrev_b64 v[10:11], 2, v[10:11]
	v_add_co_u32_e64 v10, s[2:3], v2, v10
	v_addc_co_u32_e64 v11, s[2:3], v3, v11, s[2:3]
	flat_load_dword v10, v[10:11]
	s_waitcnt vmcnt(0) lgkmcnt(0)
	v_xor_b32_e32 v10, 0x80000000, v10
	s_or_b64 exec, exec, s[12:13]
	s_and_saveexec_b64 s[2:3], s[8:9]
	s_cbranch_execnz .LBB116_39
	s_branch .LBB116_40
.LBB116_1166:
	s_or_b64 exec, exec, s[10:11]
	s_and_b64 vcc, exec, s[8:9]
	s_cbranch_vccnz .LBB116_1129
.LBB116_1167:
	v_mov_b32_e32 v11, v1
	s_and_saveexec_b64 s[2:3], s[6:7]
	s_cbranch_execnz .LBB116_1150
	s_branch .LBB116_1151
.LBB116_1168:
	s_andn2_b64 s[4:5], s[6:7], exec
	s_and_b64 s[6:7], s[2:3], exec
	s_or_b64 s[6:7], s[4:5], s[6:7]
	s_cbranch_execnz .LBB116_1149
.LBB116_1169:
	v_cmp_gt_i32_e32 vcc, s88, v0
	s_and_b64 s[2:3], s[2:3], vcc
	s_andn2_b64 s[4:5], s[6:7], exec
	s_and_b64 s[2:3], s[2:3], exec
	s_or_b64 s[6:7], s[4:5], s[2:3]
	s_and_saveexec_b64 s[2:3], s[6:7]
	s_cbranch_execnz .LBB116_1150
	s_branch .LBB116_1151
.LBB116_1170:
	v_lshlrev_b32_e32 v16, 2, v14
	v_sub_u32_e32 v16, v15, v16
	v_lshl_add_u32 v16, v13, 2, v16
	ds_read_b32 v16, v16 offset:272
	ds_read_b32 v17, v15 offset:4
	s_waitcnt lgkmcnt(0)
	v_fmac_f32_e32 v12, v16, v17
	s_or_b64 exec, exec, s[14:15]
	v_cmp_gt_u32_e64 s[10:11], 8, v4
	s_and_saveexec_b64 s[14:15], s[10:11]
	s_cbranch_execz .LBB116_68
.LBB116_1171:
	ds_read_b32 v16, v10 offset:528
	ds_read_b32 v15, v15 offset:8
	s_waitcnt lgkmcnt(0)
	v_fmac_f32_e32 v12, v16, v15
	s_or_b64 exec, exec, s[14:15]
	v_cmp_gt_u32_e64 s[10:11], 4, v4
	s_and_saveexec_b64 s[14:15], s[10:11]
	s_cbranch_execnz .LBB116_69
	s_branch .LBB116_70
.LBB116_1172:
	v_lshlrev_b32_e32 v21, 2, v19
	v_sub_u32_e32 v21, v20, v21
	v_lshl_add_u32 v21, v18, 2, v21
	ds_read_b32 v21, v21 offset:288
	ds_read_b32 v22, v20 offset:4
	s_waitcnt lgkmcnt(0)
	v_fmac_f32_e32 v17, v21, v22
	s_or_b64 exec, exec, s[16:17]
	v_cmp_gt_u32_e64 s[14:15], 48, v4
	s_and_saveexec_b64 s[16:17], s[14:15]
	s_cbranch_execz .LBB116_110
.LBB116_1173:
	v_lshlrev_b32_e32 v21, 2, v19
	v_sub_u32_e32 v21, v20, v21
	v_lshl_add_u32 v21, v18, 2, v21
	ds_read_b32 v21, v21 offset:544
	ds_read_b32 v22, v20 offset:8
	s_waitcnt lgkmcnt(0)
	v_fmac_f32_e32 v17, v21, v22
	s_or_b64 exec, exec, s[16:17]
	v_cmp_gt_u32_e64 s[14:15], 40, v4
	s_and_saveexec_b64 s[16:17], s[14:15]
	s_cbranch_execz .LBB116_111
.LBB116_1174:
	v_lshlrev_b32_e32 v21, 2, v19
	v_sub_u32_e32 v21, v20, v21
	v_lshl_add_u32 v21, v18, 2, v21
	ds_read_b32 v21, v21 offset:800
	ds_read_b32 v22, v20 offset:12
	s_waitcnt lgkmcnt(0)
	v_fmac_f32_e32 v17, v21, v22
	s_or_b64 exec, exec, s[16:17]
	v_cmp_gt_u32_e64 s[14:15], 32, v4
	s_and_saveexec_b64 s[16:17], s[14:15]
	s_cbranch_execz .LBB116_112
.LBB116_1175:
	ds_read_b32 v21, v15 offset:1056
	ds_read_b32 v22, v20 offset:16
	s_waitcnt lgkmcnt(0)
	v_fmac_f32_e32 v17, v21, v22
	s_or_b64 exec, exec, s[16:17]
	v_cmp_gt_u32_e64 s[14:15], 24, v4
	s_and_saveexec_b64 s[16:17], s[14:15]
	s_cbranch_execz .LBB116_113
.LBB116_1176:
	v_lshlrev_b32_e32 v21, 2, v19
	v_sub_u32_e32 v21, v20, v21
	v_lshl_add_u32 v21, v18, 2, v21
	ds_read_b32 v21, v21 offset:1312
	ds_read_b32 v22, v20 offset:20
	s_waitcnt lgkmcnt(0)
	v_fmac_f32_e32 v17, v21, v22
	s_or_b64 exec, exec, s[16:17]
	v_cmp_gt_u32_e64 s[14:15], 16, v4
	s_and_saveexec_b64 s[16:17], s[14:15]
	s_cbranch_execz .LBB116_114
.LBB116_1177:
	ds_read_b32 v21, v15 offset:1568
	ds_read_b32 v20, v20 offset:24
	s_waitcnt lgkmcnt(0)
	v_fmac_f32_e32 v17, v21, v20
	s_or_b64 exec, exec, s[16:17]
	v_cmp_gt_u32_e64 s[14:15], 8, v4
	s_and_saveexec_b64 s[16:17], s[14:15]
	s_cbranch_execnz .LBB116_115
	s_branch .LBB116_116
.LBB116_1178:
	v_lshlrev_b32_e32 v22, 2, v14
	v_sub_u32_e32 v22, v21, v22
	v_lshl_add_u32 v22, v13, 2, v22
	ds_read_b32 v22, v22 offset:2352
	ds_read_b32 v23, v21 offset:2084
	s_waitcnt lgkmcnt(0)
	v_fmac_f32_e32 v20, v22, v23
	s_or_b64 exec, exec, s[14:15]
	v_cmp_gt_u32_e64 s[10:11], 8, v4
	s_and_saveexec_b64 s[14:15], s[10:11]
	s_cbranch_execz .LBB116_172
.LBB116_1179:
	ds_read_b32 v22, v10 offset:2608
	ds_read_b32 v21, v21 offset:2088
	s_waitcnt lgkmcnt(0)
	v_fmac_f32_e32 v20, v22, v21
	s_or_b64 exec, exec, s[14:15]
	v_cmp_gt_u32_e64 s[10:11], 4, v4
	s_and_saveexec_b64 s[14:15], s[10:11]
	s_cbranch_execnz .LBB116_173
	s_branch .LBB116_174
.LBB116_1180:
	v_lshlrev_b32_e32 v26, 2, v21
	v_lshl_add_u32 v26, v23, 2, v26
	ds_read_b32 v26, v26 offset:2880
	ds_read_b32 v27, v25 offset:44
	s_waitcnt lgkmcnt(0)
	v_fmac_f32_e32 v22, v26, v27
	s_or_b64 exec, exec, s[20:21]
	v_cmp_gt_u32_e64 s[16:17], 64, v4
	s_and_saveexec_b64 s[20:21], s[16:17]
	s_cbranch_execz .LBB116_234
.LBB116_1181:
	ds_read_b32 v26, v20 offset:3136
	ds_read_b32 v27, v25 offset:48
	s_waitcnt lgkmcnt(0)
	v_fmac_f32_e32 v22, v26, v27
	s_or_b64 exec, exec, s[20:21]
	v_cmp_gt_u32_e64 s[16:17], 48, v4
	s_and_saveexec_b64 s[20:21], s[16:17]
	s_cbranch_execz .LBB116_235
.LBB116_1182:
	v_lshlrev_b32_e32 v26, 2, v21
	v_lshl_add_u32 v26, v23, 2, v26
	ds_read_b32 v26, v26 offset:3392
	ds_read_b32 v27, v25 offset:52
	s_waitcnt lgkmcnt(0)
	v_fmac_f32_e32 v22, v26, v27
	s_or_b64 exec, exec, s[20:21]
	v_cmp_gt_u32_e64 s[16:17], 32, v4
	s_and_saveexec_b64 s[20:21], s[16:17]
	s_cbranch_execz .LBB116_236
.LBB116_1183:
	ds_read_b32 v26, v20 offset:3648
	ds_read_b32 v25, v25 offset:56
	s_waitcnt lgkmcnt(0)
	v_fmac_f32_e32 v22, v26, v25
	s_or_b64 exec, exec, s[20:21]
	v_cmp_gt_u32_e64 s[16:17], 16, v4
	s_and_saveexec_b64 s[20:21], s[16:17]
	s_cbranch_execnz .LBB116_237
	s_branch .LBB116_238
.LBB116_1184:
	v_lshlrev_b32_e32 v27, 2, v14
	v_sub_u32_e32 v27, v26, v27
	v_lshl_add_u32 v27, v13, 2, v27
	ds_read_b32 v27, v27 offset:4432
	ds_read_b32 v28, v26 offset:4164
	s_waitcnt lgkmcnt(0)
	v_fmac_f32_e32 v25, v27, v28
	s_or_b64 exec, exec, s[20:21]
	v_cmp_gt_u32_e64 s[14:15], 8, v4
	s_and_saveexec_b64 s[20:21], s[14:15]
	s_cbranch_execz .LBB116_326
.LBB116_1185:
	ds_read_b32 v27, v10 offset:4688
	ds_read_b32 v26, v26 offset:4168
	s_waitcnt lgkmcnt(0)
	v_fmac_f32_e32 v25, v27, v26
	s_or_b64 exec, exec, s[20:21]
	v_cmp_gt_u32_e64 s[14:15], 4, v4
	s_and_saveexec_b64 s[20:21], s[14:15]
	s_cbranch_execnz .LBB116_327
	s_branch .LBB116_328
.LBB116_1186:
	v_lshlrev_b32_e32 v27, 2, v19
	v_sub_u32_e32 v27, v26, v27
	v_lshl_add_u32 v27, v18, 2, v27
	ds_read_b32 v27, v27 offset:4448
	ds_read_b32 v28, v26 offset:4164
	s_waitcnt lgkmcnt(0)
	v_fmac_f32_e32 v25, v27, v28
	s_or_b64 exec, exec, s[20:21]
	v_cmp_gt_u32_e64 s[14:15], 48, v4
	s_and_saveexec_b64 s[20:21], s[14:15]
	s_cbranch_execz .LBB116_368
.LBB116_1187:
	v_lshlrev_b32_e32 v27, 2, v19
	v_sub_u32_e32 v27, v26, v27
	v_lshl_add_u32 v27, v18, 2, v27
	ds_read_b32 v27, v27 offset:4704
	ds_read_b32 v28, v26 offset:4168
	s_waitcnt lgkmcnt(0)
	v_fmac_f32_e32 v25, v27, v28
	s_or_b64 exec, exec, s[20:21]
	v_cmp_gt_u32_e64 s[14:15], 40, v4
	s_and_saveexec_b64 s[20:21], s[14:15]
	s_cbranch_execz .LBB116_369
.LBB116_1188:
	v_lshlrev_b32_e32 v27, 2, v19
	v_sub_u32_e32 v27, v26, v27
	v_lshl_add_u32 v27, v18, 2, v27
	ds_read_b32 v27, v27 offset:4960
	ds_read_b32 v28, v26 offset:4172
	s_waitcnt lgkmcnt(0)
	v_fmac_f32_e32 v25, v27, v28
	s_or_b64 exec, exec, s[20:21]
	v_cmp_gt_u32_e64 s[14:15], 32, v4
	s_and_saveexec_b64 s[20:21], s[14:15]
	s_cbranch_execz .LBB116_370
.LBB116_1189:
	ds_read_b32 v27, v15 offset:5216
	ds_read_b32 v28, v26 offset:4176
	s_waitcnt lgkmcnt(0)
	v_fmac_f32_e32 v25, v27, v28
	s_or_b64 exec, exec, s[20:21]
	v_cmp_gt_u32_e64 s[14:15], 24, v4
	s_and_saveexec_b64 s[20:21], s[14:15]
	s_cbranch_execz .LBB116_371
.LBB116_1190:
	v_lshlrev_b32_e32 v27, 2, v19
	v_sub_u32_e32 v27, v26, v27
	v_lshl_add_u32 v27, v18, 2, v27
	ds_read_b32 v27, v27 offset:5472
	ds_read_b32 v28, v26 offset:4180
	s_waitcnt lgkmcnt(0)
	v_fmac_f32_e32 v25, v27, v28
	s_or_b64 exec, exec, s[20:21]
	v_cmp_gt_u32_e64 s[14:15], 16, v4
	s_and_saveexec_b64 s[20:21], s[14:15]
	s_cbranch_execz .LBB116_372
.LBB116_1191:
	ds_read_b32 v27, v15 offset:5728
	ds_read_b32 v26, v26 offset:4184
	s_waitcnt lgkmcnt(0)
	v_fmac_f32_e32 v25, v27, v26
	s_or_b64 exec, exec, s[20:21]
	v_cmp_gt_u32_e64 s[14:15], 8, v4
	s_and_saveexec_b64 s[20:21], s[14:15]
	s_cbranch_execnz .LBB116_373
	s_branch .LBB116_374
.LBB116_1192:
	v_lshlrev_b32_e32 v27, 2, v14
	v_sub_u32_e32 v27, v26, v27
	v_lshl_add_u32 v27, v13, 2, v27
	ds_read_b32 v27, v27 offset:6512
	ds_read_b32 v28, v26 offset:6244
	s_waitcnt lgkmcnt(0)
	v_fmac_f32_e32 v25, v27, v28
	s_or_b64 exec, exec, s[20:21]
	v_cmp_gt_u32_e64 s[14:15], 8, v4
	s_and_saveexec_b64 s[20:21], s[14:15]
	s_cbranch_execz .LBB116_430
.LBB116_1193:
	ds_read_b32 v27, v10 offset:6768
	ds_read_b32 v26, v26 offset:6248
	s_waitcnt lgkmcnt(0)
	v_fmac_f32_e32 v25, v27, v26
	s_or_b64 exec, exec, s[20:21]
	v_cmp_gt_u32_e64 s[14:15], 4, v4
	s_and_saveexec_b64 s[20:21], s[14:15]
	s_cbranch_execnz .LBB116_431
	s_branch .LBB116_432
.LBB116_1194:
	ds_read_b32 v31, v25 offset:7552
	ds_read_b32 v32, v30 offset:116
	s_waitcnt lgkmcnt(0)
	v_fmac_f32_e32 v28, v31, v32
	s_or_b64 exec, exec, s[22:23]
	v_cmp_gt_u32_e64 s[20:21], 64, v4
	s_and_saveexec_b64 s[22:23], s[20:21]
	s_cbranch_execz .LBB116_528
.LBB116_1195:
	ds_read_b32 v31, v25 offset:7808
	ds_read_b32 v30, v30 offset:120
	s_waitcnt lgkmcnt(0)
	v_fmac_f32_e32 v28, v31, v30
	s_or_b64 exec, exec, s[22:23]
	v_cmp_gt_u32_e64 s[20:21], 32, v4
	s_and_saveexec_b64 s[22:23], s[20:21]
	s_cbranch_execnz .LBB116_529
	s_branch .LBB116_530
.LBB116_1196:
	v_lshlrev_b32_e32 v27, 2, v14
	v_sub_u32_e32 v27, v26, v27
	v_lshl_add_u32 v27, v13, 2, v27
	ds_read_b32 v27, v27 offset:8592
	ds_read_b32 v28, v26 offset:8324
	s_waitcnt lgkmcnt(0)
	v_fmac_f32_e32 v25, v27, v28
	s_or_b64 exec, exec, s[16:17]
	v_cmp_gt_u32_e64 s[12:13], 8, v4
	s_and_saveexec_b64 s[16:17], s[12:13]
	s_cbranch_execz .LBB116_682
.LBB116_1197:
	ds_read_b32 v27, v10 offset:8848
	ds_read_b32 v26, v26 offset:8328
	s_waitcnt lgkmcnt(0)
	v_fmac_f32_e32 v25, v27, v26
	s_or_b64 exec, exec, s[16:17]
	v_cmp_gt_u32_e64 s[12:13], 4, v4
	s_and_saveexec_b64 s[16:17], s[12:13]
	s_cbranch_execnz .LBB116_683
	s_branch .LBB116_684
.LBB116_1198:
	v_lshlrev_b32_e32 v27, 2, v19
	v_sub_u32_e32 v27, v26, v27
	v_lshl_add_u32 v27, v18, 2, v27
	ds_read_b32 v27, v27 offset:8608
	ds_read_b32 v28, v26 offset:8324
	s_waitcnt lgkmcnt(0)
	v_fmac_f32_e32 v25, v27, v28
	s_or_b64 exec, exec, s[16:17]
	v_cmp_gt_u32_e64 s[12:13], 48, v4
	s_and_saveexec_b64 s[16:17], s[12:13]
	s_cbranch_execz .LBB116_724
.LBB116_1199:
	v_lshlrev_b32_e32 v27, 2, v19
	v_sub_u32_e32 v27, v26, v27
	v_lshl_add_u32 v27, v18, 2, v27
	ds_read_b32 v27, v27 offset:8864
	ds_read_b32 v28, v26 offset:8328
	s_waitcnt lgkmcnt(0)
	v_fmac_f32_e32 v25, v27, v28
	s_or_b64 exec, exec, s[16:17]
	v_cmp_gt_u32_e64 s[12:13], 40, v4
	s_and_saveexec_b64 s[16:17], s[12:13]
	s_cbranch_execz .LBB116_725
.LBB116_1200:
	v_lshlrev_b32_e32 v27, 2, v19
	v_sub_u32_e32 v27, v26, v27
	v_lshl_add_u32 v27, v18, 2, v27
	ds_read_b32 v27, v27 offset:9120
	ds_read_b32 v28, v26 offset:8332
	s_waitcnt lgkmcnt(0)
	v_fmac_f32_e32 v25, v27, v28
	s_or_b64 exec, exec, s[16:17]
	v_cmp_gt_u32_e64 s[12:13], 32, v4
	s_and_saveexec_b64 s[16:17], s[12:13]
	s_cbranch_execz .LBB116_726
.LBB116_1201:
	ds_read_b32 v27, v15 offset:9376
	ds_read_b32 v28, v26 offset:8336
	s_waitcnt lgkmcnt(0)
	v_fmac_f32_e32 v25, v27, v28
	s_or_b64 exec, exec, s[16:17]
	v_cmp_gt_u32_e64 s[12:13], 24, v4
	s_and_saveexec_b64 s[16:17], s[12:13]
	s_cbranch_execz .LBB116_727
.LBB116_1202:
	v_lshlrev_b32_e32 v27, 2, v19
	v_sub_u32_e32 v27, v26, v27
	v_lshl_add_u32 v27, v18, 2, v27
	ds_read_b32 v27, v27 offset:9632
	ds_read_b32 v28, v26 offset:8340
	s_waitcnt lgkmcnt(0)
	v_fmac_f32_e32 v25, v27, v28
	s_or_b64 exec, exec, s[16:17]
	v_cmp_gt_u32_e64 s[12:13], 16, v4
	s_and_saveexec_b64 s[16:17], s[12:13]
	s_cbranch_execz .LBB116_728
.LBB116_1203:
	ds_read_b32 v27, v15 offset:9888
	ds_read_b32 v26, v26 offset:8344
	s_waitcnt lgkmcnt(0)
	v_fmac_f32_e32 v25, v27, v26
	s_or_b64 exec, exec, s[16:17]
	v_cmp_gt_u32_e64 s[12:13], 8, v4
	s_and_saveexec_b64 s[16:17], s[12:13]
	s_cbranch_execnz .LBB116_729
	s_branch .LBB116_730
.LBB116_1204:
	v_lshlrev_b32_e32 v27, 2, v14
	v_sub_u32_e32 v27, v26, v27
	v_lshl_add_u32 v27, v13, 2, v27
	ds_read_b32 v27, v27 offset:10672
	ds_read_b32 v28, v26 offset:10404
	s_waitcnt lgkmcnt(0)
	v_fmac_f32_e32 v25, v27, v28
	s_or_b64 exec, exec, s[16:17]
	v_cmp_gt_u32_e64 s[12:13], 8, v4
	s_and_saveexec_b64 s[16:17], s[12:13]
	s_cbranch_execz .LBB116_786
.LBB116_1205:
	ds_read_b32 v27, v10 offset:10928
	ds_read_b32 v26, v26 offset:10408
	s_waitcnt lgkmcnt(0)
	v_fmac_f32_e32 v25, v27, v26
	s_or_b64 exec, exec, s[16:17]
	v_cmp_gt_u32_e64 s[12:13], 4, v4
	s_and_saveexec_b64 s[16:17], s[12:13]
	s_cbranch_execnz .LBB116_787
	s_branch .LBB116_788
.LBB116_1206:
	v_lshlrev_b32_e32 v24, 2, v21
	v_lshl_add_u32 v24, v23, 2, v24
	ds_read_b32 v24, v24 offset:11200
	ds_read_b32 v27, v26 offset:8364
	s_waitcnt lgkmcnt(0)
	v_fmac_f32_e32 v25, v24, v27
	s_or_b64 exec, exec, s[16:17]
	v_cmp_gt_u32_e64 s[12:13], 64, v4
	s_and_saveexec_b64 s[16:17], s[12:13]
	s_cbranch_execz .LBB116_848
.LBB116_1207:
	ds_read_b32 v24, v20 offset:11456
	ds_read_b32 v27, v26 offset:8368
	s_waitcnt lgkmcnt(0)
	v_fmac_f32_e32 v25, v24, v27
	s_or_b64 exec, exec, s[16:17]
	v_cmp_gt_u32_e64 s[12:13], 48, v4
	s_and_saveexec_b64 s[16:17], s[12:13]
	s_cbranch_execz .LBB116_849
.LBB116_1208:
	v_lshlrev_b32_e32 v24, 2, v21
	v_lshl_add_u32 v23, v23, 2, v24
	ds_read_b32 v23, v23 offset:11712
	ds_read_b32 v24, v26 offset:8372
	s_waitcnt lgkmcnt(0)
	v_fmac_f32_e32 v25, v23, v24
	s_or_b64 exec, exec, s[16:17]
	v_cmp_gt_u32_e64 s[12:13], 32, v4
	s_and_saveexec_b64 s[16:17], s[12:13]
	s_cbranch_execz .LBB116_850
.LBB116_1209:
	ds_read_b32 v23, v20 offset:11968
	ds_read_b32 v24, v26 offset:8376
	s_waitcnt lgkmcnt(0)
	v_fmac_f32_e32 v25, v23, v24
	s_or_b64 exec, exec, s[16:17]
	v_cmp_gt_u32_e64 s[12:13], 16, v4
	s_and_saveexec_b64 s[16:17], s[12:13]
	s_cbranch_execnz .LBB116_851
	s_branch .LBB116_852
.LBB116_1210:
	v_lshlrev_b32_e32 v22, 2, v14
	v_sub_u32_e32 v22, v21, v22
	v_lshl_add_u32 v22, v13, 2, v22
	ds_read_b32 v22, v22 offset:12752
	ds_read_b32 v23, v21 offset:12484
	s_waitcnt lgkmcnt(0)
	v_fmac_f32_e32 v20, v22, v23
	s_or_b64 exec, exec, s[12:13]
	v_cmp_gt_u32_e64 s[10:11], 8, v4
	s_and_saveexec_b64 s[12:13], s[10:11]
	s_cbranch_execz .LBB116_940
.LBB116_1211:
	ds_read_b32 v22, v10 offset:13008
	ds_read_b32 v21, v21 offset:12488
	s_waitcnt lgkmcnt(0)
	v_fmac_f32_e32 v20, v22, v21
	s_or_b64 exec, exec, s[12:13]
	v_cmp_gt_u32_e64 s[10:11], 4, v4
	s_and_saveexec_b64 s[12:13], s[10:11]
	s_cbranch_execnz .LBB116_941
	s_branch .LBB116_942
.LBB116_1212:
	v_lshlrev_b32_e32 v22, 2, v19
	v_sub_u32_e32 v22, v21, v22
	v_lshl_add_u32 v22, v18, 2, v22
	ds_read_b32 v22, v22 offset:12768
	ds_read_b32 v23, v21 offset:12484
	s_waitcnt lgkmcnt(0)
	v_fmac_f32_e32 v20, v22, v23
	s_or_b64 exec, exec, s[12:13]
	v_cmp_gt_u32_e64 s[10:11], 48, v4
	s_and_saveexec_b64 s[12:13], s[10:11]
	s_cbranch_execz .LBB116_982
.LBB116_1213:
	v_lshlrev_b32_e32 v22, 2, v19
	v_sub_u32_e32 v22, v21, v22
	v_lshl_add_u32 v22, v18, 2, v22
	ds_read_b32 v22, v22 offset:13024
	ds_read_b32 v23, v21 offset:12488
	s_waitcnt lgkmcnt(0)
	v_fmac_f32_e32 v20, v22, v23
	s_or_b64 exec, exec, s[12:13]
	v_cmp_gt_u32_e64 s[10:11], 40, v4
	s_and_saveexec_b64 s[12:13], s[10:11]
	s_cbranch_execz .LBB116_983
.LBB116_1214:
	v_lshlrev_b32_e32 v22, 2, v19
	v_sub_u32_e32 v22, v21, v22
	v_lshl_add_u32 v22, v18, 2, v22
	ds_read_b32 v22, v22 offset:13280
	ds_read_b32 v23, v21 offset:12492
	s_waitcnt lgkmcnt(0)
	v_fmac_f32_e32 v20, v22, v23
	s_or_b64 exec, exec, s[12:13]
	v_cmp_gt_u32_e64 s[10:11], 32, v4
	s_and_saveexec_b64 s[12:13], s[10:11]
	s_cbranch_execz .LBB116_984
.LBB116_1215:
	ds_read_b32 v22, v15 offset:13536
	ds_read_b32 v23, v21 offset:12496
	s_waitcnt lgkmcnt(0)
	v_fmac_f32_e32 v20, v22, v23
	s_or_b64 exec, exec, s[12:13]
	v_cmp_gt_u32_e64 s[10:11], 24, v4
	s_and_saveexec_b64 s[12:13], s[10:11]
	s_cbranch_execz .LBB116_985
.LBB116_1216:
	v_lshlrev_b32_e32 v19, 2, v19
	v_sub_u32_e32 v19, v21, v19
	v_lshl_add_u32 v18, v18, 2, v19
	ds_read_b32 v18, v18 offset:13792
	ds_read_b32 v19, v21 offset:12500
	s_waitcnt lgkmcnt(0)
	v_fmac_f32_e32 v20, v18, v19
	s_or_b64 exec, exec, s[12:13]
	v_cmp_gt_u32_e64 s[10:11], 16, v4
	s_and_saveexec_b64 s[12:13], s[10:11]
	s_cbranch_execz .LBB116_986
.LBB116_1217:
	ds_read_b32 v18, v15 offset:14048
	ds_read_b32 v19, v21 offset:12504
	s_waitcnt lgkmcnt(0)
	v_fmac_f32_e32 v20, v18, v19
	s_or_b64 exec, exec, s[12:13]
	v_cmp_gt_u32_e64 s[10:11], 8, v4
	s_and_saveexec_b64 s[12:13], s[10:11]
	s_cbranch_execnz .LBB116_987
	s_branch .LBB116_988
.LBB116_1218:
	v_lshlrev_b32_e32 v14, 2, v14
	v_sub_u32_e32 v14, v16, v14
	v_lshl_add_u32 v13, v13, 2, v14
	ds_read_b32 v13, v13 offset:14832
	ds_read_b32 v14, v16 offset:14564
	s_waitcnt lgkmcnt(0)
	v_fmac_f32_e32 v15, v13, v14
	s_or_b64 exec, exec, s[10:11]
	v_cmp_gt_u32_e64 s[8:9], 8, v4
	s_and_saveexec_b64 s[10:11], s[8:9]
	s_cbranch_execz .LBB116_1044
.LBB116_1219:
	ds_read_b32 v13, v10 offset:15088
	ds_read_b32 v14, v16 offset:14568
	s_waitcnt lgkmcnt(0)
	v_fmac_f32_e32 v15, v13, v14
	s_or_b64 exec, exec, s[10:11]
	v_cmp_gt_u32_e64 s[8:9], 4, v4
	s_and_saveexec_b64 s[10:11], s[8:9]
	s_cbranch_execnz .LBB116_1045
	s_branch .LBB116_1046
	.section	.rodata,"a",@progbits
	.p2align	6, 0x0
	.amdhsa_kernel _ZL19rocblas_trsv_deviceILi64ELi16ELb1ELb1ELb0ELb1EffPKPKfPKPfEviT7_lllT6_T8_lllPii
		.amdhsa_group_segment_fixed_size 20740
		.amdhsa_private_segment_fixed_size 0
		.amdhsa_kernarg_size 352
		.amdhsa_user_sgpr_count 6
		.amdhsa_user_sgpr_private_segment_buffer 1
		.amdhsa_user_sgpr_dispatch_ptr 0
		.amdhsa_user_sgpr_queue_ptr 0
		.amdhsa_user_sgpr_kernarg_segment_ptr 1
		.amdhsa_user_sgpr_dispatch_id 0
		.amdhsa_user_sgpr_flat_scratch_init 0
		.amdhsa_user_sgpr_private_segment_size 0
		.amdhsa_uses_dynamic_stack 0
		.amdhsa_system_sgpr_private_segment_wavefront_offset 0
		.amdhsa_system_sgpr_workgroup_id_x 1
		.amdhsa_system_sgpr_workgroup_id_y 0
		.amdhsa_system_sgpr_workgroup_id_z 1
		.amdhsa_system_sgpr_workgroup_info 0
		.amdhsa_system_vgpr_workitem_id 1
		.amdhsa_next_free_vgpr 34
		.amdhsa_next_free_sgpr 96
		.amdhsa_reserve_vcc 1
		.amdhsa_reserve_flat_scratch 0
		.amdhsa_float_round_mode_32 0
		.amdhsa_float_round_mode_16_64 0
		.amdhsa_float_denorm_mode_32 3
		.amdhsa_float_denorm_mode_16_64 3
		.amdhsa_dx10_clamp 1
		.amdhsa_ieee_mode 1
		.amdhsa_fp16_overflow 0
		.amdhsa_exception_fp_ieee_invalid_op 0
		.amdhsa_exception_fp_denorm_src 0
		.amdhsa_exception_fp_ieee_div_zero 0
		.amdhsa_exception_fp_ieee_overflow 0
		.amdhsa_exception_fp_ieee_underflow 0
		.amdhsa_exception_fp_ieee_inexact 0
		.amdhsa_exception_int_div_zero 0
	.end_amdhsa_kernel
	.section	.text._ZL19rocblas_trsv_deviceILi64ELi16ELb1ELb1ELb0ELb1EffPKPKfPKPfEviT7_lllT6_T8_lllPii,"axG",@progbits,_ZL19rocblas_trsv_deviceILi64ELi16ELb1ELb1ELb0ELb1EffPKPKfPKPfEviT7_lllT6_T8_lllPii,comdat
.Lfunc_end116:
	.size	_ZL19rocblas_trsv_deviceILi64ELi16ELb1ELb1ELb0ELb1EffPKPKfPKPfEviT7_lllT6_T8_lllPii, .Lfunc_end116-_ZL19rocblas_trsv_deviceILi64ELi16ELb1ELb1ELb0ELb1EffPKPKfPKPfEviT7_lllT6_T8_lllPii
                                        ; -- End function
	.set _ZL19rocblas_trsv_deviceILi64ELi16ELb1ELb1ELb0ELb1EffPKPKfPKPfEviT7_lllT6_T8_lllPii.num_vgpr, 34
	.set _ZL19rocblas_trsv_deviceILi64ELi16ELb1ELb1ELb0ELb1EffPKPKfPKPfEviT7_lllT6_T8_lllPii.num_agpr, 0
	.set _ZL19rocblas_trsv_deviceILi64ELi16ELb1ELb1ELb0ELb1EffPKPKfPKPfEviT7_lllT6_T8_lllPii.numbered_sgpr, 96
	.set _ZL19rocblas_trsv_deviceILi64ELi16ELb1ELb1ELb0ELb1EffPKPKfPKPfEviT7_lllT6_T8_lllPii.num_named_barrier, 0
	.set _ZL19rocblas_trsv_deviceILi64ELi16ELb1ELb1ELb0ELb1EffPKPKfPKPfEviT7_lllT6_T8_lllPii.private_seg_size, 0
	.set _ZL19rocblas_trsv_deviceILi64ELi16ELb1ELb1ELb0ELb1EffPKPKfPKPfEviT7_lllT6_T8_lllPii.uses_vcc, 1
	.set _ZL19rocblas_trsv_deviceILi64ELi16ELb1ELb1ELb0ELb1EffPKPKfPKPfEviT7_lllT6_T8_lllPii.uses_flat_scratch, 0
	.set _ZL19rocblas_trsv_deviceILi64ELi16ELb1ELb1ELb0ELb1EffPKPKfPKPfEviT7_lllT6_T8_lllPii.has_dyn_sized_stack, 0
	.set _ZL19rocblas_trsv_deviceILi64ELi16ELb1ELb1ELb0ELb1EffPKPKfPKPfEviT7_lllT6_T8_lllPii.has_recursion, 0
	.set _ZL19rocblas_trsv_deviceILi64ELi16ELb1ELb1ELb0ELb1EffPKPKfPKPfEviT7_lllT6_T8_lllPii.has_indirect_call, 0
	.section	.AMDGPU.csdata,"",@progbits
; Kernel info:
; codeLenInByte = 33876
; TotalNumSgprs: 100
; NumVgprs: 34
; ScratchSize: 0
; MemoryBound: 0
; FloatMode: 240
; IeeeMode: 1
; LDSByteSize: 20740 bytes/workgroup (compile time only)
; SGPRBlocks: 12
; VGPRBlocks: 8
; NumSGPRsForWavesPerEU: 100
; NumVGPRsForWavesPerEU: 34
; Occupancy: 7
; WaveLimiterHint : 1
; COMPUTE_PGM_RSRC2:SCRATCH_EN: 0
; COMPUTE_PGM_RSRC2:USER_SGPR: 6
; COMPUTE_PGM_RSRC2:TRAP_HANDLER: 0
; COMPUTE_PGM_RSRC2:TGID_X_EN: 1
; COMPUTE_PGM_RSRC2:TGID_Y_EN: 0
; COMPUTE_PGM_RSRC2:TGID_Z_EN: 1
; COMPUTE_PGM_RSRC2:TIDIG_COMP_CNT: 1
	.section	.text._ZL19rocblas_trsv_deviceILi64ELi16ELb1ELb1ELb1ELb1EffPKPKfPKPfEviT7_lllT6_T8_lllPii,"axG",@progbits,_ZL19rocblas_trsv_deviceILi64ELi16ELb1ELb1ELb1ELb1EffPKPKfPKPfEviT7_lllT6_T8_lllPii,comdat
	.globl	_ZL19rocblas_trsv_deviceILi64ELi16ELb1ELb1ELb1ELb1EffPKPKfPKPfEviT7_lllT6_T8_lllPii ; -- Begin function _ZL19rocblas_trsv_deviceILi64ELi16ELb1ELb1ELb1ELb1EffPKPKfPKPfEviT7_lllT6_T8_lllPii
	.p2align	8
	.type	_ZL19rocblas_trsv_deviceILi64ELi16ELb1ELb1ELb1ELb1EffPKPKfPKPfEviT7_lllT6_T8_lllPii,@function
_ZL19rocblas_trsv_deviceILi64ELi16ELb1ELb1ELb1ELb1EffPKPKfPKPfEviT7_lllT6_T8_lllPii: ; @_ZL19rocblas_trsv_deviceILi64ELi16ELb1ELb1ELb1ELb1EffPKPKfPKPfEviT7_lllT6_T8_lllPii
; %bb.0:
	s_load_dwordx4 s[0:3], s[4:5], 0x8
	s_mov_b32 s24, s7
	s_mov_b32 s25, 0
	s_lshl_b64 s[8:9], s[24:25], 3
	s_waitcnt lgkmcnt(0)
	s_add_u32 s0, s0, s8
	s_addc_u32 s1, s1, s9
	s_load_dwordx2 s[10:11], s[0:1], 0x0
	s_load_dword s28, s[4:5], 0x0
	s_load_dwordx4 s[12:15], s[4:5], 0x30
	s_load_dwordx2 s[34:35], s[4:5], 0x18
	s_lshl_b64 s[0:1], s[2:3], 2
	s_waitcnt lgkmcnt(0)
	s_add_u32 s89, s10, s0
	s_addc_u32 s90, s11, s1
	s_add_u32 s0, s12, s8
	s_load_dword s7, s[4:5], 0x60
	s_addc_u32 s1, s13, s9
	s_load_dwordx2 s[36:37], s[0:1], 0x0
	s_load_dwordx2 s[26:27], s[4:5], 0x40
	s_load_dword s91, s[4:5], 0x6c
	s_waitcnt lgkmcnt(0)
	s_add_i32 s7, s7, -1
	s_sub_i32 s33, s7, s6
	s_cmp_eq_u32 s6, 0
	s_cbranch_scc1 .LBB117_10
; %bb.1:
	s_lshl_b32 s2, s33, 6
	v_add_u32_e32 v6, s2, v0
	v_ashrrev_i32_e32 v2, 31, v6
	v_mul_lo_u32 v7, s34, v2
	v_mul_lo_u32 v8, s35, v6
	v_mad_u64_u32 v[4:5], s[0:1], s34, v6, 0
	v_add3_u32 v2, v1, s2, 64
	v_ashrrev_i32_e32 v3, 31, v2
	v_add3_u32 v5, v5, v7, v8
	v_lshlrev_b64 v[4:5], 2, v[4:5]
	v_cmp_gt_i32_e32 vcc, s28, v6
	v_mov_b32_e32 v6, s90
	v_add_co_u32_e64 v7, s[0:1], s89, v4
	v_lshlrev_b64 v[3:4], 2, v[2:3]
	v_addc_co_u32_e64 v5, s[0:1], v6, v5, s[0:1]
	v_add_co_u32_e64 v3, s[0:1], v7, v3
	v_addc_co_u32_e64 v4, s[0:1], v5, v4, s[0:1]
	v_cmp_gt_i32_e64 s[0:1], s28, v2
	s_and_b64 s[2:3], s[0:1], vcc
	v_mov_b32_e32 v6, 0
	v_mov_b32_e32 v7, 0
	s_barrier
	s_and_saveexec_b64 s[0:1], s[2:3]
	s_cbranch_execz .LBB117_3
; %bb.2:
	flat_load_dword v7, v[3:4]
.LBB117_3:
	s_or_b64 exec, exec, s[0:1]
	v_add_u32_e32 v5, 16, v2
	v_cmp_gt_i32_e64 s[0:1], s28, v5
	s_and_b64 s[2:3], s[0:1], vcc
	s_waitcnt vmcnt(0) lgkmcnt(0)
	s_barrier
	s_and_saveexec_b64 s[0:1], s[2:3]
	s_cbranch_execz .LBB117_5
; %bb.4:
	flat_load_dword v6, v[3:4] offset:64
.LBB117_5:
	s_or_b64 exec, exec, s[0:1]
	v_add_u32_e32 v5, 32, v2
	v_cmp_gt_i32_e64 s[0:1], s28, v5
	s_and_b64 s[2:3], s[0:1], vcc
	v_mov_b32_e32 v8, 0
	v_mov_b32_e32 v9, 0
	s_waitcnt vmcnt(0) lgkmcnt(0)
	s_barrier
	s_and_saveexec_b64 s[0:1], s[2:3]
	s_cbranch_execz .LBB117_7
; %bb.6:
	flat_load_dword v9, v[3:4] offset:128
.LBB117_7:
	s_or_b64 exec, exec, s[0:1]
	v_add_u32_e32 v2, 48, v2
	v_cmp_gt_i32_e64 s[0:1], s28, v2
	s_and_b64 s[2:3], s[0:1], vcc
	s_waitcnt vmcnt(0) lgkmcnt(0)
	s_barrier
	s_and_saveexec_b64 s[0:1], s[2:3]
	s_cbranch_execz .LBB117_9
; %bb.8:
	flat_load_dword v8, v[3:4] offset:192
.LBB117_9:
	s_or_b64 exec, exec, s[0:1]
	s_branch .LBB117_11
.LBB117_10:
                                        ; implicit-def: $vgpr8
                                        ; implicit-def: $vgpr9
                                        ; implicit-def: $vgpr6
                                        ; implicit-def: $vgpr7
.LBB117_11:
	s_ashr_i32 s29, s28, 31
	s_lshr_b32 s0, s29, 26
	s_add_i32 s0, s28, s0
	s_andn2_b32 s0, s0, 63
	s_sub_i32 s88, s28, s0
	s_add_i32 s0, s28, -1
	s_ashr_i32 s1, s0, 31
	s_lshr_b32 s1, s1, 26
	s_add_i32 s0, s0, s1
	s_ashr_i32 s0, s0, 6
	s_cmp_eq_u32 s0, s33
	s_cselect_b64 s[0:1], -1, 0
	s_cmp_lg_u32 s88, 0
	s_cselect_b64 s[2:3], -1, 0
	s_and_b64 s[30:31], s[2:3], s[0:1]
	s_cmp_lt_i32 s6, 5
	s_cselect_b64 s[2:3], -1, 0
	s_mov_b64 s[12:13], -1
	s_or_b64 s[0:1], s[2:3], s[30:31]
	v_lshlrev_b32_e32 v4, 6, v0
	s_and_b64 vcc, exec, s[30:31]
	v_cmp_le_u32_e64 s[8:9], v0, v1
	s_cbranch_vccnz .LBB117_27
; %bb.12:
	s_add_u32 s10, s34, 1
	s_addc_u32 s11, s35, 0
	s_lshl_b32 s12, s33, 6
	s_ashr_i32 s13, s12, 31
	s_mul_hi_u32 s14, s10, s12
	s_mul_i32 s13, s10, s13
	s_add_i32 s13, s14, s13
	s_mul_i32 s11, s11, s12
	s_add_i32 s11, s13, s11
	s_mul_i32 s10, s10, s12
	s_lshl_b64 s[10:11], s[10:11], 2
	s_add_u32 s10, s89, s10
	s_addc_u32 s11, s90, s11
	v_lshlrev_b32_e32 v2, 2, v0
	v_mov_b32_e32 v3, s11
	v_add_co_u32_e32 v2, vcc, s10, v2
	v_mov_b32_e32 v5, 0
	v_addc_co_u32_e32 v3, vcc, 0, v3, vcc
	s_mov_b64 s[10:11], 0
	s_and_saveexec_b64 s[12:13], s[8:9]
	s_xor_b64 s[8:9], exec, s[12:13]
	s_cbranch_execnz .LBB117_1154
; %bb.13:
	s_andn2_saveexec_b64 s[8:9], s[8:9]
	s_cbranch_execnz .LBB117_1155
.LBB117_14:
	s_or_b64 exec, exec, s[8:9]
	s_and_saveexec_b64 s[8:9], s[10:11]
.LBB117_15:
	v_add_u32_e32 v10, v1, v4
	v_lshl_add_u32 v11, v1, 6, v0
	v_cndmask_b32_e64 v10, v11, v10, s[2:3]
	v_lshlrev_b32_e32 v10, 2, v10
	ds_write_b32 v10, v5
.LBB117_16:
	s_or_b64 exec, exec, s[8:9]
	v_add_u32_e32 v5, 16, v1
	v_cmp_le_u32_e32 vcc, v0, v5
	s_mov_b64 s[2:3], 0
	s_and_saveexec_b64 s[8:9], vcc
	s_xor_b64 s[8:9], exec, s[8:9]
	s_cbranch_execnz .LBB117_1156
; %bb.17:
	s_or_saveexec_b64 s[8:9], s[8:9]
	v_mov_b32_e32 v10, 0
	s_xor_b64 exec, exec, s[8:9]
	s_cbranch_execnz .LBB117_1157
.LBB117_18:
	s_or_b64 exec, exec, s[8:9]
	s_and_saveexec_b64 s[8:9], s[2:3]
.LBB117_19:
	v_add_u32_e32 v11, v5, v4
	v_lshl_add_u32 v5, v5, 6, v0
	v_cndmask_b32_e64 v5, v5, v11, s[0:1]
	v_lshlrev_b32_e32 v5, 2, v5
	ds_write_b32 v5, v10
.LBB117_20:
	s_or_b64 exec, exec, s[8:9]
	v_add_u32_e32 v5, 32, v1
	v_cmp_le_u32_e32 vcc, v0, v5
	s_mov_b64 s[2:3], 0
	s_and_saveexec_b64 s[8:9], vcc
	s_xor_b64 s[8:9], exec, s[8:9]
	s_cbranch_execnz .LBB117_1158
; %bb.21:
	s_or_saveexec_b64 s[8:9], s[8:9]
	v_mov_b32_e32 v10, 0
	s_xor_b64 exec, exec, s[8:9]
	s_cbranch_execnz .LBB117_1159
.LBB117_22:
	s_or_b64 exec, exec, s[8:9]
	s_and_saveexec_b64 s[8:9], s[2:3]
.LBB117_23:
	v_add_u32_e32 v11, v5, v4
	v_lshl_add_u32 v5, v5, 6, v0
	v_cndmask_b32_e64 v5, v5, v11, s[0:1]
	v_lshlrev_b32_e32 v5, 2, v5
	ds_write_b32 v5, v10
.LBB117_24:
	s_or_b64 exec, exec, s[8:9]
	v_add_u32_e32 v5, 48, v1
	v_add_u32_e32 v10, v5, v4
	v_lshl_add_u32 v11, v5, 6, v0
	v_cmp_le_u32_e32 vcc, v0, v5
	s_mov_b64 s[2:3], -1
	s_mov_b64 s[12:13], 0
	s_mov_b64 s[10:11], 0
	s_and_saveexec_b64 s[8:9], vcc
	s_xor_b64 s[8:9], exec, s[8:9]
; %bb.25:
	v_or_b32_e32 v12, v5, v0
	v_cmp_gt_u32_e32 vcc, 64, v12
	s_and_b64 s[10:11], vcc, exec
	s_xor_b64 s[2:3], exec, -1
; %bb.26:
	s_or_b64 exec, exec, s[8:9]
	v_cndmask_b32_e64 v10, v11, v10, s[0:1]
	s_and_b64 vcc, exec, s[12:13]
	s_cbranch_vccnz .LBB117_28
	s_branch .LBB117_43
.LBB117_27:
	s_mov_b64 s[2:3], 0
	s_mov_b64 s[10:11], 0
                                        ; implicit-def: $vgpr10
                                        ; implicit-def: $vgpr2_vgpr3
                                        ; implicit-def: $vgpr5
	s_and_b64 vcc, exec, s[12:13]
	s_cbranch_vccz .LBB117_43
.LBB117_28:
	s_add_u32 s2, s34, 1
	s_addc_u32 s3, s35, 0
	s_lshl_b32 s8, s33, 6
	s_ashr_i32 s9, s8, 31
	s_mul_hi_u32 s12, s2, s8
	s_mul_i32 s9, s2, s9
	s_add_i32 s9, s12, s9
	s_mul_i32 s3, s3, s8
	s_add_i32 s3, s9, s3
	s_mul_i32 s2, s2, s8
	s_lshl_b64 s[2:3], s[2:3], 2
	s_add_u32 s2, s89, s2
	s_addc_u32 s3, s90, s3
	v_lshlrev_b32_e32 v2, 2, v0
	v_mov_b32_e32 v3, s3
	v_add_co_u32_e64 v2, s[2:3], s2, v2
	v_addc_co_u32_e64 v3, s[2:3], 0, v3, s[2:3]
	v_max_i32_e32 v10, v1, v0
	v_cmp_le_u32_e64 s[2:3], v0, v1
	v_cmp_le_i32_e64 s[8:9], s88, v10
	v_cmp_gt_i32_e32 vcc, s88, v0
	v_mov_b32_e32 v5, 0
	s_or_b64 s[2:3], s[8:9], s[2:3]
	s_mov_b64 s[8:9], 0
	s_and_saveexec_b64 s[12:13], s[2:3]
	s_xor_b64 s[12:13], exec, s[12:13]
	s_cbranch_execnz .LBB117_1160
; %bb.29:
	s_andn2_saveexec_b64 s[12:13], s[12:13]
	s_cbranch_execnz .LBB117_1161
.LBB117_30:
	s_or_b64 exec, exec, s[12:13]
	s_and_saveexec_b64 s[2:3], s[8:9]
.LBB117_31:
	v_lshlrev_b32_e32 v10, 2, v4
	v_lshl_add_u32 v10, v1, 2, v10
	ds_write_b32 v10, v5
.LBB117_32:
	s_or_b64 exec, exec, s[2:3]
	v_add_u32_e32 v5, 16, v1
	v_cmp_gt_u32_e64 s[2:3], v0, v5
	v_cmp_gt_i32_e64 s[8:9], s88, v5
	s_and_b64 s[2:3], s[2:3], s[8:9]
	s_and_b64 s[2:3], s[2:3], vcc
	s_xor_b64 s[2:3], s[2:3], -1
	s_mov_b64 s[8:9], 0
	s_and_saveexec_b64 s[12:13], s[2:3]
	s_xor_b64 s[12:13], exec, s[12:13]
	s_cbranch_execnz .LBB117_1162
; %bb.33:
	s_or_saveexec_b64 s[12:13], s[12:13]
	v_mov_b32_e32 v10, 0
	s_xor_b64 exec, exec, s[12:13]
	s_cbranch_execnz .LBB117_1163
.LBB117_34:
	s_or_b64 exec, exec, s[12:13]
	s_and_saveexec_b64 s[2:3], s[8:9]
.LBB117_35:
	v_add_u32_e32 v11, v5, v4
	v_lshl_add_u32 v5, v5, 6, v0
	v_cndmask_b32_e64 v5, v5, v11, s[0:1]
	v_lshlrev_b32_e32 v5, 2, v5
	ds_write_b32 v5, v10
.LBB117_36:
	s_or_b64 exec, exec, s[2:3]
	v_add_u32_e32 v5, 32, v1
	v_cmp_gt_u32_e64 s[2:3], v0, v5
	v_cmp_gt_i32_e64 s[8:9], s88, v5
	s_and_b64 s[2:3], s[2:3], s[8:9]
	s_and_b64 s[2:3], s[2:3], vcc
	s_xor_b64 s[2:3], s[2:3], -1
	s_mov_b64 s[8:9], 0
	s_and_saveexec_b64 s[12:13], s[2:3]
	s_xor_b64 s[12:13], exec, s[12:13]
	s_cbranch_execnz .LBB117_1164
; %bb.37:
	s_or_saveexec_b64 s[12:13], s[12:13]
	v_mov_b32_e32 v10, 0
	s_xor_b64 exec, exec, s[12:13]
	s_cbranch_execnz .LBB117_1165
.LBB117_38:
	s_or_b64 exec, exec, s[12:13]
	s_and_saveexec_b64 s[2:3], s[8:9]
.LBB117_39:
	v_add_u32_e32 v11, v5, v4
	v_lshl_add_u32 v5, v5, 6, v0
	v_cndmask_b32_e64 v5, v5, v11, s[0:1]
	v_lshlrev_b32_e32 v5, 2, v5
	ds_write_b32 v5, v10
.LBB117_40:
	s_or_b64 exec, exec, s[2:3]
	v_add_u32_e32 v5, 48, v1
	v_cmp_gt_u32_e64 s[2:3], v0, v5
	v_cmp_gt_i32_e64 s[8:9], s88, v5
	s_and_b64 s[2:3], s[2:3], s[8:9]
	s_and_b64 s[8:9], s[2:3], vcc
	v_add_u32_e32 v4, v5, v4
	v_lshl_add_u32 v10, v5, 6, v0
	s_mov_b64 s[2:3], -1
	s_xor_b64 s[12:13], s[8:9], -1
	s_and_saveexec_b64 s[8:9], s[12:13]
; %bb.41:
	v_or_b32_e32 v11, v5, v0
	v_cmp_gt_u32_e32 vcc, 64, v11
	s_andn2_b64 s[2:3], s[10:11], exec
	s_and_b64 s[10:11], vcc, exec
	s_or_b64 s[10:11], s[2:3], s[10:11]
	s_xor_b64 s[2:3], exec, -1
; %bb.42:
	s_or_b64 exec, exec, s[8:9]
	v_cndmask_b32_e64 v10, v10, v4, s[0:1]
.LBB117_43:
	v_mov_b32_e32 v4, 0
	s_and_saveexec_b64 s[8:9], s[2:3]
	s_cbranch_execnz .LBB117_1127
; %bb.44:
	s_or_b64 exec, exec, s[8:9]
	s_xor_b64 s[0:1], s[0:1], -1
	s_and_saveexec_b64 s[2:3], s[10:11]
.LBB117_45:
	v_lshlrev_b32_e32 v2, 2, v10
	ds_write_b32 v2, v4
.LBB117_46:
	s_or_b64 exec, exec, s[2:3]
	v_cndmask_b32_e64 v2, 0, 1, s[0:1]
	v_cmp_ne_u32_e64 s[40:41], 1, v2
	s_andn2_b64 vcc, exec, s[0:1]
	s_waitcnt vmcnt(0) lgkmcnt(0)
	s_barrier
	s_cbranch_vccnz .LBB117_1084
; %bb.47:
	v_or_b32_e32 v2, v0, v1
	v_cmp_eq_u32_e32 vcc, 0, v2
	s_and_saveexec_b64 s[0:1], vcc
	s_cbranch_execz .LBB117_49
; %bb.48:
	v_mov_b32_e32 v4, 0
	ds_read_b32 v2, v4 offset:4
	v_mov_b32_e32 v3, 1.0
	ds_write_b32 v4, v3
	s_waitcnt lgkmcnt(1)
	ds_write_b64 v4, v[2:3] offset:256
.LBB117_49:
	s_or_b64 exec, exec, s[0:1]
	v_lshl_add_u32 v4, v1, 6, v0
	v_and_b32_e32 v11, 1, v0
	v_lshrrev_b32_e32 v5, 1, v4
	v_lshlrev_b32_e32 v2, 2, v11
	v_cmp_lt_u32_e64 s[8:9], 3, v4
	v_cmp_gt_u32_e64 s[2:3], 4, v4
	v_lshl_or_b32 v2, v5, 8, v2
	v_mov_b32_e32 v10, 0
	s_waitcnt lgkmcnt(0)
	s_barrier
	s_and_saveexec_b64 s[0:1], s[2:3]
	s_cbranch_execz .LBB117_53
; %bb.50:
	v_mul_u32_u24_e32 v3, 0x104, v5
	ds_read_b32 v12, v2 offset:8
	ds_read_b32 v3, v3
	v_mov_b32_e32 v10, 0
	v_cmp_gt_u32_e64 s[10:11], 2, v4
	s_waitcnt lgkmcnt(0)
	v_fma_f32 v3, v12, v3, 0
	s_and_saveexec_b64 s[12:13], s[10:11]
	s_cbranch_execz .LBB117_52
; %bb.51:
	v_lshlrev_b32_e32 v12, 2, v0
	ds_read_b32 v12, v12 offset:264
	ds_read_b32 v10, v10 offset:4
	s_waitcnt lgkmcnt(0)
	v_fmac_f32_e32 v3, v12, v10
.LBB117_52:
	s_or_b64 exec, exec, s[12:13]
	v_xor_b32_e32 v10, 0x80000000, v3
.LBB117_53:
                                        ; implicit-def: $vgpr33 : SGPR spill to VGPR lane
	v_writelane_b32 v33, s40, 0
	v_writelane_b32 v33, s41, 1
	s_or_b64 exec, exec, s[0:1]
	v_mov_b32_e32 v3, 0x4000
	v_cmp_eq_u32_e64 s[10:11], 0, v11
	s_xor_b64 s[0:1], s[8:9], -1
	v_lshl_add_u32 v3, v5, 2, v3
	s_and_b64 s[40:41], s[10:11], s[0:1]
	s_and_saveexec_b64 s[8:9], s[40:41]
; %bb.54:
	ds_write_b32 v3, v10
; %bb.55:
	s_or_b64 exec, exec, s[8:9]
	v_cmp_ne_u32_e64 s[8:9], 0, v11
	s_and_b64 s[38:39], s[8:9], s[0:1]
	s_waitcnt lgkmcnt(0)
	s_barrier
	s_and_saveexec_b64 s[0:1], s[38:39]
	s_cbranch_execz .LBB117_57
; %bb.56:
	v_mov_b32_e32 v11, 0
	ds_read_b32 v11, v11 offset:524
	ds_read_b32 v12, v3
	s_waitcnt lgkmcnt(0)
	v_fmac_f32_e32 v10, v11, v12
.LBB117_57:
	s_or_b64 exec, exec, s[0:1]
	s_barrier
	s_and_saveexec_b64 s[0:1], s[38:39]
; %bb.58:
	ds_write_b32 v3, v10
; %bb.59:
	s_or_b64 exec, exec, s[0:1]
	s_waitcnt lgkmcnt(0)
	s_barrier
	s_barrier
	s_and_saveexec_b64 s[0:1], s[2:3]
; %bb.60:
	v_xor_b32_e32 v10, 0x80000000, v10
	ds_write_b32 v2, v10 offset:8
; %bb.61:
	s_or_b64 exec, exec, s[0:1]
	v_cmp_eq_u32_e64 s[12:13], 0, v1
	v_cmp_gt_u32_e64 s[8:9], 2, v0
	s_and_b64 s[42:43], s[12:13], s[8:9]
	s_waitcnt lgkmcnt(0)
	s_barrier
	s_barrier
	s_and_saveexec_b64 s[0:1], s[42:43]
	s_cbranch_execz .LBB117_63
; %bb.62:
	v_lshlrev_b32_e32 v10, 2, v0
	s_movk_i32 s8, 0xfc
	v_mad_u32_u24 v11, v0, s8, v10
	ds_read_b32 v12, v11 offset:8
	s_waitcnt lgkmcnt(0)
	ds_write_b32 v10, v12 offset:512
	ds_read_b32 v11, v11 offset:12
	s_waitcnt lgkmcnt(0)
	ds_write_b32 v10, v11 offset:768
.LBB117_63:
	s_or_b64 exec, exec, s[0:1]
	s_waitcnt lgkmcnt(0)
	s_barrier
	s_and_saveexec_b64 s[0:1], vcc
	s_cbranch_execz .LBB117_65
; %bb.64:
	v_mov_b32_e32 v12, 0
	ds_read_b32 v10, v12 offset:524
	v_mov_b32_e32 v11, 1.0
	ds_write_b32 v12, v11 offset:520
	s_waitcnt lgkmcnt(1)
	ds_write_b64 v12, v[10:11] offset:776
.LBB117_65:
	s_or_b64 exec, exec, s[0:1]
	v_and_b32_e32 v13, 3, v0
	v_lshrrev_b32_e32 v14, 2, v4
	v_lshlrev_b32_e32 v11, 2, v13
	v_cmp_lt_u32_e64 s[8:9], 15, v4
	v_cmp_gt_u32_e64 s[18:19], 16, v4
	v_lshl_or_b32 v10, v14, 8, v11
	v_mov_b32_e32 v15, 0
	s_waitcnt lgkmcnt(0)
	s_barrier
	s_and_saveexec_b64 s[0:1], s[18:19]
	s_cbranch_execz .LBB117_71
; %bb.66:
	v_mul_u32_u24_e32 v15, 0x104, v14
	ds_read_b32 v12, v10 offset:16
	ds_read_b32 v16, v15
	v_cmp_gt_u32_e64 s[10:11], 12, v4
	s_waitcnt lgkmcnt(0)
	v_fma_f32 v12, v12, v16, 0
	s_and_saveexec_b64 s[14:15], s[10:11]
	s_cbranch_execnz .LBB117_1170
; %bb.67:
	s_or_b64 exec, exec, s[14:15]
	v_cmp_gt_u32_e64 s[10:11], 8, v4
	s_and_saveexec_b64 s[14:15], s[10:11]
	s_cbranch_execnz .LBB117_1171
.LBB117_68:
	s_or_b64 exec, exec, s[14:15]
	v_cmp_gt_u32_e64 s[10:11], 4, v4
	s_and_saveexec_b64 s[14:15], s[10:11]
	s_cbranch_execz .LBB117_70
.LBB117_69:
	v_lshlrev_b32_e32 v15, 2, v0
	v_mov_b32_e32 v16, 0
	ds_read_b32 v15, v15 offset:784
	ds_read_b32 v16, v16 offset:12
	s_waitcnt lgkmcnt(0)
	v_fmac_f32_e32 v12, v15, v16
.LBB117_70:
	s_or_b64 exec, exec, s[14:15]
	v_xor_b32_e32 v15, 0x80000000, v12
.LBB117_71:
	s_or_b64 exec, exec, s[0:1]
	v_mov_b32_e32 v12, 0x4000
	v_cmp_eq_u32_e64 s[10:11], 0, v13
	s_xor_b64 s[0:1], s[8:9], -1
	v_lshl_add_u32 v12, v14, 2, v12
	s_and_b64 s[46:47], s[10:11], s[0:1]
	s_and_saveexec_b64 s[8:9], s[46:47]
; %bb.72:
	ds_write_b32 v12, v15
; %bb.73:
	s_or_b64 exec, exec, s[8:9]
	v_cmp_ne_u32_e64 s[8:9], 0, v13
	s_and_b64 s[48:49], s[8:9], s[0:1]
	s_waitcnt lgkmcnt(0)
	s_barrier
	s_and_saveexec_b64 s[8:9], s[48:49]
	s_cbranch_execz .LBB117_75
; %bb.74:
	ds_read_b32 v16, v11 offset:1040
	ds_read_b32 v17, v12
	s_waitcnt lgkmcnt(0)
	v_fmac_f32_e32 v15, v16, v17
.LBB117_75:
	s_or_b64 exec, exec, s[8:9]
	v_cmp_eq_u32_e64 s[8:9], 1, v13
	s_and_b64 s[50:51], s[8:9], s[0:1]
	s_barrier
	s_and_saveexec_b64 s[8:9], s[50:51]
; %bb.76:
	ds_write_b32 v12, v15
; %bb.77:
	s_or_b64 exec, exec, s[8:9]
	v_cmp_lt_u32_e64 s[8:9], 1, v13
	s_and_b64 s[52:53], s[8:9], s[0:1]
	s_waitcnt lgkmcnt(0)
	s_barrier
	s_and_saveexec_b64 s[8:9], s[52:53]
	s_cbranch_execz .LBB117_79
; %bb.78:
	ds_read_b32 v16, v11 offset:1296
	ds_read_b32 v17, v12
	s_waitcnt lgkmcnt(0)
	v_fmac_f32_e32 v15, v16, v17
.LBB117_79:
	s_or_b64 exec, exec, s[8:9]
	v_cmp_eq_u32_e64 s[8:9], 2, v13
	s_and_b64 s[54:55], s[8:9], s[0:1]
	s_barrier
	s_and_saveexec_b64 s[8:9], s[54:55]
; %bb.80:
	ds_write_b32 v12, v15
; %bb.81:
	s_or_b64 exec, exec, s[8:9]
	v_cmp_eq_u32_e64 s[8:9], 3, v13
	s_and_b64 s[44:45], s[8:9], s[0:1]
	s_waitcnt lgkmcnt(0)
	s_barrier
	s_and_saveexec_b64 s[0:1], s[44:45]
	s_cbranch_execz .LBB117_83
; %bb.82:
	v_mov_b32_e32 v16, 0
	ds_read_b32 v16, v16 offset:1564
	ds_read_b32 v17, v12
	s_waitcnt lgkmcnt(0)
	v_fmac_f32_e32 v15, v16, v17
.LBB117_83:
	s_or_b64 exec, exec, s[0:1]
	s_barrier
	s_and_saveexec_b64 s[0:1], s[44:45]
; %bb.84:
	ds_write_b32 v12, v15
; %bb.85:
	s_or_b64 exec, exec, s[0:1]
	s_waitcnt lgkmcnt(0)
	s_barrier
	s_barrier
	s_and_saveexec_b64 s[0:1], s[18:19]
; %bb.86:
	v_xor_b32_e32 v15, 0x80000000, v15
	ds_write_b32 v10, v15 offset:16
; %bb.87:
	s_or_b64 exec, exec, s[0:1]
	v_cmp_gt_u32_e64 s[8:9], 4, v0
	s_and_b64 s[56:57], s[12:13], s[8:9]
	s_waitcnt lgkmcnt(0)
	s_barrier
	s_barrier
	s_and_saveexec_b64 s[0:1], s[56:57]
	s_cbranch_execz .LBB117_89
; %bb.88:
	v_lshlrev_b32_e32 v15, 8, v0
	ds_read_b32 v16, v15 offset:16
	s_movk_i32 s8, 0xff04
	v_mad_i32_i24 v17, v0, s8, v15
	s_waitcnt lgkmcnt(0)
	ds_write_b32 v17, v16 offset:1024
	ds_read_b32 v16, v15 offset:20
	s_waitcnt lgkmcnt(0)
	ds_write_b32 v17, v16 offset:1280
	ds_read_b32 v16, v15 offset:24
	;; [unrolled: 3-line block ×3, first 2 shown]
	s_waitcnt lgkmcnt(0)
	ds_write_b32 v17, v15 offset:1792
.LBB117_89:
	s_or_b64 exec, exec, s[0:1]
	s_waitcnt lgkmcnt(0)
	s_barrier
	s_and_saveexec_b64 s[0:1], vcc
	s_cbranch_execz .LBB117_91
; %bb.90:
	v_mov_b32_e32 v17, 0
	ds_read_b32 v15, v17 offset:1044
	v_mov_b32_e32 v16, 1.0
	ds_write_b32 v17, v16 offset:1040
	s_waitcnt lgkmcnt(1)
	ds_write_b64 v17, v[15:16] offset:1296
.LBB117_91:
	s_or_b64 exec, exec, s[0:1]
	v_mov_b32_e32 v15, 0
	s_waitcnt lgkmcnt(0)
	s_barrier
	s_and_saveexec_b64 s[0:1], s[2:3]
	s_cbranch_execz .LBB117_95
; %bb.92:
	v_mul_u32_u24_e32 v15, 0x104, v5
	ds_read_b32 v17, v2 offset:1048
	ds_read_b32 v15, v15 offset:1040
	v_mov_b32_e32 v16, 0
	v_cmp_gt_u32_e64 s[8:9], 2, v4
	s_waitcnt lgkmcnt(0)
	v_fma_f32 v15, v17, v15, 0
	s_and_saveexec_b64 s[10:11], s[8:9]
	s_cbranch_execz .LBB117_94
; %bb.93:
	v_lshlrev_b32_e32 v17, 2, v0
	ds_read_b32 v17, v17 offset:1304
	ds_read_b32 v16, v16 offset:1044
	s_waitcnt lgkmcnt(0)
	v_fmac_f32_e32 v15, v17, v16
.LBB117_94:
	s_or_b64 exec, exec, s[10:11]
	v_xor_b32_e32 v15, 0x80000000, v15
.LBB117_95:
	s_or_b64 exec, exec, s[0:1]
	s_and_saveexec_b64 s[0:1], s[40:41]
; %bb.96:
	ds_write_b32 v3, v15
; %bb.97:
	s_or_b64 exec, exec, s[0:1]
	s_waitcnt lgkmcnt(0)
	s_barrier
	s_and_saveexec_b64 s[0:1], s[38:39]
	s_cbranch_execz .LBB117_99
; %bb.98:
	v_mov_b32_e32 v16, 0
	ds_read_b32 v16, v16 offset:1564
	ds_read_b32 v17, v3
	s_waitcnt lgkmcnt(0)
	v_fmac_f32_e32 v15, v16, v17
.LBB117_99:
	s_or_b64 exec, exec, s[0:1]
	s_barrier
	s_and_saveexec_b64 s[0:1], s[38:39]
; %bb.100:
	ds_write_b32 v3, v15
; %bb.101:
	s_or_b64 exec, exec, s[0:1]
	s_waitcnt lgkmcnt(0)
	s_barrier
	s_barrier
	s_and_saveexec_b64 s[0:1], s[2:3]
; %bb.102:
	v_xor_b32_e32 v15, 0x80000000, v15
	ds_write_b32 v2, v15 offset:1048
; %bb.103:
	s_or_b64 exec, exec, s[0:1]
	s_waitcnt lgkmcnt(0)
	s_barrier
	s_barrier
	s_and_saveexec_b64 s[0:1], s[42:43]
	s_cbranch_execz .LBB117_105
; %bb.104:
	v_lshlrev_b32_e32 v15, 2, v0
	s_movk_i32 s8, 0xfc
	v_mad_u32_u24 v16, v0, s8, v15
	ds_read_b32 v17, v16 offset:1048
	s_waitcnt lgkmcnt(0)
	ds_write_b32 v15, v17 offset:1552
	ds_read_b32 v16, v16 offset:1052
	s_waitcnt lgkmcnt(0)
	ds_write_b32 v15, v16 offset:1808
.LBB117_105:
	s_or_b64 exec, exec, s[0:1]
	s_waitcnt lgkmcnt(0)
	s_barrier
	s_and_saveexec_b64 s[0:1], vcc
	s_cbranch_execz .LBB117_107
; %bb.106:
	v_mov_b32_e32 v17, 0
	ds_read_b32 v15, v17 offset:1564
	v_mov_b32_e32 v16, 1.0
	ds_write_b32 v17, v16 offset:1560
	s_waitcnt lgkmcnt(1)
	ds_write_b64 v17, v[15:16] offset:1816
.LBB117_107:
	s_or_b64 exec, exec, s[0:1]
	v_and_b32_e32 v18, 7, v0
	v_lshrrev_b32_e32 v19, 3, v4
	v_lshlrev_b32_e32 v16, 2, v18
	v_cmp_lt_u32_e64 s[10:11], 63, v4
	v_cmp_gt_u32_e64 s[8:9], 64, v4
	v_lshl_or_b32 v15, v19, 8, v16
	v_mov_b32_e32 v20, 0
	s_waitcnt lgkmcnt(0)
	s_barrier
	s_and_saveexec_b64 s[0:1], s[8:9]
	s_cbranch_execz .LBB117_117
; %bb.108:
	v_mul_u32_u24_e32 v20, 0x104, v19
	ds_read_b32 v17, v15 offset:32
	ds_read_b32 v21, v20
	v_cmp_gt_u32_e64 s[14:15], 56, v4
	s_waitcnt lgkmcnt(0)
	v_fma_f32 v17, v17, v21, 0
	s_and_saveexec_b64 s[16:17], s[14:15]
	s_cbranch_execnz .LBB117_1172
; %bb.109:
	s_or_b64 exec, exec, s[16:17]
	v_cmp_gt_u32_e64 s[14:15], 48, v4
	s_and_saveexec_b64 s[16:17], s[14:15]
	s_cbranch_execnz .LBB117_1173
.LBB117_110:
	s_or_b64 exec, exec, s[16:17]
	v_cmp_gt_u32_e64 s[14:15], 40, v4
	s_and_saveexec_b64 s[16:17], s[14:15]
	s_cbranch_execnz .LBB117_1174
.LBB117_111:
	s_or_b64 exec, exec, s[16:17]
	v_cmp_gt_u32_e64 s[14:15], 32, v4
	s_and_saveexec_b64 s[16:17], s[14:15]
	s_cbranch_execnz .LBB117_1175
.LBB117_112:
	s_or_b64 exec, exec, s[16:17]
	v_cmp_gt_u32_e64 s[14:15], 24, v4
	s_and_saveexec_b64 s[16:17], s[14:15]
	s_cbranch_execnz .LBB117_1176
.LBB117_113:
	s_or_b64 exec, exec, s[16:17]
	v_cmp_gt_u32_e64 s[14:15], 16, v4
	s_and_saveexec_b64 s[16:17], s[14:15]
	s_cbranch_execnz .LBB117_1177
.LBB117_114:
	s_or_b64 exec, exec, s[16:17]
	v_cmp_gt_u32_e64 s[14:15], 8, v4
	s_and_saveexec_b64 s[16:17], s[14:15]
	s_cbranch_execz .LBB117_116
.LBB117_115:
	v_lshlrev_b32_e32 v20, 2, v0
	v_mov_b32_e32 v21, 0
	ds_read_b32 v20, v20 offset:1824
	ds_read_b32 v21, v21 offset:28
	s_waitcnt lgkmcnt(0)
	v_fmac_f32_e32 v17, v20, v21
.LBB117_116:
	s_or_b64 exec, exec, s[16:17]
	v_xor_b32_e32 v20, 0x80000000, v17
.LBB117_117:
	s_or_b64 exec, exec, s[0:1]
	v_mov_b32_e32 v17, 0x4000
	v_cmp_eq_u32_e64 s[14:15], 0, v18
	s_xor_b64 s[0:1], s[10:11], -1
	v_lshl_add_u32 v17, v19, 2, v17
	s_and_b64 s[58:59], s[14:15], s[0:1]
	s_and_saveexec_b64 s[10:11], s[58:59]
; %bb.118:
	ds_write_b32 v17, v20
; %bb.119:
	s_or_b64 exec, exec, s[10:11]
	v_cmp_ne_u32_e64 s[10:11], 0, v18
	s_and_b64 s[60:61], s[10:11], s[0:1]
	s_waitcnt lgkmcnt(0)
	s_barrier
	s_and_saveexec_b64 s[10:11], s[60:61]
	s_cbranch_execz .LBB117_121
; %bb.120:
	ds_read_b32 v21, v16 offset:2080
	ds_read_b32 v22, v17
	s_waitcnt lgkmcnt(0)
	v_fmac_f32_e32 v20, v21, v22
.LBB117_121:
	s_or_b64 exec, exec, s[10:11]
	v_cmp_eq_u32_e64 s[10:11], 1, v18
	s_and_b64 s[62:63], s[10:11], s[0:1]
	s_barrier
	s_and_saveexec_b64 s[10:11], s[62:63]
; %bb.122:
	ds_write_b32 v17, v20
; %bb.123:
	s_or_b64 exec, exec, s[10:11]
	v_cmp_lt_u32_e64 s[10:11], 1, v18
	s_and_b64 s[64:65], s[10:11], s[0:1]
	s_waitcnt lgkmcnt(0)
	s_barrier
	s_and_saveexec_b64 s[10:11], s[64:65]
	s_cbranch_execz .LBB117_125
; %bb.124:
	ds_read_b32 v21, v16 offset:2336
	ds_read_b32 v22, v17
	s_waitcnt lgkmcnt(0)
	v_fmac_f32_e32 v20, v21, v22
.LBB117_125:
	s_or_b64 exec, exec, s[10:11]
	v_cmp_eq_u32_e64 s[10:11], 2, v18
	s_and_b64 s[68:69], s[10:11], s[0:1]
	s_barrier
	s_and_saveexec_b64 s[10:11], s[68:69]
; %bb.126:
	ds_write_b32 v17, v20
; %bb.127:
	s_or_b64 exec, exec, s[10:11]
	v_cmp_lt_u32_e64 s[10:11], 2, v18
	s_and_b64 s[70:71], s[10:11], s[0:1]
	s_waitcnt lgkmcnt(0)
	s_barrier
	s_and_saveexec_b64 s[10:11], s[70:71]
	s_cbranch_execz .LBB117_129
; %bb.128:
	ds_read_b32 v21, v16 offset:2592
	ds_read_b32 v22, v17
	s_waitcnt lgkmcnt(0)
	v_fmac_f32_e32 v20, v21, v22
.LBB117_129:
	s_or_b64 exec, exec, s[10:11]
	v_cmp_eq_u32_e64 s[10:11], 3, v18
	s_and_b64 s[72:73], s[10:11], s[0:1]
	s_barrier
	s_and_saveexec_b64 s[10:11], s[72:73]
; %bb.130:
	ds_write_b32 v17, v20
; %bb.131:
	s_or_b64 exec, exec, s[10:11]
	v_cmp_lt_u32_e64 s[10:11], 3, v18
	s_and_b64 s[74:75], s[10:11], s[0:1]
	s_waitcnt lgkmcnt(0)
	s_barrier
	s_and_saveexec_b64 s[10:11], s[74:75]
	s_cbranch_execz .LBB117_133
; %bb.132:
	ds_read_b32 v21, v16 offset:2848
	ds_read_b32 v22, v17
	s_waitcnt lgkmcnt(0)
	v_fmac_f32_e32 v20, v21, v22
.LBB117_133:
	s_or_b64 exec, exec, s[10:11]
	v_cmp_eq_u32_e64 s[10:11], 4, v18
	s_and_b64 s[76:77], s[10:11], s[0:1]
	s_barrier
	s_and_saveexec_b64 s[10:11], s[76:77]
; %bb.134:
	ds_write_b32 v17, v20
; %bb.135:
	s_or_b64 exec, exec, s[10:11]
	v_cmp_lt_u32_e64 s[10:11], 4, v18
	s_and_b64 s[78:79], s[10:11], s[0:1]
	s_waitcnt lgkmcnt(0)
	s_barrier
	s_and_saveexec_b64 s[10:11], s[78:79]
	s_cbranch_execz .LBB117_137
; %bb.136:
	ds_read_b32 v21, v16 offset:3104
	ds_read_b32 v22, v17
	s_waitcnt lgkmcnt(0)
	v_fmac_f32_e32 v20, v21, v22
.LBB117_137:
	s_or_b64 exec, exec, s[10:11]
	v_cmp_eq_u32_e64 s[10:11], 5, v18
	s_and_b64 s[80:81], s[10:11], s[0:1]
	s_barrier
	s_and_saveexec_b64 s[10:11], s[80:81]
; %bb.138:
	ds_write_b32 v17, v20
; %bb.139:
	s_or_b64 exec, exec, s[10:11]
	v_cmp_lt_u32_e64 s[10:11], 5, v18
	s_and_b64 s[82:83], s[10:11], s[0:1]
	s_waitcnt lgkmcnt(0)
	s_barrier
	s_and_saveexec_b64 s[10:11], s[82:83]
	s_cbranch_execz .LBB117_141
; %bb.140:
	ds_read_b32 v21, v16 offset:3360
	ds_read_b32 v22, v17
	s_waitcnt lgkmcnt(0)
	v_fmac_f32_e32 v20, v21, v22
.LBB117_141:
	s_or_b64 exec, exec, s[10:11]
	v_cmp_eq_u32_e64 s[10:11], 6, v18
	s_and_b64 s[84:85], s[10:11], s[0:1]
	s_barrier
	s_and_saveexec_b64 s[10:11], s[84:85]
; %bb.142:
	ds_write_b32 v17, v20
; %bb.143:
	s_or_b64 exec, exec, s[10:11]
	v_cmp_eq_u32_e64 s[10:11], 7, v18
	s_and_b64 s[66:67], s[10:11], s[0:1]
	s_waitcnt lgkmcnt(0)
	s_barrier
	s_and_saveexec_b64 s[0:1], s[66:67]
	s_cbranch_execz .LBB117_145
; %bb.144:
	v_mov_b32_e32 v21, 0
	ds_read_b32 v21, v21 offset:3644
	ds_read_b32 v22, v17
	s_waitcnt lgkmcnt(0)
	v_fmac_f32_e32 v20, v21, v22
.LBB117_145:
	s_or_b64 exec, exec, s[0:1]
	s_barrier
	s_and_saveexec_b64 s[0:1], s[66:67]
; %bb.146:
	ds_write_b32 v17, v20
; %bb.147:
	s_or_b64 exec, exec, s[0:1]
	s_waitcnt lgkmcnt(0)
	s_barrier
	s_barrier
	s_and_saveexec_b64 s[0:1], s[8:9]
; %bb.148:
	v_xor_b32_e32 v20, 0x80000000, v20
	ds_write_b32 v15, v20 offset:32
; %bb.149:
	s_or_b64 exec, exec, s[0:1]
	v_cmp_gt_u32_e64 s[10:11], 8, v0
	s_and_b64 s[86:87], s[12:13], s[10:11]
	s_waitcnt lgkmcnt(0)
	s_barrier
	s_barrier
	s_and_saveexec_b64 s[0:1], s[86:87]
	s_cbranch_execz .LBB117_151
; %bb.150:
	v_lshlrev_b32_e32 v20, 8, v0
	ds_read_b32 v21, v20 offset:32
	s_movk_i32 s10, 0xff04
	v_mad_i32_i24 v22, v0, s10, v20
	s_waitcnt lgkmcnt(0)
	ds_write_b32 v22, v21 offset:2048
	ds_read_b32 v21, v20 offset:36
	s_waitcnt lgkmcnt(0)
	ds_write_b32 v22, v21 offset:2304
	ds_read_b32 v21, v20 offset:40
	s_waitcnt lgkmcnt(0)
	ds_write_b32 v22, v21 offset:2560
	ds_read_b32 v21, v20 offset:44
	s_waitcnt lgkmcnt(0)
	ds_write_b32 v22, v21 offset:2816
	ds_read_b32 v21, v20 offset:48
	s_waitcnt lgkmcnt(0)
	ds_write_b32 v22, v21 offset:3072
	ds_read_b32 v21, v20 offset:52
	s_waitcnt lgkmcnt(0)
	ds_write_b32 v22, v21 offset:3328
	ds_read_b32 v21, v20 offset:56
	s_waitcnt lgkmcnt(0)
	ds_write_b32 v22, v21 offset:3584
	ds_read_b32 v20, v20 offset:60
	s_waitcnt lgkmcnt(0)
	ds_write_b32 v22, v20 offset:3840
.LBB117_151:
	s_or_b64 exec, exec, s[0:1]
	s_waitcnt lgkmcnt(0)
	s_barrier
	s_and_saveexec_b64 s[0:1], vcc
	s_cbranch_execz .LBB117_153
; %bb.152:
	v_mov_b32_e32 v22, 0
	ds_read_b32 v20, v22 offset:2084
	v_mov_b32_e32 v21, 1.0
	ds_write_b32 v22, v21 offset:2080
	s_waitcnt lgkmcnt(1)
	ds_write_b64 v22, v[20:21] offset:2336
.LBB117_153:
	s_or_b64 exec, exec, s[0:1]
	v_mov_b32_e32 v20, 0
	s_waitcnt lgkmcnt(0)
	s_barrier
	s_and_saveexec_b64 s[0:1], s[2:3]
	s_cbranch_execz .LBB117_157
; %bb.154:
	v_mul_u32_u24_e32 v20, 0x104, v5
	ds_read_b32 v22, v2 offset:2088
	ds_read_b32 v20, v20 offset:2080
	v_mov_b32_e32 v21, 0
	v_cmp_gt_u32_e64 s[10:11], 2, v4
	s_waitcnt lgkmcnt(0)
	v_fma_f32 v20, v22, v20, 0
	s_and_saveexec_b64 s[14:15], s[10:11]
	s_cbranch_execz .LBB117_156
; %bb.155:
	v_lshlrev_b32_e32 v22, 2, v0
	ds_read_b32 v22, v22 offset:2344
	ds_read_b32 v21, v21 offset:2084
	s_waitcnt lgkmcnt(0)
	v_fmac_f32_e32 v20, v22, v21
.LBB117_156:
	s_or_b64 exec, exec, s[14:15]
	v_xor_b32_e32 v20, 0x80000000, v20
.LBB117_157:
	s_or_b64 exec, exec, s[0:1]
	s_and_saveexec_b64 s[0:1], s[40:41]
; %bb.158:
	ds_write_b32 v3, v20
; %bb.159:
	s_or_b64 exec, exec, s[0:1]
	s_waitcnt lgkmcnt(0)
	s_barrier
	s_and_saveexec_b64 s[0:1], s[38:39]
	s_cbranch_execz .LBB117_161
; %bb.160:
	v_mov_b32_e32 v21, 0
	ds_read_b32 v21, v21 offset:2604
	ds_read_b32 v22, v3
	s_waitcnt lgkmcnt(0)
	v_fmac_f32_e32 v20, v21, v22
.LBB117_161:
	s_or_b64 exec, exec, s[0:1]
	s_barrier
	s_and_saveexec_b64 s[0:1], s[38:39]
; %bb.162:
	ds_write_b32 v3, v20
; %bb.163:
	s_or_b64 exec, exec, s[0:1]
	s_waitcnt lgkmcnt(0)
	s_barrier
	s_barrier
	s_and_saveexec_b64 s[0:1], s[2:3]
; %bb.164:
	v_xor_b32_e32 v20, 0x80000000, v20
	ds_write_b32 v2, v20 offset:2088
; %bb.165:
	s_or_b64 exec, exec, s[0:1]
	s_waitcnt lgkmcnt(0)
	s_barrier
	s_barrier
	s_and_saveexec_b64 s[0:1], s[42:43]
	s_cbranch_execz .LBB117_167
; %bb.166:
	v_lshlrev_b32_e32 v20, 2, v0
	s_movk_i32 s10, 0xfc
	v_mad_u32_u24 v21, v0, s10, v20
	ds_read_b32 v22, v21 offset:2088
	s_waitcnt lgkmcnt(0)
	ds_write_b32 v20, v22 offset:2592
	ds_read_b32 v21, v21 offset:2092
	s_waitcnt lgkmcnt(0)
	ds_write_b32 v20, v21 offset:2848
.LBB117_167:
	s_or_b64 exec, exec, s[0:1]
	s_waitcnt lgkmcnt(0)
	s_barrier
	s_and_saveexec_b64 s[0:1], vcc
	s_cbranch_execz .LBB117_169
; %bb.168:
	v_mov_b32_e32 v22, 0
	ds_read_b32 v20, v22 offset:2604
	v_mov_b32_e32 v21, 1.0
	ds_write_b32 v22, v21 offset:2600
	s_waitcnt lgkmcnt(1)
	ds_write_b64 v22, v[20:21] offset:2856
.LBB117_169:
	s_or_b64 exec, exec, s[0:1]
	v_mov_b32_e32 v20, 0
	s_waitcnt lgkmcnt(0)
	s_barrier
	s_and_saveexec_b64 s[0:1], s[18:19]
	s_cbranch_execz .LBB117_175
; %bb.170:
	v_mul_u32_u24_e32 v21, 0x104, v14
	ds_read_b32 v20, v10 offset:2096
	ds_read_b32 v22, v21 offset:2080
	v_cmp_gt_u32_e64 s[10:11], 12, v4
	s_waitcnt lgkmcnt(0)
	v_fma_f32 v20, v20, v22, 0
	s_and_saveexec_b64 s[14:15], s[10:11]
	s_cbranch_execnz .LBB117_1178
; %bb.171:
	s_or_b64 exec, exec, s[14:15]
	v_cmp_gt_u32_e64 s[10:11], 8, v4
	s_and_saveexec_b64 s[14:15], s[10:11]
	s_cbranch_execnz .LBB117_1179
.LBB117_172:
	s_or_b64 exec, exec, s[14:15]
	v_cmp_gt_u32_e64 s[10:11], 4, v4
	s_and_saveexec_b64 s[14:15], s[10:11]
	s_cbranch_execz .LBB117_174
.LBB117_173:
	v_lshlrev_b32_e32 v21, 2, v0
	v_mov_b32_e32 v22, 0
	ds_read_b32 v21, v21 offset:2864
	ds_read_b32 v22, v22 offset:2092
	s_waitcnt lgkmcnt(0)
	v_fmac_f32_e32 v20, v21, v22
.LBB117_174:
	s_or_b64 exec, exec, s[14:15]
	v_xor_b32_e32 v20, 0x80000000, v20
.LBB117_175:
	s_or_b64 exec, exec, s[0:1]
	s_and_saveexec_b64 s[0:1], s[46:47]
; %bb.176:
	ds_write_b32 v12, v20
; %bb.177:
	s_or_b64 exec, exec, s[0:1]
	s_waitcnt lgkmcnt(0)
	s_barrier
	s_and_saveexec_b64 s[0:1], s[48:49]
	s_cbranch_execz .LBB117_179
; %bb.178:
	ds_read_b32 v21, v11 offset:3120
	ds_read_b32 v22, v12
	s_waitcnt lgkmcnt(0)
	v_fmac_f32_e32 v20, v21, v22
.LBB117_179:
	s_or_b64 exec, exec, s[0:1]
	s_barrier
	s_and_saveexec_b64 s[0:1], s[50:51]
; %bb.180:
	ds_write_b32 v12, v20
; %bb.181:
	s_or_b64 exec, exec, s[0:1]
	s_waitcnt lgkmcnt(0)
	s_barrier
	s_and_saveexec_b64 s[0:1], s[52:53]
	s_cbranch_execz .LBB117_183
; %bb.182:
	ds_read_b32 v21, v11 offset:3376
	ds_read_b32 v22, v12
	s_waitcnt lgkmcnt(0)
	v_fmac_f32_e32 v20, v21, v22
.LBB117_183:
	s_or_b64 exec, exec, s[0:1]
	s_barrier
	s_and_saveexec_b64 s[0:1], s[54:55]
; %bb.184:
	ds_write_b32 v12, v20
; %bb.185:
	s_or_b64 exec, exec, s[0:1]
	s_waitcnt lgkmcnt(0)
	s_barrier
	s_and_saveexec_b64 s[0:1], s[44:45]
	s_cbranch_execz .LBB117_187
; %bb.186:
	v_mov_b32_e32 v21, 0
	ds_read_b32 v21, v21 offset:3644
	ds_read_b32 v22, v12
	s_waitcnt lgkmcnt(0)
	v_fmac_f32_e32 v20, v21, v22
.LBB117_187:
	s_or_b64 exec, exec, s[0:1]
	s_barrier
	s_and_saveexec_b64 s[0:1], s[44:45]
; %bb.188:
	ds_write_b32 v12, v20
; %bb.189:
	s_or_b64 exec, exec, s[0:1]
	s_waitcnt lgkmcnt(0)
	s_barrier
	s_barrier
	s_and_saveexec_b64 s[0:1], s[18:19]
; %bb.190:
	v_xor_b32_e32 v20, 0x80000000, v20
	ds_write_b32 v10, v20 offset:2096
; %bb.191:
	s_or_b64 exec, exec, s[0:1]
	s_waitcnt lgkmcnt(0)
	s_barrier
	s_barrier
	s_and_saveexec_b64 s[0:1], s[56:57]
	s_cbranch_execz .LBB117_193
; %bb.192:
	v_lshlrev_b32_e32 v20, 8, v0
	ds_read_b32 v21, v20 offset:2096
	s_movk_i32 s10, 0xff04
	v_mad_i32_i24 v22, v0, s10, v20
	s_waitcnt lgkmcnt(0)
	ds_write_b32 v22, v21 offset:3104
	ds_read_b32 v21, v20 offset:2100
	s_waitcnt lgkmcnt(0)
	ds_write_b32 v22, v21 offset:3360
	ds_read_b32 v21, v20 offset:2104
	;; [unrolled: 3-line block ×3, first 2 shown]
	s_waitcnt lgkmcnt(0)
	ds_write_b32 v22, v20 offset:3872
.LBB117_193:
	s_or_b64 exec, exec, s[0:1]
	s_waitcnt lgkmcnt(0)
	s_barrier
	s_and_saveexec_b64 s[0:1], vcc
	s_cbranch_execz .LBB117_195
; %bb.194:
	v_mov_b32_e32 v22, 0
	ds_read_b32 v20, v22 offset:3124
	v_mov_b32_e32 v21, 1.0
	ds_write_b32 v22, v21 offset:3120
	s_waitcnt lgkmcnt(1)
	ds_write_b64 v22, v[20:21] offset:3376
.LBB117_195:
	s_or_b64 exec, exec, s[0:1]
	v_mov_b32_e32 v20, 0
	s_waitcnt lgkmcnt(0)
	s_barrier
	s_and_saveexec_b64 s[0:1], s[2:3]
	s_cbranch_execz .LBB117_199
; %bb.196:
	v_mul_u32_u24_e32 v20, 0x104, v5
	ds_read_b32 v22, v2 offset:3128
	ds_read_b32 v20, v20 offset:3120
	v_mov_b32_e32 v21, 0
	v_cmp_gt_u32_e64 s[10:11], 2, v4
	s_waitcnt lgkmcnt(0)
	v_fma_f32 v20, v22, v20, 0
	s_and_saveexec_b64 s[14:15], s[10:11]
	s_cbranch_execz .LBB117_198
; %bb.197:
	v_lshlrev_b32_e32 v22, 2, v0
	ds_read_b32 v22, v22 offset:3384
	ds_read_b32 v21, v21 offset:3124
	s_waitcnt lgkmcnt(0)
	v_fmac_f32_e32 v20, v22, v21
.LBB117_198:
	s_or_b64 exec, exec, s[14:15]
	v_xor_b32_e32 v20, 0x80000000, v20
.LBB117_199:
	s_or_b64 exec, exec, s[0:1]
	s_and_saveexec_b64 s[0:1], s[40:41]
; %bb.200:
	ds_write_b32 v3, v20
; %bb.201:
	s_or_b64 exec, exec, s[0:1]
	s_waitcnt lgkmcnt(0)
	s_barrier
	s_and_saveexec_b64 s[0:1], s[38:39]
	s_cbranch_execz .LBB117_203
; %bb.202:
	v_mov_b32_e32 v21, 0
	ds_read_b32 v21, v21 offset:3644
	ds_read_b32 v22, v3
	s_waitcnt lgkmcnt(0)
	v_fmac_f32_e32 v20, v21, v22
.LBB117_203:
	s_or_b64 exec, exec, s[0:1]
	s_barrier
	s_and_saveexec_b64 s[0:1], s[38:39]
; %bb.204:
	ds_write_b32 v3, v20
; %bb.205:
	s_or_b64 exec, exec, s[0:1]
	s_waitcnt lgkmcnt(0)
	s_barrier
	s_barrier
	s_and_saveexec_b64 s[0:1], s[2:3]
; %bb.206:
	v_xor_b32_e32 v20, 0x80000000, v20
	ds_write_b32 v2, v20 offset:3128
; %bb.207:
	s_or_b64 exec, exec, s[0:1]
	s_waitcnt lgkmcnt(0)
	s_barrier
	s_barrier
	s_and_saveexec_b64 s[0:1], s[42:43]
	s_cbranch_execz .LBB117_209
; %bb.208:
	v_lshlrev_b32_e32 v20, 2, v0
	s_movk_i32 s10, 0xfc
	v_mad_u32_u24 v21, v0, s10, v20
	ds_read_b32 v22, v21 offset:3128
	s_waitcnt lgkmcnt(0)
	ds_write_b32 v20, v22 offset:3632
	ds_read_b32 v21, v21 offset:3132
	s_waitcnt lgkmcnt(0)
	ds_write_b32 v20, v21 offset:3888
.LBB117_209:
	s_or_b64 exec, exec, s[0:1]
	s_waitcnt lgkmcnt(0)
	s_barrier
	s_and_saveexec_b64 s[0:1], vcc
	s_cbranch_execz .LBB117_211
; %bb.210:
	v_mov_b32_e32 v22, 0
	ds_read_b32 v20, v22 offset:3644
	v_mov_b32_e32 v21, 1.0
	ds_write_b32 v22, v21 offset:3640
	s_waitcnt lgkmcnt(1)
	ds_write_b64 v22, v[20:21] offset:3896
.LBB117_211:
	s_or_b64 exec, exec, s[0:1]
	v_lshrrev_b32_e32 v24, 4, v4
	v_and_b32_e32 v21, 15, v0
	s_movk_i32 s0, 0xff
	v_lshlrev_b32_e32 v23, 6, v24
	v_cmp_lt_u32_e64 s[14:15], s0, v4
	s_movk_i32 s0, 0x100
	v_or_b32_e32 v20, v23, v21
	v_cmp_gt_u32_e64 s[10:11], s0, v4
	v_lshlrev_b32_e32 v20, 2, v20
	v_mov_b32_e32 v25, 0
	s_waitcnt lgkmcnt(0)
	s_barrier
	s_and_saveexec_b64 s[0:1], s[10:11]
	s_cbranch_execz .LBB117_239
; %bb.212:
	v_mul_u32_u24_e32 v25, 0x104, v24
	ds_read_b32 v22, v20 offset:64
	ds_read_b32 v26, v25
	s_movk_i32 s16, 0xf0
	v_cmp_gt_u32_e64 s[16:17], s16, v4
	s_waitcnt lgkmcnt(0)
	v_fma_f32 v22, v22, v26, 0
	s_and_saveexec_b64 s[20:21], s[16:17]
	s_cbranch_execz .LBB117_214
; %bb.213:
	v_lshlrev_b32_e32 v26, 2, v24
	v_sub_u32_e32 v26, v25, v26
	v_lshl_add_u32 v26, v21, 2, v26
	ds_read_b32 v26, v26 offset:320
	ds_read_b32 v27, v25 offset:4
	s_waitcnt lgkmcnt(0)
	v_fmac_f32_e32 v22, v26, v27
.LBB117_214:
	s_or_b64 exec, exec, s[20:21]
	s_movk_i32 s16, 0xe0
	v_cmp_gt_u32_e64 s[16:17], s16, v4
	s_and_saveexec_b64 s[20:21], s[16:17]
	s_cbranch_execz .LBB117_216
; %bb.215:
	v_lshlrev_b32_e32 v26, 2, v24
	v_sub_u32_e32 v26, v25, v26
	v_lshl_add_u32 v26, v21, 2, v26
	ds_read_b32 v26, v26 offset:576
	ds_read_b32 v27, v25 offset:8
	s_waitcnt lgkmcnt(0)
	v_fmac_f32_e32 v22, v26, v27
.LBB117_216:
	s_or_b64 exec, exec, s[20:21]
	s_movk_i32 s16, 0xd0
	v_cmp_gt_u32_e64 s[16:17], s16, v4
	;; [unrolled: 14-line block ×7, first 2 shown]
	s_and_saveexec_b64 s[20:21], s[16:17]
	s_cbranch_execz .LBB117_228
; %bb.227:
	ds_read_b32 v26, v20 offset:2112
	ds_read_b32 v27, v25 offset:32
	s_waitcnt lgkmcnt(0)
	v_fmac_f32_e32 v22, v26, v27
.LBB117_228:
	s_or_b64 exec, exec, s[20:21]
	s_movk_i32 s16, 0x70
	v_cmp_gt_u32_e64 s[16:17], s16, v4
	s_and_saveexec_b64 s[20:21], s[16:17]
	s_cbranch_execz .LBB117_230
; %bb.229:
	v_lshlrev_b32_e32 v26, 2, v24
	v_sub_u32_e32 v26, v25, v26
	v_lshl_add_u32 v26, v21, 2, v26
	ds_read_b32 v26, v26 offset:2368
	ds_read_b32 v27, v25 offset:36
	s_waitcnt lgkmcnt(0)
	v_fmac_f32_e32 v22, v26, v27
.LBB117_230:
	s_or_b64 exec, exec, s[20:21]
	s_movk_i32 s16, 0x60
	v_cmp_gt_u32_e64 s[16:17], s16, v4
	s_and_saveexec_b64 s[20:21], s[16:17]
	s_cbranch_execz .LBB117_232
; %bb.231:
	v_lshlrev_b32_e32 v26, 2, v21
	v_lshl_add_u32 v26, v23, 2, v26
	ds_read_b32 v26, v26 offset:2624
	ds_read_b32 v27, v25 offset:40
	s_waitcnt lgkmcnt(0)
	v_fmac_f32_e32 v22, v26, v27
.LBB117_232:
	s_or_b64 exec, exec, s[20:21]
	s_movk_i32 s16, 0x50
	v_cmp_gt_u32_e64 s[16:17], s16, v4
	s_and_saveexec_b64 s[20:21], s[16:17]
	s_cbranch_execnz .LBB117_1180
; %bb.233:
	s_or_b64 exec, exec, s[20:21]
	v_cmp_gt_u32_e64 s[16:17], 64, v4
	s_and_saveexec_b64 s[20:21], s[16:17]
	s_cbranch_execnz .LBB117_1181
.LBB117_234:
	s_or_b64 exec, exec, s[20:21]
	v_cmp_gt_u32_e64 s[16:17], 48, v4
	s_and_saveexec_b64 s[20:21], s[16:17]
	s_cbranch_execnz .LBB117_1182
.LBB117_235:
	s_or_b64 exec, exec, s[20:21]
	v_cmp_gt_u32_e64 s[16:17], 32, v4
	s_and_saveexec_b64 s[20:21], s[16:17]
	s_cbranch_execnz .LBB117_1183
.LBB117_236:
	s_or_b64 exec, exec, s[20:21]
	v_cmp_gt_u32_e64 s[16:17], 16, v4
	s_and_saveexec_b64 s[20:21], s[16:17]
	s_cbranch_execz .LBB117_238
.LBB117_237:
	v_lshlrev_b32_e32 v25, 2, v0
	v_mov_b32_e32 v26, 0
	ds_read_b32 v25, v25 offset:3904
	ds_read_b32 v26, v26 offset:60
	s_waitcnt lgkmcnt(0)
	v_fmac_f32_e32 v22, v25, v26
.LBB117_238:
	s_or_b64 exec, exec, s[20:21]
	v_xor_b32_e32 v25, 0x80000000, v22
.LBB117_239:
	s_or_b64 exec, exec, s[0:1]
	v_mov_b32_e32 v22, 0x4000
	v_lshl_add_u32 v22, v24, 2, v22
	v_cmp_eq_u32_e64 s[16:17], 0, v21
	s_xor_b64 s[20:21], s[14:15], -1
	s_and_b64 s[14:15], s[16:17], s[20:21]
	s_mov_b64 s[0:1], exec
	v_writelane_b32 v33, s14, 2
	v_writelane_b32 v33, s15, 3
	s_and_b64 s[14:15], s[0:1], s[14:15]
	s_mov_b64 exec, s[14:15]
; %bb.240:
	ds_write_b32 v22, v25
; %bb.241:
	s_or_b64 exec, exec, s[0:1]
	v_cmp_ne_u32_e64 s[14:15], 0, v21
	s_waitcnt lgkmcnt(0)
	s_barrier
	s_and_b64 s[14:15], s[14:15], s[20:21]
	s_mov_b64 s[0:1], exec
	v_writelane_b32 v33, s14, 4
	v_writelane_b32 v33, s15, 5
	s_and_b64 s[14:15], s[0:1], s[14:15]
	s_mov_b64 exec, s[14:15]
	s_cbranch_execz .LBB117_243
; %bb.242:
	v_lshlrev_b32_e32 v26, 2, v21
	ds_read_b32 v26, v26 offset:4160
	ds_read_b32 v27, v22
	s_waitcnt lgkmcnt(0)
	v_fmac_f32_e32 v25, v26, v27
.LBB117_243:
	s_or_b64 exec, exec, s[0:1]
	v_cmp_eq_u32_e64 s[14:15], 1, v21
	s_barrier
	s_and_b64 s[14:15], s[14:15], s[20:21]
	s_mov_b64 s[0:1], exec
	v_writelane_b32 v33, s14, 6
	v_writelane_b32 v33, s15, 7
	s_and_b64 s[14:15], s[0:1], s[14:15]
	s_mov_b64 exec, s[14:15]
; %bb.244:
	ds_write_b32 v22, v25
; %bb.245:
	s_or_b64 exec, exec, s[0:1]
	v_cmp_lt_u32_e64 s[14:15], 1, v21
	s_waitcnt lgkmcnt(0)
	s_barrier
	s_and_b64 s[14:15], s[14:15], s[20:21]
	s_mov_b64 s[0:1], exec
	v_writelane_b32 v33, s14, 8
	v_writelane_b32 v33, s15, 9
	s_and_b64 s[14:15], s[0:1], s[14:15]
	s_mov_b64 exec, s[14:15]
	s_cbranch_execz .LBB117_247
; %bb.246:
	v_lshlrev_b32_e32 v26, 2, v21
	ds_read_b32 v26, v26 offset:4416
	ds_read_b32 v27, v22
	s_waitcnt lgkmcnt(0)
	v_fmac_f32_e32 v25, v26, v27
.LBB117_247:
	s_or_b64 exec, exec, s[0:1]
	v_cmp_eq_u32_e64 s[14:15], 2, v21
	s_barrier
	s_and_b64 s[14:15], s[14:15], s[20:21]
	s_mov_b64 s[0:1], exec
	v_writelane_b32 v33, s14, 10
	v_writelane_b32 v33, s15, 11
	s_and_b64 s[14:15], s[0:1], s[14:15]
	s_mov_b64 exec, s[14:15]
; %bb.248:
	ds_write_b32 v22, v25
; %bb.249:
	s_or_b64 exec, exec, s[0:1]
	v_cmp_lt_u32_e64 s[14:15], 2, v21
	;; [unrolled: 30-line block ×13, first 2 shown]
	s_and_b64 s[0:1], s[14:15], s[20:21]
	s_waitcnt lgkmcnt(0)
	s_barrier
	s_and_saveexec_b64 s[14:15], s[0:1]
	s_cbranch_execz .LBB117_295
; %bb.294:
	v_lshlrev_b32_e32 v26, 2, v21
	ds_read_b32 v26, v26 offset:7488
	ds_read_b32 v27, v22
	s_waitcnt lgkmcnt(0)
	v_fmac_f32_e32 v25, v26, v27
.LBB117_295:
	s_or_b64 exec, exec, s[14:15]
	v_cmp_eq_u32_e64 s[14:15], 14, v21
	s_barrier
	s_and_b64 s[16:17], s[14:15], s[20:21]
	s_mov_b64 s[14:15], exec
	v_writelane_b32 v33, s16, 56
	v_writelane_b32 v33, s17, 57
	s_and_b64 s[16:17], s[14:15], s[16:17]
	s_mov_b64 exec, s[16:17]
; %bb.296:
	ds_write_b32 v22, v25
; %bb.297:
	s_or_b64 exec, exec, s[14:15]
	v_cmp_eq_u32_e64 s[14:15], 15, v21
	s_and_b64 s[92:93], s[14:15], s[20:21]
	s_waitcnt lgkmcnt(0)
	s_barrier
	s_and_saveexec_b64 s[14:15], s[92:93]
	s_cbranch_execz .LBB117_299
; %bb.298:
	v_mov_b32_e32 v26, 0
	ds_read_b32 v26, v26 offset:7804
	ds_read_b32 v27, v22
	s_waitcnt lgkmcnt(0)
	v_fmac_f32_e32 v25, v26, v27
.LBB117_299:
	s_or_b64 exec, exec, s[14:15]
	s_barrier
	s_and_saveexec_b64 s[14:15], s[92:93]
; %bb.300:
	ds_write_b32 v22, v25
; %bb.301:
	s_or_b64 exec, exec, s[14:15]
	s_waitcnt lgkmcnt(0)
	s_barrier
	s_barrier
	s_and_saveexec_b64 s[14:15], s[10:11]
; %bb.302:
	v_xor_b32_e32 v25, 0x80000000, v25
	ds_write_b32 v20, v25 offset:64
; %bb.303:
	s_or_b64 exec, exec, s[14:15]
	v_cmp_gt_u32_e64 s[14:15], 16, v0
	s_waitcnt lgkmcnt(0)
	s_barrier
	s_barrier
	s_and_b64 s[16:17], s[12:13], s[14:15]
	s_mov_b64 s[14:15], exec
	v_writelane_b32 v33, s16, 58
	v_writelane_b32 v33, s17, 59
	s_and_b64 s[16:17], s[14:15], s[16:17]
	s_mov_b64 exec, s[16:17]
	s_cbranch_execz .LBB117_305
; %bb.304:
	v_lshlrev_b32_e32 v25, 8, v0
	ds_read_b32 v26, v25 offset:64
	s_movk_i32 s16, 0xff04
	v_mad_i32_i24 v27, v0, s16, v25
	s_waitcnt lgkmcnt(0)
	ds_write_b32 v27, v26 offset:4096
	ds_read_b32 v26, v25 offset:68
	s_waitcnt lgkmcnt(0)
	ds_write_b32 v27, v26 offset:4352
	ds_read_b32 v26, v25 offset:72
	;; [unrolled: 3-line block ×15, first 2 shown]
	s_waitcnt lgkmcnt(0)
	ds_write_b32 v27, v25 offset:7936
.LBB117_305:
	s_or_b64 exec, exec, s[14:15]
	s_waitcnt lgkmcnt(0)
	s_barrier
	s_and_saveexec_b64 s[14:15], vcc
	s_cbranch_execz .LBB117_307
; %bb.306:
	v_mov_b32_e32 v27, 0
	ds_read_b32 v25, v27 offset:4164
	v_mov_b32_e32 v26, 1.0
	ds_write_b32 v27, v26 offset:4160
	s_waitcnt lgkmcnt(1)
	ds_write_b64 v27, v[25:26] offset:4416
.LBB117_307:
	s_or_b64 exec, exec, s[14:15]
	v_mov_b32_e32 v25, 0
	s_waitcnt lgkmcnt(0)
	s_barrier
	s_and_saveexec_b64 s[16:17], s[2:3]
	s_cbranch_execz .LBB117_311
; %bb.308:
	v_mul_u32_u24_e32 v25, 0x104, v5
	ds_read_b32 v27, v2 offset:4168
	ds_read_b32 v25, v25 offset:4160
	v_mov_b32_e32 v26, 0
	v_cmp_gt_u32_e64 s[14:15], 2, v4
	s_waitcnt lgkmcnt(0)
	v_fma_f32 v25, v27, v25, 0
	s_and_saveexec_b64 s[20:21], s[14:15]
	s_cbranch_execz .LBB117_310
; %bb.309:
	v_lshlrev_b32_e32 v27, 2, v0
	ds_read_b32 v27, v27 offset:4424
	ds_read_b32 v26, v26 offset:4164
	s_waitcnt lgkmcnt(0)
	v_fmac_f32_e32 v25, v27, v26
.LBB117_310:
	s_or_b64 exec, exec, s[20:21]
	v_xor_b32_e32 v25, 0x80000000, v25
.LBB117_311:
	s_or_b64 exec, exec, s[16:17]
	s_and_saveexec_b64 s[14:15], s[40:41]
; %bb.312:
	ds_write_b32 v3, v25
; %bb.313:
	s_or_b64 exec, exec, s[14:15]
	s_waitcnt lgkmcnt(0)
	s_barrier
	s_and_saveexec_b64 s[14:15], s[38:39]
	s_cbranch_execz .LBB117_315
; %bb.314:
	v_mov_b32_e32 v26, 0
	ds_read_b32 v26, v26 offset:4684
	ds_read_b32 v27, v3
	s_waitcnt lgkmcnt(0)
	v_fmac_f32_e32 v25, v26, v27
.LBB117_315:
	s_or_b64 exec, exec, s[14:15]
	s_barrier
	s_and_saveexec_b64 s[14:15], s[38:39]
; %bb.316:
	ds_write_b32 v3, v25
; %bb.317:
	s_or_b64 exec, exec, s[14:15]
	s_waitcnt lgkmcnt(0)
	s_barrier
	s_barrier
	s_and_saveexec_b64 s[14:15], s[2:3]
; %bb.318:
	v_xor_b32_e32 v25, 0x80000000, v25
	ds_write_b32 v2, v25 offset:4168
; %bb.319:
	s_or_b64 exec, exec, s[14:15]
	s_waitcnt lgkmcnt(0)
	s_barrier
	s_barrier
	s_and_saveexec_b64 s[14:15], s[42:43]
	s_cbranch_execz .LBB117_321
; %bb.320:
	v_lshlrev_b32_e32 v25, 2, v0
	s_movk_i32 s16, 0xfc
	v_mad_u32_u24 v26, v0, s16, v25
	ds_read_b32 v27, v26 offset:4168
	s_waitcnt lgkmcnt(0)
	ds_write_b32 v25, v27 offset:4672
	ds_read_b32 v26, v26 offset:4172
	s_waitcnt lgkmcnt(0)
	ds_write_b32 v25, v26 offset:4928
.LBB117_321:
	s_or_b64 exec, exec, s[14:15]
	s_waitcnt lgkmcnt(0)
	s_barrier
	s_and_saveexec_b64 s[14:15], vcc
	s_cbranch_execz .LBB117_323
; %bb.322:
	v_mov_b32_e32 v27, 0
	ds_read_b32 v25, v27 offset:4684
	v_mov_b32_e32 v26, 1.0
	ds_write_b32 v27, v26 offset:4680
	s_waitcnt lgkmcnt(1)
	ds_write_b64 v27, v[25:26] offset:4936
.LBB117_323:
	s_or_b64 exec, exec, s[14:15]
	v_mov_b32_e32 v25, 0
	s_waitcnt lgkmcnt(0)
	s_barrier
	s_and_saveexec_b64 s[16:17], s[18:19]
	s_cbranch_execz .LBB117_329
; %bb.324:
	v_mul_u32_u24_e32 v26, 0x104, v14
	ds_read_b32 v25, v10 offset:4176
	ds_read_b32 v27, v26 offset:4160
	v_cmp_gt_u32_e64 s[14:15], 12, v4
	s_waitcnt lgkmcnt(0)
	v_fma_f32 v25, v25, v27, 0
	s_and_saveexec_b64 s[20:21], s[14:15]
	s_cbranch_execnz .LBB117_1184
; %bb.325:
	s_or_b64 exec, exec, s[20:21]
	v_cmp_gt_u32_e64 s[14:15], 8, v4
	s_and_saveexec_b64 s[20:21], s[14:15]
	s_cbranch_execnz .LBB117_1185
.LBB117_326:
	s_or_b64 exec, exec, s[20:21]
	v_cmp_gt_u32_e64 s[14:15], 4, v4
	s_and_saveexec_b64 s[20:21], s[14:15]
	s_cbranch_execz .LBB117_328
.LBB117_327:
	v_lshlrev_b32_e32 v26, 2, v0
	v_mov_b32_e32 v27, 0
	ds_read_b32 v26, v26 offset:4944
	ds_read_b32 v27, v27 offset:4172
	s_waitcnt lgkmcnt(0)
	v_fmac_f32_e32 v25, v26, v27
.LBB117_328:
	s_or_b64 exec, exec, s[20:21]
	v_xor_b32_e32 v25, 0x80000000, v25
.LBB117_329:
	s_or_b64 exec, exec, s[16:17]
	s_and_saveexec_b64 s[14:15], s[46:47]
; %bb.330:
	ds_write_b32 v12, v25
; %bb.331:
	s_or_b64 exec, exec, s[14:15]
	s_waitcnt lgkmcnt(0)
	s_barrier
	s_and_saveexec_b64 s[14:15], s[48:49]
	s_cbranch_execz .LBB117_333
; %bb.332:
	ds_read_b32 v26, v11 offset:5200
	ds_read_b32 v27, v12
	s_waitcnt lgkmcnt(0)
	v_fmac_f32_e32 v25, v26, v27
.LBB117_333:
	s_or_b64 exec, exec, s[14:15]
	s_barrier
	s_and_saveexec_b64 s[14:15], s[50:51]
; %bb.334:
	ds_write_b32 v12, v25
; %bb.335:
	s_or_b64 exec, exec, s[14:15]
	s_waitcnt lgkmcnt(0)
	s_barrier
	s_and_saveexec_b64 s[14:15], s[52:53]
	s_cbranch_execz .LBB117_337
; %bb.336:
	ds_read_b32 v26, v11 offset:5456
	ds_read_b32 v27, v12
	s_waitcnt lgkmcnt(0)
	v_fmac_f32_e32 v25, v26, v27
.LBB117_337:
	s_or_b64 exec, exec, s[14:15]
	s_barrier
	s_and_saveexec_b64 s[14:15], s[54:55]
; %bb.338:
	ds_write_b32 v12, v25
; %bb.339:
	s_or_b64 exec, exec, s[14:15]
	s_waitcnt lgkmcnt(0)
	s_barrier
	s_and_saveexec_b64 s[14:15], s[44:45]
	s_cbranch_execz .LBB117_341
; %bb.340:
	v_mov_b32_e32 v26, 0
	ds_read_b32 v26, v26 offset:5724
	ds_read_b32 v27, v12
	s_waitcnt lgkmcnt(0)
	v_fmac_f32_e32 v25, v26, v27
.LBB117_341:
	s_or_b64 exec, exec, s[14:15]
	s_barrier
	s_and_saveexec_b64 s[14:15], s[44:45]
; %bb.342:
	ds_write_b32 v12, v25
; %bb.343:
	s_or_b64 exec, exec, s[14:15]
	s_waitcnt lgkmcnt(0)
	s_barrier
	s_barrier
	s_and_saveexec_b64 s[14:15], s[18:19]
; %bb.344:
	v_xor_b32_e32 v25, 0x80000000, v25
	ds_write_b32 v10, v25 offset:4176
; %bb.345:
	s_or_b64 exec, exec, s[14:15]
	s_waitcnt lgkmcnt(0)
	s_barrier
	s_barrier
	s_and_saveexec_b64 s[14:15], s[56:57]
	s_cbranch_execz .LBB117_347
; %bb.346:
	v_lshlrev_b32_e32 v25, 8, v0
	ds_read_b32 v26, v25 offset:4176
	s_movk_i32 s16, 0xff04
	v_mad_i32_i24 v27, v0, s16, v25
	s_waitcnt lgkmcnt(0)
	ds_write_b32 v27, v26 offset:5184
	ds_read_b32 v26, v25 offset:4180
	s_waitcnt lgkmcnt(0)
	ds_write_b32 v27, v26 offset:5440
	ds_read_b32 v26, v25 offset:4184
	;; [unrolled: 3-line block ×3, first 2 shown]
	s_waitcnt lgkmcnt(0)
	ds_write_b32 v27, v25 offset:5952
.LBB117_347:
	s_or_b64 exec, exec, s[14:15]
	s_waitcnt lgkmcnt(0)
	s_barrier
	s_and_saveexec_b64 s[14:15], vcc
	s_cbranch_execz .LBB117_349
; %bb.348:
	v_mov_b32_e32 v27, 0
	ds_read_b32 v25, v27 offset:5204
	v_mov_b32_e32 v26, 1.0
	ds_write_b32 v27, v26 offset:5200
	s_waitcnt lgkmcnt(1)
	ds_write_b64 v27, v[25:26] offset:5456
.LBB117_349:
	s_or_b64 exec, exec, s[14:15]
	v_mov_b32_e32 v25, 0
	s_waitcnt lgkmcnt(0)
	s_barrier
	s_and_saveexec_b64 s[16:17], s[2:3]
	s_cbranch_execz .LBB117_353
; %bb.350:
	v_mul_u32_u24_e32 v25, 0x104, v5
	ds_read_b32 v27, v2 offset:5208
	ds_read_b32 v25, v25 offset:5200
	v_mov_b32_e32 v26, 0
	v_cmp_gt_u32_e64 s[14:15], 2, v4
	s_waitcnt lgkmcnt(0)
	v_fma_f32 v25, v27, v25, 0
	s_and_saveexec_b64 s[20:21], s[14:15]
	s_cbranch_execz .LBB117_352
; %bb.351:
	v_lshlrev_b32_e32 v27, 2, v0
	ds_read_b32 v27, v27 offset:5464
	ds_read_b32 v26, v26 offset:5204
	s_waitcnt lgkmcnt(0)
	v_fmac_f32_e32 v25, v27, v26
.LBB117_352:
	s_or_b64 exec, exec, s[20:21]
	v_xor_b32_e32 v25, 0x80000000, v25
.LBB117_353:
	s_or_b64 exec, exec, s[16:17]
	s_and_saveexec_b64 s[14:15], s[40:41]
; %bb.354:
	ds_write_b32 v3, v25
; %bb.355:
	s_or_b64 exec, exec, s[14:15]
	s_waitcnt lgkmcnt(0)
	s_barrier
	s_and_saveexec_b64 s[14:15], s[38:39]
	s_cbranch_execz .LBB117_357
; %bb.356:
	v_mov_b32_e32 v26, 0
	ds_read_b32 v26, v26 offset:5724
	ds_read_b32 v27, v3
	s_waitcnt lgkmcnt(0)
	v_fmac_f32_e32 v25, v26, v27
.LBB117_357:
	s_or_b64 exec, exec, s[14:15]
	s_barrier
	s_and_saveexec_b64 s[14:15], s[38:39]
; %bb.358:
	ds_write_b32 v3, v25
; %bb.359:
	s_or_b64 exec, exec, s[14:15]
	s_waitcnt lgkmcnt(0)
	s_barrier
	s_barrier
	s_and_saveexec_b64 s[14:15], s[2:3]
; %bb.360:
	v_xor_b32_e32 v25, 0x80000000, v25
	ds_write_b32 v2, v25 offset:5208
; %bb.361:
	s_or_b64 exec, exec, s[14:15]
	s_waitcnt lgkmcnt(0)
	s_barrier
	s_barrier
	s_and_saveexec_b64 s[14:15], s[42:43]
	s_cbranch_execz .LBB117_363
; %bb.362:
	v_lshlrev_b32_e32 v25, 2, v0
	s_movk_i32 s16, 0xfc
	v_mad_u32_u24 v26, v0, s16, v25
	ds_read_b32 v27, v26 offset:5208
	s_waitcnt lgkmcnt(0)
	ds_write_b32 v25, v27 offset:5712
	ds_read_b32 v26, v26 offset:5212
	s_waitcnt lgkmcnt(0)
	ds_write_b32 v25, v26 offset:5968
.LBB117_363:
	s_or_b64 exec, exec, s[14:15]
	s_waitcnt lgkmcnt(0)
	s_barrier
	s_and_saveexec_b64 s[14:15], vcc
	s_cbranch_execz .LBB117_365
; %bb.364:
	v_mov_b32_e32 v27, 0
	ds_read_b32 v25, v27 offset:5724
	v_mov_b32_e32 v26, 1.0
	ds_write_b32 v27, v26 offset:5720
	s_waitcnt lgkmcnt(1)
	ds_write_b64 v27, v[25:26] offset:5976
.LBB117_365:
	s_or_b64 exec, exec, s[14:15]
	v_mov_b32_e32 v25, 0
	s_waitcnt lgkmcnt(0)
	s_barrier
	s_and_saveexec_b64 s[16:17], s[8:9]
	s_cbranch_execz .LBB117_375
; %bb.366:
	v_mul_u32_u24_e32 v26, 0x104, v19
	ds_read_b32 v25, v15 offset:4192
	ds_read_b32 v27, v26 offset:4160
	v_cmp_gt_u32_e64 s[14:15], 56, v4
	s_waitcnt lgkmcnt(0)
	v_fma_f32 v25, v25, v27, 0
	s_and_saveexec_b64 s[20:21], s[14:15]
	s_cbranch_execnz .LBB117_1186
; %bb.367:
	s_or_b64 exec, exec, s[20:21]
	v_cmp_gt_u32_e64 s[14:15], 48, v4
	s_and_saveexec_b64 s[20:21], s[14:15]
	s_cbranch_execnz .LBB117_1187
.LBB117_368:
	s_or_b64 exec, exec, s[20:21]
	v_cmp_gt_u32_e64 s[14:15], 40, v4
	s_and_saveexec_b64 s[20:21], s[14:15]
	s_cbranch_execnz .LBB117_1188
.LBB117_369:
	s_or_b64 exec, exec, s[20:21]
	v_cmp_gt_u32_e64 s[14:15], 32, v4
	s_and_saveexec_b64 s[20:21], s[14:15]
	s_cbranch_execnz .LBB117_1189
.LBB117_370:
	s_or_b64 exec, exec, s[20:21]
	v_cmp_gt_u32_e64 s[14:15], 24, v4
	s_and_saveexec_b64 s[20:21], s[14:15]
	s_cbranch_execnz .LBB117_1190
.LBB117_371:
	s_or_b64 exec, exec, s[20:21]
	v_cmp_gt_u32_e64 s[14:15], 16, v4
	s_and_saveexec_b64 s[20:21], s[14:15]
	s_cbranch_execnz .LBB117_1191
.LBB117_372:
	s_or_b64 exec, exec, s[20:21]
	v_cmp_gt_u32_e64 s[14:15], 8, v4
	s_and_saveexec_b64 s[20:21], s[14:15]
	s_cbranch_execz .LBB117_374
.LBB117_373:
	v_lshlrev_b32_e32 v26, 2, v0
	v_mov_b32_e32 v27, 0
	ds_read_b32 v26, v26 offset:5984
	ds_read_b32 v27, v27 offset:4188
	s_waitcnt lgkmcnt(0)
	v_fmac_f32_e32 v25, v26, v27
.LBB117_374:
	s_or_b64 exec, exec, s[20:21]
	v_xor_b32_e32 v25, 0x80000000, v25
.LBB117_375:
	s_or_b64 exec, exec, s[16:17]
	s_and_saveexec_b64 s[14:15], s[58:59]
; %bb.376:
	ds_write_b32 v17, v25
; %bb.377:
	s_or_b64 exec, exec, s[14:15]
	s_waitcnt lgkmcnt(0)
	s_barrier
	s_and_saveexec_b64 s[14:15], s[60:61]
	s_cbranch_execz .LBB117_379
; %bb.378:
	ds_read_b32 v26, v16 offset:6240
	ds_read_b32 v27, v17
	s_waitcnt lgkmcnt(0)
	v_fmac_f32_e32 v25, v26, v27
.LBB117_379:
	s_or_b64 exec, exec, s[14:15]
	s_barrier
	s_and_saveexec_b64 s[14:15], s[62:63]
; %bb.380:
	ds_write_b32 v17, v25
; %bb.381:
	s_or_b64 exec, exec, s[14:15]
	s_waitcnt lgkmcnt(0)
	s_barrier
	s_and_saveexec_b64 s[14:15], s[64:65]
	s_cbranch_execz .LBB117_383
; %bb.382:
	ds_read_b32 v26, v16 offset:6496
	ds_read_b32 v27, v17
	s_waitcnt lgkmcnt(0)
	v_fmac_f32_e32 v25, v26, v27
.LBB117_383:
	s_or_b64 exec, exec, s[14:15]
	s_barrier
	;; [unrolled: 17-line block ×6, first 2 shown]
	s_and_saveexec_b64 s[14:15], s[84:85]
; %bb.400:
	ds_write_b32 v17, v25
; %bb.401:
	s_or_b64 exec, exec, s[14:15]
	s_waitcnt lgkmcnt(0)
	s_barrier
	s_and_saveexec_b64 s[14:15], s[66:67]
	s_cbranch_execz .LBB117_403
; %bb.402:
	v_mov_b32_e32 v26, 0
	ds_read_b32 v26, v26 offset:7804
	ds_read_b32 v27, v17
	s_waitcnt lgkmcnt(0)
	v_fmac_f32_e32 v25, v26, v27
.LBB117_403:
	s_or_b64 exec, exec, s[14:15]
	s_barrier
	s_and_saveexec_b64 s[14:15], s[66:67]
; %bb.404:
	ds_write_b32 v17, v25
; %bb.405:
	s_or_b64 exec, exec, s[14:15]
	s_waitcnt lgkmcnt(0)
	s_barrier
	s_barrier
	s_and_saveexec_b64 s[14:15], s[8:9]
; %bb.406:
	v_xor_b32_e32 v25, 0x80000000, v25
	ds_write_b32 v15, v25 offset:4192
; %bb.407:
	s_or_b64 exec, exec, s[14:15]
	s_waitcnt lgkmcnt(0)
	s_barrier
	s_barrier
	s_and_saveexec_b64 s[14:15], s[86:87]
	s_cbranch_execz .LBB117_409
; %bb.408:
	v_lshlrev_b32_e32 v25, 8, v0
	ds_read_b32 v26, v25 offset:4192
	s_movk_i32 s16, 0xff04
	v_mad_i32_i24 v27, v0, s16, v25
	s_waitcnt lgkmcnt(0)
	ds_write_b32 v27, v26 offset:6208
	ds_read_b32 v26, v25 offset:4196
	s_waitcnt lgkmcnt(0)
	ds_write_b32 v27, v26 offset:6464
	ds_read_b32 v26, v25 offset:4200
	;; [unrolled: 3-line block ×7, first 2 shown]
	s_waitcnt lgkmcnt(0)
	ds_write_b32 v27, v25 offset:8000
.LBB117_409:
	s_or_b64 exec, exec, s[14:15]
	s_waitcnt lgkmcnt(0)
	s_barrier
	s_and_saveexec_b64 s[14:15], vcc
	s_cbranch_execz .LBB117_411
; %bb.410:
	v_mov_b32_e32 v27, 0
	ds_read_b32 v25, v27 offset:6244
	v_mov_b32_e32 v26, 1.0
	ds_write_b32 v27, v26 offset:6240
	s_waitcnt lgkmcnt(1)
	ds_write_b64 v27, v[25:26] offset:6496
.LBB117_411:
	s_or_b64 exec, exec, s[14:15]
	v_mov_b32_e32 v25, 0
	s_waitcnt lgkmcnt(0)
	s_barrier
	s_and_saveexec_b64 s[16:17], s[2:3]
	s_cbranch_execz .LBB117_415
; %bb.412:
	v_mul_u32_u24_e32 v25, 0x104, v5
	ds_read_b32 v27, v2 offset:6248
	ds_read_b32 v25, v25 offset:6240
	v_mov_b32_e32 v26, 0
	v_cmp_gt_u32_e64 s[14:15], 2, v4
	s_waitcnt lgkmcnt(0)
	v_fma_f32 v25, v27, v25, 0
	s_and_saveexec_b64 s[20:21], s[14:15]
	s_cbranch_execz .LBB117_414
; %bb.413:
	v_lshlrev_b32_e32 v27, 2, v0
	ds_read_b32 v27, v27 offset:6504
	ds_read_b32 v26, v26 offset:6244
	s_waitcnt lgkmcnt(0)
	v_fmac_f32_e32 v25, v27, v26
.LBB117_414:
	s_or_b64 exec, exec, s[20:21]
	v_xor_b32_e32 v25, 0x80000000, v25
.LBB117_415:
	s_or_b64 exec, exec, s[16:17]
	s_and_saveexec_b64 s[14:15], s[40:41]
; %bb.416:
	ds_write_b32 v3, v25
; %bb.417:
	s_or_b64 exec, exec, s[14:15]
	s_waitcnt lgkmcnt(0)
	s_barrier
	s_and_saveexec_b64 s[14:15], s[38:39]
	s_cbranch_execz .LBB117_419
; %bb.418:
	v_mov_b32_e32 v26, 0
	ds_read_b32 v26, v26 offset:6764
	ds_read_b32 v27, v3
	s_waitcnt lgkmcnt(0)
	v_fmac_f32_e32 v25, v26, v27
.LBB117_419:
	s_or_b64 exec, exec, s[14:15]
	s_barrier
	s_and_saveexec_b64 s[14:15], s[38:39]
; %bb.420:
	ds_write_b32 v3, v25
; %bb.421:
	s_or_b64 exec, exec, s[14:15]
	s_waitcnt lgkmcnt(0)
	s_barrier
	s_barrier
	s_and_saveexec_b64 s[14:15], s[2:3]
; %bb.422:
	v_xor_b32_e32 v25, 0x80000000, v25
	ds_write_b32 v2, v25 offset:6248
; %bb.423:
	s_or_b64 exec, exec, s[14:15]
	s_waitcnt lgkmcnt(0)
	s_barrier
	s_barrier
	s_and_saveexec_b64 s[14:15], s[42:43]
	s_cbranch_execz .LBB117_425
; %bb.424:
	v_lshlrev_b32_e32 v25, 2, v0
	s_movk_i32 s16, 0xfc
	v_mad_u32_u24 v26, v0, s16, v25
	ds_read_b32 v27, v26 offset:6248
	s_waitcnt lgkmcnt(0)
	ds_write_b32 v25, v27 offset:6752
	ds_read_b32 v26, v26 offset:6252
	s_waitcnt lgkmcnt(0)
	ds_write_b32 v25, v26 offset:7008
.LBB117_425:
	s_or_b64 exec, exec, s[14:15]
	s_waitcnt lgkmcnt(0)
	s_barrier
	s_and_saveexec_b64 s[14:15], vcc
	s_cbranch_execz .LBB117_427
; %bb.426:
	v_mov_b32_e32 v27, 0
	ds_read_b32 v25, v27 offset:6764
	v_mov_b32_e32 v26, 1.0
	ds_write_b32 v27, v26 offset:6760
	s_waitcnt lgkmcnt(1)
	ds_write_b64 v27, v[25:26] offset:7016
.LBB117_427:
	s_or_b64 exec, exec, s[14:15]
	v_mov_b32_e32 v25, 0
	s_waitcnt lgkmcnt(0)
	s_barrier
	s_and_saveexec_b64 s[16:17], s[18:19]
	s_cbranch_execz .LBB117_433
; %bb.428:
	v_mul_u32_u24_e32 v26, 0x104, v14
	ds_read_b32 v25, v10 offset:6256
	ds_read_b32 v27, v26 offset:6240
	v_cmp_gt_u32_e64 s[14:15], 12, v4
	s_waitcnt lgkmcnt(0)
	v_fma_f32 v25, v25, v27, 0
	s_and_saveexec_b64 s[20:21], s[14:15]
	s_cbranch_execnz .LBB117_1192
; %bb.429:
	s_or_b64 exec, exec, s[20:21]
	v_cmp_gt_u32_e64 s[14:15], 8, v4
	s_and_saveexec_b64 s[20:21], s[14:15]
	s_cbranch_execnz .LBB117_1193
.LBB117_430:
	s_or_b64 exec, exec, s[20:21]
	v_cmp_gt_u32_e64 s[14:15], 4, v4
	s_and_saveexec_b64 s[20:21], s[14:15]
	s_cbranch_execz .LBB117_432
.LBB117_431:
	v_lshlrev_b32_e32 v26, 2, v0
	v_mov_b32_e32 v27, 0
	ds_read_b32 v26, v26 offset:7024
	ds_read_b32 v27, v27 offset:6252
	s_waitcnt lgkmcnt(0)
	v_fmac_f32_e32 v25, v26, v27
.LBB117_432:
	s_or_b64 exec, exec, s[20:21]
	v_xor_b32_e32 v25, 0x80000000, v25
.LBB117_433:
	s_or_b64 exec, exec, s[16:17]
	s_and_saveexec_b64 s[14:15], s[46:47]
; %bb.434:
	ds_write_b32 v12, v25
; %bb.435:
	s_or_b64 exec, exec, s[14:15]
	s_waitcnt lgkmcnt(0)
	s_barrier
	s_and_saveexec_b64 s[14:15], s[48:49]
	s_cbranch_execz .LBB117_437
; %bb.436:
	ds_read_b32 v26, v11 offset:7280
	ds_read_b32 v27, v12
	s_waitcnt lgkmcnt(0)
	v_fmac_f32_e32 v25, v26, v27
.LBB117_437:
	s_or_b64 exec, exec, s[14:15]
	s_barrier
	s_and_saveexec_b64 s[14:15], s[50:51]
; %bb.438:
	ds_write_b32 v12, v25
; %bb.439:
	s_or_b64 exec, exec, s[14:15]
	s_waitcnt lgkmcnt(0)
	s_barrier
	s_and_saveexec_b64 s[14:15], s[52:53]
	s_cbranch_execz .LBB117_441
; %bb.440:
	ds_read_b32 v26, v11 offset:7536
	ds_read_b32 v27, v12
	s_waitcnt lgkmcnt(0)
	v_fmac_f32_e32 v25, v26, v27
.LBB117_441:
	s_or_b64 exec, exec, s[14:15]
	s_barrier
	s_and_saveexec_b64 s[14:15], s[54:55]
; %bb.442:
	ds_write_b32 v12, v25
; %bb.443:
	s_or_b64 exec, exec, s[14:15]
	s_waitcnt lgkmcnt(0)
	s_barrier
	s_and_saveexec_b64 s[14:15], s[44:45]
	s_cbranch_execz .LBB117_445
; %bb.444:
	v_mov_b32_e32 v26, 0
	ds_read_b32 v26, v26 offset:7804
	ds_read_b32 v27, v12
	s_waitcnt lgkmcnt(0)
	v_fmac_f32_e32 v25, v26, v27
.LBB117_445:
	s_or_b64 exec, exec, s[14:15]
	s_barrier
	s_and_saveexec_b64 s[14:15], s[44:45]
; %bb.446:
	ds_write_b32 v12, v25
; %bb.447:
	s_or_b64 exec, exec, s[14:15]
	s_waitcnt lgkmcnt(0)
	s_barrier
	s_barrier
	s_and_saveexec_b64 s[14:15], s[18:19]
; %bb.448:
	v_xor_b32_e32 v25, 0x80000000, v25
	ds_write_b32 v10, v25 offset:6256
; %bb.449:
	s_or_b64 exec, exec, s[14:15]
	s_waitcnt lgkmcnt(0)
	s_barrier
	s_barrier
	s_and_saveexec_b64 s[14:15], s[56:57]
	s_cbranch_execz .LBB117_451
; %bb.450:
	v_lshlrev_b32_e32 v25, 8, v0
	ds_read_b32 v26, v25 offset:6256
	s_movk_i32 s16, 0xff04
	v_mad_i32_i24 v27, v0, s16, v25
	s_waitcnt lgkmcnt(0)
	ds_write_b32 v27, v26 offset:7264
	ds_read_b32 v26, v25 offset:6260
	s_waitcnt lgkmcnt(0)
	ds_write_b32 v27, v26 offset:7520
	ds_read_b32 v26, v25 offset:6264
	;; [unrolled: 3-line block ×3, first 2 shown]
	s_waitcnt lgkmcnt(0)
	ds_write_b32 v27, v25 offset:8032
.LBB117_451:
	s_or_b64 exec, exec, s[14:15]
	s_waitcnt lgkmcnt(0)
	s_barrier
	s_and_saveexec_b64 s[14:15], vcc
	s_cbranch_execz .LBB117_453
; %bb.452:
	v_mov_b32_e32 v27, 0
	ds_read_b32 v25, v27 offset:7284
	v_mov_b32_e32 v26, 1.0
	ds_write_b32 v27, v26 offset:7280
	s_waitcnt lgkmcnt(1)
	ds_write_b64 v27, v[25:26] offset:7536
.LBB117_453:
	s_or_b64 exec, exec, s[14:15]
	v_mov_b32_e32 v25, 0
	s_waitcnt lgkmcnt(0)
	s_barrier
	s_and_saveexec_b64 s[16:17], s[2:3]
	s_cbranch_execz .LBB117_457
; %bb.454:
	v_mul_u32_u24_e32 v25, 0x104, v5
	ds_read_b32 v27, v2 offset:7288
	ds_read_b32 v25, v25 offset:7280
	v_mov_b32_e32 v26, 0
	v_cmp_gt_u32_e64 s[14:15], 2, v4
	s_waitcnt lgkmcnt(0)
	v_fma_f32 v25, v27, v25, 0
	s_and_saveexec_b64 s[20:21], s[14:15]
	s_cbranch_execz .LBB117_456
; %bb.455:
	v_lshlrev_b32_e32 v27, 2, v0
	ds_read_b32 v27, v27 offset:7544
	ds_read_b32 v26, v26 offset:7284
	s_waitcnt lgkmcnt(0)
	v_fmac_f32_e32 v25, v27, v26
.LBB117_456:
	s_or_b64 exec, exec, s[20:21]
	v_xor_b32_e32 v25, 0x80000000, v25
.LBB117_457:
	s_or_b64 exec, exec, s[16:17]
	s_and_saveexec_b64 s[14:15], s[40:41]
; %bb.458:
	ds_write_b32 v3, v25
; %bb.459:
	s_or_b64 exec, exec, s[14:15]
	s_waitcnt lgkmcnt(0)
	s_barrier
	s_and_saveexec_b64 s[14:15], s[38:39]
	s_cbranch_execz .LBB117_461
; %bb.460:
	v_mov_b32_e32 v26, 0
	ds_read_b32 v26, v26 offset:7804
	ds_read_b32 v27, v3
	s_waitcnt lgkmcnt(0)
	v_fmac_f32_e32 v25, v26, v27
.LBB117_461:
	s_or_b64 exec, exec, s[14:15]
	s_barrier
	s_and_saveexec_b64 s[14:15], s[38:39]
; %bb.462:
	ds_write_b32 v3, v25
; %bb.463:
	s_or_b64 exec, exec, s[14:15]
	s_waitcnt lgkmcnt(0)
	s_barrier
	s_barrier
	s_and_saveexec_b64 s[14:15], s[2:3]
; %bb.464:
	v_xor_b32_e32 v25, 0x80000000, v25
	ds_write_b32 v2, v25 offset:7288
; %bb.465:
	s_or_b64 exec, exec, s[14:15]
	s_waitcnt lgkmcnt(0)
	s_barrier
	s_barrier
	s_and_saveexec_b64 s[14:15], s[42:43]
	s_cbranch_execz .LBB117_467
; %bb.466:
	v_lshlrev_b32_e32 v25, 2, v0
	s_movk_i32 s16, 0xfc
	v_mad_u32_u24 v26, v0, s16, v25
	ds_read_b32 v27, v26 offset:7288
	s_waitcnt lgkmcnt(0)
	ds_write_b32 v25, v27 offset:7792
	ds_read_b32 v26, v26 offset:7292
	s_waitcnt lgkmcnt(0)
	ds_write_b32 v25, v26 offset:8048
.LBB117_467:
	s_or_b64 exec, exec, s[14:15]
	s_waitcnt lgkmcnt(0)
	s_barrier
	s_and_saveexec_b64 s[14:15], vcc
	s_cbranch_execz .LBB117_469
; %bb.468:
	v_mov_b32_e32 v27, 0
	ds_read_b32 v25, v27 offset:7804
	v_mov_b32_e32 v26, 1.0
	ds_write_b32 v27, v26 offset:7800
	s_waitcnt lgkmcnt(1)
	ds_write_b64 v27, v[25:26] offset:8056
.LBB117_469:
	s_or_b64 exec, exec, s[14:15]
	v_and_b32_e32 v26, 31, v0
	s_movk_i32 s14, 0x3ff
	v_lshrrev_b32_e32 v29, 5, v4
	v_cmp_lt_u32_e64 s[16:17], s14, v4
	s_movk_i32 s14, 0x400
	v_lshlrev_b32_e32 v27, 2, v26
	v_cmp_gt_u32_e64 s[14:15], s14, v4
	v_lshl_or_b32 v25, v29, 8, v27
	v_mov_b32_e32 v28, 0
	s_waitcnt lgkmcnt(0)
	s_barrier
	s_and_saveexec_b64 s[94:95], s[14:15]
	s_cbranch_execz .LBB117_531
; %bb.470:
	v_mul_u32_u24_e32 v30, 0x104, v29
	ds_read_b32 v28, v25 offset:128
	ds_read_b32 v31, v30
	s_movk_i32 s20, 0x3e0
	v_cmp_gt_u32_e64 s[20:21], s20, v4
	s_waitcnt lgkmcnt(0)
	v_fma_f32 v28, v28, v31, 0
	s_and_saveexec_b64 s[22:23], s[20:21]
	s_cbranch_execz .LBB117_472
; %bb.471:
	ds_read_b32 v31, v25 offset:384
	ds_read_b32 v32, v30 offset:4
	s_waitcnt lgkmcnt(0)
	v_fmac_f32_e32 v28, v31, v32
.LBB117_472:
	s_or_b64 exec, exec, s[22:23]
	s_movk_i32 s20, 0x3c0
	v_cmp_gt_u32_e64 s[20:21], s20, v4
	s_and_saveexec_b64 s[22:23], s[20:21]
	s_cbranch_execz .LBB117_474
; %bb.473:
	ds_read_b32 v31, v25 offset:640
	ds_read_b32 v32, v30 offset:8
	s_waitcnt lgkmcnt(0)
	v_fmac_f32_e32 v28, v31, v32
.LBB117_474:
	s_or_b64 exec, exec, s[22:23]
	s_movk_i32 s20, 0x3a0
	v_cmp_gt_u32_e64 s[20:21], s20, v4
	;; [unrolled: 11-line block ×28, first 2 shown]
	s_and_saveexec_b64 s[22:23], s[20:21]
	s_cbranch_execnz .LBB117_1194
; %bb.527:
	s_or_b64 exec, exec, s[22:23]
	v_cmp_gt_u32_e64 s[20:21], 64, v4
	s_and_saveexec_b64 s[22:23], s[20:21]
	s_cbranch_execnz .LBB117_1195
.LBB117_528:
	s_or_b64 exec, exec, s[22:23]
	v_cmp_gt_u32_e64 s[20:21], 32, v4
	s_and_saveexec_b64 s[22:23], s[20:21]
	s_cbranch_execz .LBB117_530
.LBB117_529:
	v_lshlrev_b32_e32 v30, 2, v0
	v_mov_b32_e32 v31, 0
	ds_read_b32 v30, v30 offset:8064
	ds_read_b32 v31, v31 offset:124
	s_waitcnt lgkmcnt(0)
	v_fmac_f32_e32 v28, v30, v31
.LBB117_530:
	s_or_b64 exec, exec, s[22:23]
	v_xor_b32_e32 v28, 0x80000000, v28
.LBB117_531:
	s_or_b64 exec, exec, s[94:95]
	v_mov_b32_e32 v30, 0x4000
	v_cmp_eq_u32_e64 s[20:21], 0, v26
	s_xor_b64 s[94:95], s[16:17], -1
	v_lshl_or_b32 v29, v29, 2, v30
	s_and_b64 s[20:21], s[20:21], s[94:95]
	s_and_saveexec_b64 s[16:17], s[20:21]
; %bb.532:
	ds_write_b32 v29, v28
; %bb.533:
	s_or_b64 exec, exec, s[16:17]
	v_cmp_ne_u32_e64 s[16:17], 0, v26
	s_and_b64 s[20:21], s[16:17], s[94:95]
	s_waitcnt lgkmcnt(0)
	s_barrier
	s_and_saveexec_b64 s[16:17], s[20:21]
	s_cbranch_execz .LBB117_535
; %bb.534:
	ds_read_b32 v30, v27 offset:8320
	ds_read_b32 v31, v29
	s_waitcnt lgkmcnt(0)
	v_fmac_f32_e32 v28, v30, v31
.LBB117_535:
	s_or_b64 exec, exec, s[16:17]
	v_cmp_eq_u32_e64 s[16:17], 1, v26
	s_and_b64 s[20:21], s[16:17], s[94:95]
	s_barrier
	s_and_saveexec_b64 s[16:17], s[20:21]
; %bb.536:
	ds_write_b32 v29, v28
; %bb.537:
	s_or_b64 exec, exec, s[16:17]
	v_cmp_lt_u32_e64 s[16:17], 1, v26
	s_and_b64 s[20:21], s[16:17], s[94:95]
	s_waitcnt lgkmcnt(0)
	s_barrier
	s_and_saveexec_b64 s[16:17], s[20:21]
	s_cbranch_execz .LBB117_539
; %bb.538:
	ds_read_b32 v30, v27 offset:8576
	ds_read_b32 v31, v29
	s_waitcnt lgkmcnt(0)
	v_fmac_f32_e32 v28, v30, v31
.LBB117_539:
	s_or_b64 exec, exec, s[16:17]
	v_cmp_eq_u32_e64 s[16:17], 2, v26
	s_and_b64 s[20:21], s[16:17], s[94:95]
	s_barrier
	s_and_saveexec_b64 s[16:17], s[20:21]
; %bb.540:
	ds_write_b32 v29, v28
; %bb.541:
	s_or_b64 exec, exec, s[16:17]
	v_cmp_lt_u32_e64 s[16:17], 2, v26
	;; [unrolled: 21-line block ×29, first 2 shown]
	s_and_b64 s[20:21], s[16:17], s[94:95]
	s_waitcnt lgkmcnt(0)
	s_barrier
	s_and_saveexec_b64 s[16:17], s[20:21]
	s_cbranch_execz .LBB117_651
; %bb.650:
	ds_read_b32 v27, v27 offset:15744
	ds_read_b32 v30, v29
	s_waitcnt lgkmcnt(0)
	v_fmac_f32_e32 v28, v27, v30
.LBB117_651:
	s_or_b64 exec, exec, s[16:17]
	v_cmp_eq_u32_e64 s[16:17], 30, v26
	s_and_b64 s[20:21], s[16:17], s[94:95]
	s_barrier
	s_and_saveexec_b64 s[16:17], s[20:21]
; %bb.652:
	ds_write_b32 v29, v28
; %bb.653:
	s_or_b64 exec, exec, s[16:17]
	v_cmp_eq_u32_e64 s[16:17], 31, v26
	s_and_b64 s[16:17], s[16:17], s[94:95]
	s_waitcnt lgkmcnt(0)
	s_barrier
	s_and_saveexec_b64 s[20:21], s[16:17]
	s_cbranch_execz .LBB117_655
; %bb.654:
	v_mov_b32_e32 v26, 0
	ds_read_b32 v26, v26 offset:16124
	ds_read_b32 v27, v29
	s_waitcnt lgkmcnt(0)
	v_fmac_f32_e32 v28, v26, v27
.LBB117_655:
	s_or_b64 exec, exec, s[20:21]
	s_barrier
	s_and_saveexec_b64 s[20:21], s[16:17]
; %bb.656:
	ds_write_b32 v29, v28
; %bb.657:
	s_or_b64 exec, exec, s[20:21]
	s_waitcnt lgkmcnt(0)
	s_barrier
	s_barrier
	s_and_saveexec_b64 s[16:17], s[14:15]
; %bb.658:
	v_xor_b32_e32 v26, 0x80000000, v28
	ds_write_b32 v25, v26 offset:128
; %bb.659:
	s_or_b64 exec, exec, s[16:17]
	v_cmp_gt_u32_e64 s[14:15], 32, v0
	s_and_b64 s[14:15], s[12:13], s[14:15]
	s_waitcnt lgkmcnt(0)
	s_barrier
	s_barrier
	s_and_saveexec_b64 s[12:13], s[14:15]
	s_cbranch_execz .LBB117_661
; %bb.660:
	v_lshlrev_b32_e32 v25, 8, v0
	ds_read_b32 v26, v25 offset:128
	s_movk_i32 s14, 0xff04
	v_mad_i32_i24 v27, v0, s14, v25
	s_waitcnt lgkmcnt(0)
	ds_write_b32 v27, v26 offset:8192
	ds_read_b32 v26, v25 offset:132
	s_waitcnt lgkmcnt(0)
	ds_write_b32 v27, v26 offset:8448
	ds_read_b32 v26, v25 offset:136
	;; [unrolled: 3-line block ×31, first 2 shown]
	s_waitcnt lgkmcnt(0)
	ds_write_b32 v27, v25 offset:16128
.LBB117_661:
	s_or_b64 exec, exec, s[12:13]
	s_waitcnt lgkmcnt(0)
	s_barrier
	s_and_saveexec_b64 s[12:13], vcc
	s_cbranch_execz .LBB117_663
; %bb.662:
	v_mov_b32_e32 v27, 0
	ds_read_b32 v25, v27 offset:8324
	v_mov_b32_e32 v26, 1.0
	ds_write_b32 v27, v26 offset:8320
	s_waitcnt lgkmcnt(1)
	ds_write_b64 v27, v[25:26] offset:8576
.LBB117_663:
	s_or_b64 exec, exec, s[12:13]
	v_mov_b32_e32 v25, 0
	s_waitcnt lgkmcnt(0)
	s_barrier
	s_and_saveexec_b64 s[14:15], s[2:3]
	s_cbranch_execz .LBB117_667
; %bb.664:
	v_mul_u32_u24_e32 v25, 0x104, v5
	ds_read_b32 v27, v2 offset:8328
	ds_read_b32 v25, v25 offset:8320
	v_mov_b32_e32 v26, 0
	v_cmp_gt_u32_e64 s[12:13], 2, v4
	s_waitcnt lgkmcnt(0)
	v_fma_f32 v25, v27, v25, 0
	s_and_saveexec_b64 s[16:17], s[12:13]
	s_cbranch_execz .LBB117_666
; %bb.665:
	v_lshlrev_b32_e32 v27, 2, v0
	ds_read_b32 v27, v27 offset:8584
	ds_read_b32 v26, v26 offset:8324
	s_waitcnt lgkmcnt(0)
	v_fmac_f32_e32 v25, v27, v26
.LBB117_666:
	s_or_b64 exec, exec, s[16:17]
	v_xor_b32_e32 v25, 0x80000000, v25
.LBB117_667:
	s_or_b64 exec, exec, s[14:15]
	s_and_saveexec_b64 s[12:13], s[40:41]
; %bb.668:
	ds_write_b32 v3, v25
; %bb.669:
	s_or_b64 exec, exec, s[12:13]
	s_waitcnt lgkmcnt(0)
	s_barrier
	s_and_saveexec_b64 s[12:13], s[38:39]
	s_cbranch_execz .LBB117_671
; %bb.670:
	v_mov_b32_e32 v26, 0
	ds_read_b32 v26, v26 offset:8844
	ds_read_b32 v27, v3
	s_waitcnt lgkmcnt(0)
	v_fmac_f32_e32 v25, v26, v27
.LBB117_671:
	s_or_b64 exec, exec, s[12:13]
	s_barrier
	s_and_saveexec_b64 s[12:13], s[38:39]
; %bb.672:
	ds_write_b32 v3, v25
; %bb.673:
	s_or_b64 exec, exec, s[12:13]
	s_waitcnt lgkmcnt(0)
	s_barrier
	s_barrier
	s_and_saveexec_b64 s[12:13], s[2:3]
; %bb.674:
	v_xor_b32_e32 v25, 0x80000000, v25
	ds_write_b32 v2, v25 offset:8328
; %bb.675:
	s_or_b64 exec, exec, s[12:13]
	s_waitcnt lgkmcnt(0)
	s_barrier
	s_barrier
	s_and_saveexec_b64 s[12:13], s[42:43]
	s_cbranch_execz .LBB117_677
; %bb.676:
	v_lshlrev_b32_e32 v25, 2, v0
	s_movk_i32 s14, 0xfc
	v_mad_u32_u24 v26, v0, s14, v25
	ds_read_b32 v27, v26 offset:8328
	s_waitcnt lgkmcnt(0)
	ds_write_b32 v25, v27 offset:8832
	ds_read_b32 v26, v26 offset:8332
	s_waitcnt lgkmcnt(0)
	ds_write_b32 v25, v26 offset:9088
.LBB117_677:
	s_or_b64 exec, exec, s[12:13]
	s_waitcnt lgkmcnt(0)
	s_barrier
	s_and_saveexec_b64 s[12:13], vcc
	s_cbranch_execz .LBB117_679
; %bb.678:
	v_mov_b32_e32 v27, 0
	ds_read_b32 v25, v27 offset:8844
	v_mov_b32_e32 v26, 1.0
	ds_write_b32 v27, v26 offset:8840
	s_waitcnt lgkmcnt(1)
	ds_write_b64 v27, v[25:26] offset:9096
.LBB117_679:
	s_or_b64 exec, exec, s[12:13]
	v_mov_b32_e32 v25, 0
	s_waitcnt lgkmcnt(0)
	s_barrier
	s_and_saveexec_b64 s[14:15], s[18:19]
	s_cbranch_execz .LBB117_685
; %bb.680:
	v_mul_u32_u24_e32 v26, 0x104, v14
	ds_read_b32 v25, v10 offset:8336
	ds_read_b32 v27, v26 offset:8320
	v_cmp_gt_u32_e64 s[12:13], 12, v4
	s_waitcnt lgkmcnt(0)
	v_fma_f32 v25, v25, v27, 0
	s_and_saveexec_b64 s[16:17], s[12:13]
	s_cbranch_execnz .LBB117_1196
; %bb.681:
	s_or_b64 exec, exec, s[16:17]
	v_cmp_gt_u32_e64 s[12:13], 8, v4
	s_and_saveexec_b64 s[16:17], s[12:13]
	s_cbranch_execnz .LBB117_1197
.LBB117_682:
	s_or_b64 exec, exec, s[16:17]
	v_cmp_gt_u32_e64 s[12:13], 4, v4
	s_and_saveexec_b64 s[16:17], s[12:13]
	s_cbranch_execz .LBB117_684
.LBB117_683:
	v_lshlrev_b32_e32 v26, 2, v0
	v_mov_b32_e32 v27, 0
	ds_read_b32 v26, v26 offset:9104
	ds_read_b32 v27, v27 offset:8332
	s_waitcnt lgkmcnt(0)
	v_fmac_f32_e32 v25, v26, v27
.LBB117_684:
	s_or_b64 exec, exec, s[16:17]
	v_xor_b32_e32 v25, 0x80000000, v25
.LBB117_685:
	s_or_b64 exec, exec, s[14:15]
	s_and_saveexec_b64 s[12:13], s[46:47]
; %bb.686:
	ds_write_b32 v12, v25
; %bb.687:
	s_or_b64 exec, exec, s[12:13]
	s_waitcnt lgkmcnt(0)
	s_barrier
	s_and_saveexec_b64 s[12:13], s[48:49]
	s_cbranch_execz .LBB117_689
; %bb.688:
	ds_read_b32 v26, v11 offset:9360
	ds_read_b32 v27, v12
	s_waitcnt lgkmcnt(0)
	v_fmac_f32_e32 v25, v26, v27
.LBB117_689:
	s_or_b64 exec, exec, s[12:13]
	s_barrier
	s_and_saveexec_b64 s[12:13], s[50:51]
; %bb.690:
	ds_write_b32 v12, v25
; %bb.691:
	s_or_b64 exec, exec, s[12:13]
	s_waitcnt lgkmcnt(0)
	s_barrier
	s_and_saveexec_b64 s[12:13], s[52:53]
	s_cbranch_execz .LBB117_693
; %bb.692:
	ds_read_b32 v26, v11 offset:9616
	ds_read_b32 v27, v12
	s_waitcnt lgkmcnt(0)
	v_fmac_f32_e32 v25, v26, v27
.LBB117_693:
	s_or_b64 exec, exec, s[12:13]
	s_barrier
	s_and_saveexec_b64 s[12:13], s[54:55]
; %bb.694:
	ds_write_b32 v12, v25
; %bb.695:
	s_or_b64 exec, exec, s[12:13]
	s_waitcnt lgkmcnt(0)
	s_barrier
	s_and_saveexec_b64 s[12:13], s[44:45]
	s_cbranch_execz .LBB117_697
; %bb.696:
	v_mov_b32_e32 v26, 0
	ds_read_b32 v26, v26 offset:9884
	ds_read_b32 v27, v12
	s_waitcnt lgkmcnt(0)
	v_fmac_f32_e32 v25, v26, v27
.LBB117_697:
	s_or_b64 exec, exec, s[12:13]
	s_barrier
	s_and_saveexec_b64 s[12:13], s[44:45]
; %bb.698:
	ds_write_b32 v12, v25
; %bb.699:
	s_or_b64 exec, exec, s[12:13]
	s_waitcnt lgkmcnt(0)
	s_barrier
	s_barrier
	s_and_saveexec_b64 s[12:13], s[18:19]
; %bb.700:
	v_xor_b32_e32 v25, 0x80000000, v25
	ds_write_b32 v10, v25 offset:8336
; %bb.701:
	s_or_b64 exec, exec, s[12:13]
	s_waitcnt lgkmcnt(0)
	s_barrier
	s_barrier
	s_and_saveexec_b64 s[12:13], s[56:57]
	s_cbranch_execz .LBB117_703
; %bb.702:
	v_lshlrev_b32_e32 v25, 8, v0
	ds_read_b32 v26, v25 offset:8336
	s_movk_i32 s14, 0xff04
	v_mad_i32_i24 v27, v0, s14, v25
	s_waitcnt lgkmcnt(0)
	ds_write_b32 v27, v26 offset:9344
	ds_read_b32 v26, v25 offset:8340
	s_waitcnt lgkmcnt(0)
	ds_write_b32 v27, v26 offset:9600
	ds_read_b32 v26, v25 offset:8344
	;; [unrolled: 3-line block ×3, first 2 shown]
	s_waitcnt lgkmcnt(0)
	ds_write_b32 v27, v25 offset:10112
.LBB117_703:
	s_or_b64 exec, exec, s[12:13]
	s_waitcnt lgkmcnt(0)
	s_barrier
	s_and_saveexec_b64 s[12:13], vcc
	s_cbranch_execz .LBB117_705
; %bb.704:
	v_mov_b32_e32 v27, 0
	ds_read_b32 v25, v27 offset:9364
	v_mov_b32_e32 v26, 1.0
	ds_write_b32 v27, v26 offset:9360
	s_waitcnt lgkmcnt(1)
	ds_write_b64 v27, v[25:26] offset:9616
.LBB117_705:
	s_or_b64 exec, exec, s[12:13]
	v_mov_b32_e32 v25, 0
	s_waitcnt lgkmcnt(0)
	s_barrier
	s_and_saveexec_b64 s[14:15], s[2:3]
	s_cbranch_execz .LBB117_709
; %bb.706:
	v_mul_u32_u24_e32 v25, 0x104, v5
	ds_read_b32 v27, v2 offset:9368
	ds_read_b32 v25, v25 offset:9360
	v_mov_b32_e32 v26, 0
	v_cmp_gt_u32_e64 s[12:13], 2, v4
	s_waitcnt lgkmcnt(0)
	v_fma_f32 v25, v27, v25, 0
	s_and_saveexec_b64 s[16:17], s[12:13]
	s_cbranch_execz .LBB117_708
; %bb.707:
	v_lshlrev_b32_e32 v27, 2, v0
	ds_read_b32 v27, v27 offset:9624
	ds_read_b32 v26, v26 offset:9364
	s_waitcnt lgkmcnt(0)
	v_fmac_f32_e32 v25, v27, v26
.LBB117_708:
	s_or_b64 exec, exec, s[16:17]
	v_xor_b32_e32 v25, 0x80000000, v25
.LBB117_709:
	s_or_b64 exec, exec, s[14:15]
	s_and_saveexec_b64 s[12:13], s[40:41]
; %bb.710:
	ds_write_b32 v3, v25
; %bb.711:
	s_or_b64 exec, exec, s[12:13]
	s_waitcnt lgkmcnt(0)
	s_barrier
	s_and_saveexec_b64 s[12:13], s[38:39]
	s_cbranch_execz .LBB117_713
; %bb.712:
	v_mov_b32_e32 v26, 0
	ds_read_b32 v26, v26 offset:9884
	ds_read_b32 v27, v3
	s_waitcnt lgkmcnt(0)
	v_fmac_f32_e32 v25, v26, v27
.LBB117_713:
	s_or_b64 exec, exec, s[12:13]
	s_barrier
	s_and_saveexec_b64 s[12:13], s[38:39]
; %bb.714:
	ds_write_b32 v3, v25
; %bb.715:
	s_or_b64 exec, exec, s[12:13]
	s_waitcnt lgkmcnt(0)
	s_barrier
	s_barrier
	s_and_saveexec_b64 s[12:13], s[2:3]
; %bb.716:
	v_xor_b32_e32 v25, 0x80000000, v25
	ds_write_b32 v2, v25 offset:9368
; %bb.717:
	s_or_b64 exec, exec, s[12:13]
	s_waitcnt lgkmcnt(0)
	s_barrier
	s_barrier
	s_and_saveexec_b64 s[12:13], s[42:43]
	s_cbranch_execz .LBB117_719
; %bb.718:
	v_lshlrev_b32_e32 v25, 2, v0
	s_movk_i32 s14, 0xfc
	v_mad_u32_u24 v26, v0, s14, v25
	ds_read_b32 v27, v26 offset:9368
	s_waitcnt lgkmcnt(0)
	ds_write_b32 v25, v27 offset:9872
	ds_read_b32 v26, v26 offset:9372
	s_waitcnt lgkmcnt(0)
	ds_write_b32 v25, v26 offset:10128
.LBB117_719:
	s_or_b64 exec, exec, s[12:13]
	s_waitcnt lgkmcnt(0)
	s_barrier
	s_and_saveexec_b64 s[12:13], vcc
	s_cbranch_execz .LBB117_721
; %bb.720:
	v_mov_b32_e32 v27, 0
	ds_read_b32 v25, v27 offset:9884
	v_mov_b32_e32 v26, 1.0
	ds_write_b32 v27, v26 offset:9880
	s_waitcnt lgkmcnt(1)
	ds_write_b64 v27, v[25:26] offset:10136
.LBB117_721:
	s_or_b64 exec, exec, s[12:13]
	v_mov_b32_e32 v25, 0
	s_waitcnt lgkmcnt(0)
	s_barrier
	s_and_saveexec_b64 s[14:15], s[8:9]
	s_cbranch_execz .LBB117_731
; %bb.722:
	v_mul_u32_u24_e32 v26, 0x104, v19
	ds_read_b32 v25, v15 offset:8352
	ds_read_b32 v27, v26 offset:8320
	v_cmp_gt_u32_e64 s[12:13], 56, v4
	s_waitcnt lgkmcnt(0)
	v_fma_f32 v25, v25, v27, 0
	s_and_saveexec_b64 s[16:17], s[12:13]
	s_cbranch_execnz .LBB117_1198
; %bb.723:
	s_or_b64 exec, exec, s[16:17]
	v_cmp_gt_u32_e64 s[12:13], 48, v4
	s_and_saveexec_b64 s[16:17], s[12:13]
	s_cbranch_execnz .LBB117_1199
.LBB117_724:
	s_or_b64 exec, exec, s[16:17]
	v_cmp_gt_u32_e64 s[12:13], 40, v4
	s_and_saveexec_b64 s[16:17], s[12:13]
	s_cbranch_execnz .LBB117_1200
.LBB117_725:
	s_or_b64 exec, exec, s[16:17]
	v_cmp_gt_u32_e64 s[12:13], 32, v4
	s_and_saveexec_b64 s[16:17], s[12:13]
	s_cbranch_execnz .LBB117_1201
.LBB117_726:
	s_or_b64 exec, exec, s[16:17]
	v_cmp_gt_u32_e64 s[12:13], 24, v4
	s_and_saveexec_b64 s[16:17], s[12:13]
	s_cbranch_execnz .LBB117_1202
.LBB117_727:
	s_or_b64 exec, exec, s[16:17]
	v_cmp_gt_u32_e64 s[12:13], 16, v4
	s_and_saveexec_b64 s[16:17], s[12:13]
	s_cbranch_execnz .LBB117_1203
.LBB117_728:
	s_or_b64 exec, exec, s[16:17]
	v_cmp_gt_u32_e64 s[12:13], 8, v4
	s_and_saveexec_b64 s[16:17], s[12:13]
	s_cbranch_execz .LBB117_730
.LBB117_729:
	v_lshlrev_b32_e32 v26, 2, v0
	v_mov_b32_e32 v27, 0
	ds_read_b32 v26, v26 offset:10144
	ds_read_b32 v27, v27 offset:8348
	s_waitcnt lgkmcnt(0)
	v_fmac_f32_e32 v25, v26, v27
.LBB117_730:
	s_or_b64 exec, exec, s[16:17]
	v_xor_b32_e32 v25, 0x80000000, v25
.LBB117_731:
	s_or_b64 exec, exec, s[14:15]
	s_and_saveexec_b64 s[12:13], s[58:59]
; %bb.732:
	ds_write_b32 v17, v25
; %bb.733:
	s_or_b64 exec, exec, s[12:13]
	s_waitcnt lgkmcnt(0)
	s_barrier
	s_and_saveexec_b64 s[12:13], s[60:61]
	s_cbranch_execz .LBB117_735
; %bb.734:
	ds_read_b32 v26, v16 offset:10400
	ds_read_b32 v27, v17
	s_waitcnt lgkmcnt(0)
	v_fmac_f32_e32 v25, v26, v27
.LBB117_735:
	s_or_b64 exec, exec, s[12:13]
	s_barrier
	s_and_saveexec_b64 s[12:13], s[62:63]
; %bb.736:
	ds_write_b32 v17, v25
; %bb.737:
	s_or_b64 exec, exec, s[12:13]
	s_waitcnt lgkmcnt(0)
	s_barrier
	s_and_saveexec_b64 s[12:13], s[64:65]
	s_cbranch_execz .LBB117_739
; %bb.738:
	ds_read_b32 v26, v16 offset:10656
	ds_read_b32 v27, v17
	s_waitcnt lgkmcnt(0)
	v_fmac_f32_e32 v25, v26, v27
.LBB117_739:
	s_or_b64 exec, exec, s[12:13]
	s_barrier
	s_and_saveexec_b64 s[12:13], s[68:69]
; %bb.740:
	ds_write_b32 v17, v25
; %bb.741:
	s_or_b64 exec, exec, s[12:13]
	s_waitcnt lgkmcnt(0)
	s_barrier
	s_and_saveexec_b64 s[12:13], s[70:71]
	s_cbranch_execz .LBB117_743
; %bb.742:
	ds_read_b32 v26, v16 offset:10912
	ds_read_b32 v27, v17
	s_waitcnt lgkmcnt(0)
	v_fmac_f32_e32 v25, v26, v27
.LBB117_743:
	s_or_b64 exec, exec, s[12:13]
	s_barrier
	s_and_saveexec_b64 s[12:13], s[72:73]
; %bb.744:
	ds_write_b32 v17, v25
; %bb.745:
	s_or_b64 exec, exec, s[12:13]
	s_waitcnt lgkmcnt(0)
	s_barrier
	s_and_saveexec_b64 s[12:13], s[74:75]
	s_cbranch_execz .LBB117_747
; %bb.746:
	ds_read_b32 v26, v16 offset:11168
	ds_read_b32 v27, v17
	s_waitcnt lgkmcnt(0)
	v_fmac_f32_e32 v25, v26, v27
.LBB117_747:
	s_or_b64 exec, exec, s[12:13]
	s_barrier
	s_and_saveexec_b64 s[12:13], s[76:77]
; %bb.748:
	ds_write_b32 v17, v25
; %bb.749:
	s_or_b64 exec, exec, s[12:13]
	s_waitcnt lgkmcnt(0)
	s_barrier
	s_and_saveexec_b64 s[12:13], s[78:79]
	s_cbranch_execz .LBB117_751
; %bb.750:
	ds_read_b32 v26, v16 offset:11424
	ds_read_b32 v27, v17
	s_waitcnt lgkmcnt(0)
	v_fmac_f32_e32 v25, v26, v27
.LBB117_751:
	s_or_b64 exec, exec, s[12:13]
	s_barrier
	s_and_saveexec_b64 s[12:13], s[80:81]
; %bb.752:
	ds_write_b32 v17, v25
; %bb.753:
	s_or_b64 exec, exec, s[12:13]
	s_waitcnt lgkmcnt(0)
	s_barrier
	s_and_saveexec_b64 s[12:13], s[82:83]
	s_cbranch_execz .LBB117_755
; %bb.754:
	ds_read_b32 v26, v16 offset:11680
	ds_read_b32 v27, v17
	s_waitcnt lgkmcnt(0)
	v_fmac_f32_e32 v25, v26, v27
.LBB117_755:
	s_or_b64 exec, exec, s[12:13]
	s_barrier
	s_and_saveexec_b64 s[12:13], s[84:85]
; %bb.756:
	ds_write_b32 v17, v25
; %bb.757:
	s_or_b64 exec, exec, s[12:13]
	s_waitcnt lgkmcnt(0)
	s_barrier
	s_and_saveexec_b64 s[12:13], s[66:67]
	s_cbranch_execz .LBB117_759
; %bb.758:
	v_mov_b32_e32 v26, 0
	ds_read_b32 v26, v26 offset:11964
	ds_read_b32 v27, v17
	s_waitcnt lgkmcnt(0)
	v_fmac_f32_e32 v25, v26, v27
.LBB117_759:
	s_or_b64 exec, exec, s[12:13]
	s_barrier
	s_and_saveexec_b64 s[12:13], s[66:67]
; %bb.760:
	ds_write_b32 v17, v25
; %bb.761:
	s_or_b64 exec, exec, s[12:13]
	s_waitcnt lgkmcnt(0)
	s_barrier
	s_barrier
	s_and_saveexec_b64 s[12:13], s[8:9]
; %bb.762:
	v_xor_b32_e32 v25, 0x80000000, v25
	ds_write_b32 v15, v25 offset:8352
; %bb.763:
	s_or_b64 exec, exec, s[12:13]
	s_waitcnt lgkmcnt(0)
	s_barrier
	s_barrier
	s_and_saveexec_b64 s[12:13], s[86:87]
	s_cbranch_execz .LBB117_765
; %bb.764:
	v_lshlrev_b32_e32 v25, 8, v0
	ds_read_b32 v26, v25 offset:8352
	s_movk_i32 s14, 0xff04
	v_mad_i32_i24 v27, v0, s14, v25
	s_waitcnt lgkmcnt(0)
	ds_write_b32 v27, v26 offset:10368
	ds_read_b32 v26, v25 offset:8356
	s_waitcnt lgkmcnt(0)
	ds_write_b32 v27, v26 offset:10624
	ds_read_b32 v26, v25 offset:8360
	;; [unrolled: 3-line block ×7, first 2 shown]
	s_waitcnt lgkmcnt(0)
	ds_write_b32 v27, v25 offset:12160
.LBB117_765:
	s_or_b64 exec, exec, s[12:13]
	s_waitcnt lgkmcnt(0)
	s_barrier
	s_and_saveexec_b64 s[12:13], vcc
	s_cbranch_execz .LBB117_767
; %bb.766:
	v_mov_b32_e32 v27, 0
	ds_read_b32 v25, v27 offset:10404
	v_mov_b32_e32 v26, 1.0
	ds_write_b32 v27, v26 offset:10400
	s_waitcnt lgkmcnt(1)
	ds_write_b64 v27, v[25:26] offset:10656
.LBB117_767:
	s_or_b64 exec, exec, s[12:13]
	v_mov_b32_e32 v25, 0
	s_waitcnt lgkmcnt(0)
	s_barrier
	s_and_saveexec_b64 s[14:15], s[2:3]
	s_cbranch_execz .LBB117_771
; %bb.768:
	v_mul_u32_u24_e32 v25, 0x104, v5
	ds_read_b32 v27, v2 offset:10408
	ds_read_b32 v25, v25 offset:10400
	v_mov_b32_e32 v26, 0
	v_cmp_gt_u32_e64 s[12:13], 2, v4
	s_waitcnt lgkmcnt(0)
	v_fma_f32 v25, v27, v25, 0
	s_and_saveexec_b64 s[16:17], s[12:13]
	s_cbranch_execz .LBB117_770
; %bb.769:
	v_lshlrev_b32_e32 v27, 2, v0
	ds_read_b32 v27, v27 offset:10664
	ds_read_b32 v26, v26 offset:10404
	s_waitcnt lgkmcnt(0)
	v_fmac_f32_e32 v25, v27, v26
.LBB117_770:
	s_or_b64 exec, exec, s[16:17]
	v_xor_b32_e32 v25, 0x80000000, v25
.LBB117_771:
	s_or_b64 exec, exec, s[14:15]
	s_and_saveexec_b64 s[12:13], s[40:41]
; %bb.772:
	ds_write_b32 v3, v25
; %bb.773:
	s_or_b64 exec, exec, s[12:13]
	s_waitcnt lgkmcnt(0)
	s_barrier
	s_and_saveexec_b64 s[12:13], s[38:39]
	s_cbranch_execz .LBB117_775
; %bb.774:
	v_mov_b32_e32 v26, 0
	ds_read_b32 v26, v26 offset:10924
	ds_read_b32 v27, v3
	s_waitcnt lgkmcnt(0)
	v_fmac_f32_e32 v25, v26, v27
.LBB117_775:
	s_or_b64 exec, exec, s[12:13]
	s_barrier
	s_and_saveexec_b64 s[12:13], s[38:39]
; %bb.776:
	ds_write_b32 v3, v25
; %bb.777:
	s_or_b64 exec, exec, s[12:13]
	s_waitcnt lgkmcnt(0)
	s_barrier
	s_barrier
	s_and_saveexec_b64 s[12:13], s[2:3]
; %bb.778:
	v_xor_b32_e32 v25, 0x80000000, v25
	ds_write_b32 v2, v25 offset:10408
; %bb.779:
	s_or_b64 exec, exec, s[12:13]
	s_waitcnt lgkmcnt(0)
	s_barrier
	s_barrier
	s_and_saveexec_b64 s[12:13], s[42:43]
	s_cbranch_execz .LBB117_781
; %bb.780:
	v_lshlrev_b32_e32 v25, 2, v0
	s_movk_i32 s14, 0xfc
	v_mad_u32_u24 v26, v0, s14, v25
	ds_read_b32 v27, v26 offset:10408
	s_waitcnt lgkmcnt(0)
	ds_write_b32 v25, v27 offset:10912
	ds_read_b32 v26, v26 offset:10412
	s_waitcnt lgkmcnt(0)
	ds_write_b32 v25, v26 offset:11168
.LBB117_781:
	s_or_b64 exec, exec, s[12:13]
	s_waitcnt lgkmcnt(0)
	s_barrier
	s_and_saveexec_b64 s[12:13], vcc
	s_cbranch_execz .LBB117_783
; %bb.782:
	v_mov_b32_e32 v27, 0
	ds_read_b32 v25, v27 offset:10924
	v_mov_b32_e32 v26, 1.0
	ds_write_b32 v27, v26 offset:10920
	s_waitcnt lgkmcnt(1)
	ds_write_b64 v27, v[25:26] offset:11176
.LBB117_783:
	s_or_b64 exec, exec, s[12:13]
	v_mov_b32_e32 v25, 0
	s_waitcnt lgkmcnt(0)
	s_barrier
	s_and_saveexec_b64 s[14:15], s[18:19]
	s_cbranch_execz .LBB117_789
; %bb.784:
	v_mul_u32_u24_e32 v26, 0x104, v14
	ds_read_b32 v25, v10 offset:10416
	ds_read_b32 v27, v26 offset:10400
	v_cmp_gt_u32_e64 s[12:13], 12, v4
	s_waitcnt lgkmcnt(0)
	v_fma_f32 v25, v25, v27, 0
	s_and_saveexec_b64 s[16:17], s[12:13]
	s_cbranch_execnz .LBB117_1204
; %bb.785:
	s_or_b64 exec, exec, s[16:17]
	v_cmp_gt_u32_e64 s[12:13], 8, v4
	s_and_saveexec_b64 s[16:17], s[12:13]
	s_cbranch_execnz .LBB117_1205
.LBB117_786:
	s_or_b64 exec, exec, s[16:17]
	v_cmp_gt_u32_e64 s[12:13], 4, v4
	s_and_saveexec_b64 s[16:17], s[12:13]
	s_cbranch_execz .LBB117_788
.LBB117_787:
	v_lshlrev_b32_e32 v26, 2, v0
	v_mov_b32_e32 v27, 0
	ds_read_b32 v26, v26 offset:11184
	ds_read_b32 v27, v27 offset:10412
	s_waitcnt lgkmcnt(0)
	v_fmac_f32_e32 v25, v26, v27
.LBB117_788:
	s_or_b64 exec, exec, s[16:17]
	v_xor_b32_e32 v25, 0x80000000, v25
.LBB117_789:
	s_or_b64 exec, exec, s[14:15]
	s_and_saveexec_b64 s[12:13], s[46:47]
; %bb.790:
	ds_write_b32 v12, v25
; %bb.791:
	s_or_b64 exec, exec, s[12:13]
	s_waitcnt lgkmcnt(0)
	s_barrier
	s_and_saveexec_b64 s[12:13], s[48:49]
	s_cbranch_execz .LBB117_793
; %bb.792:
	ds_read_b32 v26, v11 offset:11440
	ds_read_b32 v27, v12
	s_waitcnt lgkmcnt(0)
	v_fmac_f32_e32 v25, v26, v27
.LBB117_793:
	s_or_b64 exec, exec, s[12:13]
	s_barrier
	s_and_saveexec_b64 s[12:13], s[50:51]
; %bb.794:
	ds_write_b32 v12, v25
; %bb.795:
	s_or_b64 exec, exec, s[12:13]
	s_waitcnt lgkmcnt(0)
	s_barrier
	s_and_saveexec_b64 s[12:13], s[52:53]
	s_cbranch_execz .LBB117_797
; %bb.796:
	ds_read_b32 v26, v11 offset:11696
	ds_read_b32 v27, v12
	s_waitcnt lgkmcnt(0)
	v_fmac_f32_e32 v25, v26, v27
.LBB117_797:
	s_or_b64 exec, exec, s[12:13]
	s_barrier
	s_and_saveexec_b64 s[12:13], s[54:55]
; %bb.798:
	ds_write_b32 v12, v25
; %bb.799:
	s_or_b64 exec, exec, s[12:13]
	s_waitcnt lgkmcnt(0)
	s_barrier
	s_and_saveexec_b64 s[12:13], s[44:45]
	s_cbranch_execz .LBB117_801
; %bb.800:
	v_mov_b32_e32 v26, 0
	ds_read_b32 v26, v26 offset:11964
	ds_read_b32 v27, v12
	s_waitcnt lgkmcnt(0)
	v_fmac_f32_e32 v25, v26, v27
.LBB117_801:
	s_or_b64 exec, exec, s[12:13]
	s_barrier
	s_and_saveexec_b64 s[12:13], s[44:45]
; %bb.802:
	ds_write_b32 v12, v25
; %bb.803:
	s_or_b64 exec, exec, s[12:13]
	s_waitcnt lgkmcnt(0)
	s_barrier
	s_barrier
	s_and_saveexec_b64 s[12:13], s[18:19]
; %bb.804:
	v_xor_b32_e32 v25, 0x80000000, v25
	ds_write_b32 v10, v25 offset:10416
; %bb.805:
	s_or_b64 exec, exec, s[12:13]
	s_waitcnt lgkmcnt(0)
	s_barrier
	s_barrier
	s_and_saveexec_b64 s[12:13], s[56:57]
	s_cbranch_execz .LBB117_807
; %bb.806:
	v_lshlrev_b32_e32 v25, 8, v0
	ds_read_b32 v26, v25 offset:10416
	s_movk_i32 s14, 0xff04
	v_mad_i32_i24 v27, v0, s14, v25
	s_waitcnt lgkmcnt(0)
	ds_write_b32 v27, v26 offset:11424
	ds_read_b32 v26, v25 offset:10420
	s_waitcnt lgkmcnt(0)
	ds_write_b32 v27, v26 offset:11680
	ds_read_b32 v26, v25 offset:10424
	;; [unrolled: 3-line block ×3, first 2 shown]
	s_waitcnt lgkmcnt(0)
	ds_write_b32 v27, v25 offset:12192
.LBB117_807:
	s_or_b64 exec, exec, s[12:13]
	s_waitcnt lgkmcnt(0)
	s_barrier
	s_and_saveexec_b64 s[12:13], vcc
	s_cbranch_execz .LBB117_809
; %bb.808:
	v_mov_b32_e32 v27, 0
	ds_read_b32 v25, v27 offset:11444
	v_mov_b32_e32 v26, 1.0
	ds_write_b32 v27, v26 offset:11440
	s_waitcnt lgkmcnt(1)
	ds_write_b64 v27, v[25:26] offset:11696
.LBB117_809:
	s_or_b64 exec, exec, s[12:13]
	v_mov_b32_e32 v25, 0
	s_waitcnt lgkmcnt(0)
	s_barrier
	s_and_saveexec_b64 s[14:15], s[2:3]
	s_cbranch_execz .LBB117_813
; %bb.810:
	v_mul_u32_u24_e32 v25, 0x104, v5
	ds_read_b32 v27, v2 offset:11448
	ds_read_b32 v25, v25 offset:11440
	v_mov_b32_e32 v26, 0
	v_cmp_gt_u32_e64 s[12:13], 2, v4
	s_waitcnt lgkmcnt(0)
	v_fma_f32 v25, v27, v25, 0
	s_and_saveexec_b64 s[16:17], s[12:13]
	s_cbranch_execz .LBB117_812
; %bb.811:
	v_lshlrev_b32_e32 v27, 2, v0
	ds_read_b32 v27, v27 offset:11704
	ds_read_b32 v26, v26 offset:11444
	s_waitcnt lgkmcnt(0)
	v_fmac_f32_e32 v25, v27, v26
.LBB117_812:
	s_or_b64 exec, exec, s[16:17]
	v_xor_b32_e32 v25, 0x80000000, v25
.LBB117_813:
	s_or_b64 exec, exec, s[14:15]
	s_and_saveexec_b64 s[12:13], s[40:41]
; %bb.814:
	ds_write_b32 v3, v25
; %bb.815:
	s_or_b64 exec, exec, s[12:13]
	s_waitcnt lgkmcnt(0)
	s_barrier
	s_and_saveexec_b64 s[12:13], s[38:39]
	s_cbranch_execz .LBB117_817
; %bb.816:
	v_mov_b32_e32 v26, 0
	ds_read_b32 v26, v26 offset:11964
	ds_read_b32 v27, v3
	s_waitcnt lgkmcnt(0)
	v_fmac_f32_e32 v25, v26, v27
.LBB117_817:
	s_or_b64 exec, exec, s[12:13]
	s_barrier
	s_and_saveexec_b64 s[12:13], s[38:39]
; %bb.818:
	ds_write_b32 v3, v25
; %bb.819:
	s_or_b64 exec, exec, s[12:13]
	s_waitcnt lgkmcnt(0)
	s_barrier
	s_barrier
	s_and_saveexec_b64 s[12:13], s[2:3]
; %bb.820:
	v_xor_b32_e32 v25, 0x80000000, v25
	ds_write_b32 v2, v25 offset:11448
; %bb.821:
	s_or_b64 exec, exec, s[12:13]
	s_waitcnt lgkmcnt(0)
	s_barrier
	s_barrier
	s_and_saveexec_b64 s[12:13], s[42:43]
	s_cbranch_execz .LBB117_823
; %bb.822:
	v_lshlrev_b32_e32 v25, 2, v0
	s_movk_i32 s14, 0xfc
	v_mad_u32_u24 v26, v0, s14, v25
	ds_read_b32 v27, v26 offset:11448
	s_waitcnt lgkmcnt(0)
	ds_write_b32 v25, v27 offset:11952
	ds_read_b32 v26, v26 offset:11452
	s_waitcnt lgkmcnt(0)
	ds_write_b32 v25, v26 offset:12208
.LBB117_823:
	s_or_b64 exec, exec, s[12:13]
	s_waitcnt lgkmcnt(0)
	s_barrier
	s_and_saveexec_b64 s[12:13], vcc
	s_cbranch_execz .LBB117_825
; %bb.824:
	v_mov_b32_e32 v27, 0
	ds_read_b32 v25, v27 offset:11964
	v_mov_b32_e32 v26, 1.0
	ds_write_b32 v27, v26 offset:11960
	s_waitcnt lgkmcnt(1)
	ds_write_b64 v27, v[25:26] offset:12216
.LBB117_825:
	s_or_b64 exec, exec, s[12:13]
	v_mov_b32_e32 v25, 0
	s_waitcnt lgkmcnt(0)
	s_barrier
	s_and_saveexec_b64 s[14:15], s[10:11]
	s_cbranch_execz .LBB117_853
; %bb.826:
	v_mul_u32_u24_e32 v26, 0x104, v24
	ds_read_b32 v25, v20 offset:8384
	ds_read_b32 v27, v26 offset:8320
	s_movk_i32 s12, 0xf0
	v_cmp_gt_u32_e64 s[12:13], s12, v4
	s_waitcnt lgkmcnt(0)
	v_fma_f32 v25, v25, v27, 0
	s_and_saveexec_b64 s[16:17], s[12:13]
	s_cbranch_execz .LBB117_828
; %bb.827:
	v_lshlrev_b32_e32 v27, 2, v24
	v_sub_u32_e32 v27, v26, v27
	v_lshl_add_u32 v27, v21, 2, v27
	ds_read_b32 v27, v27 offset:8640
	ds_read_b32 v28, v26 offset:8324
	s_waitcnt lgkmcnt(0)
	v_fmac_f32_e32 v25, v27, v28
.LBB117_828:
	s_or_b64 exec, exec, s[16:17]
	s_movk_i32 s12, 0xe0
	v_cmp_gt_u32_e64 s[12:13], s12, v4
	s_and_saveexec_b64 s[16:17], s[12:13]
	s_cbranch_execz .LBB117_830
; %bb.829:
	v_lshlrev_b32_e32 v27, 2, v24
	v_sub_u32_e32 v27, v26, v27
	v_lshl_add_u32 v27, v21, 2, v27
	ds_read_b32 v27, v27 offset:8896
	ds_read_b32 v28, v26 offset:8328
	s_waitcnt lgkmcnt(0)
	v_fmac_f32_e32 v25, v27, v28
.LBB117_830:
	s_or_b64 exec, exec, s[16:17]
	s_movk_i32 s12, 0xd0
	v_cmp_gt_u32_e64 s[12:13], s12, v4
	;; [unrolled: 14-line block ×7, first 2 shown]
	s_and_saveexec_b64 s[16:17], s[12:13]
	s_cbranch_execz .LBB117_842
; %bb.841:
	ds_read_b32 v24, v20 offset:10432
	ds_read_b32 v27, v26 offset:8352
	s_waitcnt lgkmcnt(0)
	v_fmac_f32_e32 v25, v24, v27
.LBB117_842:
	s_or_b64 exec, exec, s[16:17]
	s_movk_i32 s12, 0x70
	v_cmp_gt_u32_e64 s[12:13], s12, v4
	s_and_saveexec_b64 s[16:17], s[12:13]
	s_cbranch_execz .LBB117_844
; %bb.843:
	v_lshlrev_b32_e32 v24, 2, v21
	v_lshl_add_u32 v24, v23, 2, v24
	ds_read_b32 v24, v24 offset:10688
	ds_read_b32 v27, v26 offset:8356
	s_waitcnt lgkmcnt(0)
	v_fmac_f32_e32 v25, v24, v27
.LBB117_844:
	s_or_b64 exec, exec, s[16:17]
	s_movk_i32 s12, 0x60
	v_cmp_gt_u32_e64 s[12:13], s12, v4
	s_and_saveexec_b64 s[16:17], s[12:13]
	s_cbranch_execz .LBB117_846
; %bb.845:
	v_lshlrev_b32_e32 v24, 2, v21
	v_lshl_add_u32 v24, v23, 2, v24
	ds_read_b32 v24, v24 offset:10944
	ds_read_b32 v27, v26 offset:8360
	s_waitcnt lgkmcnt(0)
	v_fmac_f32_e32 v25, v24, v27
.LBB117_846:
	s_or_b64 exec, exec, s[16:17]
	s_movk_i32 s12, 0x50
	v_cmp_gt_u32_e64 s[12:13], s12, v4
	s_and_saveexec_b64 s[16:17], s[12:13]
	s_cbranch_execnz .LBB117_1206
; %bb.847:
	s_or_b64 exec, exec, s[16:17]
	v_cmp_gt_u32_e64 s[12:13], 64, v4
	s_and_saveexec_b64 s[16:17], s[12:13]
	s_cbranch_execnz .LBB117_1207
.LBB117_848:
	s_or_b64 exec, exec, s[16:17]
	v_cmp_gt_u32_e64 s[12:13], 48, v4
	s_and_saveexec_b64 s[16:17], s[12:13]
	s_cbranch_execnz .LBB117_1208
.LBB117_849:
	s_or_b64 exec, exec, s[16:17]
	v_cmp_gt_u32_e64 s[12:13], 32, v4
	s_and_saveexec_b64 s[16:17], s[12:13]
	s_cbranch_execnz .LBB117_1209
.LBB117_850:
	s_or_b64 exec, exec, s[16:17]
	v_cmp_gt_u32_e64 s[12:13], 16, v4
	s_and_saveexec_b64 s[16:17], s[12:13]
	s_cbranch_execz .LBB117_852
.LBB117_851:
	v_lshlrev_b32_e32 v23, 2, v0
	v_mov_b32_e32 v24, 0
	ds_read_b32 v23, v23 offset:12224
	ds_read_b32 v24, v24 offset:8380
	s_waitcnt lgkmcnt(0)
	v_fmac_f32_e32 v25, v23, v24
.LBB117_852:
	s_or_b64 exec, exec, s[16:17]
	v_xor_b32_e32 v25, 0x80000000, v25
.LBB117_853:
	s_or_b64 exec, exec, s[14:15]
	s_mov_b64 s[12:13], exec
	v_readlane_b32 s14, v33, 2
	v_readlane_b32 s15, v33, 3
	s_and_b64 s[14:15], s[12:13], s[14:15]
	s_mov_b64 exec, s[14:15]
; %bb.854:
	ds_write_b32 v22, v25
; %bb.855:
	s_or_b64 exec, exec, s[12:13]
	s_waitcnt lgkmcnt(0)
	s_barrier
	s_mov_b64 s[12:13], exec
	v_readlane_b32 s14, v33, 4
	v_readlane_b32 s15, v33, 5
	s_and_b64 s[14:15], s[12:13], s[14:15]
	s_mov_b64 exec, s[14:15]
	s_cbranch_execz .LBB117_857
; %bb.856:
	v_lshlrev_b32_e32 v23, 2, v21
	ds_read_b32 v23, v23 offset:12480
	ds_read_b32 v24, v22
	s_waitcnt lgkmcnt(0)
	v_fmac_f32_e32 v25, v23, v24
.LBB117_857:
	s_or_b64 exec, exec, s[12:13]
	s_barrier
	s_mov_b64 s[12:13], exec
	v_readlane_b32 s14, v33, 6
	v_readlane_b32 s15, v33, 7
	s_and_b64 s[14:15], s[12:13], s[14:15]
	s_mov_b64 exec, s[14:15]
; %bb.858:
	ds_write_b32 v22, v25
; %bb.859:
	s_or_b64 exec, exec, s[12:13]
	s_waitcnt lgkmcnt(0)
	s_barrier
	s_mov_b64 s[12:13], exec
	v_readlane_b32 s14, v33, 8
	v_readlane_b32 s15, v33, 9
	s_and_b64 s[14:15], s[12:13], s[14:15]
	s_mov_b64 exec, s[14:15]
	s_cbranch_execz .LBB117_861
; %bb.860:
	v_lshlrev_b32_e32 v23, 2, v21
	ds_read_b32 v23, v23 offset:12736
	ds_read_b32 v24, v22
	s_waitcnt lgkmcnt(0)
	v_fmac_f32_e32 v25, v23, v24
.LBB117_861:
	s_or_b64 exec, exec, s[12:13]
	s_barrier
	;; [unrolled: 26-line block ×13, first 2 shown]
	s_mov_b64 s[12:13], exec
	v_readlane_b32 s14, v33, 54
	v_readlane_b32 s15, v33, 55
	s_and_b64 s[14:15], s[12:13], s[14:15]
	s_mov_b64 exec, s[14:15]
; %bb.906:
	ds_write_b32 v22, v25
; %bb.907:
	s_or_b64 exec, exec, s[12:13]
	s_waitcnt lgkmcnt(0)
	s_barrier
	s_and_saveexec_b64 s[12:13], s[0:1]
	s_cbranch_execz .LBB117_909
; %bb.908:
	v_lshlrev_b32_e32 v21, 2, v21
	ds_read_b32 v21, v21 offset:15808
	ds_read_b32 v23, v22
	s_waitcnt lgkmcnt(0)
	v_fmac_f32_e32 v25, v21, v23
.LBB117_909:
	s_or_b64 exec, exec, s[12:13]
	s_barrier
	s_mov_b64 s[0:1], exec
	v_readlane_b32 s12, v33, 56
	v_readlane_b32 s13, v33, 57
	s_and_b64 s[12:13], s[0:1], s[12:13]
	s_mov_b64 exec, s[12:13]
; %bb.910:
	ds_write_b32 v22, v25
; %bb.911:
	s_or_b64 exec, exec, s[0:1]
	s_waitcnt lgkmcnt(0)
	s_barrier
	s_and_saveexec_b64 s[0:1], s[92:93]
	s_cbranch_execz .LBB117_913
; %bb.912:
	v_mov_b32_e32 v21, 0
	ds_read_b32 v21, v21 offset:16124
	ds_read_b32 v23, v22
	s_waitcnt lgkmcnt(0)
	v_fmac_f32_e32 v25, v21, v23
.LBB117_913:
	s_or_b64 exec, exec, s[0:1]
	s_barrier
	s_and_saveexec_b64 s[0:1], s[92:93]
; %bb.914:
	ds_write_b32 v22, v25
; %bb.915:
	s_or_b64 exec, exec, s[0:1]
	s_waitcnt lgkmcnt(0)
	s_barrier
	s_barrier
	s_and_saveexec_b64 s[0:1], s[10:11]
; %bb.916:
	v_xor_b32_e32 v21, 0x80000000, v25
	ds_write_b32 v20, v21 offset:8384
; %bb.917:
	s_or_b64 exec, exec, s[0:1]
	s_waitcnt lgkmcnt(0)
	s_barrier
	s_barrier
	s_mov_b64 s[0:1], exec
	v_readlane_b32 s10, v33, 58
	v_readlane_b32 s11, v33, 59
	s_and_b64 s[10:11], s[0:1], s[10:11]
	s_mov_b64 exec, s[10:11]
	s_cbranch_execz .LBB117_919
; %bb.918:
	v_lshlrev_b32_e32 v20, 8, v0
	ds_read_b32 v21, v20 offset:8384
	s_movk_i32 s10, 0xff04
	v_mad_i32_i24 v22, v0, s10, v20
	s_waitcnt lgkmcnt(0)
	ds_write_b32 v22, v21 offset:12416
	ds_read_b32 v21, v20 offset:8388
	s_waitcnt lgkmcnt(0)
	ds_write_b32 v22, v21 offset:12672
	ds_read_b32 v21, v20 offset:8392
	;; [unrolled: 3-line block ×15, first 2 shown]
	s_waitcnt lgkmcnt(0)
	ds_write_b32 v22, v20 offset:16256
.LBB117_919:
	s_or_b64 exec, exec, s[0:1]
	s_waitcnt lgkmcnt(0)
	s_barrier
	s_and_saveexec_b64 s[0:1], vcc
	s_cbranch_execz .LBB117_921
; %bb.920:
	v_mov_b32_e32 v22, 0
	ds_read_b32 v20, v22 offset:12484
	v_mov_b32_e32 v21, 1.0
	ds_write_b32 v22, v21 offset:12480
	s_waitcnt lgkmcnt(1)
	ds_write_b64 v22, v[20:21] offset:12736
.LBB117_921:
	s_or_b64 exec, exec, s[0:1]
	v_mov_b32_e32 v20, 0
	s_waitcnt lgkmcnt(0)
	s_barrier
	s_and_saveexec_b64 s[0:1], s[2:3]
	s_cbranch_execz .LBB117_925
; %bb.922:
	v_mul_u32_u24_e32 v20, 0x104, v5
	ds_read_b32 v22, v2 offset:12488
	ds_read_b32 v20, v20 offset:12480
	v_mov_b32_e32 v21, 0
	v_cmp_gt_u32_e64 s[10:11], 2, v4
	s_waitcnt lgkmcnt(0)
	v_fma_f32 v20, v22, v20, 0
	s_and_saveexec_b64 s[12:13], s[10:11]
	s_cbranch_execz .LBB117_924
; %bb.923:
	v_lshlrev_b32_e32 v22, 2, v0
	ds_read_b32 v22, v22 offset:12744
	ds_read_b32 v21, v21 offset:12484
	s_waitcnt lgkmcnt(0)
	v_fmac_f32_e32 v20, v22, v21
.LBB117_924:
	s_or_b64 exec, exec, s[12:13]
	v_xor_b32_e32 v20, 0x80000000, v20
.LBB117_925:
	s_or_b64 exec, exec, s[0:1]
	s_and_saveexec_b64 s[0:1], s[40:41]
; %bb.926:
	ds_write_b32 v3, v20
; %bb.927:
	s_or_b64 exec, exec, s[0:1]
	s_waitcnt lgkmcnt(0)
	s_barrier
	s_and_saveexec_b64 s[0:1], s[38:39]
	s_cbranch_execz .LBB117_929
; %bb.928:
	v_mov_b32_e32 v21, 0
	ds_read_b32 v21, v21 offset:13004
	ds_read_b32 v22, v3
	s_waitcnt lgkmcnt(0)
	v_fmac_f32_e32 v20, v21, v22
.LBB117_929:
	s_or_b64 exec, exec, s[0:1]
	s_barrier
	s_and_saveexec_b64 s[0:1], s[38:39]
; %bb.930:
	ds_write_b32 v3, v20
; %bb.931:
	s_or_b64 exec, exec, s[0:1]
	s_waitcnt lgkmcnt(0)
	s_barrier
	s_barrier
	s_and_saveexec_b64 s[0:1], s[2:3]
; %bb.932:
	v_xor_b32_e32 v20, 0x80000000, v20
	ds_write_b32 v2, v20 offset:12488
; %bb.933:
	s_or_b64 exec, exec, s[0:1]
	s_waitcnt lgkmcnt(0)
	s_barrier
	s_barrier
	s_and_saveexec_b64 s[0:1], s[42:43]
	s_cbranch_execz .LBB117_935
; %bb.934:
	v_lshlrev_b32_e32 v20, 2, v0
	s_movk_i32 s10, 0xfc
	v_mad_u32_u24 v21, v0, s10, v20
	ds_read_b32 v22, v21 offset:12488
	s_waitcnt lgkmcnt(0)
	ds_write_b32 v20, v22 offset:12992
	ds_read_b32 v21, v21 offset:12492
	s_waitcnt lgkmcnt(0)
	ds_write_b32 v20, v21 offset:13248
.LBB117_935:
	s_or_b64 exec, exec, s[0:1]
	s_waitcnt lgkmcnt(0)
	s_barrier
	s_and_saveexec_b64 s[0:1], vcc
	s_cbranch_execz .LBB117_937
; %bb.936:
	v_mov_b32_e32 v22, 0
	ds_read_b32 v20, v22 offset:13004
	v_mov_b32_e32 v21, 1.0
	ds_write_b32 v22, v21 offset:13000
	s_waitcnt lgkmcnt(1)
	ds_write_b64 v22, v[20:21] offset:13256
.LBB117_937:
	s_or_b64 exec, exec, s[0:1]
	v_mov_b32_e32 v20, 0
	s_waitcnt lgkmcnt(0)
	s_barrier
	s_and_saveexec_b64 s[0:1], s[18:19]
	s_cbranch_execz .LBB117_943
; %bb.938:
	v_mul_u32_u24_e32 v21, 0x104, v14
	ds_read_b32 v20, v10 offset:12496
	ds_read_b32 v22, v21 offset:12480
	v_cmp_gt_u32_e64 s[10:11], 12, v4
	s_waitcnt lgkmcnt(0)
	v_fma_f32 v20, v20, v22, 0
	s_and_saveexec_b64 s[12:13], s[10:11]
	s_cbranch_execnz .LBB117_1210
; %bb.939:
	s_or_b64 exec, exec, s[12:13]
	v_cmp_gt_u32_e64 s[10:11], 8, v4
	s_and_saveexec_b64 s[12:13], s[10:11]
	s_cbranch_execnz .LBB117_1211
.LBB117_940:
	s_or_b64 exec, exec, s[12:13]
	v_cmp_gt_u32_e64 s[10:11], 4, v4
	s_and_saveexec_b64 s[12:13], s[10:11]
	s_cbranch_execz .LBB117_942
.LBB117_941:
	v_lshlrev_b32_e32 v21, 2, v0
	v_mov_b32_e32 v22, 0
	ds_read_b32 v21, v21 offset:13264
	ds_read_b32 v22, v22 offset:12492
	s_waitcnt lgkmcnt(0)
	v_fmac_f32_e32 v20, v21, v22
.LBB117_942:
	s_or_b64 exec, exec, s[12:13]
	v_xor_b32_e32 v20, 0x80000000, v20
.LBB117_943:
	s_or_b64 exec, exec, s[0:1]
	s_and_saveexec_b64 s[0:1], s[46:47]
; %bb.944:
	ds_write_b32 v12, v20
; %bb.945:
	s_or_b64 exec, exec, s[0:1]
	s_waitcnt lgkmcnt(0)
	s_barrier
	s_and_saveexec_b64 s[0:1], s[48:49]
	s_cbranch_execz .LBB117_947
; %bb.946:
	ds_read_b32 v21, v11 offset:13520
	ds_read_b32 v22, v12
	s_waitcnt lgkmcnt(0)
	v_fmac_f32_e32 v20, v21, v22
.LBB117_947:
	s_or_b64 exec, exec, s[0:1]
	s_barrier
	s_and_saveexec_b64 s[0:1], s[50:51]
; %bb.948:
	ds_write_b32 v12, v20
; %bb.949:
	s_or_b64 exec, exec, s[0:1]
	s_waitcnt lgkmcnt(0)
	s_barrier
	s_and_saveexec_b64 s[0:1], s[52:53]
	s_cbranch_execz .LBB117_951
; %bb.950:
	ds_read_b32 v21, v11 offset:13776
	ds_read_b32 v22, v12
	s_waitcnt lgkmcnt(0)
	v_fmac_f32_e32 v20, v21, v22
.LBB117_951:
	s_or_b64 exec, exec, s[0:1]
	s_barrier
	s_and_saveexec_b64 s[0:1], s[54:55]
; %bb.952:
	ds_write_b32 v12, v20
; %bb.953:
	s_or_b64 exec, exec, s[0:1]
	s_waitcnt lgkmcnt(0)
	s_barrier
	s_and_saveexec_b64 s[0:1], s[44:45]
	s_cbranch_execz .LBB117_955
; %bb.954:
	v_mov_b32_e32 v21, 0
	ds_read_b32 v21, v21 offset:14044
	ds_read_b32 v22, v12
	s_waitcnt lgkmcnt(0)
	v_fmac_f32_e32 v20, v21, v22
.LBB117_955:
	s_or_b64 exec, exec, s[0:1]
	s_barrier
	s_and_saveexec_b64 s[0:1], s[44:45]
; %bb.956:
	ds_write_b32 v12, v20
; %bb.957:
	s_or_b64 exec, exec, s[0:1]
	s_waitcnt lgkmcnt(0)
	s_barrier
	s_barrier
	s_and_saveexec_b64 s[0:1], s[18:19]
; %bb.958:
	v_xor_b32_e32 v20, 0x80000000, v20
	ds_write_b32 v10, v20 offset:12496
; %bb.959:
	s_or_b64 exec, exec, s[0:1]
	s_waitcnt lgkmcnt(0)
	s_barrier
	s_barrier
	s_and_saveexec_b64 s[0:1], s[56:57]
	s_cbranch_execz .LBB117_961
; %bb.960:
	v_lshlrev_b32_e32 v20, 8, v0
	ds_read_b32 v21, v20 offset:12496
	s_movk_i32 s10, 0xff04
	v_mad_i32_i24 v22, v0, s10, v20
	s_waitcnt lgkmcnt(0)
	ds_write_b32 v22, v21 offset:13504
	ds_read_b32 v21, v20 offset:12500
	s_waitcnt lgkmcnt(0)
	ds_write_b32 v22, v21 offset:13760
	ds_read_b32 v21, v20 offset:12504
	;; [unrolled: 3-line block ×3, first 2 shown]
	s_waitcnt lgkmcnt(0)
	ds_write_b32 v22, v20 offset:14272
.LBB117_961:
	s_or_b64 exec, exec, s[0:1]
	s_waitcnt lgkmcnt(0)
	s_barrier
	s_and_saveexec_b64 s[0:1], vcc
	s_cbranch_execz .LBB117_963
; %bb.962:
	v_mov_b32_e32 v22, 0
	ds_read_b32 v20, v22 offset:13524
	v_mov_b32_e32 v21, 1.0
	ds_write_b32 v22, v21 offset:13520
	s_waitcnt lgkmcnt(1)
	ds_write_b64 v22, v[20:21] offset:13776
.LBB117_963:
	s_or_b64 exec, exec, s[0:1]
	v_mov_b32_e32 v20, 0
	s_waitcnt lgkmcnt(0)
	s_barrier
	s_and_saveexec_b64 s[0:1], s[2:3]
	s_cbranch_execz .LBB117_967
; %bb.964:
	v_mul_u32_u24_e32 v20, 0x104, v5
	ds_read_b32 v22, v2 offset:13528
	ds_read_b32 v20, v20 offset:13520
	v_mov_b32_e32 v21, 0
	v_cmp_gt_u32_e64 s[10:11], 2, v4
	s_waitcnt lgkmcnt(0)
	v_fma_f32 v20, v22, v20, 0
	s_and_saveexec_b64 s[12:13], s[10:11]
	s_cbranch_execz .LBB117_966
; %bb.965:
	v_lshlrev_b32_e32 v22, 2, v0
	ds_read_b32 v22, v22 offset:13784
	ds_read_b32 v21, v21 offset:13524
	s_waitcnt lgkmcnt(0)
	v_fmac_f32_e32 v20, v22, v21
.LBB117_966:
	s_or_b64 exec, exec, s[12:13]
	v_xor_b32_e32 v20, 0x80000000, v20
.LBB117_967:
	s_or_b64 exec, exec, s[0:1]
	s_and_saveexec_b64 s[0:1], s[40:41]
; %bb.968:
	ds_write_b32 v3, v20
; %bb.969:
	s_or_b64 exec, exec, s[0:1]
	s_waitcnt lgkmcnt(0)
	s_barrier
	s_and_saveexec_b64 s[0:1], s[38:39]
	s_cbranch_execz .LBB117_971
; %bb.970:
	v_mov_b32_e32 v21, 0
	ds_read_b32 v21, v21 offset:14044
	ds_read_b32 v22, v3
	s_waitcnt lgkmcnt(0)
	v_fmac_f32_e32 v20, v21, v22
.LBB117_971:
	s_or_b64 exec, exec, s[0:1]
	s_barrier
	s_and_saveexec_b64 s[0:1], s[38:39]
; %bb.972:
	ds_write_b32 v3, v20
; %bb.973:
	s_or_b64 exec, exec, s[0:1]
	s_waitcnt lgkmcnt(0)
	s_barrier
	s_barrier
	s_and_saveexec_b64 s[0:1], s[2:3]
; %bb.974:
	v_xor_b32_e32 v20, 0x80000000, v20
	ds_write_b32 v2, v20 offset:13528
; %bb.975:
	s_or_b64 exec, exec, s[0:1]
	s_waitcnt lgkmcnt(0)
	s_barrier
	s_barrier
	s_and_saveexec_b64 s[0:1], s[42:43]
	s_cbranch_execz .LBB117_977
; %bb.976:
	v_lshlrev_b32_e32 v20, 2, v0
	s_movk_i32 s10, 0xfc
	v_mad_u32_u24 v21, v0, s10, v20
	ds_read_b32 v22, v21 offset:13528
	s_waitcnt lgkmcnt(0)
	ds_write_b32 v20, v22 offset:14032
	ds_read_b32 v21, v21 offset:13532
	s_waitcnt lgkmcnt(0)
	ds_write_b32 v20, v21 offset:14288
.LBB117_977:
	s_or_b64 exec, exec, s[0:1]
	s_waitcnt lgkmcnt(0)
	s_barrier
	s_and_saveexec_b64 s[0:1], vcc
	s_cbranch_execz .LBB117_979
; %bb.978:
	v_mov_b32_e32 v22, 0
	ds_read_b32 v20, v22 offset:14044
	v_mov_b32_e32 v21, 1.0
	ds_write_b32 v22, v21 offset:14040
	s_waitcnt lgkmcnt(1)
	ds_write_b64 v22, v[20:21] offset:14296
.LBB117_979:
	s_or_b64 exec, exec, s[0:1]
	v_mov_b32_e32 v20, 0
	s_waitcnt lgkmcnt(0)
	s_barrier
	s_and_saveexec_b64 s[0:1], s[8:9]
	s_cbranch_execz .LBB117_989
; %bb.980:
	v_mul_u32_u24_e32 v21, 0x104, v19
	ds_read_b32 v20, v15 offset:12512
	ds_read_b32 v22, v21 offset:12480
	v_cmp_gt_u32_e64 s[10:11], 56, v4
	s_waitcnt lgkmcnt(0)
	v_fma_f32 v20, v20, v22, 0
	s_and_saveexec_b64 s[12:13], s[10:11]
	s_cbranch_execnz .LBB117_1212
; %bb.981:
	s_or_b64 exec, exec, s[12:13]
	v_cmp_gt_u32_e64 s[10:11], 48, v4
	s_and_saveexec_b64 s[12:13], s[10:11]
	s_cbranch_execnz .LBB117_1213
.LBB117_982:
	s_or_b64 exec, exec, s[12:13]
	v_cmp_gt_u32_e64 s[10:11], 40, v4
	s_and_saveexec_b64 s[12:13], s[10:11]
	s_cbranch_execnz .LBB117_1214
.LBB117_983:
	s_or_b64 exec, exec, s[12:13]
	v_cmp_gt_u32_e64 s[10:11], 32, v4
	s_and_saveexec_b64 s[12:13], s[10:11]
	s_cbranch_execnz .LBB117_1215
.LBB117_984:
	s_or_b64 exec, exec, s[12:13]
	v_cmp_gt_u32_e64 s[10:11], 24, v4
	s_and_saveexec_b64 s[12:13], s[10:11]
	s_cbranch_execnz .LBB117_1216
.LBB117_985:
	s_or_b64 exec, exec, s[12:13]
	v_cmp_gt_u32_e64 s[10:11], 16, v4
	s_and_saveexec_b64 s[12:13], s[10:11]
	s_cbranch_execnz .LBB117_1217
.LBB117_986:
	s_or_b64 exec, exec, s[12:13]
	v_cmp_gt_u32_e64 s[10:11], 8, v4
	s_and_saveexec_b64 s[12:13], s[10:11]
	s_cbranch_execz .LBB117_988
.LBB117_987:
	v_lshlrev_b32_e32 v18, 2, v0
	v_mov_b32_e32 v19, 0
	ds_read_b32 v18, v18 offset:14304
	ds_read_b32 v19, v19 offset:12508
	s_waitcnt lgkmcnt(0)
	v_fmac_f32_e32 v20, v18, v19
.LBB117_988:
	s_or_b64 exec, exec, s[12:13]
	v_xor_b32_e32 v20, 0x80000000, v20
.LBB117_989:
	s_or_b64 exec, exec, s[0:1]
	s_and_saveexec_b64 s[0:1], s[58:59]
; %bb.990:
	ds_write_b32 v17, v20
; %bb.991:
	s_or_b64 exec, exec, s[0:1]
	s_waitcnt lgkmcnt(0)
	s_barrier
	s_and_saveexec_b64 s[0:1], s[60:61]
	s_cbranch_execz .LBB117_993
; %bb.992:
	ds_read_b32 v18, v16 offset:14560
	ds_read_b32 v19, v17
	s_waitcnt lgkmcnt(0)
	v_fmac_f32_e32 v20, v18, v19
.LBB117_993:
	s_or_b64 exec, exec, s[0:1]
	s_barrier
	s_and_saveexec_b64 s[0:1], s[62:63]
; %bb.994:
	ds_write_b32 v17, v20
; %bb.995:
	s_or_b64 exec, exec, s[0:1]
	s_waitcnt lgkmcnt(0)
	s_barrier
	s_and_saveexec_b64 s[0:1], s[64:65]
	s_cbranch_execz .LBB117_997
; %bb.996:
	ds_read_b32 v18, v16 offset:14816
	ds_read_b32 v19, v17
	s_waitcnt lgkmcnt(0)
	v_fmac_f32_e32 v20, v18, v19
.LBB117_997:
	s_or_b64 exec, exec, s[0:1]
	s_barrier
	;; [unrolled: 17-line block ×6, first 2 shown]
	s_and_saveexec_b64 s[0:1], s[84:85]
; %bb.1014:
	ds_write_b32 v17, v20
; %bb.1015:
	s_or_b64 exec, exec, s[0:1]
	s_waitcnt lgkmcnt(0)
	s_barrier
	s_and_saveexec_b64 s[0:1], s[66:67]
	s_cbranch_execz .LBB117_1017
; %bb.1016:
	v_mov_b32_e32 v16, 0
	ds_read_b32 v16, v16 offset:16124
	ds_read_b32 v18, v17
	s_waitcnt lgkmcnt(0)
	v_fmac_f32_e32 v20, v16, v18
.LBB117_1017:
	s_or_b64 exec, exec, s[0:1]
	s_barrier
	s_and_saveexec_b64 s[0:1], s[66:67]
; %bb.1018:
	ds_write_b32 v17, v20
; %bb.1019:
	s_or_b64 exec, exec, s[0:1]
	s_waitcnt lgkmcnt(0)
	s_barrier
	s_barrier
	s_and_saveexec_b64 s[0:1], s[8:9]
; %bb.1020:
	v_xor_b32_e32 v16, 0x80000000, v20
	ds_write_b32 v15, v16 offset:12512
; %bb.1021:
	s_or_b64 exec, exec, s[0:1]
	s_waitcnt lgkmcnt(0)
	s_barrier
	s_barrier
	s_and_saveexec_b64 s[0:1], s[86:87]
	s_cbranch_execz .LBB117_1023
; %bb.1022:
	v_lshlrev_b32_e32 v15, 8, v0
	ds_read_b32 v16, v15 offset:12512
	s_movk_i32 s8, 0xff04
	v_mad_i32_i24 v17, v0, s8, v15
	s_waitcnt lgkmcnt(0)
	ds_write_b32 v17, v16 offset:14528
	ds_read_b32 v16, v15 offset:12516
	s_waitcnt lgkmcnt(0)
	ds_write_b32 v17, v16 offset:14784
	ds_read_b32 v16, v15 offset:12520
	;; [unrolled: 3-line block ×7, first 2 shown]
	s_waitcnt lgkmcnt(0)
	ds_write_b32 v17, v15 offset:16320
.LBB117_1023:
	s_or_b64 exec, exec, s[0:1]
	s_waitcnt lgkmcnt(0)
	s_barrier
	s_and_saveexec_b64 s[0:1], vcc
	s_cbranch_execz .LBB117_1025
; %bb.1024:
	v_mov_b32_e32 v17, 0
	ds_read_b32 v15, v17 offset:14564
	v_mov_b32_e32 v16, 1.0
	ds_write_b32 v17, v16 offset:14560
	s_waitcnt lgkmcnt(1)
	ds_write_b64 v17, v[15:16] offset:14816
.LBB117_1025:
	s_or_b64 exec, exec, s[0:1]
	v_mov_b32_e32 v15, 0
	s_waitcnt lgkmcnt(0)
	s_barrier
	s_and_saveexec_b64 s[0:1], s[2:3]
	s_cbranch_execz .LBB117_1029
; %bb.1026:
	v_mul_u32_u24_e32 v15, 0x104, v5
	ds_read_b32 v17, v2 offset:14568
	ds_read_b32 v15, v15 offset:14560
	v_mov_b32_e32 v16, 0
	v_cmp_gt_u32_e64 s[8:9], 2, v4
	s_waitcnt lgkmcnt(0)
	v_fma_f32 v15, v17, v15, 0
	s_and_saveexec_b64 s[10:11], s[8:9]
	s_cbranch_execz .LBB117_1028
; %bb.1027:
	v_lshlrev_b32_e32 v17, 2, v0
	ds_read_b32 v17, v17 offset:14824
	ds_read_b32 v16, v16 offset:14564
	s_waitcnt lgkmcnt(0)
	v_fmac_f32_e32 v15, v17, v16
.LBB117_1028:
	s_or_b64 exec, exec, s[10:11]
	v_xor_b32_e32 v15, 0x80000000, v15
.LBB117_1029:
	s_or_b64 exec, exec, s[0:1]
	s_and_saveexec_b64 s[0:1], s[40:41]
; %bb.1030:
	ds_write_b32 v3, v15
; %bb.1031:
	s_or_b64 exec, exec, s[0:1]
	s_waitcnt lgkmcnt(0)
	s_barrier
	s_and_saveexec_b64 s[0:1], s[38:39]
	s_cbranch_execz .LBB117_1033
; %bb.1032:
	v_mov_b32_e32 v16, 0
	ds_read_b32 v16, v16 offset:15084
	ds_read_b32 v17, v3
	s_waitcnt lgkmcnt(0)
	v_fmac_f32_e32 v15, v16, v17
.LBB117_1033:
	s_or_b64 exec, exec, s[0:1]
	s_barrier
	s_and_saveexec_b64 s[0:1], s[38:39]
; %bb.1034:
	ds_write_b32 v3, v15
; %bb.1035:
	s_or_b64 exec, exec, s[0:1]
	s_waitcnt lgkmcnt(0)
	s_barrier
	s_barrier
	s_and_saveexec_b64 s[0:1], s[2:3]
; %bb.1036:
	v_xor_b32_e32 v15, 0x80000000, v15
	ds_write_b32 v2, v15 offset:14568
; %bb.1037:
	s_or_b64 exec, exec, s[0:1]
	s_waitcnt lgkmcnt(0)
	s_barrier
	s_barrier
	s_and_saveexec_b64 s[0:1], s[42:43]
	s_cbranch_execz .LBB117_1039
; %bb.1038:
	v_lshlrev_b32_e32 v15, 2, v0
	s_movk_i32 s8, 0xfc
	v_mad_u32_u24 v16, v0, s8, v15
	ds_read_b32 v17, v16 offset:14568
	s_waitcnt lgkmcnt(0)
	ds_write_b32 v15, v17 offset:15072
	ds_read_b32 v16, v16 offset:14572
	s_waitcnt lgkmcnt(0)
	ds_write_b32 v15, v16 offset:15328
.LBB117_1039:
	s_or_b64 exec, exec, s[0:1]
	s_waitcnt lgkmcnt(0)
	s_barrier
	s_and_saveexec_b64 s[0:1], vcc
	s_cbranch_execz .LBB117_1041
; %bb.1040:
	v_mov_b32_e32 v17, 0
	ds_read_b32 v15, v17 offset:15084
	v_mov_b32_e32 v16, 1.0
	ds_write_b32 v17, v16 offset:15080
	s_waitcnt lgkmcnt(1)
	ds_write_b64 v17, v[15:16] offset:15336
.LBB117_1041:
	s_or_b64 exec, exec, s[0:1]
	v_mov_b32_e32 v15, 0
	s_waitcnt lgkmcnt(0)
	s_barrier
	s_and_saveexec_b64 s[0:1], s[18:19]
	s_cbranch_execz .LBB117_1047
; %bb.1042:
	v_mul_u32_u24_e32 v16, 0x104, v14
	ds_read_b32 v15, v10 offset:14576
	ds_read_b32 v17, v16 offset:14560
	v_cmp_gt_u32_e64 s[8:9], 12, v4
	s_waitcnt lgkmcnt(0)
	v_fma_f32 v15, v15, v17, 0
	s_and_saveexec_b64 s[10:11], s[8:9]
	s_cbranch_execnz .LBB117_1218
; %bb.1043:
	s_or_b64 exec, exec, s[10:11]
	v_cmp_gt_u32_e64 s[8:9], 8, v4
	s_and_saveexec_b64 s[10:11], s[8:9]
	s_cbranch_execnz .LBB117_1219
.LBB117_1044:
	s_or_b64 exec, exec, s[10:11]
	v_cmp_gt_u32_e64 s[8:9], 4, v4
	s_and_saveexec_b64 s[10:11], s[8:9]
	s_cbranch_execz .LBB117_1046
.LBB117_1045:
	v_lshlrev_b32_e32 v13, 2, v0
	v_mov_b32_e32 v14, 0
	ds_read_b32 v13, v13 offset:15344
	ds_read_b32 v14, v14 offset:14572
	s_waitcnt lgkmcnt(0)
	v_fmac_f32_e32 v15, v13, v14
.LBB117_1046:
	s_or_b64 exec, exec, s[10:11]
	v_xor_b32_e32 v15, 0x80000000, v15
.LBB117_1047:
	s_or_b64 exec, exec, s[0:1]
	s_and_saveexec_b64 s[0:1], s[46:47]
; %bb.1048:
	ds_write_b32 v12, v15
; %bb.1049:
	s_or_b64 exec, exec, s[0:1]
	s_waitcnt lgkmcnt(0)
	s_barrier
	s_and_saveexec_b64 s[0:1], s[48:49]
	s_cbranch_execz .LBB117_1051
; %bb.1050:
	ds_read_b32 v13, v11 offset:15600
	ds_read_b32 v14, v12
	s_waitcnt lgkmcnt(0)
	v_fmac_f32_e32 v15, v13, v14
.LBB117_1051:
	s_or_b64 exec, exec, s[0:1]
	s_barrier
	s_and_saveexec_b64 s[0:1], s[50:51]
; %bb.1052:
	ds_write_b32 v12, v15
; %bb.1053:
	s_or_b64 exec, exec, s[0:1]
	s_waitcnt lgkmcnt(0)
	s_barrier
	s_and_saveexec_b64 s[0:1], s[52:53]
	s_cbranch_execz .LBB117_1055
; %bb.1054:
	ds_read_b32 v11, v11 offset:15856
	ds_read_b32 v13, v12
	s_waitcnt lgkmcnt(0)
	v_fmac_f32_e32 v15, v11, v13
.LBB117_1055:
	s_or_b64 exec, exec, s[0:1]
	s_barrier
	s_and_saveexec_b64 s[0:1], s[54:55]
; %bb.1056:
	ds_write_b32 v12, v15
; %bb.1057:
	s_or_b64 exec, exec, s[0:1]
	s_waitcnt lgkmcnt(0)
	s_barrier
	s_and_saveexec_b64 s[0:1], s[44:45]
	s_cbranch_execz .LBB117_1059
; %bb.1058:
	v_mov_b32_e32 v11, 0
	ds_read_b32 v11, v11 offset:16124
	ds_read_b32 v13, v12
	s_waitcnt lgkmcnt(0)
	v_fmac_f32_e32 v15, v11, v13
.LBB117_1059:
	s_or_b64 exec, exec, s[0:1]
	s_barrier
	s_and_saveexec_b64 s[0:1], s[44:45]
; %bb.1060:
	ds_write_b32 v12, v15
; %bb.1061:
	s_or_b64 exec, exec, s[0:1]
	s_waitcnt lgkmcnt(0)
	s_barrier
	s_barrier
	s_and_saveexec_b64 s[0:1], s[18:19]
; %bb.1062:
	v_xor_b32_e32 v11, 0x80000000, v15
	ds_write_b32 v10, v11 offset:14576
; %bb.1063:
	s_or_b64 exec, exec, s[0:1]
	s_waitcnt lgkmcnt(0)
	s_barrier
	s_barrier
	s_and_saveexec_b64 s[0:1], s[56:57]
	s_cbranch_execz .LBB117_1065
; %bb.1064:
	v_lshlrev_b32_e32 v10, 8, v0
	ds_read_b32 v11, v10 offset:14576
	s_movk_i32 s8, 0xff04
	v_mad_i32_i24 v12, v0, s8, v10
	s_waitcnt lgkmcnt(0)
	ds_write_b32 v12, v11 offset:15584
	ds_read_b32 v11, v10 offset:14580
	s_waitcnt lgkmcnt(0)
	ds_write_b32 v12, v11 offset:15840
	ds_read_b32 v11, v10 offset:14584
	;; [unrolled: 3-line block ×3, first 2 shown]
	s_waitcnt lgkmcnt(0)
	ds_write_b32 v12, v10 offset:16352
.LBB117_1065:
	s_or_b64 exec, exec, s[0:1]
	s_waitcnt lgkmcnt(0)
	s_barrier
	s_and_saveexec_b64 s[0:1], vcc
	s_cbranch_execz .LBB117_1067
; %bb.1066:
	v_mov_b32_e32 v12, 0
	ds_read_b32 v10, v12 offset:15604
	v_mov_b32_e32 v11, 1.0
	ds_write_b32 v12, v11 offset:15600
	s_waitcnt lgkmcnt(1)
	ds_write_b64 v12, v[10:11] offset:15856
.LBB117_1067:
	s_or_b64 exec, exec, s[0:1]
	v_mov_b32_e32 v10, 0
	s_waitcnt lgkmcnt(0)
	s_barrier
	s_and_saveexec_b64 s[0:1], s[2:3]
	s_cbranch_execz .LBB117_1071
; %bb.1068:
	v_mul_u32_u24_e32 v5, 0x104, v5
	ds_read_b32 v11, v2 offset:15608
	ds_read_b32 v5, v5 offset:15600
	v_mov_b32_e32 v10, 0
	v_cmp_gt_u32_e64 s[8:9], 2, v4
	s_waitcnt lgkmcnt(0)
	v_fma_f32 v5, v11, v5, 0
	s_and_saveexec_b64 s[10:11], s[8:9]
	s_cbranch_execz .LBB117_1070
; %bb.1069:
	v_lshlrev_b32_e32 v4, 2, v0
	ds_read_b32 v4, v4 offset:15864
	ds_read_b32 v10, v10 offset:15604
	s_waitcnt lgkmcnt(0)
	v_fmac_f32_e32 v5, v4, v10
.LBB117_1070:
	s_or_b64 exec, exec, s[10:11]
	v_xor_b32_e32 v10, 0x80000000, v5
.LBB117_1071:
	s_or_b64 exec, exec, s[0:1]
	s_and_saveexec_b64 s[0:1], s[40:41]
; %bb.1072:
	ds_write_b32 v3, v10
; %bb.1073:
	s_or_b64 exec, exec, s[0:1]
	s_waitcnt lgkmcnt(0)
	s_barrier
	s_and_saveexec_b64 s[0:1], s[38:39]
	v_readlane_b32 s40, v33, 0
	v_readlane_b32 s41, v33, 1
	s_cbranch_execz .LBB117_1075
; %bb.1074:
	v_mov_b32_e32 v4, 0
	ds_read_b32 v4, v4 offset:16124
	ds_read_b32 v5, v3
	s_waitcnt lgkmcnt(0)
	v_fmac_f32_e32 v10, v4, v5
.LBB117_1075:
	s_or_b64 exec, exec, s[0:1]
	s_barrier
	s_and_saveexec_b64 s[0:1], s[38:39]
; %bb.1076:
	ds_write_b32 v3, v10
; %bb.1077:
	s_or_b64 exec, exec, s[0:1]
	s_waitcnt lgkmcnt(0)
	s_barrier
	s_barrier
	s_and_saveexec_b64 s[0:1], s[2:3]
; %bb.1078:
	v_xor_b32_e32 v3, 0x80000000, v10
	ds_write_b32 v2, v3 offset:15608
; %bb.1079:
	s_or_b64 exec, exec, s[0:1]
	s_waitcnt lgkmcnt(0)
	s_barrier
	s_barrier
	s_and_saveexec_b64 s[0:1], s[42:43]
	s_cbranch_execz .LBB117_1081
; %bb.1080:
	v_lshlrev_b32_e32 v2, 2, v0
	s_movk_i32 s2, 0xfc
	v_mad_u32_u24 v3, v0, s2, v2
	ds_read_b32 v4, v3 offset:15608
	s_waitcnt lgkmcnt(0)
	ds_write_b32 v2, v4 offset:16112
	ds_read_b32 v3, v3 offset:15612
	s_waitcnt lgkmcnt(0)
	ds_write_b32 v2, v3 offset:16368
.LBB117_1081:
	s_or_b64 exec, exec, s[0:1]
	s_waitcnt lgkmcnt(0)
	s_barrier
	s_and_saveexec_b64 s[0:1], vcc
	s_cbranch_execz .LBB117_1083
; %bb.1082:
	v_mov_b32_e32 v4, 0
	ds_read_b32 v2, v4 offset:16124
	v_mov_b32_e32 v3, 1.0
	ds_write_b32 v4, v3 offset:16120
	s_waitcnt lgkmcnt(1)
	ds_write_b64 v4, v[2:3] offset:16376
.LBB117_1083:
	s_or_b64 exec, exec, s[0:1]
.LBB117_1084:
	s_load_dwordx4 s[0:3], s[4:5], 0x30
	v_cmp_le_i32_e32 vcc, s88, v0
	v_mov_b32_e32 v11, 0
	v_lshl_add_u32 v2, s33, 6, v0
	s_waitcnt lgkmcnt(0)
	s_lshl_b64 s[0:1], s[2:3], 2
	s_add_u32 s20, s36, s0
	s_addc_u32 s21, s37, s1
	s_and_b64 s[14:15], vcc, s[30:31]
	v_cmp_eq_u32_e64 s[2:3], 0, v1
	s_xor_b64 s[0:1], s[14:15], -1
	s_and_b64 s[8:9], s[2:3], s[0:1]
	s_barrier
	s_and_saveexec_b64 s[0:1], s[8:9]
	s_cbranch_execz .LBB117_1086
; %bb.1085:
	v_ashrrev_i32_e32 v5, 31, v2
	v_mul_lo_u32 v10, s27, v2
	v_mad_u64_u32 v[3:4], s[8:9], s26, v2, 0
	v_mul_lo_u32 v5, s26, v5
	s_load_dword s8, s[4:5], 0x28
	v_add3_u32 v4, v4, v5, v10
	v_lshlrev_b64 v[3:4], 2, v[3:4]
	v_mov_b32_e32 v5, s21
	v_add_co_u32_e32 v3, vcc, s20, v3
	v_addc_co_u32_e32 v4, vcc, v5, v4, vcc
	flat_load_dword v3, v[3:4]
	s_waitcnt vmcnt(0) lgkmcnt(0)
	v_mul_f32_e64 v11, v3, -s8
.LBB117_1086:
	s_or_b64 exec, exec, s[0:1]
	s_load_dwordx2 s[0:1], s[4:5], 0x50
	s_and_b32 s4, 0xffff, s91
	v_mad_u32_u24 v10, v1, s4, v0
	s_cmp_lt_i32 s6, 1
	v_cmp_eq_u32_e64 s[4:5], 0, v10
	s_cbranch_scc1 .LBB117_1112
; %bb.1087:
	v_ashrrev_i32_e32 v5, 31, v2
	v_mul_lo_u32 v12, s35, v2
	v_mad_u64_u32 v[3:4], s[8:9], s34, v2, 0
	v_mul_lo_u32 v5, s34, v5
	s_lshl_b64 s[8:9], s[24:25], 2
	s_waitcnt lgkmcnt(0)
	s_add_u32 s16, s0, s8
	s_addc_u32 s17, s1, s9
	v_add3_u32 v4, v4, v5, v12
	v_cmp_gt_i32_e64 s[8:9], s28, v2
	v_lshlrev_b64 v[2:3], 2, v[3:4]
	v_mov_b32_e32 v5, 0x5000
	v_mov_b32_e32 v4, s90
	v_add_co_u32_e32 v14, vcc, s89, v2
	s_mov_b32 s22, 0
	v_cmp_gt_u32_e64 s[12:13], 64, v10
	v_lshl_add_u32 v12, v10, 2, v5
	v_lshl_or_b32 v13, v1, 2, v5
	s_add_i32 s23, s33, 1
	v_addc_co_u32_e32 v15, vcc, v4, v3, vcc
	v_mov_b32_e32 v17, -1
	v_mov_b32_e32 v16, 0
	s_branch .LBB117_1090
.LBB117_1088:                           ;   in Loop: Header=BB117_1090 Depth=1
	ds_read_b32 v2, v13 offset:192
	s_waitcnt vmcnt(0) lgkmcnt(0)
	v_fmac_f32_e32 v11, v4, v2
.LBB117_1089:                           ;   in Loop: Header=BB117_1090 Depth=1
	s_or_b64 exec, exec, s[18:19]
	s_add_i32 s22, s22, 1
	s_cmp_eq_u32 s22, s6
	s_cbranch_scc1 .LBB117_1112
.LBB117_1090:                           ; =>This Loop Header: Depth=1
                                        ;     Child Loop BB117_1092 Depth 2
	v_cmp_gt_i32_e32 vcc, s22, v17
	s_and_b64 s[18:19], s[4:5], vcc
	s_and_saveexec_b64 s[10:11], s[18:19]
	s_cbranch_execz .LBB117_1093
; %bb.1091:                             ;   in Loop: Header=BB117_1090 Depth=1
	global_load_dword v17, v16, s[16:17]
	s_waitcnt vmcnt(0)
	v_cmp_le_i32_e32 vcc, s22, v17
	s_cbranch_vccnz .LBB117_1093
.LBB117_1092:                           ;   Parent Loop BB117_1090 Depth=1
                                        ; =>  This Inner Loop Header: Depth=2
	buffer_wbinvl1_vol
	global_load_dword v17, v16, s[16:17]
	s_waitcnt vmcnt(0)
	v_cmp_gt_i32_e32 vcc, s22, v17
	s_cbranch_vccnz .LBB117_1092
.LBB117_1093:                           ;   in Loop: Header=BB117_1090 Depth=1
	s_or_b64 exec, exec, s[10:11]
	s_sub_i32 s34, s7, s22
	s_lshl_b32 s35, s34, 6
	buffer_wbinvl1_vol
	s_barrier
	s_and_saveexec_b64 s[10:11], s[12:13]
	s_cbranch_execz .LBB117_1097
; %bb.1094:                             ;   in Loop: Header=BB117_1090 Depth=1
	s_ashr_i32 s18, s35, 31
	v_mov_b32_e32 v3, s18
	v_or_b32_e32 v2, s35, v10
	v_cmp_gt_i64_e32 vcc, s[28:29], v[2:3]
	v_mov_b32_e32 v4, 0
	s_and_saveexec_b64 s[18:19], vcc
	s_cbranch_execz .LBB117_1096
; %bb.1095:                             ;   in Loop: Header=BB117_1090 Depth=1
	v_mul_lo_u32 v4, v3, s26
	v_mul_lo_u32 v5, v2, s27
	v_mad_u64_u32 v[2:3], s[36:37], v2, s26, 0
	v_add3_u32 v3, v3, v5, v4
	v_lshlrev_b64 v[2:3], 2, v[2:3]
	v_mov_b32_e32 v4, s21
	v_add_co_u32_e32 v2, vcc, s20, v2
	v_addc_co_u32_e32 v3, vcc, v4, v3, vcc
	flat_load_dword v4, v[2:3]
.LBB117_1096:                           ;   in Loop: Header=BB117_1090 Depth=1
	s_or_b64 exec, exec, s[18:19]
	s_waitcnt vmcnt(0) lgkmcnt(0)
	ds_write_b32 v12, v4
.LBB117_1097:                           ;   in Loop: Header=BB117_1090 Depth=1
	s_or_b64 exec, exec, s[10:11]
	v_add_u32_e32 v4, s35, v1
	v_ashrrev_i32_e32 v5, 31, v4
	v_lshlrev_b64 v[2:3], 2, v[4:5]
	s_cmp_lg_u32 s34, s23
	v_add_co_u32_e32 v2, vcc, v14, v2
	s_cselect_b64 s[10:11], -1, 0
	v_addc_co_u32_e32 v3, vcc, v15, v3, vcc
	v_cmp_gt_i32_e32 vcc, s28, v4
	v_cndmask_b32_e64 v5, 0, 1, s[10:11]
	s_and_b64 s[34:35], vcc, s[8:9]
	v_cmp_ne_u32_e64 s[10:11], 1, v5
	s_waitcnt lgkmcnt(0)
	s_barrier
	s_and_saveexec_b64 s[18:19], s[34:35]
	s_cbranch_execz .LBB117_1101
; %bb.1098:                             ;   in Loop: Header=BB117_1090 Depth=1
	s_and_b64 vcc, exec, s[10:11]
	v_mov_b32_e32 v5, v7
	s_cbranch_vccnz .LBB117_1100
; %bb.1099:                             ;   in Loop: Header=BB117_1090 Depth=1
	flat_load_dword v5, v[2:3]
.LBB117_1100:                           ;   in Loop: Header=BB117_1090 Depth=1
	ds_read_b32 v18, v13
	s_waitcnt vmcnt(0) lgkmcnt(0)
	v_fmac_f32_e32 v11, v5, v18
.LBB117_1101:                           ;   in Loop: Header=BB117_1090 Depth=1
	s_or_b64 exec, exec, s[18:19]
	v_add_u32_e32 v5, 16, v4
	v_cmp_gt_i32_e32 vcc, s28, v5
	s_and_b64 s[34:35], vcc, s[8:9]
	s_and_saveexec_b64 s[18:19], s[34:35]
	s_cbranch_execz .LBB117_1105
; %bb.1102:                             ;   in Loop: Header=BB117_1090 Depth=1
	s_and_b64 vcc, exec, s[10:11]
	v_mov_b32_e32 v5, v6
	s_cbranch_vccnz .LBB117_1104
; %bb.1103:                             ;   in Loop: Header=BB117_1090 Depth=1
	flat_load_dword v5, v[2:3] offset:64
.LBB117_1104:                           ;   in Loop: Header=BB117_1090 Depth=1
	ds_read_b32 v18, v13 offset:64
	s_waitcnt vmcnt(0) lgkmcnt(0)
	v_fmac_f32_e32 v11, v5, v18
.LBB117_1105:                           ;   in Loop: Header=BB117_1090 Depth=1
	s_or_b64 exec, exec, s[18:19]
	v_add_u32_e32 v5, 32, v4
	v_cmp_gt_i32_e32 vcc, s28, v5
	s_and_b64 s[34:35], vcc, s[8:9]
	s_and_saveexec_b64 s[18:19], s[34:35]
	s_cbranch_execz .LBB117_1109
; %bb.1106:                             ;   in Loop: Header=BB117_1090 Depth=1
	s_and_b64 vcc, exec, s[10:11]
	v_mov_b32_e32 v5, v9
	s_cbranch_vccnz .LBB117_1108
; %bb.1107:                             ;   in Loop: Header=BB117_1090 Depth=1
	flat_load_dword v5, v[2:3] offset:128
.LBB117_1108:                           ;   in Loop: Header=BB117_1090 Depth=1
	ds_read_b32 v18, v13 offset:128
	s_waitcnt vmcnt(0) lgkmcnt(0)
	v_fmac_f32_e32 v11, v5, v18
.LBB117_1109:                           ;   in Loop: Header=BB117_1090 Depth=1
	s_or_b64 exec, exec, s[18:19]
	v_add_u32_e32 v4, 48, v4
	v_cmp_gt_i32_e32 vcc, s28, v4
	s_and_b64 s[34:35], vcc, s[8:9]
	s_and_saveexec_b64 s[18:19], s[34:35]
	s_cbranch_execz .LBB117_1089
; %bb.1110:                             ;   in Loop: Header=BB117_1090 Depth=1
	s_and_b64 vcc, exec, s[10:11]
	v_mov_b32_e32 v4, v8
	s_cbranch_vccnz .LBB117_1088
; %bb.1111:                             ;   in Loop: Header=BB117_1090 Depth=1
	flat_load_dword v4, v[2:3] offset:192
	s_branch .LBB117_1088
.LBB117_1112:
	v_lshl_add_u32 v2, v1, 6, v0
	s_xor_b64 s[4:5], s[30:31], -1
	v_lshlrev_b32_e32 v2, 2, v2
	ds_write_b32 v2, v11 offset:16384
	s_waitcnt lgkmcnt(0)
	s_barrier
	s_and_saveexec_b64 s[6:7], s[2:3]
	s_cbranch_execz .LBB117_1114
; %bb.1113:
	v_lshlrev_b32_e32 v9, 2, v0
	ds_read2st64_b32 v[3:4], v9 offset0:65 offset1:66
	ds_read2st64_b32 v[5:6], v9 offset0:67 offset1:68
	;; [unrolled: 1-line block ×5, first 2 shown]
	s_waitcnt lgkmcnt(4)
	v_add_f32_e32 v3, v11, v3
	v_add_f32_e32 v3, v3, v4
	s_waitcnt lgkmcnt(3)
	v_add_f32_e32 v3, v3, v5
	v_add_f32_e32 v3, v3, v6
	;; [unrolled: 3-line block ×4, first 2 shown]
	ds_read2st64_b32 v[3:4], v9 offset0:75 offset1:76
	ds_read2st64_b32 v[5:6], v9 offset0:77 offset1:78
	ds_read_b32 v8, v9 offset:20224
	s_waitcnt lgkmcnt(3)
	v_add_f32_e32 v7, v7, v14
	v_add_f32_e32 v7, v7, v15
	s_waitcnt lgkmcnt(2)
	v_add_f32_e32 v3, v7, v3
	v_add_f32_e32 v3, v3, v4
	;; [unrolled: 3-line block ×3, first 2 shown]
	s_waitcnt lgkmcnt(0)
	v_add_f32_e32 v3, v3, v8
	v_cndmask_b32_e64 v11, -v3, 0, s[14:15]
.LBB117_1114:
	s_or_b64 exec, exec, s[6:7]
	s_and_b64 vcc, exec, s[40:41]
	s_cbranch_vccnz .LBB117_1128
; %bb.1115:
	v_mov_b32_e32 v3, 0x5000
	v_lshl_or_b32 v4, v1, 2, v3
	s_and_saveexec_b64 s[6:7], s[2:3]
; %bb.1116:
	v_lshl_add_u32 v3, v0, 2, v4
	ds_write_b32 v3, v11
; %bb.1117:
	s_or_b64 exec, exec, s[6:7]
	v_cmp_le_u32_e32 vcc, v0, v1
	v_mov_b32_e32 v3, 0
	s_waitcnt lgkmcnt(0)
	s_barrier
	s_and_saveexec_b64 s[6:7], vcc
	s_cbranch_execz .LBB117_1119
; %bb.1118:
	ds_read_b32 v3, v2
	ds_read_b32 v5, v4
	s_waitcnt lgkmcnt(0)
	v_fma_f32 v3, v3, v5, 0
.LBB117_1119:
	s_or_b64 exec, exec, s[6:7]
	v_add_u32_e32 v5, 16, v1
	v_cmp_le_u32_e32 vcc, v0, v5
	s_and_saveexec_b64 s[6:7], vcc
	s_cbranch_execz .LBB117_1121
; %bb.1120:
	ds_read_b32 v5, v2 offset:4096
	ds_read_b32 v6, v4 offset:64
	s_waitcnt lgkmcnt(0)
	v_fmac_f32_e32 v3, v5, v6
.LBB117_1121:
	s_or_b64 exec, exec, s[6:7]
	v_add_u32_e32 v5, 32, v1
	v_cmp_le_u32_e32 vcc, v0, v5
	s_and_saveexec_b64 s[6:7], vcc
	s_cbranch_execz .LBB117_1123
; %bb.1122:
	ds_read_b32 v5, v2 offset:8192
	ds_read_b32 v6, v4 offset:128
	s_waitcnt lgkmcnt(0)
	v_fmac_f32_e32 v3, v5, v6
.LBB117_1123:
	s_or_b64 exec, exec, s[6:7]
	v_add_u32_e32 v1, 48, v1
	v_add_u32_e32 v5, 0x4000, v2
	v_cmp_le_u32_e32 vcc, v0, v1
	s_and_saveexec_b64 s[6:7], vcc
	s_cbranch_execz .LBB117_1125
; %bb.1124:
	ds_read_b32 v1, v2 offset:12288
	ds_read_b32 v2, v4 offset:192
	s_waitcnt lgkmcnt(0)
	v_fmac_f32_e32 v3, v1, v2
.LBB117_1125:
	s_or_b64 exec, exec, s[6:7]
	s_mov_b64 s[8:9], 0
	s_mov_b64 s[6:7], 0
	ds_write_b32 v5, v3
	s_waitcnt lgkmcnt(0)
	s_barrier
                                        ; implicit-def: $vgpr1
	s_and_saveexec_b64 s[10:11], s[2:3]
	s_cbranch_execz .LBB117_1166
; %bb.1126:
	v_lshlrev_b32_e32 v12, 2, v0
	ds_read2st64_b32 v[1:2], v12 offset0:65 offset1:66
	ds_read2st64_b32 v[4:5], v12 offset0:67 offset1:68
	;; [unrolled: 1-line block ×4, first 2 shown]
	s_mov_b64 s[6:7], exec
	s_waitcnt lgkmcnt(3)
	v_add_f32_e32 v1, v3, v1
	v_add_f32_e32 v1, v2, v1
	s_waitcnt lgkmcnt(2)
	v_add_f32_e32 v1, v4, v1
	v_add_f32_e32 v1, v5, v1
	;; [unrolled: 3-line block ×3, first 2 shown]
	s_waitcnt lgkmcnt(0)
	v_add_f32_e32 v3, v8, v1
	ds_read2st64_b32 v[1:2], v12 offset0:73 offset1:74
	v_add_f32_e32 v7, v9, v3
	ds_read2st64_b32 v[3:4], v12 offset0:75 offset1:76
	ds_read2st64_b32 v[5:6], v12 offset0:77 offset1:78
	ds_read_b32 v8, v12 offset:20224
	s_waitcnt lgkmcnt(3)
	v_add_f32_e32 v1, v1, v7
	v_add_f32_e32 v1, v2, v1
	s_waitcnt lgkmcnt(2)
	v_add_f32_e32 v1, v3, v1
	v_add_f32_e32 v1, v4, v1
	;; [unrolled: 3-line block ×3, first 2 shown]
	s_waitcnt lgkmcnt(0)
	v_add_f32_e32 v1, v8, v1
	s_or_b64 exec, exec, s[10:11]
	s_and_b64 vcc, exec, s[8:9]
	s_cbranch_vccnz .LBB117_1129
	s_branch .LBB117_1167
.LBB117_1127:
	v_mad_u64_u32 v[11:12], s[2:3], s34, v5, 0
	s_or_b64 s[10:11], s[10:11], exec
	v_mov_b32_e32 v4, v12
	v_mad_u64_u32 v[4:5], s[2:3], s35, v5, v[4:5]
	v_mov_b32_e32 v12, v4
	v_lshlrev_b64 v[4:5], 2, v[11:12]
	v_add_co_u32_e32 v2, vcc, v2, v4
	v_addc_co_u32_e32 v3, vcc, v3, v5, vcc
	flat_load_dword v2, v[2:3]
	s_waitcnt vmcnt(0) lgkmcnt(0)
	v_xor_b32_e32 v4, 0x80000000, v2
	s_or_b64 exec, exec, s[8:9]
	s_xor_b64 s[0:1], s[0:1], -1
	s_and_saveexec_b64 s[2:3], s[10:11]
	s_cbranch_execnz .LBB117_45
	s_branch .LBB117_46
.LBB117_1128:
	s_mov_b64 s[6:7], 0
                                        ; implicit-def: $vgpr1
	s_cbranch_execz .LBB117_1167
.LBB117_1129:
	v_mov_b32_e32 v1, 0x3c00
	v_lshl_add_u32 v1, v0, 2, v1
	v_mov_b32_e32 v3, 63
	v_mov_b32_e32 v2, 0
	s_branch .LBB117_1131
.LBB117_1130:                           ;   in Loop: Header=BB117_1131 Depth=1
	s_or_b64 exec, exec, s[8:9]
	v_subrev_co_u32_e32 v3, vcc, 1, v3
	s_andn2_b64 vcc, exec, vcc
	v_add_u32_e32 v1, 0xfffffc00, v1
	s_barrier
	s_cbranch_vccz .LBB117_1147
.LBB117_1131:                           ; =>This Inner Loop Header: Depth=1
	v_cmp_eq_u32_e32 vcc, v0, v3
	s_and_b64 s[10:11], s[2:3], vcc
	s_and_saveexec_b64 s[8:9], s[10:11]
; %bb.1132:                             ;   in Loop: Header=BB117_1131 Depth=1
	ds_write_b32 v2, v11 offset:20736
; %bb.1133:                             ;   in Loop: Header=BB117_1131 Depth=1
	s_or_b64 exec, exec, s[8:9]
	v_cmp_lt_u32_e32 vcc, v0, v3
	s_and_b64 s[10:11], s[2:3], vcc
	s_waitcnt lgkmcnt(0)
	s_barrier
	s_and_saveexec_b64 s[8:9], s[10:11]
	s_cbranch_execz .LBB117_1135
; %bb.1134:                             ;   in Loop: Header=BB117_1131 Depth=1
	ds_read_b32 v4, v1 offset:768
	ds_read_b32 v5, v2 offset:20736
	s_waitcnt lgkmcnt(0)
	v_fmac_f32_e32 v11, v4, v5
.LBB117_1135:                           ;   in Loop: Header=BB117_1131 Depth=1
	s_or_b64 exec, exec, s[8:9]
	v_add_u32_e32 v3, -1, v3
	v_cmp_eq_u32_e32 vcc, v0, v3
	s_and_b64 s[10:11], s[2:3], vcc
	s_barrier
	s_and_saveexec_b64 s[8:9], s[10:11]
; %bb.1136:                             ;   in Loop: Header=BB117_1131 Depth=1
	ds_write_b32 v2, v11 offset:20736
; %bb.1137:                             ;   in Loop: Header=BB117_1131 Depth=1
	s_or_b64 exec, exec, s[8:9]
	v_cmp_lt_u32_e32 vcc, v0, v3
	s_and_b64 s[10:11], s[2:3], vcc
	s_waitcnt lgkmcnt(0)
	s_barrier
	s_and_saveexec_b64 s[8:9], s[10:11]
	s_cbranch_execz .LBB117_1139
; %bb.1138:                             ;   in Loop: Header=BB117_1131 Depth=1
	ds_read_b32 v4, v1 offset:512
	ds_read_b32 v5, v2 offset:20736
	s_waitcnt lgkmcnt(0)
	v_fmac_f32_e32 v11, v4, v5
.LBB117_1139:                           ;   in Loop: Header=BB117_1131 Depth=1
	s_or_b64 exec, exec, s[8:9]
	v_add_u32_e32 v3, -1, v3
	v_cmp_eq_u32_e32 vcc, v0, v3
	s_and_b64 s[10:11], s[2:3], vcc
	s_barrier
	;; [unrolled: 22-line block ×3, first 2 shown]
	s_and_saveexec_b64 s[8:9], s[10:11]
; %bb.1144:                             ;   in Loop: Header=BB117_1131 Depth=1
	ds_write_b32 v2, v11 offset:20736
; %bb.1145:                             ;   in Loop: Header=BB117_1131 Depth=1
	s_or_b64 exec, exec, s[8:9]
	v_cmp_lt_u32_e32 vcc, v0, v3
	s_and_b64 s[10:11], s[2:3], vcc
	s_waitcnt lgkmcnt(0)
	s_barrier
	s_and_saveexec_b64 s[8:9], s[10:11]
	s_cbranch_execz .LBB117_1130
; %bb.1146:                             ;   in Loop: Header=BB117_1131 Depth=1
	ds_read_b32 v4, v1
	ds_read_b32 v5, v2 offset:20736
	s_waitcnt lgkmcnt(0)
	v_fmac_f32_e32 v11, v4, v5
	s_branch .LBB117_1130
.LBB117_1147:
	s_mov_b64 s[8:9], -1
	s_and_b64 vcc, exec, s[4:5]
	s_cbranch_vccnz .LBB117_1168
; %bb.1148:
	s_andn2_b64 vcc, exec, s[8:9]
	s_cbranch_vccz .LBB117_1169
.LBB117_1149:
	s_and_saveexec_b64 s[2:3], s[6:7]
	s_cbranch_execz .LBB117_1151
.LBB117_1150:
	s_lshl_b32 s4, s33, 6
	s_ashr_i32 s5, s4, 31
	v_mov_b32_e32 v0, s5
	v_add_co_u32_e32 v1, vcc, s4, v10
	v_addc_co_u32_e32 v0, vcc, 0, v0, vcc
	v_mul_lo_u32 v2, v0, s26
	v_mul_lo_u32 v3, v1, s27
	v_mad_u64_u32 v[0:1], s[4:5], v1, s26, 0
	v_add3_u32 v1, v1, v3, v2
	v_lshlrev_b64 v[0:1], 2, v[0:1]
	v_mov_b32_e32 v2, s21
	v_add_co_u32_e32 v0, vcc, s20, v0
	v_addc_co_u32_e32 v1, vcc, v2, v1, vcc
	flat_store_dword v[0:1], v11
.LBB117_1151:
	s_or_b64 exec, exec, s[2:3]
	v_cmp_eq_u32_e32 vcc, 0, v10
	s_waitcnt vmcnt(0) lgkmcnt(0)
	buffer_wbinvl1_vol
	s_barrier
	s_and_saveexec_b64 s[2:3], vcc
	s_cbranch_execz .LBB117_1153
; %bb.1152:
	s_lshl_b64 s[4:5], s[24:25], 2
	s_add_u32 s0, s0, s4
	s_addc_u32 s1, s1, s5
	v_mov_b32_e32 v0, 0
	global_load_dword v1, v0, s[0:1]
	s_waitcnt vmcnt(0)
	v_add_u32_e32 v1, 1, v1
	global_store_dword v0, v1, s[0:1]
.LBB117_1153:
	s_or_b64 exec, exec, s[2:3]
	s_waitcnt vmcnt(0)
	buffer_wbinvl1_vol
	s_endpgm
.LBB117_1154:
	v_or_b32_e32 v10, v1, v0
	v_cmp_gt_u32_e32 vcc, 64, v10
	s_and_b64 s[10:11], vcc, exec
	s_andn2_saveexec_b64 s[8:9], s[8:9]
	s_cbranch_execz .LBB117_14
.LBB117_1155:
	v_mad_u64_u32 v[10:11], s[12:13], s34, v1, 0
	s_or_b64 s[10:11], s[10:11], exec
	v_mov_b32_e32 v5, v11
	v_mad_u64_u32 v[11:12], s[12:13], s35, v1, v[5:6]
	v_lshlrev_b64 v[10:11], 2, v[10:11]
	v_add_co_u32_e32 v10, vcc, v2, v10
	v_addc_co_u32_e32 v11, vcc, v3, v11, vcc
	flat_load_dword v5, v[10:11]
	s_waitcnt vmcnt(0) lgkmcnt(0)
	v_xor_b32_e32 v5, 0x80000000, v5
	s_or_b64 exec, exec, s[8:9]
	s_and_saveexec_b64 s[8:9], s[10:11]
	s_cbranch_execnz .LBB117_15
	s_branch .LBB117_16
.LBB117_1156:
	v_or_b32_e32 v10, v5, v0
	v_cmp_gt_u32_e32 vcc, 64, v10
	s_and_b64 s[2:3], vcc, exec
	s_or_saveexec_b64 s[8:9], s[8:9]
	v_mov_b32_e32 v10, 0
	s_xor_b64 exec, exec, s[8:9]
	s_cbranch_execz .LBB117_18
.LBB117_1157:
	v_mad_u64_u32 v[10:11], s[10:11], s34, v5, 0
	s_or_b64 s[2:3], s[2:3], exec
	v_mad_u64_u32 v[11:12], s[10:11], s35, v5, v[11:12]
	v_lshlrev_b64 v[10:11], 2, v[10:11]
	v_add_co_u32_e32 v10, vcc, v2, v10
	v_addc_co_u32_e32 v11, vcc, v3, v11, vcc
	flat_load_dword v10, v[10:11]
	s_waitcnt vmcnt(0) lgkmcnt(0)
	v_xor_b32_e32 v10, 0x80000000, v10
	s_or_b64 exec, exec, s[8:9]
	s_and_saveexec_b64 s[8:9], s[2:3]
	s_cbranch_execnz .LBB117_19
	s_branch .LBB117_20
.LBB117_1158:
	v_or_b32_e32 v10, v5, v0
	v_cmp_gt_u32_e32 vcc, 64, v10
	s_and_b64 s[2:3], vcc, exec
	s_or_saveexec_b64 s[8:9], s[8:9]
	v_mov_b32_e32 v10, 0
	s_xor_b64 exec, exec, s[8:9]
	s_cbranch_execz .LBB117_22
.LBB117_1159:
	v_mad_u64_u32 v[10:11], s[10:11], s34, v5, 0
	s_or_b64 s[2:3], s[2:3], exec
	v_mad_u64_u32 v[11:12], s[10:11], s35, v5, v[11:12]
	v_lshlrev_b64 v[10:11], 2, v[10:11]
	v_add_co_u32_e32 v10, vcc, v2, v10
	v_addc_co_u32_e32 v11, vcc, v3, v11, vcc
	flat_load_dword v10, v[10:11]
	s_waitcnt vmcnt(0) lgkmcnt(0)
	v_xor_b32_e32 v10, 0x80000000, v10
	s_or_b64 exec, exec, s[8:9]
	s_and_saveexec_b64 s[8:9], s[2:3]
	s_cbranch_execnz .LBB117_23
	s_branch .LBB117_24
.LBB117_1160:
	v_or_b32_e32 v10, v1, v0
	v_cmp_gt_u32_e64 s[2:3], 64, v10
	s_and_b64 s[8:9], s[2:3], exec
	s_andn2_saveexec_b64 s[12:13], s[12:13]
	s_cbranch_execz .LBB117_30
.LBB117_1161:
	v_mad_u64_u32 v[10:11], s[2:3], s34, v1, 0
	s_or_b64 s[8:9], s[8:9], exec
	v_mov_b32_e32 v5, v11
	v_mad_u64_u32 v[11:12], s[2:3], s35, v1, v[5:6]
	v_lshlrev_b64 v[10:11], 2, v[10:11]
	v_add_co_u32_e64 v10, s[2:3], v2, v10
	v_addc_co_u32_e64 v11, s[2:3], v3, v11, s[2:3]
	flat_load_dword v5, v[10:11]
	s_waitcnt vmcnt(0) lgkmcnt(0)
	v_xor_b32_e32 v5, 0x80000000, v5
	s_or_b64 exec, exec, s[12:13]
	s_and_saveexec_b64 s[2:3], s[8:9]
	s_cbranch_execnz .LBB117_31
	s_branch .LBB117_32
.LBB117_1162:
	v_or_b32_e32 v10, v5, v0
	v_cmp_gt_u32_e64 s[2:3], 64, v10
	s_and_b64 s[8:9], s[2:3], exec
	s_or_saveexec_b64 s[12:13], s[12:13]
	v_mov_b32_e32 v10, 0
	s_xor_b64 exec, exec, s[12:13]
	s_cbranch_execz .LBB117_34
.LBB117_1163:
	v_mad_u64_u32 v[10:11], s[2:3], s34, v5, 0
	s_or_b64 s[8:9], s[8:9], exec
	v_mad_u64_u32 v[11:12], s[2:3], s35, v5, v[11:12]
	v_lshlrev_b64 v[10:11], 2, v[10:11]
	v_add_co_u32_e64 v10, s[2:3], v2, v10
	v_addc_co_u32_e64 v11, s[2:3], v3, v11, s[2:3]
	flat_load_dword v10, v[10:11]
	s_waitcnt vmcnt(0) lgkmcnt(0)
	v_xor_b32_e32 v10, 0x80000000, v10
	s_or_b64 exec, exec, s[12:13]
	s_and_saveexec_b64 s[2:3], s[8:9]
	s_cbranch_execnz .LBB117_35
	s_branch .LBB117_36
.LBB117_1164:
	v_or_b32_e32 v10, v5, v0
	v_cmp_gt_u32_e64 s[2:3], 64, v10
	s_and_b64 s[8:9], s[2:3], exec
	s_or_saveexec_b64 s[12:13], s[12:13]
	v_mov_b32_e32 v10, 0
	s_xor_b64 exec, exec, s[12:13]
	s_cbranch_execz .LBB117_38
.LBB117_1165:
	v_mad_u64_u32 v[10:11], s[2:3], s34, v5, 0
	s_or_b64 s[8:9], s[8:9], exec
	v_mad_u64_u32 v[11:12], s[2:3], s35, v5, v[11:12]
	v_lshlrev_b64 v[10:11], 2, v[10:11]
	v_add_co_u32_e64 v10, s[2:3], v2, v10
	v_addc_co_u32_e64 v11, s[2:3], v3, v11, s[2:3]
	flat_load_dword v10, v[10:11]
	s_waitcnt vmcnt(0) lgkmcnt(0)
	v_xor_b32_e32 v10, 0x80000000, v10
	s_or_b64 exec, exec, s[12:13]
	s_and_saveexec_b64 s[2:3], s[8:9]
	s_cbranch_execnz .LBB117_39
	s_branch .LBB117_40
.LBB117_1166:
	s_or_b64 exec, exec, s[10:11]
	s_and_b64 vcc, exec, s[8:9]
	s_cbranch_vccnz .LBB117_1129
.LBB117_1167:
	v_mov_b32_e32 v11, v1
	s_and_saveexec_b64 s[2:3], s[6:7]
	s_cbranch_execnz .LBB117_1150
	s_branch .LBB117_1151
.LBB117_1168:
	s_andn2_b64 s[4:5], s[6:7], exec
	s_and_b64 s[6:7], s[2:3], exec
	s_or_b64 s[6:7], s[4:5], s[6:7]
	s_cbranch_execnz .LBB117_1149
.LBB117_1169:
	v_cmp_gt_i32_e32 vcc, s88, v0
	s_and_b64 s[2:3], s[2:3], vcc
	s_andn2_b64 s[4:5], s[6:7], exec
	s_and_b64 s[2:3], s[2:3], exec
	s_or_b64 s[6:7], s[4:5], s[2:3]
	s_and_saveexec_b64 s[2:3], s[6:7]
	s_cbranch_execnz .LBB117_1150
	s_branch .LBB117_1151
.LBB117_1170:
	v_lshlrev_b32_e32 v16, 2, v14
	v_sub_u32_e32 v16, v15, v16
	v_lshl_add_u32 v16, v13, 2, v16
	ds_read_b32 v16, v16 offset:272
	ds_read_b32 v17, v15 offset:4
	s_waitcnt lgkmcnt(0)
	v_fmac_f32_e32 v12, v16, v17
	s_or_b64 exec, exec, s[14:15]
	v_cmp_gt_u32_e64 s[10:11], 8, v4
	s_and_saveexec_b64 s[14:15], s[10:11]
	s_cbranch_execz .LBB117_68
.LBB117_1171:
	ds_read_b32 v16, v10 offset:528
	ds_read_b32 v15, v15 offset:8
	s_waitcnt lgkmcnt(0)
	v_fmac_f32_e32 v12, v16, v15
	s_or_b64 exec, exec, s[14:15]
	v_cmp_gt_u32_e64 s[10:11], 4, v4
	s_and_saveexec_b64 s[14:15], s[10:11]
	s_cbranch_execnz .LBB117_69
	s_branch .LBB117_70
.LBB117_1172:
	v_lshlrev_b32_e32 v21, 2, v19
	v_sub_u32_e32 v21, v20, v21
	v_lshl_add_u32 v21, v18, 2, v21
	ds_read_b32 v21, v21 offset:288
	ds_read_b32 v22, v20 offset:4
	s_waitcnt lgkmcnt(0)
	v_fmac_f32_e32 v17, v21, v22
	s_or_b64 exec, exec, s[16:17]
	v_cmp_gt_u32_e64 s[14:15], 48, v4
	s_and_saveexec_b64 s[16:17], s[14:15]
	s_cbranch_execz .LBB117_110
.LBB117_1173:
	v_lshlrev_b32_e32 v21, 2, v19
	v_sub_u32_e32 v21, v20, v21
	v_lshl_add_u32 v21, v18, 2, v21
	ds_read_b32 v21, v21 offset:544
	ds_read_b32 v22, v20 offset:8
	s_waitcnt lgkmcnt(0)
	v_fmac_f32_e32 v17, v21, v22
	s_or_b64 exec, exec, s[16:17]
	v_cmp_gt_u32_e64 s[14:15], 40, v4
	s_and_saveexec_b64 s[16:17], s[14:15]
	s_cbranch_execz .LBB117_111
.LBB117_1174:
	v_lshlrev_b32_e32 v21, 2, v19
	v_sub_u32_e32 v21, v20, v21
	v_lshl_add_u32 v21, v18, 2, v21
	ds_read_b32 v21, v21 offset:800
	ds_read_b32 v22, v20 offset:12
	s_waitcnt lgkmcnt(0)
	v_fmac_f32_e32 v17, v21, v22
	s_or_b64 exec, exec, s[16:17]
	v_cmp_gt_u32_e64 s[14:15], 32, v4
	s_and_saveexec_b64 s[16:17], s[14:15]
	s_cbranch_execz .LBB117_112
.LBB117_1175:
	ds_read_b32 v21, v15 offset:1056
	ds_read_b32 v22, v20 offset:16
	s_waitcnt lgkmcnt(0)
	v_fmac_f32_e32 v17, v21, v22
	s_or_b64 exec, exec, s[16:17]
	v_cmp_gt_u32_e64 s[14:15], 24, v4
	s_and_saveexec_b64 s[16:17], s[14:15]
	s_cbranch_execz .LBB117_113
.LBB117_1176:
	v_lshlrev_b32_e32 v21, 2, v19
	v_sub_u32_e32 v21, v20, v21
	v_lshl_add_u32 v21, v18, 2, v21
	ds_read_b32 v21, v21 offset:1312
	ds_read_b32 v22, v20 offset:20
	s_waitcnt lgkmcnt(0)
	v_fmac_f32_e32 v17, v21, v22
	s_or_b64 exec, exec, s[16:17]
	v_cmp_gt_u32_e64 s[14:15], 16, v4
	s_and_saveexec_b64 s[16:17], s[14:15]
	s_cbranch_execz .LBB117_114
.LBB117_1177:
	ds_read_b32 v21, v15 offset:1568
	ds_read_b32 v20, v20 offset:24
	s_waitcnt lgkmcnt(0)
	v_fmac_f32_e32 v17, v21, v20
	s_or_b64 exec, exec, s[16:17]
	v_cmp_gt_u32_e64 s[14:15], 8, v4
	s_and_saveexec_b64 s[16:17], s[14:15]
	s_cbranch_execnz .LBB117_115
	s_branch .LBB117_116
.LBB117_1178:
	v_lshlrev_b32_e32 v22, 2, v14
	v_sub_u32_e32 v22, v21, v22
	v_lshl_add_u32 v22, v13, 2, v22
	ds_read_b32 v22, v22 offset:2352
	ds_read_b32 v23, v21 offset:2084
	s_waitcnt lgkmcnt(0)
	v_fmac_f32_e32 v20, v22, v23
	s_or_b64 exec, exec, s[14:15]
	v_cmp_gt_u32_e64 s[10:11], 8, v4
	s_and_saveexec_b64 s[14:15], s[10:11]
	s_cbranch_execz .LBB117_172
.LBB117_1179:
	ds_read_b32 v22, v10 offset:2608
	ds_read_b32 v21, v21 offset:2088
	s_waitcnt lgkmcnt(0)
	v_fmac_f32_e32 v20, v22, v21
	s_or_b64 exec, exec, s[14:15]
	v_cmp_gt_u32_e64 s[10:11], 4, v4
	s_and_saveexec_b64 s[14:15], s[10:11]
	s_cbranch_execnz .LBB117_173
	s_branch .LBB117_174
.LBB117_1180:
	v_lshlrev_b32_e32 v26, 2, v21
	v_lshl_add_u32 v26, v23, 2, v26
	ds_read_b32 v26, v26 offset:2880
	ds_read_b32 v27, v25 offset:44
	s_waitcnt lgkmcnt(0)
	v_fmac_f32_e32 v22, v26, v27
	s_or_b64 exec, exec, s[20:21]
	v_cmp_gt_u32_e64 s[16:17], 64, v4
	s_and_saveexec_b64 s[20:21], s[16:17]
	s_cbranch_execz .LBB117_234
.LBB117_1181:
	ds_read_b32 v26, v20 offset:3136
	ds_read_b32 v27, v25 offset:48
	s_waitcnt lgkmcnt(0)
	v_fmac_f32_e32 v22, v26, v27
	s_or_b64 exec, exec, s[20:21]
	v_cmp_gt_u32_e64 s[16:17], 48, v4
	s_and_saveexec_b64 s[20:21], s[16:17]
	s_cbranch_execz .LBB117_235
.LBB117_1182:
	v_lshlrev_b32_e32 v26, 2, v21
	v_lshl_add_u32 v26, v23, 2, v26
	ds_read_b32 v26, v26 offset:3392
	ds_read_b32 v27, v25 offset:52
	s_waitcnt lgkmcnt(0)
	v_fmac_f32_e32 v22, v26, v27
	s_or_b64 exec, exec, s[20:21]
	v_cmp_gt_u32_e64 s[16:17], 32, v4
	s_and_saveexec_b64 s[20:21], s[16:17]
	s_cbranch_execz .LBB117_236
.LBB117_1183:
	ds_read_b32 v26, v20 offset:3648
	ds_read_b32 v25, v25 offset:56
	s_waitcnt lgkmcnt(0)
	v_fmac_f32_e32 v22, v26, v25
	s_or_b64 exec, exec, s[20:21]
	v_cmp_gt_u32_e64 s[16:17], 16, v4
	s_and_saveexec_b64 s[20:21], s[16:17]
	s_cbranch_execnz .LBB117_237
	s_branch .LBB117_238
.LBB117_1184:
	v_lshlrev_b32_e32 v27, 2, v14
	v_sub_u32_e32 v27, v26, v27
	v_lshl_add_u32 v27, v13, 2, v27
	ds_read_b32 v27, v27 offset:4432
	ds_read_b32 v28, v26 offset:4164
	s_waitcnt lgkmcnt(0)
	v_fmac_f32_e32 v25, v27, v28
	s_or_b64 exec, exec, s[20:21]
	v_cmp_gt_u32_e64 s[14:15], 8, v4
	s_and_saveexec_b64 s[20:21], s[14:15]
	s_cbranch_execz .LBB117_326
.LBB117_1185:
	ds_read_b32 v27, v10 offset:4688
	ds_read_b32 v26, v26 offset:4168
	s_waitcnt lgkmcnt(0)
	v_fmac_f32_e32 v25, v27, v26
	s_or_b64 exec, exec, s[20:21]
	v_cmp_gt_u32_e64 s[14:15], 4, v4
	s_and_saveexec_b64 s[20:21], s[14:15]
	s_cbranch_execnz .LBB117_327
	s_branch .LBB117_328
.LBB117_1186:
	v_lshlrev_b32_e32 v27, 2, v19
	v_sub_u32_e32 v27, v26, v27
	v_lshl_add_u32 v27, v18, 2, v27
	ds_read_b32 v27, v27 offset:4448
	ds_read_b32 v28, v26 offset:4164
	s_waitcnt lgkmcnt(0)
	v_fmac_f32_e32 v25, v27, v28
	s_or_b64 exec, exec, s[20:21]
	v_cmp_gt_u32_e64 s[14:15], 48, v4
	s_and_saveexec_b64 s[20:21], s[14:15]
	s_cbranch_execz .LBB117_368
.LBB117_1187:
	v_lshlrev_b32_e32 v27, 2, v19
	v_sub_u32_e32 v27, v26, v27
	v_lshl_add_u32 v27, v18, 2, v27
	ds_read_b32 v27, v27 offset:4704
	ds_read_b32 v28, v26 offset:4168
	s_waitcnt lgkmcnt(0)
	v_fmac_f32_e32 v25, v27, v28
	s_or_b64 exec, exec, s[20:21]
	v_cmp_gt_u32_e64 s[14:15], 40, v4
	s_and_saveexec_b64 s[20:21], s[14:15]
	s_cbranch_execz .LBB117_369
.LBB117_1188:
	v_lshlrev_b32_e32 v27, 2, v19
	v_sub_u32_e32 v27, v26, v27
	v_lshl_add_u32 v27, v18, 2, v27
	ds_read_b32 v27, v27 offset:4960
	ds_read_b32 v28, v26 offset:4172
	s_waitcnt lgkmcnt(0)
	v_fmac_f32_e32 v25, v27, v28
	s_or_b64 exec, exec, s[20:21]
	v_cmp_gt_u32_e64 s[14:15], 32, v4
	s_and_saveexec_b64 s[20:21], s[14:15]
	s_cbranch_execz .LBB117_370
.LBB117_1189:
	ds_read_b32 v27, v15 offset:5216
	ds_read_b32 v28, v26 offset:4176
	s_waitcnt lgkmcnt(0)
	v_fmac_f32_e32 v25, v27, v28
	s_or_b64 exec, exec, s[20:21]
	v_cmp_gt_u32_e64 s[14:15], 24, v4
	s_and_saveexec_b64 s[20:21], s[14:15]
	s_cbranch_execz .LBB117_371
.LBB117_1190:
	v_lshlrev_b32_e32 v27, 2, v19
	v_sub_u32_e32 v27, v26, v27
	v_lshl_add_u32 v27, v18, 2, v27
	ds_read_b32 v27, v27 offset:5472
	ds_read_b32 v28, v26 offset:4180
	s_waitcnt lgkmcnt(0)
	v_fmac_f32_e32 v25, v27, v28
	s_or_b64 exec, exec, s[20:21]
	v_cmp_gt_u32_e64 s[14:15], 16, v4
	s_and_saveexec_b64 s[20:21], s[14:15]
	s_cbranch_execz .LBB117_372
.LBB117_1191:
	ds_read_b32 v27, v15 offset:5728
	ds_read_b32 v26, v26 offset:4184
	s_waitcnt lgkmcnt(0)
	v_fmac_f32_e32 v25, v27, v26
	s_or_b64 exec, exec, s[20:21]
	v_cmp_gt_u32_e64 s[14:15], 8, v4
	s_and_saveexec_b64 s[20:21], s[14:15]
	s_cbranch_execnz .LBB117_373
	s_branch .LBB117_374
.LBB117_1192:
	v_lshlrev_b32_e32 v27, 2, v14
	v_sub_u32_e32 v27, v26, v27
	v_lshl_add_u32 v27, v13, 2, v27
	ds_read_b32 v27, v27 offset:6512
	ds_read_b32 v28, v26 offset:6244
	s_waitcnt lgkmcnt(0)
	v_fmac_f32_e32 v25, v27, v28
	s_or_b64 exec, exec, s[20:21]
	v_cmp_gt_u32_e64 s[14:15], 8, v4
	s_and_saveexec_b64 s[20:21], s[14:15]
	s_cbranch_execz .LBB117_430
.LBB117_1193:
	ds_read_b32 v27, v10 offset:6768
	ds_read_b32 v26, v26 offset:6248
	s_waitcnt lgkmcnt(0)
	v_fmac_f32_e32 v25, v27, v26
	s_or_b64 exec, exec, s[20:21]
	v_cmp_gt_u32_e64 s[14:15], 4, v4
	s_and_saveexec_b64 s[20:21], s[14:15]
	s_cbranch_execnz .LBB117_431
	s_branch .LBB117_432
.LBB117_1194:
	ds_read_b32 v31, v25 offset:7552
	ds_read_b32 v32, v30 offset:116
	s_waitcnt lgkmcnt(0)
	v_fmac_f32_e32 v28, v31, v32
	s_or_b64 exec, exec, s[22:23]
	v_cmp_gt_u32_e64 s[20:21], 64, v4
	s_and_saveexec_b64 s[22:23], s[20:21]
	s_cbranch_execz .LBB117_528
.LBB117_1195:
	ds_read_b32 v31, v25 offset:7808
	ds_read_b32 v30, v30 offset:120
	s_waitcnt lgkmcnt(0)
	v_fmac_f32_e32 v28, v31, v30
	s_or_b64 exec, exec, s[22:23]
	v_cmp_gt_u32_e64 s[20:21], 32, v4
	s_and_saveexec_b64 s[22:23], s[20:21]
	s_cbranch_execnz .LBB117_529
	s_branch .LBB117_530
.LBB117_1196:
	v_lshlrev_b32_e32 v27, 2, v14
	v_sub_u32_e32 v27, v26, v27
	v_lshl_add_u32 v27, v13, 2, v27
	ds_read_b32 v27, v27 offset:8592
	ds_read_b32 v28, v26 offset:8324
	s_waitcnt lgkmcnt(0)
	v_fmac_f32_e32 v25, v27, v28
	s_or_b64 exec, exec, s[16:17]
	v_cmp_gt_u32_e64 s[12:13], 8, v4
	s_and_saveexec_b64 s[16:17], s[12:13]
	s_cbranch_execz .LBB117_682
.LBB117_1197:
	ds_read_b32 v27, v10 offset:8848
	ds_read_b32 v26, v26 offset:8328
	s_waitcnt lgkmcnt(0)
	v_fmac_f32_e32 v25, v27, v26
	s_or_b64 exec, exec, s[16:17]
	v_cmp_gt_u32_e64 s[12:13], 4, v4
	s_and_saveexec_b64 s[16:17], s[12:13]
	s_cbranch_execnz .LBB117_683
	s_branch .LBB117_684
.LBB117_1198:
	v_lshlrev_b32_e32 v27, 2, v19
	v_sub_u32_e32 v27, v26, v27
	v_lshl_add_u32 v27, v18, 2, v27
	ds_read_b32 v27, v27 offset:8608
	ds_read_b32 v28, v26 offset:8324
	s_waitcnt lgkmcnt(0)
	v_fmac_f32_e32 v25, v27, v28
	s_or_b64 exec, exec, s[16:17]
	v_cmp_gt_u32_e64 s[12:13], 48, v4
	s_and_saveexec_b64 s[16:17], s[12:13]
	s_cbranch_execz .LBB117_724
.LBB117_1199:
	v_lshlrev_b32_e32 v27, 2, v19
	v_sub_u32_e32 v27, v26, v27
	v_lshl_add_u32 v27, v18, 2, v27
	ds_read_b32 v27, v27 offset:8864
	ds_read_b32 v28, v26 offset:8328
	s_waitcnt lgkmcnt(0)
	v_fmac_f32_e32 v25, v27, v28
	s_or_b64 exec, exec, s[16:17]
	v_cmp_gt_u32_e64 s[12:13], 40, v4
	s_and_saveexec_b64 s[16:17], s[12:13]
	s_cbranch_execz .LBB117_725
.LBB117_1200:
	v_lshlrev_b32_e32 v27, 2, v19
	v_sub_u32_e32 v27, v26, v27
	v_lshl_add_u32 v27, v18, 2, v27
	ds_read_b32 v27, v27 offset:9120
	ds_read_b32 v28, v26 offset:8332
	s_waitcnt lgkmcnt(0)
	v_fmac_f32_e32 v25, v27, v28
	s_or_b64 exec, exec, s[16:17]
	v_cmp_gt_u32_e64 s[12:13], 32, v4
	s_and_saveexec_b64 s[16:17], s[12:13]
	s_cbranch_execz .LBB117_726
.LBB117_1201:
	ds_read_b32 v27, v15 offset:9376
	ds_read_b32 v28, v26 offset:8336
	s_waitcnt lgkmcnt(0)
	v_fmac_f32_e32 v25, v27, v28
	s_or_b64 exec, exec, s[16:17]
	v_cmp_gt_u32_e64 s[12:13], 24, v4
	s_and_saveexec_b64 s[16:17], s[12:13]
	s_cbranch_execz .LBB117_727
.LBB117_1202:
	v_lshlrev_b32_e32 v27, 2, v19
	v_sub_u32_e32 v27, v26, v27
	v_lshl_add_u32 v27, v18, 2, v27
	ds_read_b32 v27, v27 offset:9632
	ds_read_b32 v28, v26 offset:8340
	s_waitcnt lgkmcnt(0)
	v_fmac_f32_e32 v25, v27, v28
	s_or_b64 exec, exec, s[16:17]
	v_cmp_gt_u32_e64 s[12:13], 16, v4
	s_and_saveexec_b64 s[16:17], s[12:13]
	s_cbranch_execz .LBB117_728
.LBB117_1203:
	ds_read_b32 v27, v15 offset:9888
	ds_read_b32 v26, v26 offset:8344
	s_waitcnt lgkmcnt(0)
	v_fmac_f32_e32 v25, v27, v26
	s_or_b64 exec, exec, s[16:17]
	v_cmp_gt_u32_e64 s[12:13], 8, v4
	s_and_saveexec_b64 s[16:17], s[12:13]
	s_cbranch_execnz .LBB117_729
	s_branch .LBB117_730
.LBB117_1204:
	v_lshlrev_b32_e32 v27, 2, v14
	v_sub_u32_e32 v27, v26, v27
	v_lshl_add_u32 v27, v13, 2, v27
	ds_read_b32 v27, v27 offset:10672
	ds_read_b32 v28, v26 offset:10404
	s_waitcnt lgkmcnt(0)
	v_fmac_f32_e32 v25, v27, v28
	s_or_b64 exec, exec, s[16:17]
	v_cmp_gt_u32_e64 s[12:13], 8, v4
	s_and_saveexec_b64 s[16:17], s[12:13]
	s_cbranch_execz .LBB117_786
.LBB117_1205:
	ds_read_b32 v27, v10 offset:10928
	ds_read_b32 v26, v26 offset:10408
	s_waitcnt lgkmcnt(0)
	v_fmac_f32_e32 v25, v27, v26
	s_or_b64 exec, exec, s[16:17]
	v_cmp_gt_u32_e64 s[12:13], 4, v4
	s_and_saveexec_b64 s[16:17], s[12:13]
	s_cbranch_execnz .LBB117_787
	s_branch .LBB117_788
.LBB117_1206:
	v_lshlrev_b32_e32 v24, 2, v21
	v_lshl_add_u32 v24, v23, 2, v24
	ds_read_b32 v24, v24 offset:11200
	ds_read_b32 v27, v26 offset:8364
	s_waitcnt lgkmcnt(0)
	v_fmac_f32_e32 v25, v24, v27
	s_or_b64 exec, exec, s[16:17]
	v_cmp_gt_u32_e64 s[12:13], 64, v4
	s_and_saveexec_b64 s[16:17], s[12:13]
	s_cbranch_execz .LBB117_848
.LBB117_1207:
	ds_read_b32 v24, v20 offset:11456
	ds_read_b32 v27, v26 offset:8368
	s_waitcnt lgkmcnt(0)
	v_fmac_f32_e32 v25, v24, v27
	s_or_b64 exec, exec, s[16:17]
	v_cmp_gt_u32_e64 s[12:13], 48, v4
	s_and_saveexec_b64 s[16:17], s[12:13]
	s_cbranch_execz .LBB117_849
.LBB117_1208:
	v_lshlrev_b32_e32 v24, 2, v21
	v_lshl_add_u32 v23, v23, 2, v24
	ds_read_b32 v23, v23 offset:11712
	ds_read_b32 v24, v26 offset:8372
	s_waitcnt lgkmcnt(0)
	v_fmac_f32_e32 v25, v23, v24
	s_or_b64 exec, exec, s[16:17]
	v_cmp_gt_u32_e64 s[12:13], 32, v4
	s_and_saveexec_b64 s[16:17], s[12:13]
	s_cbranch_execz .LBB117_850
.LBB117_1209:
	ds_read_b32 v23, v20 offset:11968
	ds_read_b32 v24, v26 offset:8376
	s_waitcnt lgkmcnt(0)
	v_fmac_f32_e32 v25, v23, v24
	s_or_b64 exec, exec, s[16:17]
	v_cmp_gt_u32_e64 s[12:13], 16, v4
	s_and_saveexec_b64 s[16:17], s[12:13]
	s_cbranch_execnz .LBB117_851
	s_branch .LBB117_852
.LBB117_1210:
	v_lshlrev_b32_e32 v22, 2, v14
	v_sub_u32_e32 v22, v21, v22
	v_lshl_add_u32 v22, v13, 2, v22
	ds_read_b32 v22, v22 offset:12752
	ds_read_b32 v23, v21 offset:12484
	s_waitcnt lgkmcnt(0)
	v_fmac_f32_e32 v20, v22, v23
	s_or_b64 exec, exec, s[12:13]
	v_cmp_gt_u32_e64 s[10:11], 8, v4
	s_and_saveexec_b64 s[12:13], s[10:11]
	s_cbranch_execz .LBB117_940
.LBB117_1211:
	ds_read_b32 v22, v10 offset:13008
	ds_read_b32 v21, v21 offset:12488
	s_waitcnt lgkmcnt(0)
	v_fmac_f32_e32 v20, v22, v21
	s_or_b64 exec, exec, s[12:13]
	v_cmp_gt_u32_e64 s[10:11], 4, v4
	s_and_saveexec_b64 s[12:13], s[10:11]
	s_cbranch_execnz .LBB117_941
	s_branch .LBB117_942
.LBB117_1212:
	v_lshlrev_b32_e32 v22, 2, v19
	v_sub_u32_e32 v22, v21, v22
	v_lshl_add_u32 v22, v18, 2, v22
	ds_read_b32 v22, v22 offset:12768
	ds_read_b32 v23, v21 offset:12484
	s_waitcnt lgkmcnt(0)
	v_fmac_f32_e32 v20, v22, v23
	s_or_b64 exec, exec, s[12:13]
	v_cmp_gt_u32_e64 s[10:11], 48, v4
	s_and_saveexec_b64 s[12:13], s[10:11]
	s_cbranch_execz .LBB117_982
.LBB117_1213:
	v_lshlrev_b32_e32 v22, 2, v19
	v_sub_u32_e32 v22, v21, v22
	v_lshl_add_u32 v22, v18, 2, v22
	ds_read_b32 v22, v22 offset:13024
	ds_read_b32 v23, v21 offset:12488
	s_waitcnt lgkmcnt(0)
	v_fmac_f32_e32 v20, v22, v23
	s_or_b64 exec, exec, s[12:13]
	v_cmp_gt_u32_e64 s[10:11], 40, v4
	s_and_saveexec_b64 s[12:13], s[10:11]
	s_cbranch_execz .LBB117_983
.LBB117_1214:
	v_lshlrev_b32_e32 v22, 2, v19
	v_sub_u32_e32 v22, v21, v22
	v_lshl_add_u32 v22, v18, 2, v22
	ds_read_b32 v22, v22 offset:13280
	ds_read_b32 v23, v21 offset:12492
	s_waitcnt lgkmcnt(0)
	v_fmac_f32_e32 v20, v22, v23
	s_or_b64 exec, exec, s[12:13]
	v_cmp_gt_u32_e64 s[10:11], 32, v4
	s_and_saveexec_b64 s[12:13], s[10:11]
	s_cbranch_execz .LBB117_984
.LBB117_1215:
	ds_read_b32 v22, v15 offset:13536
	ds_read_b32 v23, v21 offset:12496
	s_waitcnt lgkmcnt(0)
	v_fmac_f32_e32 v20, v22, v23
	s_or_b64 exec, exec, s[12:13]
	v_cmp_gt_u32_e64 s[10:11], 24, v4
	s_and_saveexec_b64 s[12:13], s[10:11]
	s_cbranch_execz .LBB117_985
.LBB117_1216:
	v_lshlrev_b32_e32 v19, 2, v19
	v_sub_u32_e32 v19, v21, v19
	v_lshl_add_u32 v18, v18, 2, v19
	ds_read_b32 v18, v18 offset:13792
	ds_read_b32 v19, v21 offset:12500
	s_waitcnt lgkmcnt(0)
	v_fmac_f32_e32 v20, v18, v19
	s_or_b64 exec, exec, s[12:13]
	v_cmp_gt_u32_e64 s[10:11], 16, v4
	s_and_saveexec_b64 s[12:13], s[10:11]
	s_cbranch_execz .LBB117_986
.LBB117_1217:
	ds_read_b32 v18, v15 offset:14048
	ds_read_b32 v19, v21 offset:12504
	s_waitcnt lgkmcnt(0)
	v_fmac_f32_e32 v20, v18, v19
	s_or_b64 exec, exec, s[12:13]
	v_cmp_gt_u32_e64 s[10:11], 8, v4
	s_and_saveexec_b64 s[12:13], s[10:11]
	s_cbranch_execnz .LBB117_987
	s_branch .LBB117_988
.LBB117_1218:
	v_lshlrev_b32_e32 v14, 2, v14
	v_sub_u32_e32 v14, v16, v14
	v_lshl_add_u32 v13, v13, 2, v14
	ds_read_b32 v13, v13 offset:14832
	ds_read_b32 v14, v16 offset:14564
	s_waitcnt lgkmcnt(0)
	v_fmac_f32_e32 v15, v13, v14
	s_or_b64 exec, exec, s[10:11]
	v_cmp_gt_u32_e64 s[8:9], 8, v4
	s_and_saveexec_b64 s[10:11], s[8:9]
	s_cbranch_execz .LBB117_1044
.LBB117_1219:
	ds_read_b32 v13, v10 offset:15088
	ds_read_b32 v14, v16 offset:14568
	s_waitcnt lgkmcnt(0)
	v_fmac_f32_e32 v15, v13, v14
	s_or_b64 exec, exec, s[10:11]
	v_cmp_gt_u32_e64 s[8:9], 4, v4
	s_and_saveexec_b64 s[10:11], s[8:9]
	s_cbranch_execnz .LBB117_1045
	s_branch .LBB117_1046
	.section	.rodata,"a",@progbits
	.p2align	6, 0x0
	.amdhsa_kernel _ZL19rocblas_trsv_deviceILi64ELi16ELb1ELb1ELb1ELb1EffPKPKfPKPfEviT7_lllT6_T8_lllPii
		.amdhsa_group_segment_fixed_size 20740
		.amdhsa_private_segment_fixed_size 0
		.amdhsa_kernarg_size 352
		.amdhsa_user_sgpr_count 6
		.amdhsa_user_sgpr_private_segment_buffer 1
		.amdhsa_user_sgpr_dispatch_ptr 0
		.amdhsa_user_sgpr_queue_ptr 0
		.amdhsa_user_sgpr_kernarg_segment_ptr 1
		.amdhsa_user_sgpr_dispatch_id 0
		.amdhsa_user_sgpr_flat_scratch_init 0
		.amdhsa_user_sgpr_private_segment_size 0
		.amdhsa_uses_dynamic_stack 0
		.amdhsa_system_sgpr_private_segment_wavefront_offset 0
		.amdhsa_system_sgpr_workgroup_id_x 1
		.amdhsa_system_sgpr_workgroup_id_y 0
		.amdhsa_system_sgpr_workgroup_id_z 1
		.amdhsa_system_sgpr_workgroup_info 0
		.amdhsa_system_vgpr_workitem_id 1
		.amdhsa_next_free_vgpr 34
		.amdhsa_next_free_sgpr 96
		.amdhsa_reserve_vcc 1
		.amdhsa_reserve_flat_scratch 0
		.amdhsa_float_round_mode_32 0
		.amdhsa_float_round_mode_16_64 0
		.amdhsa_float_denorm_mode_32 3
		.amdhsa_float_denorm_mode_16_64 3
		.amdhsa_dx10_clamp 1
		.amdhsa_ieee_mode 1
		.amdhsa_fp16_overflow 0
		.amdhsa_exception_fp_ieee_invalid_op 0
		.amdhsa_exception_fp_denorm_src 0
		.amdhsa_exception_fp_ieee_div_zero 0
		.amdhsa_exception_fp_ieee_overflow 0
		.amdhsa_exception_fp_ieee_underflow 0
		.amdhsa_exception_fp_ieee_inexact 0
		.amdhsa_exception_int_div_zero 0
	.end_amdhsa_kernel
	.section	.text._ZL19rocblas_trsv_deviceILi64ELi16ELb1ELb1ELb1ELb1EffPKPKfPKPfEviT7_lllT6_T8_lllPii,"axG",@progbits,_ZL19rocblas_trsv_deviceILi64ELi16ELb1ELb1ELb1ELb1EffPKPKfPKPfEviT7_lllT6_T8_lllPii,comdat
.Lfunc_end117:
	.size	_ZL19rocblas_trsv_deviceILi64ELi16ELb1ELb1ELb1ELb1EffPKPKfPKPfEviT7_lllT6_T8_lllPii, .Lfunc_end117-_ZL19rocblas_trsv_deviceILi64ELi16ELb1ELb1ELb1ELb1EffPKPKfPKPfEviT7_lllT6_T8_lllPii
                                        ; -- End function
	.set _ZL19rocblas_trsv_deviceILi64ELi16ELb1ELb1ELb1ELb1EffPKPKfPKPfEviT7_lllT6_T8_lllPii.num_vgpr, 34
	.set _ZL19rocblas_trsv_deviceILi64ELi16ELb1ELb1ELb1ELb1EffPKPKfPKPfEviT7_lllT6_T8_lllPii.num_agpr, 0
	.set _ZL19rocblas_trsv_deviceILi64ELi16ELb1ELb1ELb1ELb1EffPKPKfPKPfEviT7_lllT6_T8_lllPii.numbered_sgpr, 96
	.set _ZL19rocblas_trsv_deviceILi64ELi16ELb1ELb1ELb1ELb1EffPKPKfPKPfEviT7_lllT6_T8_lllPii.num_named_barrier, 0
	.set _ZL19rocblas_trsv_deviceILi64ELi16ELb1ELb1ELb1ELb1EffPKPKfPKPfEviT7_lllT6_T8_lllPii.private_seg_size, 0
	.set _ZL19rocblas_trsv_deviceILi64ELi16ELb1ELb1ELb1ELb1EffPKPKfPKPfEviT7_lllT6_T8_lllPii.uses_vcc, 1
	.set _ZL19rocblas_trsv_deviceILi64ELi16ELb1ELb1ELb1ELb1EffPKPKfPKPfEviT7_lllT6_T8_lllPii.uses_flat_scratch, 0
	.set _ZL19rocblas_trsv_deviceILi64ELi16ELb1ELb1ELb1ELb1EffPKPKfPKPfEviT7_lllT6_T8_lllPii.has_dyn_sized_stack, 0
	.set _ZL19rocblas_trsv_deviceILi64ELi16ELb1ELb1ELb1ELb1EffPKPKfPKPfEviT7_lllT6_T8_lllPii.has_recursion, 0
	.set _ZL19rocblas_trsv_deviceILi64ELi16ELb1ELb1ELb1ELb1EffPKPKfPKPfEviT7_lllT6_T8_lllPii.has_indirect_call, 0
	.section	.AMDGPU.csdata,"",@progbits
; Kernel info:
; codeLenInByte = 33876
; TotalNumSgprs: 100
; NumVgprs: 34
; ScratchSize: 0
; MemoryBound: 0
; FloatMode: 240
; IeeeMode: 1
; LDSByteSize: 20740 bytes/workgroup (compile time only)
; SGPRBlocks: 12
; VGPRBlocks: 8
; NumSGPRsForWavesPerEU: 100
; NumVGPRsForWavesPerEU: 34
; Occupancy: 7
; WaveLimiterHint : 1
; COMPUTE_PGM_RSRC2:SCRATCH_EN: 0
; COMPUTE_PGM_RSRC2:USER_SGPR: 6
; COMPUTE_PGM_RSRC2:TRAP_HANDLER: 0
; COMPUTE_PGM_RSRC2:TGID_X_EN: 1
; COMPUTE_PGM_RSRC2:TGID_Y_EN: 0
; COMPUTE_PGM_RSRC2:TGID_Z_EN: 1
; COMPUTE_PGM_RSRC2:TIDIG_COMP_CNT: 1
	.section	.text._ZL19rocblas_trsv_deviceILi64ELi16ELb1ELb0ELb0ELb0EffPKPKfPKPfEviT7_lllT6_T8_lllPii,"axG",@progbits,_ZL19rocblas_trsv_deviceILi64ELi16ELb1ELb0ELb0ELb0EffPKPKfPKPfEviT7_lllT6_T8_lllPii,comdat
	.globl	_ZL19rocblas_trsv_deviceILi64ELi16ELb1ELb0ELb0ELb0EffPKPKfPKPfEviT7_lllT6_T8_lllPii ; -- Begin function _ZL19rocblas_trsv_deviceILi64ELi16ELb1ELb0ELb0ELb0EffPKPKfPKPfEviT7_lllT6_T8_lllPii
	.p2align	8
	.type	_ZL19rocblas_trsv_deviceILi64ELi16ELb1ELb0ELb0ELb0EffPKPKfPKPfEviT7_lllT6_T8_lllPii,@function
_ZL19rocblas_trsv_deviceILi64ELi16ELb1ELb0ELb0ELb0EffPKPKfPKPfEviT7_lllT6_T8_lllPii: ; @_ZL19rocblas_trsv_deviceILi64ELi16ELb1ELb0ELb0ELb0EffPKPKfPKPfEviT7_lllT6_T8_lllPii
; %bb.0:
	s_load_dwordx4 s[0:3], s[4:5], 0x8
	s_mov_b32 s20, s7
	s_mov_b32 s21, 0
	s_lshl_b64 s[8:9], s[20:21], 3
	v_mov_b32_e32 v2, v1
	s_waitcnt lgkmcnt(0)
	s_add_u32 s0, s0, s8
	s_addc_u32 s1, s1, s9
	s_load_dwordx2 s[10:11], s[0:1], 0x0
	s_load_dword s7, s[4:5], 0x0
	s_load_dwordx4 s[16:19], s[4:5], 0x30
	s_load_dwordx2 s[24:25], s[4:5], 0x18
	s_lshl_b64 s[0:1], s[2:3], 2
	s_waitcnt lgkmcnt(0)
	s_add_u32 s85, s10, s0
	s_addc_u32 s86, s11, s1
	s_add_u32 s0, s16, s8
	s_addc_u32 s1, s17, s9
	s_load_dwordx2 s[28:29], s[0:1], 0x0
	s_load_dwordx2 s[22:23], s[4:5], 0x40
	s_load_dword s87, s[4:5], 0x6c
	s_cmp_eq_u32 s6, 0
	s_cbranch_scc1 .LBB118_10
; %bb.1:
	s_lshl_b32 s33, s6, 6
	v_add_u32_e32 v1, s33, v2
	v_subrev_u32_e32 v1, 64, v1
	v_ashrrev_i32_e32 v3, 31, v1
	v_mul_lo_u32 v7, s24, v3
	v_mul_lo_u32 v8, s25, v1
	v_mad_u64_u32 v[3:4], s[0:1], s24, v1, 0
	v_add_u32_e32 v5, s33, v0
	v_ashrrev_i32_e32 v6, 31, v5
	v_add3_u32 v4, v4, v7, v8
	v_lshlrev_b64 v[3:4], 2, v[3:4]
	v_mov_b32_e32 v7, s86
	v_add_co_u32_e64 v8, s[0:1], s85, v3
	v_addc_co_u32_e64 v7, s[0:1], v7, v4, s[0:1]
	v_lshlrev_b64 v[3:4], 2, v[5:6]
	v_cmp_gt_i32_e32 vcc, s7, v5
	v_add_co_u32_e64 v3, s[0:1], v8, v3
	v_addc_co_u32_e64 v4, s[0:1], v7, v4, s[0:1]
	v_cmp_gt_i32_e64 s[0:1], s7, v1
	s_and_b64 s[2:3], vcc, s[0:1]
	v_mov_b32_e32 v8, 0
	v_mov_b32_e32 v7, 0
	s_waitcnt lgkmcnt(0)
	s_barrier
	s_and_saveexec_b64 s[0:1], s[2:3]
	s_cbranch_execz .LBB118_3
; %bb.2:
	flat_load_dword v7, v[3:4]
.LBB118_3:
	s_or_b64 exec, exec, s[0:1]
	v_add_u32_e32 v5, 16, v1
	v_cmp_gt_i32_e64 s[0:1], s7, v5
	s_and_b64 s[0:1], vcc, s[0:1]
	s_waitcnt vmcnt(0) lgkmcnt(0)
	s_barrier
	s_and_saveexec_b64 s[2:3], s[0:1]
	s_cbranch_execz .LBB118_5
; %bb.4:
	s_lshl_b64 s[0:1], s[24:25], 6
	v_mov_b32_e32 v6, s1
	v_add_co_u32_e64 v5, s[0:1], s0, v3
	v_addc_co_u32_e64 v6, s[0:1], v4, v6, s[0:1]
	flat_load_dword v8, v[5:6]
.LBB118_5:
	s_or_b64 exec, exec, s[2:3]
	v_add_u32_e32 v5, 32, v1
	v_cmp_gt_i32_e64 s[0:1], s7, v5
	s_and_b64 s[0:1], vcc, s[0:1]
	v_mov_b32_e32 v9, 0
	v_mov_b32_e32 v10, 0
	s_waitcnt vmcnt(0) lgkmcnt(0)
	s_barrier
	s_and_saveexec_b64 s[2:3], s[0:1]
	s_cbranch_execz .LBB118_7
; %bb.6:
	s_lshl_b64 s[0:1], s[24:25], 7
	v_mov_b32_e32 v6, s1
	v_add_co_u32_e64 v5, s[0:1], s0, v3
	v_addc_co_u32_e64 v6, s[0:1], v4, v6, s[0:1]
	flat_load_dword v10, v[5:6]
.LBB118_7:
	s_or_b64 exec, exec, s[2:3]
	v_add_u32_e32 v1, 48, v1
	v_cmp_gt_i32_e64 s[0:1], s7, v1
	s_and_b64 s[2:3], vcc, s[0:1]
	s_waitcnt vmcnt(0) lgkmcnt(0)
	s_barrier
	s_and_saveexec_b64 s[0:1], s[2:3]
	s_cbranch_execz .LBB118_9
; %bb.8:
	v_mov_b32_e32 v1, 0xc0
	v_mad_u64_u32 v[3:4], s[2:3], s24, v1, v[3:4]
	s_mul_i32 s2, s25, 0xc0
	v_add_u32_e32 v4, s2, v4
	flat_load_dword v9, v[3:4]
.LBB118_9:
	s_or_b64 exec, exec, s[0:1]
	s_branch .LBB118_11
.LBB118_10:
                                        ; implicit-def: $vgpr9
                                        ; implicit-def: $vgpr10
                                        ; implicit-def: $vgpr8
                                        ; implicit-def: $vgpr7
	s_mov_b32 s33, s21
.LBB118_11:
	s_ashr_i32 s0, s7, 31
	s_lshr_b32 s0, s0, 26
	s_add_i32 s0, s7, s0
	s_andn2_b32 s0, s0, 63
	s_sub_i32 s84, s7, s0
	s_add_i32 s0, s7, -1
	s_ashr_i32 s1, s0, 31
	s_lshr_b32 s1, s1, 26
	s_add_i32 s0, s0, s1
	s_ashr_i32 s0, s0, 6
	s_cmp_eq_u32 s0, s6
	s_cselect_b64 s[0:1], -1, 0
	s_cmp_lg_u32 s84, 0
	s_cselect_b64 s[2:3], -1, 0
	s_and_b64 s[26:27], s[2:3], s[0:1]
	s_ashr_i32 s50, s33, 31
	s_add_u32 s8, s24, 1
	v_mov_b32_e32 v1, 0
	v_mov_b32_e32 v3, s33
	v_mad_u64_u32 v[3:4], s[0:1], s8, v3, v[0:1]
	s_addc_u32 s9, s25, 0
	s_mul_i32 s0, s8, s50
	s_mul_i32 s9, s9, s33
	s_add_i32 s0, s0, s9
	s_mov_b64 s[2:3], -1
	v_add_u32_e32 v4, s0, v4
	s_and_b64 vcc, exec, s[26:27]
	v_cmp_le_u32_e64 s[0:1], v0, v2
	s_cbranch_vccnz .LBB118_33
; %bb.12:
	v_mad_u64_u32 v[5:6], s[2:3], s24, v2, v[3:4]
	v_mov_b32_e32 v1, v6
	v_mad_u64_u32 v[11:12], s[2:3], s25, v2, v[1:2]
	s_mov_b64 s[2:3], 0
                                        ; implicit-def: $vgpr1
	v_mov_b32_e32 v6, v11
	s_and_saveexec_b64 s[8:9], s[0:1]
	s_xor_b64 s[0:1], exec, s[8:9]
	s_cbranch_execnz .LBB118_1097
; %bb.13:
	s_andn2_saveexec_b64 s[0:1], s[0:1]
	s_cbranch_execnz .LBB118_1102
.LBB118_14:
	s_or_b64 exec, exec, s[0:1]
	s_and_saveexec_b64 s[0:1], s[2:3]
.LBB118_15:
	v_lshlrev_b32_e32 v5, 2, v0
	v_lshl_add_u32 v5, v2, 8, v5
	ds_write_b32 v5, v1
.LBB118_16:
	s_or_b64 exec, exec, s[0:1]
	v_add_u32_e32 v1, 16, v2
	v_mad_u64_u32 v[5:6], s[0:1], s24, v1, v[3:4]
	v_cmp_le_u32_e32 vcc, v0, v1
	s_mov_b64 s[2:3], 0
	v_mad_u64_u32 v[11:12], s[0:1], s25, v1, v[6:7]
	v_mov_b32_e32 v6, v11
                                        ; implicit-def: $vgpr11
	s_and_saveexec_b64 s[0:1], vcc
	s_xor_b64 s[0:1], exec, s[0:1]
	s_cbranch_execnz .LBB118_1103
; %bb.17:
	s_andn2_saveexec_b64 s[0:1], s[0:1]
	s_cbranch_execnz .LBB118_1108
.LBB118_18:
	s_or_b64 exec, exec, s[0:1]
	s_and_saveexec_b64 s[0:1], s[2:3]
.LBB118_19:
	v_lshlrev_b32_e32 v5, 2, v0
	v_lshl_add_u32 v1, v1, 8, v5
	ds_write_b32 v1, v11
.LBB118_20:
	s_or_b64 exec, exec, s[0:1]
	v_add_u32_e32 v1, 32, v2
	v_mad_u64_u32 v[5:6], s[0:1], s24, v1, v[3:4]
	v_cmp_le_u32_e32 vcc, v0, v1
	s_mov_b64 s[2:3], 0
	v_mad_u64_u32 v[11:12], s[0:1], s25, v1, v[6:7]
	v_mov_b32_e32 v6, v11
                                        ; implicit-def: $vgpr11
	s_and_saveexec_b64 s[0:1], vcc
	s_xor_b64 s[0:1], exec, s[0:1]
	s_cbranch_execnz .LBB118_1109
; %bb.21:
	s_andn2_saveexec_b64 s[0:1], s[0:1]
	s_cbranch_execnz .LBB118_1114
.LBB118_22:
	s_or_b64 exec, exec, s[0:1]
	s_and_saveexec_b64 s[0:1], s[2:3]
.LBB118_23:
	v_lshlrev_b32_e32 v5, 2, v0
	v_lshl_add_u32 v1, v1, 8, v5
	ds_write_b32 v1, v11
.LBB118_24:
	s_or_b64 exec, exec, s[0:1]
	v_add_u32_e32 v1, 48, v2
	v_mad_u64_u32 v[5:6], s[0:1], s24, v1, v[3:4]
	v_cmp_le_u32_e32 vcc, v0, v1
	s_mov_b64 s[8:9], 0
	v_mad_u64_u32 v[11:12], s[0:1], s25, v1, v[6:7]
	v_mov_b32_e32 v6, v11
                                        ; implicit-def: $vgpr11
	s_and_saveexec_b64 s[0:1], vcc
	s_xor_b64 s[0:1], exec, s[0:1]
	s_cbranch_execz .LBB118_30
; %bb.25:
	v_cmp_ne_u32_e32 vcc, v0, v1
	s_mov_b64 s[2:3], 0
	s_and_saveexec_b64 s[8:9], vcc
	s_xor_b64 s[8:9], exec, s[8:9]
; %bb.26:
	v_or_b32_e32 v5, v1, v0
	v_cmp_gt_u32_e32 vcc, 64, v5
	s_and_b64 s[2:3], vcc, exec
                                        ; implicit-def: $vgpr5_vgpr6
; %bb.27:
	s_or_saveexec_b64 s[8:9], s[8:9]
	v_mov_b32_e32 v11, 0
	s_xor_b64 exec, exec, s[8:9]
	s_cbranch_execz .LBB118_29
; %bb.28:
	v_lshlrev_b64 v[5:6], 2, v[5:6]
	v_mov_b32_e32 v1, s86
	v_add_co_u32_e32 v5, vcc, s85, v5
	v_addc_co_u32_e32 v6, vcc, v1, v6, vcc
	flat_load_dword v1, v[5:6]
	s_or_b64 s[2:3], s[2:3], exec
	s_waitcnt vmcnt(0) lgkmcnt(0)
	v_div_scale_f32 v5, s[10:11], v1, v1, 1.0
	v_div_scale_f32 v6, vcc, 1.0, v1, 1.0
	v_rcp_f32_e32 v11, v5
	v_fma_f32 v12, -v5, v11, 1.0
	v_fmac_f32_e32 v11, v12, v11
	v_mul_f32_e32 v12, v6, v11
	v_fma_f32 v13, -v5, v12, v6
	v_fmac_f32_e32 v12, v13, v11
	v_fma_f32 v5, -v5, v12, v6
	v_div_fmas_f32 v5, v5, v11, v12
	v_div_fixup_f32 v11, v5, v1, 1.0
	v_mov_b32_e32 v1, v0
.LBB118_29:
	s_or_b64 exec, exec, s[8:9]
	s_and_b64 s[8:9], s[2:3], exec
                                        ; implicit-def: $vgpr5_vgpr6
.LBB118_30:
	s_andn2_saveexec_b64 s[0:1], s[0:1]
	s_cbranch_execz .LBB118_32
; %bb.31:
	v_lshlrev_b64 v[5:6], 2, v[5:6]
	v_mov_b32_e32 v11, s86
	v_add_co_u32_e32 v5, vcc, s85, v5
	v_addc_co_u32_e32 v6, vcc, v11, v6, vcc
	flat_load_dword v5, v[5:6]
	s_or_b64 s[8:9], s[8:9], exec
	s_waitcnt vmcnt(0) lgkmcnt(0)
	v_xor_b32_e32 v11, 0x80000000, v5
.LBB118_32:
	s_or_b64 exec, exec, s[0:1]
	s_branch .LBB118_55
.LBB118_33:
	s_mov_b64 s[8:9], 0
                                        ; implicit-def: $vgpr11
                                        ; implicit-def: $vgpr1
	s_and_b64 vcc, exec, s[2:3]
	s_cbranch_vccz .LBB118_55
; %bb.34:
	v_mad_u64_u32 v[5:6], s[0:1], s24, v2, v[3:4]
	v_cmp_le_u32_e32 vcc, v0, v2
	v_cmp_gt_i32_e64 s[0:1], s84, v0
	v_mov_b32_e32 v1, v6
	v_mad_u64_u32 v[11:12], s[2:3], s25, v2, v[1:2]
	v_max_i32_e32 v1, v2, v0
	v_cmp_le_i32_e64 s[2:3], s84, v1
	v_mov_b32_e32 v6, v11
	s_or_b64 s[2:3], s[2:3], vcc
	s_mov_b64 s[10:11], 0
                                        ; implicit-def: $vgpr1
	s_and_saveexec_b64 s[12:13], s[2:3]
	s_xor_b64 s[2:3], exec, s[12:13]
	s_cbranch_execnz .LBB118_1115
; %bb.35:
	s_andn2_saveexec_b64 s[2:3], s[2:3]
	s_cbranch_execnz .LBB118_1120
.LBB118_36:
	s_or_b64 exec, exec, s[2:3]
	s_and_saveexec_b64 s[2:3], s[10:11]
.LBB118_37:
	v_lshlrev_b32_e32 v5, 2, v0
	v_lshl_add_u32 v5, v2, 8, v5
	ds_write_b32 v5, v1
.LBB118_38:
	s_or_b64 exec, exec, s[2:3]
	v_add_u32_e32 v1, 16, v2
	v_mad_u64_u32 v[5:6], s[2:3], s24, v1, v[3:4]
	v_cmp_gt_u32_e32 vcc, v0, v1
	s_mov_b64 s[10:11], 0
	v_mad_u64_u32 v[11:12], s[2:3], s25, v1, v[6:7]
	v_cmp_gt_i32_e64 s[2:3], s84, v1
	s_and_b64 s[2:3], vcc, s[2:3]
	s_and_b64 s[2:3], s[0:1], s[2:3]
	v_mov_b32_e32 v6, v11
	s_xor_b64 s[2:3], s[2:3], -1
                                        ; implicit-def: $vgpr11
	s_and_saveexec_b64 s[12:13], s[2:3]
	s_xor_b64 s[2:3], exec, s[12:13]
	s_cbranch_execnz .LBB118_1121
; %bb.39:
	s_andn2_saveexec_b64 s[2:3], s[2:3]
	s_cbranch_execnz .LBB118_1126
.LBB118_40:
	s_or_b64 exec, exec, s[2:3]
	s_and_saveexec_b64 s[2:3], s[10:11]
.LBB118_41:
	v_lshlrev_b32_e32 v5, 2, v0
	v_lshl_add_u32 v1, v1, 8, v5
	ds_write_b32 v1, v11
.LBB118_42:
	s_or_b64 exec, exec, s[2:3]
	v_add_u32_e32 v1, 32, v2
	v_mad_u64_u32 v[5:6], s[2:3], s24, v1, v[3:4]
	v_cmp_gt_u32_e32 vcc, v0, v1
	s_mov_b64 s[10:11], 0
	v_mad_u64_u32 v[11:12], s[2:3], s25, v1, v[6:7]
	v_cmp_gt_i32_e64 s[2:3], s84, v1
	s_and_b64 s[2:3], vcc, s[2:3]
	s_and_b64 s[2:3], s[0:1], s[2:3]
	v_mov_b32_e32 v6, v11
	s_xor_b64 s[2:3], s[2:3], -1
                                        ; implicit-def: $vgpr11
	s_and_saveexec_b64 s[12:13], s[2:3]
	s_xor_b64 s[2:3], exec, s[12:13]
	s_cbranch_execnz .LBB118_1127
; %bb.43:
	s_andn2_saveexec_b64 s[2:3], s[2:3]
	s_cbranch_execnz .LBB118_1132
.LBB118_44:
	s_or_b64 exec, exec, s[2:3]
	s_and_saveexec_b64 s[2:3], s[10:11]
.LBB118_45:
	v_lshlrev_b32_e32 v5, 2, v0
	v_lshl_add_u32 v1, v1, 8, v5
	ds_write_b32 v1, v11
.LBB118_46:
	s_or_b64 exec, exec, s[2:3]
	v_add_u32_e32 v1, 48, v2
	v_mad_u64_u32 v[3:4], s[2:3], s24, v1, v[3:4]
	v_cmp_gt_u32_e32 vcc, v0, v1
                                        ; implicit-def: $vgpr11
	v_mad_u64_u32 v[4:5], s[2:3], s25, v1, v[4:5]
	v_cmp_gt_i32_e64 s[2:3], s84, v1
	s_and_b64 s[2:3], vcc, s[2:3]
	s_and_b64 s[2:3], s[0:1], s[2:3]
	s_xor_b64 s[2:3], s[2:3], -1
	s_and_saveexec_b64 s[10:11], s[2:3]
	s_xor_b64 s[2:3], exec, s[10:11]
	s_cbranch_execz .LBB118_52
; %bb.47:
	v_cmp_ne_u32_e32 vcc, v0, v1
	s_xor_b64 s[0:1], s[0:1], -1
	s_or_b64 s[10:11], s[0:1], vcc
	s_mov_b64 s[0:1], s[8:9]
	s_and_saveexec_b64 s[12:13], s[10:11]
	s_xor_b64 s[10:11], exec, s[12:13]
; %bb.48:
	v_or_b32_e32 v3, v1, v0
	v_cmp_gt_u32_e32 vcc, 64, v3
	s_andn2_b64 s[0:1], s[8:9], exec
	s_and_b64 s[12:13], vcc, exec
	s_or_b64 s[0:1], s[0:1], s[12:13]
                                        ; implicit-def: $vgpr3_vgpr4
; %bb.49:
	s_or_saveexec_b64 s[10:11], s[10:11]
	v_mov_b32_e32 v11, 0
	s_xor_b64 exec, exec, s[10:11]
	s_cbranch_execz .LBB118_51
; %bb.50:
	v_lshlrev_b64 v[3:4], 2, v[3:4]
	v_mov_b32_e32 v1, s86
	v_add_co_u32_e32 v3, vcc, s85, v3
	v_addc_co_u32_e32 v4, vcc, v1, v4, vcc
	flat_load_dword v1, v[3:4]
	s_or_b64 s[0:1], s[0:1], exec
	s_waitcnt vmcnt(0) lgkmcnt(0)
	v_div_scale_f32 v3, s[12:13], v1, v1, 1.0
	v_div_scale_f32 v4, vcc, 1.0, v1, 1.0
	v_rcp_f32_e32 v5, v3
	v_fma_f32 v6, -v3, v5, 1.0
	v_fmac_f32_e32 v5, v6, v5
	v_mul_f32_e32 v6, v4, v5
	v_fma_f32 v11, -v3, v6, v4
	v_fmac_f32_e32 v6, v11, v5
	v_fma_f32 v3, -v3, v6, v4
	v_div_fmas_f32 v3, v3, v5, v6
	v_div_fixup_f32 v11, v3, v1, 1.0
	v_mov_b32_e32 v1, v0
.LBB118_51:
	s_or_b64 exec, exec, s[10:11]
	s_andn2_b64 s[8:9], s[8:9], exec
	s_and_b64 s[0:1], s[0:1], exec
	s_or_b64 s[8:9], s[8:9], s[0:1]
                                        ; implicit-def: $vgpr3_vgpr4
.LBB118_52:
	s_andn2_saveexec_b64 s[0:1], s[2:3]
	s_cbranch_execz .LBB118_54
; %bb.53:
	v_lshlrev_b64 v[3:4], 2, v[3:4]
	v_mov_b32_e32 v5, s86
	v_add_co_u32_e32 v3, vcc, s85, v3
	v_addc_co_u32_e32 v4, vcc, v5, v4, vcc
	flat_load_dword v3, v[3:4]
	s_or_b64 s[8:9], s[8:9], exec
	s_waitcnt vmcnt(0) lgkmcnt(0)
	v_xor_b32_e32 v11, 0x80000000, v3
.LBB118_54:
	s_or_b64 exec, exec, s[0:1]
.LBB118_55:
	s_and_saveexec_b64 s[0:1], s[8:9]
; %bb.56:
	v_lshlrev_b32_e32 v3, 2, v0
	v_lshl_add_u32 v1, v1, 8, v3
	ds_write_b32 v1, v11
; %bb.57:
	s_or_b64 exec, exec, s[0:1]
	s_cmp_lt_i32 s6, 5
	s_cselect_b64 s[0:1], -1, 0
	s_or_b64 s[30:31], s[0:1], s[26:27]
	s_and_b64 vcc, exec, s[30:31]
	s_waitcnt vmcnt(0) lgkmcnt(0)
	s_barrier
	s_cbranch_vccnz .LBB118_1033
; %bb.58:
	v_or_b32_e32 v1, v0, v2
	v_cmp_eq_u32_e32 vcc, 0, v1
	s_and_saveexec_b64 s[0:1], vcc
	s_cbranch_execz .LBB118_60
; %bb.59:
	v_mov_b32_e32 v1, 0
	ds_read_b64 v[3:4], v1
	ds_read_b32 v5, v1 offset:260
	s_waitcnt lgkmcnt(0)
	v_mul_f32_e32 v3, v3, v5
	v_mul_f32_e32 v3, v4, v3
	ds_write_b32 v1, v3 offset:4
.LBB118_60:
	s_or_b64 exec, exec, s[0:1]
	v_lshl_add_u32 v4, v2, 6, v0
	v_and_b32_e32 v11, 1, v0
	v_lshrrev_b32_e32 v5, 1, v4
	v_lshlrev_b32_e32 v1, 2, v11
	v_cmp_lt_u32_e64 s[2:3], 3, v4
	v_cmp_gt_u32_e64 s[0:1], 4, v4
	v_lshl_or_b32 v1, v5, 8, v1
	v_mov_b32_e32 v6, 0
	s_waitcnt lgkmcnt(0)
	s_barrier
	s_and_saveexec_b64 s[10:11], s[0:1]
	s_cbranch_execz .LBB118_64
; %bb.61:
	v_mul_u32_u24_e32 v3, 0x104, v5
	ds_read_b32 v12, v1 offset:8
	ds_read_b32 v3, v3
	v_mov_b32_e32 v6, 0
	v_cmp_gt_u32_e64 s[8:9], 2, v4
	s_waitcnt lgkmcnt(0)
	v_fma_f32 v3, v12, v3, 0
	s_and_saveexec_b64 s[12:13], s[8:9]
	s_cbranch_execz .LBB118_63
; %bb.62:
	v_lshlrev_b32_e32 v12, 2, v0
	ds_read_b32 v12, v12 offset:264
	ds_read_b32 v6, v6 offset:4
	s_waitcnt lgkmcnt(0)
	v_fmac_f32_e32 v3, v12, v6
.LBB118_63:
	s_or_b64 exec, exec, s[12:13]
	v_xor_b32_e32 v6, 0x80000000, v3
.LBB118_64:
	s_or_b64 exec, exec, s[10:11]
	v_mov_b32_e32 v3, 0x4000
	v_cmp_eq_u32_e64 s[8:9], 0, v11
	s_xor_b64 s[10:11], s[2:3], -1
	v_lshl_add_u32 v3, v5, 2, v3
	s_and_b64 s[36:37], s[8:9], s[10:11]
	s_and_saveexec_b64 s[2:3], s[36:37]
	s_cbranch_execz .LBB118_66
; %bb.65:
	v_mov_b32_e32 v12, 0
	ds_read_b32 v12, v12 offset:520
	s_waitcnt lgkmcnt(0)
	v_mul_f32_e32 v6, v6, v12
	ds_write_b32 v3, v6
.LBB118_66:
	s_or_b64 exec, exec, s[2:3]
	v_cmp_ne_u32_e64 s[2:3], 0, v11
	s_and_b64 s[34:35], s[2:3], s[10:11]
	s_waitcnt lgkmcnt(0)
	s_barrier
	s_and_saveexec_b64 s[2:3], s[34:35]
	s_cbranch_execz .LBB118_68
; %bb.67:
	v_mov_b32_e32 v11, 0
	ds_read_b32 v11, v11 offset:524
	ds_read_b32 v12, v3
	s_waitcnt lgkmcnt(0)
	v_fmac_f32_e32 v6, v11, v12
.LBB118_68:
	s_or_b64 exec, exec, s[2:3]
	s_barrier
	s_and_saveexec_b64 s[2:3], s[34:35]
	s_cbranch_execz .LBB118_70
; %bb.69:
	v_mov_b32_e32 v11, 0
	ds_read_b32 v11, v11 offset:780
	s_waitcnt lgkmcnt(0)
	v_mul_f32_e32 v6, v6, v11
	ds_write_b32 v3, v6
.LBB118_70:
	s_or_b64 exec, exec, s[2:3]
	s_waitcnt lgkmcnt(0)
	s_barrier
	s_barrier
	s_and_saveexec_b64 s[2:3], s[0:1]
; %bb.71:
	v_xor_b32_e32 v6, 0x80000000, v6
	ds_write_b32 v1, v6 offset:8
; %bb.72:
	s_or_b64 exec, exec, s[2:3]
	s_waitcnt lgkmcnt(0)
	s_barrier
	s_barrier
	s_and_saveexec_b64 s[2:3], vcc
	s_cbranch_execz .LBB118_74
; %bb.73:
	v_mov_b32_e32 v6, 0
	ds_read_b64 v[11:12], v6 offset:520
	ds_read_b32 v13, v6 offset:780
	s_waitcnt lgkmcnt(0)
	v_mul_f32_e32 v11, v11, v13
	v_mul_f32_e32 v11, v12, v11
	ds_write_b32 v6, v11 offset:524
.LBB118_74:
	s_or_b64 exec, exec, s[2:3]
	v_and_b32_e32 v13, 3, v0
	v_lshrrev_b32_e32 v14, 2, v4
	v_lshlrev_b32_e32 v11, 2, v13
	v_cmp_lt_u32_e64 s[8:9], 15, v4
	v_cmp_gt_u32_e64 s[2:3], 16, v4
	v_lshl_or_b32 v6, v14, 8, v11
	v_mov_b32_e32 v15, 0
	s_waitcnt lgkmcnt(0)
	s_barrier
	s_and_saveexec_b64 s[12:13], s[2:3]
	s_cbranch_execz .LBB118_80
; %bb.75:
	v_mul_u32_u24_e32 v15, 0x104, v14
	ds_read_b32 v12, v6 offset:16
	ds_read_b32 v16, v15
	v_cmp_gt_u32_e64 s[10:11], 12, v4
	s_waitcnt lgkmcnt(0)
	v_fma_f32 v12, v12, v16, 0
	s_and_saveexec_b64 s[14:15], s[10:11]
	s_cbranch_execnz .LBB118_1144
; %bb.76:
	s_or_b64 exec, exec, s[14:15]
	v_cmp_gt_u32_e64 s[10:11], 8, v4
	s_and_saveexec_b64 s[14:15], s[10:11]
	s_cbranch_execnz .LBB118_1145
.LBB118_77:
	s_or_b64 exec, exec, s[14:15]
	v_cmp_gt_u32_e64 s[10:11], 4, v4
	s_and_saveexec_b64 s[14:15], s[10:11]
	s_cbranch_execz .LBB118_79
.LBB118_78:
	v_lshlrev_b32_e32 v15, 2, v0
	v_mov_b32_e32 v16, 0
	ds_read_b32 v15, v15 offset:784
	ds_read_b32 v16, v16 offset:12
	s_waitcnt lgkmcnt(0)
	v_fmac_f32_e32 v12, v15, v16
.LBB118_79:
	s_or_b64 exec, exec, s[14:15]
	v_xor_b32_e32 v15, 0x80000000, v12
.LBB118_80:
	s_or_b64 exec, exec, s[12:13]
	v_mov_b32_e32 v12, 0x4000
	v_cmp_eq_u32_e64 s[10:11], 0, v13
	s_xor_b64 s[12:13], s[8:9], -1
	v_lshl_add_u32 v12, v14, 2, v12
	s_and_b64 s[40:41], s[10:11], s[12:13]
	s_and_saveexec_b64 s[8:9], s[40:41]
	s_cbranch_execz .LBB118_82
; %bb.81:
	v_mov_b32_e32 v16, 0
	ds_read_b32 v16, v16 offset:1040
	s_waitcnt lgkmcnt(0)
	v_mul_f32_e32 v15, v15, v16
	ds_write_b32 v12, v15
.LBB118_82:
	s_or_b64 exec, exec, s[8:9]
	v_cmp_ne_u32_e64 s[8:9], 0, v13
	s_and_b64 s[42:43], s[8:9], s[12:13]
	s_waitcnt lgkmcnt(0)
	s_barrier
	s_and_saveexec_b64 s[8:9], s[42:43]
	s_cbranch_execz .LBB118_84
; %bb.83:
	ds_read_b32 v16, v11 offset:1040
	ds_read_b32 v17, v12
	s_waitcnt lgkmcnt(0)
	v_fmac_f32_e32 v15, v16, v17
.LBB118_84:
	s_or_b64 exec, exec, s[8:9]
	v_cmp_eq_u32_e64 s[8:9], 1, v13
	s_and_b64 s[44:45], s[8:9], s[12:13]
	s_barrier
	s_and_saveexec_b64 s[8:9], s[44:45]
	s_cbranch_execz .LBB118_86
; %bb.85:
	v_mov_b32_e32 v16, 0
	ds_read_b32 v16, v16 offset:1300
	s_waitcnt lgkmcnt(0)
	v_mul_f32_e32 v15, v15, v16
	ds_write_b32 v12, v15
.LBB118_86:
	s_or_b64 exec, exec, s[8:9]
	v_cmp_lt_u32_e64 s[8:9], 1, v13
	s_and_b64 s[46:47], s[8:9], s[12:13]
	s_waitcnt lgkmcnt(0)
	s_barrier
	s_and_saveexec_b64 s[8:9], s[46:47]
	s_cbranch_execz .LBB118_88
; %bb.87:
	ds_read_b32 v16, v11 offset:1296
	ds_read_b32 v17, v12
	s_waitcnt lgkmcnt(0)
	v_fmac_f32_e32 v15, v16, v17
.LBB118_88:
	s_or_b64 exec, exec, s[8:9]
	v_cmp_eq_u32_e64 s[8:9], 2, v13
	s_and_b64 s[48:49], s[8:9], s[12:13]
	s_barrier
	s_and_saveexec_b64 s[8:9], s[48:49]
	s_cbranch_execz .LBB118_90
; %bb.89:
	v_mov_b32_e32 v16, 0
	ds_read_b32 v16, v16 offset:1560
	s_waitcnt lgkmcnt(0)
	v_mul_f32_e32 v15, v15, v16
	ds_write_b32 v12, v15
.LBB118_90:
	s_or_b64 exec, exec, s[8:9]
	v_cmp_eq_u32_e64 s[8:9], 3, v13
	s_and_b64 s[38:39], s[8:9], s[12:13]
	s_waitcnt lgkmcnt(0)
	s_barrier
	s_and_saveexec_b64 s[8:9], s[38:39]
	s_cbranch_execz .LBB118_92
; %bb.91:
	v_mov_b32_e32 v16, 0
	ds_read_b32 v16, v16 offset:1564
	ds_read_b32 v17, v12
	s_waitcnt lgkmcnt(0)
	v_fmac_f32_e32 v15, v16, v17
.LBB118_92:
	s_or_b64 exec, exec, s[8:9]
	s_barrier
	s_and_saveexec_b64 s[8:9], s[38:39]
	s_cbranch_execz .LBB118_94
; %bb.93:
	v_mov_b32_e32 v16, 0
	ds_read_b32 v16, v16 offset:1820
	s_waitcnt lgkmcnt(0)
	v_mul_f32_e32 v15, v15, v16
	ds_write_b32 v12, v15
.LBB118_94:
	s_or_b64 exec, exec, s[8:9]
	s_waitcnt lgkmcnt(0)
	s_barrier
	s_barrier
	s_and_saveexec_b64 s[8:9], s[2:3]
; %bb.95:
	v_xor_b32_e32 v15, 0x80000000, v15
	ds_write_b32 v6, v15 offset:16
; %bb.96:
	s_or_b64 exec, exec, s[8:9]
	s_waitcnt lgkmcnt(0)
	s_barrier
	s_barrier
	s_and_saveexec_b64 s[8:9], vcc
	s_cbranch_execz .LBB118_98
; %bb.97:
	v_mov_b32_e32 v17, 0
	ds_read_b64 v[15:16], v17 offset:1040
	ds_read_b32 v18, v17 offset:1300
	s_waitcnt lgkmcnt(0)
	v_mul_f32_e32 v15, v15, v18
	v_mul_f32_e32 v15, v16, v15
	ds_write_b32 v17, v15 offset:1044
.LBB118_98:
	s_or_b64 exec, exec, s[8:9]
	v_mov_b32_e32 v15, 0
	s_waitcnt lgkmcnt(0)
	s_barrier
	s_and_saveexec_b64 s[10:11], s[0:1]
	s_cbranch_execz .LBB118_102
; %bb.99:
	v_mul_u32_u24_e32 v15, 0x104, v5
	ds_read_b32 v17, v1 offset:1048
	ds_read_b32 v15, v15 offset:1040
	v_mov_b32_e32 v16, 0
	v_cmp_gt_u32_e64 s[8:9], 2, v4
	s_waitcnt lgkmcnt(0)
	v_fma_f32 v15, v17, v15, 0
	s_and_saveexec_b64 s[12:13], s[8:9]
	s_cbranch_execz .LBB118_101
; %bb.100:
	v_lshlrev_b32_e32 v17, 2, v0
	ds_read_b32 v17, v17 offset:1304
	ds_read_b32 v16, v16 offset:1044
	s_waitcnt lgkmcnt(0)
	v_fmac_f32_e32 v15, v17, v16
.LBB118_101:
	s_or_b64 exec, exec, s[12:13]
	v_xor_b32_e32 v15, 0x80000000, v15
.LBB118_102:
	s_or_b64 exec, exec, s[10:11]
	s_and_saveexec_b64 s[8:9], s[36:37]
	s_cbranch_execz .LBB118_104
; %bb.103:
	v_mov_b32_e32 v16, 0
	ds_read_b32 v16, v16 offset:1560
	s_waitcnt lgkmcnt(0)
	v_mul_f32_e32 v15, v15, v16
	ds_write_b32 v3, v15
.LBB118_104:
	s_or_b64 exec, exec, s[8:9]
	s_waitcnt lgkmcnt(0)
	s_barrier
	s_and_saveexec_b64 s[8:9], s[34:35]
	s_cbranch_execz .LBB118_106
; %bb.105:
	v_mov_b32_e32 v16, 0
	ds_read_b32 v16, v16 offset:1564
	ds_read_b32 v17, v3
	s_waitcnt lgkmcnt(0)
	v_fmac_f32_e32 v15, v16, v17
.LBB118_106:
	s_or_b64 exec, exec, s[8:9]
	s_barrier
	s_and_saveexec_b64 s[8:9], s[34:35]
	s_cbranch_execz .LBB118_108
; %bb.107:
	v_mov_b32_e32 v16, 0
	ds_read_b32 v16, v16 offset:1820
	s_waitcnt lgkmcnt(0)
	v_mul_f32_e32 v15, v15, v16
	ds_write_b32 v3, v15
.LBB118_108:
	s_or_b64 exec, exec, s[8:9]
	s_waitcnt lgkmcnt(0)
	s_barrier
	s_barrier
	s_and_saveexec_b64 s[8:9], s[0:1]
; %bb.109:
	v_xor_b32_e32 v15, 0x80000000, v15
	ds_write_b32 v1, v15 offset:1048
; %bb.110:
	s_or_b64 exec, exec, s[8:9]
	s_waitcnt lgkmcnt(0)
	s_barrier
	s_barrier
	s_and_saveexec_b64 s[8:9], vcc
	s_cbranch_execz .LBB118_112
; %bb.111:
	v_mov_b32_e32 v17, 0
	ds_read_b64 v[15:16], v17 offset:1560
	ds_read_b32 v18, v17 offset:1820
	s_waitcnt lgkmcnt(0)
	v_mul_f32_e32 v15, v15, v18
	v_mul_f32_e32 v15, v16, v15
	ds_write_b32 v17, v15 offset:1564
.LBB118_112:
	s_or_b64 exec, exec, s[8:9]
	v_and_b32_e32 v18, 7, v0
	v_lshrrev_b32_e32 v19, 3, v4
	v_lshlrev_b32_e32 v16, 2, v18
	v_cmp_lt_u32_e64 s[8:9], 63, v4
	v_cmp_gt_u32_e64 s[14:15], 64, v4
	v_lshl_or_b32 v15, v19, 8, v16
	v_mov_b32_e32 v20, 0
	s_waitcnt lgkmcnt(0)
	s_barrier
	s_and_saveexec_b64 s[12:13], s[14:15]
	s_cbranch_execz .LBB118_122
; %bb.113:
	v_mul_u32_u24_e32 v20, 0x104, v19
	ds_read_b32 v17, v15 offset:32
	ds_read_b32 v21, v20
	v_cmp_gt_u32_e64 s[10:11], 56, v4
	s_waitcnt lgkmcnt(0)
	v_fma_f32 v17, v17, v21, 0
	s_and_saveexec_b64 s[16:17], s[10:11]
	s_cbranch_execnz .LBB118_1146
; %bb.114:
	s_or_b64 exec, exec, s[16:17]
	v_cmp_gt_u32_e64 s[10:11], 48, v4
	s_and_saveexec_b64 s[16:17], s[10:11]
	s_cbranch_execnz .LBB118_1147
.LBB118_115:
	s_or_b64 exec, exec, s[16:17]
	v_cmp_gt_u32_e64 s[10:11], 40, v4
	s_and_saveexec_b64 s[16:17], s[10:11]
	s_cbranch_execnz .LBB118_1148
.LBB118_116:
	s_or_b64 exec, exec, s[16:17]
	v_cmp_gt_u32_e64 s[10:11], 32, v4
	s_and_saveexec_b64 s[16:17], s[10:11]
	s_cbranch_execnz .LBB118_1149
.LBB118_117:
	s_or_b64 exec, exec, s[16:17]
	v_cmp_gt_u32_e64 s[10:11], 24, v4
	s_and_saveexec_b64 s[16:17], s[10:11]
	s_cbranch_execnz .LBB118_1150
.LBB118_118:
	s_or_b64 exec, exec, s[16:17]
	v_cmp_gt_u32_e64 s[10:11], 16, v4
	s_and_saveexec_b64 s[16:17], s[10:11]
	s_cbranch_execnz .LBB118_1151
.LBB118_119:
	s_or_b64 exec, exec, s[16:17]
	v_cmp_gt_u32_e64 s[10:11], 8, v4
	s_and_saveexec_b64 s[16:17], s[10:11]
	s_cbranch_execz .LBB118_121
.LBB118_120:
	v_lshlrev_b32_e32 v20, 2, v0
	v_mov_b32_e32 v21, 0
	ds_read_b32 v20, v20 offset:1824
	ds_read_b32 v21, v21 offset:28
	s_waitcnt lgkmcnt(0)
	v_fmac_f32_e32 v17, v20, v21
.LBB118_121:
	s_or_b64 exec, exec, s[16:17]
	v_xor_b32_e32 v20, 0x80000000, v17
.LBB118_122:
                                        ; implicit-def: $vgpr33 : SGPR spill to VGPR lane
	v_writelane_b32 v33, s50, 0
	s_or_b64 exec, exec, s[12:13]
	v_mov_b32_e32 v17, 0x4000
	v_cmp_eq_u32_e64 s[10:11], 0, v18
	s_xor_b64 s[12:13], s[8:9], -1
	v_lshl_add_u32 v17, v19, 2, v17
	s_and_b64 s[50:51], s[10:11], s[12:13]
	s_and_saveexec_b64 s[8:9], s[50:51]
	s_cbranch_execz .LBB118_124
; %bb.123:
	v_mov_b32_e32 v21, 0
	ds_read_b32 v21, v21 offset:2080
	s_waitcnt lgkmcnt(0)
	v_mul_f32_e32 v20, v20, v21
	ds_write_b32 v17, v20
.LBB118_124:
	s_or_b64 exec, exec, s[8:9]
	v_cmp_ne_u32_e64 s[8:9], 0, v18
	s_and_b64 s[52:53], s[8:9], s[12:13]
	s_waitcnt lgkmcnt(0)
	s_barrier
	s_and_saveexec_b64 s[8:9], s[52:53]
	s_cbranch_execz .LBB118_126
; %bb.125:
	ds_read_b32 v21, v16 offset:2080
	ds_read_b32 v22, v17
	s_waitcnt lgkmcnt(0)
	v_fmac_f32_e32 v20, v21, v22
.LBB118_126:
	s_or_b64 exec, exec, s[8:9]
	v_cmp_eq_u32_e64 s[8:9], 1, v18
	s_and_b64 s[54:55], s[8:9], s[12:13]
	s_barrier
	s_and_saveexec_b64 s[8:9], s[54:55]
	s_cbranch_execz .LBB118_128
; %bb.127:
	v_mov_b32_e32 v21, 0
	ds_read_b32 v21, v21 offset:2340
	s_waitcnt lgkmcnt(0)
	v_mul_f32_e32 v20, v20, v21
	ds_write_b32 v17, v20
.LBB118_128:
	s_or_b64 exec, exec, s[8:9]
	v_cmp_lt_u32_e64 s[8:9], 1, v18
	s_and_b64 s[56:57], s[8:9], s[12:13]
	s_waitcnt lgkmcnt(0)
	s_barrier
	s_and_saveexec_b64 s[8:9], s[56:57]
	s_cbranch_execz .LBB118_130
; %bb.129:
	ds_read_b32 v21, v16 offset:2336
	ds_read_b32 v22, v17
	s_waitcnt lgkmcnt(0)
	v_fmac_f32_e32 v20, v21, v22
.LBB118_130:
	s_or_b64 exec, exec, s[8:9]
	v_cmp_eq_u32_e64 s[8:9], 2, v18
	s_and_b64 s[60:61], s[8:9], s[12:13]
	s_barrier
	s_and_saveexec_b64 s[8:9], s[60:61]
	s_cbranch_execz .LBB118_132
; %bb.131:
	v_mov_b32_e32 v21, 0
	ds_read_b32 v21, v21 offset:2600
	s_waitcnt lgkmcnt(0)
	v_mul_f32_e32 v20, v20, v21
	ds_write_b32 v17, v20
.LBB118_132:
	s_or_b64 exec, exec, s[8:9]
	v_cmp_lt_u32_e64 s[8:9], 2, v18
	;; [unrolled: 26-line block ×5, first 2 shown]
	s_and_b64 s[74:75], s[8:9], s[12:13]
	s_waitcnt lgkmcnt(0)
	s_barrier
	s_and_saveexec_b64 s[8:9], s[74:75]
	s_cbranch_execz .LBB118_146
; %bb.145:
	ds_read_b32 v21, v16 offset:3360
	ds_read_b32 v22, v17
	s_waitcnt lgkmcnt(0)
	v_fmac_f32_e32 v20, v21, v22
.LBB118_146:
	s_or_b64 exec, exec, s[8:9]
	v_cmp_eq_u32_e64 s[8:9], 6, v18
	s_and_b64 s[76:77], s[8:9], s[12:13]
	s_barrier
	s_and_saveexec_b64 s[8:9], s[76:77]
	s_cbranch_execz .LBB118_148
; %bb.147:
	v_mov_b32_e32 v21, 0
	ds_read_b32 v21, v21 offset:3640
	s_waitcnt lgkmcnt(0)
	v_mul_f32_e32 v20, v20, v21
	ds_write_b32 v17, v20
.LBB118_148:
	s_or_b64 exec, exec, s[8:9]
	v_cmp_eq_u32_e64 s[8:9], 7, v18
	s_and_b64 s[58:59], s[8:9], s[12:13]
	s_waitcnt lgkmcnt(0)
	s_barrier
	s_and_saveexec_b64 s[8:9], s[58:59]
	s_cbranch_execz .LBB118_150
; %bb.149:
	v_mov_b32_e32 v21, 0
	ds_read_b32 v21, v21 offset:3644
	ds_read_b32 v22, v17
	s_waitcnt lgkmcnt(0)
	v_fmac_f32_e32 v20, v21, v22
.LBB118_150:
	s_or_b64 exec, exec, s[8:9]
	s_barrier
	s_and_saveexec_b64 s[8:9], s[58:59]
	s_cbranch_execz .LBB118_152
; %bb.151:
	v_mov_b32_e32 v21, 0
	ds_read_b32 v21, v21 offset:3900
	s_waitcnt lgkmcnt(0)
	v_mul_f32_e32 v20, v20, v21
	ds_write_b32 v17, v20
.LBB118_152:
	s_or_b64 exec, exec, s[8:9]
	s_waitcnt lgkmcnt(0)
	s_barrier
	s_barrier
	s_and_saveexec_b64 s[8:9], s[14:15]
; %bb.153:
	v_xor_b32_e32 v20, 0x80000000, v20
	ds_write_b32 v15, v20 offset:32
; %bb.154:
	s_or_b64 exec, exec, s[8:9]
	s_waitcnt lgkmcnt(0)
	s_barrier
	s_barrier
	s_and_saveexec_b64 s[8:9], vcc
	s_cbranch_execz .LBB118_156
; %bb.155:
	v_mov_b32_e32 v22, 0
	ds_read_b64 v[20:21], v22 offset:2080
	ds_read_b32 v23, v22 offset:2340
	s_waitcnt lgkmcnt(0)
	v_mul_f32_e32 v20, v20, v23
	v_mul_f32_e32 v20, v21, v20
	ds_write_b32 v22, v20 offset:2084
.LBB118_156:
	s_or_b64 exec, exec, s[8:9]
	v_mov_b32_e32 v20, 0
	s_waitcnt lgkmcnt(0)
	s_barrier
	s_and_saveexec_b64 s[10:11], s[0:1]
	s_cbranch_execz .LBB118_160
; %bb.157:
	v_mul_u32_u24_e32 v20, 0x104, v5
	ds_read_b32 v22, v1 offset:2088
	ds_read_b32 v20, v20 offset:2080
	v_mov_b32_e32 v21, 0
	v_cmp_gt_u32_e64 s[8:9], 2, v4
	s_waitcnt lgkmcnt(0)
	v_fma_f32 v20, v22, v20, 0
	s_and_saveexec_b64 s[12:13], s[8:9]
	s_cbranch_execz .LBB118_159
; %bb.158:
	v_lshlrev_b32_e32 v22, 2, v0
	ds_read_b32 v22, v22 offset:2344
	ds_read_b32 v21, v21 offset:2084
	s_waitcnt lgkmcnt(0)
	v_fmac_f32_e32 v20, v22, v21
.LBB118_159:
	s_or_b64 exec, exec, s[12:13]
	v_xor_b32_e32 v20, 0x80000000, v20
.LBB118_160:
	s_or_b64 exec, exec, s[10:11]
	s_and_saveexec_b64 s[8:9], s[36:37]
	s_cbranch_execz .LBB118_162
; %bb.161:
	v_mov_b32_e32 v21, 0
	ds_read_b32 v21, v21 offset:2600
	s_waitcnt lgkmcnt(0)
	v_mul_f32_e32 v20, v20, v21
	ds_write_b32 v3, v20
.LBB118_162:
	s_or_b64 exec, exec, s[8:9]
	s_waitcnt lgkmcnt(0)
	s_barrier
	s_and_saveexec_b64 s[8:9], s[34:35]
	s_cbranch_execz .LBB118_164
; %bb.163:
	v_mov_b32_e32 v21, 0
	ds_read_b32 v21, v21 offset:2604
	ds_read_b32 v22, v3
	s_waitcnt lgkmcnt(0)
	v_fmac_f32_e32 v20, v21, v22
.LBB118_164:
	s_or_b64 exec, exec, s[8:9]
	s_barrier
	s_and_saveexec_b64 s[8:9], s[34:35]
	s_cbranch_execz .LBB118_166
; %bb.165:
	v_mov_b32_e32 v21, 0
	ds_read_b32 v21, v21 offset:2860
	s_waitcnt lgkmcnt(0)
	v_mul_f32_e32 v20, v20, v21
	ds_write_b32 v3, v20
.LBB118_166:
	s_or_b64 exec, exec, s[8:9]
	s_waitcnt lgkmcnt(0)
	s_barrier
	s_barrier
	s_and_saveexec_b64 s[8:9], s[0:1]
; %bb.167:
	v_xor_b32_e32 v20, 0x80000000, v20
	ds_write_b32 v1, v20 offset:2088
; %bb.168:
	s_or_b64 exec, exec, s[8:9]
	s_waitcnt lgkmcnt(0)
	s_barrier
	s_barrier
	s_and_saveexec_b64 s[8:9], vcc
	s_cbranch_execz .LBB118_170
; %bb.169:
	v_mov_b32_e32 v22, 0
	ds_read_b64 v[20:21], v22 offset:2600
	ds_read_b32 v23, v22 offset:2860
	s_waitcnt lgkmcnt(0)
	v_mul_f32_e32 v20, v20, v23
	v_mul_f32_e32 v20, v21, v20
	ds_write_b32 v22, v20 offset:2604
.LBB118_170:
	s_or_b64 exec, exec, s[8:9]
	v_mov_b32_e32 v20, 0
	s_waitcnt lgkmcnt(0)
	s_barrier
	s_and_saveexec_b64 s[10:11], s[2:3]
	s_cbranch_execz .LBB118_176
; %bb.171:
	v_mul_u32_u24_e32 v21, 0x104, v14
	ds_read_b32 v20, v6 offset:2096
	ds_read_b32 v22, v21 offset:2080
	v_cmp_gt_u32_e64 s[8:9], 12, v4
	s_waitcnt lgkmcnt(0)
	v_fma_f32 v20, v20, v22, 0
	s_and_saveexec_b64 s[12:13], s[8:9]
	s_cbranch_execnz .LBB118_1152
; %bb.172:
	s_or_b64 exec, exec, s[12:13]
	v_cmp_gt_u32_e64 s[8:9], 8, v4
	s_and_saveexec_b64 s[12:13], s[8:9]
	s_cbranch_execnz .LBB118_1153
.LBB118_173:
	s_or_b64 exec, exec, s[12:13]
	v_cmp_gt_u32_e64 s[8:9], 4, v4
	s_and_saveexec_b64 s[12:13], s[8:9]
	s_cbranch_execz .LBB118_175
.LBB118_174:
	v_lshlrev_b32_e32 v21, 2, v0
	v_mov_b32_e32 v22, 0
	ds_read_b32 v21, v21 offset:2864
	ds_read_b32 v22, v22 offset:2092
	s_waitcnt lgkmcnt(0)
	v_fmac_f32_e32 v20, v21, v22
.LBB118_175:
	s_or_b64 exec, exec, s[12:13]
	v_xor_b32_e32 v20, 0x80000000, v20
.LBB118_176:
	s_or_b64 exec, exec, s[10:11]
	s_and_saveexec_b64 s[8:9], s[40:41]
	s_cbranch_execz .LBB118_178
; %bb.177:
	v_mov_b32_e32 v21, 0
	ds_read_b32 v21, v21 offset:3120
	s_waitcnt lgkmcnt(0)
	v_mul_f32_e32 v20, v20, v21
	ds_write_b32 v12, v20
.LBB118_178:
	s_or_b64 exec, exec, s[8:9]
	s_waitcnt lgkmcnt(0)
	s_barrier
	s_and_saveexec_b64 s[8:9], s[42:43]
	s_cbranch_execz .LBB118_180
; %bb.179:
	ds_read_b32 v21, v11 offset:3120
	ds_read_b32 v22, v12
	s_waitcnt lgkmcnt(0)
	v_fmac_f32_e32 v20, v21, v22
.LBB118_180:
	s_or_b64 exec, exec, s[8:9]
	s_barrier
	s_and_saveexec_b64 s[8:9], s[44:45]
	s_cbranch_execz .LBB118_182
; %bb.181:
	v_mov_b32_e32 v21, 0
	ds_read_b32 v21, v21 offset:3380
	s_waitcnt lgkmcnt(0)
	v_mul_f32_e32 v20, v20, v21
	ds_write_b32 v12, v20
.LBB118_182:
	s_or_b64 exec, exec, s[8:9]
	s_waitcnt lgkmcnt(0)
	s_barrier
	s_and_saveexec_b64 s[8:9], s[46:47]
	s_cbranch_execz .LBB118_184
; %bb.183:
	ds_read_b32 v21, v11 offset:3376
	ds_read_b32 v22, v12
	s_waitcnt lgkmcnt(0)
	v_fmac_f32_e32 v20, v21, v22
.LBB118_184:
	s_or_b64 exec, exec, s[8:9]
	s_barrier
	s_and_saveexec_b64 s[8:9], s[48:49]
	s_cbranch_execz .LBB118_186
; %bb.185:
	v_mov_b32_e32 v21, 0
	ds_read_b32 v21, v21 offset:3640
	s_waitcnt lgkmcnt(0)
	v_mul_f32_e32 v20, v20, v21
	ds_write_b32 v12, v20
.LBB118_186:
	s_or_b64 exec, exec, s[8:9]
	s_waitcnt lgkmcnt(0)
	s_barrier
	s_and_saveexec_b64 s[8:9], s[38:39]
	s_cbranch_execz .LBB118_188
; %bb.187:
	v_mov_b32_e32 v21, 0
	ds_read_b32 v21, v21 offset:3644
	ds_read_b32 v22, v12
	s_waitcnt lgkmcnt(0)
	v_fmac_f32_e32 v20, v21, v22
.LBB118_188:
	s_or_b64 exec, exec, s[8:9]
	s_barrier
	s_and_saveexec_b64 s[8:9], s[38:39]
	s_cbranch_execz .LBB118_190
; %bb.189:
	v_mov_b32_e32 v21, 0
	ds_read_b32 v21, v21 offset:3900
	s_waitcnt lgkmcnt(0)
	v_mul_f32_e32 v20, v20, v21
	ds_write_b32 v12, v20
.LBB118_190:
	s_or_b64 exec, exec, s[8:9]
	s_waitcnt lgkmcnt(0)
	s_barrier
	s_barrier
	s_and_saveexec_b64 s[8:9], s[2:3]
; %bb.191:
	v_xor_b32_e32 v20, 0x80000000, v20
	ds_write_b32 v6, v20 offset:2096
; %bb.192:
	s_or_b64 exec, exec, s[8:9]
	s_waitcnt lgkmcnt(0)
	s_barrier
	s_barrier
	s_and_saveexec_b64 s[8:9], vcc
	s_cbranch_execz .LBB118_194
; %bb.193:
	v_mov_b32_e32 v22, 0
	ds_read_b64 v[20:21], v22 offset:3120
	ds_read_b32 v23, v22 offset:3380
	s_waitcnt lgkmcnt(0)
	v_mul_f32_e32 v20, v20, v23
	v_mul_f32_e32 v20, v21, v20
	ds_write_b32 v22, v20 offset:3124
.LBB118_194:
	s_or_b64 exec, exec, s[8:9]
	v_mov_b32_e32 v20, 0
	s_waitcnt lgkmcnt(0)
	s_barrier
	s_and_saveexec_b64 s[10:11], s[0:1]
	s_cbranch_execz .LBB118_198
; %bb.195:
	v_mul_u32_u24_e32 v20, 0x104, v5
	ds_read_b32 v22, v1 offset:3128
	ds_read_b32 v20, v20 offset:3120
	v_mov_b32_e32 v21, 0
	v_cmp_gt_u32_e64 s[8:9], 2, v4
	s_waitcnt lgkmcnt(0)
	v_fma_f32 v20, v22, v20, 0
	s_and_saveexec_b64 s[12:13], s[8:9]
	s_cbranch_execz .LBB118_197
; %bb.196:
	v_lshlrev_b32_e32 v22, 2, v0
	ds_read_b32 v22, v22 offset:3384
	ds_read_b32 v21, v21 offset:3124
	s_waitcnt lgkmcnt(0)
	v_fmac_f32_e32 v20, v22, v21
.LBB118_197:
	s_or_b64 exec, exec, s[12:13]
	v_xor_b32_e32 v20, 0x80000000, v20
.LBB118_198:
	s_or_b64 exec, exec, s[10:11]
	s_and_saveexec_b64 s[8:9], s[36:37]
	s_cbranch_execz .LBB118_200
; %bb.199:
	v_mov_b32_e32 v21, 0
	ds_read_b32 v21, v21 offset:3640
	s_waitcnt lgkmcnt(0)
	v_mul_f32_e32 v20, v20, v21
	ds_write_b32 v3, v20
.LBB118_200:
	s_or_b64 exec, exec, s[8:9]
	s_waitcnt lgkmcnt(0)
	s_barrier
	s_and_saveexec_b64 s[8:9], s[34:35]
	s_cbranch_execz .LBB118_202
; %bb.201:
	v_mov_b32_e32 v21, 0
	ds_read_b32 v21, v21 offset:3644
	ds_read_b32 v22, v3
	s_waitcnt lgkmcnt(0)
	v_fmac_f32_e32 v20, v21, v22
.LBB118_202:
	s_or_b64 exec, exec, s[8:9]
	s_barrier
	s_and_saveexec_b64 s[8:9], s[34:35]
	s_cbranch_execz .LBB118_204
; %bb.203:
	v_mov_b32_e32 v21, 0
	ds_read_b32 v21, v21 offset:3900
	s_waitcnt lgkmcnt(0)
	v_mul_f32_e32 v20, v20, v21
	ds_write_b32 v3, v20
.LBB118_204:
	s_or_b64 exec, exec, s[8:9]
	s_waitcnt lgkmcnt(0)
	s_barrier
	s_barrier
	s_and_saveexec_b64 s[8:9], s[0:1]
; %bb.205:
	v_xor_b32_e32 v20, 0x80000000, v20
	ds_write_b32 v1, v20 offset:3128
; %bb.206:
	s_or_b64 exec, exec, s[8:9]
	s_waitcnt lgkmcnt(0)
	s_barrier
	s_barrier
	s_and_saveexec_b64 s[8:9], vcc
	s_cbranch_execz .LBB118_208
; %bb.207:
	v_mov_b32_e32 v22, 0
	ds_read_b64 v[20:21], v22 offset:3640
	ds_read_b32 v23, v22 offset:3900
	s_waitcnt lgkmcnt(0)
	v_mul_f32_e32 v20, v20, v23
	v_mul_f32_e32 v20, v21, v20
	ds_write_b32 v22, v20 offset:3644
.LBB118_208:
	s_or_b64 exec, exec, s[8:9]
	v_lshrrev_b32_e32 v24, 4, v4
	v_and_b32_e32 v21, 15, v0
	s_movk_i32 s8, 0xff
	v_lshlrev_b32_e32 v23, 6, v24
	v_cmp_lt_u32_e64 s[10:11], s8, v4
	s_movk_i32 s8, 0x100
	v_or_b32_e32 v20, v23, v21
	v_cmp_gt_u32_e64 s[8:9], s8, v4
	v_lshlrev_b32_e32 v20, 2, v20
	v_mov_b32_e32 v25, 0
	s_waitcnt lgkmcnt(0)
	s_barrier
	s_and_saveexec_b64 s[16:17], s[8:9]
	s_cbranch_execz .LBB118_236
; %bb.209:
	v_mul_u32_u24_e32 v25, 0x104, v24
	ds_read_b32 v22, v20 offset:64
	ds_read_b32 v26, v25
	s_movk_i32 s12, 0xf0
	v_cmp_gt_u32_e64 s[12:13], s12, v4
	s_waitcnt lgkmcnt(0)
	v_fma_f32 v22, v22, v26, 0
	s_and_saveexec_b64 s[18:19], s[12:13]
	s_cbranch_execz .LBB118_211
; %bb.210:
	v_lshlrev_b32_e32 v26, 2, v24
	v_sub_u32_e32 v26, v25, v26
	v_lshl_add_u32 v26, v21, 2, v26
	ds_read_b32 v26, v26 offset:320
	ds_read_b32 v27, v25 offset:4
	s_waitcnt lgkmcnt(0)
	v_fmac_f32_e32 v22, v26, v27
.LBB118_211:
	s_or_b64 exec, exec, s[18:19]
	s_movk_i32 s12, 0xe0
	v_cmp_gt_u32_e64 s[12:13], s12, v4
	s_and_saveexec_b64 s[18:19], s[12:13]
	s_cbranch_execz .LBB118_213
; %bb.212:
	v_lshlrev_b32_e32 v26, 2, v24
	v_sub_u32_e32 v26, v25, v26
	v_lshl_add_u32 v26, v21, 2, v26
	ds_read_b32 v26, v26 offset:576
	ds_read_b32 v27, v25 offset:8
	s_waitcnt lgkmcnt(0)
	v_fmac_f32_e32 v22, v26, v27
.LBB118_213:
	s_or_b64 exec, exec, s[18:19]
	s_movk_i32 s12, 0xd0
	v_cmp_gt_u32_e64 s[12:13], s12, v4
	;; [unrolled: 14-line block ×7, first 2 shown]
	s_and_saveexec_b64 s[18:19], s[12:13]
	s_cbranch_execz .LBB118_225
; %bb.224:
	ds_read_b32 v26, v20 offset:2112
	ds_read_b32 v27, v25 offset:32
	s_waitcnt lgkmcnt(0)
	v_fmac_f32_e32 v22, v26, v27
.LBB118_225:
	s_or_b64 exec, exec, s[18:19]
	s_movk_i32 s12, 0x70
	v_cmp_gt_u32_e64 s[12:13], s12, v4
	s_and_saveexec_b64 s[18:19], s[12:13]
	s_cbranch_execz .LBB118_227
; %bb.226:
	v_lshlrev_b32_e32 v26, 2, v24
	v_sub_u32_e32 v26, v25, v26
	v_lshl_add_u32 v26, v21, 2, v26
	ds_read_b32 v26, v26 offset:2368
	ds_read_b32 v27, v25 offset:36
	s_waitcnt lgkmcnt(0)
	v_fmac_f32_e32 v22, v26, v27
.LBB118_227:
	s_or_b64 exec, exec, s[18:19]
	s_movk_i32 s12, 0x60
	v_cmp_gt_u32_e64 s[12:13], s12, v4
	s_and_saveexec_b64 s[18:19], s[12:13]
	s_cbranch_execz .LBB118_229
; %bb.228:
	v_lshlrev_b32_e32 v26, 2, v21
	v_lshl_add_u32 v26, v23, 2, v26
	ds_read_b32 v26, v26 offset:2624
	ds_read_b32 v27, v25 offset:40
	s_waitcnt lgkmcnt(0)
	v_fmac_f32_e32 v22, v26, v27
.LBB118_229:
	s_or_b64 exec, exec, s[18:19]
	s_movk_i32 s12, 0x50
	v_cmp_gt_u32_e64 s[12:13], s12, v4
	s_and_saveexec_b64 s[18:19], s[12:13]
	s_cbranch_execnz .LBB118_1154
; %bb.230:
	s_or_b64 exec, exec, s[18:19]
	v_cmp_gt_u32_e64 s[12:13], 64, v4
	s_and_saveexec_b64 s[18:19], s[12:13]
	s_cbranch_execnz .LBB118_1155
.LBB118_231:
	s_or_b64 exec, exec, s[18:19]
	v_cmp_gt_u32_e64 s[12:13], 48, v4
	s_and_saveexec_b64 s[18:19], s[12:13]
	s_cbranch_execnz .LBB118_1156
.LBB118_232:
	s_or_b64 exec, exec, s[18:19]
	v_cmp_gt_u32_e64 s[12:13], 32, v4
	s_and_saveexec_b64 s[18:19], s[12:13]
	s_cbranch_execnz .LBB118_1157
.LBB118_233:
	s_or_b64 exec, exec, s[18:19]
	v_cmp_gt_u32_e64 s[12:13], 16, v4
	s_and_saveexec_b64 s[18:19], s[12:13]
	s_cbranch_execz .LBB118_235
.LBB118_234:
	v_lshlrev_b32_e32 v25, 2, v0
	v_mov_b32_e32 v26, 0
	ds_read_b32 v25, v25 offset:3904
	ds_read_b32 v26, v26 offset:60
	s_waitcnt lgkmcnt(0)
	v_fmac_f32_e32 v22, v25, v26
.LBB118_235:
	s_or_b64 exec, exec, s[18:19]
	v_xor_b32_e32 v25, 0x80000000, v22
.LBB118_236:
	s_or_b64 exec, exec, s[16:17]
	v_mov_b32_e32 v22, 0x4000
	v_lshl_add_u32 v22, v24, 2, v22
	v_cmp_eq_u32_e64 s[12:13], 0, v21
	s_xor_b64 s[16:17], s[10:11], -1
	s_and_b64 s[12:13], s[12:13], s[16:17]
	s_mov_b64 s[10:11], exec
	v_writelane_b32 v33, s12, 1
	v_writelane_b32 v33, s13, 2
	s_and_b64 s[12:13], s[10:11], s[12:13]
	s_mov_b64 exec, s[12:13]
	s_cbranch_execz .LBB118_238
; %bb.237:
	v_mov_b32_e32 v26, 0
	ds_read_b32 v26, v26 offset:4160
	s_waitcnt lgkmcnt(0)
	v_mul_f32_e32 v25, v25, v26
	ds_write_b32 v22, v25
.LBB118_238:
	s_or_b64 exec, exec, s[10:11]
	v_cmp_ne_u32_e64 s[10:11], 0, v21
	s_waitcnt lgkmcnt(0)
	s_barrier
	s_and_b64 s[12:13], s[10:11], s[16:17]
	s_mov_b64 s[10:11], exec
	v_writelane_b32 v33, s12, 3
	v_writelane_b32 v33, s13, 4
	s_and_b64 s[12:13], s[10:11], s[12:13]
	s_mov_b64 exec, s[12:13]
	s_cbranch_execz .LBB118_240
; %bb.239:
	v_lshlrev_b32_e32 v26, 2, v21
	ds_read_b32 v26, v26 offset:4160
	ds_read_b32 v27, v22
	s_waitcnt lgkmcnt(0)
	v_fmac_f32_e32 v25, v26, v27
.LBB118_240:
	s_or_b64 exec, exec, s[10:11]
	v_cmp_eq_u32_e64 s[10:11], 1, v21
	s_barrier
	s_and_b64 s[12:13], s[10:11], s[16:17]
	s_mov_b64 s[10:11], exec
	v_writelane_b32 v33, s12, 5
	v_writelane_b32 v33, s13, 6
	s_and_b64 s[12:13], s[10:11], s[12:13]
	s_mov_b64 exec, s[12:13]
	s_cbranch_execz .LBB118_242
; %bb.241:
	v_mov_b32_e32 v26, 0
	ds_read_b32 v26, v26 offset:4420
	s_waitcnt lgkmcnt(0)
	v_mul_f32_e32 v25, v25, v26
	ds_write_b32 v22, v25
.LBB118_242:
	s_or_b64 exec, exec, s[10:11]
	v_cmp_lt_u32_e64 s[10:11], 1, v21
	s_waitcnt lgkmcnt(0)
	s_barrier
	s_and_b64 s[12:13], s[10:11], s[16:17]
	s_mov_b64 s[10:11], exec
	v_writelane_b32 v33, s12, 7
	v_writelane_b32 v33, s13, 8
	s_and_b64 s[12:13], s[10:11], s[12:13]
	s_mov_b64 exec, s[12:13]
	s_cbranch_execz .LBB118_244
; %bb.243:
	v_lshlrev_b32_e32 v26, 2, v21
	ds_read_b32 v26, v26 offset:4416
	ds_read_b32 v27, v22
	s_waitcnt lgkmcnt(0)
	v_fmac_f32_e32 v25, v26, v27
.LBB118_244:
	s_or_b64 exec, exec, s[10:11]
	v_cmp_eq_u32_e64 s[10:11], 2, v21
	s_barrier
	s_and_b64 s[12:13], s[10:11], s[16:17]
	s_mov_b64 s[10:11], exec
	v_writelane_b32 v33, s12, 9
	v_writelane_b32 v33, s13, 10
	s_and_b64 s[12:13], s[10:11], s[12:13]
	s_mov_b64 exec, s[12:13]
	s_cbranch_execz .LBB118_246
; %bb.245:
	v_mov_b32_e32 v26, 0
	ds_read_b32 v26, v26 offset:4680
	s_waitcnt lgkmcnt(0)
	v_mul_f32_e32 v25, v25, v26
	ds_write_b32 v22, v25
.LBB118_246:
	s_or_b64 exec, exec, s[10:11]
	v_cmp_lt_u32_e64 s[10:11], 2, v21
	;; [unrolled: 35-line block ×11, first 2 shown]
	s_waitcnt lgkmcnt(0)
	s_barrier
	s_and_b64 s[12:13], s[10:11], s[16:17]
	s_mov_b64 s[10:11], exec
	v_writelane_b32 v33, s12, 47
	v_writelane_b32 v33, s13, 48
	s_and_b64 s[12:13], s[10:11], s[12:13]
	s_mov_b64 exec, s[12:13]
	s_cbranch_execz .LBB118_284
; %bb.283:
	v_lshlrev_b32_e32 v26, 2, v21
	ds_read_b32 v26, v26 offset:6976
	ds_read_b32 v27, v22
	s_waitcnt lgkmcnt(0)
	v_fmac_f32_e32 v25, v26, v27
.LBB118_284:
	s_or_b64 exec, exec, s[10:11]
	v_cmp_eq_u32_e64 s[10:11], 12, v21
	s_and_b64 s[88:89], s[10:11], s[16:17]
	s_barrier
	s_and_saveexec_b64 s[10:11], s[88:89]
	s_cbranch_execz .LBB118_286
; %bb.285:
	v_mov_b32_e32 v26, 0
	ds_read_b32 v26, v26 offset:7280
	s_waitcnt lgkmcnt(0)
	v_mul_f32_e32 v25, v25, v26
	ds_write_b32 v22, v25
.LBB118_286:
	s_or_b64 exec, exec, s[10:11]
	v_cmp_lt_u32_e64 s[10:11], 12, v21
	s_and_b64 s[90:91], s[10:11], s[16:17]
	s_waitcnt lgkmcnt(0)
	s_barrier
	s_and_saveexec_b64 s[10:11], s[90:91]
	s_cbranch_execz .LBB118_288
; %bb.287:
	v_lshlrev_b32_e32 v26, 2, v21
	ds_read_b32 v26, v26 offset:7232
	ds_read_b32 v27, v22
	s_waitcnt lgkmcnt(0)
	v_fmac_f32_e32 v25, v26, v27
.LBB118_288:
	s_or_b64 exec, exec, s[10:11]
	v_cmp_eq_u32_e64 s[10:11], 13, v21
	s_and_b64 s[92:93], s[10:11], s[16:17]
	s_barrier
	s_and_saveexec_b64 s[10:11], s[92:93]
	s_cbranch_execz .LBB118_290
; %bb.289:
	v_mov_b32_e32 v26, 0
	ds_read_b32 v26, v26 offset:7540
	s_waitcnt lgkmcnt(0)
	v_mul_f32_e32 v25, v25, v26
	ds_write_b32 v22, v25
.LBB118_290:
	s_or_b64 exec, exec, s[10:11]
	v_cmp_lt_u32_e64 s[10:11], 13, v21
	s_and_b64 s[94:95], s[10:11], s[16:17]
	s_waitcnt lgkmcnt(0)
	s_barrier
	s_and_saveexec_b64 s[10:11], s[94:95]
	s_cbranch_execz .LBB118_292
; %bb.291:
	v_lshlrev_b32_e32 v26, 2, v21
	ds_read_b32 v26, v26 offset:7488
	ds_read_b32 v27, v22
	s_waitcnt lgkmcnt(0)
	v_fmac_f32_e32 v25, v26, v27
.LBB118_292:
	s_or_b64 exec, exec, s[10:11]
	v_cmp_eq_u32_e64 s[10:11], 14, v21
	s_and_b64 s[18:19], s[10:11], s[16:17]
	s_barrier
	s_and_saveexec_b64 s[10:11], s[18:19]
	s_cbranch_execz .LBB118_294
; %bb.293:
	v_mov_b32_e32 v26, 0
	ds_read_b32 v26, v26 offset:7800
	s_waitcnt lgkmcnt(0)
	v_mul_f32_e32 v25, v25, v26
	ds_write_b32 v22, v25
.LBB118_294:
	s_or_b64 exec, exec, s[10:11]
	v_cmp_eq_u32_e64 s[10:11], 15, v21
	s_and_b64 s[78:79], s[10:11], s[16:17]
	s_waitcnt lgkmcnt(0)
	s_barrier
	s_and_saveexec_b64 s[10:11], s[78:79]
	s_cbranch_execz .LBB118_296
; %bb.295:
	v_mov_b32_e32 v26, 0
	ds_read_b32 v26, v26 offset:7804
	ds_read_b32 v27, v22
	s_waitcnt lgkmcnt(0)
	v_fmac_f32_e32 v25, v26, v27
.LBB118_296:
	s_or_b64 exec, exec, s[10:11]
	s_barrier
	s_and_saveexec_b64 s[10:11], s[78:79]
	s_cbranch_execz .LBB118_298
; %bb.297:
	v_mov_b32_e32 v26, 0
	ds_read_b32 v26, v26 offset:8060
	s_waitcnt lgkmcnt(0)
	v_mul_f32_e32 v25, v25, v26
	ds_write_b32 v22, v25
.LBB118_298:
	s_or_b64 exec, exec, s[10:11]
	s_waitcnt lgkmcnt(0)
	s_barrier
	s_barrier
	s_and_saveexec_b64 s[10:11], s[8:9]
; %bb.299:
	v_xor_b32_e32 v25, 0x80000000, v25
	ds_write_b32 v20, v25 offset:64
; %bb.300:
	s_or_b64 exec, exec, s[10:11]
	s_waitcnt lgkmcnt(0)
	s_barrier
	s_barrier
	s_and_saveexec_b64 s[10:11], vcc
	s_cbranch_execz .LBB118_302
; %bb.301:
	v_mov_b32_e32 v27, 0
	ds_read_b64 v[25:26], v27 offset:4160
	ds_read_b32 v28, v27 offset:4420
	s_waitcnt lgkmcnt(0)
	v_mul_f32_e32 v25, v25, v28
	v_mul_f32_e32 v25, v26, v25
	ds_write_b32 v27, v25 offset:4164
.LBB118_302:
	s_or_b64 exec, exec, s[10:11]
	v_mov_b32_e32 v25, 0
	s_waitcnt lgkmcnt(0)
	s_barrier
	s_and_saveexec_b64 s[12:13], s[0:1]
	s_cbranch_execz .LBB118_306
; %bb.303:
	v_mul_u32_u24_e32 v25, 0x104, v5
	ds_read_b32 v27, v1 offset:4168
	ds_read_b32 v25, v25 offset:4160
	v_mov_b32_e32 v26, 0
	v_cmp_gt_u32_e64 s[10:11], 2, v4
	s_waitcnt lgkmcnt(0)
	v_fma_f32 v25, v27, v25, 0
	s_and_saveexec_b64 s[16:17], s[10:11]
	s_cbranch_execz .LBB118_305
; %bb.304:
	v_lshlrev_b32_e32 v27, 2, v0
	ds_read_b32 v27, v27 offset:4424
	ds_read_b32 v26, v26 offset:4164
	s_waitcnt lgkmcnt(0)
	v_fmac_f32_e32 v25, v27, v26
.LBB118_305:
	s_or_b64 exec, exec, s[16:17]
	v_xor_b32_e32 v25, 0x80000000, v25
.LBB118_306:
	s_or_b64 exec, exec, s[12:13]
	s_and_saveexec_b64 s[10:11], s[36:37]
	s_cbranch_execz .LBB118_308
; %bb.307:
	v_mov_b32_e32 v26, 0
	ds_read_b32 v26, v26 offset:4680
	s_waitcnt lgkmcnt(0)
	v_mul_f32_e32 v25, v25, v26
	ds_write_b32 v3, v25
.LBB118_308:
	s_or_b64 exec, exec, s[10:11]
	s_waitcnt lgkmcnt(0)
	s_barrier
	s_and_saveexec_b64 s[10:11], s[34:35]
	s_cbranch_execz .LBB118_310
; %bb.309:
	v_mov_b32_e32 v26, 0
	ds_read_b32 v26, v26 offset:4684
	ds_read_b32 v27, v3
	s_waitcnt lgkmcnt(0)
	v_fmac_f32_e32 v25, v26, v27
.LBB118_310:
	s_or_b64 exec, exec, s[10:11]
	s_barrier
	s_and_saveexec_b64 s[10:11], s[34:35]
	s_cbranch_execz .LBB118_312
; %bb.311:
	v_mov_b32_e32 v26, 0
	ds_read_b32 v26, v26 offset:4940
	s_waitcnt lgkmcnt(0)
	v_mul_f32_e32 v25, v25, v26
	ds_write_b32 v3, v25
.LBB118_312:
	s_or_b64 exec, exec, s[10:11]
	s_waitcnt lgkmcnt(0)
	s_barrier
	s_barrier
	s_and_saveexec_b64 s[10:11], s[0:1]
; %bb.313:
	v_xor_b32_e32 v25, 0x80000000, v25
	ds_write_b32 v1, v25 offset:4168
; %bb.314:
	s_or_b64 exec, exec, s[10:11]
	s_waitcnt lgkmcnt(0)
	s_barrier
	s_barrier
	s_and_saveexec_b64 s[10:11], vcc
	s_cbranch_execz .LBB118_316
; %bb.315:
	v_mov_b32_e32 v27, 0
	ds_read_b64 v[25:26], v27 offset:4680
	ds_read_b32 v28, v27 offset:4940
	s_waitcnt lgkmcnt(0)
	v_mul_f32_e32 v25, v25, v28
	v_mul_f32_e32 v25, v26, v25
	ds_write_b32 v27, v25 offset:4684
.LBB118_316:
	s_or_b64 exec, exec, s[10:11]
	v_mov_b32_e32 v25, 0
	s_waitcnt lgkmcnt(0)
	s_barrier
	s_and_saveexec_b64 s[12:13], s[2:3]
	s_cbranch_execz .LBB118_322
; %bb.317:
	v_mul_u32_u24_e32 v26, 0x104, v14
	ds_read_b32 v25, v6 offset:4176
	ds_read_b32 v27, v26 offset:4160
	v_cmp_gt_u32_e64 s[10:11], 12, v4
	s_waitcnt lgkmcnt(0)
	v_fma_f32 v25, v25, v27, 0
	s_and_saveexec_b64 s[16:17], s[10:11]
	s_cbranch_execnz .LBB118_1158
; %bb.318:
	s_or_b64 exec, exec, s[16:17]
	v_cmp_gt_u32_e64 s[10:11], 8, v4
	s_and_saveexec_b64 s[16:17], s[10:11]
	s_cbranch_execnz .LBB118_1159
.LBB118_319:
	s_or_b64 exec, exec, s[16:17]
	v_cmp_gt_u32_e64 s[10:11], 4, v4
	s_and_saveexec_b64 s[16:17], s[10:11]
	s_cbranch_execz .LBB118_321
.LBB118_320:
	v_lshlrev_b32_e32 v26, 2, v0
	v_mov_b32_e32 v27, 0
	ds_read_b32 v26, v26 offset:4944
	ds_read_b32 v27, v27 offset:4172
	s_waitcnt lgkmcnt(0)
	v_fmac_f32_e32 v25, v26, v27
.LBB118_321:
	s_or_b64 exec, exec, s[16:17]
	v_xor_b32_e32 v25, 0x80000000, v25
.LBB118_322:
	s_or_b64 exec, exec, s[12:13]
	s_and_saveexec_b64 s[10:11], s[40:41]
	s_cbranch_execz .LBB118_324
; %bb.323:
	v_mov_b32_e32 v26, 0
	ds_read_b32 v26, v26 offset:5200
	s_waitcnt lgkmcnt(0)
	v_mul_f32_e32 v25, v25, v26
	ds_write_b32 v12, v25
.LBB118_324:
	s_or_b64 exec, exec, s[10:11]
	s_waitcnt lgkmcnt(0)
	s_barrier
	s_and_saveexec_b64 s[10:11], s[42:43]
	s_cbranch_execz .LBB118_326
; %bb.325:
	ds_read_b32 v26, v11 offset:5200
	ds_read_b32 v27, v12
	s_waitcnt lgkmcnt(0)
	v_fmac_f32_e32 v25, v26, v27
.LBB118_326:
	s_or_b64 exec, exec, s[10:11]
	s_barrier
	s_and_saveexec_b64 s[10:11], s[44:45]
	s_cbranch_execz .LBB118_328
; %bb.327:
	v_mov_b32_e32 v26, 0
	ds_read_b32 v26, v26 offset:5460
	s_waitcnt lgkmcnt(0)
	v_mul_f32_e32 v25, v25, v26
	ds_write_b32 v12, v25
.LBB118_328:
	s_or_b64 exec, exec, s[10:11]
	s_waitcnt lgkmcnt(0)
	s_barrier
	s_and_saveexec_b64 s[10:11], s[46:47]
	s_cbranch_execz .LBB118_330
; %bb.329:
	ds_read_b32 v26, v11 offset:5456
	ds_read_b32 v27, v12
	s_waitcnt lgkmcnt(0)
	v_fmac_f32_e32 v25, v26, v27
.LBB118_330:
	s_or_b64 exec, exec, s[10:11]
	s_barrier
	s_and_saveexec_b64 s[10:11], s[48:49]
	s_cbranch_execz .LBB118_332
; %bb.331:
	v_mov_b32_e32 v26, 0
	ds_read_b32 v26, v26 offset:5720
	s_waitcnt lgkmcnt(0)
	v_mul_f32_e32 v25, v25, v26
	ds_write_b32 v12, v25
.LBB118_332:
	s_or_b64 exec, exec, s[10:11]
	s_waitcnt lgkmcnt(0)
	s_barrier
	s_and_saveexec_b64 s[10:11], s[38:39]
	s_cbranch_execz .LBB118_334
; %bb.333:
	v_mov_b32_e32 v26, 0
	ds_read_b32 v26, v26 offset:5724
	ds_read_b32 v27, v12
	s_waitcnt lgkmcnt(0)
	v_fmac_f32_e32 v25, v26, v27
.LBB118_334:
	s_or_b64 exec, exec, s[10:11]
	s_barrier
	s_and_saveexec_b64 s[10:11], s[38:39]
	s_cbranch_execz .LBB118_336
; %bb.335:
	v_mov_b32_e32 v26, 0
	ds_read_b32 v26, v26 offset:5980
	s_waitcnt lgkmcnt(0)
	v_mul_f32_e32 v25, v25, v26
	ds_write_b32 v12, v25
.LBB118_336:
	s_or_b64 exec, exec, s[10:11]
	s_waitcnt lgkmcnt(0)
	s_barrier
	s_barrier
	s_and_saveexec_b64 s[10:11], s[2:3]
; %bb.337:
	v_xor_b32_e32 v25, 0x80000000, v25
	ds_write_b32 v6, v25 offset:4176
; %bb.338:
	s_or_b64 exec, exec, s[10:11]
	s_waitcnt lgkmcnt(0)
	s_barrier
	s_barrier
	s_and_saveexec_b64 s[10:11], vcc
	s_cbranch_execz .LBB118_340
; %bb.339:
	v_mov_b32_e32 v27, 0
	ds_read_b64 v[25:26], v27 offset:5200
	ds_read_b32 v28, v27 offset:5460
	s_waitcnt lgkmcnt(0)
	v_mul_f32_e32 v25, v25, v28
	v_mul_f32_e32 v25, v26, v25
	ds_write_b32 v27, v25 offset:5204
.LBB118_340:
	s_or_b64 exec, exec, s[10:11]
	v_mov_b32_e32 v25, 0
	s_waitcnt lgkmcnt(0)
	s_barrier
	s_and_saveexec_b64 s[12:13], s[0:1]
	s_cbranch_execz .LBB118_344
; %bb.341:
	v_mul_u32_u24_e32 v25, 0x104, v5
	ds_read_b32 v27, v1 offset:5208
	ds_read_b32 v25, v25 offset:5200
	v_mov_b32_e32 v26, 0
	v_cmp_gt_u32_e64 s[10:11], 2, v4
	s_waitcnt lgkmcnt(0)
	v_fma_f32 v25, v27, v25, 0
	s_and_saveexec_b64 s[16:17], s[10:11]
	s_cbranch_execz .LBB118_343
; %bb.342:
	v_lshlrev_b32_e32 v27, 2, v0
	ds_read_b32 v27, v27 offset:5464
	ds_read_b32 v26, v26 offset:5204
	s_waitcnt lgkmcnt(0)
	v_fmac_f32_e32 v25, v27, v26
.LBB118_343:
	s_or_b64 exec, exec, s[16:17]
	v_xor_b32_e32 v25, 0x80000000, v25
.LBB118_344:
	s_or_b64 exec, exec, s[12:13]
	s_and_saveexec_b64 s[10:11], s[36:37]
	s_cbranch_execz .LBB118_346
; %bb.345:
	v_mov_b32_e32 v26, 0
	ds_read_b32 v26, v26 offset:5720
	s_waitcnt lgkmcnt(0)
	v_mul_f32_e32 v25, v25, v26
	ds_write_b32 v3, v25
.LBB118_346:
	s_or_b64 exec, exec, s[10:11]
	s_waitcnt lgkmcnt(0)
	s_barrier
	s_and_saveexec_b64 s[10:11], s[34:35]
	s_cbranch_execz .LBB118_348
; %bb.347:
	v_mov_b32_e32 v26, 0
	ds_read_b32 v26, v26 offset:5724
	ds_read_b32 v27, v3
	s_waitcnt lgkmcnt(0)
	v_fmac_f32_e32 v25, v26, v27
.LBB118_348:
	s_or_b64 exec, exec, s[10:11]
	s_barrier
	s_and_saveexec_b64 s[10:11], s[34:35]
	s_cbranch_execz .LBB118_350
; %bb.349:
	v_mov_b32_e32 v26, 0
	ds_read_b32 v26, v26 offset:5980
	s_waitcnt lgkmcnt(0)
	v_mul_f32_e32 v25, v25, v26
	ds_write_b32 v3, v25
.LBB118_350:
	s_or_b64 exec, exec, s[10:11]
	s_waitcnt lgkmcnt(0)
	s_barrier
	s_barrier
	s_and_saveexec_b64 s[10:11], s[0:1]
; %bb.351:
	v_xor_b32_e32 v25, 0x80000000, v25
	ds_write_b32 v1, v25 offset:5208
; %bb.352:
	s_or_b64 exec, exec, s[10:11]
	s_waitcnt lgkmcnt(0)
	s_barrier
	s_barrier
	s_and_saveexec_b64 s[10:11], vcc
	s_cbranch_execz .LBB118_354
; %bb.353:
	v_mov_b32_e32 v27, 0
	ds_read_b64 v[25:26], v27 offset:5720
	ds_read_b32 v28, v27 offset:5980
	s_waitcnt lgkmcnt(0)
	v_mul_f32_e32 v25, v25, v28
	v_mul_f32_e32 v25, v26, v25
	ds_write_b32 v27, v25 offset:5724
.LBB118_354:
	s_or_b64 exec, exec, s[10:11]
	v_mov_b32_e32 v25, 0
	s_waitcnt lgkmcnt(0)
	s_barrier
	s_and_saveexec_b64 s[12:13], s[14:15]
	s_cbranch_execz .LBB118_364
; %bb.355:
	v_mul_u32_u24_e32 v26, 0x104, v19
	ds_read_b32 v25, v15 offset:4192
	ds_read_b32 v27, v26 offset:4160
	v_cmp_gt_u32_e64 s[10:11], 56, v4
	s_waitcnt lgkmcnt(0)
	v_fma_f32 v25, v25, v27, 0
	s_and_saveexec_b64 s[16:17], s[10:11]
	s_cbranch_execnz .LBB118_1160
; %bb.356:
	s_or_b64 exec, exec, s[16:17]
	v_cmp_gt_u32_e64 s[10:11], 48, v4
	s_and_saveexec_b64 s[16:17], s[10:11]
	s_cbranch_execnz .LBB118_1161
.LBB118_357:
	s_or_b64 exec, exec, s[16:17]
	v_cmp_gt_u32_e64 s[10:11], 40, v4
	s_and_saveexec_b64 s[16:17], s[10:11]
	s_cbranch_execnz .LBB118_1162
.LBB118_358:
	s_or_b64 exec, exec, s[16:17]
	v_cmp_gt_u32_e64 s[10:11], 32, v4
	s_and_saveexec_b64 s[16:17], s[10:11]
	s_cbranch_execnz .LBB118_1163
.LBB118_359:
	s_or_b64 exec, exec, s[16:17]
	v_cmp_gt_u32_e64 s[10:11], 24, v4
	s_and_saveexec_b64 s[16:17], s[10:11]
	s_cbranch_execnz .LBB118_1164
.LBB118_360:
	s_or_b64 exec, exec, s[16:17]
	v_cmp_gt_u32_e64 s[10:11], 16, v4
	s_and_saveexec_b64 s[16:17], s[10:11]
	s_cbranch_execnz .LBB118_1165
.LBB118_361:
	s_or_b64 exec, exec, s[16:17]
	v_cmp_gt_u32_e64 s[10:11], 8, v4
	s_and_saveexec_b64 s[16:17], s[10:11]
	s_cbranch_execz .LBB118_363
.LBB118_362:
	v_lshlrev_b32_e32 v26, 2, v0
	v_mov_b32_e32 v27, 0
	ds_read_b32 v26, v26 offset:5984
	ds_read_b32 v27, v27 offset:4188
	s_waitcnt lgkmcnt(0)
	v_fmac_f32_e32 v25, v26, v27
.LBB118_363:
	s_or_b64 exec, exec, s[16:17]
	v_xor_b32_e32 v25, 0x80000000, v25
.LBB118_364:
	s_or_b64 exec, exec, s[12:13]
	s_and_saveexec_b64 s[10:11], s[50:51]
	s_cbranch_execz .LBB118_366
; %bb.365:
	v_mov_b32_e32 v26, 0
	ds_read_b32 v26, v26 offset:6240
	s_waitcnt lgkmcnt(0)
	v_mul_f32_e32 v25, v25, v26
	ds_write_b32 v17, v25
.LBB118_366:
	s_or_b64 exec, exec, s[10:11]
	s_waitcnt lgkmcnt(0)
	s_barrier
	s_and_saveexec_b64 s[10:11], s[52:53]
	s_cbranch_execz .LBB118_368
; %bb.367:
	ds_read_b32 v26, v16 offset:6240
	ds_read_b32 v27, v17
	s_waitcnt lgkmcnt(0)
	v_fmac_f32_e32 v25, v26, v27
.LBB118_368:
	s_or_b64 exec, exec, s[10:11]
	s_barrier
	s_and_saveexec_b64 s[10:11], s[54:55]
	s_cbranch_execz .LBB118_370
; %bb.369:
	v_mov_b32_e32 v26, 0
	ds_read_b32 v26, v26 offset:6500
	s_waitcnt lgkmcnt(0)
	v_mul_f32_e32 v25, v25, v26
	ds_write_b32 v17, v25
.LBB118_370:
	s_or_b64 exec, exec, s[10:11]
	s_waitcnt lgkmcnt(0)
	s_barrier
	s_and_saveexec_b64 s[10:11], s[56:57]
	s_cbranch_execz .LBB118_372
; %bb.371:
	ds_read_b32 v26, v16 offset:6496
	ds_read_b32 v27, v17
	s_waitcnt lgkmcnt(0)
	v_fmac_f32_e32 v25, v26, v27
.LBB118_372:
	s_or_b64 exec, exec, s[10:11]
	s_barrier
	;; [unrolled: 22-line block ×6, first 2 shown]
	s_and_saveexec_b64 s[10:11], s[76:77]
	s_cbranch_execz .LBB118_390
; %bb.389:
	v_mov_b32_e32 v26, 0
	ds_read_b32 v26, v26 offset:7800
	s_waitcnt lgkmcnt(0)
	v_mul_f32_e32 v25, v25, v26
	ds_write_b32 v17, v25
.LBB118_390:
	s_or_b64 exec, exec, s[10:11]
	s_waitcnt lgkmcnt(0)
	s_barrier
	s_and_saveexec_b64 s[10:11], s[58:59]
	s_cbranch_execz .LBB118_392
; %bb.391:
	v_mov_b32_e32 v26, 0
	ds_read_b32 v26, v26 offset:7804
	ds_read_b32 v27, v17
	s_waitcnt lgkmcnt(0)
	v_fmac_f32_e32 v25, v26, v27
.LBB118_392:
	s_or_b64 exec, exec, s[10:11]
	s_barrier
	s_and_saveexec_b64 s[10:11], s[58:59]
	s_cbranch_execz .LBB118_394
; %bb.393:
	v_mov_b32_e32 v26, 0
	ds_read_b32 v26, v26 offset:8060
	s_waitcnt lgkmcnt(0)
	v_mul_f32_e32 v25, v25, v26
	ds_write_b32 v17, v25
.LBB118_394:
	s_or_b64 exec, exec, s[10:11]
	s_waitcnt lgkmcnt(0)
	s_barrier
	s_barrier
	s_and_saveexec_b64 s[10:11], s[14:15]
; %bb.395:
	v_xor_b32_e32 v25, 0x80000000, v25
	ds_write_b32 v15, v25 offset:4192
; %bb.396:
	s_or_b64 exec, exec, s[10:11]
	s_waitcnt lgkmcnt(0)
	s_barrier
	s_barrier
	s_and_saveexec_b64 s[10:11], vcc
	s_cbranch_execz .LBB118_398
; %bb.397:
	v_mov_b32_e32 v27, 0
	ds_read_b64 v[25:26], v27 offset:6240
	ds_read_b32 v28, v27 offset:6500
	s_waitcnt lgkmcnt(0)
	v_mul_f32_e32 v25, v25, v28
	v_mul_f32_e32 v25, v26, v25
	ds_write_b32 v27, v25 offset:6244
.LBB118_398:
	s_or_b64 exec, exec, s[10:11]
	v_mov_b32_e32 v25, 0
	s_waitcnt lgkmcnt(0)
	s_barrier
	s_and_saveexec_b64 s[12:13], s[0:1]
	s_cbranch_execz .LBB118_402
; %bb.399:
	v_mul_u32_u24_e32 v25, 0x104, v5
	ds_read_b32 v27, v1 offset:6248
	ds_read_b32 v25, v25 offset:6240
	v_mov_b32_e32 v26, 0
	v_cmp_gt_u32_e64 s[10:11], 2, v4
	s_waitcnt lgkmcnt(0)
	v_fma_f32 v25, v27, v25, 0
	s_and_saveexec_b64 s[16:17], s[10:11]
	s_cbranch_execz .LBB118_401
; %bb.400:
	v_lshlrev_b32_e32 v27, 2, v0
	ds_read_b32 v27, v27 offset:6504
	ds_read_b32 v26, v26 offset:6244
	s_waitcnt lgkmcnt(0)
	v_fmac_f32_e32 v25, v27, v26
.LBB118_401:
	s_or_b64 exec, exec, s[16:17]
	v_xor_b32_e32 v25, 0x80000000, v25
.LBB118_402:
	s_or_b64 exec, exec, s[12:13]
	s_and_saveexec_b64 s[10:11], s[36:37]
	s_cbranch_execz .LBB118_404
; %bb.403:
	v_mov_b32_e32 v26, 0
	ds_read_b32 v26, v26 offset:6760
	s_waitcnt lgkmcnt(0)
	v_mul_f32_e32 v25, v25, v26
	ds_write_b32 v3, v25
.LBB118_404:
	s_or_b64 exec, exec, s[10:11]
	s_waitcnt lgkmcnt(0)
	s_barrier
	s_and_saveexec_b64 s[10:11], s[34:35]
	s_cbranch_execz .LBB118_406
; %bb.405:
	v_mov_b32_e32 v26, 0
	ds_read_b32 v26, v26 offset:6764
	ds_read_b32 v27, v3
	s_waitcnt lgkmcnt(0)
	v_fmac_f32_e32 v25, v26, v27
.LBB118_406:
	s_or_b64 exec, exec, s[10:11]
	s_barrier
	s_and_saveexec_b64 s[10:11], s[34:35]
	s_cbranch_execz .LBB118_408
; %bb.407:
	v_mov_b32_e32 v26, 0
	ds_read_b32 v26, v26 offset:7020
	s_waitcnt lgkmcnt(0)
	v_mul_f32_e32 v25, v25, v26
	ds_write_b32 v3, v25
.LBB118_408:
	s_or_b64 exec, exec, s[10:11]
	s_waitcnt lgkmcnt(0)
	s_barrier
	s_barrier
	s_and_saveexec_b64 s[10:11], s[0:1]
; %bb.409:
	v_xor_b32_e32 v25, 0x80000000, v25
	ds_write_b32 v1, v25 offset:6248
; %bb.410:
	s_or_b64 exec, exec, s[10:11]
	s_waitcnt lgkmcnt(0)
	s_barrier
	s_barrier
	s_and_saveexec_b64 s[10:11], vcc
	s_cbranch_execz .LBB118_412
; %bb.411:
	v_mov_b32_e32 v27, 0
	ds_read_b64 v[25:26], v27 offset:6760
	ds_read_b32 v28, v27 offset:7020
	s_waitcnt lgkmcnt(0)
	v_mul_f32_e32 v25, v25, v28
	v_mul_f32_e32 v25, v26, v25
	ds_write_b32 v27, v25 offset:6764
.LBB118_412:
	s_or_b64 exec, exec, s[10:11]
	v_mov_b32_e32 v25, 0
	s_waitcnt lgkmcnt(0)
	s_barrier
	s_and_saveexec_b64 s[12:13], s[2:3]
	s_cbranch_execz .LBB118_418
; %bb.413:
	v_mul_u32_u24_e32 v26, 0x104, v14
	ds_read_b32 v25, v6 offset:6256
	ds_read_b32 v27, v26 offset:6240
	v_cmp_gt_u32_e64 s[10:11], 12, v4
	s_waitcnt lgkmcnt(0)
	v_fma_f32 v25, v25, v27, 0
	s_and_saveexec_b64 s[16:17], s[10:11]
	s_cbranch_execnz .LBB118_1166
; %bb.414:
	s_or_b64 exec, exec, s[16:17]
	v_cmp_gt_u32_e64 s[10:11], 8, v4
	s_and_saveexec_b64 s[16:17], s[10:11]
	s_cbranch_execnz .LBB118_1167
.LBB118_415:
	s_or_b64 exec, exec, s[16:17]
	v_cmp_gt_u32_e64 s[10:11], 4, v4
	s_and_saveexec_b64 s[16:17], s[10:11]
	s_cbranch_execz .LBB118_417
.LBB118_416:
	v_lshlrev_b32_e32 v26, 2, v0
	v_mov_b32_e32 v27, 0
	ds_read_b32 v26, v26 offset:7024
	ds_read_b32 v27, v27 offset:6252
	s_waitcnt lgkmcnt(0)
	v_fmac_f32_e32 v25, v26, v27
.LBB118_417:
	s_or_b64 exec, exec, s[16:17]
	v_xor_b32_e32 v25, 0x80000000, v25
.LBB118_418:
	s_or_b64 exec, exec, s[12:13]
	s_and_saveexec_b64 s[10:11], s[40:41]
	s_cbranch_execz .LBB118_420
; %bb.419:
	v_mov_b32_e32 v26, 0
	ds_read_b32 v26, v26 offset:7280
	s_waitcnt lgkmcnt(0)
	v_mul_f32_e32 v25, v25, v26
	ds_write_b32 v12, v25
.LBB118_420:
	s_or_b64 exec, exec, s[10:11]
	s_waitcnt lgkmcnt(0)
	s_barrier
	s_and_saveexec_b64 s[10:11], s[42:43]
	s_cbranch_execz .LBB118_422
; %bb.421:
	ds_read_b32 v26, v11 offset:7280
	ds_read_b32 v27, v12
	s_waitcnt lgkmcnt(0)
	v_fmac_f32_e32 v25, v26, v27
.LBB118_422:
	s_or_b64 exec, exec, s[10:11]
	s_barrier
	s_and_saveexec_b64 s[10:11], s[44:45]
	s_cbranch_execz .LBB118_424
; %bb.423:
	v_mov_b32_e32 v26, 0
	ds_read_b32 v26, v26 offset:7540
	s_waitcnt lgkmcnt(0)
	v_mul_f32_e32 v25, v25, v26
	ds_write_b32 v12, v25
.LBB118_424:
	s_or_b64 exec, exec, s[10:11]
	s_waitcnt lgkmcnt(0)
	s_barrier
	s_and_saveexec_b64 s[10:11], s[46:47]
	s_cbranch_execz .LBB118_426
; %bb.425:
	ds_read_b32 v26, v11 offset:7536
	ds_read_b32 v27, v12
	s_waitcnt lgkmcnt(0)
	v_fmac_f32_e32 v25, v26, v27
.LBB118_426:
	s_or_b64 exec, exec, s[10:11]
	s_barrier
	s_and_saveexec_b64 s[10:11], s[48:49]
	s_cbranch_execz .LBB118_428
; %bb.427:
	v_mov_b32_e32 v26, 0
	ds_read_b32 v26, v26 offset:7800
	s_waitcnt lgkmcnt(0)
	v_mul_f32_e32 v25, v25, v26
	ds_write_b32 v12, v25
.LBB118_428:
	s_or_b64 exec, exec, s[10:11]
	s_waitcnt lgkmcnt(0)
	s_barrier
	s_and_saveexec_b64 s[10:11], s[38:39]
	s_cbranch_execz .LBB118_430
; %bb.429:
	v_mov_b32_e32 v26, 0
	ds_read_b32 v26, v26 offset:7804
	ds_read_b32 v27, v12
	s_waitcnt lgkmcnt(0)
	v_fmac_f32_e32 v25, v26, v27
.LBB118_430:
	s_or_b64 exec, exec, s[10:11]
	s_barrier
	s_and_saveexec_b64 s[10:11], s[38:39]
	s_cbranch_execz .LBB118_432
; %bb.431:
	v_mov_b32_e32 v26, 0
	ds_read_b32 v26, v26 offset:8060
	s_waitcnt lgkmcnt(0)
	v_mul_f32_e32 v25, v25, v26
	ds_write_b32 v12, v25
.LBB118_432:
	s_or_b64 exec, exec, s[10:11]
	s_waitcnt lgkmcnt(0)
	s_barrier
	s_barrier
	s_and_saveexec_b64 s[10:11], s[2:3]
; %bb.433:
	v_xor_b32_e32 v25, 0x80000000, v25
	ds_write_b32 v6, v25 offset:6256
; %bb.434:
	s_or_b64 exec, exec, s[10:11]
	s_waitcnt lgkmcnt(0)
	s_barrier
	s_barrier
	s_and_saveexec_b64 s[10:11], vcc
	s_cbranch_execz .LBB118_436
; %bb.435:
	v_mov_b32_e32 v27, 0
	ds_read_b64 v[25:26], v27 offset:7280
	ds_read_b32 v28, v27 offset:7540
	s_waitcnt lgkmcnt(0)
	v_mul_f32_e32 v25, v25, v28
	v_mul_f32_e32 v25, v26, v25
	ds_write_b32 v27, v25 offset:7284
.LBB118_436:
	s_or_b64 exec, exec, s[10:11]
	v_mov_b32_e32 v25, 0
	s_waitcnt lgkmcnt(0)
	s_barrier
	s_and_saveexec_b64 s[12:13], s[0:1]
	s_cbranch_execz .LBB118_440
; %bb.437:
	v_mul_u32_u24_e32 v25, 0x104, v5
	ds_read_b32 v27, v1 offset:7288
	ds_read_b32 v25, v25 offset:7280
	v_mov_b32_e32 v26, 0
	v_cmp_gt_u32_e64 s[10:11], 2, v4
	s_waitcnt lgkmcnt(0)
	v_fma_f32 v25, v27, v25, 0
	s_and_saveexec_b64 s[16:17], s[10:11]
	s_cbranch_execz .LBB118_439
; %bb.438:
	v_lshlrev_b32_e32 v27, 2, v0
	ds_read_b32 v27, v27 offset:7544
	ds_read_b32 v26, v26 offset:7284
	s_waitcnt lgkmcnt(0)
	v_fmac_f32_e32 v25, v27, v26
.LBB118_439:
	s_or_b64 exec, exec, s[16:17]
	v_xor_b32_e32 v25, 0x80000000, v25
.LBB118_440:
	s_or_b64 exec, exec, s[12:13]
	s_and_saveexec_b64 s[10:11], s[36:37]
	s_cbranch_execz .LBB118_442
; %bb.441:
	v_mov_b32_e32 v26, 0
	ds_read_b32 v26, v26 offset:7800
	s_waitcnt lgkmcnt(0)
	v_mul_f32_e32 v25, v25, v26
	ds_write_b32 v3, v25
.LBB118_442:
	s_or_b64 exec, exec, s[10:11]
	s_waitcnt lgkmcnt(0)
	s_barrier
	s_and_saveexec_b64 s[10:11], s[34:35]
	s_cbranch_execz .LBB118_444
; %bb.443:
	v_mov_b32_e32 v26, 0
	ds_read_b32 v26, v26 offset:7804
	ds_read_b32 v27, v3
	s_waitcnt lgkmcnt(0)
	v_fmac_f32_e32 v25, v26, v27
.LBB118_444:
	s_or_b64 exec, exec, s[10:11]
	s_barrier
	s_and_saveexec_b64 s[10:11], s[34:35]
	s_cbranch_execz .LBB118_446
; %bb.445:
	v_mov_b32_e32 v26, 0
	ds_read_b32 v26, v26 offset:8060
	s_waitcnt lgkmcnt(0)
	v_mul_f32_e32 v25, v25, v26
	ds_write_b32 v3, v25
.LBB118_446:
	s_or_b64 exec, exec, s[10:11]
	s_waitcnt lgkmcnt(0)
	s_barrier
	s_barrier
	s_and_saveexec_b64 s[10:11], s[0:1]
; %bb.447:
	v_xor_b32_e32 v25, 0x80000000, v25
	ds_write_b32 v1, v25 offset:7288
; %bb.448:
	s_or_b64 exec, exec, s[10:11]
	s_waitcnt lgkmcnt(0)
	s_barrier
	s_barrier
	s_and_saveexec_b64 s[10:11], vcc
	s_cbranch_execz .LBB118_450
; %bb.449:
	v_mov_b32_e32 v27, 0
	ds_read_b64 v[25:26], v27 offset:7800
	ds_read_b32 v28, v27 offset:8060
	s_waitcnt lgkmcnt(0)
	v_mul_f32_e32 v25, v25, v28
	v_mul_f32_e32 v25, v26, v25
	ds_write_b32 v27, v25 offset:7804
.LBB118_450:
	s_or_b64 exec, exec, s[10:11]
	v_and_b32_e32 v26, 31, v0
	s_movk_i32 s10, 0x3ff
	v_lshrrev_b32_e32 v29, 5, v4
	v_cmp_lt_u32_e64 s[12:13], s10, v4
	s_movk_i32 s10, 0x400
	v_lshlrev_b32_e32 v27, 2, v26
	v_cmp_gt_u32_e64 s[10:11], s10, v4
	v_lshl_or_b32 v25, v29, 8, v27
	v_mov_b32_e32 v28, 0
	s_waitcnt lgkmcnt(0)
	s_barrier
	s_and_saveexec_b64 s[80:81], s[10:11]
	s_cbranch_execz .LBB118_512
; %bb.451:
	v_mul_u32_u24_e32 v30, 0x104, v29
	ds_read_b32 v28, v25 offset:128
	ds_read_b32 v31, v30
	s_movk_i32 s16, 0x3e0
	v_cmp_gt_u32_e64 s[16:17], s16, v4
	s_waitcnt lgkmcnt(0)
	v_fma_f32 v28, v28, v31, 0
	s_and_saveexec_b64 s[82:83], s[16:17]
	s_cbranch_execz .LBB118_453
; %bb.452:
	ds_read_b32 v31, v25 offset:384
	ds_read_b32 v32, v30 offset:4
	s_waitcnt lgkmcnt(0)
	v_fmac_f32_e32 v28, v31, v32
.LBB118_453:
	s_or_b64 exec, exec, s[82:83]
	s_movk_i32 s16, 0x3c0
	v_cmp_gt_u32_e64 s[16:17], s16, v4
	s_and_saveexec_b64 s[82:83], s[16:17]
	s_cbranch_execz .LBB118_455
; %bb.454:
	ds_read_b32 v31, v25 offset:640
	ds_read_b32 v32, v30 offset:8
	s_waitcnt lgkmcnt(0)
	v_fmac_f32_e32 v28, v31, v32
.LBB118_455:
	s_or_b64 exec, exec, s[82:83]
	s_movk_i32 s16, 0x3a0
	v_cmp_gt_u32_e64 s[16:17], s16, v4
	;; [unrolled: 11-line block ×28, first 2 shown]
	s_and_saveexec_b64 s[82:83], s[16:17]
	s_cbranch_execnz .LBB118_1168
; %bb.508:
	s_or_b64 exec, exec, s[82:83]
	v_cmp_gt_u32_e64 s[16:17], 64, v4
	s_and_saveexec_b64 s[82:83], s[16:17]
	s_cbranch_execnz .LBB118_1169
.LBB118_509:
	s_or_b64 exec, exec, s[82:83]
	v_cmp_gt_u32_e64 s[16:17], 32, v4
	s_and_saveexec_b64 s[82:83], s[16:17]
	s_cbranch_execz .LBB118_511
.LBB118_510:
	v_lshlrev_b32_e32 v30, 2, v0
	v_mov_b32_e32 v31, 0
	ds_read_b32 v30, v30 offset:8064
	ds_read_b32 v31, v31 offset:124
	s_waitcnt lgkmcnt(0)
	v_fmac_f32_e32 v28, v30, v31
.LBB118_511:
	s_or_b64 exec, exec, s[82:83]
	v_xor_b32_e32 v28, 0x80000000, v28
.LBB118_512:
	s_or_b64 exec, exec, s[80:81]
	v_mov_b32_e32 v30, 0x4000
	v_cmp_eq_u32_e64 s[16:17], 0, v26
	s_xor_b64 s[80:81], s[12:13], -1
	v_lshl_or_b32 v29, v29, 2, v30
	s_and_b64 s[16:17], s[16:17], s[80:81]
	s_and_saveexec_b64 s[12:13], s[16:17]
	s_cbranch_execz .LBB118_514
; %bb.513:
	v_mov_b32_e32 v30, 0
	ds_read_b32 v30, v30 offset:8320
	s_waitcnt lgkmcnt(0)
	v_mul_f32_e32 v28, v28, v30
	ds_write_b32 v29, v28
.LBB118_514:
	s_or_b64 exec, exec, s[12:13]
	v_cmp_ne_u32_e64 s[12:13], 0, v26
	s_and_b64 s[16:17], s[12:13], s[80:81]
	s_waitcnt lgkmcnt(0)
	s_barrier
	s_and_saveexec_b64 s[12:13], s[16:17]
	s_cbranch_execz .LBB118_516
; %bb.515:
	ds_read_b32 v30, v27 offset:8320
	ds_read_b32 v31, v29
	s_waitcnt lgkmcnt(0)
	v_fmac_f32_e32 v28, v30, v31
.LBB118_516:
	s_or_b64 exec, exec, s[12:13]
	v_cmp_eq_u32_e64 s[12:13], 1, v26
	s_and_b64 s[16:17], s[12:13], s[80:81]
	s_barrier
	s_and_saveexec_b64 s[12:13], s[16:17]
	s_cbranch_execz .LBB118_518
; %bb.517:
	v_mov_b32_e32 v30, 0
	ds_read_b32 v30, v30 offset:8580
	s_waitcnt lgkmcnt(0)
	v_mul_f32_e32 v28, v28, v30
	ds_write_b32 v29, v28
.LBB118_518:
	s_or_b64 exec, exec, s[12:13]
	v_cmp_lt_u32_e64 s[12:13], 1, v26
	s_and_b64 s[16:17], s[12:13], s[80:81]
	s_waitcnt lgkmcnt(0)
	s_barrier
	s_and_saveexec_b64 s[12:13], s[16:17]
	s_cbranch_execz .LBB118_520
; %bb.519:
	ds_read_b32 v30, v27 offset:8576
	ds_read_b32 v31, v29
	s_waitcnt lgkmcnt(0)
	v_fmac_f32_e32 v28, v30, v31
.LBB118_520:
	s_or_b64 exec, exec, s[12:13]
	v_cmp_eq_u32_e64 s[12:13], 2, v26
	s_and_b64 s[16:17], s[12:13], s[80:81]
	s_barrier
	s_and_saveexec_b64 s[12:13], s[16:17]
	s_cbranch_execz .LBB118_522
; %bb.521:
	v_mov_b32_e32 v30, 0
	ds_read_b32 v30, v30 offset:8840
	s_waitcnt lgkmcnt(0)
	v_mul_f32_e32 v28, v28, v30
	ds_write_b32 v29, v28
.LBB118_522:
	s_or_b64 exec, exec, s[12:13]
	v_cmp_lt_u32_e64 s[12:13], 2, v26
	;; [unrolled: 26-line block ×29, first 2 shown]
	s_and_b64 s[16:17], s[12:13], s[80:81]
	s_waitcnt lgkmcnt(0)
	s_barrier
	s_and_saveexec_b64 s[12:13], s[16:17]
	s_cbranch_execz .LBB118_632
; %bb.631:
	ds_read_b32 v27, v27 offset:15744
	ds_read_b32 v30, v29
	s_waitcnt lgkmcnt(0)
	v_fmac_f32_e32 v28, v27, v30
.LBB118_632:
	s_or_b64 exec, exec, s[12:13]
	v_cmp_eq_u32_e64 s[12:13], 30, v26
	s_and_b64 s[16:17], s[12:13], s[80:81]
	s_barrier
	s_and_saveexec_b64 s[12:13], s[16:17]
	s_cbranch_execz .LBB118_634
; %bb.633:
	v_mov_b32_e32 v27, 0
	ds_read_b32 v27, v27 offset:16120
	s_waitcnt lgkmcnt(0)
	v_mul_f32_e32 v28, v28, v27
	ds_write_b32 v29, v28
.LBB118_634:
	s_or_b64 exec, exec, s[12:13]
	v_cmp_eq_u32_e64 s[12:13], 31, v26
	s_and_b64 s[12:13], s[12:13], s[80:81]
	s_waitcnt lgkmcnt(0)
	s_barrier
	s_and_saveexec_b64 s[16:17], s[12:13]
	s_cbranch_execz .LBB118_636
; %bb.635:
	v_mov_b32_e32 v26, 0
	ds_read_b32 v26, v26 offset:16124
	ds_read_b32 v27, v29
	s_waitcnt lgkmcnt(0)
	v_fmac_f32_e32 v28, v26, v27
.LBB118_636:
	s_or_b64 exec, exec, s[16:17]
	s_barrier
	s_and_saveexec_b64 s[16:17], s[12:13]
	s_cbranch_execz .LBB118_638
; %bb.637:
	v_mov_b32_e32 v26, 0
	ds_read_b32 v26, v26 offset:16380
	s_waitcnt lgkmcnt(0)
	v_mul_f32_e32 v28, v28, v26
	ds_write_b32 v29, v28
.LBB118_638:
	s_or_b64 exec, exec, s[16:17]
	s_waitcnt lgkmcnt(0)
	s_barrier
	s_barrier
	s_and_saveexec_b64 s[12:13], s[10:11]
; %bb.639:
	v_xor_b32_e32 v26, 0x80000000, v28
	ds_write_b32 v25, v26 offset:128
; %bb.640:
	s_or_b64 exec, exec, s[12:13]
	s_waitcnt lgkmcnt(0)
	s_barrier
	s_barrier
	s_and_saveexec_b64 s[10:11], vcc
	s_cbranch_execz .LBB118_642
; %bb.641:
	v_mov_b32_e32 v27, 0
	ds_read_b64 v[25:26], v27 offset:8320
	ds_read_b32 v28, v27 offset:8580
	s_waitcnt lgkmcnt(0)
	v_mul_f32_e32 v25, v25, v28
	v_mul_f32_e32 v25, v26, v25
	ds_write_b32 v27, v25 offset:8324
.LBB118_642:
	s_or_b64 exec, exec, s[10:11]
	v_mov_b32_e32 v25, 0
	s_waitcnt lgkmcnt(0)
	s_barrier
	s_and_saveexec_b64 s[12:13], s[0:1]
	s_cbranch_execz .LBB118_646
; %bb.643:
	v_mul_u32_u24_e32 v25, 0x104, v5
	ds_read_b32 v27, v1 offset:8328
	ds_read_b32 v25, v25 offset:8320
	v_mov_b32_e32 v26, 0
	v_cmp_gt_u32_e64 s[10:11], 2, v4
	s_waitcnt lgkmcnt(0)
	v_fma_f32 v25, v27, v25, 0
	s_and_saveexec_b64 s[16:17], s[10:11]
	s_cbranch_execz .LBB118_645
; %bb.644:
	v_lshlrev_b32_e32 v27, 2, v0
	ds_read_b32 v27, v27 offset:8584
	ds_read_b32 v26, v26 offset:8324
	s_waitcnt lgkmcnt(0)
	v_fmac_f32_e32 v25, v27, v26
.LBB118_645:
	s_or_b64 exec, exec, s[16:17]
	v_xor_b32_e32 v25, 0x80000000, v25
.LBB118_646:
	s_or_b64 exec, exec, s[12:13]
	s_and_saveexec_b64 s[10:11], s[36:37]
	s_cbranch_execz .LBB118_648
; %bb.647:
	v_mov_b32_e32 v26, 0
	ds_read_b32 v26, v26 offset:8840
	s_waitcnt lgkmcnt(0)
	v_mul_f32_e32 v25, v25, v26
	ds_write_b32 v3, v25
.LBB118_648:
	s_or_b64 exec, exec, s[10:11]
	s_waitcnt lgkmcnt(0)
	s_barrier
	s_and_saveexec_b64 s[10:11], s[34:35]
	s_cbranch_execz .LBB118_650
; %bb.649:
	v_mov_b32_e32 v26, 0
	ds_read_b32 v26, v26 offset:8844
	ds_read_b32 v27, v3
	s_waitcnt lgkmcnt(0)
	v_fmac_f32_e32 v25, v26, v27
.LBB118_650:
	s_or_b64 exec, exec, s[10:11]
	s_barrier
	s_and_saveexec_b64 s[10:11], s[34:35]
	s_cbranch_execz .LBB118_652
; %bb.651:
	v_mov_b32_e32 v26, 0
	ds_read_b32 v26, v26 offset:9100
	s_waitcnt lgkmcnt(0)
	v_mul_f32_e32 v25, v25, v26
	ds_write_b32 v3, v25
.LBB118_652:
	s_or_b64 exec, exec, s[10:11]
	s_waitcnt lgkmcnt(0)
	s_barrier
	s_barrier
	s_and_saveexec_b64 s[10:11], s[0:1]
; %bb.653:
	v_xor_b32_e32 v25, 0x80000000, v25
	ds_write_b32 v1, v25 offset:8328
; %bb.654:
	s_or_b64 exec, exec, s[10:11]
	s_waitcnt lgkmcnt(0)
	s_barrier
	s_barrier
	s_and_saveexec_b64 s[10:11], vcc
	s_cbranch_execz .LBB118_656
; %bb.655:
	v_mov_b32_e32 v27, 0
	ds_read_b64 v[25:26], v27 offset:8840
	ds_read_b32 v28, v27 offset:9100
	s_waitcnt lgkmcnt(0)
	v_mul_f32_e32 v25, v25, v28
	v_mul_f32_e32 v25, v26, v25
	ds_write_b32 v27, v25 offset:8844
.LBB118_656:
	s_or_b64 exec, exec, s[10:11]
	v_mov_b32_e32 v25, 0
	s_waitcnt lgkmcnt(0)
	s_barrier
	s_and_saveexec_b64 s[12:13], s[2:3]
	s_cbranch_execz .LBB118_662
; %bb.657:
	v_mul_u32_u24_e32 v26, 0x104, v14
	ds_read_b32 v25, v6 offset:8336
	ds_read_b32 v27, v26 offset:8320
	v_cmp_gt_u32_e64 s[10:11], 12, v4
	s_waitcnt lgkmcnt(0)
	v_fma_f32 v25, v25, v27, 0
	s_and_saveexec_b64 s[16:17], s[10:11]
	s_cbranch_execnz .LBB118_1170
; %bb.658:
	s_or_b64 exec, exec, s[16:17]
	v_cmp_gt_u32_e64 s[10:11], 8, v4
	s_and_saveexec_b64 s[16:17], s[10:11]
	s_cbranch_execnz .LBB118_1171
.LBB118_659:
	s_or_b64 exec, exec, s[16:17]
	v_cmp_gt_u32_e64 s[10:11], 4, v4
	s_and_saveexec_b64 s[16:17], s[10:11]
	s_cbranch_execz .LBB118_661
.LBB118_660:
	v_lshlrev_b32_e32 v26, 2, v0
	v_mov_b32_e32 v27, 0
	ds_read_b32 v26, v26 offset:9104
	ds_read_b32 v27, v27 offset:8332
	s_waitcnt lgkmcnt(0)
	v_fmac_f32_e32 v25, v26, v27
.LBB118_661:
	s_or_b64 exec, exec, s[16:17]
	v_xor_b32_e32 v25, 0x80000000, v25
.LBB118_662:
	s_or_b64 exec, exec, s[12:13]
	s_and_saveexec_b64 s[10:11], s[40:41]
	s_cbranch_execz .LBB118_664
; %bb.663:
	v_mov_b32_e32 v26, 0
	ds_read_b32 v26, v26 offset:9360
	s_waitcnt lgkmcnt(0)
	v_mul_f32_e32 v25, v25, v26
	ds_write_b32 v12, v25
.LBB118_664:
	s_or_b64 exec, exec, s[10:11]
	s_waitcnt lgkmcnt(0)
	s_barrier
	s_and_saveexec_b64 s[10:11], s[42:43]
	s_cbranch_execz .LBB118_666
; %bb.665:
	ds_read_b32 v26, v11 offset:9360
	ds_read_b32 v27, v12
	s_waitcnt lgkmcnt(0)
	v_fmac_f32_e32 v25, v26, v27
.LBB118_666:
	s_or_b64 exec, exec, s[10:11]
	s_barrier
	s_and_saveexec_b64 s[10:11], s[44:45]
	s_cbranch_execz .LBB118_668
; %bb.667:
	v_mov_b32_e32 v26, 0
	ds_read_b32 v26, v26 offset:9620
	s_waitcnt lgkmcnt(0)
	v_mul_f32_e32 v25, v25, v26
	ds_write_b32 v12, v25
.LBB118_668:
	s_or_b64 exec, exec, s[10:11]
	s_waitcnt lgkmcnt(0)
	s_barrier
	s_and_saveexec_b64 s[10:11], s[46:47]
	s_cbranch_execz .LBB118_670
; %bb.669:
	ds_read_b32 v26, v11 offset:9616
	ds_read_b32 v27, v12
	s_waitcnt lgkmcnt(0)
	v_fmac_f32_e32 v25, v26, v27
.LBB118_670:
	s_or_b64 exec, exec, s[10:11]
	s_barrier
	s_and_saveexec_b64 s[10:11], s[48:49]
	s_cbranch_execz .LBB118_672
; %bb.671:
	v_mov_b32_e32 v26, 0
	ds_read_b32 v26, v26 offset:9880
	s_waitcnt lgkmcnt(0)
	v_mul_f32_e32 v25, v25, v26
	ds_write_b32 v12, v25
.LBB118_672:
	s_or_b64 exec, exec, s[10:11]
	s_waitcnt lgkmcnt(0)
	s_barrier
	s_and_saveexec_b64 s[10:11], s[38:39]
	s_cbranch_execz .LBB118_674
; %bb.673:
	v_mov_b32_e32 v26, 0
	ds_read_b32 v26, v26 offset:9884
	ds_read_b32 v27, v12
	s_waitcnt lgkmcnt(0)
	v_fmac_f32_e32 v25, v26, v27
.LBB118_674:
	s_or_b64 exec, exec, s[10:11]
	s_barrier
	s_and_saveexec_b64 s[10:11], s[38:39]
	s_cbranch_execz .LBB118_676
; %bb.675:
	v_mov_b32_e32 v26, 0
	ds_read_b32 v26, v26 offset:10140
	s_waitcnt lgkmcnt(0)
	v_mul_f32_e32 v25, v25, v26
	ds_write_b32 v12, v25
.LBB118_676:
	s_or_b64 exec, exec, s[10:11]
	s_waitcnt lgkmcnt(0)
	s_barrier
	s_barrier
	s_and_saveexec_b64 s[10:11], s[2:3]
; %bb.677:
	v_xor_b32_e32 v25, 0x80000000, v25
	ds_write_b32 v6, v25 offset:8336
; %bb.678:
	s_or_b64 exec, exec, s[10:11]
	s_waitcnt lgkmcnt(0)
	s_barrier
	s_barrier
	s_and_saveexec_b64 s[10:11], vcc
	s_cbranch_execz .LBB118_680
; %bb.679:
	v_mov_b32_e32 v27, 0
	ds_read_b64 v[25:26], v27 offset:9360
	ds_read_b32 v28, v27 offset:9620
	s_waitcnt lgkmcnt(0)
	v_mul_f32_e32 v25, v25, v28
	v_mul_f32_e32 v25, v26, v25
	ds_write_b32 v27, v25 offset:9364
.LBB118_680:
	s_or_b64 exec, exec, s[10:11]
	v_mov_b32_e32 v25, 0
	s_waitcnt lgkmcnt(0)
	s_barrier
	s_and_saveexec_b64 s[12:13], s[0:1]
	s_cbranch_execz .LBB118_684
; %bb.681:
	v_mul_u32_u24_e32 v25, 0x104, v5
	ds_read_b32 v27, v1 offset:9368
	ds_read_b32 v25, v25 offset:9360
	v_mov_b32_e32 v26, 0
	v_cmp_gt_u32_e64 s[10:11], 2, v4
	s_waitcnt lgkmcnt(0)
	v_fma_f32 v25, v27, v25, 0
	s_and_saveexec_b64 s[16:17], s[10:11]
	s_cbranch_execz .LBB118_683
; %bb.682:
	v_lshlrev_b32_e32 v27, 2, v0
	ds_read_b32 v27, v27 offset:9624
	ds_read_b32 v26, v26 offset:9364
	s_waitcnt lgkmcnt(0)
	v_fmac_f32_e32 v25, v27, v26
.LBB118_683:
	s_or_b64 exec, exec, s[16:17]
	v_xor_b32_e32 v25, 0x80000000, v25
.LBB118_684:
	s_or_b64 exec, exec, s[12:13]
	s_and_saveexec_b64 s[10:11], s[36:37]
	s_cbranch_execz .LBB118_686
; %bb.685:
	v_mov_b32_e32 v26, 0
	ds_read_b32 v26, v26 offset:9880
	s_waitcnt lgkmcnt(0)
	v_mul_f32_e32 v25, v25, v26
	ds_write_b32 v3, v25
.LBB118_686:
	s_or_b64 exec, exec, s[10:11]
	s_waitcnt lgkmcnt(0)
	s_barrier
	s_and_saveexec_b64 s[10:11], s[34:35]
	s_cbranch_execz .LBB118_688
; %bb.687:
	v_mov_b32_e32 v26, 0
	ds_read_b32 v26, v26 offset:9884
	ds_read_b32 v27, v3
	s_waitcnt lgkmcnt(0)
	v_fmac_f32_e32 v25, v26, v27
.LBB118_688:
	s_or_b64 exec, exec, s[10:11]
	s_barrier
	s_and_saveexec_b64 s[10:11], s[34:35]
	s_cbranch_execz .LBB118_690
; %bb.689:
	v_mov_b32_e32 v26, 0
	ds_read_b32 v26, v26 offset:10140
	s_waitcnt lgkmcnt(0)
	v_mul_f32_e32 v25, v25, v26
	ds_write_b32 v3, v25
.LBB118_690:
	s_or_b64 exec, exec, s[10:11]
	s_waitcnt lgkmcnt(0)
	s_barrier
	s_barrier
	s_and_saveexec_b64 s[10:11], s[0:1]
; %bb.691:
	v_xor_b32_e32 v25, 0x80000000, v25
	ds_write_b32 v1, v25 offset:9368
; %bb.692:
	s_or_b64 exec, exec, s[10:11]
	s_waitcnt lgkmcnt(0)
	s_barrier
	s_barrier
	s_and_saveexec_b64 s[10:11], vcc
	s_cbranch_execz .LBB118_694
; %bb.693:
	v_mov_b32_e32 v27, 0
	ds_read_b64 v[25:26], v27 offset:9880
	ds_read_b32 v28, v27 offset:10140
	s_waitcnt lgkmcnt(0)
	v_mul_f32_e32 v25, v25, v28
	v_mul_f32_e32 v25, v26, v25
	ds_write_b32 v27, v25 offset:9884
.LBB118_694:
	s_or_b64 exec, exec, s[10:11]
	v_mov_b32_e32 v25, 0
	s_waitcnt lgkmcnt(0)
	s_barrier
	s_and_saveexec_b64 s[12:13], s[14:15]
	s_cbranch_execz .LBB118_704
; %bb.695:
	v_mul_u32_u24_e32 v26, 0x104, v19
	ds_read_b32 v25, v15 offset:8352
	ds_read_b32 v27, v26 offset:8320
	v_cmp_gt_u32_e64 s[10:11], 56, v4
	s_waitcnt lgkmcnt(0)
	v_fma_f32 v25, v25, v27, 0
	s_and_saveexec_b64 s[16:17], s[10:11]
	s_cbranch_execnz .LBB118_1172
; %bb.696:
	s_or_b64 exec, exec, s[16:17]
	v_cmp_gt_u32_e64 s[10:11], 48, v4
	s_and_saveexec_b64 s[16:17], s[10:11]
	s_cbranch_execnz .LBB118_1173
.LBB118_697:
	s_or_b64 exec, exec, s[16:17]
	v_cmp_gt_u32_e64 s[10:11], 40, v4
	s_and_saveexec_b64 s[16:17], s[10:11]
	s_cbranch_execnz .LBB118_1174
.LBB118_698:
	s_or_b64 exec, exec, s[16:17]
	v_cmp_gt_u32_e64 s[10:11], 32, v4
	s_and_saveexec_b64 s[16:17], s[10:11]
	s_cbranch_execnz .LBB118_1175
.LBB118_699:
	s_or_b64 exec, exec, s[16:17]
	v_cmp_gt_u32_e64 s[10:11], 24, v4
	s_and_saveexec_b64 s[16:17], s[10:11]
	s_cbranch_execnz .LBB118_1176
.LBB118_700:
	s_or_b64 exec, exec, s[16:17]
	v_cmp_gt_u32_e64 s[10:11], 16, v4
	s_and_saveexec_b64 s[16:17], s[10:11]
	s_cbranch_execnz .LBB118_1177
.LBB118_701:
	s_or_b64 exec, exec, s[16:17]
	v_cmp_gt_u32_e64 s[10:11], 8, v4
	s_and_saveexec_b64 s[16:17], s[10:11]
	s_cbranch_execz .LBB118_703
.LBB118_702:
	v_lshlrev_b32_e32 v26, 2, v0
	v_mov_b32_e32 v27, 0
	ds_read_b32 v26, v26 offset:10144
	ds_read_b32 v27, v27 offset:8348
	s_waitcnt lgkmcnt(0)
	v_fmac_f32_e32 v25, v26, v27
.LBB118_703:
	s_or_b64 exec, exec, s[16:17]
	v_xor_b32_e32 v25, 0x80000000, v25
.LBB118_704:
	s_or_b64 exec, exec, s[12:13]
	s_and_saveexec_b64 s[10:11], s[50:51]
	s_cbranch_execz .LBB118_706
; %bb.705:
	v_mov_b32_e32 v26, 0
	ds_read_b32 v26, v26 offset:10400
	s_waitcnt lgkmcnt(0)
	v_mul_f32_e32 v25, v25, v26
	ds_write_b32 v17, v25
.LBB118_706:
	s_or_b64 exec, exec, s[10:11]
	s_waitcnt lgkmcnt(0)
	s_barrier
	s_and_saveexec_b64 s[10:11], s[52:53]
	s_cbranch_execz .LBB118_708
; %bb.707:
	ds_read_b32 v26, v16 offset:10400
	ds_read_b32 v27, v17
	s_waitcnt lgkmcnt(0)
	v_fmac_f32_e32 v25, v26, v27
.LBB118_708:
	s_or_b64 exec, exec, s[10:11]
	s_barrier
	s_and_saveexec_b64 s[10:11], s[54:55]
	s_cbranch_execz .LBB118_710
; %bb.709:
	v_mov_b32_e32 v26, 0
	ds_read_b32 v26, v26 offset:10660
	s_waitcnt lgkmcnt(0)
	v_mul_f32_e32 v25, v25, v26
	ds_write_b32 v17, v25
.LBB118_710:
	s_or_b64 exec, exec, s[10:11]
	s_waitcnt lgkmcnt(0)
	s_barrier
	s_and_saveexec_b64 s[10:11], s[56:57]
	s_cbranch_execz .LBB118_712
; %bb.711:
	ds_read_b32 v26, v16 offset:10656
	ds_read_b32 v27, v17
	s_waitcnt lgkmcnt(0)
	v_fmac_f32_e32 v25, v26, v27
.LBB118_712:
	s_or_b64 exec, exec, s[10:11]
	s_barrier
	;; [unrolled: 22-line block ×6, first 2 shown]
	s_and_saveexec_b64 s[10:11], s[76:77]
	s_cbranch_execz .LBB118_730
; %bb.729:
	v_mov_b32_e32 v26, 0
	ds_read_b32 v26, v26 offset:11960
	s_waitcnt lgkmcnt(0)
	v_mul_f32_e32 v25, v25, v26
	ds_write_b32 v17, v25
.LBB118_730:
	s_or_b64 exec, exec, s[10:11]
	s_waitcnt lgkmcnt(0)
	s_barrier
	s_and_saveexec_b64 s[10:11], s[58:59]
	s_cbranch_execz .LBB118_732
; %bb.731:
	v_mov_b32_e32 v26, 0
	ds_read_b32 v26, v26 offset:11964
	ds_read_b32 v27, v17
	s_waitcnt lgkmcnt(0)
	v_fmac_f32_e32 v25, v26, v27
.LBB118_732:
	s_or_b64 exec, exec, s[10:11]
	s_barrier
	s_and_saveexec_b64 s[10:11], s[58:59]
	s_cbranch_execz .LBB118_734
; %bb.733:
	v_mov_b32_e32 v26, 0
	ds_read_b32 v26, v26 offset:12220
	s_waitcnt lgkmcnt(0)
	v_mul_f32_e32 v25, v25, v26
	ds_write_b32 v17, v25
.LBB118_734:
	s_or_b64 exec, exec, s[10:11]
	s_waitcnt lgkmcnt(0)
	s_barrier
	s_barrier
	s_and_saveexec_b64 s[10:11], s[14:15]
; %bb.735:
	v_xor_b32_e32 v25, 0x80000000, v25
	ds_write_b32 v15, v25 offset:8352
; %bb.736:
	s_or_b64 exec, exec, s[10:11]
	s_waitcnt lgkmcnt(0)
	s_barrier
	s_barrier
	s_and_saveexec_b64 s[10:11], vcc
	s_cbranch_execz .LBB118_738
; %bb.737:
	v_mov_b32_e32 v27, 0
	ds_read_b64 v[25:26], v27 offset:10400
	ds_read_b32 v28, v27 offset:10660
	s_waitcnt lgkmcnt(0)
	v_mul_f32_e32 v25, v25, v28
	v_mul_f32_e32 v25, v26, v25
	ds_write_b32 v27, v25 offset:10404
.LBB118_738:
	s_or_b64 exec, exec, s[10:11]
	v_mov_b32_e32 v25, 0
	s_waitcnt lgkmcnt(0)
	s_barrier
	s_and_saveexec_b64 s[12:13], s[0:1]
	s_cbranch_execz .LBB118_742
; %bb.739:
	v_mul_u32_u24_e32 v25, 0x104, v5
	ds_read_b32 v27, v1 offset:10408
	ds_read_b32 v25, v25 offset:10400
	v_mov_b32_e32 v26, 0
	v_cmp_gt_u32_e64 s[10:11], 2, v4
	s_waitcnt lgkmcnt(0)
	v_fma_f32 v25, v27, v25, 0
	s_and_saveexec_b64 s[16:17], s[10:11]
	s_cbranch_execz .LBB118_741
; %bb.740:
	v_lshlrev_b32_e32 v27, 2, v0
	ds_read_b32 v27, v27 offset:10664
	ds_read_b32 v26, v26 offset:10404
	s_waitcnt lgkmcnt(0)
	v_fmac_f32_e32 v25, v27, v26
.LBB118_741:
	s_or_b64 exec, exec, s[16:17]
	v_xor_b32_e32 v25, 0x80000000, v25
.LBB118_742:
	s_or_b64 exec, exec, s[12:13]
	s_and_saveexec_b64 s[10:11], s[36:37]
	s_cbranch_execz .LBB118_744
; %bb.743:
	v_mov_b32_e32 v26, 0
	ds_read_b32 v26, v26 offset:10920
	s_waitcnt lgkmcnt(0)
	v_mul_f32_e32 v25, v25, v26
	ds_write_b32 v3, v25
.LBB118_744:
	s_or_b64 exec, exec, s[10:11]
	s_waitcnt lgkmcnt(0)
	s_barrier
	s_and_saveexec_b64 s[10:11], s[34:35]
	s_cbranch_execz .LBB118_746
; %bb.745:
	v_mov_b32_e32 v26, 0
	ds_read_b32 v26, v26 offset:10924
	ds_read_b32 v27, v3
	s_waitcnt lgkmcnt(0)
	v_fmac_f32_e32 v25, v26, v27
.LBB118_746:
	s_or_b64 exec, exec, s[10:11]
	s_barrier
	s_and_saveexec_b64 s[10:11], s[34:35]
	s_cbranch_execz .LBB118_748
; %bb.747:
	v_mov_b32_e32 v26, 0
	ds_read_b32 v26, v26 offset:11180
	s_waitcnt lgkmcnt(0)
	v_mul_f32_e32 v25, v25, v26
	ds_write_b32 v3, v25
.LBB118_748:
	s_or_b64 exec, exec, s[10:11]
	s_waitcnt lgkmcnt(0)
	s_barrier
	s_barrier
	s_and_saveexec_b64 s[10:11], s[0:1]
; %bb.749:
	v_xor_b32_e32 v25, 0x80000000, v25
	ds_write_b32 v1, v25 offset:10408
; %bb.750:
	s_or_b64 exec, exec, s[10:11]
	s_waitcnt lgkmcnt(0)
	s_barrier
	s_barrier
	s_and_saveexec_b64 s[10:11], vcc
	s_cbranch_execz .LBB118_752
; %bb.751:
	v_mov_b32_e32 v27, 0
	ds_read_b64 v[25:26], v27 offset:10920
	ds_read_b32 v28, v27 offset:11180
	s_waitcnt lgkmcnt(0)
	v_mul_f32_e32 v25, v25, v28
	v_mul_f32_e32 v25, v26, v25
	ds_write_b32 v27, v25 offset:10924
.LBB118_752:
	s_or_b64 exec, exec, s[10:11]
	v_mov_b32_e32 v25, 0
	s_waitcnt lgkmcnt(0)
	s_barrier
	s_and_saveexec_b64 s[12:13], s[2:3]
	s_cbranch_execz .LBB118_758
; %bb.753:
	v_mul_u32_u24_e32 v26, 0x104, v14
	ds_read_b32 v25, v6 offset:10416
	ds_read_b32 v27, v26 offset:10400
	v_cmp_gt_u32_e64 s[10:11], 12, v4
	s_waitcnt lgkmcnt(0)
	v_fma_f32 v25, v25, v27, 0
	s_and_saveexec_b64 s[16:17], s[10:11]
	s_cbranch_execnz .LBB118_1178
; %bb.754:
	s_or_b64 exec, exec, s[16:17]
	v_cmp_gt_u32_e64 s[10:11], 8, v4
	s_and_saveexec_b64 s[16:17], s[10:11]
	s_cbranch_execnz .LBB118_1179
.LBB118_755:
	s_or_b64 exec, exec, s[16:17]
	v_cmp_gt_u32_e64 s[10:11], 4, v4
	s_and_saveexec_b64 s[16:17], s[10:11]
	s_cbranch_execz .LBB118_757
.LBB118_756:
	v_lshlrev_b32_e32 v26, 2, v0
	v_mov_b32_e32 v27, 0
	ds_read_b32 v26, v26 offset:11184
	ds_read_b32 v27, v27 offset:10412
	s_waitcnt lgkmcnt(0)
	v_fmac_f32_e32 v25, v26, v27
.LBB118_757:
	s_or_b64 exec, exec, s[16:17]
	v_xor_b32_e32 v25, 0x80000000, v25
.LBB118_758:
	s_or_b64 exec, exec, s[12:13]
	s_and_saveexec_b64 s[10:11], s[40:41]
	s_cbranch_execz .LBB118_760
; %bb.759:
	v_mov_b32_e32 v26, 0
	ds_read_b32 v26, v26 offset:11440
	s_waitcnt lgkmcnt(0)
	v_mul_f32_e32 v25, v25, v26
	ds_write_b32 v12, v25
.LBB118_760:
	s_or_b64 exec, exec, s[10:11]
	s_waitcnt lgkmcnt(0)
	s_barrier
	s_and_saveexec_b64 s[10:11], s[42:43]
	s_cbranch_execz .LBB118_762
; %bb.761:
	ds_read_b32 v26, v11 offset:11440
	ds_read_b32 v27, v12
	s_waitcnt lgkmcnt(0)
	v_fmac_f32_e32 v25, v26, v27
.LBB118_762:
	s_or_b64 exec, exec, s[10:11]
	s_barrier
	s_and_saveexec_b64 s[10:11], s[44:45]
	s_cbranch_execz .LBB118_764
; %bb.763:
	v_mov_b32_e32 v26, 0
	ds_read_b32 v26, v26 offset:11700
	s_waitcnt lgkmcnt(0)
	v_mul_f32_e32 v25, v25, v26
	ds_write_b32 v12, v25
.LBB118_764:
	s_or_b64 exec, exec, s[10:11]
	s_waitcnt lgkmcnt(0)
	s_barrier
	s_and_saveexec_b64 s[10:11], s[46:47]
	s_cbranch_execz .LBB118_766
; %bb.765:
	ds_read_b32 v26, v11 offset:11696
	ds_read_b32 v27, v12
	s_waitcnt lgkmcnt(0)
	v_fmac_f32_e32 v25, v26, v27
.LBB118_766:
	s_or_b64 exec, exec, s[10:11]
	s_barrier
	s_and_saveexec_b64 s[10:11], s[48:49]
	s_cbranch_execz .LBB118_768
; %bb.767:
	v_mov_b32_e32 v26, 0
	ds_read_b32 v26, v26 offset:11960
	s_waitcnt lgkmcnt(0)
	v_mul_f32_e32 v25, v25, v26
	ds_write_b32 v12, v25
.LBB118_768:
	s_or_b64 exec, exec, s[10:11]
	s_waitcnt lgkmcnt(0)
	s_barrier
	s_and_saveexec_b64 s[10:11], s[38:39]
	s_cbranch_execz .LBB118_770
; %bb.769:
	v_mov_b32_e32 v26, 0
	ds_read_b32 v26, v26 offset:11964
	ds_read_b32 v27, v12
	s_waitcnt lgkmcnt(0)
	v_fmac_f32_e32 v25, v26, v27
.LBB118_770:
	s_or_b64 exec, exec, s[10:11]
	s_barrier
	s_and_saveexec_b64 s[10:11], s[38:39]
	s_cbranch_execz .LBB118_772
; %bb.771:
	v_mov_b32_e32 v26, 0
	ds_read_b32 v26, v26 offset:12220
	s_waitcnt lgkmcnt(0)
	v_mul_f32_e32 v25, v25, v26
	ds_write_b32 v12, v25
.LBB118_772:
	s_or_b64 exec, exec, s[10:11]
	s_waitcnt lgkmcnt(0)
	s_barrier
	s_barrier
	s_and_saveexec_b64 s[10:11], s[2:3]
; %bb.773:
	v_xor_b32_e32 v25, 0x80000000, v25
	ds_write_b32 v6, v25 offset:10416
; %bb.774:
	s_or_b64 exec, exec, s[10:11]
	s_waitcnt lgkmcnt(0)
	s_barrier
	s_barrier
	s_and_saveexec_b64 s[10:11], vcc
	s_cbranch_execz .LBB118_776
; %bb.775:
	v_mov_b32_e32 v27, 0
	ds_read_b64 v[25:26], v27 offset:11440
	ds_read_b32 v28, v27 offset:11700
	s_waitcnt lgkmcnt(0)
	v_mul_f32_e32 v25, v25, v28
	v_mul_f32_e32 v25, v26, v25
	ds_write_b32 v27, v25 offset:11444
.LBB118_776:
	s_or_b64 exec, exec, s[10:11]
	v_mov_b32_e32 v25, 0
	s_waitcnt lgkmcnt(0)
	s_barrier
	s_and_saveexec_b64 s[12:13], s[0:1]
	s_cbranch_execz .LBB118_780
; %bb.777:
	v_mul_u32_u24_e32 v25, 0x104, v5
	ds_read_b32 v27, v1 offset:11448
	ds_read_b32 v25, v25 offset:11440
	v_mov_b32_e32 v26, 0
	v_cmp_gt_u32_e64 s[10:11], 2, v4
	s_waitcnt lgkmcnt(0)
	v_fma_f32 v25, v27, v25, 0
	s_and_saveexec_b64 s[16:17], s[10:11]
	s_cbranch_execz .LBB118_779
; %bb.778:
	v_lshlrev_b32_e32 v27, 2, v0
	ds_read_b32 v27, v27 offset:11704
	ds_read_b32 v26, v26 offset:11444
	s_waitcnt lgkmcnt(0)
	v_fmac_f32_e32 v25, v27, v26
.LBB118_779:
	s_or_b64 exec, exec, s[16:17]
	v_xor_b32_e32 v25, 0x80000000, v25
.LBB118_780:
	s_or_b64 exec, exec, s[12:13]
	s_and_saveexec_b64 s[10:11], s[36:37]
	s_cbranch_execz .LBB118_782
; %bb.781:
	v_mov_b32_e32 v26, 0
	ds_read_b32 v26, v26 offset:11960
	s_waitcnt lgkmcnt(0)
	v_mul_f32_e32 v25, v25, v26
	ds_write_b32 v3, v25
.LBB118_782:
	s_or_b64 exec, exec, s[10:11]
	s_waitcnt lgkmcnt(0)
	s_barrier
	s_and_saveexec_b64 s[10:11], s[34:35]
	s_cbranch_execz .LBB118_784
; %bb.783:
	v_mov_b32_e32 v26, 0
	ds_read_b32 v26, v26 offset:11964
	ds_read_b32 v27, v3
	s_waitcnt lgkmcnt(0)
	v_fmac_f32_e32 v25, v26, v27
.LBB118_784:
	s_or_b64 exec, exec, s[10:11]
	s_barrier
	s_and_saveexec_b64 s[10:11], s[34:35]
	s_cbranch_execz .LBB118_786
; %bb.785:
	v_mov_b32_e32 v26, 0
	ds_read_b32 v26, v26 offset:12220
	s_waitcnt lgkmcnt(0)
	v_mul_f32_e32 v25, v25, v26
	ds_write_b32 v3, v25
.LBB118_786:
	s_or_b64 exec, exec, s[10:11]
	s_waitcnt lgkmcnt(0)
	s_barrier
	s_barrier
	s_and_saveexec_b64 s[10:11], s[0:1]
; %bb.787:
	v_xor_b32_e32 v25, 0x80000000, v25
	ds_write_b32 v1, v25 offset:11448
; %bb.788:
	s_or_b64 exec, exec, s[10:11]
	s_waitcnt lgkmcnt(0)
	s_barrier
	s_barrier
	s_and_saveexec_b64 s[10:11], vcc
	s_cbranch_execz .LBB118_790
; %bb.789:
	v_mov_b32_e32 v27, 0
	ds_read_b64 v[25:26], v27 offset:11960
	ds_read_b32 v28, v27 offset:12220
	s_waitcnt lgkmcnt(0)
	v_mul_f32_e32 v25, v25, v28
	v_mul_f32_e32 v25, v26, v25
	ds_write_b32 v27, v25 offset:11964
.LBB118_790:
	s_or_b64 exec, exec, s[10:11]
	v_mov_b32_e32 v25, 0
	s_waitcnt lgkmcnt(0)
	s_barrier
	s_and_saveexec_b64 s[12:13], s[8:9]
	s_cbranch_execz .LBB118_818
; %bb.791:
	v_mul_u32_u24_e32 v26, 0x104, v24
	ds_read_b32 v25, v20 offset:8384
	ds_read_b32 v27, v26 offset:8320
	s_movk_i32 s10, 0xf0
	v_cmp_gt_u32_e64 s[10:11], s10, v4
	s_waitcnt lgkmcnt(0)
	v_fma_f32 v25, v25, v27, 0
	s_and_saveexec_b64 s[16:17], s[10:11]
	s_cbranch_execz .LBB118_793
; %bb.792:
	v_lshlrev_b32_e32 v27, 2, v24
	v_sub_u32_e32 v27, v26, v27
	v_lshl_add_u32 v27, v21, 2, v27
	ds_read_b32 v27, v27 offset:8640
	ds_read_b32 v28, v26 offset:8324
	s_waitcnt lgkmcnt(0)
	v_fmac_f32_e32 v25, v27, v28
.LBB118_793:
	s_or_b64 exec, exec, s[16:17]
	s_movk_i32 s10, 0xe0
	v_cmp_gt_u32_e64 s[10:11], s10, v4
	s_and_saveexec_b64 s[16:17], s[10:11]
	s_cbranch_execz .LBB118_795
; %bb.794:
	v_lshlrev_b32_e32 v27, 2, v24
	v_sub_u32_e32 v27, v26, v27
	v_lshl_add_u32 v27, v21, 2, v27
	ds_read_b32 v27, v27 offset:8896
	ds_read_b32 v28, v26 offset:8328
	s_waitcnt lgkmcnt(0)
	v_fmac_f32_e32 v25, v27, v28
.LBB118_795:
	s_or_b64 exec, exec, s[16:17]
	s_movk_i32 s10, 0xd0
	v_cmp_gt_u32_e64 s[10:11], s10, v4
	;; [unrolled: 14-line block ×7, first 2 shown]
	s_and_saveexec_b64 s[16:17], s[10:11]
	s_cbranch_execz .LBB118_807
; %bb.806:
	ds_read_b32 v24, v20 offset:10432
	ds_read_b32 v27, v26 offset:8352
	s_waitcnt lgkmcnt(0)
	v_fmac_f32_e32 v25, v24, v27
.LBB118_807:
	s_or_b64 exec, exec, s[16:17]
	s_movk_i32 s10, 0x70
	v_cmp_gt_u32_e64 s[10:11], s10, v4
	s_and_saveexec_b64 s[16:17], s[10:11]
	s_cbranch_execz .LBB118_809
; %bb.808:
	v_lshlrev_b32_e32 v24, 2, v21
	v_lshl_add_u32 v24, v23, 2, v24
	ds_read_b32 v24, v24 offset:10688
	ds_read_b32 v27, v26 offset:8356
	s_waitcnt lgkmcnt(0)
	v_fmac_f32_e32 v25, v24, v27
.LBB118_809:
	s_or_b64 exec, exec, s[16:17]
	s_movk_i32 s10, 0x60
	v_cmp_gt_u32_e64 s[10:11], s10, v4
	s_and_saveexec_b64 s[16:17], s[10:11]
	s_cbranch_execz .LBB118_811
; %bb.810:
	v_lshlrev_b32_e32 v24, 2, v21
	v_lshl_add_u32 v24, v23, 2, v24
	ds_read_b32 v24, v24 offset:10944
	ds_read_b32 v27, v26 offset:8360
	s_waitcnt lgkmcnt(0)
	v_fmac_f32_e32 v25, v24, v27
.LBB118_811:
	s_or_b64 exec, exec, s[16:17]
	s_movk_i32 s10, 0x50
	v_cmp_gt_u32_e64 s[10:11], s10, v4
	s_and_saveexec_b64 s[16:17], s[10:11]
	s_cbranch_execnz .LBB118_1180
; %bb.812:
	s_or_b64 exec, exec, s[16:17]
	v_cmp_gt_u32_e64 s[10:11], 64, v4
	s_and_saveexec_b64 s[16:17], s[10:11]
	s_cbranch_execnz .LBB118_1181
.LBB118_813:
	s_or_b64 exec, exec, s[16:17]
	v_cmp_gt_u32_e64 s[10:11], 48, v4
	s_and_saveexec_b64 s[16:17], s[10:11]
	s_cbranch_execnz .LBB118_1182
.LBB118_814:
	s_or_b64 exec, exec, s[16:17]
	v_cmp_gt_u32_e64 s[10:11], 32, v4
	s_and_saveexec_b64 s[16:17], s[10:11]
	s_cbranch_execnz .LBB118_1183
.LBB118_815:
	s_or_b64 exec, exec, s[16:17]
	v_cmp_gt_u32_e64 s[10:11], 16, v4
	s_and_saveexec_b64 s[16:17], s[10:11]
	s_cbranch_execz .LBB118_817
.LBB118_816:
	v_lshlrev_b32_e32 v23, 2, v0
	v_mov_b32_e32 v24, 0
	ds_read_b32 v23, v23 offset:12224
	ds_read_b32 v24, v24 offset:8380
	s_waitcnt lgkmcnt(0)
	v_fmac_f32_e32 v25, v23, v24
.LBB118_817:
	s_or_b64 exec, exec, s[16:17]
	v_xor_b32_e32 v25, 0x80000000, v25
.LBB118_818:
	s_or_b64 exec, exec, s[12:13]
	s_mov_b64 s[10:11], exec
	v_readlane_b32 s12, v33, 1
	v_readlane_b32 s13, v33, 2
	s_and_b64 s[12:13], s[10:11], s[12:13]
	s_mov_b64 exec, s[12:13]
	s_cbranch_execz .LBB118_820
; %bb.819:
	v_mov_b32_e32 v23, 0
	ds_read_b32 v23, v23 offset:12480
	s_waitcnt lgkmcnt(0)
	v_mul_f32_e32 v25, v25, v23
	ds_write_b32 v22, v25
.LBB118_820:
	s_or_b64 exec, exec, s[10:11]
	s_waitcnt lgkmcnt(0)
	s_barrier
	s_mov_b64 s[10:11], exec
	v_readlane_b32 s12, v33, 3
	v_readlane_b32 s13, v33, 4
	s_and_b64 s[12:13], s[10:11], s[12:13]
	s_mov_b64 exec, s[12:13]
	s_cbranch_execz .LBB118_822
; %bb.821:
	v_lshlrev_b32_e32 v23, 2, v21
	ds_read_b32 v23, v23 offset:12480
	ds_read_b32 v24, v22
	s_waitcnt lgkmcnt(0)
	v_fmac_f32_e32 v25, v23, v24
.LBB118_822:
	s_or_b64 exec, exec, s[10:11]
	s_barrier
	s_mov_b64 s[10:11], exec
	v_readlane_b32 s12, v33, 5
	v_readlane_b32 s13, v33, 6
	s_and_b64 s[12:13], s[10:11], s[12:13]
	s_mov_b64 exec, s[12:13]
	s_cbranch_execz .LBB118_824
; %bb.823:
	v_mov_b32_e32 v23, 0
	ds_read_b32 v23, v23 offset:12740
	s_waitcnt lgkmcnt(0)
	v_mul_f32_e32 v25, v25, v23
	ds_write_b32 v22, v25
.LBB118_824:
	s_or_b64 exec, exec, s[10:11]
	s_waitcnt lgkmcnt(0)
	s_barrier
	s_mov_b64 s[10:11], exec
	v_readlane_b32 s12, v33, 7
	v_readlane_b32 s13, v33, 8
	s_and_b64 s[12:13], s[10:11], s[12:13]
	s_mov_b64 exec, s[12:13]
	s_cbranch_execz .LBB118_826
; %bb.825:
	v_lshlrev_b32_e32 v23, 2, v21
	ds_read_b32 v23, v23 offset:12736
	ds_read_b32 v24, v22
	s_waitcnt lgkmcnt(0)
	v_fmac_f32_e32 v25, v23, v24
.LBB118_826:
	s_or_b64 exec, exec, s[10:11]
	s_barrier
	;; [unrolled: 31-line block ×12, first 2 shown]
	s_and_saveexec_b64 s[10:11], s[88:89]
	s_cbranch_execz .LBB118_868
; %bb.867:
	v_mov_b32_e32 v23, 0
	ds_read_b32 v23, v23 offset:15600
	s_waitcnt lgkmcnt(0)
	v_mul_f32_e32 v25, v25, v23
	ds_write_b32 v22, v25
.LBB118_868:
	s_or_b64 exec, exec, s[10:11]
	s_waitcnt lgkmcnt(0)
	s_barrier
	s_and_saveexec_b64 s[10:11], s[90:91]
	s_cbranch_execz .LBB118_870
; %bb.869:
	v_lshlrev_b32_e32 v23, 2, v21
	ds_read_b32 v23, v23 offset:15552
	ds_read_b32 v24, v22
	s_waitcnt lgkmcnt(0)
	v_fmac_f32_e32 v25, v23, v24
.LBB118_870:
	s_or_b64 exec, exec, s[10:11]
	s_barrier
	s_and_saveexec_b64 s[10:11], s[92:93]
	s_cbranch_execz .LBB118_872
; %bb.871:
	v_mov_b32_e32 v23, 0
	ds_read_b32 v23, v23 offset:15860
	s_waitcnt lgkmcnt(0)
	v_mul_f32_e32 v25, v25, v23
	ds_write_b32 v22, v25
.LBB118_872:
	s_or_b64 exec, exec, s[10:11]
	s_waitcnt lgkmcnt(0)
	s_barrier
	s_and_saveexec_b64 s[10:11], s[94:95]
	s_cbranch_execz .LBB118_874
; %bb.873:
	v_lshlrev_b32_e32 v21, 2, v21
	ds_read_b32 v21, v21 offset:15808
	ds_read_b32 v23, v22
	s_waitcnt lgkmcnt(0)
	v_fmac_f32_e32 v25, v21, v23
.LBB118_874:
	s_or_b64 exec, exec, s[10:11]
	s_barrier
	s_and_saveexec_b64 s[10:11], s[18:19]
	s_cbranch_execz .LBB118_876
; %bb.875:
	v_mov_b32_e32 v21, 0
	ds_read_b32 v21, v21 offset:16120
	s_waitcnt lgkmcnt(0)
	v_mul_f32_e32 v25, v25, v21
	ds_write_b32 v22, v25
.LBB118_876:
	s_or_b64 exec, exec, s[10:11]
	s_waitcnt lgkmcnt(0)
	s_barrier
	s_and_saveexec_b64 s[10:11], s[78:79]
	s_cbranch_execz .LBB118_878
; %bb.877:
	v_mov_b32_e32 v21, 0
	ds_read_b32 v21, v21 offset:16124
	ds_read_b32 v23, v22
	s_waitcnt lgkmcnt(0)
	v_fmac_f32_e32 v25, v21, v23
.LBB118_878:
	s_or_b64 exec, exec, s[10:11]
	s_barrier
	s_and_saveexec_b64 s[10:11], s[78:79]
	s_cbranch_execz .LBB118_880
; %bb.879:
	v_mov_b32_e32 v21, 0
	ds_read_b32 v21, v21 offset:16380
	s_waitcnt lgkmcnt(0)
	v_mul_f32_e32 v25, v25, v21
	ds_write_b32 v22, v25
.LBB118_880:
	s_or_b64 exec, exec, s[10:11]
	s_waitcnt lgkmcnt(0)
	s_barrier
	s_barrier
	s_and_saveexec_b64 s[10:11], s[8:9]
; %bb.881:
	v_xor_b32_e32 v21, 0x80000000, v25
	ds_write_b32 v20, v21 offset:8384
; %bb.882:
	s_or_b64 exec, exec, s[10:11]
	s_waitcnt lgkmcnt(0)
	s_barrier
	s_barrier
	s_and_saveexec_b64 s[8:9], vcc
	s_cbranch_execz .LBB118_884
; %bb.883:
	v_mov_b32_e32 v22, 0
	ds_read_b64 v[20:21], v22 offset:12480
	ds_read_b32 v23, v22 offset:12740
	s_waitcnt lgkmcnt(0)
	v_mul_f32_e32 v20, v20, v23
	v_mul_f32_e32 v20, v21, v20
	ds_write_b32 v22, v20 offset:12484
.LBB118_884:
	s_or_b64 exec, exec, s[8:9]
	v_mov_b32_e32 v20, 0
	s_waitcnt lgkmcnt(0)
	s_barrier
	s_and_saveexec_b64 s[10:11], s[0:1]
	s_cbranch_execz .LBB118_888
; %bb.885:
	v_mul_u32_u24_e32 v20, 0x104, v5
	ds_read_b32 v22, v1 offset:12488
	ds_read_b32 v20, v20 offset:12480
	v_mov_b32_e32 v21, 0
	v_cmp_gt_u32_e64 s[8:9], 2, v4
	s_waitcnt lgkmcnt(0)
	v_fma_f32 v20, v22, v20, 0
	s_and_saveexec_b64 s[12:13], s[8:9]
	s_cbranch_execz .LBB118_887
; %bb.886:
	v_lshlrev_b32_e32 v22, 2, v0
	ds_read_b32 v22, v22 offset:12744
	ds_read_b32 v21, v21 offset:12484
	s_waitcnt lgkmcnt(0)
	v_fmac_f32_e32 v20, v22, v21
.LBB118_887:
	s_or_b64 exec, exec, s[12:13]
	v_xor_b32_e32 v20, 0x80000000, v20
.LBB118_888:
	s_or_b64 exec, exec, s[10:11]
	s_and_saveexec_b64 s[8:9], s[36:37]
	s_cbranch_execz .LBB118_890
; %bb.889:
	v_mov_b32_e32 v21, 0
	ds_read_b32 v21, v21 offset:13000
	s_waitcnt lgkmcnt(0)
	v_mul_f32_e32 v20, v20, v21
	ds_write_b32 v3, v20
.LBB118_890:
	s_or_b64 exec, exec, s[8:9]
	s_waitcnt lgkmcnt(0)
	s_barrier
	s_and_saveexec_b64 s[8:9], s[34:35]
	s_cbranch_execz .LBB118_892
; %bb.891:
	v_mov_b32_e32 v21, 0
	ds_read_b32 v21, v21 offset:13004
	ds_read_b32 v22, v3
	s_waitcnt lgkmcnt(0)
	v_fmac_f32_e32 v20, v21, v22
.LBB118_892:
	s_or_b64 exec, exec, s[8:9]
	s_barrier
	s_and_saveexec_b64 s[8:9], s[34:35]
	s_cbranch_execz .LBB118_894
; %bb.893:
	v_mov_b32_e32 v21, 0
	ds_read_b32 v21, v21 offset:13260
	s_waitcnt lgkmcnt(0)
	v_mul_f32_e32 v20, v20, v21
	ds_write_b32 v3, v20
.LBB118_894:
	s_or_b64 exec, exec, s[8:9]
	s_waitcnt lgkmcnt(0)
	s_barrier
	s_barrier
	s_and_saveexec_b64 s[8:9], s[0:1]
; %bb.895:
	v_xor_b32_e32 v20, 0x80000000, v20
	ds_write_b32 v1, v20 offset:12488
; %bb.896:
	s_or_b64 exec, exec, s[8:9]
	s_waitcnt lgkmcnt(0)
	s_barrier
	s_barrier
	s_and_saveexec_b64 s[8:9], vcc
	s_cbranch_execz .LBB118_898
; %bb.897:
	v_mov_b32_e32 v22, 0
	ds_read_b64 v[20:21], v22 offset:13000
	ds_read_b32 v23, v22 offset:13260
	s_waitcnt lgkmcnt(0)
	v_mul_f32_e32 v20, v20, v23
	v_mul_f32_e32 v20, v21, v20
	ds_write_b32 v22, v20 offset:13004
.LBB118_898:
	s_or_b64 exec, exec, s[8:9]
	v_mov_b32_e32 v20, 0
	s_waitcnt lgkmcnt(0)
	s_barrier
	s_and_saveexec_b64 s[10:11], s[2:3]
	s_cbranch_execz .LBB118_904
; %bb.899:
	v_mul_u32_u24_e32 v21, 0x104, v14
	ds_read_b32 v20, v6 offset:12496
	ds_read_b32 v22, v21 offset:12480
	v_cmp_gt_u32_e64 s[8:9], 12, v4
	s_waitcnt lgkmcnt(0)
	v_fma_f32 v20, v20, v22, 0
	s_and_saveexec_b64 s[12:13], s[8:9]
	s_cbranch_execnz .LBB118_1184
; %bb.900:
	s_or_b64 exec, exec, s[12:13]
	v_cmp_gt_u32_e64 s[8:9], 8, v4
	s_and_saveexec_b64 s[12:13], s[8:9]
	s_cbranch_execnz .LBB118_1185
.LBB118_901:
	s_or_b64 exec, exec, s[12:13]
	v_cmp_gt_u32_e64 s[8:9], 4, v4
	s_and_saveexec_b64 s[12:13], s[8:9]
	s_cbranch_execz .LBB118_903
.LBB118_902:
	v_lshlrev_b32_e32 v21, 2, v0
	v_mov_b32_e32 v22, 0
	ds_read_b32 v21, v21 offset:13264
	ds_read_b32 v22, v22 offset:12492
	s_waitcnt lgkmcnt(0)
	v_fmac_f32_e32 v20, v21, v22
.LBB118_903:
	s_or_b64 exec, exec, s[12:13]
	v_xor_b32_e32 v20, 0x80000000, v20
.LBB118_904:
	s_or_b64 exec, exec, s[10:11]
	s_and_saveexec_b64 s[8:9], s[40:41]
	s_cbranch_execz .LBB118_906
; %bb.905:
	v_mov_b32_e32 v21, 0
	ds_read_b32 v21, v21 offset:13520
	s_waitcnt lgkmcnt(0)
	v_mul_f32_e32 v20, v20, v21
	ds_write_b32 v12, v20
.LBB118_906:
	s_or_b64 exec, exec, s[8:9]
	s_waitcnt lgkmcnt(0)
	s_barrier
	s_and_saveexec_b64 s[8:9], s[42:43]
	s_cbranch_execz .LBB118_908
; %bb.907:
	ds_read_b32 v21, v11 offset:13520
	ds_read_b32 v22, v12
	s_waitcnt lgkmcnt(0)
	v_fmac_f32_e32 v20, v21, v22
.LBB118_908:
	s_or_b64 exec, exec, s[8:9]
	s_barrier
	s_and_saveexec_b64 s[8:9], s[44:45]
	s_cbranch_execz .LBB118_910
; %bb.909:
	v_mov_b32_e32 v21, 0
	ds_read_b32 v21, v21 offset:13780
	s_waitcnt lgkmcnt(0)
	v_mul_f32_e32 v20, v20, v21
	ds_write_b32 v12, v20
.LBB118_910:
	s_or_b64 exec, exec, s[8:9]
	s_waitcnt lgkmcnt(0)
	s_barrier
	s_and_saveexec_b64 s[8:9], s[46:47]
	s_cbranch_execz .LBB118_912
; %bb.911:
	ds_read_b32 v21, v11 offset:13776
	ds_read_b32 v22, v12
	s_waitcnt lgkmcnt(0)
	v_fmac_f32_e32 v20, v21, v22
.LBB118_912:
	s_or_b64 exec, exec, s[8:9]
	s_barrier
	s_and_saveexec_b64 s[8:9], s[48:49]
	s_cbranch_execz .LBB118_914
; %bb.913:
	v_mov_b32_e32 v21, 0
	ds_read_b32 v21, v21 offset:14040
	s_waitcnt lgkmcnt(0)
	v_mul_f32_e32 v20, v20, v21
	ds_write_b32 v12, v20
.LBB118_914:
	s_or_b64 exec, exec, s[8:9]
	s_waitcnt lgkmcnt(0)
	s_barrier
	s_and_saveexec_b64 s[8:9], s[38:39]
	s_cbranch_execz .LBB118_916
; %bb.915:
	v_mov_b32_e32 v21, 0
	ds_read_b32 v21, v21 offset:14044
	ds_read_b32 v22, v12
	s_waitcnt lgkmcnt(0)
	v_fmac_f32_e32 v20, v21, v22
.LBB118_916:
	s_or_b64 exec, exec, s[8:9]
	s_barrier
	s_and_saveexec_b64 s[8:9], s[38:39]
	s_cbranch_execz .LBB118_918
; %bb.917:
	v_mov_b32_e32 v21, 0
	ds_read_b32 v21, v21 offset:14300
	s_waitcnt lgkmcnt(0)
	v_mul_f32_e32 v20, v20, v21
	ds_write_b32 v12, v20
.LBB118_918:
	s_or_b64 exec, exec, s[8:9]
	s_waitcnt lgkmcnt(0)
	s_barrier
	s_barrier
	s_and_saveexec_b64 s[8:9], s[2:3]
; %bb.919:
	v_xor_b32_e32 v20, 0x80000000, v20
	ds_write_b32 v6, v20 offset:12496
; %bb.920:
	s_or_b64 exec, exec, s[8:9]
	s_waitcnt lgkmcnt(0)
	s_barrier
	s_barrier
	s_and_saveexec_b64 s[8:9], vcc
	s_cbranch_execz .LBB118_922
; %bb.921:
	v_mov_b32_e32 v22, 0
	ds_read_b64 v[20:21], v22 offset:13520
	ds_read_b32 v23, v22 offset:13780
	s_waitcnt lgkmcnt(0)
	v_mul_f32_e32 v20, v20, v23
	v_mul_f32_e32 v20, v21, v20
	ds_write_b32 v22, v20 offset:13524
.LBB118_922:
	s_or_b64 exec, exec, s[8:9]
	v_mov_b32_e32 v20, 0
	s_waitcnt lgkmcnt(0)
	s_barrier
	s_and_saveexec_b64 s[10:11], s[0:1]
	s_cbranch_execz .LBB118_926
; %bb.923:
	v_mul_u32_u24_e32 v20, 0x104, v5
	ds_read_b32 v22, v1 offset:13528
	ds_read_b32 v20, v20 offset:13520
	v_mov_b32_e32 v21, 0
	v_cmp_gt_u32_e64 s[8:9], 2, v4
	s_waitcnt lgkmcnt(0)
	v_fma_f32 v20, v22, v20, 0
	s_and_saveexec_b64 s[12:13], s[8:9]
	s_cbranch_execz .LBB118_925
; %bb.924:
	v_lshlrev_b32_e32 v22, 2, v0
	ds_read_b32 v22, v22 offset:13784
	ds_read_b32 v21, v21 offset:13524
	s_waitcnt lgkmcnt(0)
	v_fmac_f32_e32 v20, v22, v21
.LBB118_925:
	s_or_b64 exec, exec, s[12:13]
	v_xor_b32_e32 v20, 0x80000000, v20
.LBB118_926:
	s_or_b64 exec, exec, s[10:11]
	s_and_saveexec_b64 s[8:9], s[36:37]
	s_cbranch_execz .LBB118_928
; %bb.927:
	v_mov_b32_e32 v21, 0
	ds_read_b32 v21, v21 offset:14040
	s_waitcnt lgkmcnt(0)
	v_mul_f32_e32 v20, v20, v21
	ds_write_b32 v3, v20
.LBB118_928:
	s_or_b64 exec, exec, s[8:9]
	s_waitcnt lgkmcnt(0)
	s_barrier
	s_and_saveexec_b64 s[8:9], s[34:35]
	s_cbranch_execz .LBB118_930
; %bb.929:
	v_mov_b32_e32 v21, 0
	ds_read_b32 v21, v21 offset:14044
	ds_read_b32 v22, v3
	s_waitcnt lgkmcnt(0)
	v_fmac_f32_e32 v20, v21, v22
.LBB118_930:
	s_or_b64 exec, exec, s[8:9]
	s_barrier
	s_and_saveexec_b64 s[8:9], s[34:35]
	s_cbranch_execz .LBB118_932
; %bb.931:
	v_mov_b32_e32 v21, 0
	ds_read_b32 v21, v21 offset:14300
	s_waitcnt lgkmcnt(0)
	v_mul_f32_e32 v20, v20, v21
	ds_write_b32 v3, v20
.LBB118_932:
	s_or_b64 exec, exec, s[8:9]
	s_waitcnt lgkmcnt(0)
	s_barrier
	s_barrier
	s_and_saveexec_b64 s[8:9], s[0:1]
; %bb.933:
	v_xor_b32_e32 v20, 0x80000000, v20
	ds_write_b32 v1, v20 offset:13528
; %bb.934:
	s_or_b64 exec, exec, s[8:9]
	s_waitcnt lgkmcnt(0)
	s_barrier
	s_barrier
	s_and_saveexec_b64 s[8:9], vcc
	s_cbranch_execz .LBB118_936
; %bb.935:
	v_mov_b32_e32 v22, 0
	ds_read_b64 v[20:21], v22 offset:14040
	ds_read_b32 v23, v22 offset:14300
	s_waitcnt lgkmcnt(0)
	v_mul_f32_e32 v20, v20, v23
	v_mul_f32_e32 v20, v21, v20
	ds_write_b32 v22, v20 offset:14044
.LBB118_936:
	s_or_b64 exec, exec, s[8:9]
	v_mov_b32_e32 v20, 0
	s_waitcnt lgkmcnt(0)
	s_barrier
	s_and_saveexec_b64 s[10:11], s[14:15]
	s_cbranch_execz .LBB118_946
; %bb.937:
	v_mul_u32_u24_e32 v21, 0x104, v19
	ds_read_b32 v20, v15 offset:12512
	ds_read_b32 v22, v21 offset:12480
	v_cmp_gt_u32_e64 s[8:9], 56, v4
	s_waitcnt lgkmcnt(0)
	v_fma_f32 v20, v20, v22, 0
	s_and_saveexec_b64 s[12:13], s[8:9]
	s_cbranch_execnz .LBB118_1186
; %bb.938:
	s_or_b64 exec, exec, s[12:13]
	v_cmp_gt_u32_e64 s[8:9], 48, v4
	s_and_saveexec_b64 s[12:13], s[8:9]
	s_cbranch_execnz .LBB118_1187
.LBB118_939:
	s_or_b64 exec, exec, s[12:13]
	v_cmp_gt_u32_e64 s[8:9], 40, v4
	s_and_saveexec_b64 s[12:13], s[8:9]
	s_cbranch_execnz .LBB118_1188
.LBB118_940:
	s_or_b64 exec, exec, s[12:13]
	v_cmp_gt_u32_e64 s[8:9], 32, v4
	s_and_saveexec_b64 s[12:13], s[8:9]
	s_cbranch_execnz .LBB118_1189
.LBB118_941:
	s_or_b64 exec, exec, s[12:13]
	v_cmp_gt_u32_e64 s[8:9], 24, v4
	s_and_saveexec_b64 s[12:13], s[8:9]
	s_cbranch_execnz .LBB118_1190
.LBB118_942:
	s_or_b64 exec, exec, s[12:13]
	v_cmp_gt_u32_e64 s[8:9], 16, v4
	s_and_saveexec_b64 s[12:13], s[8:9]
	s_cbranch_execnz .LBB118_1191
.LBB118_943:
	s_or_b64 exec, exec, s[12:13]
	v_cmp_gt_u32_e64 s[8:9], 8, v4
	s_and_saveexec_b64 s[12:13], s[8:9]
	s_cbranch_execz .LBB118_945
.LBB118_944:
	v_lshlrev_b32_e32 v18, 2, v0
	v_mov_b32_e32 v19, 0
	ds_read_b32 v18, v18 offset:14304
	ds_read_b32 v19, v19 offset:12508
	s_waitcnt lgkmcnt(0)
	v_fmac_f32_e32 v20, v18, v19
.LBB118_945:
	s_or_b64 exec, exec, s[12:13]
	v_xor_b32_e32 v20, 0x80000000, v20
.LBB118_946:
	s_or_b64 exec, exec, s[10:11]
	s_and_saveexec_b64 s[8:9], s[50:51]
	s_cbranch_execz .LBB118_948
; %bb.947:
	v_mov_b32_e32 v18, 0
	ds_read_b32 v18, v18 offset:14560
	s_waitcnt lgkmcnt(0)
	v_mul_f32_e32 v20, v20, v18
	ds_write_b32 v17, v20
.LBB118_948:
	s_or_b64 exec, exec, s[8:9]
	s_waitcnt lgkmcnt(0)
	s_barrier
	s_and_saveexec_b64 s[8:9], s[52:53]
	v_readlane_b32 s50, v33, 0
	s_cbranch_execz .LBB118_950
; %bb.949:
	ds_read_b32 v18, v16 offset:14560
	ds_read_b32 v19, v17
	s_waitcnt lgkmcnt(0)
	v_fmac_f32_e32 v20, v18, v19
.LBB118_950:
	s_or_b64 exec, exec, s[8:9]
	s_barrier
	s_and_saveexec_b64 s[8:9], s[54:55]
	s_cbranch_execz .LBB118_952
; %bb.951:
	v_mov_b32_e32 v18, 0
	ds_read_b32 v18, v18 offset:14820
	s_waitcnt lgkmcnt(0)
	v_mul_f32_e32 v20, v20, v18
	ds_write_b32 v17, v20
.LBB118_952:
	s_or_b64 exec, exec, s[8:9]
	s_waitcnt lgkmcnt(0)
	s_barrier
	s_and_saveexec_b64 s[8:9], s[56:57]
	s_cbranch_execz .LBB118_954
; %bb.953:
	ds_read_b32 v18, v16 offset:14816
	ds_read_b32 v19, v17
	s_waitcnt lgkmcnt(0)
	v_fmac_f32_e32 v20, v18, v19
.LBB118_954:
	s_or_b64 exec, exec, s[8:9]
	s_barrier
	s_and_saveexec_b64 s[8:9], s[60:61]
	s_cbranch_execz .LBB118_956
; %bb.955:
	v_mov_b32_e32 v18, 0
	ds_read_b32 v18, v18 offset:15080
	s_waitcnt lgkmcnt(0)
	v_mul_f32_e32 v20, v20, v18
	ds_write_b32 v17, v20
.LBB118_956:
	s_or_b64 exec, exec, s[8:9]
	s_waitcnt lgkmcnt(0)
	s_barrier
	s_and_saveexec_b64 s[8:9], s[62:63]
	;; [unrolled: 22-line block ×6, first 2 shown]
	s_cbranch_execz .LBB118_974
; %bb.973:
	v_mov_b32_e32 v16, 0
	ds_read_b32 v16, v16 offset:16124
	ds_read_b32 v18, v17
	s_waitcnt lgkmcnt(0)
	v_fmac_f32_e32 v20, v16, v18
.LBB118_974:
	s_or_b64 exec, exec, s[8:9]
	s_barrier
	s_and_saveexec_b64 s[8:9], s[58:59]
	s_cbranch_execz .LBB118_976
; %bb.975:
	v_mov_b32_e32 v16, 0
	ds_read_b32 v16, v16 offset:16380
	s_waitcnt lgkmcnt(0)
	v_mul_f32_e32 v20, v20, v16
	ds_write_b32 v17, v20
.LBB118_976:
	s_or_b64 exec, exec, s[8:9]
	s_waitcnt lgkmcnt(0)
	s_barrier
	s_barrier
	s_and_saveexec_b64 s[8:9], s[14:15]
; %bb.977:
	v_xor_b32_e32 v16, 0x80000000, v20
	ds_write_b32 v15, v16 offset:12512
; %bb.978:
	s_or_b64 exec, exec, s[8:9]
	s_waitcnt lgkmcnt(0)
	s_barrier
	s_barrier
	s_and_saveexec_b64 s[8:9], vcc
	s_cbranch_execz .LBB118_980
; %bb.979:
	v_mov_b32_e32 v17, 0
	ds_read_b64 v[15:16], v17 offset:14560
	ds_read_b32 v18, v17 offset:14820
	s_waitcnt lgkmcnt(0)
	v_mul_f32_e32 v15, v15, v18
	v_mul_f32_e32 v15, v16, v15
	ds_write_b32 v17, v15 offset:14564
.LBB118_980:
	s_or_b64 exec, exec, s[8:9]
	v_mov_b32_e32 v15, 0
	s_waitcnt lgkmcnt(0)
	s_barrier
	s_and_saveexec_b64 s[10:11], s[0:1]
	s_cbranch_execz .LBB118_984
; %bb.981:
	v_mul_u32_u24_e32 v15, 0x104, v5
	ds_read_b32 v17, v1 offset:14568
	ds_read_b32 v15, v15 offset:14560
	v_mov_b32_e32 v16, 0
	v_cmp_gt_u32_e64 s[8:9], 2, v4
	s_waitcnt lgkmcnt(0)
	v_fma_f32 v15, v17, v15, 0
	s_and_saveexec_b64 s[12:13], s[8:9]
	s_cbranch_execz .LBB118_983
; %bb.982:
	v_lshlrev_b32_e32 v17, 2, v0
	ds_read_b32 v17, v17 offset:14824
	ds_read_b32 v16, v16 offset:14564
	s_waitcnt lgkmcnt(0)
	v_fmac_f32_e32 v15, v17, v16
.LBB118_983:
	s_or_b64 exec, exec, s[12:13]
	v_xor_b32_e32 v15, 0x80000000, v15
.LBB118_984:
	s_or_b64 exec, exec, s[10:11]
	s_and_saveexec_b64 s[8:9], s[36:37]
	s_cbranch_execz .LBB118_986
; %bb.985:
	v_mov_b32_e32 v16, 0
	ds_read_b32 v16, v16 offset:15080
	s_waitcnt lgkmcnt(0)
	v_mul_f32_e32 v15, v15, v16
	ds_write_b32 v3, v15
.LBB118_986:
	s_or_b64 exec, exec, s[8:9]
	s_waitcnt lgkmcnt(0)
	s_barrier
	s_and_saveexec_b64 s[8:9], s[34:35]
	s_cbranch_execz .LBB118_988
; %bb.987:
	v_mov_b32_e32 v16, 0
	ds_read_b32 v16, v16 offset:15084
	ds_read_b32 v17, v3
	s_waitcnt lgkmcnt(0)
	v_fmac_f32_e32 v15, v16, v17
.LBB118_988:
	s_or_b64 exec, exec, s[8:9]
	s_barrier
	s_and_saveexec_b64 s[8:9], s[34:35]
	s_cbranch_execz .LBB118_990
; %bb.989:
	v_mov_b32_e32 v16, 0
	ds_read_b32 v16, v16 offset:15340
	s_waitcnt lgkmcnt(0)
	v_mul_f32_e32 v15, v15, v16
	ds_write_b32 v3, v15
.LBB118_990:
	s_or_b64 exec, exec, s[8:9]
	s_waitcnt lgkmcnt(0)
	s_barrier
	s_barrier
	s_and_saveexec_b64 s[8:9], s[0:1]
; %bb.991:
	v_xor_b32_e32 v15, 0x80000000, v15
	ds_write_b32 v1, v15 offset:14568
; %bb.992:
	s_or_b64 exec, exec, s[8:9]
	s_waitcnt lgkmcnt(0)
	s_barrier
	s_barrier
	s_and_saveexec_b64 s[8:9], vcc
	s_cbranch_execz .LBB118_994
; %bb.993:
	v_mov_b32_e32 v17, 0
	ds_read_b64 v[15:16], v17 offset:15080
	ds_read_b32 v18, v17 offset:15340
	s_waitcnt lgkmcnt(0)
	v_mul_f32_e32 v15, v15, v18
	v_mul_f32_e32 v15, v16, v15
	ds_write_b32 v17, v15 offset:15084
.LBB118_994:
	s_or_b64 exec, exec, s[8:9]
	v_mov_b32_e32 v15, 0
	s_waitcnt lgkmcnt(0)
	s_barrier
	s_and_saveexec_b64 s[10:11], s[2:3]
	s_cbranch_execz .LBB118_1000
; %bb.995:
	v_mul_u32_u24_e32 v16, 0x104, v14
	ds_read_b32 v15, v6 offset:14576
	ds_read_b32 v17, v16 offset:14560
	v_cmp_gt_u32_e64 s[8:9], 12, v4
	s_waitcnt lgkmcnt(0)
	v_fma_f32 v15, v15, v17, 0
	s_and_saveexec_b64 s[12:13], s[8:9]
	s_cbranch_execnz .LBB118_1192
; %bb.996:
	s_or_b64 exec, exec, s[12:13]
	v_cmp_gt_u32_e64 s[8:9], 8, v4
	s_and_saveexec_b64 s[12:13], s[8:9]
	s_cbranch_execnz .LBB118_1193
.LBB118_997:
	s_or_b64 exec, exec, s[12:13]
	v_cmp_gt_u32_e64 s[8:9], 4, v4
	s_and_saveexec_b64 s[12:13], s[8:9]
	s_cbranch_execz .LBB118_999
.LBB118_998:
	v_lshlrev_b32_e32 v13, 2, v0
	v_mov_b32_e32 v14, 0
	ds_read_b32 v13, v13 offset:15344
	ds_read_b32 v14, v14 offset:14572
	s_waitcnt lgkmcnt(0)
	v_fmac_f32_e32 v15, v13, v14
.LBB118_999:
	s_or_b64 exec, exec, s[12:13]
	v_xor_b32_e32 v15, 0x80000000, v15
.LBB118_1000:
	s_or_b64 exec, exec, s[10:11]
	s_and_saveexec_b64 s[8:9], s[40:41]
	s_cbranch_execz .LBB118_1002
; %bb.1001:
	v_mov_b32_e32 v13, 0
	ds_read_b32 v13, v13 offset:15600
	s_waitcnt lgkmcnt(0)
	v_mul_f32_e32 v15, v15, v13
	ds_write_b32 v12, v15
.LBB118_1002:
	s_or_b64 exec, exec, s[8:9]
	s_waitcnt lgkmcnt(0)
	s_barrier
	s_and_saveexec_b64 s[8:9], s[42:43]
	s_cbranch_execz .LBB118_1004
; %bb.1003:
	ds_read_b32 v13, v11 offset:15600
	ds_read_b32 v14, v12
	s_waitcnt lgkmcnt(0)
	v_fmac_f32_e32 v15, v13, v14
.LBB118_1004:
	s_or_b64 exec, exec, s[8:9]
	s_barrier
	s_and_saveexec_b64 s[8:9], s[44:45]
	s_cbranch_execz .LBB118_1006
; %bb.1005:
	v_mov_b32_e32 v13, 0
	ds_read_b32 v13, v13 offset:15860
	s_waitcnt lgkmcnt(0)
	v_mul_f32_e32 v15, v15, v13
	ds_write_b32 v12, v15
.LBB118_1006:
	s_or_b64 exec, exec, s[8:9]
	s_waitcnt lgkmcnt(0)
	s_barrier
	s_and_saveexec_b64 s[8:9], s[46:47]
	s_cbranch_execz .LBB118_1008
; %bb.1007:
	ds_read_b32 v11, v11 offset:15856
	ds_read_b32 v13, v12
	s_waitcnt lgkmcnt(0)
	v_fmac_f32_e32 v15, v11, v13
.LBB118_1008:
	s_or_b64 exec, exec, s[8:9]
	s_barrier
	s_and_saveexec_b64 s[8:9], s[48:49]
	s_cbranch_execz .LBB118_1010
; %bb.1009:
	v_mov_b32_e32 v11, 0
	ds_read_b32 v11, v11 offset:16120
	s_waitcnt lgkmcnt(0)
	v_mul_f32_e32 v15, v15, v11
	ds_write_b32 v12, v15
.LBB118_1010:
	s_or_b64 exec, exec, s[8:9]
	s_waitcnt lgkmcnt(0)
	s_barrier
	s_and_saveexec_b64 s[8:9], s[38:39]
	s_cbranch_execz .LBB118_1012
; %bb.1011:
	v_mov_b32_e32 v11, 0
	ds_read_b32 v11, v11 offset:16124
	ds_read_b32 v13, v12
	s_waitcnt lgkmcnt(0)
	v_fmac_f32_e32 v15, v11, v13
.LBB118_1012:
	s_or_b64 exec, exec, s[8:9]
	s_barrier
	s_and_saveexec_b64 s[8:9], s[38:39]
	s_cbranch_execz .LBB118_1014
; %bb.1013:
	v_mov_b32_e32 v11, 0
	ds_read_b32 v11, v11 offset:16380
	s_waitcnt lgkmcnt(0)
	v_mul_f32_e32 v15, v15, v11
	ds_write_b32 v12, v15
.LBB118_1014:
	s_or_b64 exec, exec, s[8:9]
	s_waitcnt lgkmcnt(0)
	s_barrier
	s_barrier
	s_and_saveexec_b64 s[8:9], s[2:3]
; %bb.1015:
	v_xor_b32_e32 v11, 0x80000000, v15
	ds_write_b32 v6, v11 offset:14576
; %bb.1016:
	s_or_b64 exec, exec, s[8:9]
	s_waitcnt lgkmcnt(0)
	s_barrier
	s_barrier
	s_and_saveexec_b64 s[2:3], vcc
	s_cbranch_execz .LBB118_1018
; %bb.1017:
	v_mov_b32_e32 v6, 0
	ds_read_b64 v[11:12], v6 offset:15600
	ds_read_b32 v13, v6 offset:15860
	s_waitcnt lgkmcnt(0)
	v_mul_f32_e32 v11, v11, v13
	v_mul_f32_e32 v11, v12, v11
	ds_write_b32 v6, v11 offset:15604
.LBB118_1018:
	s_or_b64 exec, exec, s[2:3]
	v_mov_b32_e32 v6, 0
	s_waitcnt lgkmcnt(0)
	s_barrier
	s_and_saveexec_b64 s[8:9], s[0:1]
	s_cbranch_execz .LBB118_1022
; %bb.1019:
	v_mul_u32_u24_e32 v5, 0x104, v5
	ds_read_b32 v11, v1 offset:15608
	ds_read_b32 v5, v5 offset:15600
	v_mov_b32_e32 v6, 0
	v_cmp_gt_u32_e64 s[2:3], 2, v4
	s_waitcnt lgkmcnt(0)
	v_fma_f32 v5, v11, v5, 0
	s_and_saveexec_b64 s[10:11], s[2:3]
	s_cbranch_execz .LBB118_1021
; %bb.1020:
	v_lshlrev_b32_e32 v4, 2, v0
	ds_read_b32 v4, v4 offset:15864
	ds_read_b32 v6, v6 offset:15604
	s_waitcnt lgkmcnt(0)
	v_fmac_f32_e32 v5, v4, v6
.LBB118_1021:
	s_or_b64 exec, exec, s[10:11]
	v_xor_b32_e32 v6, 0x80000000, v5
.LBB118_1022:
	s_or_b64 exec, exec, s[8:9]
	s_and_saveexec_b64 s[2:3], s[36:37]
	s_cbranch_execz .LBB118_1024
; %bb.1023:
	v_mov_b32_e32 v4, 0
	ds_read_b32 v4, v4 offset:16120
	s_waitcnt lgkmcnt(0)
	v_mul_f32_e32 v6, v6, v4
	ds_write_b32 v3, v6
.LBB118_1024:
	s_or_b64 exec, exec, s[2:3]
	s_waitcnt lgkmcnt(0)
	s_barrier
	s_and_saveexec_b64 s[2:3], s[34:35]
	s_load_dwordx4 s[16:19], s[4:5], 0x30
	s_cbranch_execz .LBB118_1026
; %bb.1025:
	v_mov_b32_e32 v4, 0
	ds_read_b32 v4, v4 offset:16124
	ds_read_b32 v5, v3
	s_waitcnt lgkmcnt(0)
	v_fmac_f32_e32 v6, v4, v5
.LBB118_1026:
	s_or_b64 exec, exec, s[2:3]
	s_waitcnt lgkmcnt(0)
	s_barrier
	s_and_saveexec_b64 s[2:3], s[34:35]
	s_cbranch_execz .LBB118_1028
; %bb.1027:
	v_mov_b32_e32 v4, 0
	ds_read_b32 v4, v4 offset:16380
	s_waitcnt lgkmcnt(0)
	v_mul_f32_e32 v6, v6, v4
	ds_write_b32 v3, v6
.LBB118_1028:
	s_or_b64 exec, exec, s[2:3]
	s_waitcnt lgkmcnt(0)
	s_barrier
	s_barrier
	s_and_saveexec_b64 s[2:3], s[0:1]
; %bb.1029:
	v_xor_b32_e32 v3, 0x80000000, v6
	ds_write_b32 v1, v3 offset:15608
; %bb.1030:
	s_or_b64 exec, exec, s[2:3]
	s_waitcnt lgkmcnt(0)
	s_barrier
	s_barrier
	s_and_saveexec_b64 s[0:1], vcc
	s_cbranch_execz .LBB118_1032
; %bb.1031:
	v_mov_b32_e32 v1, 0
	ds_read_b64 v[3:4], v1 offset:16120
	ds_read_b32 v5, v1 offset:16380
	s_waitcnt lgkmcnt(0)
	v_mul_f32_e32 v3, v3, v5
	v_mul_f32_e32 v3, v4, v3
	ds_write_b32 v1, v3 offset:16124
.LBB118_1032:
	s_or_b64 exec, exec, s[0:1]
.LBB118_1033:
	s_lshl_b64 s[0:1], s[18:19], 2
	s_add_u32 s36, s28, s0
	v_cmp_le_i32_e32 vcc, s84, v0
	s_addc_u32 s37, s29, s1
	s_and_b64 s[14:15], vcc, s[26:27]
	v_cmp_eq_u32_e64 s[0:1], 0, v2
	s_xor_b64 s[2:3], s[14:15], -1
	s_and_b64 s[8:9], s[0:1], s[2:3]
	v_mov_b32_e32 v12, 0
	v_add_u32_e32 v3, s33, v0
	s_waitcnt lgkmcnt(0)
	s_barrier
	s_and_saveexec_b64 s[2:3], s[8:9]
	s_cbranch_execz .LBB118_1035
; %bb.1034:
	v_ashrrev_i32_e32 v1, 31, v3
	v_mul_lo_u32 v6, s23, v3
	v_mad_u64_u32 v[4:5], s[8:9], s22, v3, 0
	v_mul_lo_u32 v1, s22, v1
	s_load_dword s8, s[4:5], 0x28
	v_add3_u32 v5, v5, v1, v6
	v_lshlrev_b64 v[4:5], 2, v[4:5]
	v_mov_b32_e32 v1, s37
	v_add_co_u32_e32 v4, vcc, s36, v4
	v_addc_co_u32_e32 v5, vcc, v1, v5, vcc
	flat_load_dword v1, v[4:5]
	s_waitcnt vmcnt(0) lgkmcnt(0)
	v_mul_f32_e64 v12, v1, -s8
.LBB118_1035:
	s_or_b64 exec, exec, s[2:3]
	s_load_dwordx2 s[12:13], s[4:5], 0x50
	s_and_b32 s2, 0xffff, s87
	v_mad_u32_u24 v11, v2, s2, v0
	s_cmp_lt_i32 s6, 1
	v_cmp_eq_u32_e64 s[2:3], 0, v11
	s_cbranch_scc1 .LBB118_1061
; %bb.1036:
	v_mov_b32_e32 v4, 0
	v_mov_b32_e32 v5, 0x5000
	v_lshl_add_u32 v1, v11, 2, v5
	v_lshl_or_b32 v13, v2, 2, v5
	v_lshlrev_b64 v[5:6], 2, v[3:4]
	s_lshl_b64 s[4:5], s[20:21], 2
	s_waitcnt lgkmcnt(0)
	s_add_u32 s16, s12, s4
	v_cmp_gt_i32_e64 s[10:11], s7, v3
	v_mov_b32_e32 v14, s86
	v_add_co_u32_e32 v3, vcc, s85, v5
	s_mul_i32 s8, s25, 0xc0
	s_mul_hi_u32 s9, s24, 0xc0
	s_mov_b32 s38, 0
	s_addc_u32 s17, s13, s5
	v_cmp_gt_u32_e64 s[4:5], 64, v11
	s_add_i32 s39, s6, -1
	v_addc_co_u32_e32 v14, vcc, v14, v6, vcc
	s_lshl_b64 s[18:19], s[24:25], 6
	s_lshl_b64 s[28:29], s[24:25], 7
	s_add_i32 s40, s9, s8
	s_mul_i32 s41, s24, 0xc0
	v_mov_b32_e32 v15, -1
	s_branch .LBB118_1039
.LBB118_1037:                           ;   in Loop: Header=BB118_1039 Depth=1
	ds_read_b32 v5, v13 offset:192
	s_waitcnt vmcnt(0) lgkmcnt(0)
	v_fmac_f32_e32 v12, v16, v5
.LBB118_1038:                           ;   in Loop: Header=BB118_1039 Depth=1
	s_or_b64 exec, exec, s[34:35]
	s_add_i32 s38, s38, 1
	s_cmp_eq_u32 s38, s6
	s_cbranch_scc1 .LBB118_1061
.LBB118_1039:                           ; =>This Loop Header: Depth=1
                                        ;     Child Loop BB118_1041 Depth 2
	v_cmp_gt_i32_e32 vcc, s38, v15
	s_and_b64 s[34:35], s[2:3], vcc
	s_and_saveexec_b64 s[8:9], s[34:35]
	s_cbranch_execz .LBB118_1042
; %bb.1040:                             ;   in Loop: Header=BB118_1039 Depth=1
	global_load_dword v15, v4, s[16:17]
	s_waitcnt vmcnt(0)
	v_cmp_le_i32_e32 vcc, s38, v15
	s_cbranch_vccnz .LBB118_1042
.LBB118_1041:                           ;   Parent Loop BB118_1039 Depth=1
                                        ; =>  This Inner Loop Header: Depth=2
	buffer_wbinvl1_vol
	global_load_dword v15, v4, s[16:17]
	s_waitcnt vmcnt(0)
	v_cmp_gt_i32_e32 vcc, s38, v15
	s_cbranch_vccnz .LBB118_1041
.LBB118_1042:                           ;   in Loop: Header=BB118_1039 Depth=1
	s_or_b64 exec, exec, s[8:9]
	s_lshl_b32 s42, s38, 6
	buffer_wbinvl1_vol
	s_barrier
	s_and_saveexec_b64 s[8:9], s[4:5]
	s_cbranch_execz .LBB118_1046
; %bb.1043:                             ;   in Loop: Header=BB118_1039 Depth=1
	v_or_b32_e32 v6, s42, v11
	v_cmp_gt_i32_e32 vcc, s7, v6
	v_mov_b32_e32 v5, 0
	s_and_saveexec_b64 s[34:35], vcc
	s_cbranch_execz .LBB118_1045
; %bb.1044:                             ;   in Loop: Header=BB118_1039 Depth=1
	v_mad_u64_u32 v[16:17], s[44:45], s22, v6, 0
	v_mov_b32_e32 v18, s37
	v_mov_b32_e32 v5, v17
	v_mad_u64_u32 v[5:6], s[44:45], s23, v6, v[5:6]
	v_mov_b32_e32 v17, v5
	v_lshlrev_b64 v[5:6], 2, v[16:17]
	v_add_co_u32_e32 v5, vcc, s36, v5
	v_addc_co_u32_e32 v6, vcc, v18, v6, vcc
	flat_load_dword v5, v[5:6]
.LBB118_1045:                           ;   in Loop: Header=BB118_1039 Depth=1
	s_or_b64 exec, exec, s[34:35]
	s_waitcnt vmcnt(0) lgkmcnt(0)
	ds_write_b32 v1, v5
.LBB118_1046:                           ;   in Loop: Header=BB118_1039 Depth=1
	s_or_b64 exec, exec, s[8:9]
	v_add_u32_e32 v16, s42, v2
	v_mad_u64_u32 v[5:6], s[8:9], s24, v16, 0
	s_cmp_lg_u32 s38, s39
	s_waitcnt lgkmcnt(0)
	v_mad_u64_u32 v[17:18], s[8:9], s25, v16, v[6:7]
	s_cselect_b64 s[8:9], -1, 0
	s_barrier
	v_mov_b32_e32 v6, v17
	v_lshlrev_b64 v[5:6], 2, v[5:6]
	v_cndmask_b32_e64 v17, 0, 1, s[8:9]
	v_add_co_u32_e32 v5, vcc, v3, v5
	v_addc_co_u32_e32 v6, vcc, v14, v6, vcc
	v_cmp_gt_i32_e32 vcc, s7, v16
	s_and_b64 s[42:43], s[10:11], vcc
	v_cmp_ne_u32_e64 s[8:9], 1, v17
	s_and_saveexec_b64 s[34:35], s[42:43]
	s_cbranch_execz .LBB118_1050
; %bb.1047:                             ;   in Loop: Header=BB118_1039 Depth=1
	s_and_b64 vcc, exec, s[8:9]
	v_mov_b32_e32 v17, v7
	s_cbranch_vccnz .LBB118_1049
; %bb.1048:                             ;   in Loop: Header=BB118_1039 Depth=1
	flat_load_dword v17, v[5:6]
.LBB118_1049:                           ;   in Loop: Header=BB118_1039 Depth=1
	ds_read_b32 v18, v13
	s_waitcnt vmcnt(0) lgkmcnt(0)
	v_fmac_f32_e32 v12, v17, v18
.LBB118_1050:                           ;   in Loop: Header=BB118_1039 Depth=1
	s_or_b64 exec, exec, s[34:35]
	v_add_u32_e32 v17, 16, v16
	v_cmp_gt_i32_e32 vcc, s7, v17
	s_and_b64 s[42:43], s[10:11], vcc
	s_and_saveexec_b64 s[34:35], s[42:43]
	s_cbranch_execz .LBB118_1054
; %bb.1051:                             ;   in Loop: Header=BB118_1039 Depth=1
	s_and_b64 vcc, exec, s[8:9]
	v_mov_b32_e32 v17, v8
	s_cbranch_vccnz .LBB118_1053
; %bb.1052:                             ;   in Loop: Header=BB118_1039 Depth=1
	v_mov_b32_e32 v18, s19
	v_add_co_u32_e32 v17, vcc, s18, v5
	v_addc_co_u32_e32 v18, vcc, v6, v18, vcc
	flat_load_dword v17, v[17:18]
.LBB118_1053:                           ;   in Loop: Header=BB118_1039 Depth=1
	ds_read_b32 v18, v13 offset:64
	s_waitcnt vmcnt(0) lgkmcnt(0)
	v_fmac_f32_e32 v12, v17, v18
.LBB118_1054:                           ;   in Loop: Header=BB118_1039 Depth=1
	s_or_b64 exec, exec, s[34:35]
	v_add_u32_e32 v17, 32, v16
	v_cmp_gt_i32_e32 vcc, s7, v17
	s_and_b64 s[42:43], s[10:11], vcc
	s_and_saveexec_b64 s[34:35], s[42:43]
	s_cbranch_execz .LBB118_1058
; %bb.1055:                             ;   in Loop: Header=BB118_1039 Depth=1
	s_and_b64 vcc, exec, s[8:9]
	v_mov_b32_e32 v17, v10
	s_cbranch_vccnz .LBB118_1057
; %bb.1056:                             ;   in Loop: Header=BB118_1039 Depth=1
	v_mov_b32_e32 v18, s29
	v_add_co_u32_e32 v17, vcc, s28, v5
	v_addc_co_u32_e32 v18, vcc, v6, v18, vcc
	flat_load_dword v17, v[17:18]
.LBB118_1057:                           ;   in Loop: Header=BB118_1039 Depth=1
	ds_read_b32 v18, v13 offset:128
	s_waitcnt vmcnt(0) lgkmcnt(0)
	v_fmac_f32_e32 v12, v17, v18
.LBB118_1058:                           ;   in Loop: Header=BB118_1039 Depth=1
	s_or_b64 exec, exec, s[34:35]
	v_add_u32_e32 v16, 48, v16
	v_cmp_gt_i32_e32 vcc, s7, v16
	s_and_b64 s[42:43], s[10:11], vcc
	s_and_saveexec_b64 s[34:35], s[42:43]
	s_cbranch_execz .LBB118_1038
; %bb.1059:                             ;   in Loop: Header=BB118_1039 Depth=1
	s_and_b64 vcc, exec, s[8:9]
	v_mov_b32_e32 v16, v9
	s_cbranch_vccnz .LBB118_1037
; %bb.1060:                             ;   in Loop: Header=BB118_1039 Depth=1
	v_mov_b32_e32 v16, s40
	v_add_co_u32_e32 v5, vcc, s41, v5
	v_addc_co_u32_e32 v6, vcc, v6, v16, vcc
	flat_load_dword v16, v[5:6]
	s_branch .LBB118_1037
.LBB118_1061:
	v_lshl_add_u32 v1, v2, 6, v0
	s_xor_b64 s[2:3], s[26:27], -1
	s_xor_b64 s[4:5], s[30:31], -1
	v_lshlrev_b32_e32 v1, 2, v1
	ds_write_b32 v1, v12 offset:16384
	s_waitcnt lgkmcnt(0)
	s_barrier
	s_and_saveexec_b64 s[6:7], s[0:1]
	s_cbranch_execz .LBB118_1063
; %bb.1062:
	v_lshlrev_b32_e32 v15, 2, v0
	ds_read2st64_b32 v[3:4], v15 offset0:65 offset1:66
	ds_read2st64_b32 v[5:6], v15 offset0:67 offset1:68
	ds_read2st64_b32 v[7:8], v15 offset0:69 offset1:70
	ds_read2st64_b32 v[9:10], v15 offset0:71 offset1:72
	ds_read2st64_b32 v[13:14], v15 offset0:73 offset1:74
	s_waitcnt lgkmcnt(4)
	v_add_f32_e32 v3, v12, v3
	v_add_f32_e32 v3, v3, v4
	s_waitcnt lgkmcnt(3)
	v_add_f32_e32 v3, v3, v5
	v_add_f32_e32 v3, v3, v6
	;; [unrolled: 3-line block ×4, first 2 shown]
	ds_read2st64_b32 v[3:4], v15 offset0:75 offset1:76
	ds_read2st64_b32 v[5:6], v15 offset0:77 offset1:78
	ds_read_b32 v8, v15 offset:20224
	s_waitcnt lgkmcnt(3)
	v_add_f32_e32 v7, v7, v13
	v_add_f32_e32 v7, v7, v14
	s_waitcnt lgkmcnt(2)
	v_add_f32_e32 v3, v7, v3
	v_add_f32_e32 v3, v3, v4
	s_waitcnt lgkmcnt(1)
	v_add_f32_e32 v3, v3, v5
	v_add_f32_e32 v3, v3, v6
	s_waitcnt lgkmcnt(0)
	v_add_f32_e32 v3, v3, v8
	v_cndmask_b32_e64 v12, -v3, 0, s[14:15]
.LBB118_1063:
	s_or_b64 exec, exec, s[6:7]
	s_andn2_b64 vcc, exec, s[4:5]
	s_cbranch_vccnz .LBB118_1076
; %bb.1064:
	v_mov_b32_e32 v3, 0x5000
	v_lshl_or_b32 v4, v2, 2, v3
	s_and_saveexec_b64 s[4:5], s[0:1]
; %bb.1065:
	v_lshl_add_u32 v3, v0, 2, v4
	ds_write_b32 v3, v12
; %bb.1066:
	s_or_b64 exec, exec, s[4:5]
	v_cmp_ge_u32_e32 vcc, v0, v2
	v_mov_b32_e32 v3, 0
	s_waitcnt lgkmcnt(0)
	s_barrier
	s_and_saveexec_b64 s[4:5], vcc
	s_cbranch_execz .LBB118_1068
; %bb.1067:
	ds_read_b32 v3, v1
	ds_read_b32 v5, v4
	s_waitcnt lgkmcnt(0)
	v_fma_f32 v3, v3, v5, 0
.LBB118_1068:
	s_or_b64 exec, exec, s[4:5]
	v_add_u32_e32 v5, 16, v2
	v_cmp_ge_u32_e32 vcc, v0, v5
	s_and_saveexec_b64 s[4:5], vcc
	s_cbranch_execz .LBB118_1070
; %bb.1069:
	ds_read_b32 v5, v1 offset:4096
	ds_read_b32 v6, v4 offset:64
	s_waitcnt lgkmcnt(0)
	v_fmac_f32_e32 v3, v5, v6
.LBB118_1070:
	s_or_b64 exec, exec, s[4:5]
	v_add_u32_e32 v5, 32, v2
	v_cmp_ge_u32_e32 vcc, v0, v5
	s_and_saveexec_b64 s[4:5], vcc
	s_cbranch_execz .LBB118_1072
; %bb.1071:
	ds_read_b32 v5, v1 offset:8192
	ds_read_b32 v6, v4 offset:128
	s_waitcnt lgkmcnt(0)
	v_fmac_f32_e32 v3, v5, v6
.LBB118_1072:
	s_or_b64 exec, exec, s[4:5]
	v_add_u32_e32 v2, 48, v2
	v_add_u32_e32 v5, 0x4000, v1
	v_cmp_ge_u32_e32 vcc, v0, v2
	s_and_saveexec_b64 s[4:5], vcc
	s_cbranch_execz .LBB118_1074
; %bb.1073:
	ds_read_b32 v1, v1 offset:12288
	ds_read_b32 v2, v4 offset:192
	s_waitcnt lgkmcnt(0)
	v_fmac_f32_e32 v3, v1, v2
.LBB118_1074:
	s_or_b64 exec, exec, s[4:5]
	s_mov_b64 s[6:7], 0
	s_mov_b64 s[4:5], 0
	ds_write_b32 v5, v3
	s_waitcnt lgkmcnt(0)
	s_barrier
                                        ; implicit-def: $vgpr4
                                        ; implicit-def: $vgpr1_vgpr2
	s_and_saveexec_b64 s[8:9], s[0:1]
	s_cbranch_execz .LBB118_1133
; %bb.1075:
	v_lshlrev_b32_e32 v10, 2, v0
	ds_read2st64_b32 v[1:2], v10 offset0:65 offset1:66
	ds_read2st64_b32 v[4:5], v10 offset0:67 offset1:68
	;; [unrolled: 1-line block ×4, first 2 shown]
	s_mov_b64 s[4:5], exec
	s_waitcnt lgkmcnt(3)
	v_add_f32_e32 v1, v3, v1
	v_add_f32_e32 v1, v2, v1
	s_waitcnt lgkmcnt(2)
	v_add_f32_e32 v1, v4, v1
	v_add_f32_e32 v1, v5, v1
	ds_read2st64_b32 v[2:3], v10 offset0:73 offset1:74
	s_waitcnt lgkmcnt(2)
	v_add_f32_e32 v1, v6, v1
	v_add_f32_e32 v1, v7, v1
	s_waitcnt lgkmcnt(1)
	v_add_f32_e32 v1, v8, v1
	v_add_f32_e32 v1, v9, v1
	ds_read2st64_b32 v[4:5], v10 offset0:75 offset1:76
	ds_read2st64_b32 v[6:7], v10 offset0:77 offset1:78
	ds_read_b32 v8, v10 offset:20224
	v_add_u32_e32 v10, s33, v11
	s_waitcnt lgkmcnt(3)
	v_add_f32_e32 v9, v2, v1
	v_mad_u64_u32 v[1:2], s[10:11], s22, v10, 0
	v_add_f32_e32 v3, v3, v9
	s_waitcnt lgkmcnt(2)
	v_add_f32_e32 v3, v4, v3
	v_add_f32_e32 v4, v5, v3
	v_mad_u64_u32 v[2:3], s[10:11], s23, v10, v[2:3]
	s_waitcnt lgkmcnt(1)
	v_add_f32_e32 v3, v6, v4
	v_add_f32_e32 v3, v7, v3
	s_waitcnt lgkmcnt(0)
	v_add_f32_e32 v4, v8, v3
	s_or_b64 exec, exec, s[8:9]
	s_and_b64 vcc, exec, s[6:7]
	s_cbranch_vccnz .LBB118_1077
	s_branch .LBB118_1134
.LBB118_1076:
	s_mov_b64 s[4:5], 0
                                        ; implicit-def: $vgpr4
                                        ; implicit-def: $vgpr1_vgpr2
	s_cbranch_execz .LBB118_1134
.LBB118_1077:
	v_mul_u32_u24_e32 v1, 0x104, v0
	v_lshlrev_b32_e32 v2, 8, v0
	v_sub_u32_e32 v2, v1, v2
	s_mov_b32 s8, 0
	v_mov_b32_e32 v3, 0
	v_mov_b32_e32 v4, v0
	s_branch .LBB118_1079
.LBB118_1078:                           ;   in Loop: Header=BB118_1079 Depth=1
	s_or_b64 exec, exec, s[6:7]
	s_add_i32 s8, s8, 4
	v_add_u32_e32 v2, 0x400, v2
	s_cmp_lg_u32 s8, 64
	v_add_u32_e32 v4, -4, v4
	s_barrier
	s_cbranch_scc0 .LBB118_1095
.LBB118_1079:                           ; =>This Inner Loop Header: Depth=1
	v_cmp_eq_u32_e32 vcc, 0, v4
	s_and_b64 s[10:11], s[0:1], vcc
	s_and_saveexec_b64 s[6:7], s[10:11]
	s_cbranch_execz .LBB118_1081
; %bb.1080:                             ;   in Loop: Header=BB118_1079 Depth=1
	ds_read_b32 v5, v1
	s_waitcnt lgkmcnt(0)
	v_mul_f32_e32 v12, v12, v5
	ds_write_b32 v3, v12 offset:20736
.LBB118_1081:                           ;   in Loop: Header=BB118_1079 Depth=1
	s_or_b64 exec, exec, s[6:7]
	v_cmp_lt_u32_e32 vcc, s8, v0
	s_and_b64 s[10:11], s[0:1], vcc
	s_waitcnt lgkmcnt(0)
	s_barrier
	s_and_saveexec_b64 s[6:7], s[10:11]
	s_cbranch_execz .LBB118_1083
; %bb.1082:                             ;   in Loop: Header=BB118_1079 Depth=1
	ds_read_b32 v5, v2
	ds_read_b32 v6, v3 offset:20736
	s_waitcnt lgkmcnt(0)
	v_fmac_f32_e32 v12, v5, v6
.LBB118_1083:                           ;   in Loop: Header=BB118_1079 Depth=1
	s_or_b64 exec, exec, s[6:7]
	s_or_b32 s9, s8, 1
	v_cmp_eq_u32_e32 vcc, s9, v0
	s_and_b64 s[10:11], s[0:1], vcc
	s_barrier
	s_and_saveexec_b64 s[6:7], s[10:11]
	s_cbranch_execz .LBB118_1085
; %bb.1084:                             ;   in Loop: Header=BB118_1079 Depth=1
	ds_read_b32 v5, v1
	s_waitcnt lgkmcnt(0)
	v_mul_f32_e32 v12, v12, v5
	ds_write_b32 v3, v12 offset:20736
.LBB118_1085:                           ;   in Loop: Header=BB118_1079 Depth=1
	s_or_b64 exec, exec, s[6:7]
	v_cmp_lt_u32_e32 vcc, s9, v0
	s_and_b64 s[10:11], s[0:1], vcc
	s_waitcnt lgkmcnt(0)
	s_barrier
	s_and_saveexec_b64 s[6:7], s[10:11]
	s_cbranch_execz .LBB118_1087
; %bb.1086:                             ;   in Loop: Header=BB118_1079 Depth=1
	ds_read_b32 v5, v2 offset:256
	ds_read_b32 v6, v3 offset:20736
	s_waitcnt lgkmcnt(0)
	v_fmac_f32_e32 v12, v5, v6
.LBB118_1087:                           ;   in Loop: Header=BB118_1079 Depth=1
	s_or_b64 exec, exec, s[6:7]
	s_or_b32 s9, s8, 2
	v_cmp_eq_u32_e32 vcc, s9, v0
	s_and_b64 s[10:11], s[0:1], vcc
	s_barrier
	s_and_saveexec_b64 s[6:7], s[10:11]
	s_cbranch_execz .LBB118_1089
; %bb.1088:                             ;   in Loop: Header=BB118_1079 Depth=1
	ds_read_b32 v5, v1
	s_waitcnt lgkmcnt(0)
	v_mul_f32_e32 v12, v12, v5
	ds_write_b32 v3, v12 offset:20736
.LBB118_1089:                           ;   in Loop: Header=BB118_1079 Depth=1
	s_or_b64 exec, exec, s[6:7]
	v_cmp_lt_u32_e32 vcc, s9, v0
	s_and_b64 s[10:11], s[0:1], vcc
	s_waitcnt lgkmcnt(0)
	s_barrier
	s_and_saveexec_b64 s[6:7], s[10:11]
	s_cbranch_execz .LBB118_1091
; %bb.1090:                             ;   in Loop: Header=BB118_1079 Depth=1
	ds_read_b32 v5, v2 offset:512
	ds_read_b32 v6, v3 offset:20736
	s_waitcnt lgkmcnt(0)
	v_fmac_f32_e32 v12, v5, v6
.LBB118_1091:                           ;   in Loop: Header=BB118_1079 Depth=1
	s_or_b64 exec, exec, s[6:7]
	s_or_b32 s9, s8, 3
	v_cmp_eq_u32_e32 vcc, s9, v0
	s_and_b64 s[10:11], s[0:1], vcc
	s_barrier
	s_and_saveexec_b64 s[6:7], s[10:11]
	s_cbranch_execz .LBB118_1093
; %bb.1092:                             ;   in Loop: Header=BB118_1079 Depth=1
	ds_read_b32 v5, v1
	s_waitcnt lgkmcnt(0)
	v_mul_f32_e32 v12, v12, v5
	ds_write_b32 v3, v12 offset:20736
.LBB118_1093:                           ;   in Loop: Header=BB118_1079 Depth=1
	s_or_b64 exec, exec, s[6:7]
	v_cmp_lt_u32_e32 vcc, s9, v0
	s_and_b64 s[10:11], s[0:1], vcc
	s_waitcnt lgkmcnt(0)
	s_barrier
	s_and_saveexec_b64 s[6:7], s[10:11]
	s_cbranch_execz .LBB118_1078
; %bb.1094:                             ;   in Loop: Header=BB118_1079 Depth=1
	ds_read_b32 v5, v2 offset:768
	ds_read_b32 v6, v3 offset:20736
	s_waitcnt lgkmcnt(0)
	v_fmac_f32_e32 v12, v5, v6
	s_branch .LBB118_1078
.LBB118_1095:
	s_and_b64 vcc, exec, s[2:3]
	s_cbranch_vccz .LBB118_1135
; %bb.1096:
	s_and_b64 s[2:3], s[0:1], exec
	s_cbranch_execz .LBB118_1136
	s_branch .LBB118_1137
.LBB118_1097:
	v_cmp_ne_u32_e32 vcc, v0, v2
	s_and_saveexec_b64 s[8:9], vcc
	s_xor_b64 s[8:9], exec, s[8:9]
; %bb.1098:
	v_or_b32_e32 v1, v2, v0
	v_cmp_gt_u32_e32 vcc, 64, v1
	s_and_b64 s[2:3], vcc, exec
                                        ; implicit-def: $vgpr5_vgpr6
; %bb.1099:
	s_or_saveexec_b64 s[8:9], s[8:9]
	v_mov_b32_e32 v1, 0
	s_xor_b64 exec, exec, s[8:9]
	s_cbranch_execz .LBB118_1101
; %bb.1100:
	v_lshlrev_b64 v[5:6], 2, v[5:6]
	v_mov_b32_e32 v1, s86
	v_add_co_u32_e32 v5, vcc, s85, v5
	v_addc_co_u32_e32 v6, vcc, v1, v6, vcc
	flat_load_dword v1, v[5:6]
	s_or_b64 s[2:3], s[2:3], exec
	s_waitcnt vmcnt(0) lgkmcnt(0)
	v_div_scale_f32 v5, s[10:11], v1, v1, 1.0
	v_div_scale_f32 v6, vcc, 1.0, v1, 1.0
	v_rcp_f32_e32 v11, v5
	v_fma_f32 v12, -v5, v11, 1.0
	v_fmac_f32_e32 v11, v12, v11
	v_mul_f32_e32 v12, v6, v11
	v_fma_f32 v13, -v5, v12, v6
	v_fmac_f32_e32 v12, v13, v11
	v_fma_f32 v5, -v5, v12, v6
	v_div_fmas_f32 v5, v5, v11, v12
	v_div_fixup_f32 v1, v5, v1, 1.0
.LBB118_1101:
	s_or_b64 exec, exec, s[8:9]
	s_and_b64 s[2:3], s[2:3], exec
                                        ; implicit-def: $vgpr5_vgpr6
	s_andn2_saveexec_b64 s[0:1], s[0:1]
	s_cbranch_execz .LBB118_14
.LBB118_1102:
	v_lshlrev_b64 v[5:6], 2, v[5:6]
	v_mov_b32_e32 v1, s86
	v_add_co_u32_e32 v5, vcc, s85, v5
	v_addc_co_u32_e32 v6, vcc, v1, v6, vcc
	flat_load_dword v1, v[5:6]
	s_or_b64 s[2:3], s[2:3], exec
	s_waitcnt vmcnt(0) lgkmcnt(0)
	v_xor_b32_e32 v1, 0x80000000, v1
	s_or_b64 exec, exec, s[0:1]
	s_and_saveexec_b64 s[0:1], s[2:3]
	s_cbranch_execnz .LBB118_15
	s_branch .LBB118_16
.LBB118_1103:
	v_cmp_ne_u32_e32 vcc, v0, v1
	s_and_saveexec_b64 s[8:9], vcc
	s_xor_b64 s[8:9], exec, s[8:9]
; %bb.1104:
	v_or_b32_e32 v5, v1, v0
	v_cmp_gt_u32_e32 vcc, 64, v5
	s_and_b64 s[2:3], vcc, exec
                                        ; implicit-def: $vgpr5_vgpr6
; %bb.1105:
	s_or_saveexec_b64 s[8:9], s[8:9]
	v_mov_b32_e32 v11, 0
	s_xor_b64 exec, exec, s[8:9]
	s_cbranch_execz .LBB118_1107
; %bb.1106:
	v_lshlrev_b64 v[5:6], 2, v[5:6]
	v_mov_b32_e32 v11, s86
	v_add_co_u32_e32 v5, vcc, s85, v5
	v_addc_co_u32_e32 v6, vcc, v11, v6, vcc
	flat_load_dword v5, v[5:6]
	s_or_b64 s[2:3], s[2:3], exec
	s_waitcnt vmcnt(0) lgkmcnt(0)
	v_div_scale_f32 v6, s[10:11], v5, v5, 1.0
	v_div_scale_f32 v11, vcc, 1.0, v5, 1.0
	v_rcp_f32_e32 v12, v6
	v_fma_f32 v13, -v6, v12, 1.0
	v_fmac_f32_e32 v12, v13, v12
	v_mul_f32_e32 v13, v11, v12
	v_fma_f32 v14, -v6, v13, v11
	v_fmac_f32_e32 v13, v14, v12
	v_fma_f32 v6, -v6, v13, v11
	v_div_fmas_f32 v6, v6, v12, v13
	v_div_fixup_f32 v11, v6, v5, 1.0
.LBB118_1107:
	s_or_b64 exec, exec, s[8:9]
	s_and_b64 s[2:3], s[2:3], exec
                                        ; implicit-def: $vgpr5_vgpr6
	s_andn2_saveexec_b64 s[0:1], s[0:1]
	s_cbranch_execz .LBB118_18
.LBB118_1108:
	v_lshlrev_b64 v[5:6], 2, v[5:6]
	v_mov_b32_e32 v11, s86
	v_add_co_u32_e32 v5, vcc, s85, v5
	v_addc_co_u32_e32 v6, vcc, v11, v6, vcc
	flat_load_dword v5, v[5:6]
	s_or_b64 s[2:3], s[2:3], exec
	s_waitcnt vmcnt(0) lgkmcnt(0)
	v_xor_b32_e32 v11, 0x80000000, v5
	s_or_b64 exec, exec, s[0:1]
	s_and_saveexec_b64 s[0:1], s[2:3]
	s_cbranch_execnz .LBB118_19
	s_branch .LBB118_20
.LBB118_1109:
	v_cmp_ne_u32_e32 vcc, v0, v1
	s_and_saveexec_b64 s[8:9], vcc
	s_xor_b64 s[8:9], exec, s[8:9]
; %bb.1110:
	v_or_b32_e32 v5, v1, v0
	v_cmp_gt_u32_e32 vcc, 64, v5
	s_and_b64 s[2:3], vcc, exec
                                        ; implicit-def: $vgpr5_vgpr6
; %bb.1111:
	s_or_saveexec_b64 s[8:9], s[8:9]
	v_mov_b32_e32 v11, 0
	s_xor_b64 exec, exec, s[8:9]
	s_cbranch_execz .LBB118_1113
; %bb.1112:
	v_lshlrev_b64 v[5:6], 2, v[5:6]
	v_mov_b32_e32 v11, s86
	v_add_co_u32_e32 v5, vcc, s85, v5
	v_addc_co_u32_e32 v6, vcc, v11, v6, vcc
	flat_load_dword v5, v[5:6]
	s_or_b64 s[2:3], s[2:3], exec
	s_waitcnt vmcnt(0) lgkmcnt(0)
	v_div_scale_f32 v6, s[10:11], v5, v5, 1.0
	v_div_scale_f32 v11, vcc, 1.0, v5, 1.0
	v_rcp_f32_e32 v12, v6
	v_fma_f32 v13, -v6, v12, 1.0
	v_fmac_f32_e32 v12, v13, v12
	v_mul_f32_e32 v13, v11, v12
	v_fma_f32 v14, -v6, v13, v11
	v_fmac_f32_e32 v13, v14, v12
	v_fma_f32 v6, -v6, v13, v11
	v_div_fmas_f32 v6, v6, v12, v13
	v_div_fixup_f32 v11, v6, v5, 1.0
.LBB118_1113:
	s_or_b64 exec, exec, s[8:9]
	s_and_b64 s[2:3], s[2:3], exec
                                        ; implicit-def: $vgpr5_vgpr6
	s_andn2_saveexec_b64 s[0:1], s[0:1]
	s_cbranch_execz .LBB118_22
.LBB118_1114:
	v_lshlrev_b64 v[5:6], 2, v[5:6]
	v_mov_b32_e32 v11, s86
	v_add_co_u32_e32 v5, vcc, s85, v5
	v_addc_co_u32_e32 v6, vcc, v11, v6, vcc
	flat_load_dword v5, v[5:6]
	s_or_b64 s[2:3], s[2:3], exec
	s_waitcnt vmcnt(0) lgkmcnt(0)
	v_xor_b32_e32 v11, 0x80000000, v5
	s_or_b64 exec, exec, s[0:1]
	s_and_saveexec_b64 s[0:1], s[2:3]
	s_cbranch_execnz .LBB118_23
	s_branch .LBB118_24
.LBB118_1115:
	v_cmp_ne_u32_e32 vcc, v0, v2
	s_xor_b64 s[10:11], s[0:1], -1
	s_or_b64 s[12:13], s[10:11], vcc
	s_mov_b64 s[10:11], 0
	s_and_saveexec_b64 s[14:15], s[12:13]
	s_xor_b64 s[12:13], exec, s[14:15]
; %bb.1116:
	v_or_b32_e32 v1, v2, v0
	v_cmp_gt_u32_e32 vcc, 64, v1
	s_and_b64 s[10:11], vcc, exec
                                        ; implicit-def: $vgpr5_vgpr6
; %bb.1117:
	s_or_saveexec_b64 s[12:13], s[12:13]
	v_mov_b32_e32 v1, 0
	s_xor_b64 exec, exec, s[12:13]
	s_cbranch_execz .LBB118_1119
; %bb.1118:
	v_lshlrev_b64 v[5:6], 2, v[5:6]
	v_mov_b32_e32 v1, s86
	v_add_co_u32_e32 v5, vcc, s85, v5
	v_addc_co_u32_e32 v6, vcc, v1, v6, vcc
	flat_load_dword v1, v[5:6]
	s_or_b64 s[10:11], s[10:11], exec
	s_waitcnt vmcnt(0) lgkmcnt(0)
	v_div_scale_f32 v5, s[14:15], v1, v1, 1.0
	v_div_scale_f32 v6, vcc, 1.0, v1, 1.0
	v_rcp_f32_e32 v11, v5
	v_fma_f32 v12, -v5, v11, 1.0
	v_fmac_f32_e32 v11, v12, v11
	v_mul_f32_e32 v12, v6, v11
	v_fma_f32 v13, -v5, v12, v6
	v_fmac_f32_e32 v12, v13, v11
	v_fma_f32 v5, -v5, v12, v6
	v_div_fmas_f32 v5, v5, v11, v12
	v_div_fixup_f32 v1, v5, v1, 1.0
.LBB118_1119:
	s_or_b64 exec, exec, s[12:13]
	s_and_b64 s[10:11], s[10:11], exec
                                        ; implicit-def: $vgpr5_vgpr6
	s_andn2_saveexec_b64 s[2:3], s[2:3]
	s_cbranch_execz .LBB118_36
.LBB118_1120:
	v_lshlrev_b64 v[5:6], 2, v[5:6]
	v_mov_b32_e32 v1, s86
	v_add_co_u32_e32 v5, vcc, s85, v5
	v_addc_co_u32_e32 v6, vcc, v1, v6, vcc
	flat_load_dword v1, v[5:6]
	s_or_b64 s[10:11], s[10:11], exec
	s_waitcnt vmcnt(0) lgkmcnt(0)
	v_xor_b32_e32 v1, 0x80000000, v1
	s_or_b64 exec, exec, s[2:3]
	s_and_saveexec_b64 s[2:3], s[10:11]
	s_cbranch_execnz .LBB118_37
	s_branch .LBB118_38
.LBB118_1121:
	v_cmp_ne_u32_e32 vcc, v0, v1
	s_xor_b64 s[10:11], s[0:1], -1
	s_or_b64 s[12:13], s[10:11], vcc
	s_mov_b64 s[10:11], 0
	s_and_saveexec_b64 s[14:15], s[12:13]
	s_xor_b64 s[12:13], exec, s[14:15]
; %bb.1122:
	v_or_b32_e32 v5, v1, v0
	v_cmp_gt_u32_e32 vcc, 64, v5
	s_and_b64 s[10:11], vcc, exec
                                        ; implicit-def: $vgpr5_vgpr6
; %bb.1123:
	s_or_saveexec_b64 s[12:13], s[12:13]
	v_mov_b32_e32 v11, 0
	s_xor_b64 exec, exec, s[12:13]
	s_cbranch_execz .LBB118_1125
; %bb.1124:
	v_lshlrev_b64 v[5:6], 2, v[5:6]
	v_mov_b32_e32 v11, s86
	v_add_co_u32_e32 v5, vcc, s85, v5
	v_addc_co_u32_e32 v6, vcc, v11, v6, vcc
	flat_load_dword v5, v[5:6]
	s_or_b64 s[10:11], s[10:11], exec
	s_waitcnt vmcnt(0) lgkmcnt(0)
	v_div_scale_f32 v6, s[14:15], v5, v5, 1.0
	v_div_scale_f32 v11, vcc, 1.0, v5, 1.0
	v_rcp_f32_e32 v12, v6
	v_fma_f32 v13, -v6, v12, 1.0
	v_fmac_f32_e32 v12, v13, v12
	v_mul_f32_e32 v13, v11, v12
	v_fma_f32 v14, -v6, v13, v11
	v_fmac_f32_e32 v13, v14, v12
	v_fma_f32 v6, -v6, v13, v11
	v_div_fmas_f32 v6, v6, v12, v13
	v_div_fixup_f32 v11, v6, v5, 1.0
.LBB118_1125:
	s_or_b64 exec, exec, s[12:13]
	s_and_b64 s[10:11], s[10:11], exec
                                        ; implicit-def: $vgpr5_vgpr6
	s_andn2_saveexec_b64 s[2:3], s[2:3]
	s_cbranch_execz .LBB118_40
.LBB118_1126:
	v_lshlrev_b64 v[5:6], 2, v[5:6]
	v_mov_b32_e32 v11, s86
	v_add_co_u32_e32 v5, vcc, s85, v5
	v_addc_co_u32_e32 v6, vcc, v11, v6, vcc
	flat_load_dword v5, v[5:6]
	s_or_b64 s[10:11], s[10:11], exec
	s_waitcnt vmcnt(0) lgkmcnt(0)
	v_xor_b32_e32 v11, 0x80000000, v5
	s_or_b64 exec, exec, s[2:3]
	s_and_saveexec_b64 s[2:3], s[10:11]
	s_cbranch_execnz .LBB118_41
	s_branch .LBB118_42
.LBB118_1127:
	v_cmp_ne_u32_e32 vcc, v0, v1
	s_xor_b64 s[10:11], s[0:1], -1
	s_or_b64 s[12:13], s[10:11], vcc
	s_mov_b64 s[10:11], 0
	s_and_saveexec_b64 s[14:15], s[12:13]
	s_xor_b64 s[12:13], exec, s[14:15]
; %bb.1128:
	v_or_b32_e32 v5, v1, v0
	v_cmp_gt_u32_e32 vcc, 64, v5
	s_and_b64 s[10:11], vcc, exec
                                        ; implicit-def: $vgpr5_vgpr6
; %bb.1129:
	s_or_saveexec_b64 s[12:13], s[12:13]
	v_mov_b32_e32 v11, 0
	s_xor_b64 exec, exec, s[12:13]
	s_cbranch_execz .LBB118_1131
; %bb.1130:
	v_lshlrev_b64 v[5:6], 2, v[5:6]
	v_mov_b32_e32 v11, s86
	v_add_co_u32_e32 v5, vcc, s85, v5
	v_addc_co_u32_e32 v6, vcc, v11, v6, vcc
	flat_load_dword v5, v[5:6]
	s_or_b64 s[10:11], s[10:11], exec
	s_waitcnt vmcnt(0) lgkmcnt(0)
	v_div_scale_f32 v6, s[14:15], v5, v5, 1.0
	v_div_scale_f32 v11, vcc, 1.0, v5, 1.0
	v_rcp_f32_e32 v12, v6
	v_fma_f32 v13, -v6, v12, 1.0
	v_fmac_f32_e32 v12, v13, v12
	v_mul_f32_e32 v13, v11, v12
	v_fma_f32 v14, -v6, v13, v11
	v_fmac_f32_e32 v13, v14, v12
	v_fma_f32 v6, -v6, v13, v11
	v_div_fmas_f32 v6, v6, v12, v13
	v_div_fixup_f32 v11, v6, v5, 1.0
.LBB118_1131:
	s_or_b64 exec, exec, s[12:13]
	s_and_b64 s[10:11], s[10:11], exec
                                        ; implicit-def: $vgpr5_vgpr6
	s_andn2_saveexec_b64 s[2:3], s[2:3]
	s_cbranch_execz .LBB118_44
.LBB118_1132:
	v_lshlrev_b64 v[5:6], 2, v[5:6]
	v_mov_b32_e32 v11, s86
	v_add_co_u32_e32 v5, vcc, s85, v5
	v_addc_co_u32_e32 v6, vcc, v11, v6, vcc
	flat_load_dword v5, v[5:6]
	s_or_b64 s[10:11], s[10:11], exec
	s_waitcnt vmcnt(0) lgkmcnt(0)
	v_xor_b32_e32 v11, 0x80000000, v5
	s_or_b64 exec, exec, s[2:3]
	s_and_saveexec_b64 s[2:3], s[10:11]
	s_cbranch_execnz .LBB118_45
	s_branch .LBB118_46
.LBB118_1133:
	s_or_b64 exec, exec, s[8:9]
	s_and_b64 vcc, exec, s[6:7]
	s_cbranch_vccnz .LBB118_1077
.LBB118_1134:
	v_mov_b32_e32 v12, v4
	s_and_saveexec_b64 s[0:1], s[4:5]
	s_cbranch_execnz .LBB118_1140
	s_branch .LBB118_1141
.LBB118_1135:
	s_mov_b64 s[2:3], 0
.LBB118_1136:
	v_cmp_gt_i32_e32 vcc, s84, v0
	s_and_b64 s[0:1], s[0:1], vcc
	s_andn2_b64 s[2:3], s[2:3], exec
	s_and_b64 s[0:1], s[0:1], exec
	s_or_b64 s[2:3], s[2:3], s[0:1]
.LBB118_1137:
                                        ; implicit-def: $vgpr1_vgpr2
	s_and_saveexec_b64 s[0:1], s[2:3]
	s_cbranch_execz .LBB118_1139
; %bb.1138:
	v_mov_b32_e32 v0, s50
	v_add_co_u32_e32 v1, vcc, s33, v11
	v_addc_co_u32_e32 v0, vcc, 0, v0, vcc
	v_mul_lo_u32 v0, v0, s22
	v_mul_lo_u32 v3, v1, s23
	v_mad_u64_u32 v[1:2], s[2:3], v1, s22, 0
	s_or_b64 s[4:5], s[4:5], exec
	v_add3_u32 v2, v2, v3, v0
.LBB118_1139:
	s_or_b64 exec, exec, s[0:1]
	s_and_saveexec_b64 s[0:1], s[4:5]
	s_cbranch_execz .LBB118_1141
.LBB118_1140:
	v_lshlrev_b64 v[0:1], 2, v[1:2]
	v_mov_b32_e32 v2, s37
	v_add_co_u32_e32 v0, vcc, s36, v0
	v_addc_co_u32_e32 v1, vcc, v2, v1, vcc
	flat_store_dword v[0:1], v12
.LBB118_1141:
	s_or_b64 exec, exec, s[0:1]
	v_cmp_eq_u32_e32 vcc, 0, v11
	s_waitcnt vmcnt(0) lgkmcnt(0)
	buffer_wbinvl1_vol
	s_barrier
	s_and_saveexec_b64 s[0:1], vcc
	s_cbranch_execz .LBB118_1143
; %bb.1142:
	s_lshl_b64 s[2:3], s[20:21], 2
	s_add_u32 s2, s12, s2
	s_addc_u32 s3, s13, s3
	v_mov_b32_e32 v0, 0
	global_load_dword v1, v0, s[2:3]
	s_waitcnt vmcnt(0)
	v_add_u32_e32 v1, 1, v1
	global_store_dword v0, v1, s[2:3]
.LBB118_1143:
	s_or_b64 exec, exec, s[0:1]
	s_waitcnt vmcnt(0)
	buffer_wbinvl1_vol
	s_endpgm
.LBB118_1144:
	v_lshlrev_b32_e32 v16, 2, v14
	v_sub_u32_e32 v16, v15, v16
	v_lshl_add_u32 v16, v13, 2, v16
	ds_read_b32 v16, v16 offset:272
	ds_read_b32 v17, v15 offset:4
	s_waitcnt lgkmcnt(0)
	v_fmac_f32_e32 v12, v16, v17
	s_or_b64 exec, exec, s[14:15]
	v_cmp_gt_u32_e64 s[10:11], 8, v4
	s_and_saveexec_b64 s[14:15], s[10:11]
	s_cbranch_execz .LBB118_77
.LBB118_1145:
	ds_read_b32 v16, v6 offset:528
	ds_read_b32 v15, v15 offset:8
	s_waitcnt lgkmcnt(0)
	v_fmac_f32_e32 v12, v16, v15
	s_or_b64 exec, exec, s[14:15]
	v_cmp_gt_u32_e64 s[10:11], 4, v4
	s_and_saveexec_b64 s[14:15], s[10:11]
	s_cbranch_execnz .LBB118_78
	s_branch .LBB118_79
.LBB118_1146:
	v_lshlrev_b32_e32 v21, 2, v19
	v_sub_u32_e32 v21, v20, v21
	v_lshl_add_u32 v21, v18, 2, v21
	ds_read_b32 v21, v21 offset:288
	ds_read_b32 v22, v20 offset:4
	s_waitcnt lgkmcnt(0)
	v_fmac_f32_e32 v17, v21, v22
	s_or_b64 exec, exec, s[16:17]
	v_cmp_gt_u32_e64 s[10:11], 48, v4
	s_and_saveexec_b64 s[16:17], s[10:11]
	s_cbranch_execz .LBB118_115
.LBB118_1147:
	v_lshlrev_b32_e32 v21, 2, v19
	v_sub_u32_e32 v21, v20, v21
	v_lshl_add_u32 v21, v18, 2, v21
	ds_read_b32 v21, v21 offset:544
	ds_read_b32 v22, v20 offset:8
	s_waitcnt lgkmcnt(0)
	v_fmac_f32_e32 v17, v21, v22
	s_or_b64 exec, exec, s[16:17]
	v_cmp_gt_u32_e64 s[10:11], 40, v4
	s_and_saveexec_b64 s[16:17], s[10:11]
	s_cbranch_execz .LBB118_116
.LBB118_1148:
	v_lshlrev_b32_e32 v21, 2, v19
	v_sub_u32_e32 v21, v20, v21
	v_lshl_add_u32 v21, v18, 2, v21
	ds_read_b32 v21, v21 offset:800
	ds_read_b32 v22, v20 offset:12
	s_waitcnt lgkmcnt(0)
	v_fmac_f32_e32 v17, v21, v22
	s_or_b64 exec, exec, s[16:17]
	v_cmp_gt_u32_e64 s[10:11], 32, v4
	s_and_saveexec_b64 s[16:17], s[10:11]
	s_cbranch_execz .LBB118_117
.LBB118_1149:
	ds_read_b32 v21, v15 offset:1056
	ds_read_b32 v22, v20 offset:16
	s_waitcnt lgkmcnt(0)
	v_fmac_f32_e32 v17, v21, v22
	s_or_b64 exec, exec, s[16:17]
	v_cmp_gt_u32_e64 s[10:11], 24, v4
	s_and_saveexec_b64 s[16:17], s[10:11]
	s_cbranch_execz .LBB118_118
.LBB118_1150:
	v_lshlrev_b32_e32 v21, 2, v19
	v_sub_u32_e32 v21, v20, v21
	v_lshl_add_u32 v21, v18, 2, v21
	ds_read_b32 v21, v21 offset:1312
	ds_read_b32 v22, v20 offset:20
	s_waitcnt lgkmcnt(0)
	v_fmac_f32_e32 v17, v21, v22
	s_or_b64 exec, exec, s[16:17]
	v_cmp_gt_u32_e64 s[10:11], 16, v4
	s_and_saveexec_b64 s[16:17], s[10:11]
	s_cbranch_execz .LBB118_119
.LBB118_1151:
	ds_read_b32 v21, v15 offset:1568
	ds_read_b32 v20, v20 offset:24
	s_waitcnt lgkmcnt(0)
	v_fmac_f32_e32 v17, v21, v20
	s_or_b64 exec, exec, s[16:17]
	v_cmp_gt_u32_e64 s[10:11], 8, v4
	s_and_saveexec_b64 s[16:17], s[10:11]
	s_cbranch_execnz .LBB118_120
	s_branch .LBB118_121
.LBB118_1152:
	v_lshlrev_b32_e32 v22, 2, v14
	v_sub_u32_e32 v22, v21, v22
	v_lshl_add_u32 v22, v13, 2, v22
	ds_read_b32 v22, v22 offset:2352
	ds_read_b32 v23, v21 offset:2084
	s_waitcnt lgkmcnt(0)
	v_fmac_f32_e32 v20, v22, v23
	s_or_b64 exec, exec, s[12:13]
	v_cmp_gt_u32_e64 s[8:9], 8, v4
	s_and_saveexec_b64 s[12:13], s[8:9]
	s_cbranch_execz .LBB118_173
.LBB118_1153:
	ds_read_b32 v22, v6 offset:2608
	ds_read_b32 v21, v21 offset:2088
	s_waitcnt lgkmcnt(0)
	v_fmac_f32_e32 v20, v22, v21
	s_or_b64 exec, exec, s[12:13]
	v_cmp_gt_u32_e64 s[8:9], 4, v4
	s_and_saveexec_b64 s[12:13], s[8:9]
	s_cbranch_execnz .LBB118_174
	s_branch .LBB118_175
.LBB118_1154:
	v_lshlrev_b32_e32 v26, 2, v21
	v_lshl_add_u32 v26, v23, 2, v26
	ds_read_b32 v26, v26 offset:2880
	ds_read_b32 v27, v25 offset:44
	s_waitcnt lgkmcnt(0)
	v_fmac_f32_e32 v22, v26, v27
	s_or_b64 exec, exec, s[18:19]
	v_cmp_gt_u32_e64 s[12:13], 64, v4
	s_and_saveexec_b64 s[18:19], s[12:13]
	s_cbranch_execz .LBB118_231
.LBB118_1155:
	ds_read_b32 v26, v20 offset:3136
	ds_read_b32 v27, v25 offset:48
	s_waitcnt lgkmcnt(0)
	v_fmac_f32_e32 v22, v26, v27
	s_or_b64 exec, exec, s[18:19]
	v_cmp_gt_u32_e64 s[12:13], 48, v4
	s_and_saveexec_b64 s[18:19], s[12:13]
	s_cbranch_execz .LBB118_232
.LBB118_1156:
	v_lshlrev_b32_e32 v26, 2, v21
	v_lshl_add_u32 v26, v23, 2, v26
	ds_read_b32 v26, v26 offset:3392
	ds_read_b32 v27, v25 offset:52
	s_waitcnt lgkmcnt(0)
	v_fmac_f32_e32 v22, v26, v27
	s_or_b64 exec, exec, s[18:19]
	v_cmp_gt_u32_e64 s[12:13], 32, v4
	s_and_saveexec_b64 s[18:19], s[12:13]
	s_cbranch_execz .LBB118_233
.LBB118_1157:
	ds_read_b32 v26, v20 offset:3648
	ds_read_b32 v25, v25 offset:56
	s_waitcnt lgkmcnt(0)
	v_fmac_f32_e32 v22, v26, v25
	s_or_b64 exec, exec, s[18:19]
	v_cmp_gt_u32_e64 s[12:13], 16, v4
	s_and_saveexec_b64 s[18:19], s[12:13]
	s_cbranch_execnz .LBB118_234
	s_branch .LBB118_235
.LBB118_1158:
	v_lshlrev_b32_e32 v27, 2, v14
	v_sub_u32_e32 v27, v26, v27
	v_lshl_add_u32 v27, v13, 2, v27
	ds_read_b32 v27, v27 offset:4432
	ds_read_b32 v28, v26 offset:4164
	s_waitcnt lgkmcnt(0)
	v_fmac_f32_e32 v25, v27, v28
	s_or_b64 exec, exec, s[16:17]
	v_cmp_gt_u32_e64 s[10:11], 8, v4
	s_and_saveexec_b64 s[16:17], s[10:11]
	s_cbranch_execz .LBB118_319
.LBB118_1159:
	ds_read_b32 v27, v6 offset:4688
	ds_read_b32 v26, v26 offset:4168
	s_waitcnt lgkmcnt(0)
	v_fmac_f32_e32 v25, v27, v26
	s_or_b64 exec, exec, s[16:17]
	v_cmp_gt_u32_e64 s[10:11], 4, v4
	s_and_saveexec_b64 s[16:17], s[10:11]
	s_cbranch_execnz .LBB118_320
	s_branch .LBB118_321
.LBB118_1160:
	v_lshlrev_b32_e32 v27, 2, v19
	v_sub_u32_e32 v27, v26, v27
	v_lshl_add_u32 v27, v18, 2, v27
	ds_read_b32 v27, v27 offset:4448
	ds_read_b32 v28, v26 offset:4164
	s_waitcnt lgkmcnt(0)
	v_fmac_f32_e32 v25, v27, v28
	s_or_b64 exec, exec, s[16:17]
	v_cmp_gt_u32_e64 s[10:11], 48, v4
	s_and_saveexec_b64 s[16:17], s[10:11]
	s_cbranch_execz .LBB118_357
.LBB118_1161:
	v_lshlrev_b32_e32 v27, 2, v19
	v_sub_u32_e32 v27, v26, v27
	v_lshl_add_u32 v27, v18, 2, v27
	ds_read_b32 v27, v27 offset:4704
	ds_read_b32 v28, v26 offset:4168
	s_waitcnt lgkmcnt(0)
	v_fmac_f32_e32 v25, v27, v28
	s_or_b64 exec, exec, s[16:17]
	v_cmp_gt_u32_e64 s[10:11], 40, v4
	s_and_saveexec_b64 s[16:17], s[10:11]
	s_cbranch_execz .LBB118_358
.LBB118_1162:
	v_lshlrev_b32_e32 v27, 2, v19
	v_sub_u32_e32 v27, v26, v27
	v_lshl_add_u32 v27, v18, 2, v27
	ds_read_b32 v27, v27 offset:4960
	ds_read_b32 v28, v26 offset:4172
	s_waitcnt lgkmcnt(0)
	v_fmac_f32_e32 v25, v27, v28
	s_or_b64 exec, exec, s[16:17]
	v_cmp_gt_u32_e64 s[10:11], 32, v4
	s_and_saveexec_b64 s[16:17], s[10:11]
	s_cbranch_execz .LBB118_359
.LBB118_1163:
	ds_read_b32 v27, v15 offset:5216
	ds_read_b32 v28, v26 offset:4176
	s_waitcnt lgkmcnt(0)
	v_fmac_f32_e32 v25, v27, v28
	s_or_b64 exec, exec, s[16:17]
	v_cmp_gt_u32_e64 s[10:11], 24, v4
	s_and_saveexec_b64 s[16:17], s[10:11]
	s_cbranch_execz .LBB118_360
.LBB118_1164:
	v_lshlrev_b32_e32 v27, 2, v19
	v_sub_u32_e32 v27, v26, v27
	v_lshl_add_u32 v27, v18, 2, v27
	ds_read_b32 v27, v27 offset:5472
	ds_read_b32 v28, v26 offset:4180
	s_waitcnt lgkmcnt(0)
	v_fmac_f32_e32 v25, v27, v28
	s_or_b64 exec, exec, s[16:17]
	v_cmp_gt_u32_e64 s[10:11], 16, v4
	s_and_saveexec_b64 s[16:17], s[10:11]
	s_cbranch_execz .LBB118_361
.LBB118_1165:
	ds_read_b32 v27, v15 offset:5728
	ds_read_b32 v26, v26 offset:4184
	s_waitcnt lgkmcnt(0)
	v_fmac_f32_e32 v25, v27, v26
	s_or_b64 exec, exec, s[16:17]
	v_cmp_gt_u32_e64 s[10:11], 8, v4
	s_and_saveexec_b64 s[16:17], s[10:11]
	s_cbranch_execnz .LBB118_362
	s_branch .LBB118_363
.LBB118_1166:
	v_lshlrev_b32_e32 v27, 2, v14
	v_sub_u32_e32 v27, v26, v27
	v_lshl_add_u32 v27, v13, 2, v27
	ds_read_b32 v27, v27 offset:6512
	ds_read_b32 v28, v26 offset:6244
	s_waitcnt lgkmcnt(0)
	v_fmac_f32_e32 v25, v27, v28
	s_or_b64 exec, exec, s[16:17]
	v_cmp_gt_u32_e64 s[10:11], 8, v4
	s_and_saveexec_b64 s[16:17], s[10:11]
	s_cbranch_execz .LBB118_415
.LBB118_1167:
	ds_read_b32 v27, v6 offset:6768
	ds_read_b32 v26, v26 offset:6248
	s_waitcnt lgkmcnt(0)
	v_fmac_f32_e32 v25, v27, v26
	s_or_b64 exec, exec, s[16:17]
	v_cmp_gt_u32_e64 s[10:11], 4, v4
	s_and_saveexec_b64 s[16:17], s[10:11]
	s_cbranch_execnz .LBB118_416
	s_branch .LBB118_417
.LBB118_1168:
	ds_read_b32 v31, v25 offset:7552
	ds_read_b32 v32, v30 offset:116
	s_waitcnt lgkmcnt(0)
	v_fmac_f32_e32 v28, v31, v32
	s_or_b64 exec, exec, s[82:83]
	v_cmp_gt_u32_e64 s[16:17], 64, v4
	s_and_saveexec_b64 s[82:83], s[16:17]
	s_cbranch_execz .LBB118_509
.LBB118_1169:
	ds_read_b32 v31, v25 offset:7808
	ds_read_b32 v30, v30 offset:120
	s_waitcnt lgkmcnt(0)
	v_fmac_f32_e32 v28, v31, v30
	s_or_b64 exec, exec, s[82:83]
	v_cmp_gt_u32_e64 s[16:17], 32, v4
	s_and_saveexec_b64 s[82:83], s[16:17]
	s_cbranch_execnz .LBB118_510
	s_branch .LBB118_511
.LBB118_1170:
	v_lshlrev_b32_e32 v27, 2, v14
	v_sub_u32_e32 v27, v26, v27
	v_lshl_add_u32 v27, v13, 2, v27
	ds_read_b32 v27, v27 offset:8592
	ds_read_b32 v28, v26 offset:8324
	s_waitcnt lgkmcnt(0)
	v_fmac_f32_e32 v25, v27, v28
	s_or_b64 exec, exec, s[16:17]
	v_cmp_gt_u32_e64 s[10:11], 8, v4
	s_and_saveexec_b64 s[16:17], s[10:11]
	s_cbranch_execz .LBB118_659
.LBB118_1171:
	ds_read_b32 v27, v6 offset:8848
	ds_read_b32 v26, v26 offset:8328
	s_waitcnt lgkmcnt(0)
	v_fmac_f32_e32 v25, v27, v26
	s_or_b64 exec, exec, s[16:17]
	v_cmp_gt_u32_e64 s[10:11], 4, v4
	s_and_saveexec_b64 s[16:17], s[10:11]
	s_cbranch_execnz .LBB118_660
	s_branch .LBB118_661
.LBB118_1172:
	v_lshlrev_b32_e32 v27, 2, v19
	v_sub_u32_e32 v27, v26, v27
	v_lshl_add_u32 v27, v18, 2, v27
	ds_read_b32 v27, v27 offset:8608
	ds_read_b32 v28, v26 offset:8324
	s_waitcnt lgkmcnt(0)
	v_fmac_f32_e32 v25, v27, v28
	s_or_b64 exec, exec, s[16:17]
	v_cmp_gt_u32_e64 s[10:11], 48, v4
	s_and_saveexec_b64 s[16:17], s[10:11]
	s_cbranch_execz .LBB118_697
.LBB118_1173:
	v_lshlrev_b32_e32 v27, 2, v19
	v_sub_u32_e32 v27, v26, v27
	v_lshl_add_u32 v27, v18, 2, v27
	ds_read_b32 v27, v27 offset:8864
	ds_read_b32 v28, v26 offset:8328
	s_waitcnt lgkmcnt(0)
	v_fmac_f32_e32 v25, v27, v28
	s_or_b64 exec, exec, s[16:17]
	v_cmp_gt_u32_e64 s[10:11], 40, v4
	s_and_saveexec_b64 s[16:17], s[10:11]
	s_cbranch_execz .LBB118_698
.LBB118_1174:
	v_lshlrev_b32_e32 v27, 2, v19
	v_sub_u32_e32 v27, v26, v27
	v_lshl_add_u32 v27, v18, 2, v27
	ds_read_b32 v27, v27 offset:9120
	ds_read_b32 v28, v26 offset:8332
	s_waitcnt lgkmcnt(0)
	v_fmac_f32_e32 v25, v27, v28
	s_or_b64 exec, exec, s[16:17]
	v_cmp_gt_u32_e64 s[10:11], 32, v4
	s_and_saveexec_b64 s[16:17], s[10:11]
	s_cbranch_execz .LBB118_699
.LBB118_1175:
	ds_read_b32 v27, v15 offset:9376
	ds_read_b32 v28, v26 offset:8336
	s_waitcnt lgkmcnt(0)
	v_fmac_f32_e32 v25, v27, v28
	s_or_b64 exec, exec, s[16:17]
	v_cmp_gt_u32_e64 s[10:11], 24, v4
	s_and_saveexec_b64 s[16:17], s[10:11]
	s_cbranch_execz .LBB118_700
.LBB118_1176:
	v_lshlrev_b32_e32 v27, 2, v19
	v_sub_u32_e32 v27, v26, v27
	v_lshl_add_u32 v27, v18, 2, v27
	ds_read_b32 v27, v27 offset:9632
	ds_read_b32 v28, v26 offset:8340
	s_waitcnt lgkmcnt(0)
	v_fmac_f32_e32 v25, v27, v28
	s_or_b64 exec, exec, s[16:17]
	v_cmp_gt_u32_e64 s[10:11], 16, v4
	s_and_saveexec_b64 s[16:17], s[10:11]
	s_cbranch_execz .LBB118_701
.LBB118_1177:
	ds_read_b32 v27, v15 offset:9888
	ds_read_b32 v26, v26 offset:8344
	s_waitcnt lgkmcnt(0)
	v_fmac_f32_e32 v25, v27, v26
	s_or_b64 exec, exec, s[16:17]
	v_cmp_gt_u32_e64 s[10:11], 8, v4
	s_and_saveexec_b64 s[16:17], s[10:11]
	s_cbranch_execnz .LBB118_702
	s_branch .LBB118_703
.LBB118_1178:
	v_lshlrev_b32_e32 v27, 2, v14
	v_sub_u32_e32 v27, v26, v27
	v_lshl_add_u32 v27, v13, 2, v27
	ds_read_b32 v27, v27 offset:10672
	ds_read_b32 v28, v26 offset:10404
	s_waitcnt lgkmcnt(0)
	v_fmac_f32_e32 v25, v27, v28
	s_or_b64 exec, exec, s[16:17]
	v_cmp_gt_u32_e64 s[10:11], 8, v4
	s_and_saveexec_b64 s[16:17], s[10:11]
	s_cbranch_execz .LBB118_755
.LBB118_1179:
	ds_read_b32 v27, v6 offset:10928
	ds_read_b32 v26, v26 offset:10408
	s_waitcnt lgkmcnt(0)
	v_fmac_f32_e32 v25, v27, v26
	s_or_b64 exec, exec, s[16:17]
	v_cmp_gt_u32_e64 s[10:11], 4, v4
	s_and_saveexec_b64 s[16:17], s[10:11]
	s_cbranch_execnz .LBB118_756
	s_branch .LBB118_757
.LBB118_1180:
	v_lshlrev_b32_e32 v24, 2, v21
	v_lshl_add_u32 v24, v23, 2, v24
	ds_read_b32 v24, v24 offset:11200
	ds_read_b32 v27, v26 offset:8364
	s_waitcnt lgkmcnt(0)
	v_fmac_f32_e32 v25, v24, v27
	s_or_b64 exec, exec, s[16:17]
	v_cmp_gt_u32_e64 s[10:11], 64, v4
	s_and_saveexec_b64 s[16:17], s[10:11]
	s_cbranch_execz .LBB118_813
.LBB118_1181:
	ds_read_b32 v24, v20 offset:11456
	ds_read_b32 v27, v26 offset:8368
	s_waitcnt lgkmcnt(0)
	v_fmac_f32_e32 v25, v24, v27
	s_or_b64 exec, exec, s[16:17]
	v_cmp_gt_u32_e64 s[10:11], 48, v4
	s_and_saveexec_b64 s[16:17], s[10:11]
	s_cbranch_execz .LBB118_814
.LBB118_1182:
	v_lshlrev_b32_e32 v24, 2, v21
	v_lshl_add_u32 v23, v23, 2, v24
	ds_read_b32 v23, v23 offset:11712
	ds_read_b32 v24, v26 offset:8372
	s_waitcnt lgkmcnt(0)
	v_fmac_f32_e32 v25, v23, v24
	s_or_b64 exec, exec, s[16:17]
	v_cmp_gt_u32_e64 s[10:11], 32, v4
	s_and_saveexec_b64 s[16:17], s[10:11]
	s_cbranch_execz .LBB118_815
.LBB118_1183:
	ds_read_b32 v23, v20 offset:11968
	ds_read_b32 v24, v26 offset:8376
	s_waitcnt lgkmcnt(0)
	v_fmac_f32_e32 v25, v23, v24
	s_or_b64 exec, exec, s[16:17]
	v_cmp_gt_u32_e64 s[10:11], 16, v4
	s_and_saveexec_b64 s[16:17], s[10:11]
	s_cbranch_execnz .LBB118_816
	s_branch .LBB118_817
.LBB118_1184:
	v_lshlrev_b32_e32 v22, 2, v14
	v_sub_u32_e32 v22, v21, v22
	v_lshl_add_u32 v22, v13, 2, v22
	ds_read_b32 v22, v22 offset:12752
	ds_read_b32 v23, v21 offset:12484
	s_waitcnt lgkmcnt(0)
	v_fmac_f32_e32 v20, v22, v23
	s_or_b64 exec, exec, s[12:13]
	v_cmp_gt_u32_e64 s[8:9], 8, v4
	s_and_saveexec_b64 s[12:13], s[8:9]
	s_cbranch_execz .LBB118_901
.LBB118_1185:
	ds_read_b32 v22, v6 offset:13008
	ds_read_b32 v21, v21 offset:12488
	s_waitcnt lgkmcnt(0)
	v_fmac_f32_e32 v20, v22, v21
	s_or_b64 exec, exec, s[12:13]
	v_cmp_gt_u32_e64 s[8:9], 4, v4
	s_and_saveexec_b64 s[12:13], s[8:9]
	s_cbranch_execnz .LBB118_902
	s_branch .LBB118_903
.LBB118_1186:
	v_lshlrev_b32_e32 v22, 2, v19
	v_sub_u32_e32 v22, v21, v22
	v_lshl_add_u32 v22, v18, 2, v22
	ds_read_b32 v22, v22 offset:12768
	ds_read_b32 v23, v21 offset:12484
	s_waitcnt lgkmcnt(0)
	v_fmac_f32_e32 v20, v22, v23
	s_or_b64 exec, exec, s[12:13]
	v_cmp_gt_u32_e64 s[8:9], 48, v4
	s_and_saveexec_b64 s[12:13], s[8:9]
	s_cbranch_execz .LBB118_939
.LBB118_1187:
	v_lshlrev_b32_e32 v22, 2, v19
	v_sub_u32_e32 v22, v21, v22
	v_lshl_add_u32 v22, v18, 2, v22
	ds_read_b32 v22, v22 offset:13024
	ds_read_b32 v23, v21 offset:12488
	s_waitcnt lgkmcnt(0)
	v_fmac_f32_e32 v20, v22, v23
	s_or_b64 exec, exec, s[12:13]
	v_cmp_gt_u32_e64 s[8:9], 40, v4
	s_and_saveexec_b64 s[12:13], s[8:9]
	s_cbranch_execz .LBB118_940
.LBB118_1188:
	v_lshlrev_b32_e32 v22, 2, v19
	v_sub_u32_e32 v22, v21, v22
	v_lshl_add_u32 v22, v18, 2, v22
	ds_read_b32 v22, v22 offset:13280
	ds_read_b32 v23, v21 offset:12492
	s_waitcnt lgkmcnt(0)
	v_fmac_f32_e32 v20, v22, v23
	s_or_b64 exec, exec, s[12:13]
	v_cmp_gt_u32_e64 s[8:9], 32, v4
	s_and_saveexec_b64 s[12:13], s[8:9]
	s_cbranch_execz .LBB118_941
.LBB118_1189:
	ds_read_b32 v22, v15 offset:13536
	ds_read_b32 v23, v21 offset:12496
	s_waitcnt lgkmcnt(0)
	v_fmac_f32_e32 v20, v22, v23
	s_or_b64 exec, exec, s[12:13]
	v_cmp_gt_u32_e64 s[8:9], 24, v4
	s_and_saveexec_b64 s[12:13], s[8:9]
	s_cbranch_execz .LBB118_942
.LBB118_1190:
	v_lshlrev_b32_e32 v19, 2, v19
	v_sub_u32_e32 v19, v21, v19
	v_lshl_add_u32 v18, v18, 2, v19
	ds_read_b32 v18, v18 offset:13792
	ds_read_b32 v19, v21 offset:12500
	s_waitcnt lgkmcnt(0)
	v_fmac_f32_e32 v20, v18, v19
	s_or_b64 exec, exec, s[12:13]
	v_cmp_gt_u32_e64 s[8:9], 16, v4
	s_and_saveexec_b64 s[12:13], s[8:9]
	s_cbranch_execz .LBB118_943
.LBB118_1191:
	ds_read_b32 v18, v15 offset:14048
	ds_read_b32 v19, v21 offset:12504
	s_waitcnt lgkmcnt(0)
	v_fmac_f32_e32 v20, v18, v19
	s_or_b64 exec, exec, s[12:13]
	v_cmp_gt_u32_e64 s[8:9], 8, v4
	s_and_saveexec_b64 s[12:13], s[8:9]
	s_cbranch_execnz .LBB118_944
	s_branch .LBB118_945
.LBB118_1192:
	v_lshlrev_b32_e32 v14, 2, v14
	v_sub_u32_e32 v14, v16, v14
	v_lshl_add_u32 v13, v13, 2, v14
	ds_read_b32 v13, v13 offset:14832
	ds_read_b32 v14, v16 offset:14564
	s_waitcnt lgkmcnt(0)
	v_fmac_f32_e32 v15, v13, v14
	s_or_b64 exec, exec, s[12:13]
	v_cmp_gt_u32_e64 s[8:9], 8, v4
	s_and_saveexec_b64 s[12:13], s[8:9]
	s_cbranch_execz .LBB118_997
.LBB118_1193:
	ds_read_b32 v13, v6 offset:15088
	ds_read_b32 v14, v16 offset:14568
	s_waitcnt lgkmcnt(0)
	v_fmac_f32_e32 v15, v13, v14
	s_or_b64 exec, exec, s[12:13]
	v_cmp_gt_u32_e64 s[8:9], 4, v4
	s_and_saveexec_b64 s[12:13], s[8:9]
	s_cbranch_execnz .LBB118_998
	s_branch .LBB118_999
	.section	.rodata,"a",@progbits
	.p2align	6, 0x0
	.amdhsa_kernel _ZL19rocblas_trsv_deviceILi64ELi16ELb1ELb0ELb0ELb0EffPKPKfPKPfEviT7_lllT6_T8_lllPii
		.amdhsa_group_segment_fixed_size 20740
		.amdhsa_private_segment_fixed_size 0
		.amdhsa_kernarg_size 352
		.amdhsa_user_sgpr_count 6
		.amdhsa_user_sgpr_private_segment_buffer 1
		.amdhsa_user_sgpr_dispatch_ptr 0
		.amdhsa_user_sgpr_queue_ptr 0
		.amdhsa_user_sgpr_kernarg_segment_ptr 1
		.amdhsa_user_sgpr_dispatch_id 0
		.amdhsa_user_sgpr_flat_scratch_init 0
		.amdhsa_user_sgpr_private_segment_size 0
		.amdhsa_uses_dynamic_stack 0
		.amdhsa_system_sgpr_private_segment_wavefront_offset 0
		.amdhsa_system_sgpr_workgroup_id_x 1
		.amdhsa_system_sgpr_workgroup_id_y 0
		.amdhsa_system_sgpr_workgroup_id_z 1
		.amdhsa_system_sgpr_workgroup_info 0
		.amdhsa_system_vgpr_workitem_id 1
		.amdhsa_next_free_vgpr 34
		.amdhsa_next_free_sgpr 96
		.amdhsa_reserve_vcc 1
		.amdhsa_reserve_flat_scratch 0
		.amdhsa_float_round_mode_32 0
		.amdhsa_float_round_mode_16_64 0
		.amdhsa_float_denorm_mode_32 3
		.amdhsa_float_denorm_mode_16_64 3
		.amdhsa_dx10_clamp 1
		.amdhsa_ieee_mode 1
		.amdhsa_fp16_overflow 0
		.amdhsa_exception_fp_ieee_invalid_op 0
		.amdhsa_exception_fp_denorm_src 0
		.amdhsa_exception_fp_ieee_div_zero 0
		.amdhsa_exception_fp_ieee_overflow 0
		.amdhsa_exception_fp_ieee_underflow 0
		.amdhsa_exception_fp_ieee_inexact 0
		.amdhsa_exception_int_div_zero 0
	.end_amdhsa_kernel
	.section	.text._ZL19rocblas_trsv_deviceILi64ELi16ELb1ELb0ELb0ELb0EffPKPKfPKPfEviT7_lllT6_T8_lllPii,"axG",@progbits,_ZL19rocblas_trsv_deviceILi64ELi16ELb1ELb0ELb0ELb0EffPKPKfPKPfEviT7_lllT6_T8_lllPii,comdat
.Lfunc_end118:
	.size	_ZL19rocblas_trsv_deviceILi64ELi16ELb1ELb0ELb0ELb0EffPKPKfPKPfEviT7_lllT6_T8_lllPii, .Lfunc_end118-_ZL19rocblas_trsv_deviceILi64ELi16ELb1ELb0ELb0ELb0EffPKPKfPKPfEviT7_lllT6_T8_lllPii
                                        ; -- End function
	.set _ZL19rocblas_trsv_deviceILi64ELi16ELb1ELb0ELb0ELb0EffPKPKfPKPfEviT7_lllT6_T8_lllPii.num_vgpr, 34
	.set _ZL19rocblas_trsv_deviceILi64ELi16ELb1ELb0ELb0ELb0EffPKPKfPKPfEviT7_lllT6_T8_lllPii.num_agpr, 0
	.set _ZL19rocblas_trsv_deviceILi64ELi16ELb1ELb0ELb0ELb0EffPKPKfPKPfEviT7_lllT6_T8_lllPii.numbered_sgpr, 96
	.set _ZL19rocblas_trsv_deviceILi64ELi16ELb1ELb0ELb0ELb0EffPKPKfPKPfEviT7_lllT6_T8_lllPii.num_named_barrier, 0
	.set _ZL19rocblas_trsv_deviceILi64ELi16ELb1ELb0ELb0ELb0EffPKPKfPKPfEviT7_lllT6_T8_lllPii.private_seg_size, 0
	.set _ZL19rocblas_trsv_deviceILi64ELi16ELb1ELb0ELb0ELb0EffPKPKfPKPfEviT7_lllT6_T8_lllPii.uses_vcc, 1
	.set _ZL19rocblas_trsv_deviceILi64ELi16ELb1ELb0ELb0ELb0EffPKPKfPKPfEviT7_lllT6_T8_lllPii.uses_flat_scratch, 0
	.set _ZL19rocblas_trsv_deviceILi64ELi16ELb1ELb0ELb0ELb0EffPKPKfPKPfEviT7_lllT6_T8_lllPii.has_dyn_sized_stack, 0
	.set _ZL19rocblas_trsv_deviceILi64ELi16ELb1ELb0ELb0ELb0EffPKPKfPKPfEviT7_lllT6_T8_lllPii.has_recursion, 0
	.set _ZL19rocblas_trsv_deviceILi64ELi16ELb1ELb0ELb0ELb0EffPKPKfPKPfEviT7_lllT6_T8_lllPii.has_indirect_call, 0
	.section	.AMDGPU.csdata,"",@progbits
; Kernel info:
; codeLenInByte = 34352
; TotalNumSgprs: 100
; NumVgprs: 34
; ScratchSize: 0
; MemoryBound: 0
; FloatMode: 240
; IeeeMode: 1
; LDSByteSize: 20740 bytes/workgroup (compile time only)
; SGPRBlocks: 12
; VGPRBlocks: 8
; NumSGPRsForWavesPerEU: 100
; NumVGPRsForWavesPerEU: 34
; Occupancy: 7
; WaveLimiterHint : 1
; COMPUTE_PGM_RSRC2:SCRATCH_EN: 0
; COMPUTE_PGM_RSRC2:USER_SGPR: 6
; COMPUTE_PGM_RSRC2:TRAP_HANDLER: 0
; COMPUTE_PGM_RSRC2:TGID_X_EN: 1
; COMPUTE_PGM_RSRC2:TGID_Y_EN: 0
; COMPUTE_PGM_RSRC2:TGID_Z_EN: 1
; COMPUTE_PGM_RSRC2:TIDIG_COMP_CNT: 1
	.section	.text._ZL19rocblas_trsv_deviceILi64ELi16ELb1ELb1ELb0ELb0EffPKPKfPKPfEviT7_lllT6_T8_lllPii,"axG",@progbits,_ZL19rocblas_trsv_deviceILi64ELi16ELb1ELb1ELb0ELb0EffPKPKfPKPfEviT7_lllT6_T8_lllPii,comdat
	.globl	_ZL19rocblas_trsv_deviceILi64ELi16ELb1ELb1ELb0ELb0EffPKPKfPKPfEviT7_lllT6_T8_lllPii ; -- Begin function _ZL19rocblas_trsv_deviceILi64ELi16ELb1ELb1ELb0ELb0EffPKPKfPKPfEviT7_lllT6_T8_lllPii
	.p2align	8
	.type	_ZL19rocblas_trsv_deviceILi64ELi16ELb1ELb1ELb0ELb0EffPKPKfPKPfEviT7_lllT6_T8_lllPii,@function
_ZL19rocblas_trsv_deviceILi64ELi16ELb1ELb1ELb0ELb0EffPKPKfPKPfEviT7_lllT6_T8_lllPii: ; @_ZL19rocblas_trsv_deviceILi64ELi16ELb1ELb1ELb0ELb0EffPKPKfPKPfEviT7_lllT6_T8_lllPii
; %bb.0:
	s_load_dwordx4 s[0:3], s[4:5], 0x8
	s_mov_b32 s24, s7
	s_mov_b32 s25, 0
	s_lshl_b64 s[8:9], s[24:25], 3
	v_mov_b32_e32 v2, v1
	s_waitcnt lgkmcnt(0)
	s_add_u32 s0, s0, s8
	s_addc_u32 s1, s1, s9
	s_load_dwordx2 s[10:11], s[0:1], 0x0
	s_load_dword s26, s[4:5], 0x0
	s_load_dwordx2 s[34:35], s[4:5], 0x18
	s_load_dwordx4 s[12:15], s[4:5], 0x30
	s_lshl_b64 s[0:1], s[2:3], 2
	s_waitcnt lgkmcnt(0)
	s_add_u32 s89, s10, s0
	s_addc_u32 s90, s11, s1
	s_load_dword s7, s[4:5], 0x60
	s_add_u32 s0, s12, s8
	s_addc_u32 s1, s13, s9
	s_load_dwordx2 s[36:37], s[0:1], 0x0
	s_load_dword s22, s[4:5], 0x6c
	s_waitcnt lgkmcnt(0)
	s_add_i32 s7, s7, -1
	s_sub_i32 s91, s7, s6
	s_cmp_lg_u32 s6, 0
	s_cbranch_scc0 .LBB119_1164
; %bb.1:
	s_lshl_b32 s33, s91, 6
	v_add_u32_e32 v1, s33, v0
	v_ashrrev_i32_e32 v3, 31, v1
	v_mul_lo_u32 v7, s34, v3
	v_mul_lo_u32 v8, s35, v1
	v_mad_u64_u32 v[5:6], s[0:1], s34, v1, 0
	v_add3_u32 v3, v2, s33, 64
	v_ashrrev_i32_e32 v4, 31, v3
	v_add3_u32 v6, v6, v7, v8
	v_lshlrev_b64 v[5:6], 2, v[5:6]
	v_cmp_gt_i32_e32 vcc, s26, v1
	v_mov_b32_e32 v1, s90
	v_add_co_u32_e64 v7, s[0:1], s89, v5
	v_lshlrev_b64 v[4:5], 2, v[3:4]
	v_addc_co_u32_e64 v1, s[0:1], v1, v6, s[0:1]
	v_add_co_u32_e64 v4, s[0:1], v7, v4
	v_addc_co_u32_e64 v5, s[0:1], v1, v5, s[0:1]
	v_cmp_gt_i32_e64 s[0:1], s26, v3
	s_and_b64 s[2:3], s[0:1], vcc
	v_mov_b32_e32 v7, 0
	v_mov_b32_e32 v8, 0
	s_barrier
	s_and_saveexec_b64 s[0:1], s[2:3]
	s_cbranch_execz .LBB119_3
; %bb.2:
	flat_load_dword v8, v[4:5]
.LBB119_3:
	s_or_b64 exec, exec, s[0:1]
	v_add_u32_e32 v1, 16, v3
	v_cmp_gt_i32_e64 s[0:1], s26, v1
	s_and_b64 s[2:3], s[0:1], vcc
	s_waitcnt vmcnt(0) lgkmcnt(0)
	s_barrier
	s_and_saveexec_b64 s[0:1], s[2:3]
	s_cbranch_execz .LBB119_5
; %bb.4:
	flat_load_dword v7, v[4:5] offset:64
.LBB119_5:
	s_or_b64 exec, exec, s[0:1]
	v_add_u32_e32 v1, 32, v3
	v_cmp_gt_i32_e64 s[0:1], s26, v1
	s_and_b64 s[2:3], s[0:1], vcc
	v_mov_b32_e32 v9, 0
	v_mov_b32_e32 v10, 0
	s_waitcnt vmcnt(0) lgkmcnt(0)
	s_barrier
	s_and_saveexec_b64 s[0:1], s[2:3]
	s_cbranch_execz .LBB119_7
; %bb.6:
	flat_load_dword v10, v[4:5] offset:128
.LBB119_7:
	s_or_b64 exec, exec, s[0:1]
	v_add_u32_e32 v1, 48, v3
	v_cmp_gt_i32_e64 s[0:1], s26, v1
	s_and_b64 s[2:3], s[0:1], vcc
	s_waitcnt vmcnt(0) lgkmcnt(0)
	s_barrier
	s_and_saveexec_b64 s[0:1], s[2:3]
	s_cbranch_execz .LBB119_9
; %bb.8:
	flat_load_dword v9, v[4:5] offset:192
.LBB119_9:
	s_or_b64 exec, exec, s[0:1]
	s_branch .LBB119_11
.LBB119_10:
	s_lshl_b32 s33, s91, 6
                                        ; implicit-def: $vgpr8
                                        ; implicit-def: $vgpr7
                                        ; implicit-def: $vgpr10
                                        ; implicit-def: $vgpr9
.LBB119_11:
	s_ashr_i32 s27, s26, 31
	s_lshr_b32 s0, s27, 26
	s_add_i32 s0, s26, s0
	s_andn2_b32 s0, s0, 63
	s_sub_i32 s88, s26, s0
	s_add_i32 s0, s26, -1
	s_ashr_i32 s1, s0, 31
	s_lshr_b32 s1, s1, 26
	s_add_i32 s0, s0, s1
	s_ashr_i32 s0, s0, 6
	s_cmp_eq_u32 s0, s91
	s_cselect_b64 s[0:1], -1, 0
	s_cmp_lg_u32 s88, 0
	s_cselect_b64 s[2:3], -1, 0
	s_and_b64 s[28:29], s[2:3], s[0:1]
	s_cmp_lt_i32 s6, 5
	s_cselect_b64 s[2:3], -1, 0
	s_or_b64 s[0:1], s[2:3], s[28:29]
	s_ashr_i32 s40, s33, 31
	s_add_u32 s10, s34, 1
	v_mov_b32_e32 v1, 0
	v_mov_b32_e32 v3, s33
	v_mad_u64_u32 v[3:4], s[8:9], s10, v3, v[0:1]
	s_addc_u32 s11, s35, 0
	s_mul_i32 s8, s10, s40
	s_mul_i32 s11, s11, s33
	s_add_i32 s8, s8, s11
	s_mov_b64 s[12:13], -1
	v_lshlrev_b32_e32 v11, 6, v0
	v_add_u32_e32 v4, s8, v4
	s_and_b64 vcc, exec, s[28:29]
	v_cmp_le_u32_e64 s[8:9], v0, v2
	s_cbranch_vccnz .LBB119_33
; %bb.12:
	v_mad_u64_u32 v[5:6], s[10:11], s34, v2, v[3:4]
	v_mov_b32_e32 v1, v6
	v_mad_u64_u32 v[12:13], s[10:11], s35, v2, v[1:2]
	s_mov_b64 s[10:11], 0
                                        ; implicit-def: $vgpr1
	v_mov_b32_e32 v6, v12
	s_and_saveexec_b64 s[12:13], s[8:9]
	s_xor_b64 s[8:9], exec, s[12:13]
	s_cbranch_execnz .LBB119_1165
; %bb.13:
	s_andn2_saveexec_b64 s[8:9], s[8:9]
	s_cbranch_execnz .LBB119_1170
.LBB119_14:
	s_or_b64 exec, exec, s[8:9]
	s_and_saveexec_b64 s[8:9], s[10:11]
.LBB119_15:
	v_add_u32_e32 v5, v2, v11
	v_lshl_add_u32 v6, v2, 6, v0
	v_cndmask_b32_e64 v5, v6, v5, s[2:3]
	v_lshlrev_b32_e32 v5, 2, v5
	ds_write_b32 v5, v1
.LBB119_16:
	s_or_b64 exec, exec, s[8:9]
	v_add_u32_e32 v1, 16, v2
	v_mad_u64_u32 v[5:6], s[2:3], s34, v1, v[3:4]
	v_cmp_le_u32_e32 vcc, v0, v1
	s_mov_b64 s[8:9], 0
	v_mad_u64_u32 v[12:13], s[2:3], s35, v1, v[6:7]
	v_mov_b32_e32 v6, v12
                                        ; implicit-def: $vgpr12
	s_and_saveexec_b64 s[2:3], vcc
	s_xor_b64 s[2:3], exec, s[2:3]
	s_cbranch_execnz .LBB119_1171
; %bb.17:
	s_andn2_saveexec_b64 s[2:3], s[2:3]
	s_cbranch_execnz .LBB119_1176
.LBB119_18:
	s_or_b64 exec, exec, s[2:3]
	s_and_saveexec_b64 s[2:3], s[8:9]
.LBB119_19:
	v_add_u32_e32 v5, v1, v11
	v_lshl_add_u32 v1, v1, 6, v0
	v_cndmask_b32_e64 v1, v1, v5, s[0:1]
	v_lshlrev_b32_e32 v1, 2, v1
	ds_write_b32 v1, v12
.LBB119_20:
	s_or_b64 exec, exec, s[2:3]
	v_add_u32_e32 v1, 32, v2
	v_mad_u64_u32 v[5:6], s[2:3], s34, v1, v[3:4]
	v_cmp_le_u32_e32 vcc, v0, v1
	s_mov_b64 s[8:9], 0
	v_mad_u64_u32 v[12:13], s[2:3], s35, v1, v[6:7]
	v_mov_b32_e32 v6, v12
                                        ; implicit-def: $vgpr12
	s_and_saveexec_b64 s[2:3], vcc
	s_xor_b64 s[2:3], exec, s[2:3]
	s_cbranch_execnz .LBB119_1177
; %bb.21:
	s_andn2_saveexec_b64 s[2:3], s[2:3]
	s_cbranch_execnz .LBB119_1182
.LBB119_22:
	s_or_b64 exec, exec, s[2:3]
	s_and_saveexec_b64 s[2:3], s[8:9]
.LBB119_23:
	v_add_u32_e32 v5, v1, v11
	v_lshl_add_u32 v1, v1, 6, v0
	v_cndmask_b32_e64 v1, v1, v5, s[0:1]
	v_lshlrev_b32_e32 v1, 2, v1
	ds_write_b32 v1, v12
.LBB119_24:
	s_or_b64 exec, exec, s[2:3]
	v_add_u32_e32 v12, 48, v2
	v_mad_u64_u32 v[5:6], s[2:3], s34, v12, v[3:4]
	v_cmp_le_u32_e32 vcc, v0, v12
	s_mov_b64 s[10:11], 0
	v_mov_b32_e32 v1, v6
	v_mad_u64_u32 v[13:14], s[2:3], s35, v12, v[1:2]
                                        ; implicit-def: $vgpr1
	v_mov_b32_e32 v6, v13
	s_and_saveexec_b64 s[2:3], vcc
	s_xor_b64 s[2:3], exec, s[2:3]
	s_cbranch_execz .LBB119_30
; %bb.25:
	v_cmp_ne_u32_e32 vcc, v0, v12
	s_mov_b64 s[8:9], 0
	s_and_saveexec_b64 s[10:11], vcc
	s_xor_b64 s[10:11], exec, s[10:11]
; %bb.26:
	v_or_b32_e32 v1, v12, v0
	v_cmp_gt_u32_e32 vcc, 64, v1
	s_and_b64 s[8:9], vcc, exec
                                        ; implicit-def: $vgpr5_vgpr6
; %bb.27:
	s_or_saveexec_b64 s[10:11], s[10:11]
	v_mov_b32_e32 v1, 0
	s_xor_b64 exec, exec, s[10:11]
	s_cbranch_execz .LBB119_29
; %bb.28:
	v_lshlrev_b64 v[5:6], 2, v[5:6]
	v_mov_b32_e32 v1, s90
	v_add_co_u32_e32 v5, vcc, s89, v5
	v_addc_co_u32_e32 v6, vcc, v1, v6, vcc
	flat_load_dword v1, v[5:6]
	s_or_b64 s[8:9], s[8:9], exec
	s_waitcnt vmcnt(0) lgkmcnt(0)
	v_div_scale_f32 v5, s[12:13], v1, v1, 1.0
	v_div_scale_f32 v6, vcc, 1.0, v1, 1.0
	v_rcp_f32_e32 v13, v5
	v_fma_f32 v14, -v5, v13, 1.0
	v_fmac_f32_e32 v13, v14, v13
	v_mul_f32_e32 v14, v6, v13
	v_fma_f32 v15, -v5, v14, v6
	v_fmac_f32_e32 v14, v15, v13
	v_fma_f32 v5, -v5, v14, v6
	v_div_fmas_f32 v5, v5, v13, v14
	v_div_fixup_f32 v1, v5, v1, 1.0
.LBB119_29:
	s_or_b64 exec, exec, s[10:11]
	s_and_b64 s[10:11], s[8:9], exec
                                        ; implicit-def: $vgpr5_vgpr6
.LBB119_30:
	s_or_saveexec_b64 s[2:3], s[2:3]
	v_add_u32_e32 v13, v12, v11
	v_lshl_add_u32 v12, v12, 6, v0
	s_xor_b64 exec, exec, s[2:3]
	s_cbranch_execz .LBB119_32
; %bb.31:
	v_lshlrev_b64 v[5:6], 2, v[5:6]
	v_mov_b32_e32 v1, s90
	v_add_co_u32_e32 v5, vcc, s89, v5
	v_addc_co_u32_e32 v6, vcc, v1, v6, vcc
	flat_load_dword v1, v[5:6]
	s_or_b64 s[10:11], s[10:11], exec
	s_waitcnt vmcnt(0) lgkmcnt(0)
	v_xor_b32_e32 v1, 0x80000000, v1
.LBB119_32:
	s_or_b64 exec, exec, s[2:3]
	v_cndmask_b32_e64 v5, v12, v13, s[0:1]
	s_load_dwordx2 s[30:31], s[4:5], 0x40
	s_branch .LBB119_55
.LBB119_33:
	s_mov_b64 s[10:11], 0
                                        ; implicit-def: $vgpr1
                                        ; implicit-def: $vgpr5
	s_load_dwordx2 s[30:31], s[4:5], 0x40
	s_and_b64 vcc, exec, s[12:13]
	s_cbranch_vccz .LBB119_55
; %bb.34:
	v_mad_u64_u32 v[5:6], s[2:3], s34, v2, v[3:4]
	v_cmp_le_u32_e32 vcc, v0, v2
	v_cmp_gt_i32_e64 s[2:3], s88, v0
	v_mov_b32_e32 v1, v6
	v_mad_u64_u32 v[12:13], s[8:9], s35, v2, v[1:2]
	v_max_i32_e32 v1, v2, v0
	v_cmp_le_i32_e64 s[8:9], s88, v1
	v_mov_b32_e32 v6, v12
	s_or_b64 s[8:9], s[8:9], vcc
	s_mov_b64 s[12:13], 0
                                        ; implicit-def: $vgpr1
	s_and_saveexec_b64 s[14:15], s[8:9]
	s_xor_b64 s[8:9], exec, s[14:15]
	s_cbranch_execnz .LBB119_1183
; %bb.35:
	s_andn2_saveexec_b64 s[8:9], s[8:9]
	s_cbranch_execnz .LBB119_1188
.LBB119_36:
	s_or_b64 exec, exec, s[8:9]
	s_and_saveexec_b64 s[8:9], s[12:13]
.LBB119_37:
	v_lshlrev_b32_e32 v5, 2, v11
	v_lshl_add_u32 v5, v2, 2, v5
	ds_write_b32 v5, v1
.LBB119_38:
	s_or_b64 exec, exec, s[8:9]
	v_add_u32_e32 v1, 16, v2
	v_mad_u64_u32 v[5:6], s[8:9], s34, v1, v[3:4]
	v_cmp_gt_u32_e32 vcc, v0, v1
	s_mov_b64 s[12:13], 0
	v_mad_u64_u32 v[12:13], s[8:9], s35, v1, v[6:7]
	v_cmp_gt_i32_e64 s[8:9], s88, v1
	s_and_b64 s[8:9], vcc, s[8:9]
	s_and_b64 s[8:9], s[2:3], s[8:9]
	v_mov_b32_e32 v6, v12
	s_xor_b64 s[8:9], s[8:9], -1
                                        ; implicit-def: $vgpr12
	s_and_saveexec_b64 s[14:15], s[8:9]
	s_xor_b64 s[8:9], exec, s[14:15]
	s_cbranch_execnz .LBB119_1189
; %bb.39:
	s_andn2_saveexec_b64 s[8:9], s[8:9]
	s_cbranch_execnz .LBB119_1194
.LBB119_40:
	s_or_b64 exec, exec, s[8:9]
	s_and_saveexec_b64 s[8:9], s[12:13]
.LBB119_41:
	v_add_u32_e32 v5, v1, v11
	v_lshl_add_u32 v1, v1, 6, v0
	v_cndmask_b32_e64 v1, v1, v5, s[0:1]
	v_lshlrev_b32_e32 v1, 2, v1
	ds_write_b32 v1, v12
.LBB119_42:
	s_or_b64 exec, exec, s[8:9]
	v_add_u32_e32 v1, 32, v2
	v_mad_u64_u32 v[5:6], s[8:9], s34, v1, v[3:4]
	v_cmp_gt_u32_e32 vcc, v0, v1
	s_mov_b64 s[12:13], 0
	v_mad_u64_u32 v[12:13], s[8:9], s35, v1, v[6:7]
	v_cmp_gt_i32_e64 s[8:9], s88, v1
	s_and_b64 s[8:9], vcc, s[8:9]
	s_and_b64 s[8:9], s[2:3], s[8:9]
	v_mov_b32_e32 v6, v12
	s_xor_b64 s[8:9], s[8:9], -1
                                        ; implicit-def: $vgpr12
	s_and_saveexec_b64 s[14:15], s[8:9]
	s_xor_b64 s[8:9], exec, s[14:15]
	s_cbranch_execnz .LBB119_1195
; %bb.43:
	s_andn2_saveexec_b64 s[8:9], s[8:9]
	s_cbranch_execnz .LBB119_1200
.LBB119_44:
	s_or_b64 exec, exec, s[8:9]
	s_and_saveexec_b64 s[8:9], s[12:13]
.LBB119_45:
	v_add_u32_e32 v5, v1, v11
	v_lshl_add_u32 v1, v1, 6, v0
	v_cndmask_b32_e64 v1, v1, v5, s[0:1]
	v_lshlrev_b32_e32 v1, 2, v1
	ds_write_b32 v1, v12
.LBB119_46:
	s_or_b64 exec, exec, s[8:9]
	v_add_u32_e32 v5, 48, v2
	v_mad_u64_u32 v[3:4], s[8:9], s34, v5, v[3:4]
	v_cmp_gt_u32_e32 vcc, v0, v5
	v_mov_b32_e32 v1, v4
	v_mad_u64_u32 v[12:13], s[8:9], s35, v5, v[1:2]
	v_cmp_gt_i32_e64 s[8:9], s88, v5
	s_and_b64 s[8:9], vcc, s[8:9]
	s_and_b64 s[8:9], s[2:3], s[8:9]
	v_mov_b32_e32 v4, v12
	s_xor_b64 s[8:9], s[8:9], -1
                                        ; implicit-def: $vgpr1
	s_and_saveexec_b64 s[12:13], s[8:9]
	s_xor_b64 s[8:9], exec, s[12:13]
	s_cbranch_execz .LBB119_52
; %bb.47:
	v_cmp_ne_u32_e32 vcc, v0, v5
	s_xor_b64 s[2:3], s[2:3], -1
	s_or_b64 s[12:13], s[2:3], vcc
	s_mov_b64 s[2:3], s[10:11]
	s_and_saveexec_b64 s[14:15], s[12:13]
	s_xor_b64 s[12:13], exec, s[14:15]
; %bb.48:
	v_or_b32_e32 v1, v5, v0
	v_cmp_gt_u32_e32 vcc, 64, v1
	s_andn2_b64 s[2:3], s[10:11], exec
	s_and_b64 s[14:15], vcc, exec
	s_or_b64 s[2:3], s[2:3], s[14:15]
                                        ; implicit-def: $vgpr3_vgpr4
; %bb.49:
	s_or_saveexec_b64 s[12:13], s[12:13]
	v_mov_b32_e32 v1, 0
	s_xor_b64 exec, exec, s[12:13]
	s_cbranch_execz .LBB119_51
; %bb.50:
	v_lshlrev_b64 v[3:4], 2, v[3:4]
	v_mov_b32_e32 v1, s90
	v_add_co_u32_e32 v3, vcc, s89, v3
	v_addc_co_u32_e32 v4, vcc, v1, v4, vcc
	flat_load_dword v1, v[3:4]
	s_or_b64 s[2:3], s[2:3], exec
	s_waitcnt vmcnt(0) lgkmcnt(0)
	v_div_scale_f32 v3, s[14:15], v1, v1, 1.0
	v_div_scale_f32 v4, vcc, 1.0, v1, 1.0
	v_rcp_f32_e32 v6, v3
	v_fma_f32 v12, -v3, v6, 1.0
	v_fmac_f32_e32 v6, v12, v6
	v_mul_f32_e32 v12, v4, v6
	v_fma_f32 v13, -v3, v12, v4
	v_fmac_f32_e32 v12, v13, v6
	v_fma_f32 v3, -v3, v12, v4
	v_div_fmas_f32 v3, v3, v6, v12
	v_div_fixup_f32 v1, v3, v1, 1.0
.LBB119_51:
	s_or_b64 exec, exec, s[12:13]
	s_andn2_b64 s[10:11], s[10:11], exec
	s_and_b64 s[2:3], s[2:3], exec
	s_or_b64 s[10:11], s[10:11], s[2:3]
                                        ; implicit-def: $vgpr3_vgpr4
.LBB119_52:
	s_or_saveexec_b64 s[2:3], s[8:9]
	v_add_u32_e32 v6, v5, v11
	v_lshl_add_u32 v5, v5, 6, v0
	s_xor_b64 exec, exec, s[2:3]
	s_cbranch_execz .LBB119_54
; %bb.53:
	v_lshlrev_b64 v[3:4], 2, v[3:4]
	v_mov_b32_e32 v1, s90
	v_add_co_u32_e32 v3, vcc, s89, v3
	v_addc_co_u32_e32 v4, vcc, v1, v4, vcc
	flat_load_dword v1, v[3:4]
	s_or_b64 s[10:11], s[10:11], exec
	s_waitcnt vmcnt(0) lgkmcnt(0)
	v_xor_b32_e32 v1, 0x80000000, v1
.LBB119_54:
	s_or_b64 exec, exec, s[2:3]
	v_cndmask_b32_e64 v5, v5, v6, s[0:1]
.LBB119_55:
	s_xor_b64 s[0:1], s[0:1], -1
	s_and_saveexec_b64 s[2:3], s[10:11]
; %bb.56:
	v_lshlrev_b32_e32 v3, 2, v5
	ds_write_b32 v3, v1
; %bb.57:
	s_or_b64 exec, exec, s[2:3]
	v_cndmask_b32_e64 v1, 0, 1, s[0:1]
	v_cmp_ne_u32_e64 s[46:47], 1, v1
	s_andn2_b64 vcc, exec, s[0:1]
	s_waitcnt vmcnt(0) lgkmcnt(0)
	s_barrier
	s_cbranch_vccnz .LBB119_1095
; %bb.58:
	v_or_b32_e32 v1, v0, v2
	v_cmp_eq_u32_e32 vcc, 0, v1
	s_and_saveexec_b64 s[0:1], vcc
	s_cbranch_execz .LBB119_60
; %bb.59:
	v_mov_b32_e32 v1, 0
	ds_read_b64 v[3:4], v1
	ds_read_b32 v5, v1 offset:260
	s_waitcnt lgkmcnt(0)
	v_mul_f32_e32 v3, v3, v5
	v_mul_f32_e32 v3, v4, v3
	ds_write2_b32 v1, v3, v3 offset0:1 offset1:64
.LBB119_60:
	s_or_b64 exec, exec, s[0:1]
	v_lshl_add_u32 v4, v2, 6, v0
	v_and_b32_e32 v11, 1, v0
	v_lshrrev_b32_e32 v5, 1, v4
	v_lshlrev_b32_e32 v1, 2, v11
	v_cmp_lt_u32_e64 s[8:9], 3, v4
	v_cmp_gt_u32_e64 s[2:3], 4, v4
	v_lshl_or_b32 v1, v5, 8, v1
	v_mov_b32_e32 v6, 0
	s_waitcnt lgkmcnt(0)
	s_barrier
	s_and_saveexec_b64 s[0:1], s[2:3]
	s_cbranch_execz .LBB119_64
; %bb.61:
	v_mul_u32_u24_e32 v3, 0x104, v5
	ds_read_b32 v12, v1 offset:8
	ds_read_b32 v3, v3
	v_mov_b32_e32 v6, 0
	v_cmp_gt_u32_e64 s[10:11], 2, v4
	s_waitcnt lgkmcnt(0)
	v_fma_f32 v3, v12, v3, 0
	s_and_saveexec_b64 s[12:13], s[10:11]
	s_cbranch_execz .LBB119_63
; %bb.62:
	v_lshlrev_b32_e32 v12, 2, v0
	ds_read_b32 v12, v12 offset:264
	ds_read_b32 v6, v6 offset:4
	s_waitcnt lgkmcnt(0)
	v_fmac_f32_e32 v3, v12, v6
.LBB119_63:
	s_or_b64 exec, exec, s[12:13]
	v_xor_b32_e32 v6, 0x80000000, v3
.LBB119_64:
                                        ; implicit-def: $vgpr33 : SGPR spill to VGPR lane
	v_writelane_b32 v33, s40, 0
	s_or_b64 exec, exec, s[0:1]
	v_mov_b32_e32 v3, 0x4000
	v_cmp_eq_u32_e64 s[10:11], 0, v11
	s_xor_b64 s[0:1], s[8:9], -1
	v_lshl_add_u32 v3, v5, 2, v3
	s_and_b64 s[40:41], s[10:11], s[0:1]
	s_and_saveexec_b64 s[8:9], s[40:41]
	s_cbranch_execz .LBB119_66
; %bb.65:
	v_mov_b32_e32 v12, 0
	ds_read_b32 v12, v12 offset:520
	s_waitcnt lgkmcnt(0)
	v_mul_f32_e32 v6, v6, v12
	ds_write_b32 v3, v6
.LBB119_66:
	s_or_b64 exec, exec, s[8:9]
	v_cmp_ne_u32_e64 s[8:9], 0, v11
	s_and_b64 s[38:39], s[8:9], s[0:1]
	s_waitcnt lgkmcnt(0)
	s_barrier
	s_and_saveexec_b64 s[0:1], s[38:39]
	s_cbranch_execz .LBB119_68
; %bb.67:
	v_mov_b32_e32 v11, 0
	ds_read_b32 v11, v11 offset:524
	ds_read_b32 v12, v3
	s_waitcnt lgkmcnt(0)
	v_fmac_f32_e32 v6, v11, v12
.LBB119_68:
	s_or_b64 exec, exec, s[0:1]
	s_barrier
	s_and_saveexec_b64 s[0:1], s[38:39]
	s_cbranch_execz .LBB119_70
; %bb.69:
	v_mov_b32_e32 v11, 0
	ds_read_b32 v11, v11 offset:780
	s_waitcnt lgkmcnt(0)
	v_mul_f32_e32 v6, v6, v11
	ds_write_b32 v3, v6
.LBB119_70:
	s_or_b64 exec, exec, s[0:1]
	s_waitcnt lgkmcnt(0)
	s_barrier
	s_barrier
	s_and_saveexec_b64 s[0:1], s[2:3]
; %bb.71:
	v_xor_b32_e32 v6, 0x80000000, v6
	ds_write_b32 v1, v6 offset:8
; %bb.72:
	s_or_b64 exec, exec, s[0:1]
	v_cmp_eq_u32_e64 s[12:13], 0, v2
	v_cmp_gt_u32_e64 s[8:9], 2, v0
	s_and_b64 s[42:43], s[12:13], s[8:9]
	s_waitcnt lgkmcnt(0)
	s_barrier
	s_barrier
	s_and_saveexec_b64 s[0:1], s[42:43]
	s_cbranch_execz .LBB119_74
; %bb.73:
	v_lshlrev_b32_e32 v6, 2, v0
	s_movk_i32 s8, 0xfc
	v_mad_u32_u24 v11, v0, s8, v6
	ds_read_b32 v12, v11 offset:8
	s_waitcnt lgkmcnt(0)
	ds_write_b32 v6, v12 offset:512
	ds_read_b32 v11, v11 offset:12
	s_waitcnt lgkmcnt(0)
	ds_write_b32 v6, v11 offset:768
.LBB119_74:
	s_or_b64 exec, exec, s[0:1]
	s_waitcnt lgkmcnt(0)
	s_barrier
	s_and_saveexec_b64 s[0:1], vcc
	s_cbranch_execz .LBB119_76
; %bb.75:
	v_mov_b32_e32 v6, 0
	ds_read_b64 v[11:12], v6 offset:520
	ds_read_b32 v13, v6 offset:780
	s_waitcnt lgkmcnt(0)
	v_mul_f32_e32 v11, v11, v13
	v_mul_f32_e32 v11, v12, v11
	ds_write2_b32 v6, v11, v11 offset0:131 offset1:194
.LBB119_76:
	s_or_b64 exec, exec, s[0:1]
	v_and_b32_e32 v13, 3, v0
	v_lshrrev_b32_e32 v14, 2, v4
	v_lshlrev_b32_e32 v11, 2, v13
	v_cmp_lt_u32_e64 s[8:9], 15, v4
	v_cmp_gt_u32_e64 s[18:19], 16, v4
	v_lshl_or_b32 v6, v14, 8, v11
	v_mov_b32_e32 v15, 0
	s_waitcnt lgkmcnt(0)
	s_barrier
	s_and_saveexec_b64 s[0:1], s[18:19]
	s_cbranch_execz .LBB119_82
; %bb.77:
	v_mul_u32_u24_e32 v15, 0x104, v14
	ds_read_b32 v12, v6 offset:16
	ds_read_b32 v16, v15
	v_cmp_gt_u32_e64 s[10:11], 12, v4
	s_waitcnt lgkmcnt(0)
	v_fma_f32 v12, v12, v16, 0
	s_and_saveexec_b64 s[14:15], s[10:11]
	s_cbranch_execnz .LBB119_1205
; %bb.78:
	s_or_b64 exec, exec, s[14:15]
	v_cmp_gt_u32_e64 s[10:11], 8, v4
	s_and_saveexec_b64 s[14:15], s[10:11]
	s_cbranch_execnz .LBB119_1206
.LBB119_79:
	s_or_b64 exec, exec, s[14:15]
	v_cmp_gt_u32_e64 s[10:11], 4, v4
	s_and_saveexec_b64 s[14:15], s[10:11]
	s_cbranch_execz .LBB119_81
.LBB119_80:
	v_lshlrev_b32_e32 v15, 2, v0
	v_mov_b32_e32 v16, 0
	ds_read_b32 v15, v15 offset:784
	ds_read_b32 v16, v16 offset:12
	s_waitcnt lgkmcnt(0)
	v_fmac_f32_e32 v12, v15, v16
.LBB119_81:
	s_or_b64 exec, exec, s[14:15]
	v_xor_b32_e32 v15, 0x80000000, v12
.LBB119_82:
	v_writelane_b32 v33, s46, 1
	v_writelane_b32 v33, s47, 2
	s_or_b64 exec, exec, s[0:1]
	v_mov_b32_e32 v12, 0x4000
	v_cmp_eq_u32_e64 s[10:11], 0, v13
	s_xor_b64 s[0:1], s[8:9], -1
	v_lshl_add_u32 v12, v14, 2, v12
	s_and_b64 s[46:47], s[10:11], s[0:1]
	s_and_saveexec_b64 s[8:9], s[46:47]
	s_cbranch_execz .LBB119_84
; %bb.83:
	v_mov_b32_e32 v16, 0
	ds_read_b32 v16, v16 offset:1040
	s_waitcnt lgkmcnt(0)
	v_mul_f32_e32 v15, v15, v16
	ds_write_b32 v12, v15
.LBB119_84:
	s_or_b64 exec, exec, s[8:9]
	v_cmp_ne_u32_e64 s[8:9], 0, v13
	s_and_b64 s[48:49], s[8:9], s[0:1]
	s_waitcnt lgkmcnt(0)
	s_barrier
	s_and_saveexec_b64 s[8:9], s[48:49]
	s_cbranch_execz .LBB119_86
; %bb.85:
	ds_read_b32 v16, v11 offset:1040
	ds_read_b32 v17, v12
	s_waitcnt lgkmcnt(0)
	v_fmac_f32_e32 v15, v16, v17
.LBB119_86:
	s_or_b64 exec, exec, s[8:9]
	v_cmp_eq_u32_e64 s[8:9], 1, v13
	s_and_b64 s[50:51], s[8:9], s[0:1]
	s_barrier
	s_and_saveexec_b64 s[8:9], s[50:51]
	s_cbranch_execz .LBB119_88
; %bb.87:
	v_mov_b32_e32 v16, 0
	ds_read_b32 v16, v16 offset:1300
	s_waitcnt lgkmcnt(0)
	v_mul_f32_e32 v15, v15, v16
	ds_write_b32 v12, v15
.LBB119_88:
	s_or_b64 exec, exec, s[8:9]
	v_cmp_lt_u32_e64 s[8:9], 1, v13
	s_and_b64 s[52:53], s[8:9], s[0:1]
	s_waitcnt lgkmcnt(0)
	s_barrier
	s_and_saveexec_b64 s[8:9], s[52:53]
	s_cbranch_execz .LBB119_90
; %bb.89:
	ds_read_b32 v16, v11 offset:1296
	ds_read_b32 v17, v12
	s_waitcnt lgkmcnt(0)
	v_fmac_f32_e32 v15, v16, v17
.LBB119_90:
	s_or_b64 exec, exec, s[8:9]
	v_cmp_eq_u32_e64 s[8:9], 2, v13
	s_and_b64 s[54:55], s[8:9], s[0:1]
	s_barrier
	s_and_saveexec_b64 s[8:9], s[54:55]
	s_cbranch_execz .LBB119_92
; %bb.91:
	v_mov_b32_e32 v16, 0
	ds_read_b32 v16, v16 offset:1560
	s_waitcnt lgkmcnt(0)
	v_mul_f32_e32 v15, v15, v16
	ds_write_b32 v12, v15
.LBB119_92:
	s_or_b64 exec, exec, s[8:9]
	v_cmp_eq_u32_e64 s[8:9], 3, v13
	s_and_b64 s[44:45], s[8:9], s[0:1]
	s_waitcnt lgkmcnt(0)
	s_barrier
	s_and_saveexec_b64 s[0:1], s[44:45]
	s_cbranch_execz .LBB119_94
; %bb.93:
	v_mov_b32_e32 v16, 0
	ds_read_b32 v16, v16 offset:1564
	ds_read_b32 v17, v12
	s_waitcnt lgkmcnt(0)
	v_fmac_f32_e32 v15, v16, v17
.LBB119_94:
	s_or_b64 exec, exec, s[0:1]
	s_barrier
	s_and_saveexec_b64 s[0:1], s[44:45]
	s_cbranch_execz .LBB119_96
; %bb.95:
	v_mov_b32_e32 v16, 0
	ds_read_b32 v16, v16 offset:1820
	s_waitcnt lgkmcnt(0)
	v_mul_f32_e32 v15, v15, v16
	ds_write_b32 v12, v15
.LBB119_96:
	s_or_b64 exec, exec, s[0:1]
	s_waitcnt lgkmcnt(0)
	s_barrier
	s_barrier
	s_and_saveexec_b64 s[0:1], s[18:19]
; %bb.97:
	v_xor_b32_e32 v15, 0x80000000, v15
	ds_write_b32 v6, v15 offset:16
; %bb.98:
	s_or_b64 exec, exec, s[0:1]
	v_cmp_gt_u32_e64 s[8:9], 4, v0
	s_and_b64 s[56:57], s[12:13], s[8:9]
	s_waitcnt lgkmcnt(0)
	s_barrier
	s_barrier
	s_and_saveexec_b64 s[0:1], s[56:57]
	s_cbranch_execz .LBB119_100
; %bb.99:
	v_lshlrev_b32_e32 v15, 8, v0
	ds_read_b32 v16, v15 offset:16
	s_movk_i32 s8, 0xff04
	v_mad_i32_i24 v17, v0, s8, v15
	s_waitcnt lgkmcnt(0)
	ds_write_b32 v17, v16 offset:1024
	ds_read_b32 v16, v15 offset:20
	s_waitcnt lgkmcnt(0)
	ds_write_b32 v17, v16 offset:1280
	ds_read_b32 v16, v15 offset:24
	s_waitcnt lgkmcnt(0)
	ds_write_b32 v17, v16 offset:1536
	ds_read_b32 v15, v15 offset:28
	s_waitcnt lgkmcnt(0)
	ds_write_b32 v17, v15 offset:1792
.LBB119_100:
	s_or_b64 exec, exec, s[0:1]
	s_waitcnt lgkmcnt(0)
	s_barrier
	s_and_saveexec_b64 s[0:1], vcc
	s_cbranch_execz .LBB119_102
; %bb.101:
	v_mov_b32_e32 v17, 0
	ds_read_b64 v[15:16], v17 offset:1040
	ds_read_b32 v17, v17 offset:1300
	s_movk_i32 s8, 0x400
	s_waitcnt lgkmcnt(0)
	v_mul_f32_e32 v15, v15, v17
	v_mul_f32_e32 v15, v16, v15
	v_add_u32_e64 v16, s8, 0
	ds_write2_b32 v16, v15, v15 offset0:5 offset1:68
.LBB119_102:
	s_or_b64 exec, exec, s[0:1]
	v_mov_b32_e32 v15, 0
	s_waitcnt lgkmcnt(0)
	s_barrier
	s_and_saveexec_b64 s[0:1], s[2:3]
	s_cbranch_execz .LBB119_106
; %bb.103:
	v_mul_u32_u24_e32 v15, 0x104, v5
	ds_read_b32 v17, v1 offset:1048
	ds_read_b32 v15, v15 offset:1040
	v_mov_b32_e32 v16, 0
	v_cmp_gt_u32_e64 s[8:9], 2, v4
	s_waitcnt lgkmcnt(0)
	v_fma_f32 v15, v17, v15, 0
	s_and_saveexec_b64 s[10:11], s[8:9]
	s_cbranch_execz .LBB119_105
; %bb.104:
	v_lshlrev_b32_e32 v17, 2, v0
	ds_read_b32 v17, v17 offset:1304
	ds_read_b32 v16, v16 offset:1044
	s_waitcnt lgkmcnt(0)
	v_fmac_f32_e32 v15, v17, v16
.LBB119_105:
	s_or_b64 exec, exec, s[10:11]
	v_xor_b32_e32 v15, 0x80000000, v15
.LBB119_106:
	s_or_b64 exec, exec, s[0:1]
	s_and_saveexec_b64 s[0:1], s[40:41]
	s_cbranch_execz .LBB119_108
; %bb.107:
	v_mov_b32_e32 v16, 0
	ds_read_b32 v16, v16 offset:1560
	s_waitcnt lgkmcnt(0)
	v_mul_f32_e32 v15, v15, v16
	ds_write_b32 v3, v15
.LBB119_108:
	s_or_b64 exec, exec, s[0:1]
	s_waitcnt lgkmcnt(0)
	s_barrier
	s_and_saveexec_b64 s[0:1], s[38:39]
	s_cbranch_execz .LBB119_110
; %bb.109:
	v_mov_b32_e32 v16, 0
	ds_read_b32 v16, v16 offset:1564
	ds_read_b32 v17, v3
	s_waitcnt lgkmcnt(0)
	v_fmac_f32_e32 v15, v16, v17
.LBB119_110:
	s_or_b64 exec, exec, s[0:1]
	s_barrier
	s_and_saveexec_b64 s[0:1], s[38:39]
	s_cbranch_execz .LBB119_112
; %bb.111:
	v_mov_b32_e32 v16, 0
	ds_read_b32 v16, v16 offset:1820
	s_waitcnt lgkmcnt(0)
	v_mul_f32_e32 v15, v15, v16
	ds_write_b32 v3, v15
.LBB119_112:
	s_or_b64 exec, exec, s[0:1]
	s_waitcnt lgkmcnt(0)
	s_barrier
	s_barrier
	s_and_saveexec_b64 s[0:1], s[2:3]
; %bb.113:
	v_xor_b32_e32 v15, 0x80000000, v15
	ds_write_b32 v1, v15 offset:1048
; %bb.114:
	s_or_b64 exec, exec, s[0:1]
	s_waitcnt lgkmcnt(0)
	s_barrier
	s_barrier
	s_and_saveexec_b64 s[0:1], s[42:43]
	s_cbranch_execz .LBB119_116
; %bb.115:
	v_lshlrev_b32_e32 v15, 2, v0
	s_movk_i32 s8, 0xfc
	v_mad_u32_u24 v16, v0, s8, v15
	ds_read_b32 v17, v16 offset:1048
	s_waitcnt lgkmcnt(0)
	ds_write_b32 v15, v17 offset:1552
	ds_read_b32 v16, v16 offset:1052
	s_waitcnt lgkmcnt(0)
	ds_write_b32 v15, v16 offset:1808
.LBB119_116:
	s_or_b64 exec, exec, s[0:1]
	s_waitcnt lgkmcnt(0)
	s_barrier
	s_and_saveexec_b64 s[0:1], vcc
	s_cbranch_execz .LBB119_118
; %bb.117:
	v_mov_b32_e32 v17, 0
	ds_read_b64 v[15:16], v17 offset:1560
	ds_read_b32 v17, v17 offset:1820
	s_movk_i32 s8, 0x400
	s_waitcnt lgkmcnt(0)
	v_mul_f32_e32 v15, v15, v17
	v_mul_f32_e32 v15, v16, v15
	v_add_u32_e64 v16, s8, 0
	ds_write2_b32 v16, v15, v15 offset0:135 offset1:198
.LBB119_118:
	s_or_b64 exec, exec, s[0:1]
	v_and_b32_e32 v18, 7, v0
	v_lshrrev_b32_e32 v19, 3, v4
	v_lshlrev_b32_e32 v16, 2, v18
	v_cmp_lt_u32_e64 s[10:11], 63, v4
	v_cmp_gt_u32_e64 s[8:9], 64, v4
	v_lshl_or_b32 v15, v19, 8, v16
	v_mov_b32_e32 v20, 0
	s_waitcnt lgkmcnt(0)
	s_barrier
	s_and_saveexec_b64 s[0:1], s[8:9]
	s_cbranch_execz .LBB119_128
; %bb.119:
	v_mul_u32_u24_e32 v20, 0x104, v19
	ds_read_b32 v17, v15 offset:32
	ds_read_b32 v21, v20
	v_cmp_gt_u32_e64 s[14:15], 56, v4
	s_waitcnt lgkmcnt(0)
	v_fma_f32 v17, v17, v21, 0
	s_and_saveexec_b64 s[16:17], s[14:15]
	s_cbranch_execnz .LBB119_1207
; %bb.120:
	s_or_b64 exec, exec, s[16:17]
	v_cmp_gt_u32_e64 s[14:15], 48, v4
	s_and_saveexec_b64 s[16:17], s[14:15]
	s_cbranch_execnz .LBB119_1208
.LBB119_121:
	s_or_b64 exec, exec, s[16:17]
	v_cmp_gt_u32_e64 s[14:15], 40, v4
	s_and_saveexec_b64 s[16:17], s[14:15]
	s_cbranch_execnz .LBB119_1209
.LBB119_122:
	s_or_b64 exec, exec, s[16:17]
	v_cmp_gt_u32_e64 s[14:15], 32, v4
	s_and_saveexec_b64 s[16:17], s[14:15]
	s_cbranch_execnz .LBB119_1210
.LBB119_123:
	s_or_b64 exec, exec, s[16:17]
	v_cmp_gt_u32_e64 s[14:15], 24, v4
	s_and_saveexec_b64 s[16:17], s[14:15]
	s_cbranch_execnz .LBB119_1211
.LBB119_124:
	s_or_b64 exec, exec, s[16:17]
	v_cmp_gt_u32_e64 s[14:15], 16, v4
	s_and_saveexec_b64 s[16:17], s[14:15]
	s_cbranch_execnz .LBB119_1212
.LBB119_125:
	s_or_b64 exec, exec, s[16:17]
	v_cmp_gt_u32_e64 s[14:15], 8, v4
	s_and_saveexec_b64 s[16:17], s[14:15]
	s_cbranch_execz .LBB119_127
.LBB119_126:
	v_lshlrev_b32_e32 v20, 2, v0
	v_mov_b32_e32 v21, 0
	ds_read_b32 v20, v20 offset:1824
	ds_read_b32 v21, v21 offset:28
	s_waitcnt lgkmcnt(0)
	v_fmac_f32_e32 v17, v20, v21
.LBB119_127:
	s_or_b64 exec, exec, s[16:17]
	v_xor_b32_e32 v20, 0x80000000, v17
.LBB119_128:
	s_or_b64 exec, exec, s[0:1]
	v_mov_b32_e32 v17, 0x4000
	v_cmp_eq_u32_e64 s[14:15], 0, v18
	s_xor_b64 s[0:1], s[10:11], -1
	v_lshl_add_u32 v17, v19, 2, v17
	s_and_b64 s[58:59], s[14:15], s[0:1]
	s_and_saveexec_b64 s[10:11], s[58:59]
	s_cbranch_execz .LBB119_130
; %bb.129:
	v_mov_b32_e32 v21, 0
	ds_read_b32 v21, v21 offset:2080
	s_waitcnt lgkmcnt(0)
	v_mul_f32_e32 v20, v20, v21
	ds_write_b32 v17, v20
.LBB119_130:
	s_or_b64 exec, exec, s[10:11]
	v_cmp_ne_u32_e64 s[10:11], 0, v18
	s_and_b64 s[60:61], s[10:11], s[0:1]
	s_waitcnt lgkmcnt(0)
	s_barrier
	s_and_saveexec_b64 s[10:11], s[60:61]
	s_cbranch_execz .LBB119_132
; %bb.131:
	ds_read_b32 v21, v16 offset:2080
	ds_read_b32 v22, v17
	s_waitcnt lgkmcnt(0)
	v_fmac_f32_e32 v20, v21, v22
.LBB119_132:
	s_or_b64 exec, exec, s[10:11]
	v_cmp_eq_u32_e64 s[10:11], 1, v18
	s_and_b64 s[62:63], s[10:11], s[0:1]
	s_barrier
	s_and_saveexec_b64 s[10:11], s[62:63]
	s_cbranch_execz .LBB119_134
; %bb.133:
	v_mov_b32_e32 v21, 0
	ds_read_b32 v21, v21 offset:2340
	s_waitcnt lgkmcnt(0)
	v_mul_f32_e32 v20, v20, v21
	ds_write_b32 v17, v20
.LBB119_134:
	s_or_b64 exec, exec, s[10:11]
	v_cmp_lt_u32_e64 s[10:11], 1, v18
	s_and_b64 s[64:65], s[10:11], s[0:1]
	s_waitcnt lgkmcnt(0)
	s_barrier
	s_and_saveexec_b64 s[10:11], s[64:65]
	s_cbranch_execz .LBB119_136
; %bb.135:
	ds_read_b32 v21, v16 offset:2336
	ds_read_b32 v22, v17
	s_waitcnt lgkmcnt(0)
	v_fmac_f32_e32 v20, v21, v22
.LBB119_136:
	s_or_b64 exec, exec, s[10:11]
	v_cmp_eq_u32_e64 s[10:11], 2, v18
	s_and_b64 s[68:69], s[10:11], s[0:1]
	s_barrier
	s_and_saveexec_b64 s[10:11], s[68:69]
	s_cbranch_execz .LBB119_138
; %bb.137:
	v_mov_b32_e32 v21, 0
	ds_read_b32 v21, v21 offset:2600
	s_waitcnt lgkmcnt(0)
	v_mul_f32_e32 v20, v20, v21
	ds_write_b32 v17, v20
.LBB119_138:
	s_or_b64 exec, exec, s[10:11]
	v_cmp_lt_u32_e64 s[10:11], 2, v18
	;; [unrolled: 26-line block ×5, first 2 shown]
	s_and_b64 s[82:83], s[10:11], s[0:1]
	s_waitcnt lgkmcnt(0)
	s_barrier
	s_and_saveexec_b64 s[10:11], s[82:83]
	s_cbranch_execz .LBB119_152
; %bb.151:
	ds_read_b32 v21, v16 offset:3360
	ds_read_b32 v22, v17
	s_waitcnt lgkmcnt(0)
	v_fmac_f32_e32 v20, v21, v22
.LBB119_152:
	s_or_b64 exec, exec, s[10:11]
	v_cmp_eq_u32_e64 s[10:11], 6, v18
	s_and_b64 s[84:85], s[10:11], s[0:1]
	s_barrier
	s_and_saveexec_b64 s[10:11], s[84:85]
	s_cbranch_execz .LBB119_154
; %bb.153:
	v_mov_b32_e32 v21, 0
	ds_read_b32 v21, v21 offset:3640
	s_waitcnt lgkmcnt(0)
	v_mul_f32_e32 v20, v20, v21
	ds_write_b32 v17, v20
.LBB119_154:
	s_or_b64 exec, exec, s[10:11]
	v_cmp_eq_u32_e64 s[10:11], 7, v18
	s_and_b64 s[66:67], s[10:11], s[0:1]
	s_waitcnt lgkmcnt(0)
	s_barrier
	s_and_saveexec_b64 s[0:1], s[66:67]
	s_cbranch_execz .LBB119_156
; %bb.155:
	v_mov_b32_e32 v21, 0
	ds_read_b32 v21, v21 offset:3644
	ds_read_b32 v22, v17
	s_waitcnt lgkmcnt(0)
	v_fmac_f32_e32 v20, v21, v22
.LBB119_156:
	s_or_b64 exec, exec, s[0:1]
	s_barrier
	s_and_saveexec_b64 s[0:1], s[66:67]
	s_cbranch_execz .LBB119_158
; %bb.157:
	v_mov_b32_e32 v21, 0
	ds_read_b32 v21, v21 offset:3900
	s_waitcnt lgkmcnt(0)
	v_mul_f32_e32 v20, v20, v21
	ds_write_b32 v17, v20
.LBB119_158:
	s_or_b64 exec, exec, s[0:1]
	s_waitcnt lgkmcnt(0)
	s_barrier
	s_barrier
	s_and_saveexec_b64 s[0:1], s[8:9]
; %bb.159:
	v_xor_b32_e32 v20, 0x80000000, v20
	ds_write_b32 v15, v20 offset:32
; %bb.160:
	s_or_b64 exec, exec, s[0:1]
	v_cmp_gt_u32_e64 s[10:11], 8, v0
	s_and_b64 s[86:87], s[12:13], s[10:11]
	s_waitcnt lgkmcnt(0)
	s_barrier
	s_barrier
	s_and_saveexec_b64 s[0:1], s[86:87]
	s_cbranch_execz .LBB119_162
; %bb.161:
	v_lshlrev_b32_e32 v20, 8, v0
	ds_read_b32 v21, v20 offset:32
	s_movk_i32 s10, 0xff04
	v_mad_i32_i24 v22, v0, s10, v20
	s_waitcnt lgkmcnt(0)
	ds_write_b32 v22, v21 offset:2048
	ds_read_b32 v21, v20 offset:36
	s_waitcnt lgkmcnt(0)
	ds_write_b32 v22, v21 offset:2304
	ds_read_b32 v21, v20 offset:40
	;; [unrolled: 3-line block ×7, first 2 shown]
	s_waitcnt lgkmcnt(0)
	ds_write_b32 v22, v20 offset:3840
.LBB119_162:
	s_or_b64 exec, exec, s[0:1]
	s_waitcnt lgkmcnt(0)
	s_barrier
	s_and_saveexec_b64 s[0:1], vcc
	s_cbranch_execz .LBB119_164
; %bb.163:
	v_mov_b32_e32 v22, 0
	ds_read_b64 v[20:21], v22 offset:2080
	ds_read_b32 v22, v22 offset:2340
	s_movk_i32 s10, 0x800
	s_waitcnt lgkmcnt(0)
	v_mul_f32_e32 v20, v20, v22
	v_mul_f32_e32 v20, v21, v20
	v_add_u32_e64 v21, s10, 0
	ds_write2_b32 v21, v20, v20 offset0:9 offset1:72
.LBB119_164:
	s_or_b64 exec, exec, s[0:1]
	v_mov_b32_e32 v20, 0
	s_waitcnt lgkmcnt(0)
	s_barrier
	s_and_saveexec_b64 s[0:1], s[2:3]
	s_cbranch_execz .LBB119_168
; %bb.165:
	v_mul_u32_u24_e32 v20, 0x104, v5
	ds_read_b32 v22, v1 offset:2088
	ds_read_b32 v20, v20 offset:2080
	v_mov_b32_e32 v21, 0
	v_cmp_gt_u32_e64 s[10:11], 2, v4
	s_waitcnt lgkmcnt(0)
	v_fma_f32 v20, v22, v20, 0
	s_and_saveexec_b64 s[14:15], s[10:11]
	s_cbranch_execz .LBB119_167
; %bb.166:
	v_lshlrev_b32_e32 v22, 2, v0
	ds_read_b32 v22, v22 offset:2344
	ds_read_b32 v21, v21 offset:2084
	s_waitcnt lgkmcnt(0)
	v_fmac_f32_e32 v20, v22, v21
.LBB119_167:
	s_or_b64 exec, exec, s[14:15]
	v_xor_b32_e32 v20, 0x80000000, v20
.LBB119_168:
	s_or_b64 exec, exec, s[0:1]
	s_and_saveexec_b64 s[0:1], s[40:41]
	s_cbranch_execz .LBB119_170
; %bb.169:
	v_mov_b32_e32 v21, 0
	ds_read_b32 v21, v21 offset:2600
	s_waitcnt lgkmcnt(0)
	v_mul_f32_e32 v20, v20, v21
	ds_write_b32 v3, v20
.LBB119_170:
	s_or_b64 exec, exec, s[0:1]
	s_waitcnt lgkmcnt(0)
	s_barrier
	s_and_saveexec_b64 s[0:1], s[38:39]
	s_cbranch_execz .LBB119_172
; %bb.171:
	v_mov_b32_e32 v21, 0
	ds_read_b32 v21, v21 offset:2604
	ds_read_b32 v22, v3
	s_waitcnt lgkmcnt(0)
	v_fmac_f32_e32 v20, v21, v22
.LBB119_172:
	s_or_b64 exec, exec, s[0:1]
	s_barrier
	s_and_saveexec_b64 s[0:1], s[38:39]
	s_cbranch_execz .LBB119_174
; %bb.173:
	v_mov_b32_e32 v21, 0
	ds_read_b32 v21, v21 offset:2860
	s_waitcnt lgkmcnt(0)
	v_mul_f32_e32 v20, v20, v21
	ds_write_b32 v3, v20
.LBB119_174:
	s_or_b64 exec, exec, s[0:1]
	s_waitcnt lgkmcnt(0)
	s_barrier
	s_barrier
	s_and_saveexec_b64 s[0:1], s[2:3]
; %bb.175:
	v_xor_b32_e32 v20, 0x80000000, v20
	ds_write_b32 v1, v20 offset:2088
; %bb.176:
	s_or_b64 exec, exec, s[0:1]
	s_waitcnt lgkmcnt(0)
	s_barrier
	s_barrier
	s_and_saveexec_b64 s[0:1], s[42:43]
	s_cbranch_execz .LBB119_178
; %bb.177:
	v_lshlrev_b32_e32 v20, 2, v0
	s_movk_i32 s10, 0xfc
	v_mad_u32_u24 v21, v0, s10, v20
	ds_read_b32 v22, v21 offset:2088
	s_waitcnt lgkmcnt(0)
	ds_write_b32 v20, v22 offset:2592
	ds_read_b32 v21, v21 offset:2092
	s_waitcnt lgkmcnt(0)
	ds_write_b32 v20, v21 offset:2848
.LBB119_178:
	s_or_b64 exec, exec, s[0:1]
	s_waitcnt lgkmcnt(0)
	s_barrier
	s_and_saveexec_b64 s[0:1], vcc
	s_cbranch_execz .LBB119_180
; %bb.179:
	v_mov_b32_e32 v22, 0
	ds_read_b64 v[20:21], v22 offset:2600
	ds_read_b32 v22, v22 offset:2860
	s_movk_i32 s10, 0x800
	s_waitcnt lgkmcnt(0)
	v_mul_f32_e32 v20, v20, v22
	v_mul_f32_e32 v20, v21, v20
	v_add_u32_e64 v21, s10, 0
	ds_write2_b32 v21, v20, v20 offset0:139 offset1:202
.LBB119_180:
	s_or_b64 exec, exec, s[0:1]
	v_mov_b32_e32 v20, 0
	s_waitcnt lgkmcnt(0)
	s_barrier
	s_and_saveexec_b64 s[0:1], s[18:19]
	s_cbranch_execz .LBB119_186
; %bb.181:
	v_mul_u32_u24_e32 v21, 0x104, v14
	ds_read_b32 v20, v6 offset:2096
	ds_read_b32 v22, v21 offset:2080
	v_cmp_gt_u32_e64 s[10:11], 12, v4
	s_waitcnt lgkmcnt(0)
	v_fma_f32 v20, v20, v22, 0
	s_and_saveexec_b64 s[14:15], s[10:11]
	s_cbranch_execnz .LBB119_1213
; %bb.182:
	s_or_b64 exec, exec, s[14:15]
	v_cmp_gt_u32_e64 s[10:11], 8, v4
	s_and_saveexec_b64 s[14:15], s[10:11]
	s_cbranch_execnz .LBB119_1214
.LBB119_183:
	s_or_b64 exec, exec, s[14:15]
	v_cmp_gt_u32_e64 s[10:11], 4, v4
	s_and_saveexec_b64 s[14:15], s[10:11]
	s_cbranch_execz .LBB119_185
.LBB119_184:
	v_lshlrev_b32_e32 v21, 2, v0
	v_mov_b32_e32 v22, 0
	ds_read_b32 v21, v21 offset:2864
	ds_read_b32 v22, v22 offset:2092
	s_waitcnt lgkmcnt(0)
	v_fmac_f32_e32 v20, v21, v22
.LBB119_185:
	s_or_b64 exec, exec, s[14:15]
	v_xor_b32_e32 v20, 0x80000000, v20
.LBB119_186:
	s_or_b64 exec, exec, s[0:1]
	s_and_saveexec_b64 s[0:1], s[46:47]
	s_cbranch_execz .LBB119_188
; %bb.187:
	v_mov_b32_e32 v21, 0
	ds_read_b32 v21, v21 offset:3120
	s_waitcnt lgkmcnt(0)
	v_mul_f32_e32 v20, v20, v21
	ds_write_b32 v12, v20
.LBB119_188:
	s_or_b64 exec, exec, s[0:1]
	s_waitcnt lgkmcnt(0)
	s_barrier
	s_and_saveexec_b64 s[0:1], s[48:49]
	s_cbranch_execz .LBB119_190
; %bb.189:
	ds_read_b32 v21, v11 offset:3120
	ds_read_b32 v22, v12
	s_waitcnt lgkmcnt(0)
	v_fmac_f32_e32 v20, v21, v22
.LBB119_190:
	s_or_b64 exec, exec, s[0:1]
	s_barrier
	s_and_saveexec_b64 s[0:1], s[50:51]
	s_cbranch_execz .LBB119_192
; %bb.191:
	v_mov_b32_e32 v21, 0
	ds_read_b32 v21, v21 offset:3380
	s_waitcnt lgkmcnt(0)
	v_mul_f32_e32 v20, v20, v21
	ds_write_b32 v12, v20
.LBB119_192:
	s_or_b64 exec, exec, s[0:1]
	s_waitcnt lgkmcnt(0)
	s_barrier
	s_and_saveexec_b64 s[0:1], s[52:53]
	s_cbranch_execz .LBB119_194
; %bb.193:
	ds_read_b32 v21, v11 offset:3376
	ds_read_b32 v22, v12
	s_waitcnt lgkmcnt(0)
	v_fmac_f32_e32 v20, v21, v22
.LBB119_194:
	s_or_b64 exec, exec, s[0:1]
	s_barrier
	s_and_saveexec_b64 s[0:1], s[54:55]
	s_cbranch_execz .LBB119_196
; %bb.195:
	v_mov_b32_e32 v21, 0
	ds_read_b32 v21, v21 offset:3640
	s_waitcnt lgkmcnt(0)
	v_mul_f32_e32 v20, v20, v21
	ds_write_b32 v12, v20
.LBB119_196:
	s_or_b64 exec, exec, s[0:1]
	s_waitcnt lgkmcnt(0)
	s_barrier
	s_and_saveexec_b64 s[0:1], s[44:45]
	s_cbranch_execz .LBB119_198
; %bb.197:
	v_mov_b32_e32 v21, 0
	ds_read_b32 v21, v21 offset:3644
	ds_read_b32 v22, v12
	s_waitcnt lgkmcnt(0)
	v_fmac_f32_e32 v20, v21, v22
.LBB119_198:
	s_or_b64 exec, exec, s[0:1]
	s_barrier
	s_and_saveexec_b64 s[0:1], s[44:45]
	s_cbranch_execz .LBB119_200
; %bb.199:
	v_mov_b32_e32 v21, 0
	ds_read_b32 v21, v21 offset:3900
	s_waitcnt lgkmcnt(0)
	v_mul_f32_e32 v20, v20, v21
	ds_write_b32 v12, v20
.LBB119_200:
	s_or_b64 exec, exec, s[0:1]
	s_waitcnt lgkmcnt(0)
	s_barrier
	s_barrier
	s_and_saveexec_b64 s[0:1], s[18:19]
; %bb.201:
	v_xor_b32_e32 v20, 0x80000000, v20
	ds_write_b32 v6, v20 offset:2096
; %bb.202:
	s_or_b64 exec, exec, s[0:1]
	s_waitcnt lgkmcnt(0)
	s_barrier
	s_barrier
	s_and_saveexec_b64 s[0:1], s[56:57]
	s_cbranch_execz .LBB119_204
; %bb.203:
	v_lshlrev_b32_e32 v20, 8, v0
	ds_read_b32 v21, v20 offset:2096
	s_movk_i32 s10, 0xff04
	v_mad_i32_i24 v22, v0, s10, v20
	s_waitcnt lgkmcnt(0)
	ds_write_b32 v22, v21 offset:3104
	ds_read_b32 v21, v20 offset:2100
	s_waitcnt lgkmcnt(0)
	ds_write_b32 v22, v21 offset:3360
	ds_read_b32 v21, v20 offset:2104
	;; [unrolled: 3-line block ×3, first 2 shown]
	s_waitcnt lgkmcnt(0)
	ds_write_b32 v22, v20 offset:3872
.LBB119_204:
	s_or_b64 exec, exec, s[0:1]
	s_waitcnt lgkmcnt(0)
	s_barrier
	s_and_saveexec_b64 s[0:1], vcc
	s_cbranch_execz .LBB119_206
; %bb.205:
	v_mov_b32_e32 v22, 0
	ds_read_b64 v[20:21], v22 offset:3120
	ds_read_b32 v22, v22 offset:3380
	s_movk_i32 s10, 0xc00
	s_waitcnt lgkmcnt(0)
	v_mul_f32_e32 v20, v20, v22
	v_mul_f32_e32 v20, v21, v20
	v_add_u32_e64 v21, s10, 0
	ds_write2_b32 v21, v20, v20 offset0:13 offset1:76
.LBB119_206:
	s_or_b64 exec, exec, s[0:1]
	v_mov_b32_e32 v20, 0
	s_waitcnt lgkmcnt(0)
	s_barrier
	s_and_saveexec_b64 s[0:1], s[2:3]
	s_cbranch_execz .LBB119_210
; %bb.207:
	v_mul_u32_u24_e32 v20, 0x104, v5
	ds_read_b32 v22, v1 offset:3128
	ds_read_b32 v20, v20 offset:3120
	v_mov_b32_e32 v21, 0
	v_cmp_gt_u32_e64 s[10:11], 2, v4
	s_waitcnt lgkmcnt(0)
	v_fma_f32 v20, v22, v20, 0
	s_and_saveexec_b64 s[14:15], s[10:11]
	s_cbranch_execz .LBB119_209
; %bb.208:
	v_lshlrev_b32_e32 v22, 2, v0
	ds_read_b32 v22, v22 offset:3384
	ds_read_b32 v21, v21 offset:3124
	s_waitcnt lgkmcnt(0)
	v_fmac_f32_e32 v20, v22, v21
.LBB119_209:
	s_or_b64 exec, exec, s[14:15]
	v_xor_b32_e32 v20, 0x80000000, v20
.LBB119_210:
	s_or_b64 exec, exec, s[0:1]
	s_and_saveexec_b64 s[0:1], s[40:41]
	s_cbranch_execz .LBB119_212
; %bb.211:
	v_mov_b32_e32 v21, 0
	ds_read_b32 v21, v21 offset:3640
	s_waitcnt lgkmcnt(0)
	v_mul_f32_e32 v20, v20, v21
	ds_write_b32 v3, v20
.LBB119_212:
	s_or_b64 exec, exec, s[0:1]
	s_waitcnt lgkmcnt(0)
	s_barrier
	s_and_saveexec_b64 s[0:1], s[38:39]
	s_cbranch_execz .LBB119_214
; %bb.213:
	v_mov_b32_e32 v21, 0
	ds_read_b32 v21, v21 offset:3644
	ds_read_b32 v22, v3
	s_waitcnt lgkmcnt(0)
	v_fmac_f32_e32 v20, v21, v22
.LBB119_214:
	s_or_b64 exec, exec, s[0:1]
	s_barrier
	s_and_saveexec_b64 s[0:1], s[38:39]
	s_cbranch_execz .LBB119_216
; %bb.215:
	v_mov_b32_e32 v21, 0
	ds_read_b32 v21, v21 offset:3900
	s_waitcnt lgkmcnt(0)
	v_mul_f32_e32 v20, v20, v21
	ds_write_b32 v3, v20
.LBB119_216:
	s_or_b64 exec, exec, s[0:1]
	s_waitcnt lgkmcnt(0)
	s_barrier
	s_barrier
	s_and_saveexec_b64 s[0:1], s[2:3]
; %bb.217:
	v_xor_b32_e32 v20, 0x80000000, v20
	ds_write_b32 v1, v20 offset:3128
; %bb.218:
	s_or_b64 exec, exec, s[0:1]
	s_waitcnt lgkmcnt(0)
	s_barrier
	s_barrier
	s_and_saveexec_b64 s[0:1], s[42:43]
	s_cbranch_execz .LBB119_220
; %bb.219:
	v_lshlrev_b32_e32 v20, 2, v0
	s_movk_i32 s10, 0xfc
	v_mad_u32_u24 v21, v0, s10, v20
	ds_read_b32 v22, v21 offset:3128
	s_waitcnt lgkmcnt(0)
	ds_write_b32 v20, v22 offset:3632
	ds_read_b32 v21, v21 offset:3132
	s_waitcnt lgkmcnt(0)
	ds_write_b32 v20, v21 offset:3888
.LBB119_220:
	s_or_b64 exec, exec, s[0:1]
	s_waitcnt lgkmcnt(0)
	s_barrier
	s_and_saveexec_b64 s[0:1], vcc
	s_cbranch_execz .LBB119_222
; %bb.221:
	v_mov_b32_e32 v22, 0
	ds_read_b64 v[20:21], v22 offset:3640
	ds_read_b32 v22, v22 offset:3900
	s_movk_i32 s10, 0xc00
	s_waitcnt lgkmcnt(0)
	v_mul_f32_e32 v20, v20, v22
	v_mul_f32_e32 v20, v21, v20
	v_add_u32_e64 v21, s10, 0
	ds_write2_b32 v21, v20, v20 offset0:143 offset1:206
.LBB119_222:
	s_or_b64 exec, exec, s[0:1]
	v_lshrrev_b32_e32 v24, 4, v4
	v_and_b32_e32 v21, 15, v0
	s_movk_i32 s0, 0xff
	v_lshlrev_b32_e32 v23, 6, v24
	v_cmp_lt_u32_e64 s[14:15], s0, v4
	s_movk_i32 s0, 0x100
	v_or_b32_e32 v20, v23, v21
	v_cmp_gt_u32_e64 s[10:11], s0, v4
	v_lshlrev_b32_e32 v20, 2, v20
	v_mov_b32_e32 v25, 0
	s_waitcnt lgkmcnt(0)
	s_barrier
	s_and_saveexec_b64 s[0:1], s[10:11]
	s_cbranch_execz .LBB119_250
; %bb.223:
	v_mul_u32_u24_e32 v25, 0x104, v24
	ds_read_b32 v22, v20 offset:64
	ds_read_b32 v26, v25
	s_movk_i32 s16, 0xf0
	v_cmp_gt_u32_e64 s[16:17], s16, v4
	s_waitcnt lgkmcnt(0)
	v_fma_f32 v22, v22, v26, 0
	s_and_saveexec_b64 s[20:21], s[16:17]
	s_cbranch_execz .LBB119_225
; %bb.224:
	v_lshlrev_b32_e32 v26, 2, v24
	v_sub_u32_e32 v26, v25, v26
	v_lshl_add_u32 v26, v21, 2, v26
	ds_read_b32 v26, v26 offset:320
	ds_read_b32 v27, v25 offset:4
	s_waitcnt lgkmcnt(0)
	v_fmac_f32_e32 v22, v26, v27
.LBB119_225:
	s_or_b64 exec, exec, s[20:21]
	s_movk_i32 s16, 0xe0
	v_cmp_gt_u32_e64 s[16:17], s16, v4
	s_and_saveexec_b64 s[20:21], s[16:17]
	s_cbranch_execz .LBB119_227
; %bb.226:
	v_lshlrev_b32_e32 v26, 2, v24
	v_sub_u32_e32 v26, v25, v26
	v_lshl_add_u32 v26, v21, 2, v26
	ds_read_b32 v26, v26 offset:576
	ds_read_b32 v27, v25 offset:8
	s_waitcnt lgkmcnt(0)
	v_fmac_f32_e32 v22, v26, v27
.LBB119_227:
	s_or_b64 exec, exec, s[20:21]
	s_movk_i32 s16, 0xd0
	v_cmp_gt_u32_e64 s[16:17], s16, v4
	;; [unrolled: 14-line block ×7, first 2 shown]
	s_and_saveexec_b64 s[20:21], s[16:17]
	s_cbranch_execz .LBB119_239
; %bb.238:
	ds_read_b32 v26, v20 offset:2112
	ds_read_b32 v27, v25 offset:32
	s_waitcnt lgkmcnt(0)
	v_fmac_f32_e32 v22, v26, v27
.LBB119_239:
	s_or_b64 exec, exec, s[20:21]
	s_movk_i32 s16, 0x70
	v_cmp_gt_u32_e64 s[16:17], s16, v4
	s_and_saveexec_b64 s[20:21], s[16:17]
	s_cbranch_execz .LBB119_241
; %bb.240:
	v_lshlrev_b32_e32 v26, 2, v24
	v_sub_u32_e32 v26, v25, v26
	v_lshl_add_u32 v26, v21, 2, v26
	ds_read_b32 v26, v26 offset:2368
	ds_read_b32 v27, v25 offset:36
	s_waitcnt lgkmcnt(0)
	v_fmac_f32_e32 v22, v26, v27
.LBB119_241:
	s_or_b64 exec, exec, s[20:21]
	s_movk_i32 s16, 0x60
	v_cmp_gt_u32_e64 s[16:17], s16, v4
	s_and_saveexec_b64 s[20:21], s[16:17]
	s_cbranch_execz .LBB119_243
; %bb.242:
	v_lshlrev_b32_e32 v26, 2, v21
	v_lshl_add_u32 v26, v23, 2, v26
	ds_read_b32 v26, v26 offset:2624
	ds_read_b32 v27, v25 offset:40
	s_waitcnt lgkmcnt(0)
	v_fmac_f32_e32 v22, v26, v27
.LBB119_243:
	s_or_b64 exec, exec, s[20:21]
	s_movk_i32 s16, 0x50
	v_cmp_gt_u32_e64 s[16:17], s16, v4
	s_and_saveexec_b64 s[20:21], s[16:17]
	s_cbranch_execnz .LBB119_1215
; %bb.244:
	s_or_b64 exec, exec, s[20:21]
	v_cmp_gt_u32_e64 s[16:17], 64, v4
	s_and_saveexec_b64 s[20:21], s[16:17]
	s_cbranch_execnz .LBB119_1216
.LBB119_245:
	s_or_b64 exec, exec, s[20:21]
	v_cmp_gt_u32_e64 s[16:17], 48, v4
	s_and_saveexec_b64 s[20:21], s[16:17]
	s_cbranch_execnz .LBB119_1217
.LBB119_246:
	s_or_b64 exec, exec, s[20:21]
	v_cmp_gt_u32_e64 s[16:17], 32, v4
	s_and_saveexec_b64 s[20:21], s[16:17]
	s_cbranch_execnz .LBB119_1218
.LBB119_247:
	s_or_b64 exec, exec, s[20:21]
	v_cmp_gt_u32_e64 s[16:17], 16, v4
	s_and_saveexec_b64 s[20:21], s[16:17]
	s_cbranch_execz .LBB119_249
.LBB119_248:
	v_lshlrev_b32_e32 v25, 2, v0
	v_mov_b32_e32 v26, 0
	ds_read_b32 v25, v25 offset:3904
	ds_read_b32 v26, v26 offset:60
	s_waitcnt lgkmcnt(0)
	v_fmac_f32_e32 v22, v25, v26
.LBB119_249:
	s_or_b64 exec, exec, s[20:21]
	v_xor_b32_e32 v25, 0x80000000, v22
.LBB119_250:
	s_or_b64 exec, exec, s[0:1]
	v_mov_b32_e32 v22, 0x4000
	v_lshl_add_u32 v22, v24, 2, v22
	v_cmp_eq_u32_e64 s[16:17], 0, v21
	s_xor_b64 s[20:21], s[14:15], -1
	s_and_b64 s[14:15], s[16:17], s[20:21]
	s_mov_b64 s[0:1], exec
	v_writelane_b32 v33, s14, 3
	v_writelane_b32 v33, s15, 4
	s_and_b64 s[14:15], s[0:1], s[14:15]
	s_mov_b64 exec, s[14:15]
	s_cbranch_execz .LBB119_252
; %bb.251:
	v_mov_b32_e32 v26, 0
	ds_read_b32 v26, v26 offset:4160
	s_waitcnt lgkmcnt(0)
	v_mul_f32_e32 v25, v25, v26
	ds_write_b32 v22, v25
.LBB119_252:
	s_or_b64 exec, exec, s[0:1]
	v_cmp_ne_u32_e64 s[14:15], 0, v21
	s_waitcnt lgkmcnt(0)
	s_barrier
	s_and_b64 s[14:15], s[14:15], s[20:21]
	s_mov_b64 s[0:1], exec
	v_writelane_b32 v33, s14, 5
	v_writelane_b32 v33, s15, 6
	s_and_b64 s[14:15], s[0:1], s[14:15]
	s_mov_b64 exec, s[14:15]
	s_cbranch_execz .LBB119_254
; %bb.253:
	v_lshlrev_b32_e32 v26, 2, v21
	ds_read_b32 v26, v26 offset:4160
	ds_read_b32 v27, v22
	s_waitcnt lgkmcnt(0)
	v_fmac_f32_e32 v25, v26, v27
.LBB119_254:
	s_or_b64 exec, exec, s[0:1]
	v_cmp_eq_u32_e64 s[14:15], 1, v21
	s_barrier
	s_and_b64 s[14:15], s[14:15], s[20:21]
	s_mov_b64 s[0:1], exec
	v_writelane_b32 v33, s14, 7
	v_writelane_b32 v33, s15, 8
	s_and_b64 s[14:15], s[0:1], s[14:15]
	s_mov_b64 exec, s[14:15]
	s_cbranch_execz .LBB119_256
; %bb.255:
	v_mov_b32_e32 v26, 0
	ds_read_b32 v26, v26 offset:4420
	s_waitcnt lgkmcnt(0)
	v_mul_f32_e32 v25, v25, v26
	ds_write_b32 v22, v25
.LBB119_256:
	s_or_b64 exec, exec, s[0:1]
	v_cmp_lt_u32_e64 s[14:15], 1, v21
	s_waitcnt lgkmcnt(0)
	s_barrier
	s_and_b64 s[14:15], s[14:15], s[20:21]
	s_mov_b64 s[0:1], exec
	v_writelane_b32 v33, s14, 9
	v_writelane_b32 v33, s15, 10
	s_and_b64 s[14:15], s[0:1], s[14:15]
	s_mov_b64 exec, s[14:15]
	s_cbranch_execz .LBB119_258
; %bb.257:
	v_lshlrev_b32_e32 v26, 2, v21
	ds_read_b32 v26, v26 offset:4416
	ds_read_b32 v27, v22
	s_waitcnt lgkmcnt(0)
	v_fmac_f32_e32 v25, v26, v27
.LBB119_258:
	s_or_b64 exec, exec, s[0:1]
	v_cmp_eq_u32_e64 s[14:15], 2, v21
	s_barrier
	s_and_b64 s[14:15], s[14:15], s[20:21]
	s_mov_b64 s[0:1], exec
	v_writelane_b32 v33, s14, 11
	v_writelane_b32 v33, s15, 12
	s_and_b64 s[14:15], s[0:1], s[14:15]
	s_mov_b64 exec, s[14:15]
	s_cbranch_execz .LBB119_260
; %bb.259:
	v_mov_b32_e32 v26, 0
	ds_read_b32 v26, v26 offset:4680
	s_waitcnt lgkmcnt(0)
	v_mul_f32_e32 v25, v25, v26
	ds_write_b32 v22, v25
.LBB119_260:
	s_or_b64 exec, exec, s[0:1]
	v_cmp_lt_u32_e64 s[14:15], 2, v21
	;; [unrolled: 35-line block ×13, first 2 shown]
	s_and_b64 s[0:1], s[14:15], s[20:21]
	s_waitcnt lgkmcnt(0)
	s_barrier
	s_and_saveexec_b64 s[14:15], s[0:1]
	s_cbranch_execz .LBB119_306
; %bb.305:
	v_lshlrev_b32_e32 v26, 2, v21
	ds_read_b32 v26, v26 offset:7488
	ds_read_b32 v27, v22
	s_waitcnt lgkmcnt(0)
	v_fmac_f32_e32 v25, v26, v27
.LBB119_306:
	s_or_b64 exec, exec, s[14:15]
	v_cmp_eq_u32_e64 s[14:15], 14, v21
	s_barrier
	s_and_b64 s[16:17], s[14:15], s[20:21]
	s_mov_b64 s[14:15], exec
	v_writelane_b32 v33, s16, 57
	v_writelane_b32 v33, s17, 58
	s_and_b64 s[16:17], s[14:15], s[16:17]
	s_mov_b64 exec, s[16:17]
	s_cbranch_execz .LBB119_308
; %bb.307:
	v_mov_b32_e32 v26, 0
	ds_read_b32 v26, v26 offset:7800
	s_waitcnt lgkmcnt(0)
	v_mul_f32_e32 v25, v25, v26
	ds_write_b32 v22, v25
.LBB119_308:
	s_or_b64 exec, exec, s[14:15]
	v_cmp_eq_u32_e64 s[14:15], 15, v21
	s_and_b64 s[92:93], s[14:15], s[20:21]
	s_waitcnt lgkmcnt(0)
	s_barrier
	s_and_saveexec_b64 s[14:15], s[92:93]
	s_cbranch_execz .LBB119_310
; %bb.309:
	v_mov_b32_e32 v26, 0
	ds_read_b32 v26, v26 offset:7804
	ds_read_b32 v27, v22
	s_waitcnt lgkmcnt(0)
	v_fmac_f32_e32 v25, v26, v27
.LBB119_310:
	s_or_b64 exec, exec, s[14:15]
	s_barrier
	s_and_saveexec_b64 s[14:15], s[92:93]
	s_cbranch_execz .LBB119_312
; %bb.311:
	v_mov_b32_e32 v26, 0
	ds_read_b32 v26, v26 offset:8060
	s_waitcnt lgkmcnt(0)
	v_mul_f32_e32 v25, v25, v26
	ds_write_b32 v22, v25
.LBB119_312:
	s_or_b64 exec, exec, s[14:15]
	s_waitcnt lgkmcnt(0)
	s_barrier
	s_barrier
	s_and_saveexec_b64 s[14:15], s[10:11]
; %bb.313:
	v_xor_b32_e32 v25, 0x80000000, v25
	ds_write_b32 v20, v25 offset:64
; %bb.314:
	s_or_b64 exec, exec, s[14:15]
	v_cmp_gt_u32_e64 s[14:15], 16, v0
	s_waitcnt lgkmcnt(0)
	s_barrier
	s_barrier
	s_and_b64 s[16:17], s[12:13], s[14:15]
	s_mov_b64 s[14:15], exec
	v_writelane_b32 v33, s16, 59
	v_writelane_b32 v33, s17, 60
	s_and_b64 s[16:17], s[14:15], s[16:17]
	s_mov_b64 exec, s[16:17]
	s_cbranch_execz .LBB119_316
; %bb.315:
	v_lshlrev_b32_e32 v25, 8, v0
	ds_read_b32 v26, v25 offset:64
	s_movk_i32 s16, 0xff04
	v_mad_i32_i24 v27, v0, s16, v25
	s_waitcnt lgkmcnt(0)
	ds_write_b32 v27, v26 offset:4096
	ds_read_b32 v26, v25 offset:68
	s_waitcnt lgkmcnt(0)
	ds_write_b32 v27, v26 offset:4352
	ds_read_b32 v26, v25 offset:72
	;; [unrolled: 3-line block ×15, first 2 shown]
	s_waitcnt lgkmcnt(0)
	ds_write_b32 v27, v25 offset:7936
.LBB119_316:
	s_or_b64 exec, exec, s[14:15]
	s_waitcnt lgkmcnt(0)
	s_barrier
	s_and_saveexec_b64 s[14:15], vcc
	s_cbranch_execz .LBB119_318
; %bb.317:
	v_mov_b32_e32 v27, 0
	ds_read_b64 v[25:26], v27 offset:4160
	ds_read_b32 v27, v27 offset:4420
	s_movk_i32 s16, 0x1000
	s_waitcnt lgkmcnt(0)
	v_mul_f32_e32 v25, v25, v27
	v_mul_f32_e32 v25, v26, v25
	v_add_u32_e64 v26, s16, 0
	ds_write2_b32 v26, v25, v25 offset0:17 offset1:80
.LBB119_318:
	s_or_b64 exec, exec, s[14:15]
	v_mov_b32_e32 v25, 0
	s_waitcnt lgkmcnt(0)
	s_barrier
	s_and_saveexec_b64 s[16:17], s[2:3]
	s_cbranch_execz .LBB119_322
; %bb.319:
	v_mul_u32_u24_e32 v25, 0x104, v5
	ds_read_b32 v27, v1 offset:4168
	ds_read_b32 v25, v25 offset:4160
	v_mov_b32_e32 v26, 0
	v_cmp_gt_u32_e64 s[14:15], 2, v4
	s_waitcnt lgkmcnt(0)
	v_fma_f32 v25, v27, v25, 0
	s_and_saveexec_b64 s[20:21], s[14:15]
	s_cbranch_execz .LBB119_321
; %bb.320:
	v_lshlrev_b32_e32 v27, 2, v0
	ds_read_b32 v27, v27 offset:4424
	ds_read_b32 v26, v26 offset:4164
	s_waitcnt lgkmcnt(0)
	v_fmac_f32_e32 v25, v27, v26
.LBB119_321:
	s_or_b64 exec, exec, s[20:21]
	v_xor_b32_e32 v25, 0x80000000, v25
.LBB119_322:
	s_or_b64 exec, exec, s[16:17]
	s_and_saveexec_b64 s[14:15], s[40:41]
	s_cbranch_execz .LBB119_324
; %bb.323:
	v_mov_b32_e32 v26, 0
	ds_read_b32 v26, v26 offset:4680
	s_waitcnt lgkmcnt(0)
	v_mul_f32_e32 v25, v25, v26
	ds_write_b32 v3, v25
.LBB119_324:
	s_or_b64 exec, exec, s[14:15]
	s_waitcnt lgkmcnt(0)
	s_barrier
	s_and_saveexec_b64 s[14:15], s[38:39]
	s_cbranch_execz .LBB119_326
; %bb.325:
	v_mov_b32_e32 v26, 0
	ds_read_b32 v26, v26 offset:4684
	ds_read_b32 v27, v3
	s_waitcnt lgkmcnt(0)
	v_fmac_f32_e32 v25, v26, v27
.LBB119_326:
	s_or_b64 exec, exec, s[14:15]
	s_barrier
	s_and_saveexec_b64 s[14:15], s[38:39]
	s_cbranch_execz .LBB119_328
; %bb.327:
	v_mov_b32_e32 v26, 0
	ds_read_b32 v26, v26 offset:4940
	s_waitcnt lgkmcnt(0)
	v_mul_f32_e32 v25, v25, v26
	ds_write_b32 v3, v25
.LBB119_328:
	s_or_b64 exec, exec, s[14:15]
	s_waitcnt lgkmcnt(0)
	s_barrier
	s_barrier
	s_and_saveexec_b64 s[14:15], s[2:3]
; %bb.329:
	v_xor_b32_e32 v25, 0x80000000, v25
	ds_write_b32 v1, v25 offset:4168
; %bb.330:
	s_or_b64 exec, exec, s[14:15]
	s_waitcnt lgkmcnt(0)
	s_barrier
	s_barrier
	s_and_saveexec_b64 s[14:15], s[42:43]
	s_cbranch_execz .LBB119_332
; %bb.331:
	v_lshlrev_b32_e32 v25, 2, v0
	s_movk_i32 s16, 0xfc
	v_mad_u32_u24 v26, v0, s16, v25
	ds_read_b32 v27, v26 offset:4168
	s_waitcnt lgkmcnt(0)
	ds_write_b32 v25, v27 offset:4672
	ds_read_b32 v26, v26 offset:4172
	s_waitcnt lgkmcnt(0)
	ds_write_b32 v25, v26 offset:4928
.LBB119_332:
	s_or_b64 exec, exec, s[14:15]
	s_waitcnt lgkmcnt(0)
	s_barrier
	s_and_saveexec_b64 s[14:15], vcc
	s_cbranch_execz .LBB119_334
; %bb.333:
	v_mov_b32_e32 v27, 0
	ds_read_b64 v[25:26], v27 offset:4680
	ds_read_b32 v27, v27 offset:4940
	s_movk_i32 s16, 0x1000
	s_waitcnt lgkmcnt(0)
	v_mul_f32_e32 v25, v25, v27
	v_mul_f32_e32 v25, v26, v25
	v_add_u32_e64 v26, s16, 0
	ds_write2_b32 v26, v25, v25 offset0:147 offset1:210
.LBB119_334:
	s_or_b64 exec, exec, s[14:15]
	v_mov_b32_e32 v25, 0
	s_waitcnt lgkmcnt(0)
	s_barrier
	s_and_saveexec_b64 s[16:17], s[18:19]
	s_cbranch_execz .LBB119_340
; %bb.335:
	v_mul_u32_u24_e32 v26, 0x104, v14
	ds_read_b32 v25, v6 offset:4176
	ds_read_b32 v27, v26 offset:4160
	v_cmp_gt_u32_e64 s[14:15], 12, v4
	s_waitcnt lgkmcnt(0)
	v_fma_f32 v25, v25, v27, 0
	s_and_saveexec_b64 s[20:21], s[14:15]
	s_cbranch_execnz .LBB119_1219
; %bb.336:
	s_or_b64 exec, exec, s[20:21]
	v_cmp_gt_u32_e64 s[14:15], 8, v4
	s_and_saveexec_b64 s[20:21], s[14:15]
	s_cbranch_execnz .LBB119_1220
.LBB119_337:
	s_or_b64 exec, exec, s[20:21]
	v_cmp_gt_u32_e64 s[14:15], 4, v4
	s_and_saveexec_b64 s[20:21], s[14:15]
	s_cbranch_execz .LBB119_339
.LBB119_338:
	v_lshlrev_b32_e32 v26, 2, v0
	v_mov_b32_e32 v27, 0
	ds_read_b32 v26, v26 offset:4944
	ds_read_b32 v27, v27 offset:4172
	s_waitcnt lgkmcnt(0)
	v_fmac_f32_e32 v25, v26, v27
.LBB119_339:
	s_or_b64 exec, exec, s[20:21]
	v_xor_b32_e32 v25, 0x80000000, v25
.LBB119_340:
	s_or_b64 exec, exec, s[16:17]
	s_and_saveexec_b64 s[14:15], s[46:47]
	s_cbranch_execz .LBB119_342
; %bb.341:
	v_mov_b32_e32 v26, 0
	ds_read_b32 v26, v26 offset:5200
	s_waitcnt lgkmcnt(0)
	v_mul_f32_e32 v25, v25, v26
	ds_write_b32 v12, v25
.LBB119_342:
	s_or_b64 exec, exec, s[14:15]
	s_waitcnt lgkmcnt(0)
	s_barrier
	s_and_saveexec_b64 s[14:15], s[48:49]
	s_cbranch_execz .LBB119_344
; %bb.343:
	ds_read_b32 v26, v11 offset:5200
	ds_read_b32 v27, v12
	s_waitcnt lgkmcnt(0)
	v_fmac_f32_e32 v25, v26, v27
.LBB119_344:
	s_or_b64 exec, exec, s[14:15]
	s_barrier
	s_and_saveexec_b64 s[14:15], s[50:51]
	s_cbranch_execz .LBB119_346
; %bb.345:
	v_mov_b32_e32 v26, 0
	ds_read_b32 v26, v26 offset:5460
	s_waitcnt lgkmcnt(0)
	v_mul_f32_e32 v25, v25, v26
	ds_write_b32 v12, v25
.LBB119_346:
	s_or_b64 exec, exec, s[14:15]
	s_waitcnt lgkmcnt(0)
	s_barrier
	s_and_saveexec_b64 s[14:15], s[52:53]
	s_cbranch_execz .LBB119_348
; %bb.347:
	ds_read_b32 v26, v11 offset:5456
	ds_read_b32 v27, v12
	s_waitcnt lgkmcnt(0)
	v_fmac_f32_e32 v25, v26, v27
.LBB119_348:
	s_or_b64 exec, exec, s[14:15]
	s_barrier
	s_and_saveexec_b64 s[14:15], s[54:55]
	s_cbranch_execz .LBB119_350
; %bb.349:
	v_mov_b32_e32 v26, 0
	ds_read_b32 v26, v26 offset:5720
	s_waitcnt lgkmcnt(0)
	v_mul_f32_e32 v25, v25, v26
	ds_write_b32 v12, v25
.LBB119_350:
	s_or_b64 exec, exec, s[14:15]
	s_waitcnt lgkmcnt(0)
	s_barrier
	s_and_saveexec_b64 s[14:15], s[44:45]
	s_cbranch_execz .LBB119_352
; %bb.351:
	v_mov_b32_e32 v26, 0
	ds_read_b32 v26, v26 offset:5724
	ds_read_b32 v27, v12
	s_waitcnt lgkmcnt(0)
	v_fmac_f32_e32 v25, v26, v27
.LBB119_352:
	s_or_b64 exec, exec, s[14:15]
	s_barrier
	s_and_saveexec_b64 s[14:15], s[44:45]
	s_cbranch_execz .LBB119_354
; %bb.353:
	v_mov_b32_e32 v26, 0
	ds_read_b32 v26, v26 offset:5980
	s_waitcnt lgkmcnt(0)
	v_mul_f32_e32 v25, v25, v26
	ds_write_b32 v12, v25
.LBB119_354:
	s_or_b64 exec, exec, s[14:15]
	s_waitcnt lgkmcnt(0)
	s_barrier
	s_barrier
	s_and_saveexec_b64 s[14:15], s[18:19]
; %bb.355:
	v_xor_b32_e32 v25, 0x80000000, v25
	ds_write_b32 v6, v25 offset:4176
; %bb.356:
	s_or_b64 exec, exec, s[14:15]
	s_waitcnt lgkmcnt(0)
	s_barrier
	s_barrier
	s_and_saveexec_b64 s[14:15], s[56:57]
	s_cbranch_execz .LBB119_358
; %bb.357:
	v_lshlrev_b32_e32 v25, 8, v0
	ds_read_b32 v26, v25 offset:4176
	s_movk_i32 s16, 0xff04
	v_mad_i32_i24 v27, v0, s16, v25
	s_waitcnt lgkmcnt(0)
	ds_write_b32 v27, v26 offset:5184
	ds_read_b32 v26, v25 offset:4180
	s_waitcnt lgkmcnt(0)
	ds_write_b32 v27, v26 offset:5440
	ds_read_b32 v26, v25 offset:4184
	;; [unrolled: 3-line block ×3, first 2 shown]
	s_waitcnt lgkmcnt(0)
	ds_write_b32 v27, v25 offset:5952
.LBB119_358:
	s_or_b64 exec, exec, s[14:15]
	s_waitcnt lgkmcnt(0)
	s_barrier
	s_and_saveexec_b64 s[14:15], vcc
	s_cbranch_execz .LBB119_360
; %bb.359:
	v_mov_b32_e32 v27, 0
	ds_read_b64 v[25:26], v27 offset:5200
	ds_read_b32 v27, v27 offset:5460
	s_movk_i32 s16, 0x1400
	s_waitcnt lgkmcnt(0)
	v_mul_f32_e32 v25, v25, v27
	v_mul_f32_e32 v25, v26, v25
	v_add_u32_e64 v26, s16, 0
	ds_write2_b32 v26, v25, v25 offset0:21 offset1:84
.LBB119_360:
	s_or_b64 exec, exec, s[14:15]
	v_mov_b32_e32 v25, 0
	s_waitcnt lgkmcnt(0)
	s_barrier
	s_and_saveexec_b64 s[16:17], s[2:3]
	s_cbranch_execz .LBB119_364
; %bb.361:
	v_mul_u32_u24_e32 v25, 0x104, v5
	ds_read_b32 v27, v1 offset:5208
	ds_read_b32 v25, v25 offset:5200
	v_mov_b32_e32 v26, 0
	v_cmp_gt_u32_e64 s[14:15], 2, v4
	s_waitcnt lgkmcnt(0)
	v_fma_f32 v25, v27, v25, 0
	s_and_saveexec_b64 s[20:21], s[14:15]
	s_cbranch_execz .LBB119_363
; %bb.362:
	v_lshlrev_b32_e32 v27, 2, v0
	ds_read_b32 v27, v27 offset:5464
	ds_read_b32 v26, v26 offset:5204
	s_waitcnt lgkmcnt(0)
	v_fmac_f32_e32 v25, v27, v26
.LBB119_363:
	s_or_b64 exec, exec, s[20:21]
	v_xor_b32_e32 v25, 0x80000000, v25
.LBB119_364:
	s_or_b64 exec, exec, s[16:17]
	s_and_saveexec_b64 s[14:15], s[40:41]
	s_cbranch_execz .LBB119_366
; %bb.365:
	v_mov_b32_e32 v26, 0
	ds_read_b32 v26, v26 offset:5720
	s_waitcnt lgkmcnt(0)
	v_mul_f32_e32 v25, v25, v26
	ds_write_b32 v3, v25
.LBB119_366:
	s_or_b64 exec, exec, s[14:15]
	s_waitcnt lgkmcnt(0)
	s_barrier
	s_and_saveexec_b64 s[14:15], s[38:39]
	s_cbranch_execz .LBB119_368
; %bb.367:
	v_mov_b32_e32 v26, 0
	ds_read_b32 v26, v26 offset:5724
	ds_read_b32 v27, v3
	s_waitcnt lgkmcnt(0)
	v_fmac_f32_e32 v25, v26, v27
.LBB119_368:
	s_or_b64 exec, exec, s[14:15]
	s_barrier
	s_and_saveexec_b64 s[14:15], s[38:39]
	s_cbranch_execz .LBB119_370
; %bb.369:
	v_mov_b32_e32 v26, 0
	ds_read_b32 v26, v26 offset:5980
	s_waitcnt lgkmcnt(0)
	v_mul_f32_e32 v25, v25, v26
	ds_write_b32 v3, v25
.LBB119_370:
	s_or_b64 exec, exec, s[14:15]
	s_waitcnt lgkmcnt(0)
	s_barrier
	s_barrier
	s_and_saveexec_b64 s[14:15], s[2:3]
; %bb.371:
	v_xor_b32_e32 v25, 0x80000000, v25
	ds_write_b32 v1, v25 offset:5208
; %bb.372:
	s_or_b64 exec, exec, s[14:15]
	s_waitcnt lgkmcnt(0)
	s_barrier
	s_barrier
	s_and_saveexec_b64 s[14:15], s[42:43]
	s_cbranch_execz .LBB119_374
; %bb.373:
	v_lshlrev_b32_e32 v25, 2, v0
	s_movk_i32 s16, 0xfc
	v_mad_u32_u24 v26, v0, s16, v25
	ds_read_b32 v27, v26 offset:5208
	s_waitcnt lgkmcnt(0)
	ds_write_b32 v25, v27 offset:5712
	ds_read_b32 v26, v26 offset:5212
	s_waitcnt lgkmcnt(0)
	ds_write_b32 v25, v26 offset:5968
.LBB119_374:
	s_or_b64 exec, exec, s[14:15]
	s_waitcnt lgkmcnt(0)
	s_barrier
	s_and_saveexec_b64 s[14:15], vcc
	s_cbranch_execz .LBB119_376
; %bb.375:
	v_mov_b32_e32 v27, 0
	ds_read_b64 v[25:26], v27 offset:5720
	ds_read_b32 v27, v27 offset:5980
	s_movk_i32 s16, 0x1400
	s_waitcnt lgkmcnt(0)
	v_mul_f32_e32 v25, v25, v27
	v_mul_f32_e32 v25, v26, v25
	v_add_u32_e64 v26, s16, 0
	ds_write2_b32 v26, v25, v25 offset0:151 offset1:214
.LBB119_376:
	s_or_b64 exec, exec, s[14:15]
	v_mov_b32_e32 v25, 0
	s_waitcnt lgkmcnt(0)
	s_barrier
	s_and_saveexec_b64 s[16:17], s[8:9]
	s_cbranch_execz .LBB119_386
; %bb.377:
	v_mul_u32_u24_e32 v26, 0x104, v19
	ds_read_b32 v25, v15 offset:4192
	ds_read_b32 v27, v26 offset:4160
	v_cmp_gt_u32_e64 s[14:15], 56, v4
	s_waitcnt lgkmcnt(0)
	v_fma_f32 v25, v25, v27, 0
	s_and_saveexec_b64 s[20:21], s[14:15]
	s_cbranch_execnz .LBB119_1221
; %bb.378:
	s_or_b64 exec, exec, s[20:21]
	v_cmp_gt_u32_e64 s[14:15], 48, v4
	s_and_saveexec_b64 s[20:21], s[14:15]
	s_cbranch_execnz .LBB119_1222
.LBB119_379:
	s_or_b64 exec, exec, s[20:21]
	v_cmp_gt_u32_e64 s[14:15], 40, v4
	s_and_saveexec_b64 s[20:21], s[14:15]
	s_cbranch_execnz .LBB119_1223
.LBB119_380:
	s_or_b64 exec, exec, s[20:21]
	v_cmp_gt_u32_e64 s[14:15], 32, v4
	s_and_saveexec_b64 s[20:21], s[14:15]
	s_cbranch_execnz .LBB119_1224
.LBB119_381:
	s_or_b64 exec, exec, s[20:21]
	v_cmp_gt_u32_e64 s[14:15], 24, v4
	s_and_saveexec_b64 s[20:21], s[14:15]
	s_cbranch_execnz .LBB119_1225
.LBB119_382:
	s_or_b64 exec, exec, s[20:21]
	v_cmp_gt_u32_e64 s[14:15], 16, v4
	s_and_saveexec_b64 s[20:21], s[14:15]
	s_cbranch_execnz .LBB119_1226
.LBB119_383:
	s_or_b64 exec, exec, s[20:21]
	v_cmp_gt_u32_e64 s[14:15], 8, v4
	s_and_saveexec_b64 s[20:21], s[14:15]
	s_cbranch_execz .LBB119_385
.LBB119_384:
	v_lshlrev_b32_e32 v26, 2, v0
	v_mov_b32_e32 v27, 0
	ds_read_b32 v26, v26 offset:5984
	ds_read_b32 v27, v27 offset:4188
	s_waitcnt lgkmcnt(0)
	v_fmac_f32_e32 v25, v26, v27
.LBB119_385:
	s_or_b64 exec, exec, s[20:21]
	v_xor_b32_e32 v25, 0x80000000, v25
.LBB119_386:
	s_or_b64 exec, exec, s[16:17]
	s_and_saveexec_b64 s[14:15], s[58:59]
	s_cbranch_execz .LBB119_388
; %bb.387:
	v_mov_b32_e32 v26, 0
	ds_read_b32 v26, v26 offset:6240
	s_waitcnt lgkmcnt(0)
	v_mul_f32_e32 v25, v25, v26
	ds_write_b32 v17, v25
.LBB119_388:
	s_or_b64 exec, exec, s[14:15]
	s_waitcnt lgkmcnt(0)
	s_barrier
	s_and_saveexec_b64 s[14:15], s[60:61]
	s_cbranch_execz .LBB119_390
; %bb.389:
	ds_read_b32 v26, v16 offset:6240
	ds_read_b32 v27, v17
	s_waitcnt lgkmcnt(0)
	v_fmac_f32_e32 v25, v26, v27
.LBB119_390:
	s_or_b64 exec, exec, s[14:15]
	s_barrier
	s_and_saveexec_b64 s[14:15], s[62:63]
	s_cbranch_execz .LBB119_392
; %bb.391:
	v_mov_b32_e32 v26, 0
	ds_read_b32 v26, v26 offset:6500
	s_waitcnt lgkmcnt(0)
	v_mul_f32_e32 v25, v25, v26
	ds_write_b32 v17, v25
.LBB119_392:
	s_or_b64 exec, exec, s[14:15]
	s_waitcnt lgkmcnt(0)
	s_barrier
	s_and_saveexec_b64 s[14:15], s[64:65]
	s_cbranch_execz .LBB119_394
; %bb.393:
	ds_read_b32 v26, v16 offset:6496
	ds_read_b32 v27, v17
	s_waitcnt lgkmcnt(0)
	v_fmac_f32_e32 v25, v26, v27
.LBB119_394:
	s_or_b64 exec, exec, s[14:15]
	s_barrier
	;; [unrolled: 22-line block ×6, first 2 shown]
	s_and_saveexec_b64 s[14:15], s[84:85]
	s_cbranch_execz .LBB119_412
; %bb.411:
	v_mov_b32_e32 v26, 0
	ds_read_b32 v26, v26 offset:7800
	s_waitcnt lgkmcnt(0)
	v_mul_f32_e32 v25, v25, v26
	ds_write_b32 v17, v25
.LBB119_412:
	s_or_b64 exec, exec, s[14:15]
	s_waitcnt lgkmcnt(0)
	s_barrier
	s_and_saveexec_b64 s[14:15], s[66:67]
	s_cbranch_execz .LBB119_414
; %bb.413:
	v_mov_b32_e32 v26, 0
	ds_read_b32 v26, v26 offset:7804
	ds_read_b32 v27, v17
	s_waitcnt lgkmcnt(0)
	v_fmac_f32_e32 v25, v26, v27
.LBB119_414:
	s_or_b64 exec, exec, s[14:15]
	s_barrier
	s_and_saveexec_b64 s[14:15], s[66:67]
	s_cbranch_execz .LBB119_416
; %bb.415:
	v_mov_b32_e32 v26, 0
	ds_read_b32 v26, v26 offset:8060
	s_waitcnt lgkmcnt(0)
	v_mul_f32_e32 v25, v25, v26
	ds_write_b32 v17, v25
.LBB119_416:
	s_or_b64 exec, exec, s[14:15]
	s_waitcnt lgkmcnt(0)
	s_barrier
	s_barrier
	s_and_saveexec_b64 s[14:15], s[8:9]
; %bb.417:
	v_xor_b32_e32 v25, 0x80000000, v25
	ds_write_b32 v15, v25 offset:4192
; %bb.418:
	s_or_b64 exec, exec, s[14:15]
	s_waitcnt lgkmcnt(0)
	s_barrier
	s_barrier
	s_and_saveexec_b64 s[14:15], s[86:87]
	s_cbranch_execz .LBB119_420
; %bb.419:
	v_lshlrev_b32_e32 v25, 8, v0
	ds_read_b32 v26, v25 offset:4192
	s_movk_i32 s16, 0xff04
	v_mad_i32_i24 v27, v0, s16, v25
	s_waitcnt lgkmcnt(0)
	ds_write_b32 v27, v26 offset:6208
	ds_read_b32 v26, v25 offset:4196
	s_waitcnt lgkmcnt(0)
	ds_write_b32 v27, v26 offset:6464
	ds_read_b32 v26, v25 offset:4200
	;; [unrolled: 3-line block ×7, first 2 shown]
	s_waitcnt lgkmcnt(0)
	ds_write_b32 v27, v25 offset:8000
.LBB119_420:
	s_or_b64 exec, exec, s[14:15]
	s_waitcnt lgkmcnt(0)
	s_barrier
	s_and_saveexec_b64 s[14:15], vcc
	s_cbranch_execz .LBB119_422
; %bb.421:
	v_mov_b32_e32 v27, 0
	ds_read_b64 v[25:26], v27 offset:6240
	ds_read_b32 v27, v27 offset:6500
	s_movk_i32 s16, 0x1800
	s_waitcnt lgkmcnt(0)
	v_mul_f32_e32 v25, v25, v27
	v_mul_f32_e32 v25, v26, v25
	v_add_u32_e64 v26, s16, 0
	ds_write2_b32 v26, v25, v25 offset0:25 offset1:88
.LBB119_422:
	s_or_b64 exec, exec, s[14:15]
	v_mov_b32_e32 v25, 0
	s_waitcnt lgkmcnt(0)
	s_barrier
	s_and_saveexec_b64 s[16:17], s[2:3]
	s_cbranch_execz .LBB119_426
; %bb.423:
	v_mul_u32_u24_e32 v25, 0x104, v5
	ds_read_b32 v27, v1 offset:6248
	ds_read_b32 v25, v25 offset:6240
	v_mov_b32_e32 v26, 0
	v_cmp_gt_u32_e64 s[14:15], 2, v4
	s_waitcnt lgkmcnt(0)
	v_fma_f32 v25, v27, v25, 0
	s_and_saveexec_b64 s[20:21], s[14:15]
	s_cbranch_execz .LBB119_425
; %bb.424:
	v_lshlrev_b32_e32 v27, 2, v0
	ds_read_b32 v27, v27 offset:6504
	ds_read_b32 v26, v26 offset:6244
	s_waitcnt lgkmcnt(0)
	v_fmac_f32_e32 v25, v27, v26
.LBB119_425:
	s_or_b64 exec, exec, s[20:21]
	v_xor_b32_e32 v25, 0x80000000, v25
.LBB119_426:
	s_or_b64 exec, exec, s[16:17]
	s_and_saveexec_b64 s[14:15], s[40:41]
	s_cbranch_execz .LBB119_428
; %bb.427:
	v_mov_b32_e32 v26, 0
	ds_read_b32 v26, v26 offset:6760
	s_waitcnt lgkmcnt(0)
	v_mul_f32_e32 v25, v25, v26
	ds_write_b32 v3, v25
.LBB119_428:
	s_or_b64 exec, exec, s[14:15]
	s_waitcnt lgkmcnt(0)
	s_barrier
	s_and_saveexec_b64 s[14:15], s[38:39]
	s_cbranch_execz .LBB119_430
; %bb.429:
	v_mov_b32_e32 v26, 0
	ds_read_b32 v26, v26 offset:6764
	ds_read_b32 v27, v3
	s_waitcnt lgkmcnt(0)
	v_fmac_f32_e32 v25, v26, v27
.LBB119_430:
	s_or_b64 exec, exec, s[14:15]
	s_barrier
	s_and_saveexec_b64 s[14:15], s[38:39]
	s_cbranch_execz .LBB119_432
; %bb.431:
	v_mov_b32_e32 v26, 0
	ds_read_b32 v26, v26 offset:7020
	s_waitcnt lgkmcnt(0)
	v_mul_f32_e32 v25, v25, v26
	ds_write_b32 v3, v25
.LBB119_432:
	s_or_b64 exec, exec, s[14:15]
	s_waitcnt lgkmcnt(0)
	s_barrier
	s_barrier
	s_and_saveexec_b64 s[14:15], s[2:3]
; %bb.433:
	v_xor_b32_e32 v25, 0x80000000, v25
	ds_write_b32 v1, v25 offset:6248
; %bb.434:
	s_or_b64 exec, exec, s[14:15]
	s_waitcnt lgkmcnt(0)
	s_barrier
	s_barrier
	s_and_saveexec_b64 s[14:15], s[42:43]
	s_cbranch_execz .LBB119_436
; %bb.435:
	v_lshlrev_b32_e32 v25, 2, v0
	s_movk_i32 s16, 0xfc
	v_mad_u32_u24 v26, v0, s16, v25
	ds_read_b32 v27, v26 offset:6248
	s_waitcnt lgkmcnt(0)
	ds_write_b32 v25, v27 offset:6752
	ds_read_b32 v26, v26 offset:6252
	s_waitcnt lgkmcnt(0)
	ds_write_b32 v25, v26 offset:7008
.LBB119_436:
	s_or_b64 exec, exec, s[14:15]
	s_waitcnt lgkmcnt(0)
	s_barrier
	s_and_saveexec_b64 s[14:15], vcc
	s_cbranch_execz .LBB119_438
; %bb.437:
	v_mov_b32_e32 v27, 0
	ds_read_b64 v[25:26], v27 offset:6760
	ds_read_b32 v27, v27 offset:7020
	s_movk_i32 s16, 0x1800
	s_waitcnt lgkmcnt(0)
	v_mul_f32_e32 v25, v25, v27
	v_mul_f32_e32 v25, v26, v25
	v_add_u32_e64 v26, s16, 0
	ds_write2_b32 v26, v25, v25 offset0:155 offset1:218
.LBB119_438:
	s_or_b64 exec, exec, s[14:15]
	v_mov_b32_e32 v25, 0
	s_waitcnt lgkmcnt(0)
	s_barrier
	s_and_saveexec_b64 s[16:17], s[18:19]
	s_cbranch_execz .LBB119_444
; %bb.439:
	v_mul_u32_u24_e32 v26, 0x104, v14
	ds_read_b32 v25, v6 offset:6256
	ds_read_b32 v27, v26 offset:6240
	v_cmp_gt_u32_e64 s[14:15], 12, v4
	s_waitcnt lgkmcnt(0)
	v_fma_f32 v25, v25, v27, 0
	s_and_saveexec_b64 s[20:21], s[14:15]
	s_cbranch_execnz .LBB119_1227
; %bb.440:
	s_or_b64 exec, exec, s[20:21]
	v_cmp_gt_u32_e64 s[14:15], 8, v4
	s_and_saveexec_b64 s[20:21], s[14:15]
	s_cbranch_execnz .LBB119_1228
.LBB119_441:
	s_or_b64 exec, exec, s[20:21]
	v_cmp_gt_u32_e64 s[14:15], 4, v4
	s_and_saveexec_b64 s[20:21], s[14:15]
	s_cbranch_execz .LBB119_443
.LBB119_442:
	v_lshlrev_b32_e32 v26, 2, v0
	v_mov_b32_e32 v27, 0
	ds_read_b32 v26, v26 offset:7024
	ds_read_b32 v27, v27 offset:6252
	s_waitcnt lgkmcnt(0)
	v_fmac_f32_e32 v25, v26, v27
.LBB119_443:
	s_or_b64 exec, exec, s[20:21]
	v_xor_b32_e32 v25, 0x80000000, v25
.LBB119_444:
	s_or_b64 exec, exec, s[16:17]
	s_and_saveexec_b64 s[14:15], s[46:47]
	s_cbranch_execz .LBB119_446
; %bb.445:
	v_mov_b32_e32 v26, 0
	ds_read_b32 v26, v26 offset:7280
	s_waitcnt lgkmcnt(0)
	v_mul_f32_e32 v25, v25, v26
	ds_write_b32 v12, v25
.LBB119_446:
	s_or_b64 exec, exec, s[14:15]
	s_waitcnt lgkmcnt(0)
	s_barrier
	s_and_saveexec_b64 s[14:15], s[48:49]
	s_cbranch_execz .LBB119_448
; %bb.447:
	ds_read_b32 v26, v11 offset:7280
	ds_read_b32 v27, v12
	s_waitcnt lgkmcnt(0)
	v_fmac_f32_e32 v25, v26, v27
.LBB119_448:
	s_or_b64 exec, exec, s[14:15]
	s_barrier
	s_and_saveexec_b64 s[14:15], s[50:51]
	s_cbranch_execz .LBB119_450
; %bb.449:
	v_mov_b32_e32 v26, 0
	ds_read_b32 v26, v26 offset:7540
	s_waitcnt lgkmcnt(0)
	v_mul_f32_e32 v25, v25, v26
	ds_write_b32 v12, v25
.LBB119_450:
	s_or_b64 exec, exec, s[14:15]
	s_waitcnt lgkmcnt(0)
	s_barrier
	s_and_saveexec_b64 s[14:15], s[52:53]
	s_cbranch_execz .LBB119_452
; %bb.451:
	ds_read_b32 v26, v11 offset:7536
	ds_read_b32 v27, v12
	s_waitcnt lgkmcnt(0)
	v_fmac_f32_e32 v25, v26, v27
.LBB119_452:
	s_or_b64 exec, exec, s[14:15]
	s_barrier
	s_and_saveexec_b64 s[14:15], s[54:55]
	s_cbranch_execz .LBB119_454
; %bb.453:
	v_mov_b32_e32 v26, 0
	ds_read_b32 v26, v26 offset:7800
	s_waitcnt lgkmcnt(0)
	v_mul_f32_e32 v25, v25, v26
	ds_write_b32 v12, v25
.LBB119_454:
	s_or_b64 exec, exec, s[14:15]
	s_waitcnt lgkmcnt(0)
	s_barrier
	s_and_saveexec_b64 s[14:15], s[44:45]
	s_cbranch_execz .LBB119_456
; %bb.455:
	v_mov_b32_e32 v26, 0
	ds_read_b32 v26, v26 offset:7804
	ds_read_b32 v27, v12
	s_waitcnt lgkmcnt(0)
	v_fmac_f32_e32 v25, v26, v27
.LBB119_456:
	s_or_b64 exec, exec, s[14:15]
	s_barrier
	s_and_saveexec_b64 s[14:15], s[44:45]
	s_cbranch_execz .LBB119_458
; %bb.457:
	v_mov_b32_e32 v26, 0
	ds_read_b32 v26, v26 offset:8060
	s_waitcnt lgkmcnt(0)
	v_mul_f32_e32 v25, v25, v26
	ds_write_b32 v12, v25
.LBB119_458:
	s_or_b64 exec, exec, s[14:15]
	s_waitcnt lgkmcnt(0)
	s_barrier
	s_barrier
	s_and_saveexec_b64 s[14:15], s[18:19]
; %bb.459:
	v_xor_b32_e32 v25, 0x80000000, v25
	ds_write_b32 v6, v25 offset:6256
; %bb.460:
	s_or_b64 exec, exec, s[14:15]
	s_waitcnt lgkmcnt(0)
	s_barrier
	s_barrier
	s_and_saveexec_b64 s[14:15], s[56:57]
	s_cbranch_execz .LBB119_462
; %bb.461:
	v_lshlrev_b32_e32 v25, 8, v0
	ds_read_b32 v26, v25 offset:6256
	s_movk_i32 s16, 0xff04
	v_mad_i32_i24 v27, v0, s16, v25
	s_waitcnt lgkmcnt(0)
	ds_write_b32 v27, v26 offset:7264
	ds_read_b32 v26, v25 offset:6260
	s_waitcnt lgkmcnt(0)
	ds_write_b32 v27, v26 offset:7520
	ds_read_b32 v26, v25 offset:6264
	;; [unrolled: 3-line block ×3, first 2 shown]
	s_waitcnt lgkmcnt(0)
	ds_write_b32 v27, v25 offset:8032
.LBB119_462:
	s_or_b64 exec, exec, s[14:15]
	s_waitcnt lgkmcnt(0)
	s_barrier
	s_and_saveexec_b64 s[14:15], vcc
	s_cbranch_execz .LBB119_464
; %bb.463:
	v_mov_b32_e32 v27, 0
	ds_read_b64 v[25:26], v27 offset:7280
	ds_read_b32 v27, v27 offset:7540
	s_movk_i32 s16, 0x1c00
	s_waitcnt lgkmcnt(0)
	v_mul_f32_e32 v25, v25, v27
	v_mul_f32_e32 v25, v26, v25
	v_add_u32_e64 v26, s16, 0
	ds_write2_b32 v26, v25, v25 offset0:29 offset1:92
.LBB119_464:
	s_or_b64 exec, exec, s[14:15]
	v_mov_b32_e32 v25, 0
	s_waitcnt lgkmcnt(0)
	s_barrier
	s_and_saveexec_b64 s[16:17], s[2:3]
	s_cbranch_execz .LBB119_468
; %bb.465:
	v_mul_u32_u24_e32 v25, 0x104, v5
	ds_read_b32 v27, v1 offset:7288
	ds_read_b32 v25, v25 offset:7280
	v_mov_b32_e32 v26, 0
	v_cmp_gt_u32_e64 s[14:15], 2, v4
	s_waitcnt lgkmcnt(0)
	v_fma_f32 v25, v27, v25, 0
	s_and_saveexec_b64 s[20:21], s[14:15]
	s_cbranch_execz .LBB119_467
; %bb.466:
	v_lshlrev_b32_e32 v27, 2, v0
	ds_read_b32 v27, v27 offset:7544
	ds_read_b32 v26, v26 offset:7284
	s_waitcnt lgkmcnt(0)
	v_fmac_f32_e32 v25, v27, v26
.LBB119_467:
	s_or_b64 exec, exec, s[20:21]
	v_xor_b32_e32 v25, 0x80000000, v25
.LBB119_468:
	s_or_b64 exec, exec, s[16:17]
	s_and_saveexec_b64 s[14:15], s[40:41]
	s_cbranch_execz .LBB119_470
; %bb.469:
	v_mov_b32_e32 v26, 0
	ds_read_b32 v26, v26 offset:7800
	s_waitcnt lgkmcnt(0)
	v_mul_f32_e32 v25, v25, v26
	ds_write_b32 v3, v25
.LBB119_470:
	s_or_b64 exec, exec, s[14:15]
	s_waitcnt lgkmcnt(0)
	s_barrier
	s_and_saveexec_b64 s[14:15], s[38:39]
	s_cbranch_execz .LBB119_472
; %bb.471:
	v_mov_b32_e32 v26, 0
	ds_read_b32 v26, v26 offset:7804
	ds_read_b32 v27, v3
	s_waitcnt lgkmcnt(0)
	v_fmac_f32_e32 v25, v26, v27
.LBB119_472:
	s_or_b64 exec, exec, s[14:15]
	s_barrier
	s_and_saveexec_b64 s[14:15], s[38:39]
	s_cbranch_execz .LBB119_474
; %bb.473:
	v_mov_b32_e32 v26, 0
	ds_read_b32 v26, v26 offset:8060
	s_waitcnt lgkmcnt(0)
	v_mul_f32_e32 v25, v25, v26
	ds_write_b32 v3, v25
.LBB119_474:
	s_or_b64 exec, exec, s[14:15]
	s_waitcnt lgkmcnt(0)
	s_barrier
	s_barrier
	s_and_saveexec_b64 s[14:15], s[2:3]
; %bb.475:
	v_xor_b32_e32 v25, 0x80000000, v25
	ds_write_b32 v1, v25 offset:7288
; %bb.476:
	s_or_b64 exec, exec, s[14:15]
	s_waitcnt lgkmcnt(0)
	s_barrier
	s_barrier
	s_and_saveexec_b64 s[14:15], s[42:43]
	s_cbranch_execz .LBB119_478
; %bb.477:
	v_lshlrev_b32_e32 v25, 2, v0
	s_movk_i32 s16, 0xfc
	v_mad_u32_u24 v26, v0, s16, v25
	ds_read_b32 v27, v26 offset:7288
	s_waitcnt lgkmcnt(0)
	ds_write_b32 v25, v27 offset:7792
	ds_read_b32 v26, v26 offset:7292
	s_waitcnt lgkmcnt(0)
	ds_write_b32 v25, v26 offset:8048
.LBB119_478:
	s_or_b64 exec, exec, s[14:15]
	s_waitcnt lgkmcnt(0)
	s_barrier
	s_and_saveexec_b64 s[14:15], vcc
	s_cbranch_execz .LBB119_480
; %bb.479:
	v_mov_b32_e32 v27, 0
	ds_read_b64 v[25:26], v27 offset:7800
	ds_read_b32 v27, v27 offset:8060
	s_movk_i32 s16, 0x1c00
	s_waitcnt lgkmcnt(0)
	v_mul_f32_e32 v25, v25, v27
	v_mul_f32_e32 v25, v26, v25
	v_add_u32_e64 v26, s16, 0
	ds_write2_b32 v26, v25, v25 offset0:159 offset1:222
.LBB119_480:
	s_or_b64 exec, exec, s[14:15]
	v_and_b32_e32 v26, 31, v0
	s_movk_i32 s14, 0x3ff
	v_lshrrev_b32_e32 v29, 5, v4
	v_cmp_lt_u32_e64 s[16:17], s14, v4
	s_movk_i32 s14, 0x400
	v_lshlrev_b32_e32 v27, 2, v26
	v_cmp_gt_u32_e64 s[14:15], s14, v4
	v_lshl_or_b32 v25, v29, 8, v27
	v_mov_b32_e32 v28, 0
	s_waitcnt lgkmcnt(0)
	s_barrier
	s_and_saveexec_b64 s[94:95], s[14:15]
	s_cbranch_execz .LBB119_542
; %bb.481:
	v_mul_u32_u24_e32 v30, 0x104, v29
	ds_read_b32 v28, v25 offset:128
	ds_read_b32 v31, v30
	s_movk_i32 s20, 0x3e0
	v_cmp_gt_u32_e64 s[20:21], s20, v4
	s_waitcnt lgkmcnt(0)
	v_fma_f32 v28, v28, v31, 0
	s_and_saveexec_b64 s[22:23], s[20:21]
	s_cbranch_execz .LBB119_483
; %bb.482:
	ds_read_b32 v31, v25 offset:384
	ds_read_b32 v32, v30 offset:4
	s_waitcnt lgkmcnt(0)
	v_fmac_f32_e32 v28, v31, v32
.LBB119_483:
	s_or_b64 exec, exec, s[22:23]
	s_movk_i32 s20, 0x3c0
	v_cmp_gt_u32_e64 s[20:21], s20, v4
	s_and_saveexec_b64 s[22:23], s[20:21]
	s_cbranch_execz .LBB119_485
; %bb.484:
	ds_read_b32 v31, v25 offset:640
	ds_read_b32 v32, v30 offset:8
	s_waitcnt lgkmcnt(0)
	v_fmac_f32_e32 v28, v31, v32
.LBB119_485:
	s_or_b64 exec, exec, s[22:23]
	s_movk_i32 s20, 0x3a0
	v_cmp_gt_u32_e64 s[20:21], s20, v4
	;; [unrolled: 11-line block ×28, first 2 shown]
	s_and_saveexec_b64 s[22:23], s[20:21]
	s_cbranch_execnz .LBB119_1229
; %bb.538:
	s_or_b64 exec, exec, s[22:23]
	v_cmp_gt_u32_e64 s[20:21], 64, v4
	s_and_saveexec_b64 s[22:23], s[20:21]
	s_cbranch_execnz .LBB119_1230
.LBB119_539:
	s_or_b64 exec, exec, s[22:23]
	v_cmp_gt_u32_e64 s[20:21], 32, v4
	s_and_saveexec_b64 s[22:23], s[20:21]
	s_cbranch_execz .LBB119_541
.LBB119_540:
	v_lshlrev_b32_e32 v30, 2, v0
	v_mov_b32_e32 v31, 0
	ds_read_b32 v30, v30 offset:8064
	ds_read_b32 v31, v31 offset:124
	s_waitcnt lgkmcnt(0)
	v_fmac_f32_e32 v28, v30, v31
.LBB119_541:
	s_or_b64 exec, exec, s[22:23]
	v_xor_b32_e32 v28, 0x80000000, v28
.LBB119_542:
	s_or_b64 exec, exec, s[94:95]
	v_mov_b32_e32 v30, 0x4000
	v_cmp_eq_u32_e64 s[20:21], 0, v26
	s_xor_b64 s[94:95], s[16:17], -1
	v_lshl_or_b32 v29, v29, 2, v30
	s_and_b64 s[20:21], s[20:21], s[94:95]
	s_and_saveexec_b64 s[16:17], s[20:21]
	s_cbranch_execz .LBB119_544
; %bb.543:
	v_mov_b32_e32 v30, 0
	ds_read_b32 v30, v30 offset:8320
	s_waitcnt lgkmcnt(0)
	v_mul_f32_e32 v28, v28, v30
	ds_write_b32 v29, v28
.LBB119_544:
	s_or_b64 exec, exec, s[16:17]
	v_cmp_ne_u32_e64 s[16:17], 0, v26
	s_and_b64 s[20:21], s[16:17], s[94:95]
	s_waitcnt lgkmcnt(0)
	s_barrier
	s_and_saveexec_b64 s[16:17], s[20:21]
	s_cbranch_execz .LBB119_546
; %bb.545:
	ds_read_b32 v30, v27 offset:8320
	ds_read_b32 v31, v29
	s_waitcnt lgkmcnt(0)
	v_fmac_f32_e32 v28, v30, v31
.LBB119_546:
	s_or_b64 exec, exec, s[16:17]
	v_cmp_eq_u32_e64 s[16:17], 1, v26
	s_and_b64 s[20:21], s[16:17], s[94:95]
	s_barrier
	s_and_saveexec_b64 s[16:17], s[20:21]
	s_cbranch_execz .LBB119_548
; %bb.547:
	v_mov_b32_e32 v30, 0
	ds_read_b32 v30, v30 offset:8580
	s_waitcnt lgkmcnt(0)
	v_mul_f32_e32 v28, v28, v30
	ds_write_b32 v29, v28
.LBB119_548:
	s_or_b64 exec, exec, s[16:17]
	v_cmp_lt_u32_e64 s[16:17], 1, v26
	s_and_b64 s[20:21], s[16:17], s[94:95]
	s_waitcnt lgkmcnt(0)
	s_barrier
	s_and_saveexec_b64 s[16:17], s[20:21]
	s_cbranch_execz .LBB119_550
; %bb.549:
	ds_read_b32 v30, v27 offset:8576
	ds_read_b32 v31, v29
	s_waitcnt lgkmcnt(0)
	v_fmac_f32_e32 v28, v30, v31
.LBB119_550:
	s_or_b64 exec, exec, s[16:17]
	v_cmp_eq_u32_e64 s[16:17], 2, v26
	s_and_b64 s[20:21], s[16:17], s[94:95]
	s_barrier
	s_and_saveexec_b64 s[16:17], s[20:21]
	s_cbranch_execz .LBB119_552
; %bb.551:
	v_mov_b32_e32 v30, 0
	ds_read_b32 v30, v30 offset:8840
	s_waitcnt lgkmcnt(0)
	v_mul_f32_e32 v28, v28, v30
	ds_write_b32 v29, v28
.LBB119_552:
	s_or_b64 exec, exec, s[16:17]
	v_cmp_lt_u32_e64 s[16:17], 2, v26
	;; [unrolled: 26-line block ×29, first 2 shown]
	s_and_b64 s[20:21], s[16:17], s[94:95]
	s_waitcnt lgkmcnt(0)
	s_barrier
	s_and_saveexec_b64 s[16:17], s[20:21]
	s_cbranch_execz .LBB119_662
; %bb.661:
	ds_read_b32 v27, v27 offset:15744
	ds_read_b32 v30, v29
	s_waitcnt lgkmcnt(0)
	v_fmac_f32_e32 v28, v27, v30
.LBB119_662:
	s_or_b64 exec, exec, s[16:17]
	v_cmp_eq_u32_e64 s[16:17], 30, v26
	s_and_b64 s[20:21], s[16:17], s[94:95]
	s_barrier
	s_and_saveexec_b64 s[16:17], s[20:21]
	s_cbranch_execz .LBB119_664
; %bb.663:
	v_mov_b32_e32 v27, 0
	ds_read_b32 v27, v27 offset:16120
	s_waitcnt lgkmcnt(0)
	v_mul_f32_e32 v28, v28, v27
	ds_write_b32 v29, v28
.LBB119_664:
	s_or_b64 exec, exec, s[16:17]
	v_cmp_eq_u32_e64 s[16:17], 31, v26
	s_and_b64 s[16:17], s[16:17], s[94:95]
	s_waitcnt lgkmcnt(0)
	s_barrier
	s_and_saveexec_b64 s[20:21], s[16:17]
	s_cbranch_execz .LBB119_666
; %bb.665:
	v_mov_b32_e32 v26, 0
	ds_read_b32 v26, v26 offset:16124
	ds_read_b32 v27, v29
	s_waitcnt lgkmcnt(0)
	v_fmac_f32_e32 v28, v26, v27
.LBB119_666:
	s_or_b64 exec, exec, s[20:21]
	s_barrier
	s_and_saveexec_b64 s[20:21], s[16:17]
	s_cbranch_execz .LBB119_668
; %bb.667:
	v_mov_b32_e32 v26, 0
	ds_read_b32 v26, v26 offset:16380
	s_waitcnt lgkmcnt(0)
	v_mul_f32_e32 v28, v28, v26
	ds_write_b32 v29, v28
.LBB119_668:
	s_or_b64 exec, exec, s[20:21]
	s_waitcnt lgkmcnt(0)
	s_barrier
	s_barrier
	s_and_saveexec_b64 s[16:17], s[14:15]
; %bb.669:
	v_xor_b32_e32 v26, 0x80000000, v28
	ds_write_b32 v25, v26 offset:128
; %bb.670:
	s_or_b64 exec, exec, s[16:17]
	v_cmp_gt_u32_e64 s[14:15], 32, v0
	s_and_b64 s[14:15], s[12:13], s[14:15]
	s_waitcnt lgkmcnt(0)
	s_barrier
	s_barrier
	s_and_saveexec_b64 s[12:13], s[14:15]
	s_cbranch_execz .LBB119_672
; %bb.671:
	v_lshlrev_b32_e32 v25, 8, v0
	ds_read_b32 v26, v25 offset:128
	s_movk_i32 s14, 0xff04
	v_mad_i32_i24 v27, v0, s14, v25
	s_waitcnt lgkmcnt(0)
	ds_write_b32 v27, v26 offset:8192
	ds_read_b32 v26, v25 offset:132
	s_waitcnt lgkmcnt(0)
	ds_write_b32 v27, v26 offset:8448
	ds_read_b32 v26, v25 offset:136
	;; [unrolled: 3-line block ×31, first 2 shown]
	s_waitcnt lgkmcnt(0)
	ds_write_b32 v27, v25 offset:16128
.LBB119_672:
	s_or_b64 exec, exec, s[12:13]
	s_waitcnt lgkmcnt(0)
	s_barrier
	s_and_saveexec_b64 s[12:13], vcc
	s_cbranch_execz .LBB119_674
; %bb.673:
	v_mov_b32_e32 v27, 0
	ds_read_b64 v[25:26], v27 offset:8320
	ds_read_b32 v27, v27 offset:8580
	s_movk_i32 s14, 0x2000
	s_waitcnt lgkmcnt(0)
	v_mul_f32_e32 v25, v25, v27
	v_mul_f32_e32 v25, v26, v25
	v_add_u32_e64 v26, s14, 0
	ds_write2_b32 v26, v25, v25 offset0:33 offset1:96
.LBB119_674:
	s_or_b64 exec, exec, s[12:13]
	v_mov_b32_e32 v25, 0
	s_waitcnt lgkmcnt(0)
	s_barrier
	s_and_saveexec_b64 s[14:15], s[2:3]
	s_cbranch_execz .LBB119_678
; %bb.675:
	v_mul_u32_u24_e32 v25, 0x104, v5
	ds_read_b32 v27, v1 offset:8328
	ds_read_b32 v25, v25 offset:8320
	v_mov_b32_e32 v26, 0
	v_cmp_gt_u32_e64 s[12:13], 2, v4
	s_waitcnt lgkmcnt(0)
	v_fma_f32 v25, v27, v25, 0
	s_and_saveexec_b64 s[16:17], s[12:13]
	s_cbranch_execz .LBB119_677
; %bb.676:
	v_lshlrev_b32_e32 v27, 2, v0
	ds_read_b32 v27, v27 offset:8584
	ds_read_b32 v26, v26 offset:8324
	s_waitcnt lgkmcnt(0)
	v_fmac_f32_e32 v25, v27, v26
.LBB119_677:
	s_or_b64 exec, exec, s[16:17]
	v_xor_b32_e32 v25, 0x80000000, v25
.LBB119_678:
	s_or_b64 exec, exec, s[14:15]
	s_and_saveexec_b64 s[12:13], s[40:41]
	s_cbranch_execz .LBB119_680
; %bb.679:
	v_mov_b32_e32 v26, 0
	ds_read_b32 v26, v26 offset:8840
	s_waitcnt lgkmcnt(0)
	v_mul_f32_e32 v25, v25, v26
	ds_write_b32 v3, v25
.LBB119_680:
	s_or_b64 exec, exec, s[12:13]
	s_waitcnt lgkmcnt(0)
	s_barrier
	s_and_saveexec_b64 s[12:13], s[38:39]
	s_cbranch_execz .LBB119_682
; %bb.681:
	v_mov_b32_e32 v26, 0
	ds_read_b32 v26, v26 offset:8844
	ds_read_b32 v27, v3
	s_waitcnt lgkmcnt(0)
	v_fmac_f32_e32 v25, v26, v27
.LBB119_682:
	s_or_b64 exec, exec, s[12:13]
	s_barrier
	s_and_saveexec_b64 s[12:13], s[38:39]
	s_cbranch_execz .LBB119_684
; %bb.683:
	v_mov_b32_e32 v26, 0
	ds_read_b32 v26, v26 offset:9100
	s_waitcnt lgkmcnt(0)
	v_mul_f32_e32 v25, v25, v26
	ds_write_b32 v3, v25
.LBB119_684:
	s_or_b64 exec, exec, s[12:13]
	s_waitcnt lgkmcnt(0)
	s_barrier
	s_barrier
	s_and_saveexec_b64 s[12:13], s[2:3]
; %bb.685:
	v_xor_b32_e32 v25, 0x80000000, v25
	ds_write_b32 v1, v25 offset:8328
; %bb.686:
	s_or_b64 exec, exec, s[12:13]
	s_waitcnt lgkmcnt(0)
	s_barrier
	s_barrier
	s_and_saveexec_b64 s[12:13], s[42:43]
	s_cbranch_execz .LBB119_688
; %bb.687:
	v_lshlrev_b32_e32 v25, 2, v0
	s_movk_i32 s14, 0xfc
	v_mad_u32_u24 v26, v0, s14, v25
	ds_read_b32 v27, v26 offset:8328
	s_waitcnt lgkmcnt(0)
	ds_write_b32 v25, v27 offset:8832
	ds_read_b32 v26, v26 offset:8332
	s_waitcnt lgkmcnt(0)
	ds_write_b32 v25, v26 offset:9088
.LBB119_688:
	s_or_b64 exec, exec, s[12:13]
	s_waitcnt lgkmcnt(0)
	s_barrier
	s_and_saveexec_b64 s[12:13], vcc
	s_cbranch_execz .LBB119_690
; %bb.689:
	v_mov_b32_e32 v27, 0
	ds_read_b64 v[25:26], v27 offset:8840
	ds_read_b32 v27, v27 offset:9100
	s_movk_i32 s14, 0x2000
	s_waitcnt lgkmcnt(0)
	v_mul_f32_e32 v25, v25, v27
	v_mul_f32_e32 v25, v26, v25
	v_add_u32_e64 v26, s14, 0
	ds_write2_b32 v26, v25, v25 offset0:163 offset1:226
.LBB119_690:
	s_or_b64 exec, exec, s[12:13]
	v_mov_b32_e32 v25, 0
	s_waitcnt lgkmcnt(0)
	s_barrier
	s_and_saveexec_b64 s[14:15], s[18:19]
	s_cbranch_execz .LBB119_696
; %bb.691:
	v_mul_u32_u24_e32 v26, 0x104, v14
	ds_read_b32 v25, v6 offset:8336
	ds_read_b32 v27, v26 offset:8320
	v_cmp_gt_u32_e64 s[12:13], 12, v4
	s_waitcnt lgkmcnt(0)
	v_fma_f32 v25, v25, v27, 0
	s_and_saveexec_b64 s[16:17], s[12:13]
	s_cbranch_execnz .LBB119_1231
; %bb.692:
	s_or_b64 exec, exec, s[16:17]
	v_cmp_gt_u32_e64 s[12:13], 8, v4
	s_and_saveexec_b64 s[16:17], s[12:13]
	s_cbranch_execnz .LBB119_1232
.LBB119_693:
	s_or_b64 exec, exec, s[16:17]
	v_cmp_gt_u32_e64 s[12:13], 4, v4
	s_and_saveexec_b64 s[16:17], s[12:13]
	s_cbranch_execz .LBB119_695
.LBB119_694:
	v_lshlrev_b32_e32 v26, 2, v0
	v_mov_b32_e32 v27, 0
	ds_read_b32 v26, v26 offset:9104
	ds_read_b32 v27, v27 offset:8332
	s_waitcnt lgkmcnt(0)
	v_fmac_f32_e32 v25, v26, v27
.LBB119_695:
	s_or_b64 exec, exec, s[16:17]
	v_xor_b32_e32 v25, 0x80000000, v25
.LBB119_696:
	s_or_b64 exec, exec, s[14:15]
	s_and_saveexec_b64 s[12:13], s[46:47]
	s_cbranch_execz .LBB119_698
; %bb.697:
	v_mov_b32_e32 v26, 0
	ds_read_b32 v26, v26 offset:9360
	s_waitcnt lgkmcnt(0)
	v_mul_f32_e32 v25, v25, v26
	ds_write_b32 v12, v25
.LBB119_698:
	s_or_b64 exec, exec, s[12:13]
	s_waitcnt lgkmcnt(0)
	s_barrier
	s_and_saveexec_b64 s[12:13], s[48:49]
	s_cbranch_execz .LBB119_700
; %bb.699:
	ds_read_b32 v26, v11 offset:9360
	ds_read_b32 v27, v12
	s_waitcnt lgkmcnt(0)
	v_fmac_f32_e32 v25, v26, v27
.LBB119_700:
	s_or_b64 exec, exec, s[12:13]
	s_barrier
	s_and_saveexec_b64 s[12:13], s[50:51]
	s_cbranch_execz .LBB119_702
; %bb.701:
	v_mov_b32_e32 v26, 0
	ds_read_b32 v26, v26 offset:9620
	s_waitcnt lgkmcnt(0)
	v_mul_f32_e32 v25, v25, v26
	ds_write_b32 v12, v25
.LBB119_702:
	s_or_b64 exec, exec, s[12:13]
	s_waitcnt lgkmcnt(0)
	s_barrier
	s_and_saveexec_b64 s[12:13], s[52:53]
	s_cbranch_execz .LBB119_704
; %bb.703:
	ds_read_b32 v26, v11 offset:9616
	ds_read_b32 v27, v12
	s_waitcnt lgkmcnt(0)
	v_fmac_f32_e32 v25, v26, v27
.LBB119_704:
	s_or_b64 exec, exec, s[12:13]
	s_barrier
	s_and_saveexec_b64 s[12:13], s[54:55]
	s_cbranch_execz .LBB119_706
; %bb.705:
	v_mov_b32_e32 v26, 0
	ds_read_b32 v26, v26 offset:9880
	s_waitcnt lgkmcnt(0)
	v_mul_f32_e32 v25, v25, v26
	ds_write_b32 v12, v25
.LBB119_706:
	s_or_b64 exec, exec, s[12:13]
	s_waitcnt lgkmcnt(0)
	s_barrier
	s_and_saveexec_b64 s[12:13], s[44:45]
	s_cbranch_execz .LBB119_708
; %bb.707:
	v_mov_b32_e32 v26, 0
	ds_read_b32 v26, v26 offset:9884
	ds_read_b32 v27, v12
	s_waitcnt lgkmcnt(0)
	v_fmac_f32_e32 v25, v26, v27
.LBB119_708:
	s_or_b64 exec, exec, s[12:13]
	s_barrier
	s_and_saveexec_b64 s[12:13], s[44:45]
	s_cbranch_execz .LBB119_710
; %bb.709:
	v_mov_b32_e32 v26, 0
	ds_read_b32 v26, v26 offset:10140
	s_waitcnt lgkmcnt(0)
	v_mul_f32_e32 v25, v25, v26
	ds_write_b32 v12, v25
.LBB119_710:
	s_or_b64 exec, exec, s[12:13]
	s_waitcnt lgkmcnt(0)
	s_barrier
	s_barrier
	s_and_saveexec_b64 s[12:13], s[18:19]
; %bb.711:
	v_xor_b32_e32 v25, 0x80000000, v25
	ds_write_b32 v6, v25 offset:8336
; %bb.712:
	s_or_b64 exec, exec, s[12:13]
	s_waitcnt lgkmcnt(0)
	s_barrier
	s_barrier
	s_and_saveexec_b64 s[12:13], s[56:57]
	s_cbranch_execz .LBB119_714
; %bb.713:
	v_lshlrev_b32_e32 v25, 8, v0
	ds_read_b32 v26, v25 offset:8336
	s_movk_i32 s14, 0xff04
	v_mad_i32_i24 v27, v0, s14, v25
	s_waitcnt lgkmcnt(0)
	ds_write_b32 v27, v26 offset:9344
	ds_read_b32 v26, v25 offset:8340
	s_waitcnt lgkmcnt(0)
	ds_write_b32 v27, v26 offset:9600
	ds_read_b32 v26, v25 offset:8344
	;; [unrolled: 3-line block ×3, first 2 shown]
	s_waitcnt lgkmcnt(0)
	ds_write_b32 v27, v25 offset:10112
.LBB119_714:
	s_or_b64 exec, exec, s[12:13]
	s_waitcnt lgkmcnt(0)
	s_barrier
	s_and_saveexec_b64 s[12:13], vcc
	s_cbranch_execz .LBB119_716
; %bb.715:
	v_mov_b32_e32 v27, 0
	ds_read_b64 v[25:26], v27 offset:9360
	ds_read_b32 v27, v27 offset:9620
	s_movk_i32 s14, 0x2400
	s_waitcnt lgkmcnt(0)
	v_mul_f32_e32 v25, v25, v27
	v_mul_f32_e32 v25, v26, v25
	v_add_u32_e64 v26, s14, 0
	ds_write2_b32 v26, v25, v25 offset0:37 offset1:100
.LBB119_716:
	s_or_b64 exec, exec, s[12:13]
	v_mov_b32_e32 v25, 0
	s_waitcnt lgkmcnt(0)
	s_barrier
	s_and_saveexec_b64 s[14:15], s[2:3]
	s_cbranch_execz .LBB119_720
; %bb.717:
	v_mul_u32_u24_e32 v25, 0x104, v5
	ds_read_b32 v27, v1 offset:9368
	ds_read_b32 v25, v25 offset:9360
	v_mov_b32_e32 v26, 0
	v_cmp_gt_u32_e64 s[12:13], 2, v4
	s_waitcnt lgkmcnt(0)
	v_fma_f32 v25, v27, v25, 0
	s_and_saveexec_b64 s[16:17], s[12:13]
	s_cbranch_execz .LBB119_719
; %bb.718:
	v_lshlrev_b32_e32 v27, 2, v0
	ds_read_b32 v27, v27 offset:9624
	ds_read_b32 v26, v26 offset:9364
	s_waitcnt lgkmcnt(0)
	v_fmac_f32_e32 v25, v27, v26
.LBB119_719:
	s_or_b64 exec, exec, s[16:17]
	v_xor_b32_e32 v25, 0x80000000, v25
.LBB119_720:
	s_or_b64 exec, exec, s[14:15]
	s_and_saveexec_b64 s[12:13], s[40:41]
	s_cbranch_execz .LBB119_722
; %bb.721:
	v_mov_b32_e32 v26, 0
	ds_read_b32 v26, v26 offset:9880
	s_waitcnt lgkmcnt(0)
	v_mul_f32_e32 v25, v25, v26
	ds_write_b32 v3, v25
.LBB119_722:
	s_or_b64 exec, exec, s[12:13]
	s_waitcnt lgkmcnt(0)
	s_barrier
	s_and_saveexec_b64 s[12:13], s[38:39]
	s_cbranch_execz .LBB119_724
; %bb.723:
	v_mov_b32_e32 v26, 0
	ds_read_b32 v26, v26 offset:9884
	ds_read_b32 v27, v3
	s_waitcnt lgkmcnt(0)
	v_fmac_f32_e32 v25, v26, v27
.LBB119_724:
	s_or_b64 exec, exec, s[12:13]
	s_barrier
	s_and_saveexec_b64 s[12:13], s[38:39]
	s_cbranch_execz .LBB119_726
; %bb.725:
	v_mov_b32_e32 v26, 0
	ds_read_b32 v26, v26 offset:10140
	s_waitcnt lgkmcnt(0)
	v_mul_f32_e32 v25, v25, v26
	ds_write_b32 v3, v25
.LBB119_726:
	s_or_b64 exec, exec, s[12:13]
	s_waitcnt lgkmcnt(0)
	s_barrier
	s_barrier
	s_and_saveexec_b64 s[12:13], s[2:3]
; %bb.727:
	v_xor_b32_e32 v25, 0x80000000, v25
	ds_write_b32 v1, v25 offset:9368
; %bb.728:
	s_or_b64 exec, exec, s[12:13]
	s_waitcnt lgkmcnt(0)
	s_barrier
	s_barrier
	s_and_saveexec_b64 s[12:13], s[42:43]
	s_cbranch_execz .LBB119_730
; %bb.729:
	v_lshlrev_b32_e32 v25, 2, v0
	s_movk_i32 s14, 0xfc
	v_mad_u32_u24 v26, v0, s14, v25
	ds_read_b32 v27, v26 offset:9368
	s_waitcnt lgkmcnt(0)
	ds_write_b32 v25, v27 offset:9872
	ds_read_b32 v26, v26 offset:9372
	s_waitcnt lgkmcnt(0)
	ds_write_b32 v25, v26 offset:10128
.LBB119_730:
	s_or_b64 exec, exec, s[12:13]
	s_waitcnt lgkmcnt(0)
	s_barrier
	s_and_saveexec_b64 s[12:13], vcc
	s_cbranch_execz .LBB119_732
; %bb.731:
	v_mov_b32_e32 v27, 0
	ds_read_b64 v[25:26], v27 offset:9880
	ds_read_b32 v27, v27 offset:10140
	s_movk_i32 s14, 0x2400
	s_waitcnt lgkmcnt(0)
	v_mul_f32_e32 v25, v25, v27
	v_mul_f32_e32 v25, v26, v25
	v_add_u32_e64 v26, s14, 0
	ds_write2_b32 v26, v25, v25 offset0:167 offset1:230
.LBB119_732:
	s_or_b64 exec, exec, s[12:13]
	v_mov_b32_e32 v25, 0
	s_waitcnt lgkmcnt(0)
	s_barrier
	s_and_saveexec_b64 s[14:15], s[8:9]
	s_cbranch_execz .LBB119_742
; %bb.733:
	v_mul_u32_u24_e32 v26, 0x104, v19
	ds_read_b32 v25, v15 offset:8352
	ds_read_b32 v27, v26 offset:8320
	v_cmp_gt_u32_e64 s[12:13], 56, v4
	s_waitcnt lgkmcnt(0)
	v_fma_f32 v25, v25, v27, 0
	s_and_saveexec_b64 s[16:17], s[12:13]
	s_cbranch_execnz .LBB119_1233
; %bb.734:
	s_or_b64 exec, exec, s[16:17]
	v_cmp_gt_u32_e64 s[12:13], 48, v4
	s_and_saveexec_b64 s[16:17], s[12:13]
	s_cbranch_execnz .LBB119_1234
.LBB119_735:
	s_or_b64 exec, exec, s[16:17]
	v_cmp_gt_u32_e64 s[12:13], 40, v4
	s_and_saveexec_b64 s[16:17], s[12:13]
	s_cbranch_execnz .LBB119_1235
.LBB119_736:
	s_or_b64 exec, exec, s[16:17]
	v_cmp_gt_u32_e64 s[12:13], 32, v4
	s_and_saveexec_b64 s[16:17], s[12:13]
	s_cbranch_execnz .LBB119_1236
.LBB119_737:
	s_or_b64 exec, exec, s[16:17]
	v_cmp_gt_u32_e64 s[12:13], 24, v4
	s_and_saveexec_b64 s[16:17], s[12:13]
	s_cbranch_execnz .LBB119_1237
.LBB119_738:
	s_or_b64 exec, exec, s[16:17]
	v_cmp_gt_u32_e64 s[12:13], 16, v4
	s_and_saveexec_b64 s[16:17], s[12:13]
	s_cbranch_execnz .LBB119_1238
.LBB119_739:
	s_or_b64 exec, exec, s[16:17]
	v_cmp_gt_u32_e64 s[12:13], 8, v4
	s_and_saveexec_b64 s[16:17], s[12:13]
	s_cbranch_execz .LBB119_741
.LBB119_740:
	v_lshlrev_b32_e32 v26, 2, v0
	v_mov_b32_e32 v27, 0
	ds_read_b32 v26, v26 offset:10144
	ds_read_b32 v27, v27 offset:8348
	s_waitcnt lgkmcnt(0)
	v_fmac_f32_e32 v25, v26, v27
.LBB119_741:
	s_or_b64 exec, exec, s[16:17]
	v_xor_b32_e32 v25, 0x80000000, v25
.LBB119_742:
	s_or_b64 exec, exec, s[14:15]
	s_and_saveexec_b64 s[12:13], s[58:59]
	s_cbranch_execz .LBB119_744
; %bb.743:
	v_mov_b32_e32 v26, 0
	ds_read_b32 v26, v26 offset:10400
	s_waitcnt lgkmcnt(0)
	v_mul_f32_e32 v25, v25, v26
	ds_write_b32 v17, v25
.LBB119_744:
	s_or_b64 exec, exec, s[12:13]
	s_waitcnt lgkmcnt(0)
	s_barrier
	s_and_saveexec_b64 s[12:13], s[60:61]
	s_cbranch_execz .LBB119_746
; %bb.745:
	ds_read_b32 v26, v16 offset:10400
	ds_read_b32 v27, v17
	s_waitcnt lgkmcnt(0)
	v_fmac_f32_e32 v25, v26, v27
.LBB119_746:
	s_or_b64 exec, exec, s[12:13]
	s_barrier
	s_and_saveexec_b64 s[12:13], s[62:63]
	s_cbranch_execz .LBB119_748
; %bb.747:
	v_mov_b32_e32 v26, 0
	ds_read_b32 v26, v26 offset:10660
	s_waitcnt lgkmcnt(0)
	v_mul_f32_e32 v25, v25, v26
	ds_write_b32 v17, v25
.LBB119_748:
	s_or_b64 exec, exec, s[12:13]
	s_waitcnt lgkmcnt(0)
	s_barrier
	s_and_saveexec_b64 s[12:13], s[64:65]
	s_cbranch_execz .LBB119_750
; %bb.749:
	ds_read_b32 v26, v16 offset:10656
	ds_read_b32 v27, v17
	s_waitcnt lgkmcnt(0)
	v_fmac_f32_e32 v25, v26, v27
.LBB119_750:
	s_or_b64 exec, exec, s[12:13]
	s_barrier
	;; [unrolled: 22-line block ×6, first 2 shown]
	s_and_saveexec_b64 s[12:13], s[84:85]
	s_cbranch_execz .LBB119_768
; %bb.767:
	v_mov_b32_e32 v26, 0
	ds_read_b32 v26, v26 offset:11960
	s_waitcnt lgkmcnt(0)
	v_mul_f32_e32 v25, v25, v26
	ds_write_b32 v17, v25
.LBB119_768:
	s_or_b64 exec, exec, s[12:13]
	s_waitcnt lgkmcnt(0)
	s_barrier
	s_and_saveexec_b64 s[12:13], s[66:67]
	s_cbranch_execz .LBB119_770
; %bb.769:
	v_mov_b32_e32 v26, 0
	ds_read_b32 v26, v26 offset:11964
	ds_read_b32 v27, v17
	s_waitcnt lgkmcnt(0)
	v_fmac_f32_e32 v25, v26, v27
.LBB119_770:
	s_or_b64 exec, exec, s[12:13]
	s_barrier
	s_and_saveexec_b64 s[12:13], s[66:67]
	s_cbranch_execz .LBB119_772
; %bb.771:
	v_mov_b32_e32 v26, 0
	ds_read_b32 v26, v26 offset:12220
	s_waitcnt lgkmcnt(0)
	v_mul_f32_e32 v25, v25, v26
	ds_write_b32 v17, v25
.LBB119_772:
	s_or_b64 exec, exec, s[12:13]
	s_waitcnt lgkmcnt(0)
	s_barrier
	s_barrier
	s_and_saveexec_b64 s[12:13], s[8:9]
; %bb.773:
	v_xor_b32_e32 v25, 0x80000000, v25
	ds_write_b32 v15, v25 offset:8352
; %bb.774:
	s_or_b64 exec, exec, s[12:13]
	s_waitcnt lgkmcnt(0)
	s_barrier
	s_barrier
	s_and_saveexec_b64 s[12:13], s[86:87]
	s_cbranch_execz .LBB119_776
; %bb.775:
	v_lshlrev_b32_e32 v25, 8, v0
	ds_read_b32 v26, v25 offset:8352
	s_movk_i32 s14, 0xff04
	v_mad_i32_i24 v27, v0, s14, v25
	s_waitcnt lgkmcnt(0)
	ds_write_b32 v27, v26 offset:10368
	ds_read_b32 v26, v25 offset:8356
	s_waitcnt lgkmcnt(0)
	ds_write_b32 v27, v26 offset:10624
	ds_read_b32 v26, v25 offset:8360
	;; [unrolled: 3-line block ×7, first 2 shown]
	s_waitcnt lgkmcnt(0)
	ds_write_b32 v27, v25 offset:12160
.LBB119_776:
	s_or_b64 exec, exec, s[12:13]
	s_waitcnt lgkmcnt(0)
	s_barrier
	s_and_saveexec_b64 s[12:13], vcc
	s_cbranch_execz .LBB119_778
; %bb.777:
	v_mov_b32_e32 v27, 0
	ds_read_b64 v[25:26], v27 offset:10400
	ds_read_b32 v27, v27 offset:10660
	s_movk_i32 s14, 0x2800
	s_waitcnt lgkmcnt(0)
	v_mul_f32_e32 v25, v25, v27
	v_mul_f32_e32 v25, v26, v25
	v_add_u32_e64 v26, s14, 0
	ds_write2_b32 v26, v25, v25 offset0:41 offset1:104
.LBB119_778:
	s_or_b64 exec, exec, s[12:13]
	v_mov_b32_e32 v25, 0
	s_waitcnt lgkmcnt(0)
	s_barrier
	s_and_saveexec_b64 s[14:15], s[2:3]
	s_cbranch_execz .LBB119_782
; %bb.779:
	v_mul_u32_u24_e32 v25, 0x104, v5
	ds_read_b32 v27, v1 offset:10408
	ds_read_b32 v25, v25 offset:10400
	v_mov_b32_e32 v26, 0
	v_cmp_gt_u32_e64 s[12:13], 2, v4
	s_waitcnt lgkmcnt(0)
	v_fma_f32 v25, v27, v25, 0
	s_and_saveexec_b64 s[16:17], s[12:13]
	s_cbranch_execz .LBB119_781
; %bb.780:
	v_lshlrev_b32_e32 v27, 2, v0
	ds_read_b32 v27, v27 offset:10664
	ds_read_b32 v26, v26 offset:10404
	s_waitcnt lgkmcnt(0)
	v_fmac_f32_e32 v25, v27, v26
.LBB119_781:
	s_or_b64 exec, exec, s[16:17]
	v_xor_b32_e32 v25, 0x80000000, v25
.LBB119_782:
	s_or_b64 exec, exec, s[14:15]
	s_and_saveexec_b64 s[12:13], s[40:41]
	s_cbranch_execz .LBB119_784
; %bb.783:
	v_mov_b32_e32 v26, 0
	ds_read_b32 v26, v26 offset:10920
	s_waitcnt lgkmcnt(0)
	v_mul_f32_e32 v25, v25, v26
	ds_write_b32 v3, v25
.LBB119_784:
	s_or_b64 exec, exec, s[12:13]
	s_waitcnt lgkmcnt(0)
	s_barrier
	s_and_saveexec_b64 s[12:13], s[38:39]
	s_cbranch_execz .LBB119_786
; %bb.785:
	v_mov_b32_e32 v26, 0
	ds_read_b32 v26, v26 offset:10924
	ds_read_b32 v27, v3
	s_waitcnt lgkmcnt(0)
	v_fmac_f32_e32 v25, v26, v27
.LBB119_786:
	s_or_b64 exec, exec, s[12:13]
	s_barrier
	s_and_saveexec_b64 s[12:13], s[38:39]
	s_cbranch_execz .LBB119_788
; %bb.787:
	v_mov_b32_e32 v26, 0
	ds_read_b32 v26, v26 offset:11180
	s_waitcnt lgkmcnt(0)
	v_mul_f32_e32 v25, v25, v26
	ds_write_b32 v3, v25
.LBB119_788:
	s_or_b64 exec, exec, s[12:13]
	s_waitcnt lgkmcnt(0)
	s_barrier
	s_barrier
	s_and_saveexec_b64 s[12:13], s[2:3]
; %bb.789:
	v_xor_b32_e32 v25, 0x80000000, v25
	ds_write_b32 v1, v25 offset:10408
; %bb.790:
	s_or_b64 exec, exec, s[12:13]
	s_waitcnt lgkmcnt(0)
	s_barrier
	s_barrier
	s_and_saveexec_b64 s[12:13], s[42:43]
	s_cbranch_execz .LBB119_792
; %bb.791:
	v_lshlrev_b32_e32 v25, 2, v0
	s_movk_i32 s14, 0xfc
	v_mad_u32_u24 v26, v0, s14, v25
	ds_read_b32 v27, v26 offset:10408
	s_waitcnt lgkmcnt(0)
	ds_write_b32 v25, v27 offset:10912
	ds_read_b32 v26, v26 offset:10412
	s_waitcnt lgkmcnt(0)
	ds_write_b32 v25, v26 offset:11168
.LBB119_792:
	s_or_b64 exec, exec, s[12:13]
	s_waitcnt lgkmcnt(0)
	s_barrier
	s_and_saveexec_b64 s[12:13], vcc
	s_cbranch_execz .LBB119_794
; %bb.793:
	v_mov_b32_e32 v27, 0
	ds_read_b64 v[25:26], v27 offset:10920
	ds_read_b32 v27, v27 offset:11180
	s_movk_i32 s14, 0x2800
	s_waitcnt lgkmcnt(0)
	v_mul_f32_e32 v25, v25, v27
	v_mul_f32_e32 v25, v26, v25
	v_add_u32_e64 v26, s14, 0
	ds_write2_b32 v26, v25, v25 offset0:171 offset1:234
.LBB119_794:
	s_or_b64 exec, exec, s[12:13]
	v_mov_b32_e32 v25, 0
	s_waitcnt lgkmcnt(0)
	s_barrier
	s_and_saveexec_b64 s[14:15], s[18:19]
	s_cbranch_execz .LBB119_800
; %bb.795:
	v_mul_u32_u24_e32 v26, 0x104, v14
	ds_read_b32 v25, v6 offset:10416
	ds_read_b32 v27, v26 offset:10400
	v_cmp_gt_u32_e64 s[12:13], 12, v4
	s_waitcnt lgkmcnt(0)
	v_fma_f32 v25, v25, v27, 0
	s_and_saveexec_b64 s[16:17], s[12:13]
	s_cbranch_execnz .LBB119_1239
; %bb.796:
	s_or_b64 exec, exec, s[16:17]
	v_cmp_gt_u32_e64 s[12:13], 8, v4
	s_and_saveexec_b64 s[16:17], s[12:13]
	s_cbranch_execnz .LBB119_1240
.LBB119_797:
	s_or_b64 exec, exec, s[16:17]
	v_cmp_gt_u32_e64 s[12:13], 4, v4
	s_and_saveexec_b64 s[16:17], s[12:13]
	s_cbranch_execz .LBB119_799
.LBB119_798:
	v_lshlrev_b32_e32 v26, 2, v0
	v_mov_b32_e32 v27, 0
	ds_read_b32 v26, v26 offset:11184
	ds_read_b32 v27, v27 offset:10412
	s_waitcnt lgkmcnt(0)
	v_fmac_f32_e32 v25, v26, v27
.LBB119_799:
	s_or_b64 exec, exec, s[16:17]
	v_xor_b32_e32 v25, 0x80000000, v25
.LBB119_800:
	s_or_b64 exec, exec, s[14:15]
	s_and_saveexec_b64 s[12:13], s[46:47]
	s_cbranch_execz .LBB119_802
; %bb.801:
	v_mov_b32_e32 v26, 0
	ds_read_b32 v26, v26 offset:11440
	s_waitcnt lgkmcnt(0)
	v_mul_f32_e32 v25, v25, v26
	ds_write_b32 v12, v25
.LBB119_802:
	s_or_b64 exec, exec, s[12:13]
	s_waitcnt lgkmcnt(0)
	s_barrier
	s_and_saveexec_b64 s[12:13], s[48:49]
	s_cbranch_execz .LBB119_804
; %bb.803:
	ds_read_b32 v26, v11 offset:11440
	ds_read_b32 v27, v12
	s_waitcnt lgkmcnt(0)
	v_fmac_f32_e32 v25, v26, v27
.LBB119_804:
	s_or_b64 exec, exec, s[12:13]
	s_barrier
	s_and_saveexec_b64 s[12:13], s[50:51]
	s_cbranch_execz .LBB119_806
; %bb.805:
	v_mov_b32_e32 v26, 0
	ds_read_b32 v26, v26 offset:11700
	s_waitcnt lgkmcnt(0)
	v_mul_f32_e32 v25, v25, v26
	ds_write_b32 v12, v25
.LBB119_806:
	s_or_b64 exec, exec, s[12:13]
	s_waitcnt lgkmcnt(0)
	s_barrier
	s_and_saveexec_b64 s[12:13], s[52:53]
	s_cbranch_execz .LBB119_808
; %bb.807:
	ds_read_b32 v26, v11 offset:11696
	ds_read_b32 v27, v12
	s_waitcnt lgkmcnt(0)
	v_fmac_f32_e32 v25, v26, v27
.LBB119_808:
	s_or_b64 exec, exec, s[12:13]
	s_barrier
	s_and_saveexec_b64 s[12:13], s[54:55]
	s_cbranch_execz .LBB119_810
; %bb.809:
	v_mov_b32_e32 v26, 0
	ds_read_b32 v26, v26 offset:11960
	s_waitcnt lgkmcnt(0)
	v_mul_f32_e32 v25, v25, v26
	ds_write_b32 v12, v25
.LBB119_810:
	s_or_b64 exec, exec, s[12:13]
	s_waitcnt lgkmcnt(0)
	s_barrier
	s_and_saveexec_b64 s[12:13], s[44:45]
	s_cbranch_execz .LBB119_812
; %bb.811:
	v_mov_b32_e32 v26, 0
	ds_read_b32 v26, v26 offset:11964
	ds_read_b32 v27, v12
	s_waitcnt lgkmcnt(0)
	v_fmac_f32_e32 v25, v26, v27
.LBB119_812:
	s_or_b64 exec, exec, s[12:13]
	s_barrier
	s_and_saveexec_b64 s[12:13], s[44:45]
	s_cbranch_execz .LBB119_814
; %bb.813:
	v_mov_b32_e32 v26, 0
	ds_read_b32 v26, v26 offset:12220
	s_waitcnt lgkmcnt(0)
	v_mul_f32_e32 v25, v25, v26
	ds_write_b32 v12, v25
.LBB119_814:
	s_or_b64 exec, exec, s[12:13]
	s_waitcnt lgkmcnt(0)
	s_barrier
	s_barrier
	s_and_saveexec_b64 s[12:13], s[18:19]
; %bb.815:
	v_xor_b32_e32 v25, 0x80000000, v25
	ds_write_b32 v6, v25 offset:10416
; %bb.816:
	s_or_b64 exec, exec, s[12:13]
	s_waitcnt lgkmcnt(0)
	s_barrier
	s_barrier
	s_and_saveexec_b64 s[12:13], s[56:57]
	s_cbranch_execz .LBB119_818
; %bb.817:
	v_lshlrev_b32_e32 v25, 8, v0
	ds_read_b32 v26, v25 offset:10416
	s_movk_i32 s14, 0xff04
	v_mad_i32_i24 v27, v0, s14, v25
	s_waitcnt lgkmcnt(0)
	ds_write_b32 v27, v26 offset:11424
	ds_read_b32 v26, v25 offset:10420
	s_waitcnt lgkmcnt(0)
	ds_write_b32 v27, v26 offset:11680
	ds_read_b32 v26, v25 offset:10424
	s_waitcnt lgkmcnt(0)
	ds_write_b32 v27, v26 offset:11936
	ds_read_b32 v25, v25 offset:10428
	s_waitcnt lgkmcnt(0)
	ds_write_b32 v27, v25 offset:12192
.LBB119_818:
	s_or_b64 exec, exec, s[12:13]
	s_waitcnt lgkmcnt(0)
	s_barrier
	s_and_saveexec_b64 s[12:13], vcc
	s_cbranch_execz .LBB119_820
; %bb.819:
	v_mov_b32_e32 v27, 0
	ds_read_b64 v[25:26], v27 offset:11440
	ds_read_b32 v27, v27 offset:11700
	s_movk_i32 s14, 0x2c00
	s_waitcnt lgkmcnt(0)
	v_mul_f32_e32 v25, v25, v27
	v_mul_f32_e32 v25, v26, v25
	v_add_u32_e64 v26, s14, 0
	ds_write2_b32 v26, v25, v25 offset0:45 offset1:108
.LBB119_820:
	s_or_b64 exec, exec, s[12:13]
	v_mov_b32_e32 v25, 0
	s_waitcnt lgkmcnt(0)
	s_barrier
	s_and_saveexec_b64 s[14:15], s[2:3]
	s_cbranch_execz .LBB119_824
; %bb.821:
	v_mul_u32_u24_e32 v25, 0x104, v5
	ds_read_b32 v27, v1 offset:11448
	ds_read_b32 v25, v25 offset:11440
	v_mov_b32_e32 v26, 0
	v_cmp_gt_u32_e64 s[12:13], 2, v4
	s_waitcnt lgkmcnt(0)
	v_fma_f32 v25, v27, v25, 0
	s_and_saveexec_b64 s[16:17], s[12:13]
	s_cbranch_execz .LBB119_823
; %bb.822:
	v_lshlrev_b32_e32 v27, 2, v0
	ds_read_b32 v27, v27 offset:11704
	ds_read_b32 v26, v26 offset:11444
	s_waitcnt lgkmcnt(0)
	v_fmac_f32_e32 v25, v27, v26
.LBB119_823:
	s_or_b64 exec, exec, s[16:17]
	v_xor_b32_e32 v25, 0x80000000, v25
.LBB119_824:
	s_or_b64 exec, exec, s[14:15]
	s_and_saveexec_b64 s[12:13], s[40:41]
	s_cbranch_execz .LBB119_826
; %bb.825:
	v_mov_b32_e32 v26, 0
	ds_read_b32 v26, v26 offset:11960
	s_waitcnt lgkmcnt(0)
	v_mul_f32_e32 v25, v25, v26
	ds_write_b32 v3, v25
.LBB119_826:
	s_or_b64 exec, exec, s[12:13]
	s_waitcnt lgkmcnt(0)
	s_barrier
	s_and_saveexec_b64 s[12:13], s[38:39]
	s_cbranch_execz .LBB119_828
; %bb.827:
	v_mov_b32_e32 v26, 0
	ds_read_b32 v26, v26 offset:11964
	ds_read_b32 v27, v3
	s_waitcnt lgkmcnt(0)
	v_fmac_f32_e32 v25, v26, v27
.LBB119_828:
	s_or_b64 exec, exec, s[12:13]
	s_barrier
	s_and_saveexec_b64 s[12:13], s[38:39]
	s_cbranch_execz .LBB119_830
; %bb.829:
	v_mov_b32_e32 v26, 0
	ds_read_b32 v26, v26 offset:12220
	s_waitcnt lgkmcnt(0)
	v_mul_f32_e32 v25, v25, v26
	ds_write_b32 v3, v25
.LBB119_830:
	s_or_b64 exec, exec, s[12:13]
	s_waitcnt lgkmcnt(0)
	s_barrier
	s_barrier
	s_and_saveexec_b64 s[12:13], s[2:3]
; %bb.831:
	v_xor_b32_e32 v25, 0x80000000, v25
	ds_write_b32 v1, v25 offset:11448
; %bb.832:
	s_or_b64 exec, exec, s[12:13]
	s_waitcnt lgkmcnt(0)
	s_barrier
	s_barrier
	s_and_saveexec_b64 s[12:13], s[42:43]
	s_cbranch_execz .LBB119_834
; %bb.833:
	v_lshlrev_b32_e32 v25, 2, v0
	s_movk_i32 s14, 0xfc
	v_mad_u32_u24 v26, v0, s14, v25
	ds_read_b32 v27, v26 offset:11448
	s_waitcnt lgkmcnt(0)
	ds_write_b32 v25, v27 offset:11952
	ds_read_b32 v26, v26 offset:11452
	s_waitcnt lgkmcnt(0)
	ds_write_b32 v25, v26 offset:12208
.LBB119_834:
	s_or_b64 exec, exec, s[12:13]
	s_waitcnt lgkmcnt(0)
	s_barrier
	s_and_saveexec_b64 s[12:13], vcc
	s_cbranch_execz .LBB119_836
; %bb.835:
	v_mov_b32_e32 v27, 0
	ds_read_b64 v[25:26], v27 offset:11960
	ds_read_b32 v27, v27 offset:12220
	s_movk_i32 s14, 0x2c00
	s_waitcnt lgkmcnt(0)
	v_mul_f32_e32 v25, v25, v27
	v_mul_f32_e32 v25, v26, v25
	v_add_u32_e64 v26, s14, 0
	ds_write2_b32 v26, v25, v25 offset0:175 offset1:238
.LBB119_836:
	s_or_b64 exec, exec, s[12:13]
	v_mov_b32_e32 v25, 0
	s_waitcnt lgkmcnt(0)
	s_barrier
	s_and_saveexec_b64 s[14:15], s[10:11]
	s_cbranch_execz .LBB119_864
; %bb.837:
	v_mul_u32_u24_e32 v26, 0x104, v24
	ds_read_b32 v25, v20 offset:8384
	ds_read_b32 v27, v26 offset:8320
	s_movk_i32 s12, 0xf0
	v_cmp_gt_u32_e64 s[12:13], s12, v4
	s_waitcnt lgkmcnt(0)
	v_fma_f32 v25, v25, v27, 0
	s_and_saveexec_b64 s[16:17], s[12:13]
	s_cbranch_execz .LBB119_839
; %bb.838:
	v_lshlrev_b32_e32 v27, 2, v24
	v_sub_u32_e32 v27, v26, v27
	v_lshl_add_u32 v27, v21, 2, v27
	ds_read_b32 v27, v27 offset:8640
	ds_read_b32 v28, v26 offset:8324
	s_waitcnt lgkmcnt(0)
	v_fmac_f32_e32 v25, v27, v28
.LBB119_839:
	s_or_b64 exec, exec, s[16:17]
	s_movk_i32 s12, 0xe0
	v_cmp_gt_u32_e64 s[12:13], s12, v4
	s_and_saveexec_b64 s[16:17], s[12:13]
	s_cbranch_execz .LBB119_841
; %bb.840:
	v_lshlrev_b32_e32 v27, 2, v24
	v_sub_u32_e32 v27, v26, v27
	v_lshl_add_u32 v27, v21, 2, v27
	ds_read_b32 v27, v27 offset:8896
	ds_read_b32 v28, v26 offset:8328
	s_waitcnt lgkmcnt(0)
	v_fmac_f32_e32 v25, v27, v28
.LBB119_841:
	s_or_b64 exec, exec, s[16:17]
	s_movk_i32 s12, 0xd0
	v_cmp_gt_u32_e64 s[12:13], s12, v4
	;; [unrolled: 14-line block ×7, first 2 shown]
	s_and_saveexec_b64 s[16:17], s[12:13]
	s_cbranch_execz .LBB119_853
; %bb.852:
	ds_read_b32 v24, v20 offset:10432
	ds_read_b32 v27, v26 offset:8352
	s_waitcnt lgkmcnt(0)
	v_fmac_f32_e32 v25, v24, v27
.LBB119_853:
	s_or_b64 exec, exec, s[16:17]
	s_movk_i32 s12, 0x70
	v_cmp_gt_u32_e64 s[12:13], s12, v4
	s_and_saveexec_b64 s[16:17], s[12:13]
	s_cbranch_execz .LBB119_855
; %bb.854:
	v_lshlrev_b32_e32 v24, 2, v21
	v_lshl_add_u32 v24, v23, 2, v24
	ds_read_b32 v24, v24 offset:10688
	ds_read_b32 v27, v26 offset:8356
	s_waitcnt lgkmcnt(0)
	v_fmac_f32_e32 v25, v24, v27
.LBB119_855:
	s_or_b64 exec, exec, s[16:17]
	s_movk_i32 s12, 0x60
	v_cmp_gt_u32_e64 s[12:13], s12, v4
	s_and_saveexec_b64 s[16:17], s[12:13]
	s_cbranch_execz .LBB119_857
; %bb.856:
	v_lshlrev_b32_e32 v24, 2, v21
	v_lshl_add_u32 v24, v23, 2, v24
	ds_read_b32 v24, v24 offset:10944
	ds_read_b32 v27, v26 offset:8360
	s_waitcnt lgkmcnt(0)
	v_fmac_f32_e32 v25, v24, v27
.LBB119_857:
	s_or_b64 exec, exec, s[16:17]
	s_movk_i32 s12, 0x50
	v_cmp_gt_u32_e64 s[12:13], s12, v4
	s_and_saveexec_b64 s[16:17], s[12:13]
	s_cbranch_execnz .LBB119_1241
; %bb.858:
	s_or_b64 exec, exec, s[16:17]
	v_cmp_gt_u32_e64 s[12:13], 64, v4
	s_and_saveexec_b64 s[16:17], s[12:13]
	s_cbranch_execnz .LBB119_1242
.LBB119_859:
	s_or_b64 exec, exec, s[16:17]
	v_cmp_gt_u32_e64 s[12:13], 48, v4
	s_and_saveexec_b64 s[16:17], s[12:13]
	s_cbranch_execnz .LBB119_1243
.LBB119_860:
	s_or_b64 exec, exec, s[16:17]
	v_cmp_gt_u32_e64 s[12:13], 32, v4
	s_and_saveexec_b64 s[16:17], s[12:13]
	s_cbranch_execnz .LBB119_1244
.LBB119_861:
	s_or_b64 exec, exec, s[16:17]
	v_cmp_gt_u32_e64 s[12:13], 16, v4
	s_and_saveexec_b64 s[16:17], s[12:13]
	s_cbranch_execz .LBB119_863
.LBB119_862:
	v_lshlrev_b32_e32 v23, 2, v0
	v_mov_b32_e32 v24, 0
	ds_read_b32 v23, v23 offset:12224
	ds_read_b32 v24, v24 offset:8380
	s_waitcnt lgkmcnt(0)
	v_fmac_f32_e32 v25, v23, v24
.LBB119_863:
	s_or_b64 exec, exec, s[16:17]
	v_xor_b32_e32 v25, 0x80000000, v25
.LBB119_864:
	s_or_b64 exec, exec, s[14:15]
	s_mov_b64 s[12:13], exec
	v_readlane_b32 s14, v33, 3
	v_readlane_b32 s15, v33, 4
	s_and_b64 s[14:15], s[12:13], s[14:15]
	s_mov_b64 exec, s[14:15]
	s_cbranch_execz .LBB119_866
; %bb.865:
	v_mov_b32_e32 v23, 0
	ds_read_b32 v23, v23 offset:12480
	s_waitcnt lgkmcnt(0)
	v_mul_f32_e32 v25, v25, v23
	ds_write_b32 v22, v25
.LBB119_866:
	s_or_b64 exec, exec, s[12:13]
	s_waitcnt lgkmcnt(0)
	s_barrier
	s_mov_b64 s[12:13], exec
	v_readlane_b32 s14, v33, 5
	v_readlane_b32 s15, v33, 6
	s_and_b64 s[14:15], s[12:13], s[14:15]
	s_mov_b64 exec, s[14:15]
	s_cbranch_execz .LBB119_868
; %bb.867:
	v_lshlrev_b32_e32 v23, 2, v21
	ds_read_b32 v23, v23 offset:12480
	ds_read_b32 v24, v22
	s_waitcnt lgkmcnt(0)
	v_fmac_f32_e32 v25, v23, v24
.LBB119_868:
	s_or_b64 exec, exec, s[12:13]
	s_barrier
	s_mov_b64 s[12:13], exec
	v_readlane_b32 s14, v33, 7
	v_readlane_b32 s15, v33, 8
	s_and_b64 s[14:15], s[12:13], s[14:15]
	s_mov_b64 exec, s[14:15]
	s_cbranch_execz .LBB119_870
; %bb.869:
	v_mov_b32_e32 v23, 0
	ds_read_b32 v23, v23 offset:12740
	s_waitcnt lgkmcnt(0)
	v_mul_f32_e32 v25, v25, v23
	ds_write_b32 v22, v25
.LBB119_870:
	s_or_b64 exec, exec, s[12:13]
	s_waitcnt lgkmcnt(0)
	s_barrier
	s_mov_b64 s[12:13], exec
	v_readlane_b32 s14, v33, 9
	v_readlane_b32 s15, v33, 10
	s_and_b64 s[14:15], s[12:13], s[14:15]
	s_mov_b64 exec, s[14:15]
	s_cbranch_execz .LBB119_872
; %bb.871:
	v_lshlrev_b32_e32 v23, 2, v21
	ds_read_b32 v23, v23 offset:12736
	ds_read_b32 v24, v22
	s_waitcnt lgkmcnt(0)
	v_fmac_f32_e32 v25, v23, v24
.LBB119_872:
	s_or_b64 exec, exec, s[12:13]
	s_barrier
	;; [unrolled: 31-line block ×13, first 2 shown]
	s_mov_b64 s[12:13], exec
	v_readlane_b32 s14, v33, 55
	v_readlane_b32 s15, v33, 56
	s_and_b64 s[14:15], s[12:13], s[14:15]
	s_mov_b64 exec, s[14:15]
	s_cbranch_execz .LBB119_918
; %bb.917:
	v_mov_b32_e32 v23, 0
	ds_read_b32 v23, v23 offset:15860
	s_waitcnt lgkmcnt(0)
	v_mul_f32_e32 v25, v25, v23
	ds_write_b32 v22, v25
.LBB119_918:
	s_or_b64 exec, exec, s[12:13]
	s_waitcnt lgkmcnt(0)
	s_barrier
	s_and_saveexec_b64 s[12:13], s[0:1]
	s_cbranch_execz .LBB119_920
; %bb.919:
	v_lshlrev_b32_e32 v21, 2, v21
	ds_read_b32 v21, v21 offset:15808
	ds_read_b32 v23, v22
	s_waitcnt lgkmcnt(0)
	v_fmac_f32_e32 v25, v21, v23
.LBB119_920:
	s_or_b64 exec, exec, s[12:13]
	s_barrier
	s_mov_b64 s[0:1], exec
	v_readlane_b32 s12, v33, 57
	v_readlane_b32 s13, v33, 58
	s_and_b64 s[12:13], s[0:1], s[12:13]
	s_mov_b64 exec, s[12:13]
	s_cbranch_execz .LBB119_922
; %bb.921:
	v_mov_b32_e32 v21, 0
	ds_read_b32 v21, v21 offset:16120
	s_waitcnt lgkmcnt(0)
	v_mul_f32_e32 v25, v25, v21
	ds_write_b32 v22, v25
.LBB119_922:
	s_or_b64 exec, exec, s[0:1]
	s_waitcnt lgkmcnt(0)
	s_barrier
	s_and_saveexec_b64 s[0:1], s[92:93]
	s_cbranch_execz .LBB119_924
; %bb.923:
	v_mov_b32_e32 v21, 0
	ds_read_b32 v21, v21 offset:16124
	ds_read_b32 v23, v22
	s_waitcnt lgkmcnt(0)
	v_fmac_f32_e32 v25, v21, v23
.LBB119_924:
	s_or_b64 exec, exec, s[0:1]
	s_barrier
	s_and_saveexec_b64 s[0:1], s[92:93]
	s_cbranch_execz .LBB119_926
; %bb.925:
	v_mov_b32_e32 v21, 0
	ds_read_b32 v21, v21 offset:16380
	s_waitcnt lgkmcnt(0)
	v_mul_f32_e32 v25, v25, v21
	ds_write_b32 v22, v25
.LBB119_926:
	s_or_b64 exec, exec, s[0:1]
	s_waitcnt lgkmcnt(0)
	s_barrier
	s_barrier
	s_and_saveexec_b64 s[0:1], s[10:11]
; %bb.927:
	v_xor_b32_e32 v21, 0x80000000, v25
	ds_write_b32 v20, v21 offset:8384
; %bb.928:
	s_or_b64 exec, exec, s[0:1]
	s_waitcnt lgkmcnt(0)
	s_barrier
	s_barrier
	s_mov_b64 s[0:1], exec
	v_readlane_b32 s10, v33, 59
	v_readlane_b32 s11, v33, 60
	s_and_b64 s[10:11], s[0:1], s[10:11]
	s_mov_b64 exec, s[10:11]
	s_cbranch_execz .LBB119_930
; %bb.929:
	v_lshlrev_b32_e32 v20, 8, v0
	ds_read_b32 v21, v20 offset:8384
	s_movk_i32 s10, 0xff04
	v_mad_i32_i24 v22, v0, s10, v20
	s_waitcnt lgkmcnt(0)
	ds_write_b32 v22, v21 offset:12416
	ds_read_b32 v21, v20 offset:8388
	s_waitcnt lgkmcnt(0)
	ds_write_b32 v22, v21 offset:12672
	ds_read_b32 v21, v20 offset:8392
	;; [unrolled: 3-line block ×15, first 2 shown]
	s_waitcnt lgkmcnt(0)
	ds_write_b32 v22, v20 offset:16256
.LBB119_930:
	s_or_b64 exec, exec, s[0:1]
	s_waitcnt lgkmcnt(0)
	s_barrier
	s_and_saveexec_b64 s[0:1], vcc
	s_cbranch_execz .LBB119_932
; %bb.931:
	v_mov_b32_e32 v22, 0
	ds_read_b64 v[20:21], v22 offset:12480
	ds_read_b32 v22, v22 offset:12740
	s_movk_i32 s10, 0x3000
	s_waitcnt lgkmcnt(0)
	v_mul_f32_e32 v20, v20, v22
	v_mul_f32_e32 v20, v21, v20
	v_add_u32_e64 v21, s10, 0
	ds_write2_b32 v21, v20, v20 offset0:49 offset1:112
.LBB119_932:
	s_or_b64 exec, exec, s[0:1]
	v_mov_b32_e32 v20, 0
	s_waitcnt lgkmcnt(0)
	s_barrier
	s_and_saveexec_b64 s[0:1], s[2:3]
	s_cbranch_execz .LBB119_936
; %bb.933:
	v_mul_u32_u24_e32 v20, 0x104, v5
	ds_read_b32 v22, v1 offset:12488
	ds_read_b32 v20, v20 offset:12480
	v_mov_b32_e32 v21, 0
	v_cmp_gt_u32_e64 s[10:11], 2, v4
	s_waitcnt lgkmcnt(0)
	v_fma_f32 v20, v22, v20, 0
	s_and_saveexec_b64 s[12:13], s[10:11]
	s_cbranch_execz .LBB119_935
; %bb.934:
	v_lshlrev_b32_e32 v22, 2, v0
	ds_read_b32 v22, v22 offset:12744
	ds_read_b32 v21, v21 offset:12484
	s_waitcnt lgkmcnt(0)
	v_fmac_f32_e32 v20, v22, v21
.LBB119_935:
	s_or_b64 exec, exec, s[12:13]
	v_xor_b32_e32 v20, 0x80000000, v20
.LBB119_936:
	s_or_b64 exec, exec, s[0:1]
	s_and_saveexec_b64 s[0:1], s[40:41]
	s_cbranch_execz .LBB119_938
; %bb.937:
	v_mov_b32_e32 v21, 0
	ds_read_b32 v21, v21 offset:13000
	s_waitcnt lgkmcnt(0)
	v_mul_f32_e32 v20, v20, v21
	ds_write_b32 v3, v20
.LBB119_938:
	s_or_b64 exec, exec, s[0:1]
	s_waitcnt lgkmcnt(0)
	s_barrier
	s_and_saveexec_b64 s[0:1], s[38:39]
	s_cbranch_execz .LBB119_940
; %bb.939:
	v_mov_b32_e32 v21, 0
	ds_read_b32 v21, v21 offset:13004
	ds_read_b32 v22, v3
	s_waitcnt lgkmcnt(0)
	v_fmac_f32_e32 v20, v21, v22
.LBB119_940:
	s_or_b64 exec, exec, s[0:1]
	s_barrier
	s_and_saveexec_b64 s[0:1], s[38:39]
	s_cbranch_execz .LBB119_942
; %bb.941:
	v_mov_b32_e32 v21, 0
	ds_read_b32 v21, v21 offset:13260
	s_waitcnt lgkmcnt(0)
	v_mul_f32_e32 v20, v20, v21
	ds_write_b32 v3, v20
.LBB119_942:
	s_or_b64 exec, exec, s[0:1]
	s_waitcnt lgkmcnt(0)
	s_barrier
	s_barrier
	s_and_saveexec_b64 s[0:1], s[2:3]
; %bb.943:
	v_xor_b32_e32 v20, 0x80000000, v20
	ds_write_b32 v1, v20 offset:12488
; %bb.944:
	s_or_b64 exec, exec, s[0:1]
	s_waitcnt lgkmcnt(0)
	s_barrier
	s_barrier
	s_and_saveexec_b64 s[0:1], s[42:43]
	s_cbranch_execz .LBB119_946
; %bb.945:
	v_lshlrev_b32_e32 v20, 2, v0
	s_movk_i32 s10, 0xfc
	v_mad_u32_u24 v21, v0, s10, v20
	ds_read_b32 v22, v21 offset:12488
	s_waitcnt lgkmcnt(0)
	ds_write_b32 v20, v22 offset:12992
	ds_read_b32 v21, v21 offset:12492
	s_waitcnt lgkmcnt(0)
	ds_write_b32 v20, v21 offset:13248
.LBB119_946:
	s_or_b64 exec, exec, s[0:1]
	s_waitcnt lgkmcnt(0)
	s_barrier
	s_and_saveexec_b64 s[0:1], vcc
	s_cbranch_execz .LBB119_948
; %bb.947:
	v_mov_b32_e32 v22, 0
	ds_read_b64 v[20:21], v22 offset:13000
	ds_read_b32 v22, v22 offset:13260
	s_movk_i32 s10, 0x3000
	s_waitcnt lgkmcnt(0)
	v_mul_f32_e32 v20, v20, v22
	v_mul_f32_e32 v20, v21, v20
	v_add_u32_e64 v21, s10, 0
	ds_write2_b32 v21, v20, v20 offset0:179 offset1:242
.LBB119_948:
	s_or_b64 exec, exec, s[0:1]
	v_mov_b32_e32 v20, 0
	s_waitcnt lgkmcnt(0)
	s_barrier
	s_and_saveexec_b64 s[0:1], s[18:19]
	s_cbranch_execz .LBB119_954
; %bb.949:
	v_mul_u32_u24_e32 v21, 0x104, v14
	ds_read_b32 v20, v6 offset:12496
	ds_read_b32 v22, v21 offset:12480
	v_cmp_gt_u32_e64 s[10:11], 12, v4
	s_waitcnt lgkmcnt(0)
	v_fma_f32 v20, v20, v22, 0
	s_and_saveexec_b64 s[12:13], s[10:11]
	s_cbranch_execnz .LBB119_1245
; %bb.950:
	s_or_b64 exec, exec, s[12:13]
	v_cmp_gt_u32_e64 s[10:11], 8, v4
	s_and_saveexec_b64 s[12:13], s[10:11]
	s_cbranch_execnz .LBB119_1246
.LBB119_951:
	s_or_b64 exec, exec, s[12:13]
	v_cmp_gt_u32_e64 s[10:11], 4, v4
	s_and_saveexec_b64 s[12:13], s[10:11]
	s_cbranch_execz .LBB119_953
.LBB119_952:
	v_lshlrev_b32_e32 v21, 2, v0
	v_mov_b32_e32 v22, 0
	ds_read_b32 v21, v21 offset:13264
	ds_read_b32 v22, v22 offset:12492
	s_waitcnt lgkmcnt(0)
	v_fmac_f32_e32 v20, v21, v22
.LBB119_953:
	s_or_b64 exec, exec, s[12:13]
	v_xor_b32_e32 v20, 0x80000000, v20
.LBB119_954:
	s_or_b64 exec, exec, s[0:1]
	s_and_saveexec_b64 s[0:1], s[46:47]
	s_cbranch_execz .LBB119_956
; %bb.955:
	v_mov_b32_e32 v21, 0
	ds_read_b32 v21, v21 offset:13520
	s_waitcnt lgkmcnt(0)
	v_mul_f32_e32 v20, v20, v21
	ds_write_b32 v12, v20
.LBB119_956:
	s_or_b64 exec, exec, s[0:1]
	s_waitcnt lgkmcnt(0)
	s_barrier
	s_and_saveexec_b64 s[0:1], s[48:49]
	s_cbranch_execz .LBB119_958
; %bb.957:
	ds_read_b32 v21, v11 offset:13520
	ds_read_b32 v22, v12
	s_waitcnt lgkmcnt(0)
	v_fmac_f32_e32 v20, v21, v22
.LBB119_958:
	s_or_b64 exec, exec, s[0:1]
	s_barrier
	s_and_saveexec_b64 s[0:1], s[50:51]
	s_cbranch_execz .LBB119_960
; %bb.959:
	v_mov_b32_e32 v21, 0
	ds_read_b32 v21, v21 offset:13780
	s_waitcnt lgkmcnt(0)
	v_mul_f32_e32 v20, v20, v21
	ds_write_b32 v12, v20
.LBB119_960:
	s_or_b64 exec, exec, s[0:1]
	s_waitcnt lgkmcnt(0)
	s_barrier
	s_and_saveexec_b64 s[0:1], s[52:53]
	s_cbranch_execz .LBB119_962
; %bb.961:
	ds_read_b32 v21, v11 offset:13776
	ds_read_b32 v22, v12
	s_waitcnt lgkmcnt(0)
	v_fmac_f32_e32 v20, v21, v22
.LBB119_962:
	s_or_b64 exec, exec, s[0:1]
	s_barrier
	s_and_saveexec_b64 s[0:1], s[54:55]
	s_cbranch_execz .LBB119_964
; %bb.963:
	v_mov_b32_e32 v21, 0
	ds_read_b32 v21, v21 offset:14040
	s_waitcnt lgkmcnt(0)
	v_mul_f32_e32 v20, v20, v21
	ds_write_b32 v12, v20
.LBB119_964:
	s_or_b64 exec, exec, s[0:1]
	s_waitcnt lgkmcnt(0)
	s_barrier
	s_and_saveexec_b64 s[0:1], s[44:45]
	s_cbranch_execz .LBB119_966
; %bb.965:
	v_mov_b32_e32 v21, 0
	ds_read_b32 v21, v21 offset:14044
	ds_read_b32 v22, v12
	s_waitcnt lgkmcnt(0)
	v_fmac_f32_e32 v20, v21, v22
.LBB119_966:
	s_or_b64 exec, exec, s[0:1]
	s_barrier
	s_and_saveexec_b64 s[0:1], s[44:45]
	s_cbranch_execz .LBB119_968
; %bb.967:
	v_mov_b32_e32 v21, 0
	ds_read_b32 v21, v21 offset:14300
	s_waitcnt lgkmcnt(0)
	v_mul_f32_e32 v20, v20, v21
	ds_write_b32 v12, v20
.LBB119_968:
	s_or_b64 exec, exec, s[0:1]
	s_waitcnt lgkmcnt(0)
	s_barrier
	s_barrier
	s_and_saveexec_b64 s[0:1], s[18:19]
; %bb.969:
	v_xor_b32_e32 v20, 0x80000000, v20
	ds_write_b32 v6, v20 offset:12496
; %bb.970:
	s_or_b64 exec, exec, s[0:1]
	s_waitcnt lgkmcnt(0)
	s_barrier
	s_barrier
	s_and_saveexec_b64 s[0:1], s[56:57]
	s_cbranch_execz .LBB119_972
; %bb.971:
	v_lshlrev_b32_e32 v20, 8, v0
	ds_read_b32 v21, v20 offset:12496
	s_movk_i32 s10, 0xff04
	v_mad_i32_i24 v22, v0, s10, v20
	s_waitcnt lgkmcnt(0)
	ds_write_b32 v22, v21 offset:13504
	ds_read_b32 v21, v20 offset:12500
	s_waitcnt lgkmcnt(0)
	ds_write_b32 v22, v21 offset:13760
	ds_read_b32 v21, v20 offset:12504
	s_waitcnt lgkmcnt(0)
	ds_write_b32 v22, v21 offset:14016
	ds_read_b32 v20, v20 offset:12508
	s_waitcnt lgkmcnt(0)
	ds_write_b32 v22, v20 offset:14272
.LBB119_972:
	s_or_b64 exec, exec, s[0:1]
	s_waitcnt lgkmcnt(0)
	s_barrier
	s_and_saveexec_b64 s[0:1], vcc
	s_cbranch_execz .LBB119_974
; %bb.973:
	v_mov_b32_e32 v22, 0
	ds_read_b64 v[20:21], v22 offset:13520
	ds_read_b32 v22, v22 offset:13780
	s_movk_i32 s10, 0x3400
	s_waitcnt lgkmcnt(0)
	v_mul_f32_e32 v20, v20, v22
	v_mul_f32_e32 v20, v21, v20
	v_add_u32_e64 v21, s10, 0
	ds_write2_b32 v21, v20, v20 offset0:53 offset1:116
.LBB119_974:
	s_or_b64 exec, exec, s[0:1]
	v_mov_b32_e32 v20, 0
	s_waitcnt lgkmcnt(0)
	s_barrier
	s_and_saveexec_b64 s[0:1], s[2:3]
	s_cbranch_execz .LBB119_978
; %bb.975:
	v_mul_u32_u24_e32 v20, 0x104, v5
	ds_read_b32 v22, v1 offset:13528
	ds_read_b32 v20, v20 offset:13520
	v_mov_b32_e32 v21, 0
	v_cmp_gt_u32_e64 s[10:11], 2, v4
	s_waitcnt lgkmcnt(0)
	v_fma_f32 v20, v22, v20, 0
	s_and_saveexec_b64 s[12:13], s[10:11]
	s_cbranch_execz .LBB119_977
; %bb.976:
	v_lshlrev_b32_e32 v22, 2, v0
	ds_read_b32 v22, v22 offset:13784
	ds_read_b32 v21, v21 offset:13524
	s_waitcnt lgkmcnt(0)
	v_fmac_f32_e32 v20, v22, v21
.LBB119_977:
	s_or_b64 exec, exec, s[12:13]
	v_xor_b32_e32 v20, 0x80000000, v20
.LBB119_978:
	s_or_b64 exec, exec, s[0:1]
	s_and_saveexec_b64 s[0:1], s[40:41]
	s_cbranch_execz .LBB119_980
; %bb.979:
	v_mov_b32_e32 v21, 0
	ds_read_b32 v21, v21 offset:14040
	s_waitcnt lgkmcnt(0)
	v_mul_f32_e32 v20, v20, v21
	ds_write_b32 v3, v20
.LBB119_980:
	s_or_b64 exec, exec, s[0:1]
	s_waitcnt lgkmcnt(0)
	s_barrier
	s_and_saveexec_b64 s[0:1], s[38:39]
	s_cbranch_execz .LBB119_982
; %bb.981:
	v_mov_b32_e32 v21, 0
	ds_read_b32 v21, v21 offset:14044
	ds_read_b32 v22, v3
	s_waitcnt lgkmcnt(0)
	v_fmac_f32_e32 v20, v21, v22
.LBB119_982:
	s_or_b64 exec, exec, s[0:1]
	s_barrier
	s_and_saveexec_b64 s[0:1], s[38:39]
	s_cbranch_execz .LBB119_984
; %bb.983:
	v_mov_b32_e32 v21, 0
	ds_read_b32 v21, v21 offset:14300
	s_waitcnt lgkmcnt(0)
	v_mul_f32_e32 v20, v20, v21
	ds_write_b32 v3, v20
.LBB119_984:
	s_or_b64 exec, exec, s[0:1]
	s_waitcnt lgkmcnt(0)
	s_barrier
	s_barrier
	s_and_saveexec_b64 s[0:1], s[2:3]
; %bb.985:
	v_xor_b32_e32 v20, 0x80000000, v20
	ds_write_b32 v1, v20 offset:13528
; %bb.986:
	s_or_b64 exec, exec, s[0:1]
	s_waitcnt lgkmcnt(0)
	s_barrier
	s_barrier
	s_and_saveexec_b64 s[0:1], s[42:43]
	s_cbranch_execz .LBB119_988
; %bb.987:
	v_lshlrev_b32_e32 v20, 2, v0
	s_movk_i32 s10, 0xfc
	v_mad_u32_u24 v21, v0, s10, v20
	ds_read_b32 v22, v21 offset:13528
	s_waitcnt lgkmcnt(0)
	ds_write_b32 v20, v22 offset:14032
	ds_read_b32 v21, v21 offset:13532
	s_waitcnt lgkmcnt(0)
	ds_write_b32 v20, v21 offset:14288
.LBB119_988:
	s_or_b64 exec, exec, s[0:1]
	s_waitcnt lgkmcnt(0)
	s_barrier
	s_and_saveexec_b64 s[0:1], vcc
	s_cbranch_execz .LBB119_990
; %bb.989:
	v_mov_b32_e32 v22, 0
	ds_read_b64 v[20:21], v22 offset:14040
	ds_read_b32 v22, v22 offset:14300
	s_movk_i32 s10, 0x3400
	s_waitcnt lgkmcnt(0)
	v_mul_f32_e32 v20, v20, v22
	v_mul_f32_e32 v20, v21, v20
	v_add_u32_e64 v21, s10, 0
	ds_write2_b32 v21, v20, v20 offset0:183 offset1:246
.LBB119_990:
	s_or_b64 exec, exec, s[0:1]
	v_mov_b32_e32 v20, 0
	s_waitcnt lgkmcnt(0)
	s_barrier
	s_and_saveexec_b64 s[0:1], s[8:9]
	s_cbranch_execz .LBB119_1000
; %bb.991:
	v_mul_u32_u24_e32 v21, 0x104, v19
	ds_read_b32 v20, v15 offset:12512
	ds_read_b32 v22, v21 offset:12480
	v_cmp_gt_u32_e64 s[10:11], 56, v4
	s_waitcnt lgkmcnt(0)
	v_fma_f32 v20, v20, v22, 0
	s_and_saveexec_b64 s[12:13], s[10:11]
	s_cbranch_execnz .LBB119_1247
; %bb.992:
	s_or_b64 exec, exec, s[12:13]
	v_cmp_gt_u32_e64 s[10:11], 48, v4
	s_and_saveexec_b64 s[12:13], s[10:11]
	s_cbranch_execnz .LBB119_1248
.LBB119_993:
	s_or_b64 exec, exec, s[12:13]
	v_cmp_gt_u32_e64 s[10:11], 40, v4
	s_and_saveexec_b64 s[12:13], s[10:11]
	s_cbranch_execnz .LBB119_1249
.LBB119_994:
	s_or_b64 exec, exec, s[12:13]
	v_cmp_gt_u32_e64 s[10:11], 32, v4
	s_and_saveexec_b64 s[12:13], s[10:11]
	s_cbranch_execnz .LBB119_1250
.LBB119_995:
	s_or_b64 exec, exec, s[12:13]
	v_cmp_gt_u32_e64 s[10:11], 24, v4
	s_and_saveexec_b64 s[12:13], s[10:11]
	s_cbranch_execnz .LBB119_1251
.LBB119_996:
	s_or_b64 exec, exec, s[12:13]
	v_cmp_gt_u32_e64 s[10:11], 16, v4
	s_and_saveexec_b64 s[12:13], s[10:11]
	s_cbranch_execnz .LBB119_1252
.LBB119_997:
	s_or_b64 exec, exec, s[12:13]
	v_cmp_gt_u32_e64 s[10:11], 8, v4
	s_and_saveexec_b64 s[12:13], s[10:11]
	s_cbranch_execz .LBB119_999
.LBB119_998:
	v_lshlrev_b32_e32 v18, 2, v0
	v_mov_b32_e32 v19, 0
	ds_read_b32 v18, v18 offset:14304
	ds_read_b32 v19, v19 offset:12508
	s_waitcnt lgkmcnt(0)
	v_fmac_f32_e32 v20, v18, v19
.LBB119_999:
	s_or_b64 exec, exec, s[12:13]
	v_xor_b32_e32 v20, 0x80000000, v20
.LBB119_1000:
	s_or_b64 exec, exec, s[0:1]
	s_and_saveexec_b64 s[0:1], s[58:59]
	s_cbranch_execz .LBB119_1002
; %bb.1001:
	v_mov_b32_e32 v18, 0
	ds_read_b32 v18, v18 offset:14560
	s_waitcnt lgkmcnt(0)
	v_mul_f32_e32 v20, v20, v18
	ds_write_b32 v17, v20
.LBB119_1002:
	s_or_b64 exec, exec, s[0:1]
	s_waitcnt lgkmcnt(0)
	s_barrier
	s_and_saveexec_b64 s[0:1], s[60:61]
	s_cbranch_execz .LBB119_1004
; %bb.1003:
	ds_read_b32 v18, v16 offset:14560
	ds_read_b32 v19, v17
	s_waitcnt lgkmcnt(0)
	v_fmac_f32_e32 v20, v18, v19
.LBB119_1004:
	s_or_b64 exec, exec, s[0:1]
	s_barrier
	s_and_saveexec_b64 s[0:1], s[62:63]
	s_cbranch_execz .LBB119_1006
; %bb.1005:
	v_mov_b32_e32 v18, 0
	ds_read_b32 v18, v18 offset:14820
	s_waitcnt lgkmcnt(0)
	v_mul_f32_e32 v20, v20, v18
	ds_write_b32 v17, v20
.LBB119_1006:
	s_or_b64 exec, exec, s[0:1]
	s_waitcnt lgkmcnt(0)
	s_barrier
	s_and_saveexec_b64 s[0:1], s[64:65]
	s_cbranch_execz .LBB119_1008
; %bb.1007:
	ds_read_b32 v18, v16 offset:14816
	ds_read_b32 v19, v17
	s_waitcnt lgkmcnt(0)
	v_fmac_f32_e32 v20, v18, v19
.LBB119_1008:
	s_or_b64 exec, exec, s[0:1]
	s_barrier
	;; [unrolled: 22-line block ×6, first 2 shown]
	s_and_saveexec_b64 s[0:1], s[84:85]
	s_cbranch_execz .LBB119_1026
; %bb.1025:
	v_mov_b32_e32 v16, 0
	ds_read_b32 v16, v16 offset:16120
	s_waitcnt lgkmcnt(0)
	v_mul_f32_e32 v20, v20, v16
	ds_write_b32 v17, v20
.LBB119_1026:
	s_or_b64 exec, exec, s[0:1]
	s_waitcnt lgkmcnt(0)
	s_barrier
	s_and_saveexec_b64 s[0:1], s[66:67]
	s_cbranch_execz .LBB119_1028
; %bb.1027:
	v_mov_b32_e32 v16, 0
	ds_read_b32 v16, v16 offset:16124
	ds_read_b32 v18, v17
	s_waitcnt lgkmcnt(0)
	v_fmac_f32_e32 v20, v16, v18
.LBB119_1028:
	s_or_b64 exec, exec, s[0:1]
	s_barrier
	s_and_saveexec_b64 s[0:1], s[66:67]
	s_cbranch_execz .LBB119_1030
; %bb.1029:
	v_mov_b32_e32 v16, 0
	ds_read_b32 v16, v16 offset:16380
	s_waitcnt lgkmcnt(0)
	v_mul_f32_e32 v20, v20, v16
	ds_write_b32 v17, v20
.LBB119_1030:
	s_or_b64 exec, exec, s[0:1]
	s_waitcnt lgkmcnt(0)
	s_barrier
	s_barrier
	s_and_saveexec_b64 s[0:1], s[8:9]
; %bb.1031:
	v_xor_b32_e32 v16, 0x80000000, v20
	ds_write_b32 v15, v16 offset:12512
; %bb.1032:
	s_or_b64 exec, exec, s[0:1]
	s_waitcnt lgkmcnt(0)
	s_barrier
	s_barrier
	s_and_saveexec_b64 s[0:1], s[86:87]
	s_cbranch_execz .LBB119_1034
; %bb.1033:
	v_lshlrev_b32_e32 v15, 8, v0
	ds_read_b32 v16, v15 offset:12512
	s_movk_i32 s8, 0xff04
	v_mad_i32_i24 v17, v0, s8, v15
	s_waitcnt lgkmcnt(0)
	ds_write_b32 v17, v16 offset:14528
	ds_read_b32 v16, v15 offset:12516
	s_waitcnt lgkmcnt(0)
	ds_write_b32 v17, v16 offset:14784
	ds_read_b32 v16, v15 offset:12520
	;; [unrolled: 3-line block ×7, first 2 shown]
	s_waitcnt lgkmcnt(0)
	ds_write_b32 v17, v15 offset:16320
.LBB119_1034:
	s_or_b64 exec, exec, s[0:1]
	s_waitcnt lgkmcnt(0)
	s_barrier
	s_and_saveexec_b64 s[0:1], vcc
	s_cbranch_execz .LBB119_1036
; %bb.1035:
	v_mov_b32_e32 v17, 0
	ds_read_b64 v[15:16], v17 offset:14560
	ds_read_b32 v17, v17 offset:14820
	s_movk_i32 s8, 0x3800
	s_waitcnt lgkmcnt(0)
	v_mul_f32_e32 v15, v15, v17
	v_mul_f32_e32 v15, v16, v15
	v_add_u32_e64 v16, s8, 0
	ds_write2_b32 v16, v15, v15 offset0:57 offset1:120
.LBB119_1036:
	s_or_b64 exec, exec, s[0:1]
	v_mov_b32_e32 v15, 0
	s_waitcnt lgkmcnt(0)
	s_barrier
	s_and_saveexec_b64 s[0:1], s[2:3]
	s_cbranch_execz .LBB119_1040
; %bb.1037:
	v_mul_u32_u24_e32 v15, 0x104, v5
	ds_read_b32 v17, v1 offset:14568
	ds_read_b32 v15, v15 offset:14560
	v_mov_b32_e32 v16, 0
	v_cmp_gt_u32_e64 s[8:9], 2, v4
	s_waitcnt lgkmcnt(0)
	v_fma_f32 v15, v17, v15, 0
	s_and_saveexec_b64 s[10:11], s[8:9]
	s_cbranch_execz .LBB119_1039
; %bb.1038:
	v_lshlrev_b32_e32 v17, 2, v0
	ds_read_b32 v17, v17 offset:14824
	ds_read_b32 v16, v16 offset:14564
	s_waitcnt lgkmcnt(0)
	v_fmac_f32_e32 v15, v17, v16
.LBB119_1039:
	s_or_b64 exec, exec, s[10:11]
	v_xor_b32_e32 v15, 0x80000000, v15
.LBB119_1040:
	s_or_b64 exec, exec, s[0:1]
	s_and_saveexec_b64 s[0:1], s[40:41]
	s_cbranch_execz .LBB119_1042
; %bb.1041:
	v_mov_b32_e32 v16, 0
	ds_read_b32 v16, v16 offset:15080
	s_waitcnt lgkmcnt(0)
	v_mul_f32_e32 v15, v15, v16
	ds_write_b32 v3, v15
.LBB119_1042:
	s_or_b64 exec, exec, s[0:1]
	s_waitcnt lgkmcnt(0)
	s_barrier
	s_and_saveexec_b64 s[0:1], s[38:39]
	s_cbranch_execz .LBB119_1044
; %bb.1043:
	v_mov_b32_e32 v16, 0
	ds_read_b32 v16, v16 offset:15084
	ds_read_b32 v17, v3
	s_waitcnt lgkmcnt(0)
	v_fmac_f32_e32 v15, v16, v17
.LBB119_1044:
	s_or_b64 exec, exec, s[0:1]
	s_barrier
	s_and_saveexec_b64 s[0:1], s[38:39]
	s_cbranch_execz .LBB119_1046
; %bb.1045:
	v_mov_b32_e32 v16, 0
	ds_read_b32 v16, v16 offset:15340
	s_waitcnt lgkmcnt(0)
	v_mul_f32_e32 v15, v15, v16
	ds_write_b32 v3, v15
.LBB119_1046:
	s_or_b64 exec, exec, s[0:1]
	s_waitcnt lgkmcnt(0)
	s_barrier
	s_barrier
	s_and_saveexec_b64 s[0:1], s[2:3]
; %bb.1047:
	v_xor_b32_e32 v15, 0x80000000, v15
	ds_write_b32 v1, v15 offset:14568
; %bb.1048:
	s_or_b64 exec, exec, s[0:1]
	s_waitcnt lgkmcnt(0)
	s_barrier
	s_barrier
	s_and_saveexec_b64 s[0:1], s[42:43]
	s_cbranch_execz .LBB119_1050
; %bb.1049:
	v_lshlrev_b32_e32 v15, 2, v0
	s_movk_i32 s8, 0xfc
	v_mad_u32_u24 v16, v0, s8, v15
	ds_read_b32 v17, v16 offset:14568
	s_waitcnt lgkmcnt(0)
	ds_write_b32 v15, v17 offset:15072
	ds_read_b32 v16, v16 offset:14572
	s_waitcnt lgkmcnt(0)
	ds_write_b32 v15, v16 offset:15328
.LBB119_1050:
	s_or_b64 exec, exec, s[0:1]
	s_waitcnt lgkmcnt(0)
	s_barrier
	s_and_saveexec_b64 s[0:1], vcc
	s_cbranch_execz .LBB119_1052
; %bb.1051:
	v_mov_b32_e32 v17, 0
	ds_read_b64 v[15:16], v17 offset:15080
	ds_read_b32 v17, v17 offset:15340
	s_movk_i32 s8, 0x3800
	s_waitcnt lgkmcnt(0)
	v_mul_f32_e32 v15, v15, v17
	v_mul_f32_e32 v15, v16, v15
	v_add_u32_e64 v16, s8, 0
	ds_write2_b32 v16, v15, v15 offset0:187 offset1:250
.LBB119_1052:
	s_or_b64 exec, exec, s[0:1]
	v_mov_b32_e32 v15, 0
	s_waitcnt lgkmcnt(0)
	s_barrier
	s_and_saveexec_b64 s[0:1], s[18:19]
	s_cbranch_execz .LBB119_1058
; %bb.1053:
	v_mul_u32_u24_e32 v16, 0x104, v14
	ds_read_b32 v15, v6 offset:14576
	ds_read_b32 v17, v16 offset:14560
	v_cmp_gt_u32_e64 s[8:9], 12, v4
	s_waitcnt lgkmcnt(0)
	v_fma_f32 v15, v15, v17, 0
	s_and_saveexec_b64 s[10:11], s[8:9]
	s_cbranch_execnz .LBB119_1253
; %bb.1054:
	s_or_b64 exec, exec, s[10:11]
	v_cmp_gt_u32_e64 s[8:9], 8, v4
	s_and_saveexec_b64 s[10:11], s[8:9]
	s_cbranch_execnz .LBB119_1254
.LBB119_1055:
	s_or_b64 exec, exec, s[10:11]
	v_cmp_gt_u32_e64 s[8:9], 4, v4
	s_and_saveexec_b64 s[10:11], s[8:9]
	s_cbranch_execz .LBB119_1057
.LBB119_1056:
	v_lshlrev_b32_e32 v13, 2, v0
	v_mov_b32_e32 v14, 0
	ds_read_b32 v13, v13 offset:15344
	ds_read_b32 v14, v14 offset:14572
	s_waitcnt lgkmcnt(0)
	v_fmac_f32_e32 v15, v13, v14
.LBB119_1057:
	s_or_b64 exec, exec, s[10:11]
	v_xor_b32_e32 v15, 0x80000000, v15
.LBB119_1058:
	s_or_b64 exec, exec, s[0:1]
	s_and_saveexec_b64 s[0:1], s[46:47]
	s_cbranch_execz .LBB119_1060
; %bb.1059:
	v_mov_b32_e32 v13, 0
	ds_read_b32 v13, v13 offset:15600
	s_waitcnt lgkmcnt(0)
	v_mul_f32_e32 v15, v15, v13
	ds_write_b32 v12, v15
.LBB119_1060:
	s_or_b64 exec, exec, s[0:1]
	s_waitcnt lgkmcnt(0)
	s_barrier
	s_and_saveexec_b64 s[0:1], s[48:49]
	v_readlane_b32 s46, v33, 1
	v_readlane_b32 s47, v33, 2
	s_cbranch_execz .LBB119_1062
; %bb.1061:
	ds_read_b32 v13, v11 offset:15600
	ds_read_b32 v14, v12
	s_waitcnt lgkmcnt(0)
	v_fmac_f32_e32 v15, v13, v14
.LBB119_1062:
	s_or_b64 exec, exec, s[0:1]
	s_barrier
	s_and_saveexec_b64 s[0:1], s[50:51]
	s_cbranch_execz .LBB119_1064
; %bb.1063:
	v_mov_b32_e32 v13, 0
	ds_read_b32 v13, v13 offset:15860
	s_waitcnt lgkmcnt(0)
	v_mul_f32_e32 v15, v15, v13
	ds_write_b32 v12, v15
.LBB119_1064:
	s_or_b64 exec, exec, s[0:1]
	s_waitcnt lgkmcnt(0)
	s_barrier
	s_and_saveexec_b64 s[0:1], s[52:53]
	s_cbranch_execz .LBB119_1066
; %bb.1065:
	ds_read_b32 v11, v11 offset:15856
	ds_read_b32 v13, v12
	s_waitcnt lgkmcnt(0)
	v_fmac_f32_e32 v15, v11, v13
.LBB119_1066:
	s_or_b64 exec, exec, s[0:1]
	s_barrier
	s_and_saveexec_b64 s[0:1], s[54:55]
	s_cbranch_execz .LBB119_1068
; %bb.1067:
	v_mov_b32_e32 v11, 0
	ds_read_b32 v11, v11 offset:16120
	s_waitcnt lgkmcnt(0)
	v_mul_f32_e32 v15, v15, v11
	ds_write_b32 v12, v15
.LBB119_1068:
	s_or_b64 exec, exec, s[0:1]
	s_waitcnt lgkmcnt(0)
	s_barrier
	s_and_saveexec_b64 s[0:1], s[44:45]
	s_cbranch_execz .LBB119_1070
; %bb.1069:
	v_mov_b32_e32 v11, 0
	ds_read_b32 v11, v11 offset:16124
	ds_read_b32 v13, v12
	s_waitcnt lgkmcnt(0)
	v_fmac_f32_e32 v15, v11, v13
.LBB119_1070:
	s_or_b64 exec, exec, s[0:1]
	s_barrier
	s_and_saveexec_b64 s[0:1], s[44:45]
	s_cbranch_execz .LBB119_1072
; %bb.1071:
	v_mov_b32_e32 v11, 0
	ds_read_b32 v11, v11 offset:16380
	s_waitcnt lgkmcnt(0)
	v_mul_f32_e32 v15, v15, v11
	ds_write_b32 v12, v15
.LBB119_1072:
	s_or_b64 exec, exec, s[0:1]
	s_waitcnt lgkmcnt(0)
	s_barrier
	s_barrier
	s_and_saveexec_b64 s[0:1], s[18:19]
; %bb.1073:
	v_xor_b32_e32 v11, 0x80000000, v15
	ds_write_b32 v6, v11 offset:14576
; %bb.1074:
	s_or_b64 exec, exec, s[0:1]
	s_waitcnt lgkmcnt(0)
	s_barrier
	s_barrier
	s_and_saveexec_b64 s[0:1], s[56:57]
	s_cbranch_execz .LBB119_1076
; %bb.1075:
	v_lshlrev_b32_e32 v6, 8, v0
	ds_read_b32 v11, v6 offset:14576
	s_movk_i32 s8, 0xff04
	v_mad_i32_i24 v12, v0, s8, v6
	s_waitcnt lgkmcnt(0)
	ds_write_b32 v12, v11 offset:15584
	ds_read_b32 v11, v6 offset:14580
	s_waitcnt lgkmcnt(0)
	ds_write_b32 v12, v11 offset:15840
	ds_read_b32 v11, v6 offset:14584
	s_waitcnt lgkmcnt(0)
	ds_write_b32 v12, v11 offset:16096
	ds_read_b32 v6, v6 offset:14588
	s_waitcnt lgkmcnt(0)
	ds_write_b32 v12, v6 offset:16352
.LBB119_1076:
	s_or_b64 exec, exec, s[0:1]
	s_waitcnt lgkmcnt(0)
	s_barrier
	s_and_saveexec_b64 s[0:1], vcc
	s_cbranch_execz .LBB119_1078
; %bb.1077:
	v_mov_b32_e32 v6, 0
	ds_read_b64 v[11:12], v6 offset:15600
	ds_read_b32 v6, v6 offset:15860
	s_movk_i32 s8, 0x3c00
	s_waitcnt lgkmcnt(0)
	v_mul_f32_e32 v6, v11, v6
	v_mul_f32_e32 v6, v12, v6
	v_add_u32_e64 v11, s8, 0
	ds_write2_b32 v11, v6, v6 offset0:61 offset1:124
.LBB119_1078:
	s_or_b64 exec, exec, s[0:1]
	v_mov_b32_e32 v6, 0
	s_waitcnt lgkmcnt(0)
	s_barrier
	s_and_saveexec_b64 s[0:1], s[2:3]
	s_cbranch_execz .LBB119_1082
; %bb.1079:
	v_mul_u32_u24_e32 v5, 0x104, v5
	ds_read_b32 v11, v1 offset:15608
	ds_read_b32 v5, v5 offset:15600
	v_mov_b32_e32 v6, 0
	v_cmp_gt_u32_e64 s[8:9], 2, v4
	s_waitcnt lgkmcnt(0)
	v_fma_f32 v5, v11, v5, 0
	s_and_saveexec_b64 s[10:11], s[8:9]
	s_cbranch_execz .LBB119_1081
; %bb.1080:
	v_lshlrev_b32_e32 v4, 2, v0
	ds_read_b32 v4, v4 offset:15864
	ds_read_b32 v6, v6 offset:15604
	s_waitcnt lgkmcnt(0)
	v_fmac_f32_e32 v5, v4, v6
.LBB119_1081:
	s_or_b64 exec, exec, s[10:11]
	v_xor_b32_e32 v6, 0x80000000, v5
.LBB119_1082:
	s_or_b64 exec, exec, s[0:1]
	s_and_saveexec_b64 s[0:1], s[40:41]
	s_cbranch_execz .LBB119_1084
; %bb.1083:
	v_mov_b32_e32 v4, 0
	ds_read_b32 v4, v4 offset:16120
	s_waitcnt lgkmcnt(0)
	v_mul_f32_e32 v6, v6, v4
	ds_write_b32 v3, v6
.LBB119_1084:
	s_or_b64 exec, exec, s[0:1]
	s_waitcnt lgkmcnt(0)
	s_barrier
	s_and_saveexec_b64 s[0:1], s[38:39]
	s_load_dword s22, s[4:5], 0x6c
	v_readlane_b32 s40, v33, 0
	s_cbranch_execz .LBB119_1086
; %bb.1085:
	v_mov_b32_e32 v4, 0
	ds_read_b32 v4, v4 offset:16124
	ds_read_b32 v5, v3
	s_waitcnt lgkmcnt(0)
	v_fmac_f32_e32 v6, v4, v5
.LBB119_1086:
	s_or_b64 exec, exec, s[0:1]
	s_waitcnt lgkmcnt(0)
	s_barrier
	s_and_saveexec_b64 s[0:1], s[38:39]
	s_cbranch_execz .LBB119_1088
; %bb.1087:
	v_mov_b32_e32 v4, 0
	ds_read_b32 v4, v4 offset:16380
	s_waitcnt lgkmcnt(0)
	v_mul_f32_e32 v6, v6, v4
	ds_write_b32 v3, v6
.LBB119_1088:
	s_or_b64 exec, exec, s[0:1]
	s_waitcnt lgkmcnt(0)
	s_barrier
	s_barrier
	s_and_saveexec_b64 s[0:1], s[2:3]
; %bb.1089:
	v_xor_b32_e32 v3, 0x80000000, v6
	ds_write_b32 v1, v3 offset:15608
; %bb.1090:
	s_or_b64 exec, exec, s[0:1]
	s_waitcnt lgkmcnt(0)
	s_barrier
	s_barrier
	s_and_saveexec_b64 s[0:1], s[42:43]
	s_cbranch_execz .LBB119_1092
; %bb.1091:
	v_lshlrev_b32_e32 v1, 2, v0
	s_movk_i32 s2, 0xfc
	v_mad_u32_u24 v3, v0, s2, v1
	ds_read_b32 v4, v3 offset:15608
	s_waitcnt lgkmcnt(0)
	ds_write_b32 v1, v4 offset:16112
	ds_read_b32 v3, v3 offset:15612
	s_waitcnt lgkmcnt(0)
	ds_write_b32 v1, v3 offset:16368
.LBB119_1092:
	s_or_b64 exec, exec, s[0:1]
	s_waitcnt lgkmcnt(0)
	s_barrier
	s_and_saveexec_b64 s[0:1], vcc
	s_cbranch_execz .LBB119_1094
; %bb.1093:
	v_mov_b32_e32 v1, 0
	ds_read_b64 v[3:4], v1 offset:16120
	ds_read_b32 v1, v1 offset:16380
	s_movk_i32 s2, 0x3c00
	s_waitcnt lgkmcnt(0)
	v_mul_f32_e32 v1, v3, v1
	v_mul_f32_e32 v1, v4, v1
	v_add_u32_e64 v3, s2, 0
	ds_write2_b32 v3, v1, v1 offset0:191 offset1:254
.LBB119_1094:
	s_or_b64 exec, exec, s[0:1]
.LBB119_1095:
	s_load_dwordx4 s[0:3], s[4:5], 0x30
	v_cmp_le_i32_e32 vcc, s88, v0
	v_mov_b32_e32 v11, 0
	v_add_u32_e32 v3, s33, v0
	s_waitcnt lgkmcnt(0)
	s_lshl_b64 s[0:1], s[2:3], 2
	s_add_u32 s20, s36, s0
	s_addc_u32 s21, s37, s1
	s_and_b64 s[14:15], vcc, s[28:29]
	v_cmp_eq_u32_e64 s[2:3], 0, v2
	s_xor_b64 s[0:1], s[14:15], -1
	s_and_b64 s[8:9], s[2:3], s[0:1]
	s_barrier
	s_and_saveexec_b64 s[0:1], s[8:9]
	s_cbranch_execz .LBB119_1097
; %bb.1096:
	v_ashrrev_i32_e32 v1, 31, v3
	v_mul_lo_u32 v6, s31, v3
	v_mad_u64_u32 v[4:5], s[8:9], s30, v3, 0
	v_mul_lo_u32 v1, s30, v1
	s_load_dword s8, s[4:5], 0x28
	v_add3_u32 v5, v5, v1, v6
	v_lshlrev_b64 v[4:5], 2, v[4:5]
	v_mov_b32_e32 v1, s21
	v_add_co_u32_e32 v4, vcc, s20, v4
	v_addc_co_u32_e32 v5, vcc, v1, v5, vcc
	flat_load_dword v1, v[4:5]
	s_waitcnt vmcnt(0) lgkmcnt(0)
	v_mul_f32_e64 v11, v1, -s8
.LBB119_1097:
	s_or_b64 exec, exec, s[0:1]
	s_load_dwordx2 s[0:1], s[4:5], 0x50
	s_and_b32 s4, 0xffff, s22
	v_mad_u32_u24 v1, v2, s4, v0
	s_cmp_lt_i32 s6, 1
	v_cmp_eq_u32_e64 s[4:5], 0, v1
	s_cbranch_scc1 .LBB119_1123
; %bb.1098:
	v_ashrrev_i32_e32 v6, 31, v3
	v_mul_lo_u32 v12, s35, v3
	v_mad_u64_u32 v[4:5], s[8:9], s34, v3, 0
	v_mul_lo_u32 v6, s34, v6
	s_lshl_b64 s[8:9], s[24:25], 2
	s_waitcnt lgkmcnt(0)
	s_add_u32 s16, s0, s8
	s_addc_u32 s17, s1, s9
	v_add3_u32 v5, v5, v6, v12
	v_cmp_gt_i32_e64 s[8:9], s26, v3
	v_lshlrev_b64 v[3:4], 2, v[4:5]
	v_mov_b32_e32 v6, 0x5000
	v_mov_b32_e32 v5, s90
	v_add_co_u32_e32 v14, vcc, s89, v3
	s_mov_b32 s22, 0
	v_cmp_gt_u32_e64 s[12:13], 64, v1
	v_lshl_add_u32 v12, v1, 2, v6
	v_lshl_or_b32 v13, v2, 2, v6
	s_add_i32 s91, s91, 1
	v_addc_co_u32_e32 v15, vcc, v5, v4, vcc
	v_mov_b32_e32 v17, -1
	v_mov_b32_e32 v16, 0
	s_branch .LBB119_1101
.LBB119_1099:                           ;   in Loop: Header=BB119_1101 Depth=1
	ds_read_b32 v3, v13 offset:192
	s_waitcnt vmcnt(0) lgkmcnt(0)
	v_fmac_f32_e32 v11, v5, v3
.LBB119_1100:                           ;   in Loop: Header=BB119_1101 Depth=1
	s_or_b64 exec, exec, s[18:19]
	s_add_i32 s22, s22, 1
	s_cmp_eq_u32 s22, s6
	s_cbranch_scc1 .LBB119_1123
.LBB119_1101:                           ; =>This Loop Header: Depth=1
                                        ;     Child Loop BB119_1103 Depth 2
	v_cmp_gt_i32_e32 vcc, s22, v17
	s_and_b64 s[18:19], s[4:5], vcc
	s_and_saveexec_b64 s[10:11], s[18:19]
	s_cbranch_execz .LBB119_1104
; %bb.1102:                             ;   in Loop: Header=BB119_1101 Depth=1
	global_load_dword v17, v16, s[16:17]
	s_waitcnt vmcnt(0)
	v_cmp_le_i32_e32 vcc, s22, v17
	s_cbranch_vccnz .LBB119_1104
.LBB119_1103:                           ;   Parent Loop BB119_1101 Depth=1
                                        ; =>  This Inner Loop Header: Depth=2
	buffer_wbinvl1_vol
	global_load_dword v17, v16, s[16:17]
	s_waitcnt vmcnt(0)
	v_cmp_gt_i32_e32 vcc, s22, v17
	s_cbranch_vccnz .LBB119_1103
.LBB119_1104:                           ;   in Loop: Header=BB119_1101 Depth=1
	s_or_b64 exec, exec, s[10:11]
	s_sub_i32 s23, s7, s22
	s_lshl_b32 s34, s23, 6
	buffer_wbinvl1_vol
	s_barrier
	s_and_saveexec_b64 s[10:11], s[12:13]
	s_cbranch_execz .LBB119_1108
; %bb.1105:                             ;   in Loop: Header=BB119_1101 Depth=1
	s_ashr_i32 s18, s34, 31
	v_mov_b32_e32 v4, s18
	v_or_b32_e32 v3, s34, v1
	v_cmp_gt_i64_e32 vcc, s[26:27], v[3:4]
	v_mov_b32_e32 v5, 0
	s_and_saveexec_b64 s[18:19], vcc
	s_cbranch_execz .LBB119_1107
; %bb.1106:                             ;   in Loop: Header=BB119_1101 Depth=1
	v_mul_lo_u32 v5, v4, s30
	v_mul_lo_u32 v6, v3, s31
	v_mad_u64_u32 v[3:4], s[36:37], v3, s30, 0
	v_add3_u32 v4, v4, v6, v5
	v_lshlrev_b64 v[3:4], 2, v[3:4]
	v_mov_b32_e32 v5, s21
	v_add_co_u32_e32 v3, vcc, s20, v3
	v_addc_co_u32_e32 v4, vcc, v5, v4, vcc
	flat_load_dword v5, v[3:4]
.LBB119_1107:                           ;   in Loop: Header=BB119_1101 Depth=1
	s_or_b64 exec, exec, s[18:19]
	s_waitcnt vmcnt(0) lgkmcnt(0)
	ds_write_b32 v12, v5
.LBB119_1108:                           ;   in Loop: Header=BB119_1101 Depth=1
	s_or_b64 exec, exec, s[10:11]
	v_add_u32_e32 v5, s34, v2
	v_ashrrev_i32_e32 v6, 31, v5
	v_lshlrev_b64 v[3:4], 2, v[5:6]
	s_cmp_lg_u32 s23, s91
	v_add_co_u32_e32 v3, vcc, v14, v3
	s_cselect_b64 s[10:11], -1, 0
	v_addc_co_u32_e32 v4, vcc, v15, v4, vcc
	v_cmp_gt_i32_e32 vcc, s26, v5
	v_cndmask_b32_e64 v6, 0, 1, s[10:11]
	s_and_b64 s[34:35], vcc, s[8:9]
	v_cmp_ne_u32_e64 s[10:11], 1, v6
	s_waitcnt lgkmcnt(0)
	s_barrier
	s_and_saveexec_b64 s[18:19], s[34:35]
	s_cbranch_execz .LBB119_1112
; %bb.1109:                             ;   in Loop: Header=BB119_1101 Depth=1
	s_and_b64 vcc, exec, s[10:11]
	v_mov_b32_e32 v6, v8
	s_cbranch_vccnz .LBB119_1111
; %bb.1110:                             ;   in Loop: Header=BB119_1101 Depth=1
	flat_load_dword v6, v[3:4]
.LBB119_1111:                           ;   in Loop: Header=BB119_1101 Depth=1
	ds_read_b32 v18, v13
	s_waitcnt vmcnt(0) lgkmcnt(0)
	v_fmac_f32_e32 v11, v6, v18
.LBB119_1112:                           ;   in Loop: Header=BB119_1101 Depth=1
	s_or_b64 exec, exec, s[18:19]
	v_add_u32_e32 v6, 16, v5
	v_cmp_gt_i32_e32 vcc, s26, v6
	s_and_b64 s[34:35], vcc, s[8:9]
	s_and_saveexec_b64 s[18:19], s[34:35]
	s_cbranch_execz .LBB119_1116
; %bb.1113:                             ;   in Loop: Header=BB119_1101 Depth=1
	s_and_b64 vcc, exec, s[10:11]
	v_mov_b32_e32 v6, v7
	s_cbranch_vccnz .LBB119_1115
; %bb.1114:                             ;   in Loop: Header=BB119_1101 Depth=1
	flat_load_dword v6, v[3:4] offset:64
.LBB119_1115:                           ;   in Loop: Header=BB119_1101 Depth=1
	ds_read_b32 v18, v13 offset:64
	s_waitcnt vmcnt(0) lgkmcnt(0)
	v_fmac_f32_e32 v11, v6, v18
.LBB119_1116:                           ;   in Loop: Header=BB119_1101 Depth=1
	s_or_b64 exec, exec, s[18:19]
	v_add_u32_e32 v6, 32, v5
	v_cmp_gt_i32_e32 vcc, s26, v6
	s_and_b64 s[34:35], vcc, s[8:9]
	s_and_saveexec_b64 s[18:19], s[34:35]
	s_cbranch_execz .LBB119_1120
; %bb.1117:                             ;   in Loop: Header=BB119_1101 Depth=1
	s_and_b64 vcc, exec, s[10:11]
	v_mov_b32_e32 v6, v10
	s_cbranch_vccnz .LBB119_1119
; %bb.1118:                             ;   in Loop: Header=BB119_1101 Depth=1
	flat_load_dword v6, v[3:4] offset:128
.LBB119_1119:                           ;   in Loop: Header=BB119_1101 Depth=1
	ds_read_b32 v18, v13 offset:128
	s_waitcnt vmcnt(0) lgkmcnt(0)
	v_fmac_f32_e32 v11, v6, v18
.LBB119_1120:                           ;   in Loop: Header=BB119_1101 Depth=1
	s_or_b64 exec, exec, s[18:19]
	v_add_u32_e32 v5, 48, v5
	v_cmp_gt_i32_e32 vcc, s26, v5
	s_and_b64 s[34:35], vcc, s[8:9]
	s_and_saveexec_b64 s[18:19], s[34:35]
	s_cbranch_execz .LBB119_1100
; %bb.1121:                             ;   in Loop: Header=BB119_1101 Depth=1
	s_and_b64 vcc, exec, s[10:11]
	v_mov_b32_e32 v5, v9
	s_cbranch_vccnz .LBB119_1099
; %bb.1122:                             ;   in Loop: Header=BB119_1101 Depth=1
	flat_load_dword v5, v[3:4] offset:192
	s_branch .LBB119_1099
.LBB119_1123:
	v_lshl_add_u32 v3, v2, 6, v0
	s_xor_b64 s[4:5], s[28:29], -1
	v_lshlrev_b32_e32 v3, 2, v3
	ds_write_b32 v3, v11 offset:16384
	s_waitcnt lgkmcnt(0)
	s_barrier
	s_and_saveexec_b64 s[6:7], s[2:3]
	s_cbranch_execz .LBB119_1125
; %bb.1124:
	v_lshlrev_b32_e32 v10, 2, v0
	ds_read2st64_b32 v[4:5], v10 offset0:65 offset1:66
	ds_read2st64_b32 v[6:7], v10 offset0:67 offset1:68
	ds_read2st64_b32 v[8:9], v10 offset0:69 offset1:70
	ds_read2st64_b32 v[12:13], v10 offset0:71 offset1:72
	ds_read2st64_b32 v[14:15], v10 offset0:73 offset1:74
	s_waitcnt lgkmcnt(4)
	v_add_f32_e32 v4, v11, v4
	v_add_f32_e32 v4, v4, v5
	s_waitcnt lgkmcnt(3)
	v_add_f32_e32 v4, v4, v6
	v_add_f32_e32 v4, v4, v7
	;; [unrolled: 3-line block ×4, first 2 shown]
	ds_read2st64_b32 v[4:5], v10 offset0:75 offset1:76
	ds_read2st64_b32 v[6:7], v10 offset0:77 offset1:78
	ds_read_b32 v9, v10 offset:20224
	s_waitcnt lgkmcnt(3)
	v_add_f32_e32 v8, v8, v14
	v_add_f32_e32 v8, v8, v15
	s_waitcnt lgkmcnt(2)
	v_add_f32_e32 v4, v8, v4
	v_add_f32_e32 v4, v4, v5
	;; [unrolled: 3-line block ×3, first 2 shown]
	s_waitcnt lgkmcnt(0)
	v_add_f32_e32 v4, v4, v9
	v_cndmask_b32_e64 v11, -v4, 0, s[14:15]
.LBB119_1125:
	s_or_b64 exec, exec, s[6:7]
	s_and_b64 vcc, exec, s[46:47]
	s_cbranch_vccnz .LBB119_1138
; %bb.1126:
	v_mov_b32_e32 v4, 0x5000
	v_lshl_or_b32 v5, v2, 2, v4
	s_and_saveexec_b64 s[6:7], s[2:3]
; %bb.1127:
	v_lshl_add_u32 v4, v0, 2, v5
	ds_write_b32 v4, v11
; %bb.1128:
	s_or_b64 exec, exec, s[6:7]
	v_cmp_le_u32_e32 vcc, v0, v2
	v_mov_b32_e32 v4, 0
	s_waitcnt lgkmcnt(0)
	s_barrier
	s_and_saveexec_b64 s[6:7], vcc
	s_cbranch_execz .LBB119_1130
; %bb.1129:
	ds_read_b32 v4, v3
	ds_read_b32 v6, v5
	s_waitcnt lgkmcnt(0)
	v_fma_f32 v4, v4, v6, 0
.LBB119_1130:
	s_or_b64 exec, exec, s[6:7]
	v_add_u32_e32 v6, 16, v2
	v_cmp_le_u32_e32 vcc, v0, v6
	s_and_saveexec_b64 s[6:7], vcc
	s_cbranch_execz .LBB119_1132
; %bb.1131:
	ds_read_b32 v6, v3 offset:4096
	ds_read_b32 v7, v5 offset:64
	s_waitcnt lgkmcnt(0)
	v_fmac_f32_e32 v4, v6, v7
.LBB119_1132:
	s_or_b64 exec, exec, s[6:7]
	v_add_u32_e32 v6, 32, v2
	v_cmp_le_u32_e32 vcc, v0, v6
	s_and_saveexec_b64 s[6:7], vcc
	s_cbranch_execz .LBB119_1134
; %bb.1133:
	ds_read_b32 v6, v3 offset:8192
	ds_read_b32 v7, v5 offset:128
	s_waitcnt lgkmcnt(0)
	v_fmac_f32_e32 v4, v6, v7
.LBB119_1134:
	s_or_b64 exec, exec, s[6:7]
	v_add_u32_e32 v2, 48, v2
	v_add_u32_e32 v6, 0x4000, v3
	v_cmp_le_u32_e32 vcc, v0, v2
	s_and_saveexec_b64 s[6:7], vcc
	s_cbranch_execz .LBB119_1136
; %bb.1135:
	ds_read_b32 v2, v3 offset:12288
	ds_read_b32 v3, v5 offset:192
	s_waitcnt lgkmcnt(0)
	v_fmac_f32_e32 v4, v2, v3
.LBB119_1136:
	s_or_b64 exec, exec, s[6:7]
	s_mov_b64 s[8:9], 0
	s_mov_b64 s[6:7], 0
	ds_write_b32 v6, v4
	s_waitcnt lgkmcnt(0)
	s_barrier
                                        ; implicit-def: $vgpr2
	s_and_saveexec_b64 s[10:11], s[2:3]
	s_cbranch_execz .LBB119_1201
; %bb.1137:
	v_lshlrev_b32_e32 v12, 2, v0
	ds_read2st64_b32 v[2:3], v12 offset0:65 offset1:66
	ds_read2st64_b32 v[5:6], v12 offset0:67 offset1:68
	;; [unrolled: 1-line block ×4, first 2 shown]
	s_mov_b64 s[6:7], exec
	s_waitcnt lgkmcnt(3)
	v_add_f32_e32 v2, v4, v2
	v_add_f32_e32 v2, v3, v2
	s_waitcnt lgkmcnt(2)
	v_add_f32_e32 v2, v5, v2
	v_add_f32_e32 v2, v6, v2
	;; [unrolled: 3-line block ×3, first 2 shown]
	s_waitcnt lgkmcnt(0)
	v_add_f32_e32 v4, v9, v2
	ds_read2st64_b32 v[2:3], v12 offset0:73 offset1:74
	v_add_f32_e32 v8, v10, v4
	ds_read2st64_b32 v[4:5], v12 offset0:75 offset1:76
	ds_read2st64_b32 v[6:7], v12 offset0:77 offset1:78
	ds_read_b32 v9, v12 offset:20224
	s_waitcnt lgkmcnt(3)
	v_add_f32_e32 v2, v2, v8
	v_add_f32_e32 v2, v3, v2
	s_waitcnt lgkmcnt(2)
	v_add_f32_e32 v2, v4, v2
	v_add_f32_e32 v2, v5, v2
	;; [unrolled: 3-line block ×3, first 2 shown]
	s_waitcnt lgkmcnt(0)
	v_add_f32_e32 v2, v9, v2
	s_or_b64 exec, exec, s[10:11]
	s_and_b64 vcc, exec, s[8:9]
	s_cbranch_vccnz .LBB119_1139
	s_branch .LBB119_1202
.LBB119_1138:
	s_mov_b64 s[6:7], 0
                                        ; implicit-def: $vgpr2
	s_cbranch_execz .LBB119_1202
.LBB119_1139:
	s_movk_i32 s8, 0x104
	v_lshlrev_b32_e32 v3, 8, v0
	v_mov_b32_e32 v4, 0x3c00
	v_mul_u32_u24_e32 v2, 0x104, v0
	v_sub_u32_e32 v3, 0, v3
	v_mad_u32_u24 v4, v0, s8, v4
	s_mov_b32 s10, 63
	s_movk_i32 s11, 0xc100
	v_mov_b32_e32 v5, 0
	s_branch .LBB119_1141
.LBB119_1140:                           ;   in Loop: Header=BB119_1141 Depth=1
	s_or_b64 exec, exec, s[8:9]
	s_add_i32 s10, s10, -4
	s_cmp_lg_u32 s12, 0
	v_add_u32_e32 v3, 0xfffffc00, v3
	s_barrier
	s_cbranch_scc0 .LBB119_1157
.LBB119_1141:                           ; =>This Inner Loop Header: Depth=1
	v_cmp_eq_u32_e32 vcc, s11, v3
	s_and_b64 s[12:13], s[2:3], vcc
	s_and_saveexec_b64 s[8:9], s[12:13]
	s_cbranch_execz .LBB119_1143
; %bb.1142:                             ;   in Loop: Header=BB119_1141 Depth=1
	ds_read_b32 v6, v2
	s_waitcnt lgkmcnt(0)
	v_mul_f32_e32 v11, v11, v6
	ds_write_b32 v5, v11 offset:20736
.LBB119_1143:                           ;   in Loop: Header=BB119_1141 Depth=1
	s_or_b64 exec, exec, s[8:9]
	v_cmp_gt_u32_e32 vcc, s10, v0
	s_and_b64 s[12:13], s[2:3], vcc
	v_add_u32_e32 v6, v4, v3
	s_waitcnt lgkmcnt(0)
	s_barrier
	s_and_saveexec_b64 s[8:9], s[12:13]
	s_cbranch_execz .LBB119_1145
; %bb.1144:                             ;   in Loop: Header=BB119_1141 Depth=1
	ds_read_b32 v7, v6 offset:768
	ds_read_b32 v8, v5 offset:20736
	s_waitcnt lgkmcnt(0)
	v_fmac_f32_e32 v11, v7, v8
.LBB119_1145:                           ;   in Loop: Header=BB119_1141 Depth=1
	s_or_b64 exec, exec, s[8:9]
	s_add_i32 s12, s10, -1
	v_cmp_eq_u32_e32 vcc, s12, v0
	s_and_b64 s[14:15], s[2:3], vcc
	s_barrier
	s_and_saveexec_b64 s[8:9], s[14:15]
	s_cbranch_execz .LBB119_1147
; %bb.1146:                             ;   in Loop: Header=BB119_1141 Depth=1
	ds_read_b32 v7, v2
	s_waitcnt lgkmcnt(0)
	v_mul_f32_e32 v11, v11, v7
	ds_write_b32 v5, v11 offset:20736
.LBB119_1147:                           ;   in Loop: Header=BB119_1141 Depth=1
	s_or_b64 exec, exec, s[8:9]
	v_cmp_gt_u32_e32 vcc, s12, v0
	s_and_b64 s[12:13], s[2:3], vcc
	s_waitcnt lgkmcnt(0)
	s_barrier
	s_and_saveexec_b64 s[8:9], s[12:13]
	s_cbranch_execz .LBB119_1149
; %bb.1148:                             ;   in Loop: Header=BB119_1141 Depth=1
	ds_read_b32 v7, v6 offset:512
	ds_read_b32 v8, v5 offset:20736
	s_waitcnt lgkmcnt(0)
	v_fmac_f32_e32 v11, v7, v8
.LBB119_1149:                           ;   in Loop: Header=BB119_1141 Depth=1
	s_or_b64 exec, exec, s[8:9]
	s_add_i32 s12, s10, -2
	v_cmp_eq_u32_e32 vcc, s12, v0
	s_and_b64 s[14:15], s[2:3], vcc
	s_barrier
	s_and_saveexec_b64 s[8:9], s[14:15]
	s_cbranch_execz .LBB119_1151
; %bb.1150:                             ;   in Loop: Header=BB119_1141 Depth=1
	ds_read_b32 v7, v2
	s_waitcnt lgkmcnt(0)
	v_mul_f32_e32 v11, v11, v7
	ds_write_b32 v5, v11 offset:20736
.LBB119_1151:                           ;   in Loop: Header=BB119_1141 Depth=1
	s_or_b64 exec, exec, s[8:9]
	v_cmp_gt_u32_e32 vcc, s12, v0
	s_and_b64 s[12:13], s[2:3], vcc
	;; [unrolled: 26-line block ×3, first 2 shown]
	s_waitcnt lgkmcnt(0)
	s_barrier
	s_and_saveexec_b64 s[8:9], s[14:15]
	s_cbranch_execz .LBB119_1140
; %bb.1156:                             ;   in Loop: Header=BB119_1141 Depth=1
	ds_read_b32 v6, v6
	ds_read_b32 v7, v5 offset:20736
	s_waitcnt lgkmcnt(0)
	v_fmac_f32_e32 v11, v6, v7
	s_branch .LBB119_1140
.LBB119_1157:
	s_mov_b64 s[8:9], -1
	s_and_b64 vcc, exec, s[4:5]
	s_cbranch_vccnz .LBB119_1203
; %bb.1158:
	s_andn2_b64 vcc, exec, s[8:9]
	s_cbranch_vccz .LBB119_1204
.LBB119_1159:
	s_and_saveexec_b64 s[2:3], s[6:7]
	s_cbranch_execz .LBB119_1161
.LBB119_1160:
	v_mov_b32_e32 v0, s40
	v_add_co_u32_e32 v2, vcc, s33, v1
	v_addc_co_u32_e32 v0, vcc, 0, v0, vcc
	v_mul_lo_u32 v0, v0, s30
	v_mul_lo_u32 v4, v2, s31
	v_mad_u64_u32 v[2:3], s[4:5], v2, s30, 0
	v_add3_u32 v3, v3, v4, v0
	v_lshlrev_b64 v[2:3], 2, v[2:3]
	v_mov_b32_e32 v0, s21
	v_add_co_u32_e32 v2, vcc, s20, v2
	v_addc_co_u32_e32 v3, vcc, v0, v3, vcc
	flat_store_dword v[2:3], v11
.LBB119_1161:
	s_or_b64 exec, exec, s[2:3]
	v_cmp_eq_u32_e32 vcc, 0, v1
	s_waitcnt vmcnt(0) lgkmcnt(0)
	buffer_wbinvl1_vol
	s_barrier
	s_and_saveexec_b64 s[2:3], vcc
	s_cbranch_execz .LBB119_1163
; %bb.1162:
	s_lshl_b64 s[4:5], s[24:25], 2
	s_add_u32 s0, s0, s4
	s_addc_u32 s1, s1, s5
	v_mov_b32_e32 v0, 0
	global_load_dword v1, v0, s[0:1]
	s_waitcnt vmcnt(0)
	v_add_u32_e32 v1, 1, v1
	global_store_dword v0, v1, s[0:1]
.LBB119_1163:
	s_or_b64 exec, exec, s[2:3]
	s_waitcnt vmcnt(0)
	buffer_wbinvl1_vol
	s_endpgm
.LBB119_1164:
                                        ; implicit-def: $vgpr9
                                        ; implicit-def: $vgpr10
                                        ; implicit-def: $vgpr7
                                        ; implicit-def: $vgpr8
                                        ; implicit-def: $sgpr33
	s_cbranch_execnz .LBB119_10
	s_branch .LBB119_11
.LBB119_1165:
	v_cmp_ne_u32_e32 vcc, v0, v2
	s_and_saveexec_b64 s[12:13], vcc
	s_xor_b64 s[12:13], exec, s[12:13]
; %bb.1166:
	v_or_b32_e32 v1, v2, v0
	v_cmp_gt_u32_e32 vcc, 64, v1
	s_and_b64 s[10:11], vcc, exec
                                        ; implicit-def: $vgpr5_vgpr6
; %bb.1167:
	s_or_saveexec_b64 s[12:13], s[12:13]
	v_mov_b32_e32 v1, 0
	s_xor_b64 exec, exec, s[12:13]
	s_cbranch_execz .LBB119_1169
; %bb.1168:
	v_lshlrev_b64 v[5:6], 2, v[5:6]
	v_mov_b32_e32 v1, s90
	v_add_co_u32_e32 v5, vcc, s89, v5
	v_addc_co_u32_e32 v6, vcc, v1, v6, vcc
	flat_load_dword v1, v[5:6]
	s_or_b64 s[10:11], s[10:11], exec
	s_waitcnt vmcnt(0) lgkmcnt(0)
	v_div_scale_f32 v5, s[14:15], v1, v1, 1.0
	v_div_scale_f32 v6, vcc, 1.0, v1, 1.0
	v_rcp_f32_e32 v12, v5
	v_fma_f32 v13, -v5, v12, 1.0
	v_fmac_f32_e32 v12, v13, v12
	v_mul_f32_e32 v13, v6, v12
	v_fma_f32 v14, -v5, v13, v6
	v_fmac_f32_e32 v13, v14, v12
	v_fma_f32 v5, -v5, v13, v6
	v_div_fmas_f32 v5, v5, v12, v13
	v_div_fixup_f32 v1, v5, v1, 1.0
.LBB119_1169:
	s_or_b64 exec, exec, s[12:13]
	s_and_b64 s[10:11], s[10:11], exec
                                        ; implicit-def: $vgpr5_vgpr6
	s_andn2_saveexec_b64 s[8:9], s[8:9]
	s_cbranch_execz .LBB119_14
.LBB119_1170:
	v_lshlrev_b64 v[5:6], 2, v[5:6]
	v_mov_b32_e32 v1, s90
	v_add_co_u32_e32 v5, vcc, s89, v5
	v_addc_co_u32_e32 v6, vcc, v1, v6, vcc
	flat_load_dword v1, v[5:6]
	s_or_b64 s[10:11], s[10:11], exec
	s_waitcnt vmcnt(0) lgkmcnt(0)
	v_xor_b32_e32 v1, 0x80000000, v1
	s_or_b64 exec, exec, s[8:9]
	s_and_saveexec_b64 s[8:9], s[10:11]
	s_cbranch_execnz .LBB119_15
	s_branch .LBB119_16
.LBB119_1171:
	v_cmp_ne_u32_e32 vcc, v0, v1
	s_and_saveexec_b64 s[10:11], vcc
	s_xor_b64 s[10:11], exec, s[10:11]
; %bb.1172:
	v_or_b32_e32 v5, v1, v0
	v_cmp_gt_u32_e32 vcc, 64, v5
	s_and_b64 s[8:9], vcc, exec
                                        ; implicit-def: $vgpr5_vgpr6
; %bb.1173:
	s_or_saveexec_b64 s[10:11], s[10:11]
	v_mov_b32_e32 v12, 0
	s_xor_b64 exec, exec, s[10:11]
	s_cbranch_execz .LBB119_1175
; %bb.1174:
	v_lshlrev_b64 v[5:6], 2, v[5:6]
	v_mov_b32_e32 v12, s90
	v_add_co_u32_e32 v5, vcc, s89, v5
	v_addc_co_u32_e32 v6, vcc, v12, v6, vcc
	flat_load_dword v5, v[5:6]
	s_or_b64 s[8:9], s[8:9], exec
	s_waitcnt vmcnt(0) lgkmcnt(0)
	v_div_scale_f32 v6, s[12:13], v5, v5, 1.0
	v_div_scale_f32 v12, vcc, 1.0, v5, 1.0
	v_rcp_f32_e32 v13, v6
	v_fma_f32 v14, -v6, v13, 1.0
	v_fmac_f32_e32 v13, v14, v13
	v_mul_f32_e32 v14, v12, v13
	v_fma_f32 v15, -v6, v14, v12
	v_fmac_f32_e32 v14, v15, v13
	v_fma_f32 v6, -v6, v14, v12
	v_div_fmas_f32 v6, v6, v13, v14
	v_div_fixup_f32 v12, v6, v5, 1.0
.LBB119_1175:
	s_or_b64 exec, exec, s[10:11]
	s_and_b64 s[8:9], s[8:9], exec
                                        ; implicit-def: $vgpr5_vgpr6
	s_andn2_saveexec_b64 s[2:3], s[2:3]
	s_cbranch_execz .LBB119_18
.LBB119_1176:
	v_lshlrev_b64 v[5:6], 2, v[5:6]
	v_mov_b32_e32 v12, s90
	v_add_co_u32_e32 v5, vcc, s89, v5
	v_addc_co_u32_e32 v6, vcc, v12, v6, vcc
	flat_load_dword v5, v[5:6]
	s_or_b64 s[8:9], s[8:9], exec
	s_waitcnt vmcnt(0) lgkmcnt(0)
	v_xor_b32_e32 v12, 0x80000000, v5
	s_or_b64 exec, exec, s[2:3]
	s_and_saveexec_b64 s[2:3], s[8:9]
	s_cbranch_execnz .LBB119_19
	s_branch .LBB119_20
.LBB119_1177:
	v_cmp_ne_u32_e32 vcc, v0, v1
	s_and_saveexec_b64 s[10:11], vcc
	s_xor_b64 s[10:11], exec, s[10:11]
; %bb.1178:
	v_or_b32_e32 v5, v1, v0
	v_cmp_gt_u32_e32 vcc, 64, v5
	s_and_b64 s[8:9], vcc, exec
                                        ; implicit-def: $vgpr5_vgpr6
; %bb.1179:
	s_or_saveexec_b64 s[10:11], s[10:11]
	v_mov_b32_e32 v12, 0
	s_xor_b64 exec, exec, s[10:11]
	s_cbranch_execz .LBB119_1181
; %bb.1180:
	v_lshlrev_b64 v[5:6], 2, v[5:6]
	v_mov_b32_e32 v12, s90
	v_add_co_u32_e32 v5, vcc, s89, v5
	v_addc_co_u32_e32 v6, vcc, v12, v6, vcc
	flat_load_dword v5, v[5:6]
	s_or_b64 s[8:9], s[8:9], exec
	s_waitcnt vmcnt(0) lgkmcnt(0)
	v_div_scale_f32 v6, s[12:13], v5, v5, 1.0
	v_div_scale_f32 v12, vcc, 1.0, v5, 1.0
	v_rcp_f32_e32 v13, v6
	v_fma_f32 v14, -v6, v13, 1.0
	v_fmac_f32_e32 v13, v14, v13
	v_mul_f32_e32 v14, v12, v13
	v_fma_f32 v15, -v6, v14, v12
	v_fmac_f32_e32 v14, v15, v13
	v_fma_f32 v6, -v6, v14, v12
	v_div_fmas_f32 v6, v6, v13, v14
	v_div_fixup_f32 v12, v6, v5, 1.0
.LBB119_1181:
	s_or_b64 exec, exec, s[10:11]
	s_and_b64 s[8:9], s[8:9], exec
                                        ; implicit-def: $vgpr5_vgpr6
	s_andn2_saveexec_b64 s[2:3], s[2:3]
	s_cbranch_execz .LBB119_22
.LBB119_1182:
	v_lshlrev_b64 v[5:6], 2, v[5:6]
	v_mov_b32_e32 v12, s90
	v_add_co_u32_e32 v5, vcc, s89, v5
	v_addc_co_u32_e32 v6, vcc, v12, v6, vcc
	flat_load_dword v5, v[5:6]
	s_or_b64 s[8:9], s[8:9], exec
	s_waitcnt vmcnt(0) lgkmcnt(0)
	v_xor_b32_e32 v12, 0x80000000, v5
	s_or_b64 exec, exec, s[2:3]
	s_and_saveexec_b64 s[2:3], s[8:9]
	s_cbranch_execnz .LBB119_23
	s_branch .LBB119_24
.LBB119_1183:
	v_cmp_ne_u32_e32 vcc, v0, v2
	s_xor_b64 s[12:13], s[2:3], -1
	s_or_b64 s[14:15], s[12:13], vcc
	s_mov_b64 s[12:13], 0
	s_and_saveexec_b64 s[16:17], s[14:15]
	s_xor_b64 s[14:15], exec, s[16:17]
; %bb.1184:
	v_or_b32_e32 v1, v2, v0
	v_cmp_gt_u32_e32 vcc, 64, v1
	s_and_b64 s[12:13], vcc, exec
                                        ; implicit-def: $vgpr5_vgpr6
; %bb.1185:
	s_or_saveexec_b64 s[14:15], s[14:15]
	v_mov_b32_e32 v1, 0
	s_xor_b64 exec, exec, s[14:15]
	s_cbranch_execz .LBB119_1187
; %bb.1186:
	v_lshlrev_b64 v[5:6], 2, v[5:6]
	v_mov_b32_e32 v1, s90
	v_add_co_u32_e32 v5, vcc, s89, v5
	v_addc_co_u32_e32 v6, vcc, v1, v6, vcc
	flat_load_dword v1, v[5:6]
	s_or_b64 s[12:13], s[12:13], exec
	s_waitcnt vmcnt(0) lgkmcnt(0)
	v_div_scale_f32 v5, s[16:17], v1, v1, 1.0
	v_div_scale_f32 v6, vcc, 1.0, v1, 1.0
	v_rcp_f32_e32 v12, v5
	v_fma_f32 v13, -v5, v12, 1.0
	v_fmac_f32_e32 v12, v13, v12
	v_mul_f32_e32 v13, v6, v12
	v_fma_f32 v14, -v5, v13, v6
	v_fmac_f32_e32 v13, v14, v12
	v_fma_f32 v5, -v5, v13, v6
	v_div_fmas_f32 v5, v5, v12, v13
	v_div_fixup_f32 v1, v5, v1, 1.0
.LBB119_1187:
	s_or_b64 exec, exec, s[14:15]
	s_and_b64 s[12:13], s[12:13], exec
                                        ; implicit-def: $vgpr5_vgpr6
	s_andn2_saveexec_b64 s[8:9], s[8:9]
	s_cbranch_execz .LBB119_36
.LBB119_1188:
	v_lshlrev_b64 v[5:6], 2, v[5:6]
	v_mov_b32_e32 v1, s90
	v_add_co_u32_e32 v5, vcc, s89, v5
	v_addc_co_u32_e32 v6, vcc, v1, v6, vcc
	flat_load_dword v1, v[5:6]
	s_or_b64 s[12:13], s[12:13], exec
	s_waitcnt vmcnt(0) lgkmcnt(0)
	v_xor_b32_e32 v1, 0x80000000, v1
	s_or_b64 exec, exec, s[8:9]
	s_and_saveexec_b64 s[8:9], s[12:13]
	s_cbranch_execnz .LBB119_37
	s_branch .LBB119_38
.LBB119_1189:
	v_cmp_ne_u32_e32 vcc, v0, v1
	s_xor_b64 s[12:13], s[2:3], -1
	s_or_b64 s[14:15], s[12:13], vcc
	s_mov_b64 s[12:13], 0
	s_and_saveexec_b64 s[16:17], s[14:15]
	s_xor_b64 s[14:15], exec, s[16:17]
; %bb.1190:
	v_or_b32_e32 v5, v1, v0
	v_cmp_gt_u32_e32 vcc, 64, v5
	s_and_b64 s[12:13], vcc, exec
                                        ; implicit-def: $vgpr5_vgpr6
; %bb.1191:
	s_or_saveexec_b64 s[14:15], s[14:15]
	v_mov_b32_e32 v12, 0
	s_xor_b64 exec, exec, s[14:15]
	s_cbranch_execz .LBB119_1193
; %bb.1192:
	v_lshlrev_b64 v[5:6], 2, v[5:6]
	v_mov_b32_e32 v12, s90
	v_add_co_u32_e32 v5, vcc, s89, v5
	v_addc_co_u32_e32 v6, vcc, v12, v6, vcc
	flat_load_dword v5, v[5:6]
	s_or_b64 s[12:13], s[12:13], exec
	s_waitcnt vmcnt(0) lgkmcnt(0)
	v_div_scale_f32 v6, s[16:17], v5, v5, 1.0
	v_div_scale_f32 v12, vcc, 1.0, v5, 1.0
	v_rcp_f32_e32 v13, v6
	v_fma_f32 v14, -v6, v13, 1.0
	v_fmac_f32_e32 v13, v14, v13
	v_mul_f32_e32 v14, v12, v13
	v_fma_f32 v15, -v6, v14, v12
	v_fmac_f32_e32 v14, v15, v13
	v_fma_f32 v6, -v6, v14, v12
	v_div_fmas_f32 v6, v6, v13, v14
	v_div_fixup_f32 v12, v6, v5, 1.0
.LBB119_1193:
	s_or_b64 exec, exec, s[14:15]
	s_and_b64 s[12:13], s[12:13], exec
                                        ; implicit-def: $vgpr5_vgpr6
	s_andn2_saveexec_b64 s[8:9], s[8:9]
	s_cbranch_execz .LBB119_40
.LBB119_1194:
	v_lshlrev_b64 v[5:6], 2, v[5:6]
	v_mov_b32_e32 v12, s90
	v_add_co_u32_e32 v5, vcc, s89, v5
	v_addc_co_u32_e32 v6, vcc, v12, v6, vcc
	flat_load_dword v5, v[5:6]
	s_or_b64 s[12:13], s[12:13], exec
	s_waitcnt vmcnt(0) lgkmcnt(0)
	v_xor_b32_e32 v12, 0x80000000, v5
	s_or_b64 exec, exec, s[8:9]
	s_and_saveexec_b64 s[8:9], s[12:13]
	s_cbranch_execnz .LBB119_41
	s_branch .LBB119_42
.LBB119_1195:
	v_cmp_ne_u32_e32 vcc, v0, v1
	s_xor_b64 s[12:13], s[2:3], -1
	s_or_b64 s[14:15], s[12:13], vcc
	s_mov_b64 s[12:13], 0
	s_and_saveexec_b64 s[16:17], s[14:15]
	s_xor_b64 s[14:15], exec, s[16:17]
; %bb.1196:
	v_or_b32_e32 v5, v1, v0
	v_cmp_gt_u32_e32 vcc, 64, v5
	s_and_b64 s[12:13], vcc, exec
                                        ; implicit-def: $vgpr5_vgpr6
; %bb.1197:
	s_or_saveexec_b64 s[14:15], s[14:15]
	v_mov_b32_e32 v12, 0
	s_xor_b64 exec, exec, s[14:15]
	s_cbranch_execz .LBB119_1199
; %bb.1198:
	v_lshlrev_b64 v[5:6], 2, v[5:6]
	v_mov_b32_e32 v12, s90
	v_add_co_u32_e32 v5, vcc, s89, v5
	v_addc_co_u32_e32 v6, vcc, v12, v6, vcc
	flat_load_dword v5, v[5:6]
	s_or_b64 s[12:13], s[12:13], exec
	s_waitcnt vmcnt(0) lgkmcnt(0)
	v_div_scale_f32 v6, s[16:17], v5, v5, 1.0
	v_div_scale_f32 v12, vcc, 1.0, v5, 1.0
	v_rcp_f32_e32 v13, v6
	v_fma_f32 v14, -v6, v13, 1.0
	v_fmac_f32_e32 v13, v14, v13
	v_mul_f32_e32 v14, v12, v13
	v_fma_f32 v15, -v6, v14, v12
	v_fmac_f32_e32 v14, v15, v13
	v_fma_f32 v6, -v6, v14, v12
	v_div_fmas_f32 v6, v6, v13, v14
	v_div_fixup_f32 v12, v6, v5, 1.0
.LBB119_1199:
	s_or_b64 exec, exec, s[14:15]
	s_and_b64 s[12:13], s[12:13], exec
                                        ; implicit-def: $vgpr5_vgpr6
	s_andn2_saveexec_b64 s[8:9], s[8:9]
	s_cbranch_execz .LBB119_44
.LBB119_1200:
	v_lshlrev_b64 v[5:6], 2, v[5:6]
	v_mov_b32_e32 v12, s90
	v_add_co_u32_e32 v5, vcc, s89, v5
	v_addc_co_u32_e32 v6, vcc, v12, v6, vcc
	flat_load_dword v5, v[5:6]
	s_or_b64 s[12:13], s[12:13], exec
	s_waitcnt vmcnt(0) lgkmcnt(0)
	v_xor_b32_e32 v12, 0x80000000, v5
	s_or_b64 exec, exec, s[8:9]
	s_and_saveexec_b64 s[8:9], s[12:13]
	s_cbranch_execnz .LBB119_45
	s_branch .LBB119_46
.LBB119_1201:
	s_or_b64 exec, exec, s[10:11]
	s_and_b64 vcc, exec, s[8:9]
	s_cbranch_vccnz .LBB119_1139
.LBB119_1202:
	v_mov_b32_e32 v11, v2
	s_and_saveexec_b64 s[2:3], s[6:7]
	s_cbranch_execnz .LBB119_1160
	s_branch .LBB119_1161
.LBB119_1203:
	s_andn2_b64 s[4:5], s[6:7], exec
	s_and_b64 s[6:7], s[2:3], exec
	s_or_b64 s[6:7], s[4:5], s[6:7]
	s_cbranch_execnz .LBB119_1159
.LBB119_1204:
	v_cmp_gt_i32_e32 vcc, s88, v0
	s_and_b64 s[2:3], s[2:3], vcc
	s_andn2_b64 s[4:5], s[6:7], exec
	s_and_b64 s[2:3], s[2:3], exec
	s_or_b64 s[6:7], s[4:5], s[2:3]
	s_and_saveexec_b64 s[2:3], s[6:7]
	s_cbranch_execnz .LBB119_1160
	s_branch .LBB119_1161
.LBB119_1205:
	v_lshlrev_b32_e32 v16, 2, v14
	v_sub_u32_e32 v16, v15, v16
	v_lshl_add_u32 v16, v13, 2, v16
	ds_read_b32 v16, v16 offset:272
	ds_read_b32 v17, v15 offset:4
	s_waitcnt lgkmcnt(0)
	v_fmac_f32_e32 v12, v16, v17
	s_or_b64 exec, exec, s[14:15]
	v_cmp_gt_u32_e64 s[10:11], 8, v4
	s_and_saveexec_b64 s[14:15], s[10:11]
	s_cbranch_execz .LBB119_79
.LBB119_1206:
	ds_read_b32 v16, v6 offset:528
	ds_read_b32 v15, v15 offset:8
	s_waitcnt lgkmcnt(0)
	v_fmac_f32_e32 v12, v16, v15
	s_or_b64 exec, exec, s[14:15]
	v_cmp_gt_u32_e64 s[10:11], 4, v4
	s_and_saveexec_b64 s[14:15], s[10:11]
	s_cbranch_execnz .LBB119_80
	s_branch .LBB119_81
.LBB119_1207:
	v_lshlrev_b32_e32 v21, 2, v19
	v_sub_u32_e32 v21, v20, v21
	v_lshl_add_u32 v21, v18, 2, v21
	ds_read_b32 v21, v21 offset:288
	ds_read_b32 v22, v20 offset:4
	s_waitcnt lgkmcnt(0)
	v_fmac_f32_e32 v17, v21, v22
	s_or_b64 exec, exec, s[16:17]
	v_cmp_gt_u32_e64 s[14:15], 48, v4
	s_and_saveexec_b64 s[16:17], s[14:15]
	s_cbranch_execz .LBB119_121
.LBB119_1208:
	v_lshlrev_b32_e32 v21, 2, v19
	v_sub_u32_e32 v21, v20, v21
	v_lshl_add_u32 v21, v18, 2, v21
	ds_read_b32 v21, v21 offset:544
	ds_read_b32 v22, v20 offset:8
	s_waitcnt lgkmcnt(0)
	v_fmac_f32_e32 v17, v21, v22
	s_or_b64 exec, exec, s[16:17]
	v_cmp_gt_u32_e64 s[14:15], 40, v4
	s_and_saveexec_b64 s[16:17], s[14:15]
	s_cbranch_execz .LBB119_122
.LBB119_1209:
	v_lshlrev_b32_e32 v21, 2, v19
	v_sub_u32_e32 v21, v20, v21
	v_lshl_add_u32 v21, v18, 2, v21
	ds_read_b32 v21, v21 offset:800
	ds_read_b32 v22, v20 offset:12
	s_waitcnt lgkmcnt(0)
	v_fmac_f32_e32 v17, v21, v22
	s_or_b64 exec, exec, s[16:17]
	v_cmp_gt_u32_e64 s[14:15], 32, v4
	s_and_saveexec_b64 s[16:17], s[14:15]
	s_cbranch_execz .LBB119_123
.LBB119_1210:
	ds_read_b32 v21, v15 offset:1056
	ds_read_b32 v22, v20 offset:16
	s_waitcnt lgkmcnt(0)
	v_fmac_f32_e32 v17, v21, v22
	s_or_b64 exec, exec, s[16:17]
	v_cmp_gt_u32_e64 s[14:15], 24, v4
	s_and_saveexec_b64 s[16:17], s[14:15]
	s_cbranch_execz .LBB119_124
.LBB119_1211:
	v_lshlrev_b32_e32 v21, 2, v19
	v_sub_u32_e32 v21, v20, v21
	v_lshl_add_u32 v21, v18, 2, v21
	ds_read_b32 v21, v21 offset:1312
	ds_read_b32 v22, v20 offset:20
	s_waitcnt lgkmcnt(0)
	v_fmac_f32_e32 v17, v21, v22
	s_or_b64 exec, exec, s[16:17]
	v_cmp_gt_u32_e64 s[14:15], 16, v4
	s_and_saveexec_b64 s[16:17], s[14:15]
	s_cbranch_execz .LBB119_125
.LBB119_1212:
	ds_read_b32 v21, v15 offset:1568
	ds_read_b32 v20, v20 offset:24
	s_waitcnt lgkmcnt(0)
	v_fmac_f32_e32 v17, v21, v20
	s_or_b64 exec, exec, s[16:17]
	v_cmp_gt_u32_e64 s[14:15], 8, v4
	s_and_saveexec_b64 s[16:17], s[14:15]
	s_cbranch_execnz .LBB119_126
	s_branch .LBB119_127
.LBB119_1213:
	v_lshlrev_b32_e32 v22, 2, v14
	v_sub_u32_e32 v22, v21, v22
	v_lshl_add_u32 v22, v13, 2, v22
	ds_read_b32 v22, v22 offset:2352
	ds_read_b32 v23, v21 offset:2084
	s_waitcnt lgkmcnt(0)
	v_fmac_f32_e32 v20, v22, v23
	s_or_b64 exec, exec, s[14:15]
	v_cmp_gt_u32_e64 s[10:11], 8, v4
	s_and_saveexec_b64 s[14:15], s[10:11]
	s_cbranch_execz .LBB119_183
.LBB119_1214:
	ds_read_b32 v22, v6 offset:2608
	ds_read_b32 v21, v21 offset:2088
	s_waitcnt lgkmcnt(0)
	v_fmac_f32_e32 v20, v22, v21
	s_or_b64 exec, exec, s[14:15]
	v_cmp_gt_u32_e64 s[10:11], 4, v4
	s_and_saveexec_b64 s[14:15], s[10:11]
	s_cbranch_execnz .LBB119_184
	s_branch .LBB119_185
.LBB119_1215:
	v_lshlrev_b32_e32 v26, 2, v21
	v_lshl_add_u32 v26, v23, 2, v26
	ds_read_b32 v26, v26 offset:2880
	ds_read_b32 v27, v25 offset:44
	s_waitcnt lgkmcnt(0)
	v_fmac_f32_e32 v22, v26, v27
	s_or_b64 exec, exec, s[20:21]
	v_cmp_gt_u32_e64 s[16:17], 64, v4
	s_and_saveexec_b64 s[20:21], s[16:17]
	s_cbranch_execz .LBB119_245
.LBB119_1216:
	ds_read_b32 v26, v20 offset:3136
	ds_read_b32 v27, v25 offset:48
	s_waitcnt lgkmcnt(0)
	v_fmac_f32_e32 v22, v26, v27
	s_or_b64 exec, exec, s[20:21]
	v_cmp_gt_u32_e64 s[16:17], 48, v4
	s_and_saveexec_b64 s[20:21], s[16:17]
	s_cbranch_execz .LBB119_246
.LBB119_1217:
	v_lshlrev_b32_e32 v26, 2, v21
	v_lshl_add_u32 v26, v23, 2, v26
	ds_read_b32 v26, v26 offset:3392
	ds_read_b32 v27, v25 offset:52
	s_waitcnt lgkmcnt(0)
	v_fmac_f32_e32 v22, v26, v27
	s_or_b64 exec, exec, s[20:21]
	v_cmp_gt_u32_e64 s[16:17], 32, v4
	s_and_saveexec_b64 s[20:21], s[16:17]
	s_cbranch_execz .LBB119_247
.LBB119_1218:
	ds_read_b32 v26, v20 offset:3648
	ds_read_b32 v25, v25 offset:56
	s_waitcnt lgkmcnt(0)
	v_fmac_f32_e32 v22, v26, v25
	s_or_b64 exec, exec, s[20:21]
	v_cmp_gt_u32_e64 s[16:17], 16, v4
	s_and_saveexec_b64 s[20:21], s[16:17]
	s_cbranch_execnz .LBB119_248
	s_branch .LBB119_249
.LBB119_1219:
	v_lshlrev_b32_e32 v27, 2, v14
	v_sub_u32_e32 v27, v26, v27
	v_lshl_add_u32 v27, v13, 2, v27
	ds_read_b32 v27, v27 offset:4432
	ds_read_b32 v28, v26 offset:4164
	s_waitcnt lgkmcnt(0)
	v_fmac_f32_e32 v25, v27, v28
	s_or_b64 exec, exec, s[20:21]
	v_cmp_gt_u32_e64 s[14:15], 8, v4
	s_and_saveexec_b64 s[20:21], s[14:15]
	s_cbranch_execz .LBB119_337
.LBB119_1220:
	ds_read_b32 v27, v6 offset:4688
	ds_read_b32 v26, v26 offset:4168
	s_waitcnt lgkmcnt(0)
	v_fmac_f32_e32 v25, v27, v26
	s_or_b64 exec, exec, s[20:21]
	v_cmp_gt_u32_e64 s[14:15], 4, v4
	s_and_saveexec_b64 s[20:21], s[14:15]
	s_cbranch_execnz .LBB119_338
	s_branch .LBB119_339
.LBB119_1221:
	v_lshlrev_b32_e32 v27, 2, v19
	v_sub_u32_e32 v27, v26, v27
	v_lshl_add_u32 v27, v18, 2, v27
	ds_read_b32 v27, v27 offset:4448
	ds_read_b32 v28, v26 offset:4164
	s_waitcnt lgkmcnt(0)
	v_fmac_f32_e32 v25, v27, v28
	s_or_b64 exec, exec, s[20:21]
	v_cmp_gt_u32_e64 s[14:15], 48, v4
	s_and_saveexec_b64 s[20:21], s[14:15]
	s_cbranch_execz .LBB119_379
.LBB119_1222:
	v_lshlrev_b32_e32 v27, 2, v19
	v_sub_u32_e32 v27, v26, v27
	v_lshl_add_u32 v27, v18, 2, v27
	ds_read_b32 v27, v27 offset:4704
	ds_read_b32 v28, v26 offset:4168
	s_waitcnt lgkmcnt(0)
	v_fmac_f32_e32 v25, v27, v28
	s_or_b64 exec, exec, s[20:21]
	v_cmp_gt_u32_e64 s[14:15], 40, v4
	s_and_saveexec_b64 s[20:21], s[14:15]
	s_cbranch_execz .LBB119_380
.LBB119_1223:
	v_lshlrev_b32_e32 v27, 2, v19
	v_sub_u32_e32 v27, v26, v27
	v_lshl_add_u32 v27, v18, 2, v27
	ds_read_b32 v27, v27 offset:4960
	ds_read_b32 v28, v26 offset:4172
	s_waitcnt lgkmcnt(0)
	v_fmac_f32_e32 v25, v27, v28
	s_or_b64 exec, exec, s[20:21]
	v_cmp_gt_u32_e64 s[14:15], 32, v4
	s_and_saveexec_b64 s[20:21], s[14:15]
	s_cbranch_execz .LBB119_381
.LBB119_1224:
	ds_read_b32 v27, v15 offset:5216
	ds_read_b32 v28, v26 offset:4176
	s_waitcnt lgkmcnt(0)
	v_fmac_f32_e32 v25, v27, v28
	s_or_b64 exec, exec, s[20:21]
	v_cmp_gt_u32_e64 s[14:15], 24, v4
	s_and_saveexec_b64 s[20:21], s[14:15]
	s_cbranch_execz .LBB119_382
.LBB119_1225:
	v_lshlrev_b32_e32 v27, 2, v19
	v_sub_u32_e32 v27, v26, v27
	v_lshl_add_u32 v27, v18, 2, v27
	ds_read_b32 v27, v27 offset:5472
	ds_read_b32 v28, v26 offset:4180
	s_waitcnt lgkmcnt(0)
	v_fmac_f32_e32 v25, v27, v28
	s_or_b64 exec, exec, s[20:21]
	v_cmp_gt_u32_e64 s[14:15], 16, v4
	s_and_saveexec_b64 s[20:21], s[14:15]
	s_cbranch_execz .LBB119_383
.LBB119_1226:
	ds_read_b32 v27, v15 offset:5728
	ds_read_b32 v26, v26 offset:4184
	s_waitcnt lgkmcnt(0)
	v_fmac_f32_e32 v25, v27, v26
	s_or_b64 exec, exec, s[20:21]
	v_cmp_gt_u32_e64 s[14:15], 8, v4
	s_and_saveexec_b64 s[20:21], s[14:15]
	s_cbranch_execnz .LBB119_384
	s_branch .LBB119_385
.LBB119_1227:
	v_lshlrev_b32_e32 v27, 2, v14
	v_sub_u32_e32 v27, v26, v27
	v_lshl_add_u32 v27, v13, 2, v27
	ds_read_b32 v27, v27 offset:6512
	ds_read_b32 v28, v26 offset:6244
	s_waitcnt lgkmcnt(0)
	v_fmac_f32_e32 v25, v27, v28
	s_or_b64 exec, exec, s[20:21]
	v_cmp_gt_u32_e64 s[14:15], 8, v4
	s_and_saveexec_b64 s[20:21], s[14:15]
	s_cbranch_execz .LBB119_441
.LBB119_1228:
	ds_read_b32 v27, v6 offset:6768
	ds_read_b32 v26, v26 offset:6248
	s_waitcnt lgkmcnt(0)
	v_fmac_f32_e32 v25, v27, v26
	s_or_b64 exec, exec, s[20:21]
	v_cmp_gt_u32_e64 s[14:15], 4, v4
	s_and_saveexec_b64 s[20:21], s[14:15]
	s_cbranch_execnz .LBB119_442
	s_branch .LBB119_443
.LBB119_1229:
	ds_read_b32 v31, v25 offset:7552
	ds_read_b32 v32, v30 offset:116
	s_waitcnt lgkmcnt(0)
	v_fmac_f32_e32 v28, v31, v32
	s_or_b64 exec, exec, s[22:23]
	v_cmp_gt_u32_e64 s[20:21], 64, v4
	s_and_saveexec_b64 s[22:23], s[20:21]
	s_cbranch_execz .LBB119_539
.LBB119_1230:
	ds_read_b32 v31, v25 offset:7808
	ds_read_b32 v30, v30 offset:120
	s_waitcnt lgkmcnt(0)
	v_fmac_f32_e32 v28, v31, v30
	s_or_b64 exec, exec, s[22:23]
	v_cmp_gt_u32_e64 s[20:21], 32, v4
	s_and_saveexec_b64 s[22:23], s[20:21]
	s_cbranch_execnz .LBB119_540
	s_branch .LBB119_541
.LBB119_1231:
	v_lshlrev_b32_e32 v27, 2, v14
	v_sub_u32_e32 v27, v26, v27
	v_lshl_add_u32 v27, v13, 2, v27
	ds_read_b32 v27, v27 offset:8592
	ds_read_b32 v28, v26 offset:8324
	s_waitcnt lgkmcnt(0)
	v_fmac_f32_e32 v25, v27, v28
	s_or_b64 exec, exec, s[16:17]
	v_cmp_gt_u32_e64 s[12:13], 8, v4
	s_and_saveexec_b64 s[16:17], s[12:13]
	s_cbranch_execz .LBB119_693
.LBB119_1232:
	ds_read_b32 v27, v6 offset:8848
	ds_read_b32 v26, v26 offset:8328
	s_waitcnt lgkmcnt(0)
	v_fmac_f32_e32 v25, v27, v26
	s_or_b64 exec, exec, s[16:17]
	v_cmp_gt_u32_e64 s[12:13], 4, v4
	s_and_saveexec_b64 s[16:17], s[12:13]
	s_cbranch_execnz .LBB119_694
	s_branch .LBB119_695
.LBB119_1233:
	v_lshlrev_b32_e32 v27, 2, v19
	v_sub_u32_e32 v27, v26, v27
	v_lshl_add_u32 v27, v18, 2, v27
	ds_read_b32 v27, v27 offset:8608
	ds_read_b32 v28, v26 offset:8324
	s_waitcnt lgkmcnt(0)
	v_fmac_f32_e32 v25, v27, v28
	s_or_b64 exec, exec, s[16:17]
	v_cmp_gt_u32_e64 s[12:13], 48, v4
	s_and_saveexec_b64 s[16:17], s[12:13]
	s_cbranch_execz .LBB119_735
.LBB119_1234:
	v_lshlrev_b32_e32 v27, 2, v19
	v_sub_u32_e32 v27, v26, v27
	v_lshl_add_u32 v27, v18, 2, v27
	ds_read_b32 v27, v27 offset:8864
	ds_read_b32 v28, v26 offset:8328
	s_waitcnt lgkmcnt(0)
	v_fmac_f32_e32 v25, v27, v28
	s_or_b64 exec, exec, s[16:17]
	v_cmp_gt_u32_e64 s[12:13], 40, v4
	s_and_saveexec_b64 s[16:17], s[12:13]
	s_cbranch_execz .LBB119_736
.LBB119_1235:
	v_lshlrev_b32_e32 v27, 2, v19
	v_sub_u32_e32 v27, v26, v27
	v_lshl_add_u32 v27, v18, 2, v27
	ds_read_b32 v27, v27 offset:9120
	ds_read_b32 v28, v26 offset:8332
	s_waitcnt lgkmcnt(0)
	v_fmac_f32_e32 v25, v27, v28
	s_or_b64 exec, exec, s[16:17]
	v_cmp_gt_u32_e64 s[12:13], 32, v4
	s_and_saveexec_b64 s[16:17], s[12:13]
	s_cbranch_execz .LBB119_737
.LBB119_1236:
	ds_read_b32 v27, v15 offset:9376
	ds_read_b32 v28, v26 offset:8336
	s_waitcnt lgkmcnt(0)
	v_fmac_f32_e32 v25, v27, v28
	s_or_b64 exec, exec, s[16:17]
	v_cmp_gt_u32_e64 s[12:13], 24, v4
	s_and_saveexec_b64 s[16:17], s[12:13]
	s_cbranch_execz .LBB119_738
.LBB119_1237:
	v_lshlrev_b32_e32 v27, 2, v19
	v_sub_u32_e32 v27, v26, v27
	v_lshl_add_u32 v27, v18, 2, v27
	ds_read_b32 v27, v27 offset:9632
	ds_read_b32 v28, v26 offset:8340
	s_waitcnt lgkmcnt(0)
	v_fmac_f32_e32 v25, v27, v28
	s_or_b64 exec, exec, s[16:17]
	v_cmp_gt_u32_e64 s[12:13], 16, v4
	s_and_saveexec_b64 s[16:17], s[12:13]
	s_cbranch_execz .LBB119_739
.LBB119_1238:
	ds_read_b32 v27, v15 offset:9888
	ds_read_b32 v26, v26 offset:8344
	s_waitcnt lgkmcnt(0)
	v_fmac_f32_e32 v25, v27, v26
	s_or_b64 exec, exec, s[16:17]
	v_cmp_gt_u32_e64 s[12:13], 8, v4
	s_and_saveexec_b64 s[16:17], s[12:13]
	s_cbranch_execnz .LBB119_740
	s_branch .LBB119_741
.LBB119_1239:
	v_lshlrev_b32_e32 v27, 2, v14
	v_sub_u32_e32 v27, v26, v27
	v_lshl_add_u32 v27, v13, 2, v27
	ds_read_b32 v27, v27 offset:10672
	ds_read_b32 v28, v26 offset:10404
	s_waitcnt lgkmcnt(0)
	v_fmac_f32_e32 v25, v27, v28
	s_or_b64 exec, exec, s[16:17]
	v_cmp_gt_u32_e64 s[12:13], 8, v4
	s_and_saveexec_b64 s[16:17], s[12:13]
	s_cbranch_execz .LBB119_797
.LBB119_1240:
	ds_read_b32 v27, v6 offset:10928
	ds_read_b32 v26, v26 offset:10408
	s_waitcnt lgkmcnt(0)
	v_fmac_f32_e32 v25, v27, v26
	s_or_b64 exec, exec, s[16:17]
	v_cmp_gt_u32_e64 s[12:13], 4, v4
	s_and_saveexec_b64 s[16:17], s[12:13]
	s_cbranch_execnz .LBB119_798
	s_branch .LBB119_799
.LBB119_1241:
	v_lshlrev_b32_e32 v24, 2, v21
	v_lshl_add_u32 v24, v23, 2, v24
	ds_read_b32 v24, v24 offset:11200
	ds_read_b32 v27, v26 offset:8364
	s_waitcnt lgkmcnt(0)
	v_fmac_f32_e32 v25, v24, v27
	s_or_b64 exec, exec, s[16:17]
	v_cmp_gt_u32_e64 s[12:13], 64, v4
	s_and_saveexec_b64 s[16:17], s[12:13]
	s_cbranch_execz .LBB119_859
.LBB119_1242:
	ds_read_b32 v24, v20 offset:11456
	ds_read_b32 v27, v26 offset:8368
	s_waitcnt lgkmcnt(0)
	v_fmac_f32_e32 v25, v24, v27
	s_or_b64 exec, exec, s[16:17]
	v_cmp_gt_u32_e64 s[12:13], 48, v4
	s_and_saveexec_b64 s[16:17], s[12:13]
	s_cbranch_execz .LBB119_860
.LBB119_1243:
	v_lshlrev_b32_e32 v24, 2, v21
	v_lshl_add_u32 v23, v23, 2, v24
	ds_read_b32 v23, v23 offset:11712
	ds_read_b32 v24, v26 offset:8372
	s_waitcnt lgkmcnt(0)
	v_fmac_f32_e32 v25, v23, v24
	s_or_b64 exec, exec, s[16:17]
	v_cmp_gt_u32_e64 s[12:13], 32, v4
	s_and_saveexec_b64 s[16:17], s[12:13]
	s_cbranch_execz .LBB119_861
.LBB119_1244:
	ds_read_b32 v23, v20 offset:11968
	ds_read_b32 v24, v26 offset:8376
	s_waitcnt lgkmcnt(0)
	v_fmac_f32_e32 v25, v23, v24
	s_or_b64 exec, exec, s[16:17]
	v_cmp_gt_u32_e64 s[12:13], 16, v4
	s_and_saveexec_b64 s[16:17], s[12:13]
	s_cbranch_execnz .LBB119_862
	s_branch .LBB119_863
.LBB119_1245:
	v_lshlrev_b32_e32 v22, 2, v14
	v_sub_u32_e32 v22, v21, v22
	v_lshl_add_u32 v22, v13, 2, v22
	ds_read_b32 v22, v22 offset:12752
	ds_read_b32 v23, v21 offset:12484
	s_waitcnt lgkmcnt(0)
	v_fmac_f32_e32 v20, v22, v23
	s_or_b64 exec, exec, s[12:13]
	v_cmp_gt_u32_e64 s[10:11], 8, v4
	s_and_saveexec_b64 s[12:13], s[10:11]
	s_cbranch_execz .LBB119_951
.LBB119_1246:
	ds_read_b32 v22, v6 offset:13008
	ds_read_b32 v21, v21 offset:12488
	s_waitcnt lgkmcnt(0)
	v_fmac_f32_e32 v20, v22, v21
	s_or_b64 exec, exec, s[12:13]
	v_cmp_gt_u32_e64 s[10:11], 4, v4
	s_and_saveexec_b64 s[12:13], s[10:11]
	s_cbranch_execnz .LBB119_952
	s_branch .LBB119_953
.LBB119_1247:
	v_lshlrev_b32_e32 v22, 2, v19
	v_sub_u32_e32 v22, v21, v22
	v_lshl_add_u32 v22, v18, 2, v22
	ds_read_b32 v22, v22 offset:12768
	ds_read_b32 v23, v21 offset:12484
	s_waitcnt lgkmcnt(0)
	v_fmac_f32_e32 v20, v22, v23
	s_or_b64 exec, exec, s[12:13]
	v_cmp_gt_u32_e64 s[10:11], 48, v4
	s_and_saveexec_b64 s[12:13], s[10:11]
	s_cbranch_execz .LBB119_993
.LBB119_1248:
	v_lshlrev_b32_e32 v22, 2, v19
	v_sub_u32_e32 v22, v21, v22
	v_lshl_add_u32 v22, v18, 2, v22
	ds_read_b32 v22, v22 offset:13024
	ds_read_b32 v23, v21 offset:12488
	s_waitcnt lgkmcnt(0)
	v_fmac_f32_e32 v20, v22, v23
	s_or_b64 exec, exec, s[12:13]
	v_cmp_gt_u32_e64 s[10:11], 40, v4
	s_and_saveexec_b64 s[12:13], s[10:11]
	s_cbranch_execz .LBB119_994
.LBB119_1249:
	v_lshlrev_b32_e32 v22, 2, v19
	v_sub_u32_e32 v22, v21, v22
	v_lshl_add_u32 v22, v18, 2, v22
	ds_read_b32 v22, v22 offset:13280
	ds_read_b32 v23, v21 offset:12492
	s_waitcnt lgkmcnt(0)
	v_fmac_f32_e32 v20, v22, v23
	s_or_b64 exec, exec, s[12:13]
	v_cmp_gt_u32_e64 s[10:11], 32, v4
	s_and_saveexec_b64 s[12:13], s[10:11]
	s_cbranch_execz .LBB119_995
.LBB119_1250:
	ds_read_b32 v22, v15 offset:13536
	ds_read_b32 v23, v21 offset:12496
	s_waitcnt lgkmcnt(0)
	v_fmac_f32_e32 v20, v22, v23
	s_or_b64 exec, exec, s[12:13]
	v_cmp_gt_u32_e64 s[10:11], 24, v4
	s_and_saveexec_b64 s[12:13], s[10:11]
	s_cbranch_execz .LBB119_996
.LBB119_1251:
	v_lshlrev_b32_e32 v19, 2, v19
	v_sub_u32_e32 v19, v21, v19
	v_lshl_add_u32 v18, v18, 2, v19
	ds_read_b32 v18, v18 offset:13792
	ds_read_b32 v19, v21 offset:12500
	s_waitcnt lgkmcnt(0)
	v_fmac_f32_e32 v20, v18, v19
	s_or_b64 exec, exec, s[12:13]
	v_cmp_gt_u32_e64 s[10:11], 16, v4
	s_and_saveexec_b64 s[12:13], s[10:11]
	s_cbranch_execz .LBB119_997
.LBB119_1252:
	ds_read_b32 v18, v15 offset:14048
	ds_read_b32 v19, v21 offset:12504
	s_waitcnt lgkmcnt(0)
	v_fmac_f32_e32 v20, v18, v19
	s_or_b64 exec, exec, s[12:13]
	v_cmp_gt_u32_e64 s[10:11], 8, v4
	s_and_saveexec_b64 s[12:13], s[10:11]
	s_cbranch_execnz .LBB119_998
	s_branch .LBB119_999
.LBB119_1253:
	v_lshlrev_b32_e32 v14, 2, v14
	v_sub_u32_e32 v14, v16, v14
	v_lshl_add_u32 v13, v13, 2, v14
	ds_read_b32 v13, v13 offset:14832
	ds_read_b32 v14, v16 offset:14564
	s_waitcnt lgkmcnt(0)
	v_fmac_f32_e32 v15, v13, v14
	s_or_b64 exec, exec, s[10:11]
	v_cmp_gt_u32_e64 s[8:9], 8, v4
	s_and_saveexec_b64 s[10:11], s[8:9]
	s_cbranch_execz .LBB119_1055
.LBB119_1254:
	ds_read_b32 v13, v6 offset:15088
	ds_read_b32 v14, v16 offset:14568
	s_waitcnt lgkmcnt(0)
	v_fmac_f32_e32 v15, v13, v14
	s_or_b64 exec, exec, s[10:11]
	v_cmp_gt_u32_e64 s[8:9], 4, v4
	s_and_saveexec_b64 s[10:11], s[8:9]
	s_cbranch_execnz .LBB119_1056
	s_branch .LBB119_1057
	.section	.rodata,"a",@progbits
	.p2align	6, 0x0
	.amdhsa_kernel _ZL19rocblas_trsv_deviceILi64ELi16ELb1ELb1ELb0ELb0EffPKPKfPKPfEviT7_lllT6_T8_lllPii
		.amdhsa_group_segment_fixed_size 20740
		.amdhsa_private_segment_fixed_size 0
		.amdhsa_kernarg_size 352
		.amdhsa_user_sgpr_count 6
		.amdhsa_user_sgpr_private_segment_buffer 1
		.amdhsa_user_sgpr_dispatch_ptr 0
		.amdhsa_user_sgpr_queue_ptr 0
		.amdhsa_user_sgpr_kernarg_segment_ptr 1
		.amdhsa_user_sgpr_dispatch_id 0
		.amdhsa_user_sgpr_flat_scratch_init 0
		.amdhsa_user_sgpr_private_segment_size 0
		.amdhsa_uses_dynamic_stack 0
		.amdhsa_system_sgpr_private_segment_wavefront_offset 0
		.amdhsa_system_sgpr_workgroup_id_x 1
		.amdhsa_system_sgpr_workgroup_id_y 0
		.amdhsa_system_sgpr_workgroup_id_z 1
		.amdhsa_system_sgpr_workgroup_info 0
		.amdhsa_system_vgpr_workitem_id 1
		.amdhsa_next_free_vgpr 34
		.amdhsa_next_free_sgpr 96
		.amdhsa_reserve_vcc 1
		.amdhsa_reserve_flat_scratch 0
		.amdhsa_float_round_mode_32 0
		.amdhsa_float_round_mode_16_64 0
		.amdhsa_float_denorm_mode_32 3
		.amdhsa_float_denorm_mode_16_64 3
		.amdhsa_dx10_clamp 1
		.amdhsa_ieee_mode 1
		.amdhsa_fp16_overflow 0
		.amdhsa_exception_fp_ieee_invalid_op 0
		.amdhsa_exception_fp_denorm_src 0
		.amdhsa_exception_fp_ieee_div_zero 0
		.amdhsa_exception_fp_ieee_overflow 0
		.amdhsa_exception_fp_ieee_underflow 0
		.amdhsa_exception_fp_ieee_inexact 0
		.amdhsa_exception_int_div_zero 0
	.end_amdhsa_kernel
	.section	.text._ZL19rocblas_trsv_deviceILi64ELi16ELb1ELb1ELb0ELb0EffPKPKfPKPfEviT7_lllT6_T8_lllPii,"axG",@progbits,_ZL19rocblas_trsv_deviceILi64ELi16ELb1ELb1ELb0ELb0EffPKPKfPKPfEviT7_lllT6_T8_lllPii,comdat
.Lfunc_end119:
	.size	_ZL19rocblas_trsv_deviceILi64ELi16ELb1ELb1ELb0ELb0EffPKPKfPKPfEviT7_lllT6_T8_lllPii, .Lfunc_end119-_ZL19rocblas_trsv_deviceILi64ELi16ELb1ELb1ELb0ELb0EffPKPKfPKPfEviT7_lllT6_T8_lllPii
                                        ; -- End function
	.set _ZL19rocblas_trsv_deviceILi64ELi16ELb1ELb1ELb0ELb0EffPKPKfPKPfEviT7_lllT6_T8_lllPii.num_vgpr, 34
	.set _ZL19rocblas_trsv_deviceILi64ELi16ELb1ELb1ELb0ELb0EffPKPKfPKPfEviT7_lllT6_T8_lllPii.num_agpr, 0
	.set _ZL19rocblas_trsv_deviceILi64ELi16ELb1ELb1ELb0ELb0EffPKPKfPKPfEviT7_lllT6_T8_lllPii.numbered_sgpr, 96
	.set _ZL19rocblas_trsv_deviceILi64ELi16ELb1ELb1ELb0ELb0EffPKPKfPKPfEviT7_lllT6_T8_lllPii.num_named_barrier, 0
	.set _ZL19rocblas_trsv_deviceILi64ELi16ELb1ELb1ELb0ELb0EffPKPKfPKPfEviT7_lllT6_T8_lllPii.private_seg_size, 0
	.set _ZL19rocblas_trsv_deviceILi64ELi16ELb1ELb1ELb0ELb0EffPKPKfPKPfEviT7_lllT6_T8_lllPii.uses_vcc, 1
	.set _ZL19rocblas_trsv_deviceILi64ELi16ELb1ELb1ELb0ELb0EffPKPKfPKPfEviT7_lllT6_T8_lllPii.uses_flat_scratch, 0
	.set _ZL19rocblas_trsv_deviceILi64ELi16ELb1ELb1ELb0ELb0EffPKPKfPKPfEviT7_lllT6_T8_lllPii.has_dyn_sized_stack, 0
	.set _ZL19rocblas_trsv_deviceILi64ELi16ELb1ELb1ELb0ELb0EffPKPKfPKPfEviT7_lllT6_T8_lllPii.has_recursion, 0
	.set _ZL19rocblas_trsv_deviceILi64ELi16ELb1ELb1ELb0ELb0EffPKPKfPKPfEviT7_lllT6_T8_lllPii.has_indirect_call, 0
	.section	.AMDGPU.csdata,"",@progbits
; Kernel info:
; codeLenInByte = 39432
; TotalNumSgprs: 100
; NumVgprs: 34
; ScratchSize: 0
; MemoryBound: 0
; FloatMode: 240
; IeeeMode: 1
; LDSByteSize: 20740 bytes/workgroup (compile time only)
; SGPRBlocks: 12
; VGPRBlocks: 8
; NumSGPRsForWavesPerEU: 100
; NumVGPRsForWavesPerEU: 34
; Occupancy: 7
; WaveLimiterHint : 1
; COMPUTE_PGM_RSRC2:SCRATCH_EN: 0
; COMPUTE_PGM_RSRC2:USER_SGPR: 6
; COMPUTE_PGM_RSRC2:TRAP_HANDLER: 0
; COMPUTE_PGM_RSRC2:TGID_X_EN: 1
; COMPUTE_PGM_RSRC2:TGID_Y_EN: 0
; COMPUTE_PGM_RSRC2:TGID_Z_EN: 1
; COMPUTE_PGM_RSRC2:TIDIG_COMP_CNT: 1
	.section	.text._ZL19rocblas_trsv_deviceILi64ELi16ELb1ELb1ELb1ELb0EffPKPKfPKPfEviT7_lllT6_T8_lllPii,"axG",@progbits,_ZL19rocblas_trsv_deviceILi64ELi16ELb1ELb1ELb1ELb0EffPKPKfPKPfEviT7_lllT6_T8_lllPii,comdat
	.globl	_ZL19rocblas_trsv_deviceILi64ELi16ELb1ELb1ELb1ELb0EffPKPKfPKPfEviT7_lllT6_T8_lllPii ; -- Begin function _ZL19rocblas_trsv_deviceILi64ELi16ELb1ELb1ELb1ELb0EffPKPKfPKPfEviT7_lllT6_T8_lllPii
	.p2align	8
	.type	_ZL19rocblas_trsv_deviceILi64ELi16ELb1ELb1ELb1ELb0EffPKPKfPKPfEviT7_lllT6_T8_lllPii,@function
_ZL19rocblas_trsv_deviceILi64ELi16ELb1ELb1ELb1ELb0EffPKPKfPKPfEviT7_lllT6_T8_lllPii: ; @_ZL19rocblas_trsv_deviceILi64ELi16ELb1ELb1ELb1ELb0EffPKPKfPKPfEviT7_lllT6_T8_lllPii
; %bb.0:
	s_load_dwordx4 s[0:3], s[4:5], 0x8
	s_mov_b32 s24, s7
	s_mov_b32 s25, 0
	s_lshl_b64 s[8:9], s[24:25], 3
	v_mov_b32_e32 v2, v1
	s_waitcnt lgkmcnt(0)
	s_add_u32 s0, s0, s8
	s_addc_u32 s1, s1, s9
	s_load_dwordx2 s[10:11], s[0:1], 0x0
	s_load_dword s26, s[4:5], 0x0
	s_load_dwordx2 s[34:35], s[4:5], 0x18
	s_load_dwordx4 s[12:15], s[4:5], 0x30
	s_lshl_b64 s[0:1], s[2:3], 2
	s_waitcnt lgkmcnt(0)
	s_add_u32 s89, s10, s0
	s_addc_u32 s90, s11, s1
	s_load_dword s7, s[4:5], 0x60
	s_add_u32 s0, s12, s8
	s_addc_u32 s1, s13, s9
	s_load_dwordx2 s[36:37], s[0:1], 0x0
	s_load_dword s22, s[4:5], 0x6c
	s_waitcnt lgkmcnt(0)
	s_add_i32 s7, s7, -1
	s_sub_i32 s91, s7, s6
	s_cmp_lg_u32 s6, 0
	s_cbranch_scc0 .LBB120_1164
; %bb.1:
	s_lshl_b32 s33, s91, 6
	v_add_u32_e32 v1, s33, v0
	v_ashrrev_i32_e32 v3, 31, v1
	v_mul_lo_u32 v7, s34, v3
	v_mul_lo_u32 v8, s35, v1
	v_mad_u64_u32 v[5:6], s[0:1], s34, v1, 0
	v_add3_u32 v3, v2, s33, 64
	v_ashrrev_i32_e32 v4, 31, v3
	v_add3_u32 v6, v6, v7, v8
	v_lshlrev_b64 v[5:6], 2, v[5:6]
	v_cmp_gt_i32_e32 vcc, s26, v1
	v_mov_b32_e32 v1, s90
	v_add_co_u32_e64 v7, s[0:1], s89, v5
	v_lshlrev_b64 v[4:5], 2, v[3:4]
	v_addc_co_u32_e64 v1, s[0:1], v1, v6, s[0:1]
	v_add_co_u32_e64 v4, s[0:1], v7, v4
	v_addc_co_u32_e64 v5, s[0:1], v1, v5, s[0:1]
	v_cmp_gt_i32_e64 s[0:1], s26, v3
	s_and_b64 s[2:3], s[0:1], vcc
	v_mov_b32_e32 v7, 0
	v_mov_b32_e32 v8, 0
	s_barrier
	s_and_saveexec_b64 s[0:1], s[2:3]
	s_cbranch_execz .LBB120_3
; %bb.2:
	flat_load_dword v8, v[4:5]
.LBB120_3:
	s_or_b64 exec, exec, s[0:1]
	v_add_u32_e32 v1, 16, v3
	v_cmp_gt_i32_e64 s[0:1], s26, v1
	s_and_b64 s[2:3], s[0:1], vcc
	s_waitcnt vmcnt(0) lgkmcnt(0)
	s_barrier
	s_and_saveexec_b64 s[0:1], s[2:3]
	s_cbranch_execz .LBB120_5
; %bb.4:
	flat_load_dword v7, v[4:5] offset:64
.LBB120_5:
	s_or_b64 exec, exec, s[0:1]
	v_add_u32_e32 v1, 32, v3
	v_cmp_gt_i32_e64 s[0:1], s26, v1
	s_and_b64 s[2:3], s[0:1], vcc
	v_mov_b32_e32 v9, 0
	v_mov_b32_e32 v10, 0
	s_waitcnt vmcnt(0) lgkmcnt(0)
	s_barrier
	s_and_saveexec_b64 s[0:1], s[2:3]
	s_cbranch_execz .LBB120_7
; %bb.6:
	flat_load_dword v10, v[4:5] offset:128
.LBB120_7:
	s_or_b64 exec, exec, s[0:1]
	v_add_u32_e32 v1, 48, v3
	v_cmp_gt_i32_e64 s[0:1], s26, v1
	s_and_b64 s[2:3], s[0:1], vcc
	s_waitcnt vmcnt(0) lgkmcnt(0)
	s_barrier
	s_and_saveexec_b64 s[0:1], s[2:3]
	s_cbranch_execz .LBB120_9
; %bb.8:
	flat_load_dword v9, v[4:5] offset:192
.LBB120_9:
	s_or_b64 exec, exec, s[0:1]
	s_branch .LBB120_11
.LBB120_10:
	s_lshl_b32 s33, s91, 6
                                        ; implicit-def: $vgpr8
                                        ; implicit-def: $vgpr7
                                        ; implicit-def: $vgpr10
                                        ; implicit-def: $vgpr9
.LBB120_11:
	s_ashr_i32 s27, s26, 31
	s_lshr_b32 s0, s27, 26
	s_add_i32 s0, s26, s0
	s_andn2_b32 s0, s0, 63
	s_sub_i32 s88, s26, s0
	s_add_i32 s0, s26, -1
	s_ashr_i32 s1, s0, 31
	s_lshr_b32 s1, s1, 26
	s_add_i32 s0, s0, s1
	s_ashr_i32 s0, s0, 6
	s_cmp_eq_u32 s0, s91
	s_cselect_b64 s[0:1], -1, 0
	s_cmp_lg_u32 s88, 0
	s_cselect_b64 s[2:3], -1, 0
	s_and_b64 s[28:29], s[2:3], s[0:1]
	s_cmp_lt_i32 s6, 5
	s_cselect_b64 s[2:3], -1, 0
	s_or_b64 s[0:1], s[2:3], s[28:29]
	s_ashr_i32 s40, s33, 31
	s_add_u32 s10, s34, 1
	v_mov_b32_e32 v1, 0
	v_mov_b32_e32 v3, s33
	v_mad_u64_u32 v[3:4], s[8:9], s10, v3, v[0:1]
	s_addc_u32 s11, s35, 0
	s_mul_i32 s8, s10, s40
	s_mul_i32 s11, s11, s33
	s_add_i32 s8, s8, s11
	s_mov_b64 s[12:13], -1
	v_lshlrev_b32_e32 v11, 6, v0
	v_add_u32_e32 v4, s8, v4
	s_and_b64 vcc, exec, s[28:29]
	v_cmp_le_u32_e64 s[8:9], v0, v2
	s_cbranch_vccnz .LBB120_33
; %bb.12:
	v_mad_u64_u32 v[5:6], s[10:11], s34, v2, v[3:4]
	v_mov_b32_e32 v1, v6
	v_mad_u64_u32 v[12:13], s[10:11], s35, v2, v[1:2]
	s_mov_b64 s[10:11], 0
                                        ; implicit-def: $vgpr1
	v_mov_b32_e32 v6, v12
	s_and_saveexec_b64 s[12:13], s[8:9]
	s_xor_b64 s[8:9], exec, s[12:13]
	s_cbranch_execnz .LBB120_1165
; %bb.13:
	s_andn2_saveexec_b64 s[8:9], s[8:9]
	s_cbranch_execnz .LBB120_1170
.LBB120_14:
	s_or_b64 exec, exec, s[8:9]
	s_and_saveexec_b64 s[8:9], s[10:11]
.LBB120_15:
	v_add_u32_e32 v5, v2, v11
	v_lshl_add_u32 v6, v2, 6, v0
	v_cndmask_b32_e64 v5, v6, v5, s[2:3]
	v_lshlrev_b32_e32 v5, 2, v5
	ds_write_b32 v5, v1
.LBB120_16:
	s_or_b64 exec, exec, s[8:9]
	v_add_u32_e32 v1, 16, v2
	v_mad_u64_u32 v[5:6], s[2:3], s34, v1, v[3:4]
	v_cmp_le_u32_e32 vcc, v0, v1
	s_mov_b64 s[8:9], 0
	v_mad_u64_u32 v[12:13], s[2:3], s35, v1, v[6:7]
	v_mov_b32_e32 v6, v12
                                        ; implicit-def: $vgpr12
	s_and_saveexec_b64 s[2:3], vcc
	s_xor_b64 s[2:3], exec, s[2:3]
	s_cbranch_execnz .LBB120_1171
; %bb.17:
	s_andn2_saveexec_b64 s[2:3], s[2:3]
	s_cbranch_execnz .LBB120_1176
.LBB120_18:
	s_or_b64 exec, exec, s[2:3]
	s_and_saveexec_b64 s[2:3], s[8:9]
.LBB120_19:
	v_add_u32_e32 v5, v1, v11
	v_lshl_add_u32 v1, v1, 6, v0
	v_cndmask_b32_e64 v1, v1, v5, s[0:1]
	v_lshlrev_b32_e32 v1, 2, v1
	ds_write_b32 v1, v12
.LBB120_20:
	s_or_b64 exec, exec, s[2:3]
	v_add_u32_e32 v1, 32, v2
	v_mad_u64_u32 v[5:6], s[2:3], s34, v1, v[3:4]
	v_cmp_le_u32_e32 vcc, v0, v1
	s_mov_b64 s[8:9], 0
	v_mad_u64_u32 v[12:13], s[2:3], s35, v1, v[6:7]
	v_mov_b32_e32 v6, v12
                                        ; implicit-def: $vgpr12
	s_and_saveexec_b64 s[2:3], vcc
	s_xor_b64 s[2:3], exec, s[2:3]
	s_cbranch_execnz .LBB120_1177
; %bb.21:
	s_andn2_saveexec_b64 s[2:3], s[2:3]
	s_cbranch_execnz .LBB120_1182
.LBB120_22:
	s_or_b64 exec, exec, s[2:3]
	s_and_saveexec_b64 s[2:3], s[8:9]
.LBB120_23:
	v_add_u32_e32 v5, v1, v11
	v_lshl_add_u32 v1, v1, 6, v0
	v_cndmask_b32_e64 v1, v1, v5, s[0:1]
	v_lshlrev_b32_e32 v1, 2, v1
	ds_write_b32 v1, v12
.LBB120_24:
	s_or_b64 exec, exec, s[2:3]
	v_add_u32_e32 v12, 48, v2
	v_mad_u64_u32 v[5:6], s[2:3], s34, v12, v[3:4]
	v_cmp_le_u32_e32 vcc, v0, v12
	s_mov_b64 s[10:11], 0
	v_mov_b32_e32 v1, v6
	v_mad_u64_u32 v[13:14], s[2:3], s35, v12, v[1:2]
                                        ; implicit-def: $vgpr1
	v_mov_b32_e32 v6, v13
	s_and_saveexec_b64 s[2:3], vcc
	s_xor_b64 s[2:3], exec, s[2:3]
	s_cbranch_execz .LBB120_30
; %bb.25:
	v_cmp_ne_u32_e32 vcc, v0, v12
	s_mov_b64 s[8:9], 0
	s_and_saveexec_b64 s[10:11], vcc
	s_xor_b64 s[10:11], exec, s[10:11]
; %bb.26:
	v_or_b32_e32 v1, v12, v0
	v_cmp_gt_u32_e32 vcc, 64, v1
	s_and_b64 s[8:9], vcc, exec
                                        ; implicit-def: $vgpr5_vgpr6
; %bb.27:
	s_or_saveexec_b64 s[10:11], s[10:11]
	v_mov_b32_e32 v1, 0
	s_xor_b64 exec, exec, s[10:11]
	s_cbranch_execz .LBB120_29
; %bb.28:
	v_lshlrev_b64 v[5:6], 2, v[5:6]
	v_mov_b32_e32 v1, s90
	v_add_co_u32_e32 v5, vcc, s89, v5
	v_addc_co_u32_e32 v6, vcc, v1, v6, vcc
	flat_load_dword v1, v[5:6]
	s_or_b64 s[8:9], s[8:9], exec
	s_waitcnt vmcnt(0) lgkmcnt(0)
	v_div_scale_f32 v5, s[12:13], v1, v1, 1.0
	v_div_scale_f32 v6, vcc, 1.0, v1, 1.0
	v_rcp_f32_e32 v13, v5
	v_fma_f32 v14, -v5, v13, 1.0
	v_fmac_f32_e32 v13, v14, v13
	v_mul_f32_e32 v14, v6, v13
	v_fma_f32 v15, -v5, v14, v6
	v_fmac_f32_e32 v14, v15, v13
	v_fma_f32 v5, -v5, v14, v6
	v_div_fmas_f32 v5, v5, v13, v14
	v_div_fixup_f32 v1, v5, v1, 1.0
.LBB120_29:
	s_or_b64 exec, exec, s[10:11]
	s_and_b64 s[10:11], s[8:9], exec
                                        ; implicit-def: $vgpr5_vgpr6
.LBB120_30:
	s_or_saveexec_b64 s[2:3], s[2:3]
	v_add_u32_e32 v13, v12, v11
	v_lshl_add_u32 v12, v12, 6, v0
	s_xor_b64 exec, exec, s[2:3]
	s_cbranch_execz .LBB120_32
; %bb.31:
	v_lshlrev_b64 v[5:6], 2, v[5:6]
	v_mov_b32_e32 v1, s90
	v_add_co_u32_e32 v5, vcc, s89, v5
	v_addc_co_u32_e32 v6, vcc, v1, v6, vcc
	flat_load_dword v1, v[5:6]
	s_or_b64 s[10:11], s[10:11], exec
	s_waitcnt vmcnt(0) lgkmcnt(0)
	v_xor_b32_e32 v1, 0x80000000, v1
.LBB120_32:
	s_or_b64 exec, exec, s[2:3]
	v_cndmask_b32_e64 v5, v12, v13, s[0:1]
	s_load_dwordx2 s[30:31], s[4:5], 0x40
	s_branch .LBB120_55
.LBB120_33:
	s_mov_b64 s[10:11], 0
                                        ; implicit-def: $vgpr1
                                        ; implicit-def: $vgpr5
	s_load_dwordx2 s[30:31], s[4:5], 0x40
	s_and_b64 vcc, exec, s[12:13]
	s_cbranch_vccz .LBB120_55
; %bb.34:
	v_mad_u64_u32 v[5:6], s[2:3], s34, v2, v[3:4]
	v_cmp_le_u32_e32 vcc, v0, v2
	v_cmp_gt_i32_e64 s[2:3], s88, v0
	v_mov_b32_e32 v1, v6
	v_mad_u64_u32 v[12:13], s[8:9], s35, v2, v[1:2]
	v_max_i32_e32 v1, v2, v0
	v_cmp_le_i32_e64 s[8:9], s88, v1
	v_mov_b32_e32 v6, v12
	s_or_b64 s[8:9], s[8:9], vcc
	s_mov_b64 s[12:13], 0
                                        ; implicit-def: $vgpr1
	s_and_saveexec_b64 s[14:15], s[8:9]
	s_xor_b64 s[8:9], exec, s[14:15]
	s_cbranch_execnz .LBB120_1183
; %bb.35:
	s_andn2_saveexec_b64 s[8:9], s[8:9]
	s_cbranch_execnz .LBB120_1188
.LBB120_36:
	s_or_b64 exec, exec, s[8:9]
	s_and_saveexec_b64 s[8:9], s[12:13]
.LBB120_37:
	v_lshlrev_b32_e32 v5, 2, v11
	v_lshl_add_u32 v5, v2, 2, v5
	ds_write_b32 v5, v1
.LBB120_38:
	s_or_b64 exec, exec, s[8:9]
	v_add_u32_e32 v1, 16, v2
	v_mad_u64_u32 v[5:6], s[8:9], s34, v1, v[3:4]
	v_cmp_gt_u32_e32 vcc, v0, v1
	s_mov_b64 s[12:13], 0
	v_mad_u64_u32 v[12:13], s[8:9], s35, v1, v[6:7]
	v_cmp_gt_i32_e64 s[8:9], s88, v1
	s_and_b64 s[8:9], vcc, s[8:9]
	s_and_b64 s[8:9], s[2:3], s[8:9]
	v_mov_b32_e32 v6, v12
	s_xor_b64 s[8:9], s[8:9], -1
                                        ; implicit-def: $vgpr12
	s_and_saveexec_b64 s[14:15], s[8:9]
	s_xor_b64 s[8:9], exec, s[14:15]
	s_cbranch_execnz .LBB120_1189
; %bb.39:
	s_andn2_saveexec_b64 s[8:9], s[8:9]
	s_cbranch_execnz .LBB120_1194
.LBB120_40:
	s_or_b64 exec, exec, s[8:9]
	s_and_saveexec_b64 s[8:9], s[12:13]
.LBB120_41:
	v_add_u32_e32 v5, v1, v11
	v_lshl_add_u32 v1, v1, 6, v0
	v_cndmask_b32_e64 v1, v1, v5, s[0:1]
	v_lshlrev_b32_e32 v1, 2, v1
	ds_write_b32 v1, v12
.LBB120_42:
	s_or_b64 exec, exec, s[8:9]
	v_add_u32_e32 v1, 32, v2
	v_mad_u64_u32 v[5:6], s[8:9], s34, v1, v[3:4]
	v_cmp_gt_u32_e32 vcc, v0, v1
	s_mov_b64 s[12:13], 0
	v_mad_u64_u32 v[12:13], s[8:9], s35, v1, v[6:7]
	v_cmp_gt_i32_e64 s[8:9], s88, v1
	s_and_b64 s[8:9], vcc, s[8:9]
	s_and_b64 s[8:9], s[2:3], s[8:9]
	v_mov_b32_e32 v6, v12
	s_xor_b64 s[8:9], s[8:9], -1
                                        ; implicit-def: $vgpr12
	s_and_saveexec_b64 s[14:15], s[8:9]
	s_xor_b64 s[8:9], exec, s[14:15]
	s_cbranch_execnz .LBB120_1195
; %bb.43:
	s_andn2_saveexec_b64 s[8:9], s[8:9]
	s_cbranch_execnz .LBB120_1200
.LBB120_44:
	s_or_b64 exec, exec, s[8:9]
	s_and_saveexec_b64 s[8:9], s[12:13]
.LBB120_45:
	v_add_u32_e32 v5, v1, v11
	v_lshl_add_u32 v1, v1, 6, v0
	v_cndmask_b32_e64 v1, v1, v5, s[0:1]
	v_lshlrev_b32_e32 v1, 2, v1
	ds_write_b32 v1, v12
.LBB120_46:
	s_or_b64 exec, exec, s[8:9]
	v_add_u32_e32 v5, 48, v2
	v_mad_u64_u32 v[3:4], s[8:9], s34, v5, v[3:4]
	v_cmp_gt_u32_e32 vcc, v0, v5
	v_mov_b32_e32 v1, v4
	v_mad_u64_u32 v[12:13], s[8:9], s35, v5, v[1:2]
	v_cmp_gt_i32_e64 s[8:9], s88, v5
	s_and_b64 s[8:9], vcc, s[8:9]
	s_and_b64 s[8:9], s[2:3], s[8:9]
	v_mov_b32_e32 v4, v12
	s_xor_b64 s[8:9], s[8:9], -1
                                        ; implicit-def: $vgpr1
	s_and_saveexec_b64 s[12:13], s[8:9]
	s_xor_b64 s[8:9], exec, s[12:13]
	s_cbranch_execz .LBB120_52
; %bb.47:
	v_cmp_ne_u32_e32 vcc, v0, v5
	s_xor_b64 s[2:3], s[2:3], -1
	s_or_b64 s[12:13], s[2:3], vcc
	s_mov_b64 s[2:3], s[10:11]
	s_and_saveexec_b64 s[14:15], s[12:13]
	s_xor_b64 s[12:13], exec, s[14:15]
; %bb.48:
	v_or_b32_e32 v1, v5, v0
	v_cmp_gt_u32_e32 vcc, 64, v1
	s_andn2_b64 s[2:3], s[10:11], exec
	s_and_b64 s[14:15], vcc, exec
	s_or_b64 s[2:3], s[2:3], s[14:15]
                                        ; implicit-def: $vgpr3_vgpr4
; %bb.49:
	s_or_saveexec_b64 s[12:13], s[12:13]
	v_mov_b32_e32 v1, 0
	s_xor_b64 exec, exec, s[12:13]
	s_cbranch_execz .LBB120_51
; %bb.50:
	v_lshlrev_b64 v[3:4], 2, v[3:4]
	v_mov_b32_e32 v1, s90
	v_add_co_u32_e32 v3, vcc, s89, v3
	v_addc_co_u32_e32 v4, vcc, v1, v4, vcc
	flat_load_dword v1, v[3:4]
	s_or_b64 s[2:3], s[2:3], exec
	s_waitcnt vmcnt(0) lgkmcnt(0)
	v_div_scale_f32 v3, s[14:15], v1, v1, 1.0
	v_div_scale_f32 v4, vcc, 1.0, v1, 1.0
	v_rcp_f32_e32 v6, v3
	v_fma_f32 v12, -v3, v6, 1.0
	v_fmac_f32_e32 v6, v12, v6
	v_mul_f32_e32 v12, v4, v6
	v_fma_f32 v13, -v3, v12, v4
	v_fmac_f32_e32 v12, v13, v6
	v_fma_f32 v3, -v3, v12, v4
	v_div_fmas_f32 v3, v3, v6, v12
	v_div_fixup_f32 v1, v3, v1, 1.0
.LBB120_51:
	s_or_b64 exec, exec, s[12:13]
	s_andn2_b64 s[10:11], s[10:11], exec
	s_and_b64 s[2:3], s[2:3], exec
	s_or_b64 s[10:11], s[10:11], s[2:3]
                                        ; implicit-def: $vgpr3_vgpr4
.LBB120_52:
	s_or_saveexec_b64 s[2:3], s[8:9]
	v_add_u32_e32 v6, v5, v11
	v_lshl_add_u32 v5, v5, 6, v0
	s_xor_b64 exec, exec, s[2:3]
	s_cbranch_execz .LBB120_54
; %bb.53:
	v_lshlrev_b64 v[3:4], 2, v[3:4]
	v_mov_b32_e32 v1, s90
	v_add_co_u32_e32 v3, vcc, s89, v3
	v_addc_co_u32_e32 v4, vcc, v1, v4, vcc
	flat_load_dword v1, v[3:4]
	s_or_b64 s[10:11], s[10:11], exec
	s_waitcnt vmcnt(0) lgkmcnt(0)
	v_xor_b32_e32 v1, 0x80000000, v1
.LBB120_54:
	s_or_b64 exec, exec, s[2:3]
	v_cndmask_b32_e64 v5, v5, v6, s[0:1]
.LBB120_55:
	s_xor_b64 s[0:1], s[0:1], -1
	s_and_saveexec_b64 s[2:3], s[10:11]
; %bb.56:
	v_lshlrev_b32_e32 v3, 2, v5
	ds_write_b32 v3, v1
; %bb.57:
	s_or_b64 exec, exec, s[2:3]
	v_cndmask_b32_e64 v1, 0, 1, s[0:1]
	v_cmp_ne_u32_e64 s[46:47], 1, v1
	s_andn2_b64 vcc, exec, s[0:1]
	s_waitcnt vmcnt(0) lgkmcnt(0)
	s_barrier
	s_cbranch_vccnz .LBB120_1095
; %bb.58:
	v_or_b32_e32 v1, v0, v2
	v_cmp_eq_u32_e32 vcc, 0, v1
	s_and_saveexec_b64 s[0:1], vcc
	s_cbranch_execz .LBB120_60
; %bb.59:
	v_mov_b32_e32 v1, 0
	ds_read_b64 v[3:4], v1
	ds_read_b32 v5, v1 offset:260
	s_waitcnt lgkmcnt(0)
	v_mul_f32_e32 v3, v3, v5
	v_mul_f32_e32 v3, v4, v3
	ds_write2_b32 v1, v3, v3 offset0:1 offset1:64
.LBB120_60:
	s_or_b64 exec, exec, s[0:1]
	v_lshl_add_u32 v4, v2, 6, v0
	v_and_b32_e32 v11, 1, v0
	v_lshrrev_b32_e32 v5, 1, v4
	v_lshlrev_b32_e32 v1, 2, v11
	v_cmp_lt_u32_e64 s[8:9], 3, v4
	v_cmp_gt_u32_e64 s[2:3], 4, v4
	v_lshl_or_b32 v1, v5, 8, v1
	v_mov_b32_e32 v6, 0
	s_waitcnt lgkmcnt(0)
	s_barrier
	s_and_saveexec_b64 s[0:1], s[2:3]
	s_cbranch_execz .LBB120_64
; %bb.61:
	v_mul_u32_u24_e32 v3, 0x104, v5
	ds_read_b32 v12, v1 offset:8
	ds_read_b32 v3, v3
	v_mov_b32_e32 v6, 0
	v_cmp_gt_u32_e64 s[10:11], 2, v4
	s_waitcnt lgkmcnt(0)
	v_fma_f32 v3, v12, v3, 0
	s_and_saveexec_b64 s[12:13], s[10:11]
	s_cbranch_execz .LBB120_63
; %bb.62:
	v_lshlrev_b32_e32 v12, 2, v0
	ds_read_b32 v12, v12 offset:264
	ds_read_b32 v6, v6 offset:4
	s_waitcnt lgkmcnt(0)
	v_fmac_f32_e32 v3, v12, v6
.LBB120_63:
	s_or_b64 exec, exec, s[12:13]
	v_xor_b32_e32 v6, 0x80000000, v3
.LBB120_64:
                                        ; implicit-def: $vgpr33 : SGPR spill to VGPR lane
	v_writelane_b32 v33, s40, 0
	s_or_b64 exec, exec, s[0:1]
	v_mov_b32_e32 v3, 0x4000
	v_cmp_eq_u32_e64 s[10:11], 0, v11
	s_xor_b64 s[0:1], s[8:9], -1
	v_lshl_add_u32 v3, v5, 2, v3
	s_and_b64 s[40:41], s[10:11], s[0:1]
	s_and_saveexec_b64 s[8:9], s[40:41]
	s_cbranch_execz .LBB120_66
; %bb.65:
	v_mov_b32_e32 v12, 0
	ds_read_b32 v12, v12 offset:520
	s_waitcnt lgkmcnt(0)
	v_mul_f32_e32 v6, v6, v12
	ds_write_b32 v3, v6
.LBB120_66:
	s_or_b64 exec, exec, s[8:9]
	v_cmp_ne_u32_e64 s[8:9], 0, v11
	s_and_b64 s[38:39], s[8:9], s[0:1]
	s_waitcnt lgkmcnt(0)
	s_barrier
	s_and_saveexec_b64 s[0:1], s[38:39]
	s_cbranch_execz .LBB120_68
; %bb.67:
	v_mov_b32_e32 v11, 0
	ds_read_b32 v11, v11 offset:524
	ds_read_b32 v12, v3
	s_waitcnt lgkmcnt(0)
	v_fmac_f32_e32 v6, v11, v12
.LBB120_68:
	s_or_b64 exec, exec, s[0:1]
	s_barrier
	s_and_saveexec_b64 s[0:1], s[38:39]
	s_cbranch_execz .LBB120_70
; %bb.69:
	v_mov_b32_e32 v11, 0
	ds_read_b32 v11, v11 offset:780
	s_waitcnt lgkmcnt(0)
	v_mul_f32_e32 v6, v6, v11
	ds_write_b32 v3, v6
.LBB120_70:
	s_or_b64 exec, exec, s[0:1]
	s_waitcnt lgkmcnt(0)
	s_barrier
	s_barrier
	s_and_saveexec_b64 s[0:1], s[2:3]
; %bb.71:
	v_xor_b32_e32 v6, 0x80000000, v6
	ds_write_b32 v1, v6 offset:8
; %bb.72:
	s_or_b64 exec, exec, s[0:1]
	v_cmp_eq_u32_e64 s[12:13], 0, v2
	v_cmp_gt_u32_e64 s[8:9], 2, v0
	s_and_b64 s[42:43], s[12:13], s[8:9]
	s_waitcnt lgkmcnt(0)
	s_barrier
	s_barrier
	s_and_saveexec_b64 s[0:1], s[42:43]
	s_cbranch_execz .LBB120_74
; %bb.73:
	v_lshlrev_b32_e32 v6, 2, v0
	s_movk_i32 s8, 0xfc
	v_mad_u32_u24 v11, v0, s8, v6
	ds_read_b32 v12, v11 offset:8
	s_waitcnt lgkmcnt(0)
	ds_write_b32 v6, v12 offset:512
	ds_read_b32 v11, v11 offset:12
	s_waitcnt lgkmcnt(0)
	ds_write_b32 v6, v11 offset:768
.LBB120_74:
	s_or_b64 exec, exec, s[0:1]
	s_waitcnt lgkmcnt(0)
	s_barrier
	s_and_saveexec_b64 s[0:1], vcc
	s_cbranch_execz .LBB120_76
; %bb.75:
	v_mov_b32_e32 v6, 0
	ds_read_b64 v[11:12], v6 offset:520
	ds_read_b32 v13, v6 offset:780
	s_waitcnt lgkmcnt(0)
	v_mul_f32_e32 v11, v11, v13
	v_mul_f32_e32 v11, v12, v11
	ds_write2_b32 v6, v11, v11 offset0:131 offset1:194
.LBB120_76:
	s_or_b64 exec, exec, s[0:1]
	v_and_b32_e32 v13, 3, v0
	v_lshrrev_b32_e32 v14, 2, v4
	v_lshlrev_b32_e32 v11, 2, v13
	v_cmp_lt_u32_e64 s[8:9], 15, v4
	v_cmp_gt_u32_e64 s[18:19], 16, v4
	v_lshl_or_b32 v6, v14, 8, v11
	v_mov_b32_e32 v15, 0
	s_waitcnt lgkmcnt(0)
	s_barrier
	s_and_saveexec_b64 s[0:1], s[18:19]
	s_cbranch_execz .LBB120_82
; %bb.77:
	v_mul_u32_u24_e32 v15, 0x104, v14
	ds_read_b32 v12, v6 offset:16
	ds_read_b32 v16, v15
	v_cmp_gt_u32_e64 s[10:11], 12, v4
	s_waitcnt lgkmcnt(0)
	v_fma_f32 v12, v12, v16, 0
	s_and_saveexec_b64 s[14:15], s[10:11]
	s_cbranch_execnz .LBB120_1205
; %bb.78:
	s_or_b64 exec, exec, s[14:15]
	v_cmp_gt_u32_e64 s[10:11], 8, v4
	s_and_saveexec_b64 s[14:15], s[10:11]
	s_cbranch_execnz .LBB120_1206
.LBB120_79:
	s_or_b64 exec, exec, s[14:15]
	v_cmp_gt_u32_e64 s[10:11], 4, v4
	s_and_saveexec_b64 s[14:15], s[10:11]
	s_cbranch_execz .LBB120_81
.LBB120_80:
	v_lshlrev_b32_e32 v15, 2, v0
	v_mov_b32_e32 v16, 0
	ds_read_b32 v15, v15 offset:784
	ds_read_b32 v16, v16 offset:12
	s_waitcnt lgkmcnt(0)
	v_fmac_f32_e32 v12, v15, v16
.LBB120_81:
	s_or_b64 exec, exec, s[14:15]
	v_xor_b32_e32 v15, 0x80000000, v12
.LBB120_82:
	v_writelane_b32 v33, s46, 1
	v_writelane_b32 v33, s47, 2
	s_or_b64 exec, exec, s[0:1]
	v_mov_b32_e32 v12, 0x4000
	v_cmp_eq_u32_e64 s[10:11], 0, v13
	s_xor_b64 s[0:1], s[8:9], -1
	v_lshl_add_u32 v12, v14, 2, v12
	s_and_b64 s[46:47], s[10:11], s[0:1]
	s_and_saveexec_b64 s[8:9], s[46:47]
	s_cbranch_execz .LBB120_84
; %bb.83:
	v_mov_b32_e32 v16, 0
	ds_read_b32 v16, v16 offset:1040
	s_waitcnt lgkmcnt(0)
	v_mul_f32_e32 v15, v15, v16
	ds_write_b32 v12, v15
.LBB120_84:
	s_or_b64 exec, exec, s[8:9]
	v_cmp_ne_u32_e64 s[8:9], 0, v13
	s_and_b64 s[48:49], s[8:9], s[0:1]
	s_waitcnt lgkmcnt(0)
	s_barrier
	s_and_saveexec_b64 s[8:9], s[48:49]
	s_cbranch_execz .LBB120_86
; %bb.85:
	ds_read_b32 v16, v11 offset:1040
	ds_read_b32 v17, v12
	s_waitcnt lgkmcnt(0)
	v_fmac_f32_e32 v15, v16, v17
.LBB120_86:
	s_or_b64 exec, exec, s[8:9]
	v_cmp_eq_u32_e64 s[8:9], 1, v13
	s_and_b64 s[50:51], s[8:9], s[0:1]
	s_barrier
	s_and_saveexec_b64 s[8:9], s[50:51]
	s_cbranch_execz .LBB120_88
; %bb.87:
	v_mov_b32_e32 v16, 0
	ds_read_b32 v16, v16 offset:1300
	s_waitcnt lgkmcnt(0)
	v_mul_f32_e32 v15, v15, v16
	ds_write_b32 v12, v15
.LBB120_88:
	s_or_b64 exec, exec, s[8:9]
	v_cmp_lt_u32_e64 s[8:9], 1, v13
	s_and_b64 s[52:53], s[8:9], s[0:1]
	s_waitcnt lgkmcnt(0)
	s_barrier
	s_and_saveexec_b64 s[8:9], s[52:53]
	s_cbranch_execz .LBB120_90
; %bb.89:
	ds_read_b32 v16, v11 offset:1296
	ds_read_b32 v17, v12
	s_waitcnt lgkmcnt(0)
	v_fmac_f32_e32 v15, v16, v17
.LBB120_90:
	s_or_b64 exec, exec, s[8:9]
	v_cmp_eq_u32_e64 s[8:9], 2, v13
	s_and_b64 s[54:55], s[8:9], s[0:1]
	s_barrier
	s_and_saveexec_b64 s[8:9], s[54:55]
	s_cbranch_execz .LBB120_92
; %bb.91:
	v_mov_b32_e32 v16, 0
	ds_read_b32 v16, v16 offset:1560
	s_waitcnt lgkmcnt(0)
	v_mul_f32_e32 v15, v15, v16
	ds_write_b32 v12, v15
.LBB120_92:
	s_or_b64 exec, exec, s[8:9]
	v_cmp_eq_u32_e64 s[8:9], 3, v13
	s_and_b64 s[44:45], s[8:9], s[0:1]
	s_waitcnt lgkmcnt(0)
	s_barrier
	s_and_saveexec_b64 s[0:1], s[44:45]
	s_cbranch_execz .LBB120_94
; %bb.93:
	v_mov_b32_e32 v16, 0
	ds_read_b32 v16, v16 offset:1564
	ds_read_b32 v17, v12
	s_waitcnt lgkmcnt(0)
	v_fmac_f32_e32 v15, v16, v17
.LBB120_94:
	s_or_b64 exec, exec, s[0:1]
	s_barrier
	s_and_saveexec_b64 s[0:1], s[44:45]
	s_cbranch_execz .LBB120_96
; %bb.95:
	v_mov_b32_e32 v16, 0
	ds_read_b32 v16, v16 offset:1820
	s_waitcnt lgkmcnt(0)
	v_mul_f32_e32 v15, v15, v16
	ds_write_b32 v12, v15
.LBB120_96:
	s_or_b64 exec, exec, s[0:1]
	s_waitcnt lgkmcnt(0)
	s_barrier
	s_barrier
	s_and_saveexec_b64 s[0:1], s[18:19]
; %bb.97:
	v_xor_b32_e32 v15, 0x80000000, v15
	ds_write_b32 v6, v15 offset:16
; %bb.98:
	s_or_b64 exec, exec, s[0:1]
	v_cmp_gt_u32_e64 s[8:9], 4, v0
	s_and_b64 s[56:57], s[12:13], s[8:9]
	s_waitcnt lgkmcnt(0)
	s_barrier
	s_barrier
	s_and_saveexec_b64 s[0:1], s[56:57]
	s_cbranch_execz .LBB120_100
; %bb.99:
	v_lshlrev_b32_e32 v15, 8, v0
	ds_read_b32 v16, v15 offset:16
	s_movk_i32 s8, 0xff04
	v_mad_i32_i24 v17, v0, s8, v15
	s_waitcnt lgkmcnt(0)
	ds_write_b32 v17, v16 offset:1024
	ds_read_b32 v16, v15 offset:20
	s_waitcnt lgkmcnt(0)
	ds_write_b32 v17, v16 offset:1280
	ds_read_b32 v16, v15 offset:24
	;; [unrolled: 3-line block ×3, first 2 shown]
	s_waitcnt lgkmcnt(0)
	ds_write_b32 v17, v15 offset:1792
.LBB120_100:
	s_or_b64 exec, exec, s[0:1]
	s_waitcnt lgkmcnt(0)
	s_barrier
	s_and_saveexec_b64 s[0:1], vcc
	s_cbranch_execz .LBB120_102
; %bb.101:
	v_mov_b32_e32 v17, 0
	ds_read_b64 v[15:16], v17 offset:1040
	ds_read_b32 v17, v17 offset:1300
	s_movk_i32 s8, 0x400
	s_waitcnt lgkmcnt(0)
	v_mul_f32_e32 v15, v15, v17
	v_mul_f32_e32 v15, v16, v15
	v_add_u32_e64 v16, s8, 0
	ds_write2_b32 v16, v15, v15 offset0:5 offset1:68
.LBB120_102:
	s_or_b64 exec, exec, s[0:1]
	v_mov_b32_e32 v15, 0
	s_waitcnt lgkmcnt(0)
	s_barrier
	s_and_saveexec_b64 s[0:1], s[2:3]
	s_cbranch_execz .LBB120_106
; %bb.103:
	v_mul_u32_u24_e32 v15, 0x104, v5
	ds_read_b32 v17, v1 offset:1048
	ds_read_b32 v15, v15 offset:1040
	v_mov_b32_e32 v16, 0
	v_cmp_gt_u32_e64 s[8:9], 2, v4
	s_waitcnt lgkmcnt(0)
	v_fma_f32 v15, v17, v15, 0
	s_and_saveexec_b64 s[10:11], s[8:9]
	s_cbranch_execz .LBB120_105
; %bb.104:
	v_lshlrev_b32_e32 v17, 2, v0
	ds_read_b32 v17, v17 offset:1304
	ds_read_b32 v16, v16 offset:1044
	s_waitcnt lgkmcnt(0)
	v_fmac_f32_e32 v15, v17, v16
.LBB120_105:
	s_or_b64 exec, exec, s[10:11]
	v_xor_b32_e32 v15, 0x80000000, v15
.LBB120_106:
	s_or_b64 exec, exec, s[0:1]
	s_and_saveexec_b64 s[0:1], s[40:41]
	s_cbranch_execz .LBB120_108
; %bb.107:
	v_mov_b32_e32 v16, 0
	ds_read_b32 v16, v16 offset:1560
	s_waitcnt lgkmcnt(0)
	v_mul_f32_e32 v15, v15, v16
	ds_write_b32 v3, v15
.LBB120_108:
	s_or_b64 exec, exec, s[0:1]
	s_waitcnt lgkmcnt(0)
	s_barrier
	s_and_saveexec_b64 s[0:1], s[38:39]
	s_cbranch_execz .LBB120_110
; %bb.109:
	v_mov_b32_e32 v16, 0
	ds_read_b32 v16, v16 offset:1564
	ds_read_b32 v17, v3
	s_waitcnt lgkmcnt(0)
	v_fmac_f32_e32 v15, v16, v17
.LBB120_110:
	s_or_b64 exec, exec, s[0:1]
	s_barrier
	s_and_saveexec_b64 s[0:1], s[38:39]
	s_cbranch_execz .LBB120_112
; %bb.111:
	v_mov_b32_e32 v16, 0
	ds_read_b32 v16, v16 offset:1820
	s_waitcnt lgkmcnt(0)
	v_mul_f32_e32 v15, v15, v16
	ds_write_b32 v3, v15
.LBB120_112:
	s_or_b64 exec, exec, s[0:1]
	s_waitcnt lgkmcnt(0)
	s_barrier
	s_barrier
	s_and_saveexec_b64 s[0:1], s[2:3]
; %bb.113:
	v_xor_b32_e32 v15, 0x80000000, v15
	ds_write_b32 v1, v15 offset:1048
; %bb.114:
	s_or_b64 exec, exec, s[0:1]
	s_waitcnt lgkmcnt(0)
	s_barrier
	s_barrier
	s_and_saveexec_b64 s[0:1], s[42:43]
	s_cbranch_execz .LBB120_116
; %bb.115:
	v_lshlrev_b32_e32 v15, 2, v0
	s_movk_i32 s8, 0xfc
	v_mad_u32_u24 v16, v0, s8, v15
	ds_read_b32 v17, v16 offset:1048
	s_waitcnt lgkmcnt(0)
	ds_write_b32 v15, v17 offset:1552
	ds_read_b32 v16, v16 offset:1052
	s_waitcnt lgkmcnt(0)
	ds_write_b32 v15, v16 offset:1808
.LBB120_116:
	s_or_b64 exec, exec, s[0:1]
	s_waitcnt lgkmcnt(0)
	s_barrier
	s_and_saveexec_b64 s[0:1], vcc
	s_cbranch_execz .LBB120_118
; %bb.117:
	v_mov_b32_e32 v17, 0
	ds_read_b64 v[15:16], v17 offset:1560
	ds_read_b32 v17, v17 offset:1820
	s_movk_i32 s8, 0x400
	s_waitcnt lgkmcnt(0)
	v_mul_f32_e32 v15, v15, v17
	v_mul_f32_e32 v15, v16, v15
	v_add_u32_e64 v16, s8, 0
	ds_write2_b32 v16, v15, v15 offset0:135 offset1:198
.LBB120_118:
	s_or_b64 exec, exec, s[0:1]
	v_and_b32_e32 v18, 7, v0
	v_lshrrev_b32_e32 v19, 3, v4
	v_lshlrev_b32_e32 v16, 2, v18
	v_cmp_lt_u32_e64 s[10:11], 63, v4
	v_cmp_gt_u32_e64 s[8:9], 64, v4
	v_lshl_or_b32 v15, v19, 8, v16
	v_mov_b32_e32 v20, 0
	s_waitcnt lgkmcnt(0)
	s_barrier
	s_and_saveexec_b64 s[0:1], s[8:9]
	s_cbranch_execz .LBB120_128
; %bb.119:
	v_mul_u32_u24_e32 v20, 0x104, v19
	ds_read_b32 v17, v15 offset:32
	ds_read_b32 v21, v20
	v_cmp_gt_u32_e64 s[14:15], 56, v4
	s_waitcnt lgkmcnt(0)
	v_fma_f32 v17, v17, v21, 0
	s_and_saveexec_b64 s[16:17], s[14:15]
	s_cbranch_execnz .LBB120_1207
; %bb.120:
	s_or_b64 exec, exec, s[16:17]
	v_cmp_gt_u32_e64 s[14:15], 48, v4
	s_and_saveexec_b64 s[16:17], s[14:15]
	s_cbranch_execnz .LBB120_1208
.LBB120_121:
	s_or_b64 exec, exec, s[16:17]
	v_cmp_gt_u32_e64 s[14:15], 40, v4
	s_and_saveexec_b64 s[16:17], s[14:15]
	s_cbranch_execnz .LBB120_1209
.LBB120_122:
	s_or_b64 exec, exec, s[16:17]
	v_cmp_gt_u32_e64 s[14:15], 32, v4
	s_and_saveexec_b64 s[16:17], s[14:15]
	s_cbranch_execnz .LBB120_1210
.LBB120_123:
	s_or_b64 exec, exec, s[16:17]
	v_cmp_gt_u32_e64 s[14:15], 24, v4
	s_and_saveexec_b64 s[16:17], s[14:15]
	s_cbranch_execnz .LBB120_1211
.LBB120_124:
	s_or_b64 exec, exec, s[16:17]
	v_cmp_gt_u32_e64 s[14:15], 16, v4
	s_and_saveexec_b64 s[16:17], s[14:15]
	s_cbranch_execnz .LBB120_1212
.LBB120_125:
	s_or_b64 exec, exec, s[16:17]
	v_cmp_gt_u32_e64 s[14:15], 8, v4
	s_and_saveexec_b64 s[16:17], s[14:15]
	s_cbranch_execz .LBB120_127
.LBB120_126:
	v_lshlrev_b32_e32 v20, 2, v0
	v_mov_b32_e32 v21, 0
	ds_read_b32 v20, v20 offset:1824
	ds_read_b32 v21, v21 offset:28
	s_waitcnt lgkmcnt(0)
	v_fmac_f32_e32 v17, v20, v21
.LBB120_127:
	s_or_b64 exec, exec, s[16:17]
	v_xor_b32_e32 v20, 0x80000000, v17
.LBB120_128:
	s_or_b64 exec, exec, s[0:1]
	v_mov_b32_e32 v17, 0x4000
	v_cmp_eq_u32_e64 s[14:15], 0, v18
	s_xor_b64 s[0:1], s[10:11], -1
	v_lshl_add_u32 v17, v19, 2, v17
	s_and_b64 s[58:59], s[14:15], s[0:1]
	s_and_saveexec_b64 s[10:11], s[58:59]
	s_cbranch_execz .LBB120_130
; %bb.129:
	v_mov_b32_e32 v21, 0
	ds_read_b32 v21, v21 offset:2080
	s_waitcnt lgkmcnt(0)
	v_mul_f32_e32 v20, v20, v21
	ds_write_b32 v17, v20
.LBB120_130:
	s_or_b64 exec, exec, s[10:11]
	v_cmp_ne_u32_e64 s[10:11], 0, v18
	s_and_b64 s[60:61], s[10:11], s[0:1]
	s_waitcnt lgkmcnt(0)
	s_barrier
	s_and_saveexec_b64 s[10:11], s[60:61]
	s_cbranch_execz .LBB120_132
; %bb.131:
	ds_read_b32 v21, v16 offset:2080
	ds_read_b32 v22, v17
	s_waitcnt lgkmcnt(0)
	v_fmac_f32_e32 v20, v21, v22
.LBB120_132:
	s_or_b64 exec, exec, s[10:11]
	v_cmp_eq_u32_e64 s[10:11], 1, v18
	s_and_b64 s[62:63], s[10:11], s[0:1]
	s_barrier
	s_and_saveexec_b64 s[10:11], s[62:63]
	s_cbranch_execz .LBB120_134
; %bb.133:
	v_mov_b32_e32 v21, 0
	ds_read_b32 v21, v21 offset:2340
	s_waitcnt lgkmcnt(0)
	v_mul_f32_e32 v20, v20, v21
	ds_write_b32 v17, v20
.LBB120_134:
	s_or_b64 exec, exec, s[10:11]
	v_cmp_lt_u32_e64 s[10:11], 1, v18
	s_and_b64 s[64:65], s[10:11], s[0:1]
	s_waitcnt lgkmcnt(0)
	s_barrier
	s_and_saveexec_b64 s[10:11], s[64:65]
	s_cbranch_execz .LBB120_136
; %bb.135:
	ds_read_b32 v21, v16 offset:2336
	ds_read_b32 v22, v17
	s_waitcnt lgkmcnt(0)
	v_fmac_f32_e32 v20, v21, v22
.LBB120_136:
	s_or_b64 exec, exec, s[10:11]
	v_cmp_eq_u32_e64 s[10:11], 2, v18
	s_and_b64 s[68:69], s[10:11], s[0:1]
	s_barrier
	s_and_saveexec_b64 s[10:11], s[68:69]
	s_cbranch_execz .LBB120_138
; %bb.137:
	v_mov_b32_e32 v21, 0
	ds_read_b32 v21, v21 offset:2600
	s_waitcnt lgkmcnt(0)
	v_mul_f32_e32 v20, v20, v21
	ds_write_b32 v17, v20
.LBB120_138:
	s_or_b64 exec, exec, s[10:11]
	v_cmp_lt_u32_e64 s[10:11], 2, v18
	s_and_b64 s[70:71], s[10:11], s[0:1]
	s_waitcnt lgkmcnt(0)
	s_barrier
	s_and_saveexec_b64 s[10:11], s[70:71]
	s_cbranch_execz .LBB120_140
; %bb.139:
	ds_read_b32 v21, v16 offset:2592
	ds_read_b32 v22, v17
	s_waitcnt lgkmcnt(0)
	v_fmac_f32_e32 v20, v21, v22
.LBB120_140:
	s_or_b64 exec, exec, s[10:11]
	v_cmp_eq_u32_e64 s[10:11], 3, v18
	s_and_b64 s[72:73], s[10:11], s[0:1]
	s_barrier
	s_and_saveexec_b64 s[10:11], s[72:73]
	s_cbranch_execz .LBB120_142
; %bb.141:
	v_mov_b32_e32 v21, 0
	ds_read_b32 v21, v21 offset:2860
	s_waitcnt lgkmcnt(0)
	v_mul_f32_e32 v20, v20, v21
	ds_write_b32 v17, v20
.LBB120_142:
	s_or_b64 exec, exec, s[10:11]
	v_cmp_lt_u32_e64 s[10:11], 3, v18
	s_and_b64 s[74:75], s[10:11], s[0:1]
	s_waitcnt lgkmcnt(0)
	s_barrier
	s_and_saveexec_b64 s[10:11], s[74:75]
	s_cbranch_execz .LBB120_144
; %bb.143:
	ds_read_b32 v21, v16 offset:2848
	ds_read_b32 v22, v17
	s_waitcnt lgkmcnt(0)
	v_fmac_f32_e32 v20, v21, v22
.LBB120_144:
	s_or_b64 exec, exec, s[10:11]
	v_cmp_eq_u32_e64 s[10:11], 4, v18
	s_and_b64 s[76:77], s[10:11], s[0:1]
	s_barrier
	s_and_saveexec_b64 s[10:11], s[76:77]
	s_cbranch_execz .LBB120_146
; %bb.145:
	v_mov_b32_e32 v21, 0
	ds_read_b32 v21, v21 offset:3120
	s_waitcnt lgkmcnt(0)
	v_mul_f32_e32 v20, v20, v21
	ds_write_b32 v17, v20
.LBB120_146:
	s_or_b64 exec, exec, s[10:11]
	v_cmp_lt_u32_e64 s[10:11], 4, v18
	s_and_b64 s[78:79], s[10:11], s[0:1]
	s_waitcnt lgkmcnt(0)
	s_barrier
	s_and_saveexec_b64 s[10:11], s[78:79]
	s_cbranch_execz .LBB120_148
; %bb.147:
	ds_read_b32 v21, v16 offset:3104
	ds_read_b32 v22, v17
	s_waitcnt lgkmcnt(0)
	v_fmac_f32_e32 v20, v21, v22
.LBB120_148:
	s_or_b64 exec, exec, s[10:11]
	v_cmp_eq_u32_e64 s[10:11], 5, v18
	s_and_b64 s[80:81], s[10:11], s[0:1]
	s_barrier
	s_and_saveexec_b64 s[10:11], s[80:81]
	s_cbranch_execz .LBB120_150
; %bb.149:
	v_mov_b32_e32 v21, 0
	ds_read_b32 v21, v21 offset:3380
	s_waitcnt lgkmcnt(0)
	v_mul_f32_e32 v20, v20, v21
	ds_write_b32 v17, v20
.LBB120_150:
	s_or_b64 exec, exec, s[10:11]
	v_cmp_lt_u32_e64 s[10:11], 5, v18
	s_and_b64 s[82:83], s[10:11], s[0:1]
	s_waitcnt lgkmcnt(0)
	s_barrier
	s_and_saveexec_b64 s[10:11], s[82:83]
	s_cbranch_execz .LBB120_152
; %bb.151:
	ds_read_b32 v21, v16 offset:3360
	ds_read_b32 v22, v17
	s_waitcnt lgkmcnt(0)
	v_fmac_f32_e32 v20, v21, v22
.LBB120_152:
	s_or_b64 exec, exec, s[10:11]
	v_cmp_eq_u32_e64 s[10:11], 6, v18
	s_and_b64 s[84:85], s[10:11], s[0:1]
	s_barrier
	s_and_saveexec_b64 s[10:11], s[84:85]
	s_cbranch_execz .LBB120_154
; %bb.153:
	v_mov_b32_e32 v21, 0
	ds_read_b32 v21, v21 offset:3640
	s_waitcnt lgkmcnt(0)
	v_mul_f32_e32 v20, v20, v21
	ds_write_b32 v17, v20
.LBB120_154:
	s_or_b64 exec, exec, s[10:11]
	v_cmp_eq_u32_e64 s[10:11], 7, v18
	s_and_b64 s[66:67], s[10:11], s[0:1]
	s_waitcnt lgkmcnt(0)
	s_barrier
	s_and_saveexec_b64 s[0:1], s[66:67]
	s_cbranch_execz .LBB120_156
; %bb.155:
	v_mov_b32_e32 v21, 0
	ds_read_b32 v21, v21 offset:3644
	ds_read_b32 v22, v17
	s_waitcnt lgkmcnt(0)
	v_fmac_f32_e32 v20, v21, v22
.LBB120_156:
	s_or_b64 exec, exec, s[0:1]
	s_barrier
	s_and_saveexec_b64 s[0:1], s[66:67]
	s_cbranch_execz .LBB120_158
; %bb.157:
	v_mov_b32_e32 v21, 0
	ds_read_b32 v21, v21 offset:3900
	s_waitcnt lgkmcnt(0)
	v_mul_f32_e32 v20, v20, v21
	ds_write_b32 v17, v20
.LBB120_158:
	s_or_b64 exec, exec, s[0:1]
	s_waitcnt lgkmcnt(0)
	s_barrier
	s_barrier
	s_and_saveexec_b64 s[0:1], s[8:9]
; %bb.159:
	v_xor_b32_e32 v20, 0x80000000, v20
	ds_write_b32 v15, v20 offset:32
; %bb.160:
	s_or_b64 exec, exec, s[0:1]
	v_cmp_gt_u32_e64 s[10:11], 8, v0
	s_and_b64 s[86:87], s[12:13], s[10:11]
	s_waitcnt lgkmcnt(0)
	s_barrier
	s_barrier
	s_and_saveexec_b64 s[0:1], s[86:87]
	s_cbranch_execz .LBB120_162
; %bb.161:
	v_lshlrev_b32_e32 v20, 8, v0
	ds_read_b32 v21, v20 offset:32
	s_movk_i32 s10, 0xff04
	v_mad_i32_i24 v22, v0, s10, v20
	s_waitcnt lgkmcnt(0)
	ds_write_b32 v22, v21 offset:2048
	ds_read_b32 v21, v20 offset:36
	s_waitcnt lgkmcnt(0)
	ds_write_b32 v22, v21 offset:2304
	ds_read_b32 v21, v20 offset:40
	;; [unrolled: 3-line block ×7, first 2 shown]
	s_waitcnt lgkmcnt(0)
	ds_write_b32 v22, v20 offset:3840
.LBB120_162:
	s_or_b64 exec, exec, s[0:1]
	s_waitcnt lgkmcnt(0)
	s_barrier
	s_and_saveexec_b64 s[0:1], vcc
	s_cbranch_execz .LBB120_164
; %bb.163:
	v_mov_b32_e32 v22, 0
	ds_read_b64 v[20:21], v22 offset:2080
	ds_read_b32 v22, v22 offset:2340
	s_movk_i32 s10, 0x800
	s_waitcnt lgkmcnt(0)
	v_mul_f32_e32 v20, v20, v22
	v_mul_f32_e32 v20, v21, v20
	v_add_u32_e64 v21, s10, 0
	ds_write2_b32 v21, v20, v20 offset0:9 offset1:72
.LBB120_164:
	s_or_b64 exec, exec, s[0:1]
	v_mov_b32_e32 v20, 0
	s_waitcnt lgkmcnt(0)
	s_barrier
	s_and_saveexec_b64 s[0:1], s[2:3]
	s_cbranch_execz .LBB120_168
; %bb.165:
	v_mul_u32_u24_e32 v20, 0x104, v5
	ds_read_b32 v22, v1 offset:2088
	ds_read_b32 v20, v20 offset:2080
	v_mov_b32_e32 v21, 0
	v_cmp_gt_u32_e64 s[10:11], 2, v4
	s_waitcnt lgkmcnt(0)
	v_fma_f32 v20, v22, v20, 0
	s_and_saveexec_b64 s[14:15], s[10:11]
	s_cbranch_execz .LBB120_167
; %bb.166:
	v_lshlrev_b32_e32 v22, 2, v0
	ds_read_b32 v22, v22 offset:2344
	ds_read_b32 v21, v21 offset:2084
	s_waitcnt lgkmcnt(0)
	v_fmac_f32_e32 v20, v22, v21
.LBB120_167:
	s_or_b64 exec, exec, s[14:15]
	v_xor_b32_e32 v20, 0x80000000, v20
.LBB120_168:
	s_or_b64 exec, exec, s[0:1]
	s_and_saveexec_b64 s[0:1], s[40:41]
	s_cbranch_execz .LBB120_170
; %bb.169:
	v_mov_b32_e32 v21, 0
	ds_read_b32 v21, v21 offset:2600
	s_waitcnt lgkmcnt(0)
	v_mul_f32_e32 v20, v20, v21
	ds_write_b32 v3, v20
.LBB120_170:
	s_or_b64 exec, exec, s[0:1]
	s_waitcnt lgkmcnt(0)
	s_barrier
	s_and_saveexec_b64 s[0:1], s[38:39]
	s_cbranch_execz .LBB120_172
; %bb.171:
	v_mov_b32_e32 v21, 0
	ds_read_b32 v21, v21 offset:2604
	ds_read_b32 v22, v3
	s_waitcnt lgkmcnt(0)
	v_fmac_f32_e32 v20, v21, v22
.LBB120_172:
	s_or_b64 exec, exec, s[0:1]
	s_barrier
	s_and_saveexec_b64 s[0:1], s[38:39]
	s_cbranch_execz .LBB120_174
; %bb.173:
	v_mov_b32_e32 v21, 0
	ds_read_b32 v21, v21 offset:2860
	s_waitcnt lgkmcnt(0)
	v_mul_f32_e32 v20, v20, v21
	ds_write_b32 v3, v20
.LBB120_174:
	s_or_b64 exec, exec, s[0:1]
	s_waitcnt lgkmcnt(0)
	s_barrier
	s_barrier
	s_and_saveexec_b64 s[0:1], s[2:3]
; %bb.175:
	v_xor_b32_e32 v20, 0x80000000, v20
	ds_write_b32 v1, v20 offset:2088
; %bb.176:
	s_or_b64 exec, exec, s[0:1]
	s_waitcnt lgkmcnt(0)
	s_barrier
	s_barrier
	s_and_saveexec_b64 s[0:1], s[42:43]
	s_cbranch_execz .LBB120_178
; %bb.177:
	v_lshlrev_b32_e32 v20, 2, v0
	s_movk_i32 s10, 0xfc
	v_mad_u32_u24 v21, v0, s10, v20
	ds_read_b32 v22, v21 offset:2088
	s_waitcnt lgkmcnt(0)
	ds_write_b32 v20, v22 offset:2592
	ds_read_b32 v21, v21 offset:2092
	s_waitcnt lgkmcnt(0)
	ds_write_b32 v20, v21 offset:2848
.LBB120_178:
	s_or_b64 exec, exec, s[0:1]
	s_waitcnt lgkmcnt(0)
	s_barrier
	s_and_saveexec_b64 s[0:1], vcc
	s_cbranch_execz .LBB120_180
; %bb.179:
	v_mov_b32_e32 v22, 0
	ds_read_b64 v[20:21], v22 offset:2600
	ds_read_b32 v22, v22 offset:2860
	s_movk_i32 s10, 0x800
	s_waitcnt lgkmcnt(0)
	v_mul_f32_e32 v20, v20, v22
	v_mul_f32_e32 v20, v21, v20
	v_add_u32_e64 v21, s10, 0
	ds_write2_b32 v21, v20, v20 offset0:139 offset1:202
.LBB120_180:
	s_or_b64 exec, exec, s[0:1]
	v_mov_b32_e32 v20, 0
	s_waitcnt lgkmcnt(0)
	s_barrier
	s_and_saveexec_b64 s[0:1], s[18:19]
	s_cbranch_execz .LBB120_186
; %bb.181:
	v_mul_u32_u24_e32 v21, 0x104, v14
	ds_read_b32 v20, v6 offset:2096
	ds_read_b32 v22, v21 offset:2080
	v_cmp_gt_u32_e64 s[10:11], 12, v4
	s_waitcnt lgkmcnt(0)
	v_fma_f32 v20, v20, v22, 0
	s_and_saveexec_b64 s[14:15], s[10:11]
	s_cbranch_execnz .LBB120_1213
; %bb.182:
	s_or_b64 exec, exec, s[14:15]
	v_cmp_gt_u32_e64 s[10:11], 8, v4
	s_and_saveexec_b64 s[14:15], s[10:11]
	s_cbranch_execnz .LBB120_1214
.LBB120_183:
	s_or_b64 exec, exec, s[14:15]
	v_cmp_gt_u32_e64 s[10:11], 4, v4
	s_and_saveexec_b64 s[14:15], s[10:11]
	s_cbranch_execz .LBB120_185
.LBB120_184:
	v_lshlrev_b32_e32 v21, 2, v0
	v_mov_b32_e32 v22, 0
	ds_read_b32 v21, v21 offset:2864
	ds_read_b32 v22, v22 offset:2092
	s_waitcnt lgkmcnt(0)
	v_fmac_f32_e32 v20, v21, v22
.LBB120_185:
	s_or_b64 exec, exec, s[14:15]
	v_xor_b32_e32 v20, 0x80000000, v20
.LBB120_186:
	s_or_b64 exec, exec, s[0:1]
	s_and_saveexec_b64 s[0:1], s[46:47]
	s_cbranch_execz .LBB120_188
; %bb.187:
	v_mov_b32_e32 v21, 0
	ds_read_b32 v21, v21 offset:3120
	s_waitcnt lgkmcnt(0)
	v_mul_f32_e32 v20, v20, v21
	ds_write_b32 v12, v20
.LBB120_188:
	s_or_b64 exec, exec, s[0:1]
	s_waitcnt lgkmcnt(0)
	s_barrier
	s_and_saveexec_b64 s[0:1], s[48:49]
	s_cbranch_execz .LBB120_190
; %bb.189:
	ds_read_b32 v21, v11 offset:3120
	ds_read_b32 v22, v12
	s_waitcnt lgkmcnt(0)
	v_fmac_f32_e32 v20, v21, v22
.LBB120_190:
	s_or_b64 exec, exec, s[0:1]
	s_barrier
	s_and_saveexec_b64 s[0:1], s[50:51]
	s_cbranch_execz .LBB120_192
; %bb.191:
	v_mov_b32_e32 v21, 0
	ds_read_b32 v21, v21 offset:3380
	s_waitcnt lgkmcnt(0)
	v_mul_f32_e32 v20, v20, v21
	ds_write_b32 v12, v20
.LBB120_192:
	s_or_b64 exec, exec, s[0:1]
	s_waitcnt lgkmcnt(0)
	s_barrier
	s_and_saveexec_b64 s[0:1], s[52:53]
	s_cbranch_execz .LBB120_194
; %bb.193:
	ds_read_b32 v21, v11 offset:3376
	ds_read_b32 v22, v12
	s_waitcnt lgkmcnt(0)
	v_fmac_f32_e32 v20, v21, v22
.LBB120_194:
	s_or_b64 exec, exec, s[0:1]
	s_barrier
	s_and_saveexec_b64 s[0:1], s[54:55]
	s_cbranch_execz .LBB120_196
; %bb.195:
	v_mov_b32_e32 v21, 0
	ds_read_b32 v21, v21 offset:3640
	s_waitcnt lgkmcnt(0)
	v_mul_f32_e32 v20, v20, v21
	ds_write_b32 v12, v20
.LBB120_196:
	s_or_b64 exec, exec, s[0:1]
	s_waitcnt lgkmcnt(0)
	s_barrier
	s_and_saveexec_b64 s[0:1], s[44:45]
	s_cbranch_execz .LBB120_198
; %bb.197:
	v_mov_b32_e32 v21, 0
	ds_read_b32 v21, v21 offset:3644
	ds_read_b32 v22, v12
	s_waitcnt lgkmcnt(0)
	v_fmac_f32_e32 v20, v21, v22
.LBB120_198:
	s_or_b64 exec, exec, s[0:1]
	s_barrier
	s_and_saveexec_b64 s[0:1], s[44:45]
	s_cbranch_execz .LBB120_200
; %bb.199:
	v_mov_b32_e32 v21, 0
	ds_read_b32 v21, v21 offset:3900
	s_waitcnt lgkmcnt(0)
	v_mul_f32_e32 v20, v20, v21
	ds_write_b32 v12, v20
.LBB120_200:
	s_or_b64 exec, exec, s[0:1]
	s_waitcnt lgkmcnt(0)
	s_barrier
	s_barrier
	s_and_saveexec_b64 s[0:1], s[18:19]
; %bb.201:
	v_xor_b32_e32 v20, 0x80000000, v20
	ds_write_b32 v6, v20 offset:2096
; %bb.202:
	s_or_b64 exec, exec, s[0:1]
	s_waitcnt lgkmcnt(0)
	s_barrier
	s_barrier
	s_and_saveexec_b64 s[0:1], s[56:57]
	s_cbranch_execz .LBB120_204
; %bb.203:
	v_lshlrev_b32_e32 v20, 8, v0
	ds_read_b32 v21, v20 offset:2096
	s_movk_i32 s10, 0xff04
	v_mad_i32_i24 v22, v0, s10, v20
	s_waitcnt lgkmcnt(0)
	ds_write_b32 v22, v21 offset:3104
	ds_read_b32 v21, v20 offset:2100
	s_waitcnt lgkmcnt(0)
	ds_write_b32 v22, v21 offset:3360
	ds_read_b32 v21, v20 offset:2104
	s_waitcnt lgkmcnt(0)
	ds_write_b32 v22, v21 offset:3616
	ds_read_b32 v20, v20 offset:2108
	s_waitcnt lgkmcnt(0)
	ds_write_b32 v22, v20 offset:3872
.LBB120_204:
	s_or_b64 exec, exec, s[0:1]
	s_waitcnt lgkmcnt(0)
	s_barrier
	s_and_saveexec_b64 s[0:1], vcc
	s_cbranch_execz .LBB120_206
; %bb.205:
	v_mov_b32_e32 v22, 0
	ds_read_b64 v[20:21], v22 offset:3120
	ds_read_b32 v22, v22 offset:3380
	s_movk_i32 s10, 0xc00
	s_waitcnt lgkmcnt(0)
	v_mul_f32_e32 v20, v20, v22
	v_mul_f32_e32 v20, v21, v20
	v_add_u32_e64 v21, s10, 0
	ds_write2_b32 v21, v20, v20 offset0:13 offset1:76
.LBB120_206:
	s_or_b64 exec, exec, s[0:1]
	v_mov_b32_e32 v20, 0
	s_waitcnt lgkmcnt(0)
	s_barrier
	s_and_saveexec_b64 s[0:1], s[2:3]
	s_cbranch_execz .LBB120_210
; %bb.207:
	v_mul_u32_u24_e32 v20, 0x104, v5
	ds_read_b32 v22, v1 offset:3128
	ds_read_b32 v20, v20 offset:3120
	v_mov_b32_e32 v21, 0
	v_cmp_gt_u32_e64 s[10:11], 2, v4
	s_waitcnt lgkmcnt(0)
	v_fma_f32 v20, v22, v20, 0
	s_and_saveexec_b64 s[14:15], s[10:11]
	s_cbranch_execz .LBB120_209
; %bb.208:
	v_lshlrev_b32_e32 v22, 2, v0
	ds_read_b32 v22, v22 offset:3384
	ds_read_b32 v21, v21 offset:3124
	s_waitcnt lgkmcnt(0)
	v_fmac_f32_e32 v20, v22, v21
.LBB120_209:
	s_or_b64 exec, exec, s[14:15]
	v_xor_b32_e32 v20, 0x80000000, v20
.LBB120_210:
	s_or_b64 exec, exec, s[0:1]
	s_and_saveexec_b64 s[0:1], s[40:41]
	s_cbranch_execz .LBB120_212
; %bb.211:
	v_mov_b32_e32 v21, 0
	ds_read_b32 v21, v21 offset:3640
	s_waitcnt lgkmcnt(0)
	v_mul_f32_e32 v20, v20, v21
	ds_write_b32 v3, v20
.LBB120_212:
	s_or_b64 exec, exec, s[0:1]
	s_waitcnt lgkmcnt(0)
	s_barrier
	s_and_saveexec_b64 s[0:1], s[38:39]
	s_cbranch_execz .LBB120_214
; %bb.213:
	v_mov_b32_e32 v21, 0
	ds_read_b32 v21, v21 offset:3644
	ds_read_b32 v22, v3
	s_waitcnt lgkmcnt(0)
	v_fmac_f32_e32 v20, v21, v22
.LBB120_214:
	s_or_b64 exec, exec, s[0:1]
	s_barrier
	s_and_saveexec_b64 s[0:1], s[38:39]
	s_cbranch_execz .LBB120_216
; %bb.215:
	v_mov_b32_e32 v21, 0
	ds_read_b32 v21, v21 offset:3900
	s_waitcnt lgkmcnt(0)
	v_mul_f32_e32 v20, v20, v21
	ds_write_b32 v3, v20
.LBB120_216:
	s_or_b64 exec, exec, s[0:1]
	s_waitcnt lgkmcnt(0)
	s_barrier
	s_barrier
	s_and_saveexec_b64 s[0:1], s[2:3]
; %bb.217:
	v_xor_b32_e32 v20, 0x80000000, v20
	ds_write_b32 v1, v20 offset:3128
; %bb.218:
	s_or_b64 exec, exec, s[0:1]
	s_waitcnt lgkmcnt(0)
	s_barrier
	s_barrier
	s_and_saveexec_b64 s[0:1], s[42:43]
	s_cbranch_execz .LBB120_220
; %bb.219:
	v_lshlrev_b32_e32 v20, 2, v0
	s_movk_i32 s10, 0xfc
	v_mad_u32_u24 v21, v0, s10, v20
	ds_read_b32 v22, v21 offset:3128
	s_waitcnt lgkmcnt(0)
	ds_write_b32 v20, v22 offset:3632
	ds_read_b32 v21, v21 offset:3132
	s_waitcnt lgkmcnt(0)
	ds_write_b32 v20, v21 offset:3888
.LBB120_220:
	s_or_b64 exec, exec, s[0:1]
	s_waitcnt lgkmcnt(0)
	s_barrier
	s_and_saveexec_b64 s[0:1], vcc
	s_cbranch_execz .LBB120_222
; %bb.221:
	v_mov_b32_e32 v22, 0
	ds_read_b64 v[20:21], v22 offset:3640
	ds_read_b32 v22, v22 offset:3900
	s_movk_i32 s10, 0xc00
	s_waitcnt lgkmcnt(0)
	v_mul_f32_e32 v20, v20, v22
	v_mul_f32_e32 v20, v21, v20
	v_add_u32_e64 v21, s10, 0
	ds_write2_b32 v21, v20, v20 offset0:143 offset1:206
.LBB120_222:
	s_or_b64 exec, exec, s[0:1]
	v_lshrrev_b32_e32 v24, 4, v4
	v_and_b32_e32 v21, 15, v0
	s_movk_i32 s0, 0xff
	v_lshlrev_b32_e32 v23, 6, v24
	v_cmp_lt_u32_e64 s[14:15], s0, v4
	s_movk_i32 s0, 0x100
	v_or_b32_e32 v20, v23, v21
	v_cmp_gt_u32_e64 s[10:11], s0, v4
	v_lshlrev_b32_e32 v20, 2, v20
	v_mov_b32_e32 v25, 0
	s_waitcnt lgkmcnt(0)
	s_barrier
	s_and_saveexec_b64 s[0:1], s[10:11]
	s_cbranch_execz .LBB120_250
; %bb.223:
	v_mul_u32_u24_e32 v25, 0x104, v24
	ds_read_b32 v22, v20 offset:64
	ds_read_b32 v26, v25
	s_movk_i32 s16, 0xf0
	v_cmp_gt_u32_e64 s[16:17], s16, v4
	s_waitcnt lgkmcnt(0)
	v_fma_f32 v22, v22, v26, 0
	s_and_saveexec_b64 s[20:21], s[16:17]
	s_cbranch_execz .LBB120_225
; %bb.224:
	v_lshlrev_b32_e32 v26, 2, v24
	v_sub_u32_e32 v26, v25, v26
	v_lshl_add_u32 v26, v21, 2, v26
	ds_read_b32 v26, v26 offset:320
	ds_read_b32 v27, v25 offset:4
	s_waitcnt lgkmcnt(0)
	v_fmac_f32_e32 v22, v26, v27
.LBB120_225:
	s_or_b64 exec, exec, s[20:21]
	s_movk_i32 s16, 0xe0
	v_cmp_gt_u32_e64 s[16:17], s16, v4
	s_and_saveexec_b64 s[20:21], s[16:17]
	s_cbranch_execz .LBB120_227
; %bb.226:
	v_lshlrev_b32_e32 v26, 2, v24
	v_sub_u32_e32 v26, v25, v26
	v_lshl_add_u32 v26, v21, 2, v26
	ds_read_b32 v26, v26 offset:576
	ds_read_b32 v27, v25 offset:8
	s_waitcnt lgkmcnt(0)
	v_fmac_f32_e32 v22, v26, v27
.LBB120_227:
	s_or_b64 exec, exec, s[20:21]
	s_movk_i32 s16, 0xd0
	v_cmp_gt_u32_e64 s[16:17], s16, v4
	;; [unrolled: 14-line block ×7, first 2 shown]
	s_and_saveexec_b64 s[20:21], s[16:17]
	s_cbranch_execz .LBB120_239
; %bb.238:
	ds_read_b32 v26, v20 offset:2112
	ds_read_b32 v27, v25 offset:32
	s_waitcnt lgkmcnt(0)
	v_fmac_f32_e32 v22, v26, v27
.LBB120_239:
	s_or_b64 exec, exec, s[20:21]
	s_movk_i32 s16, 0x70
	v_cmp_gt_u32_e64 s[16:17], s16, v4
	s_and_saveexec_b64 s[20:21], s[16:17]
	s_cbranch_execz .LBB120_241
; %bb.240:
	v_lshlrev_b32_e32 v26, 2, v24
	v_sub_u32_e32 v26, v25, v26
	v_lshl_add_u32 v26, v21, 2, v26
	ds_read_b32 v26, v26 offset:2368
	ds_read_b32 v27, v25 offset:36
	s_waitcnt lgkmcnt(0)
	v_fmac_f32_e32 v22, v26, v27
.LBB120_241:
	s_or_b64 exec, exec, s[20:21]
	s_movk_i32 s16, 0x60
	v_cmp_gt_u32_e64 s[16:17], s16, v4
	s_and_saveexec_b64 s[20:21], s[16:17]
	s_cbranch_execz .LBB120_243
; %bb.242:
	v_lshlrev_b32_e32 v26, 2, v21
	v_lshl_add_u32 v26, v23, 2, v26
	ds_read_b32 v26, v26 offset:2624
	ds_read_b32 v27, v25 offset:40
	s_waitcnt lgkmcnt(0)
	v_fmac_f32_e32 v22, v26, v27
.LBB120_243:
	s_or_b64 exec, exec, s[20:21]
	s_movk_i32 s16, 0x50
	v_cmp_gt_u32_e64 s[16:17], s16, v4
	s_and_saveexec_b64 s[20:21], s[16:17]
	s_cbranch_execnz .LBB120_1215
; %bb.244:
	s_or_b64 exec, exec, s[20:21]
	v_cmp_gt_u32_e64 s[16:17], 64, v4
	s_and_saveexec_b64 s[20:21], s[16:17]
	s_cbranch_execnz .LBB120_1216
.LBB120_245:
	s_or_b64 exec, exec, s[20:21]
	v_cmp_gt_u32_e64 s[16:17], 48, v4
	s_and_saveexec_b64 s[20:21], s[16:17]
	s_cbranch_execnz .LBB120_1217
.LBB120_246:
	s_or_b64 exec, exec, s[20:21]
	v_cmp_gt_u32_e64 s[16:17], 32, v4
	s_and_saveexec_b64 s[20:21], s[16:17]
	s_cbranch_execnz .LBB120_1218
.LBB120_247:
	s_or_b64 exec, exec, s[20:21]
	v_cmp_gt_u32_e64 s[16:17], 16, v4
	s_and_saveexec_b64 s[20:21], s[16:17]
	s_cbranch_execz .LBB120_249
.LBB120_248:
	v_lshlrev_b32_e32 v25, 2, v0
	v_mov_b32_e32 v26, 0
	ds_read_b32 v25, v25 offset:3904
	ds_read_b32 v26, v26 offset:60
	s_waitcnt lgkmcnt(0)
	v_fmac_f32_e32 v22, v25, v26
.LBB120_249:
	s_or_b64 exec, exec, s[20:21]
	v_xor_b32_e32 v25, 0x80000000, v22
.LBB120_250:
	s_or_b64 exec, exec, s[0:1]
	v_mov_b32_e32 v22, 0x4000
	v_lshl_add_u32 v22, v24, 2, v22
	v_cmp_eq_u32_e64 s[16:17], 0, v21
	s_xor_b64 s[20:21], s[14:15], -1
	s_and_b64 s[14:15], s[16:17], s[20:21]
	s_mov_b64 s[0:1], exec
	v_writelane_b32 v33, s14, 3
	v_writelane_b32 v33, s15, 4
	s_and_b64 s[14:15], s[0:1], s[14:15]
	s_mov_b64 exec, s[14:15]
	s_cbranch_execz .LBB120_252
; %bb.251:
	v_mov_b32_e32 v26, 0
	ds_read_b32 v26, v26 offset:4160
	s_waitcnt lgkmcnt(0)
	v_mul_f32_e32 v25, v25, v26
	ds_write_b32 v22, v25
.LBB120_252:
	s_or_b64 exec, exec, s[0:1]
	v_cmp_ne_u32_e64 s[14:15], 0, v21
	s_waitcnt lgkmcnt(0)
	s_barrier
	s_and_b64 s[14:15], s[14:15], s[20:21]
	s_mov_b64 s[0:1], exec
	v_writelane_b32 v33, s14, 5
	v_writelane_b32 v33, s15, 6
	s_and_b64 s[14:15], s[0:1], s[14:15]
	s_mov_b64 exec, s[14:15]
	s_cbranch_execz .LBB120_254
; %bb.253:
	v_lshlrev_b32_e32 v26, 2, v21
	ds_read_b32 v26, v26 offset:4160
	ds_read_b32 v27, v22
	s_waitcnt lgkmcnt(0)
	v_fmac_f32_e32 v25, v26, v27
.LBB120_254:
	s_or_b64 exec, exec, s[0:1]
	v_cmp_eq_u32_e64 s[14:15], 1, v21
	s_barrier
	s_and_b64 s[14:15], s[14:15], s[20:21]
	s_mov_b64 s[0:1], exec
	v_writelane_b32 v33, s14, 7
	v_writelane_b32 v33, s15, 8
	s_and_b64 s[14:15], s[0:1], s[14:15]
	s_mov_b64 exec, s[14:15]
	s_cbranch_execz .LBB120_256
; %bb.255:
	v_mov_b32_e32 v26, 0
	ds_read_b32 v26, v26 offset:4420
	s_waitcnt lgkmcnt(0)
	v_mul_f32_e32 v25, v25, v26
	ds_write_b32 v22, v25
.LBB120_256:
	s_or_b64 exec, exec, s[0:1]
	v_cmp_lt_u32_e64 s[14:15], 1, v21
	s_waitcnt lgkmcnt(0)
	s_barrier
	s_and_b64 s[14:15], s[14:15], s[20:21]
	s_mov_b64 s[0:1], exec
	v_writelane_b32 v33, s14, 9
	v_writelane_b32 v33, s15, 10
	s_and_b64 s[14:15], s[0:1], s[14:15]
	s_mov_b64 exec, s[14:15]
	s_cbranch_execz .LBB120_258
; %bb.257:
	v_lshlrev_b32_e32 v26, 2, v21
	ds_read_b32 v26, v26 offset:4416
	ds_read_b32 v27, v22
	s_waitcnt lgkmcnt(0)
	v_fmac_f32_e32 v25, v26, v27
.LBB120_258:
	s_or_b64 exec, exec, s[0:1]
	v_cmp_eq_u32_e64 s[14:15], 2, v21
	s_barrier
	s_and_b64 s[14:15], s[14:15], s[20:21]
	s_mov_b64 s[0:1], exec
	v_writelane_b32 v33, s14, 11
	v_writelane_b32 v33, s15, 12
	s_and_b64 s[14:15], s[0:1], s[14:15]
	s_mov_b64 exec, s[14:15]
	s_cbranch_execz .LBB120_260
; %bb.259:
	v_mov_b32_e32 v26, 0
	ds_read_b32 v26, v26 offset:4680
	s_waitcnt lgkmcnt(0)
	v_mul_f32_e32 v25, v25, v26
	ds_write_b32 v22, v25
.LBB120_260:
	s_or_b64 exec, exec, s[0:1]
	v_cmp_lt_u32_e64 s[14:15], 2, v21
	;; [unrolled: 35-line block ×13, first 2 shown]
	s_and_b64 s[0:1], s[14:15], s[20:21]
	s_waitcnt lgkmcnt(0)
	s_barrier
	s_and_saveexec_b64 s[14:15], s[0:1]
	s_cbranch_execz .LBB120_306
; %bb.305:
	v_lshlrev_b32_e32 v26, 2, v21
	ds_read_b32 v26, v26 offset:7488
	ds_read_b32 v27, v22
	s_waitcnt lgkmcnt(0)
	v_fmac_f32_e32 v25, v26, v27
.LBB120_306:
	s_or_b64 exec, exec, s[14:15]
	v_cmp_eq_u32_e64 s[14:15], 14, v21
	s_barrier
	s_and_b64 s[16:17], s[14:15], s[20:21]
	s_mov_b64 s[14:15], exec
	v_writelane_b32 v33, s16, 57
	v_writelane_b32 v33, s17, 58
	s_and_b64 s[16:17], s[14:15], s[16:17]
	s_mov_b64 exec, s[16:17]
	s_cbranch_execz .LBB120_308
; %bb.307:
	v_mov_b32_e32 v26, 0
	ds_read_b32 v26, v26 offset:7800
	s_waitcnt lgkmcnt(0)
	v_mul_f32_e32 v25, v25, v26
	ds_write_b32 v22, v25
.LBB120_308:
	s_or_b64 exec, exec, s[14:15]
	v_cmp_eq_u32_e64 s[14:15], 15, v21
	s_and_b64 s[92:93], s[14:15], s[20:21]
	s_waitcnt lgkmcnt(0)
	s_barrier
	s_and_saveexec_b64 s[14:15], s[92:93]
	s_cbranch_execz .LBB120_310
; %bb.309:
	v_mov_b32_e32 v26, 0
	ds_read_b32 v26, v26 offset:7804
	ds_read_b32 v27, v22
	s_waitcnt lgkmcnt(0)
	v_fmac_f32_e32 v25, v26, v27
.LBB120_310:
	s_or_b64 exec, exec, s[14:15]
	s_barrier
	s_and_saveexec_b64 s[14:15], s[92:93]
	s_cbranch_execz .LBB120_312
; %bb.311:
	v_mov_b32_e32 v26, 0
	ds_read_b32 v26, v26 offset:8060
	s_waitcnt lgkmcnt(0)
	v_mul_f32_e32 v25, v25, v26
	ds_write_b32 v22, v25
.LBB120_312:
	s_or_b64 exec, exec, s[14:15]
	s_waitcnt lgkmcnt(0)
	s_barrier
	s_barrier
	s_and_saveexec_b64 s[14:15], s[10:11]
; %bb.313:
	v_xor_b32_e32 v25, 0x80000000, v25
	ds_write_b32 v20, v25 offset:64
; %bb.314:
	s_or_b64 exec, exec, s[14:15]
	v_cmp_gt_u32_e64 s[14:15], 16, v0
	s_waitcnt lgkmcnt(0)
	s_barrier
	s_barrier
	s_and_b64 s[16:17], s[12:13], s[14:15]
	s_mov_b64 s[14:15], exec
	v_writelane_b32 v33, s16, 59
	v_writelane_b32 v33, s17, 60
	s_and_b64 s[16:17], s[14:15], s[16:17]
	s_mov_b64 exec, s[16:17]
	s_cbranch_execz .LBB120_316
; %bb.315:
	v_lshlrev_b32_e32 v25, 8, v0
	ds_read_b32 v26, v25 offset:64
	s_movk_i32 s16, 0xff04
	v_mad_i32_i24 v27, v0, s16, v25
	s_waitcnt lgkmcnt(0)
	ds_write_b32 v27, v26 offset:4096
	ds_read_b32 v26, v25 offset:68
	s_waitcnt lgkmcnt(0)
	ds_write_b32 v27, v26 offset:4352
	ds_read_b32 v26, v25 offset:72
	;; [unrolled: 3-line block ×15, first 2 shown]
	s_waitcnt lgkmcnt(0)
	ds_write_b32 v27, v25 offset:7936
.LBB120_316:
	s_or_b64 exec, exec, s[14:15]
	s_waitcnt lgkmcnt(0)
	s_barrier
	s_and_saveexec_b64 s[14:15], vcc
	s_cbranch_execz .LBB120_318
; %bb.317:
	v_mov_b32_e32 v27, 0
	ds_read_b64 v[25:26], v27 offset:4160
	ds_read_b32 v27, v27 offset:4420
	s_movk_i32 s16, 0x1000
	s_waitcnt lgkmcnt(0)
	v_mul_f32_e32 v25, v25, v27
	v_mul_f32_e32 v25, v26, v25
	v_add_u32_e64 v26, s16, 0
	ds_write2_b32 v26, v25, v25 offset0:17 offset1:80
.LBB120_318:
	s_or_b64 exec, exec, s[14:15]
	v_mov_b32_e32 v25, 0
	s_waitcnt lgkmcnt(0)
	s_barrier
	s_and_saveexec_b64 s[16:17], s[2:3]
	s_cbranch_execz .LBB120_322
; %bb.319:
	v_mul_u32_u24_e32 v25, 0x104, v5
	ds_read_b32 v27, v1 offset:4168
	ds_read_b32 v25, v25 offset:4160
	v_mov_b32_e32 v26, 0
	v_cmp_gt_u32_e64 s[14:15], 2, v4
	s_waitcnt lgkmcnt(0)
	v_fma_f32 v25, v27, v25, 0
	s_and_saveexec_b64 s[20:21], s[14:15]
	s_cbranch_execz .LBB120_321
; %bb.320:
	v_lshlrev_b32_e32 v27, 2, v0
	ds_read_b32 v27, v27 offset:4424
	ds_read_b32 v26, v26 offset:4164
	s_waitcnt lgkmcnt(0)
	v_fmac_f32_e32 v25, v27, v26
.LBB120_321:
	s_or_b64 exec, exec, s[20:21]
	v_xor_b32_e32 v25, 0x80000000, v25
.LBB120_322:
	s_or_b64 exec, exec, s[16:17]
	s_and_saveexec_b64 s[14:15], s[40:41]
	s_cbranch_execz .LBB120_324
; %bb.323:
	v_mov_b32_e32 v26, 0
	ds_read_b32 v26, v26 offset:4680
	s_waitcnt lgkmcnt(0)
	v_mul_f32_e32 v25, v25, v26
	ds_write_b32 v3, v25
.LBB120_324:
	s_or_b64 exec, exec, s[14:15]
	s_waitcnt lgkmcnt(0)
	s_barrier
	s_and_saveexec_b64 s[14:15], s[38:39]
	s_cbranch_execz .LBB120_326
; %bb.325:
	v_mov_b32_e32 v26, 0
	ds_read_b32 v26, v26 offset:4684
	ds_read_b32 v27, v3
	s_waitcnt lgkmcnt(0)
	v_fmac_f32_e32 v25, v26, v27
.LBB120_326:
	s_or_b64 exec, exec, s[14:15]
	s_barrier
	s_and_saveexec_b64 s[14:15], s[38:39]
	s_cbranch_execz .LBB120_328
; %bb.327:
	v_mov_b32_e32 v26, 0
	ds_read_b32 v26, v26 offset:4940
	s_waitcnt lgkmcnt(0)
	v_mul_f32_e32 v25, v25, v26
	ds_write_b32 v3, v25
.LBB120_328:
	s_or_b64 exec, exec, s[14:15]
	s_waitcnt lgkmcnt(0)
	s_barrier
	s_barrier
	s_and_saveexec_b64 s[14:15], s[2:3]
; %bb.329:
	v_xor_b32_e32 v25, 0x80000000, v25
	ds_write_b32 v1, v25 offset:4168
; %bb.330:
	s_or_b64 exec, exec, s[14:15]
	s_waitcnt lgkmcnt(0)
	s_barrier
	s_barrier
	s_and_saveexec_b64 s[14:15], s[42:43]
	s_cbranch_execz .LBB120_332
; %bb.331:
	v_lshlrev_b32_e32 v25, 2, v0
	s_movk_i32 s16, 0xfc
	v_mad_u32_u24 v26, v0, s16, v25
	ds_read_b32 v27, v26 offset:4168
	s_waitcnt lgkmcnt(0)
	ds_write_b32 v25, v27 offset:4672
	ds_read_b32 v26, v26 offset:4172
	s_waitcnt lgkmcnt(0)
	ds_write_b32 v25, v26 offset:4928
.LBB120_332:
	s_or_b64 exec, exec, s[14:15]
	s_waitcnt lgkmcnt(0)
	s_barrier
	s_and_saveexec_b64 s[14:15], vcc
	s_cbranch_execz .LBB120_334
; %bb.333:
	v_mov_b32_e32 v27, 0
	ds_read_b64 v[25:26], v27 offset:4680
	ds_read_b32 v27, v27 offset:4940
	s_movk_i32 s16, 0x1000
	s_waitcnt lgkmcnt(0)
	v_mul_f32_e32 v25, v25, v27
	v_mul_f32_e32 v25, v26, v25
	v_add_u32_e64 v26, s16, 0
	ds_write2_b32 v26, v25, v25 offset0:147 offset1:210
.LBB120_334:
	s_or_b64 exec, exec, s[14:15]
	v_mov_b32_e32 v25, 0
	s_waitcnt lgkmcnt(0)
	s_barrier
	s_and_saveexec_b64 s[16:17], s[18:19]
	s_cbranch_execz .LBB120_340
; %bb.335:
	v_mul_u32_u24_e32 v26, 0x104, v14
	ds_read_b32 v25, v6 offset:4176
	ds_read_b32 v27, v26 offset:4160
	v_cmp_gt_u32_e64 s[14:15], 12, v4
	s_waitcnt lgkmcnt(0)
	v_fma_f32 v25, v25, v27, 0
	s_and_saveexec_b64 s[20:21], s[14:15]
	s_cbranch_execnz .LBB120_1219
; %bb.336:
	s_or_b64 exec, exec, s[20:21]
	v_cmp_gt_u32_e64 s[14:15], 8, v4
	s_and_saveexec_b64 s[20:21], s[14:15]
	s_cbranch_execnz .LBB120_1220
.LBB120_337:
	s_or_b64 exec, exec, s[20:21]
	v_cmp_gt_u32_e64 s[14:15], 4, v4
	s_and_saveexec_b64 s[20:21], s[14:15]
	s_cbranch_execz .LBB120_339
.LBB120_338:
	v_lshlrev_b32_e32 v26, 2, v0
	v_mov_b32_e32 v27, 0
	ds_read_b32 v26, v26 offset:4944
	ds_read_b32 v27, v27 offset:4172
	s_waitcnt lgkmcnt(0)
	v_fmac_f32_e32 v25, v26, v27
.LBB120_339:
	s_or_b64 exec, exec, s[20:21]
	v_xor_b32_e32 v25, 0x80000000, v25
.LBB120_340:
	s_or_b64 exec, exec, s[16:17]
	s_and_saveexec_b64 s[14:15], s[46:47]
	s_cbranch_execz .LBB120_342
; %bb.341:
	v_mov_b32_e32 v26, 0
	ds_read_b32 v26, v26 offset:5200
	s_waitcnt lgkmcnt(0)
	v_mul_f32_e32 v25, v25, v26
	ds_write_b32 v12, v25
.LBB120_342:
	s_or_b64 exec, exec, s[14:15]
	s_waitcnt lgkmcnt(0)
	s_barrier
	s_and_saveexec_b64 s[14:15], s[48:49]
	s_cbranch_execz .LBB120_344
; %bb.343:
	ds_read_b32 v26, v11 offset:5200
	ds_read_b32 v27, v12
	s_waitcnt lgkmcnt(0)
	v_fmac_f32_e32 v25, v26, v27
.LBB120_344:
	s_or_b64 exec, exec, s[14:15]
	s_barrier
	s_and_saveexec_b64 s[14:15], s[50:51]
	s_cbranch_execz .LBB120_346
; %bb.345:
	v_mov_b32_e32 v26, 0
	ds_read_b32 v26, v26 offset:5460
	s_waitcnt lgkmcnt(0)
	v_mul_f32_e32 v25, v25, v26
	ds_write_b32 v12, v25
.LBB120_346:
	s_or_b64 exec, exec, s[14:15]
	s_waitcnt lgkmcnt(0)
	s_barrier
	s_and_saveexec_b64 s[14:15], s[52:53]
	s_cbranch_execz .LBB120_348
; %bb.347:
	ds_read_b32 v26, v11 offset:5456
	ds_read_b32 v27, v12
	s_waitcnt lgkmcnt(0)
	v_fmac_f32_e32 v25, v26, v27
.LBB120_348:
	s_or_b64 exec, exec, s[14:15]
	s_barrier
	s_and_saveexec_b64 s[14:15], s[54:55]
	s_cbranch_execz .LBB120_350
; %bb.349:
	v_mov_b32_e32 v26, 0
	ds_read_b32 v26, v26 offset:5720
	s_waitcnt lgkmcnt(0)
	v_mul_f32_e32 v25, v25, v26
	ds_write_b32 v12, v25
.LBB120_350:
	s_or_b64 exec, exec, s[14:15]
	s_waitcnt lgkmcnt(0)
	s_barrier
	s_and_saveexec_b64 s[14:15], s[44:45]
	s_cbranch_execz .LBB120_352
; %bb.351:
	v_mov_b32_e32 v26, 0
	ds_read_b32 v26, v26 offset:5724
	ds_read_b32 v27, v12
	s_waitcnt lgkmcnt(0)
	v_fmac_f32_e32 v25, v26, v27
.LBB120_352:
	s_or_b64 exec, exec, s[14:15]
	s_barrier
	s_and_saveexec_b64 s[14:15], s[44:45]
	s_cbranch_execz .LBB120_354
; %bb.353:
	v_mov_b32_e32 v26, 0
	ds_read_b32 v26, v26 offset:5980
	s_waitcnt lgkmcnt(0)
	v_mul_f32_e32 v25, v25, v26
	ds_write_b32 v12, v25
.LBB120_354:
	s_or_b64 exec, exec, s[14:15]
	s_waitcnt lgkmcnt(0)
	s_barrier
	s_barrier
	s_and_saveexec_b64 s[14:15], s[18:19]
; %bb.355:
	v_xor_b32_e32 v25, 0x80000000, v25
	ds_write_b32 v6, v25 offset:4176
; %bb.356:
	s_or_b64 exec, exec, s[14:15]
	s_waitcnt lgkmcnt(0)
	s_barrier
	s_barrier
	s_and_saveexec_b64 s[14:15], s[56:57]
	s_cbranch_execz .LBB120_358
; %bb.357:
	v_lshlrev_b32_e32 v25, 8, v0
	ds_read_b32 v26, v25 offset:4176
	s_movk_i32 s16, 0xff04
	v_mad_i32_i24 v27, v0, s16, v25
	s_waitcnt lgkmcnt(0)
	ds_write_b32 v27, v26 offset:5184
	ds_read_b32 v26, v25 offset:4180
	s_waitcnt lgkmcnt(0)
	ds_write_b32 v27, v26 offset:5440
	ds_read_b32 v26, v25 offset:4184
	;; [unrolled: 3-line block ×3, first 2 shown]
	s_waitcnt lgkmcnt(0)
	ds_write_b32 v27, v25 offset:5952
.LBB120_358:
	s_or_b64 exec, exec, s[14:15]
	s_waitcnt lgkmcnt(0)
	s_barrier
	s_and_saveexec_b64 s[14:15], vcc
	s_cbranch_execz .LBB120_360
; %bb.359:
	v_mov_b32_e32 v27, 0
	ds_read_b64 v[25:26], v27 offset:5200
	ds_read_b32 v27, v27 offset:5460
	s_movk_i32 s16, 0x1400
	s_waitcnt lgkmcnt(0)
	v_mul_f32_e32 v25, v25, v27
	v_mul_f32_e32 v25, v26, v25
	v_add_u32_e64 v26, s16, 0
	ds_write2_b32 v26, v25, v25 offset0:21 offset1:84
.LBB120_360:
	s_or_b64 exec, exec, s[14:15]
	v_mov_b32_e32 v25, 0
	s_waitcnt lgkmcnt(0)
	s_barrier
	s_and_saveexec_b64 s[16:17], s[2:3]
	s_cbranch_execz .LBB120_364
; %bb.361:
	v_mul_u32_u24_e32 v25, 0x104, v5
	ds_read_b32 v27, v1 offset:5208
	ds_read_b32 v25, v25 offset:5200
	v_mov_b32_e32 v26, 0
	v_cmp_gt_u32_e64 s[14:15], 2, v4
	s_waitcnt lgkmcnt(0)
	v_fma_f32 v25, v27, v25, 0
	s_and_saveexec_b64 s[20:21], s[14:15]
	s_cbranch_execz .LBB120_363
; %bb.362:
	v_lshlrev_b32_e32 v27, 2, v0
	ds_read_b32 v27, v27 offset:5464
	ds_read_b32 v26, v26 offset:5204
	s_waitcnt lgkmcnt(0)
	v_fmac_f32_e32 v25, v27, v26
.LBB120_363:
	s_or_b64 exec, exec, s[20:21]
	v_xor_b32_e32 v25, 0x80000000, v25
.LBB120_364:
	s_or_b64 exec, exec, s[16:17]
	s_and_saveexec_b64 s[14:15], s[40:41]
	s_cbranch_execz .LBB120_366
; %bb.365:
	v_mov_b32_e32 v26, 0
	ds_read_b32 v26, v26 offset:5720
	s_waitcnt lgkmcnt(0)
	v_mul_f32_e32 v25, v25, v26
	ds_write_b32 v3, v25
.LBB120_366:
	s_or_b64 exec, exec, s[14:15]
	s_waitcnt lgkmcnt(0)
	s_barrier
	s_and_saveexec_b64 s[14:15], s[38:39]
	s_cbranch_execz .LBB120_368
; %bb.367:
	v_mov_b32_e32 v26, 0
	ds_read_b32 v26, v26 offset:5724
	ds_read_b32 v27, v3
	s_waitcnt lgkmcnt(0)
	v_fmac_f32_e32 v25, v26, v27
.LBB120_368:
	s_or_b64 exec, exec, s[14:15]
	s_barrier
	s_and_saveexec_b64 s[14:15], s[38:39]
	s_cbranch_execz .LBB120_370
; %bb.369:
	v_mov_b32_e32 v26, 0
	ds_read_b32 v26, v26 offset:5980
	s_waitcnt lgkmcnt(0)
	v_mul_f32_e32 v25, v25, v26
	ds_write_b32 v3, v25
.LBB120_370:
	s_or_b64 exec, exec, s[14:15]
	s_waitcnt lgkmcnt(0)
	s_barrier
	s_barrier
	s_and_saveexec_b64 s[14:15], s[2:3]
; %bb.371:
	v_xor_b32_e32 v25, 0x80000000, v25
	ds_write_b32 v1, v25 offset:5208
; %bb.372:
	s_or_b64 exec, exec, s[14:15]
	s_waitcnt lgkmcnt(0)
	s_barrier
	s_barrier
	s_and_saveexec_b64 s[14:15], s[42:43]
	s_cbranch_execz .LBB120_374
; %bb.373:
	v_lshlrev_b32_e32 v25, 2, v0
	s_movk_i32 s16, 0xfc
	v_mad_u32_u24 v26, v0, s16, v25
	ds_read_b32 v27, v26 offset:5208
	s_waitcnt lgkmcnt(0)
	ds_write_b32 v25, v27 offset:5712
	ds_read_b32 v26, v26 offset:5212
	s_waitcnt lgkmcnt(0)
	ds_write_b32 v25, v26 offset:5968
.LBB120_374:
	s_or_b64 exec, exec, s[14:15]
	s_waitcnt lgkmcnt(0)
	s_barrier
	s_and_saveexec_b64 s[14:15], vcc
	s_cbranch_execz .LBB120_376
; %bb.375:
	v_mov_b32_e32 v27, 0
	ds_read_b64 v[25:26], v27 offset:5720
	ds_read_b32 v27, v27 offset:5980
	s_movk_i32 s16, 0x1400
	s_waitcnt lgkmcnt(0)
	v_mul_f32_e32 v25, v25, v27
	v_mul_f32_e32 v25, v26, v25
	v_add_u32_e64 v26, s16, 0
	ds_write2_b32 v26, v25, v25 offset0:151 offset1:214
.LBB120_376:
	s_or_b64 exec, exec, s[14:15]
	v_mov_b32_e32 v25, 0
	s_waitcnt lgkmcnt(0)
	s_barrier
	s_and_saveexec_b64 s[16:17], s[8:9]
	s_cbranch_execz .LBB120_386
; %bb.377:
	v_mul_u32_u24_e32 v26, 0x104, v19
	ds_read_b32 v25, v15 offset:4192
	ds_read_b32 v27, v26 offset:4160
	v_cmp_gt_u32_e64 s[14:15], 56, v4
	s_waitcnt lgkmcnt(0)
	v_fma_f32 v25, v25, v27, 0
	s_and_saveexec_b64 s[20:21], s[14:15]
	s_cbranch_execnz .LBB120_1221
; %bb.378:
	s_or_b64 exec, exec, s[20:21]
	v_cmp_gt_u32_e64 s[14:15], 48, v4
	s_and_saveexec_b64 s[20:21], s[14:15]
	s_cbranch_execnz .LBB120_1222
.LBB120_379:
	s_or_b64 exec, exec, s[20:21]
	v_cmp_gt_u32_e64 s[14:15], 40, v4
	s_and_saveexec_b64 s[20:21], s[14:15]
	s_cbranch_execnz .LBB120_1223
.LBB120_380:
	s_or_b64 exec, exec, s[20:21]
	v_cmp_gt_u32_e64 s[14:15], 32, v4
	s_and_saveexec_b64 s[20:21], s[14:15]
	s_cbranch_execnz .LBB120_1224
.LBB120_381:
	s_or_b64 exec, exec, s[20:21]
	v_cmp_gt_u32_e64 s[14:15], 24, v4
	s_and_saveexec_b64 s[20:21], s[14:15]
	s_cbranch_execnz .LBB120_1225
.LBB120_382:
	s_or_b64 exec, exec, s[20:21]
	v_cmp_gt_u32_e64 s[14:15], 16, v4
	s_and_saveexec_b64 s[20:21], s[14:15]
	s_cbranch_execnz .LBB120_1226
.LBB120_383:
	s_or_b64 exec, exec, s[20:21]
	v_cmp_gt_u32_e64 s[14:15], 8, v4
	s_and_saveexec_b64 s[20:21], s[14:15]
	s_cbranch_execz .LBB120_385
.LBB120_384:
	v_lshlrev_b32_e32 v26, 2, v0
	v_mov_b32_e32 v27, 0
	ds_read_b32 v26, v26 offset:5984
	ds_read_b32 v27, v27 offset:4188
	s_waitcnt lgkmcnt(0)
	v_fmac_f32_e32 v25, v26, v27
.LBB120_385:
	s_or_b64 exec, exec, s[20:21]
	v_xor_b32_e32 v25, 0x80000000, v25
.LBB120_386:
	s_or_b64 exec, exec, s[16:17]
	s_and_saveexec_b64 s[14:15], s[58:59]
	s_cbranch_execz .LBB120_388
; %bb.387:
	v_mov_b32_e32 v26, 0
	ds_read_b32 v26, v26 offset:6240
	s_waitcnt lgkmcnt(0)
	v_mul_f32_e32 v25, v25, v26
	ds_write_b32 v17, v25
.LBB120_388:
	s_or_b64 exec, exec, s[14:15]
	s_waitcnt lgkmcnt(0)
	s_barrier
	s_and_saveexec_b64 s[14:15], s[60:61]
	s_cbranch_execz .LBB120_390
; %bb.389:
	ds_read_b32 v26, v16 offset:6240
	ds_read_b32 v27, v17
	s_waitcnt lgkmcnt(0)
	v_fmac_f32_e32 v25, v26, v27
.LBB120_390:
	s_or_b64 exec, exec, s[14:15]
	s_barrier
	s_and_saveexec_b64 s[14:15], s[62:63]
	s_cbranch_execz .LBB120_392
; %bb.391:
	v_mov_b32_e32 v26, 0
	ds_read_b32 v26, v26 offset:6500
	s_waitcnt lgkmcnt(0)
	v_mul_f32_e32 v25, v25, v26
	ds_write_b32 v17, v25
.LBB120_392:
	s_or_b64 exec, exec, s[14:15]
	s_waitcnt lgkmcnt(0)
	s_barrier
	s_and_saveexec_b64 s[14:15], s[64:65]
	s_cbranch_execz .LBB120_394
; %bb.393:
	ds_read_b32 v26, v16 offset:6496
	ds_read_b32 v27, v17
	s_waitcnt lgkmcnt(0)
	v_fmac_f32_e32 v25, v26, v27
.LBB120_394:
	s_or_b64 exec, exec, s[14:15]
	s_barrier
	;; [unrolled: 22-line block ×6, first 2 shown]
	s_and_saveexec_b64 s[14:15], s[84:85]
	s_cbranch_execz .LBB120_412
; %bb.411:
	v_mov_b32_e32 v26, 0
	ds_read_b32 v26, v26 offset:7800
	s_waitcnt lgkmcnt(0)
	v_mul_f32_e32 v25, v25, v26
	ds_write_b32 v17, v25
.LBB120_412:
	s_or_b64 exec, exec, s[14:15]
	s_waitcnt lgkmcnt(0)
	s_barrier
	s_and_saveexec_b64 s[14:15], s[66:67]
	s_cbranch_execz .LBB120_414
; %bb.413:
	v_mov_b32_e32 v26, 0
	ds_read_b32 v26, v26 offset:7804
	ds_read_b32 v27, v17
	s_waitcnt lgkmcnt(0)
	v_fmac_f32_e32 v25, v26, v27
.LBB120_414:
	s_or_b64 exec, exec, s[14:15]
	s_barrier
	s_and_saveexec_b64 s[14:15], s[66:67]
	s_cbranch_execz .LBB120_416
; %bb.415:
	v_mov_b32_e32 v26, 0
	ds_read_b32 v26, v26 offset:8060
	s_waitcnt lgkmcnt(0)
	v_mul_f32_e32 v25, v25, v26
	ds_write_b32 v17, v25
.LBB120_416:
	s_or_b64 exec, exec, s[14:15]
	s_waitcnt lgkmcnt(0)
	s_barrier
	s_barrier
	s_and_saveexec_b64 s[14:15], s[8:9]
; %bb.417:
	v_xor_b32_e32 v25, 0x80000000, v25
	ds_write_b32 v15, v25 offset:4192
; %bb.418:
	s_or_b64 exec, exec, s[14:15]
	s_waitcnt lgkmcnt(0)
	s_barrier
	s_barrier
	s_and_saveexec_b64 s[14:15], s[86:87]
	s_cbranch_execz .LBB120_420
; %bb.419:
	v_lshlrev_b32_e32 v25, 8, v0
	ds_read_b32 v26, v25 offset:4192
	s_movk_i32 s16, 0xff04
	v_mad_i32_i24 v27, v0, s16, v25
	s_waitcnt lgkmcnt(0)
	ds_write_b32 v27, v26 offset:6208
	ds_read_b32 v26, v25 offset:4196
	s_waitcnt lgkmcnt(0)
	ds_write_b32 v27, v26 offset:6464
	ds_read_b32 v26, v25 offset:4200
	;; [unrolled: 3-line block ×7, first 2 shown]
	s_waitcnt lgkmcnt(0)
	ds_write_b32 v27, v25 offset:8000
.LBB120_420:
	s_or_b64 exec, exec, s[14:15]
	s_waitcnt lgkmcnt(0)
	s_barrier
	s_and_saveexec_b64 s[14:15], vcc
	s_cbranch_execz .LBB120_422
; %bb.421:
	v_mov_b32_e32 v27, 0
	ds_read_b64 v[25:26], v27 offset:6240
	ds_read_b32 v27, v27 offset:6500
	s_movk_i32 s16, 0x1800
	s_waitcnt lgkmcnt(0)
	v_mul_f32_e32 v25, v25, v27
	v_mul_f32_e32 v25, v26, v25
	v_add_u32_e64 v26, s16, 0
	ds_write2_b32 v26, v25, v25 offset0:25 offset1:88
.LBB120_422:
	s_or_b64 exec, exec, s[14:15]
	v_mov_b32_e32 v25, 0
	s_waitcnt lgkmcnt(0)
	s_barrier
	s_and_saveexec_b64 s[16:17], s[2:3]
	s_cbranch_execz .LBB120_426
; %bb.423:
	v_mul_u32_u24_e32 v25, 0x104, v5
	ds_read_b32 v27, v1 offset:6248
	ds_read_b32 v25, v25 offset:6240
	v_mov_b32_e32 v26, 0
	v_cmp_gt_u32_e64 s[14:15], 2, v4
	s_waitcnt lgkmcnt(0)
	v_fma_f32 v25, v27, v25, 0
	s_and_saveexec_b64 s[20:21], s[14:15]
	s_cbranch_execz .LBB120_425
; %bb.424:
	v_lshlrev_b32_e32 v27, 2, v0
	ds_read_b32 v27, v27 offset:6504
	ds_read_b32 v26, v26 offset:6244
	s_waitcnt lgkmcnt(0)
	v_fmac_f32_e32 v25, v27, v26
.LBB120_425:
	s_or_b64 exec, exec, s[20:21]
	v_xor_b32_e32 v25, 0x80000000, v25
.LBB120_426:
	s_or_b64 exec, exec, s[16:17]
	s_and_saveexec_b64 s[14:15], s[40:41]
	s_cbranch_execz .LBB120_428
; %bb.427:
	v_mov_b32_e32 v26, 0
	ds_read_b32 v26, v26 offset:6760
	s_waitcnt lgkmcnt(0)
	v_mul_f32_e32 v25, v25, v26
	ds_write_b32 v3, v25
.LBB120_428:
	s_or_b64 exec, exec, s[14:15]
	s_waitcnt lgkmcnt(0)
	s_barrier
	s_and_saveexec_b64 s[14:15], s[38:39]
	s_cbranch_execz .LBB120_430
; %bb.429:
	v_mov_b32_e32 v26, 0
	ds_read_b32 v26, v26 offset:6764
	ds_read_b32 v27, v3
	s_waitcnt lgkmcnt(0)
	v_fmac_f32_e32 v25, v26, v27
.LBB120_430:
	s_or_b64 exec, exec, s[14:15]
	s_barrier
	s_and_saveexec_b64 s[14:15], s[38:39]
	s_cbranch_execz .LBB120_432
; %bb.431:
	v_mov_b32_e32 v26, 0
	ds_read_b32 v26, v26 offset:7020
	s_waitcnt lgkmcnt(0)
	v_mul_f32_e32 v25, v25, v26
	ds_write_b32 v3, v25
.LBB120_432:
	s_or_b64 exec, exec, s[14:15]
	s_waitcnt lgkmcnt(0)
	s_barrier
	s_barrier
	s_and_saveexec_b64 s[14:15], s[2:3]
; %bb.433:
	v_xor_b32_e32 v25, 0x80000000, v25
	ds_write_b32 v1, v25 offset:6248
; %bb.434:
	s_or_b64 exec, exec, s[14:15]
	s_waitcnt lgkmcnt(0)
	s_barrier
	s_barrier
	s_and_saveexec_b64 s[14:15], s[42:43]
	s_cbranch_execz .LBB120_436
; %bb.435:
	v_lshlrev_b32_e32 v25, 2, v0
	s_movk_i32 s16, 0xfc
	v_mad_u32_u24 v26, v0, s16, v25
	ds_read_b32 v27, v26 offset:6248
	s_waitcnt lgkmcnt(0)
	ds_write_b32 v25, v27 offset:6752
	ds_read_b32 v26, v26 offset:6252
	s_waitcnt lgkmcnt(0)
	ds_write_b32 v25, v26 offset:7008
.LBB120_436:
	s_or_b64 exec, exec, s[14:15]
	s_waitcnt lgkmcnt(0)
	s_barrier
	s_and_saveexec_b64 s[14:15], vcc
	s_cbranch_execz .LBB120_438
; %bb.437:
	v_mov_b32_e32 v27, 0
	ds_read_b64 v[25:26], v27 offset:6760
	ds_read_b32 v27, v27 offset:7020
	s_movk_i32 s16, 0x1800
	s_waitcnt lgkmcnt(0)
	v_mul_f32_e32 v25, v25, v27
	v_mul_f32_e32 v25, v26, v25
	v_add_u32_e64 v26, s16, 0
	ds_write2_b32 v26, v25, v25 offset0:155 offset1:218
.LBB120_438:
	s_or_b64 exec, exec, s[14:15]
	v_mov_b32_e32 v25, 0
	s_waitcnt lgkmcnt(0)
	s_barrier
	s_and_saveexec_b64 s[16:17], s[18:19]
	s_cbranch_execz .LBB120_444
; %bb.439:
	v_mul_u32_u24_e32 v26, 0x104, v14
	ds_read_b32 v25, v6 offset:6256
	ds_read_b32 v27, v26 offset:6240
	v_cmp_gt_u32_e64 s[14:15], 12, v4
	s_waitcnt lgkmcnt(0)
	v_fma_f32 v25, v25, v27, 0
	s_and_saveexec_b64 s[20:21], s[14:15]
	s_cbranch_execnz .LBB120_1227
; %bb.440:
	s_or_b64 exec, exec, s[20:21]
	v_cmp_gt_u32_e64 s[14:15], 8, v4
	s_and_saveexec_b64 s[20:21], s[14:15]
	s_cbranch_execnz .LBB120_1228
.LBB120_441:
	s_or_b64 exec, exec, s[20:21]
	v_cmp_gt_u32_e64 s[14:15], 4, v4
	s_and_saveexec_b64 s[20:21], s[14:15]
	s_cbranch_execz .LBB120_443
.LBB120_442:
	v_lshlrev_b32_e32 v26, 2, v0
	v_mov_b32_e32 v27, 0
	ds_read_b32 v26, v26 offset:7024
	ds_read_b32 v27, v27 offset:6252
	s_waitcnt lgkmcnt(0)
	v_fmac_f32_e32 v25, v26, v27
.LBB120_443:
	s_or_b64 exec, exec, s[20:21]
	v_xor_b32_e32 v25, 0x80000000, v25
.LBB120_444:
	s_or_b64 exec, exec, s[16:17]
	s_and_saveexec_b64 s[14:15], s[46:47]
	s_cbranch_execz .LBB120_446
; %bb.445:
	v_mov_b32_e32 v26, 0
	ds_read_b32 v26, v26 offset:7280
	s_waitcnt lgkmcnt(0)
	v_mul_f32_e32 v25, v25, v26
	ds_write_b32 v12, v25
.LBB120_446:
	s_or_b64 exec, exec, s[14:15]
	s_waitcnt lgkmcnt(0)
	s_barrier
	s_and_saveexec_b64 s[14:15], s[48:49]
	s_cbranch_execz .LBB120_448
; %bb.447:
	ds_read_b32 v26, v11 offset:7280
	ds_read_b32 v27, v12
	s_waitcnt lgkmcnt(0)
	v_fmac_f32_e32 v25, v26, v27
.LBB120_448:
	s_or_b64 exec, exec, s[14:15]
	s_barrier
	s_and_saveexec_b64 s[14:15], s[50:51]
	s_cbranch_execz .LBB120_450
; %bb.449:
	v_mov_b32_e32 v26, 0
	ds_read_b32 v26, v26 offset:7540
	s_waitcnt lgkmcnt(0)
	v_mul_f32_e32 v25, v25, v26
	ds_write_b32 v12, v25
.LBB120_450:
	s_or_b64 exec, exec, s[14:15]
	s_waitcnt lgkmcnt(0)
	s_barrier
	s_and_saveexec_b64 s[14:15], s[52:53]
	s_cbranch_execz .LBB120_452
; %bb.451:
	ds_read_b32 v26, v11 offset:7536
	ds_read_b32 v27, v12
	s_waitcnt lgkmcnt(0)
	v_fmac_f32_e32 v25, v26, v27
.LBB120_452:
	s_or_b64 exec, exec, s[14:15]
	s_barrier
	s_and_saveexec_b64 s[14:15], s[54:55]
	s_cbranch_execz .LBB120_454
; %bb.453:
	v_mov_b32_e32 v26, 0
	ds_read_b32 v26, v26 offset:7800
	s_waitcnt lgkmcnt(0)
	v_mul_f32_e32 v25, v25, v26
	ds_write_b32 v12, v25
.LBB120_454:
	s_or_b64 exec, exec, s[14:15]
	s_waitcnt lgkmcnt(0)
	s_barrier
	s_and_saveexec_b64 s[14:15], s[44:45]
	s_cbranch_execz .LBB120_456
; %bb.455:
	v_mov_b32_e32 v26, 0
	ds_read_b32 v26, v26 offset:7804
	ds_read_b32 v27, v12
	s_waitcnt lgkmcnt(0)
	v_fmac_f32_e32 v25, v26, v27
.LBB120_456:
	s_or_b64 exec, exec, s[14:15]
	s_barrier
	s_and_saveexec_b64 s[14:15], s[44:45]
	s_cbranch_execz .LBB120_458
; %bb.457:
	v_mov_b32_e32 v26, 0
	ds_read_b32 v26, v26 offset:8060
	s_waitcnt lgkmcnt(0)
	v_mul_f32_e32 v25, v25, v26
	ds_write_b32 v12, v25
.LBB120_458:
	s_or_b64 exec, exec, s[14:15]
	s_waitcnt lgkmcnt(0)
	s_barrier
	s_barrier
	s_and_saveexec_b64 s[14:15], s[18:19]
; %bb.459:
	v_xor_b32_e32 v25, 0x80000000, v25
	ds_write_b32 v6, v25 offset:6256
; %bb.460:
	s_or_b64 exec, exec, s[14:15]
	s_waitcnt lgkmcnt(0)
	s_barrier
	s_barrier
	s_and_saveexec_b64 s[14:15], s[56:57]
	s_cbranch_execz .LBB120_462
; %bb.461:
	v_lshlrev_b32_e32 v25, 8, v0
	ds_read_b32 v26, v25 offset:6256
	s_movk_i32 s16, 0xff04
	v_mad_i32_i24 v27, v0, s16, v25
	s_waitcnt lgkmcnt(0)
	ds_write_b32 v27, v26 offset:7264
	ds_read_b32 v26, v25 offset:6260
	s_waitcnt lgkmcnt(0)
	ds_write_b32 v27, v26 offset:7520
	ds_read_b32 v26, v25 offset:6264
	;; [unrolled: 3-line block ×3, first 2 shown]
	s_waitcnt lgkmcnt(0)
	ds_write_b32 v27, v25 offset:8032
.LBB120_462:
	s_or_b64 exec, exec, s[14:15]
	s_waitcnt lgkmcnt(0)
	s_barrier
	s_and_saveexec_b64 s[14:15], vcc
	s_cbranch_execz .LBB120_464
; %bb.463:
	v_mov_b32_e32 v27, 0
	ds_read_b64 v[25:26], v27 offset:7280
	ds_read_b32 v27, v27 offset:7540
	s_movk_i32 s16, 0x1c00
	s_waitcnt lgkmcnt(0)
	v_mul_f32_e32 v25, v25, v27
	v_mul_f32_e32 v25, v26, v25
	v_add_u32_e64 v26, s16, 0
	ds_write2_b32 v26, v25, v25 offset0:29 offset1:92
.LBB120_464:
	s_or_b64 exec, exec, s[14:15]
	v_mov_b32_e32 v25, 0
	s_waitcnt lgkmcnt(0)
	s_barrier
	s_and_saveexec_b64 s[16:17], s[2:3]
	s_cbranch_execz .LBB120_468
; %bb.465:
	v_mul_u32_u24_e32 v25, 0x104, v5
	ds_read_b32 v27, v1 offset:7288
	ds_read_b32 v25, v25 offset:7280
	v_mov_b32_e32 v26, 0
	v_cmp_gt_u32_e64 s[14:15], 2, v4
	s_waitcnt lgkmcnt(0)
	v_fma_f32 v25, v27, v25, 0
	s_and_saveexec_b64 s[20:21], s[14:15]
	s_cbranch_execz .LBB120_467
; %bb.466:
	v_lshlrev_b32_e32 v27, 2, v0
	ds_read_b32 v27, v27 offset:7544
	ds_read_b32 v26, v26 offset:7284
	s_waitcnt lgkmcnt(0)
	v_fmac_f32_e32 v25, v27, v26
.LBB120_467:
	s_or_b64 exec, exec, s[20:21]
	v_xor_b32_e32 v25, 0x80000000, v25
.LBB120_468:
	s_or_b64 exec, exec, s[16:17]
	s_and_saveexec_b64 s[14:15], s[40:41]
	s_cbranch_execz .LBB120_470
; %bb.469:
	v_mov_b32_e32 v26, 0
	ds_read_b32 v26, v26 offset:7800
	s_waitcnt lgkmcnt(0)
	v_mul_f32_e32 v25, v25, v26
	ds_write_b32 v3, v25
.LBB120_470:
	s_or_b64 exec, exec, s[14:15]
	s_waitcnt lgkmcnt(0)
	s_barrier
	s_and_saveexec_b64 s[14:15], s[38:39]
	s_cbranch_execz .LBB120_472
; %bb.471:
	v_mov_b32_e32 v26, 0
	ds_read_b32 v26, v26 offset:7804
	ds_read_b32 v27, v3
	s_waitcnt lgkmcnt(0)
	v_fmac_f32_e32 v25, v26, v27
.LBB120_472:
	s_or_b64 exec, exec, s[14:15]
	s_barrier
	s_and_saveexec_b64 s[14:15], s[38:39]
	s_cbranch_execz .LBB120_474
; %bb.473:
	v_mov_b32_e32 v26, 0
	ds_read_b32 v26, v26 offset:8060
	s_waitcnt lgkmcnt(0)
	v_mul_f32_e32 v25, v25, v26
	ds_write_b32 v3, v25
.LBB120_474:
	s_or_b64 exec, exec, s[14:15]
	s_waitcnt lgkmcnt(0)
	s_barrier
	s_barrier
	s_and_saveexec_b64 s[14:15], s[2:3]
; %bb.475:
	v_xor_b32_e32 v25, 0x80000000, v25
	ds_write_b32 v1, v25 offset:7288
; %bb.476:
	s_or_b64 exec, exec, s[14:15]
	s_waitcnt lgkmcnt(0)
	s_barrier
	s_barrier
	s_and_saveexec_b64 s[14:15], s[42:43]
	s_cbranch_execz .LBB120_478
; %bb.477:
	v_lshlrev_b32_e32 v25, 2, v0
	s_movk_i32 s16, 0xfc
	v_mad_u32_u24 v26, v0, s16, v25
	ds_read_b32 v27, v26 offset:7288
	s_waitcnt lgkmcnt(0)
	ds_write_b32 v25, v27 offset:7792
	ds_read_b32 v26, v26 offset:7292
	s_waitcnt lgkmcnt(0)
	ds_write_b32 v25, v26 offset:8048
.LBB120_478:
	s_or_b64 exec, exec, s[14:15]
	s_waitcnt lgkmcnt(0)
	s_barrier
	s_and_saveexec_b64 s[14:15], vcc
	s_cbranch_execz .LBB120_480
; %bb.479:
	v_mov_b32_e32 v27, 0
	ds_read_b64 v[25:26], v27 offset:7800
	ds_read_b32 v27, v27 offset:8060
	s_movk_i32 s16, 0x1c00
	s_waitcnt lgkmcnt(0)
	v_mul_f32_e32 v25, v25, v27
	v_mul_f32_e32 v25, v26, v25
	v_add_u32_e64 v26, s16, 0
	ds_write2_b32 v26, v25, v25 offset0:159 offset1:222
.LBB120_480:
	s_or_b64 exec, exec, s[14:15]
	v_and_b32_e32 v26, 31, v0
	s_movk_i32 s14, 0x3ff
	v_lshrrev_b32_e32 v29, 5, v4
	v_cmp_lt_u32_e64 s[16:17], s14, v4
	s_movk_i32 s14, 0x400
	v_lshlrev_b32_e32 v27, 2, v26
	v_cmp_gt_u32_e64 s[14:15], s14, v4
	v_lshl_or_b32 v25, v29, 8, v27
	v_mov_b32_e32 v28, 0
	s_waitcnt lgkmcnt(0)
	s_barrier
	s_and_saveexec_b64 s[94:95], s[14:15]
	s_cbranch_execz .LBB120_542
; %bb.481:
	v_mul_u32_u24_e32 v30, 0x104, v29
	ds_read_b32 v28, v25 offset:128
	ds_read_b32 v31, v30
	s_movk_i32 s20, 0x3e0
	v_cmp_gt_u32_e64 s[20:21], s20, v4
	s_waitcnt lgkmcnt(0)
	v_fma_f32 v28, v28, v31, 0
	s_and_saveexec_b64 s[22:23], s[20:21]
	s_cbranch_execz .LBB120_483
; %bb.482:
	ds_read_b32 v31, v25 offset:384
	ds_read_b32 v32, v30 offset:4
	s_waitcnt lgkmcnt(0)
	v_fmac_f32_e32 v28, v31, v32
.LBB120_483:
	s_or_b64 exec, exec, s[22:23]
	s_movk_i32 s20, 0x3c0
	v_cmp_gt_u32_e64 s[20:21], s20, v4
	s_and_saveexec_b64 s[22:23], s[20:21]
	s_cbranch_execz .LBB120_485
; %bb.484:
	ds_read_b32 v31, v25 offset:640
	ds_read_b32 v32, v30 offset:8
	s_waitcnt lgkmcnt(0)
	v_fmac_f32_e32 v28, v31, v32
.LBB120_485:
	s_or_b64 exec, exec, s[22:23]
	s_movk_i32 s20, 0x3a0
	v_cmp_gt_u32_e64 s[20:21], s20, v4
	s_and_saveexec_b64 s[22:23], s[20:21]
	s_cbranch_execz .LBB120_487
; %bb.486:
	ds_read_b32 v31, v25 offset:896
	ds_read_b32 v32, v30 offset:12
	s_waitcnt lgkmcnt(0)
	v_fmac_f32_e32 v28, v31, v32
.LBB120_487:
	s_or_b64 exec, exec, s[22:23]
	s_movk_i32 s20, 0x380
	v_cmp_gt_u32_e64 s[20:21], s20, v4
	s_and_saveexec_b64 s[22:23], s[20:21]
	s_cbranch_execz .LBB120_489
; %bb.488:
	ds_read_b32 v31, v25 offset:1152
	ds_read_b32 v32, v30 offset:16
	s_waitcnt lgkmcnt(0)
	v_fmac_f32_e32 v28, v31, v32
.LBB120_489:
	s_or_b64 exec, exec, s[22:23]
	s_movk_i32 s20, 0x360
	v_cmp_gt_u32_e64 s[20:21], s20, v4
	s_and_saveexec_b64 s[22:23], s[20:21]
	s_cbranch_execz .LBB120_491
; %bb.490:
	ds_read_b32 v31, v25 offset:1408
	ds_read_b32 v32, v30 offset:20
	s_waitcnt lgkmcnt(0)
	v_fmac_f32_e32 v28, v31, v32
.LBB120_491:
	s_or_b64 exec, exec, s[22:23]
	s_movk_i32 s20, 0x340
	v_cmp_gt_u32_e64 s[20:21], s20, v4
	s_and_saveexec_b64 s[22:23], s[20:21]
	s_cbranch_execz .LBB120_493
; %bb.492:
	ds_read_b32 v31, v25 offset:1664
	ds_read_b32 v32, v30 offset:24
	s_waitcnt lgkmcnt(0)
	v_fmac_f32_e32 v28, v31, v32
.LBB120_493:
	s_or_b64 exec, exec, s[22:23]
	s_movk_i32 s20, 0x320
	v_cmp_gt_u32_e64 s[20:21], s20, v4
	s_and_saveexec_b64 s[22:23], s[20:21]
	s_cbranch_execz .LBB120_495
; %bb.494:
	ds_read_b32 v31, v25 offset:1920
	ds_read_b32 v32, v30 offset:28
	s_waitcnt lgkmcnt(0)
	v_fmac_f32_e32 v28, v31, v32
.LBB120_495:
	s_or_b64 exec, exec, s[22:23]
	s_movk_i32 s20, 0x300
	v_cmp_gt_u32_e64 s[20:21], s20, v4
	s_and_saveexec_b64 s[22:23], s[20:21]
	s_cbranch_execz .LBB120_497
; %bb.496:
	ds_read_b32 v31, v25 offset:2176
	ds_read_b32 v32, v30 offset:32
	s_waitcnt lgkmcnt(0)
	v_fmac_f32_e32 v28, v31, v32
.LBB120_497:
	s_or_b64 exec, exec, s[22:23]
	s_movk_i32 s20, 0x2e0
	v_cmp_gt_u32_e64 s[20:21], s20, v4
	s_and_saveexec_b64 s[22:23], s[20:21]
	s_cbranch_execz .LBB120_499
; %bb.498:
	ds_read_b32 v31, v25 offset:2432
	ds_read_b32 v32, v30 offset:36
	s_waitcnt lgkmcnt(0)
	v_fmac_f32_e32 v28, v31, v32
.LBB120_499:
	s_or_b64 exec, exec, s[22:23]
	s_movk_i32 s20, 0x2c0
	v_cmp_gt_u32_e64 s[20:21], s20, v4
	s_and_saveexec_b64 s[22:23], s[20:21]
	s_cbranch_execz .LBB120_501
; %bb.500:
	ds_read_b32 v31, v25 offset:2688
	ds_read_b32 v32, v30 offset:40
	s_waitcnt lgkmcnt(0)
	v_fmac_f32_e32 v28, v31, v32
.LBB120_501:
	s_or_b64 exec, exec, s[22:23]
	s_movk_i32 s20, 0x2a0
	v_cmp_gt_u32_e64 s[20:21], s20, v4
	s_and_saveexec_b64 s[22:23], s[20:21]
	s_cbranch_execz .LBB120_503
; %bb.502:
	ds_read_b32 v31, v25 offset:2944
	ds_read_b32 v32, v30 offset:44
	s_waitcnt lgkmcnt(0)
	v_fmac_f32_e32 v28, v31, v32
.LBB120_503:
	s_or_b64 exec, exec, s[22:23]
	s_movk_i32 s20, 0x280
	v_cmp_gt_u32_e64 s[20:21], s20, v4
	s_and_saveexec_b64 s[22:23], s[20:21]
	s_cbranch_execz .LBB120_505
; %bb.504:
	ds_read_b32 v31, v25 offset:3200
	ds_read_b32 v32, v30 offset:48
	s_waitcnt lgkmcnt(0)
	v_fmac_f32_e32 v28, v31, v32
.LBB120_505:
	s_or_b64 exec, exec, s[22:23]
	s_movk_i32 s20, 0x260
	v_cmp_gt_u32_e64 s[20:21], s20, v4
	s_and_saveexec_b64 s[22:23], s[20:21]
	s_cbranch_execz .LBB120_507
; %bb.506:
	ds_read_b32 v31, v25 offset:3456
	ds_read_b32 v32, v30 offset:52
	s_waitcnt lgkmcnt(0)
	v_fmac_f32_e32 v28, v31, v32
.LBB120_507:
	s_or_b64 exec, exec, s[22:23]
	s_movk_i32 s20, 0x240
	v_cmp_gt_u32_e64 s[20:21], s20, v4
	s_and_saveexec_b64 s[22:23], s[20:21]
	s_cbranch_execz .LBB120_509
; %bb.508:
	ds_read_b32 v31, v25 offset:3712
	ds_read_b32 v32, v30 offset:56
	s_waitcnt lgkmcnt(0)
	v_fmac_f32_e32 v28, v31, v32
.LBB120_509:
	s_or_b64 exec, exec, s[22:23]
	s_movk_i32 s20, 0x220
	v_cmp_gt_u32_e64 s[20:21], s20, v4
	s_and_saveexec_b64 s[22:23], s[20:21]
	s_cbranch_execz .LBB120_511
; %bb.510:
	ds_read_b32 v31, v25 offset:3968
	ds_read_b32 v32, v30 offset:60
	s_waitcnt lgkmcnt(0)
	v_fmac_f32_e32 v28, v31, v32
.LBB120_511:
	s_or_b64 exec, exec, s[22:23]
	s_movk_i32 s20, 0x200
	v_cmp_gt_u32_e64 s[20:21], s20, v4
	s_and_saveexec_b64 s[22:23], s[20:21]
	s_cbranch_execz .LBB120_513
; %bb.512:
	ds_read_b32 v31, v25 offset:4224
	ds_read_b32 v32, v30 offset:64
	s_waitcnt lgkmcnt(0)
	v_fmac_f32_e32 v28, v31, v32
.LBB120_513:
	s_or_b64 exec, exec, s[22:23]
	s_movk_i32 s20, 0x1e0
	v_cmp_gt_u32_e64 s[20:21], s20, v4
	s_and_saveexec_b64 s[22:23], s[20:21]
	s_cbranch_execz .LBB120_515
; %bb.514:
	ds_read_b32 v31, v25 offset:4480
	ds_read_b32 v32, v30 offset:68
	s_waitcnt lgkmcnt(0)
	v_fmac_f32_e32 v28, v31, v32
.LBB120_515:
	s_or_b64 exec, exec, s[22:23]
	s_movk_i32 s20, 0x1c0
	v_cmp_gt_u32_e64 s[20:21], s20, v4
	s_and_saveexec_b64 s[22:23], s[20:21]
	s_cbranch_execz .LBB120_517
; %bb.516:
	ds_read_b32 v31, v25 offset:4736
	ds_read_b32 v32, v30 offset:72
	s_waitcnt lgkmcnt(0)
	v_fmac_f32_e32 v28, v31, v32
.LBB120_517:
	s_or_b64 exec, exec, s[22:23]
	s_movk_i32 s20, 0x1a0
	v_cmp_gt_u32_e64 s[20:21], s20, v4
	s_and_saveexec_b64 s[22:23], s[20:21]
	s_cbranch_execz .LBB120_519
; %bb.518:
	ds_read_b32 v31, v25 offset:4992
	ds_read_b32 v32, v30 offset:76
	s_waitcnt lgkmcnt(0)
	v_fmac_f32_e32 v28, v31, v32
.LBB120_519:
	s_or_b64 exec, exec, s[22:23]
	s_movk_i32 s20, 0x180
	v_cmp_gt_u32_e64 s[20:21], s20, v4
	s_and_saveexec_b64 s[22:23], s[20:21]
	s_cbranch_execz .LBB120_521
; %bb.520:
	ds_read_b32 v31, v25 offset:5248
	ds_read_b32 v32, v30 offset:80
	s_waitcnt lgkmcnt(0)
	v_fmac_f32_e32 v28, v31, v32
.LBB120_521:
	s_or_b64 exec, exec, s[22:23]
	s_movk_i32 s20, 0x160
	v_cmp_gt_u32_e64 s[20:21], s20, v4
	s_and_saveexec_b64 s[22:23], s[20:21]
	s_cbranch_execz .LBB120_523
; %bb.522:
	ds_read_b32 v31, v25 offset:5504
	ds_read_b32 v32, v30 offset:84
	s_waitcnt lgkmcnt(0)
	v_fmac_f32_e32 v28, v31, v32
.LBB120_523:
	s_or_b64 exec, exec, s[22:23]
	s_movk_i32 s20, 0x140
	v_cmp_gt_u32_e64 s[20:21], s20, v4
	s_and_saveexec_b64 s[22:23], s[20:21]
	s_cbranch_execz .LBB120_525
; %bb.524:
	ds_read_b32 v31, v25 offset:5760
	ds_read_b32 v32, v30 offset:88
	s_waitcnt lgkmcnt(0)
	v_fmac_f32_e32 v28, v31, v32
.LBB120_525:
	s_or_b64 exec, exec, s[22:23]
	s_movk_i32 s20, 0x120
	v_cmp_gt_u32_e64 s[20:21], s20, v4
	s_and_saveexec_b64 s[22:23], s[20:21]
	s_cbranch_execz .LBB120_527
; %bb.526:
	ds_read_b32 v31, v25 offset:6016
	ds_read_b32 v32, v30 offset:92
	s_waitcnt lgkmcnt(0)
	v_fmac_f32_e32 v28, v31, v32
.LBB120_527:
	s_or_b64 exec, exec, s[22:23]
	s_movk_i32 s20, 0x100
	v_cmp_gt_u32_e64 s[20:21], s20, v4
	s_and_saveexec_b64 s[22:23], s[20:21]
	s_cbranch_execz .LBB120_529
; %bb.528:
	ds_read_b32 v31, v25 offset:6272
	ds_read_b32 v32, v30 offset:96
	s_waitcnt lgkmcnt(0)
	v_fmac_f32_e32 v28, v31, v32
.LBB120_529:
	s_or_b64 exec, exec, s[22:23]
	s_movk_i32 s20, 0xe0
	v_cmp_gt_u32_e64 s[20:21], s20, v4
	s_and_saveexec_b64 s[22:23], s[20:21]
	s_cbranch_execz .LBB120_531
; %bb.530:
	ds_read_b32 v31, v25 offset:6528
	ds_read_b32 v32, v30 offset:100
	s_waitcnt lgkmcnt(0)
	v_fmac_f32_e32 v28, v31, v32
.LBB120_531:
	s_or_b64 exec, exec, s[22:23]
	s_movk_i32 s20, 0xc0
	v_cmp_gt_u32_e64 s[20:21], s20, v4
	s_and_saveexec_b64 s[22:23], s[20:21]
	s_cbranch_execz .LBB120_533
; %bb.532:
	ds_read_b32 v31, v25 offset:6784
	ds_read_b32 v32, v30 offset:104
	s_waitcnt lgkmcnt(0)
	v_fmac_f32_e32 v28, v31, v32
.LBB120_533:
	s_or_b64 exec, exec, s[22:23]
	s_movk_i32 s20, 0xa0
	v_cmp_gt_u32_e64 s[20:21], s20, v4
	s_and_saveexec_b64 s[22:23], s[20:21]
	s_cbranch_execz .LBB120_535
; %bb.534:
	ds_read_b32 v31, v25 offset:7040
	ds_read_b32 v32, v30 offset:108
	s_waitcnt lgkmcnt(0)
	v_fmac_f32_e32 v28, v31, v32
.LBB120_535:
	s_or_b64 exec, exec, s[22:23]
	s_movk_i32 s20, 0x80
	v_cmp_gt_u32_e64 s[20:21], s20, v4
	s_and_saveexec_b64 s[22:23], s[20:21]
	s_cbranch_execz .LBB120_537
; %bb.536:
	ds_read_b32 v31, v25 offset:7296
	ds_read_b32 v32, v30 offset:112
	s_waitcnt lgkmcnt(0)
	v_fmac_f32_e32 v28, v31, v32
.LBB120_537:
	s_or_b64 exec, exec, s[22:23]
	s_movk_i32 s20, 0x60
	v_cmp_gt_u32_e64 s[20:21], s20, v4
	s_and_saveexec_b64 s[22:23], s[20:21]
	s_cbranch_execnz .LBB120_1229
; %bb.538:
	s_or_b64 exec, exec, s[22:23]
	v_cmp_gt_u32_e64 s[20:21], 64, v4
	s_and_saveexec_b64 s[22:23], s[20:21]
	s_cbranch_execnz .LBB120_1230
.LBB120_539:
	s_or_b64 exec, exec, s[22:23]
	v_cmp_gt_u32_e64 s[20:21], 32, v4
	s_and_saveexec_b64 s[22:23], s[20:21]
	s_cbranch_execz .LBB120_541
.LBB120_540:
	v_lshlrev_b32_e32 v30, 2, v0
	v_mov_b32_e32 v31, 0
	ds_read_b32 v30, v30 offset:8064
	ds_read_b32 v31, v31 offset:124
	s_waitcnt lgkmcnt(0)
	v_fmac_f32_e32 v28, v30, v31
.LBB120_541:
	s_or_b64 exec, exec, s[22:23]
	v_xor_b32_e32 v28, 0x80000000, v28
.LBB120_542:
	s_or_b64 exec, exec, s[94:95]
	v_mov_b32_e32 v30, 0x4000
	v_cmp_eq_u32_e64 s[20:21], 0, v26
	s_xor_b64 s[94:95], s[16:17], -1
	v_lshl_or_b32 v29, v29, 2, v30
	s_and_b64 s[20:21], s[20:21], s[94:95]
	s_and_saveexec_b64 s[16:17], s[20:21]
	s_cbranch_execz .LBB120_544
; %bb.543:
	v_mov_b32_e32 v30, 0
	ds_read_b32 v30, v30 offset:8320
	s_waitcnt lgkmcnt(0)
	v_mul_f32_e32 v28, v28, v30
	ds_write_b32 v29, v28
.LBB120_544:
	s_or_b64 exec, exec, s[16:17]
	v_cmp_ne_u32_e64 s[16:17], 0, v26
	s_and_b64 s[20:21], s[16:17], s[94:95]
	s_waitcnt lgkmcnt(0)
	s_barrier
	s_and_saveexec_b64 s[16:17], s[20:21]
	s_cbranch_execz .LBB120_546
; %bb.545:
	ds_read_b32 v30, v27 offset:8320
	ds_read_b32 v31, v29
	s_waitcnt lgkmcnt(0)
	v_fmac_f32_e32 v28, v30, v31
.LBB120_546:
	s_or_b64 exec, exec, s[16:17]
	v_cmp_eq_u32_e64 s[16:17], 1, v26
	s_and_b64 s[20:21], s[16:17], s[94:95]
	s_barrier
	s_and_saveexec_b64 s[16:17], s[20:21]
	s_cbranch_execz .LBB120_548
; %bb.547:
	v_mov_b32_e32 v30, 0
	ds_read_b32 v30, v30 offset:8580
	s_waitcnt lgkmcnt(0)
	v_mul_f32_e32 v28, v28, v30
	ds_write_b32 v29, v28
.LBB120_548:
	s_or_b64 exec, exec, s[16:17]
	v_cmp_lt_u32_e64 s[16:17], 1, v26
	s_and_b64 s[20:21], s[16:17], s[94:95]
	s_waitcnt lgkmcnt(0)
	s_barrier
	s_and_saveexec_b64 s[16:17], s[20:21]
	s_cbranch_execz .LBB120_550
; %bb.549:
	ds_read_b32 v30, v27 offset:8576
	ds_read_b32 v31, v29
	s_waitcnt lgkmcnt(0)
	v_fmac_f32_e32 v28, v30, v31
.LBB120_550:
	s_or_b64 exec, exec, s[16:17]
	v_cmp_eq_u32_e64 s[16:17], 2, v26
	s_and_b64 s[20:21], s[16:17], s[94:95]
	s_barrier
	s_and_saveexec_b64 s[16:17], s[20:21]
	s_cbranch_execz .LBB120_552
; %bb.551:
	v_mov_b32_e32 v30, 0
	ds_read_b32 v30, v30 offset:8840
	s_waitcnt lgkmcnt(0)
	v_mul_f32_e32 v28, v28, v30
	ds_write_b32 v29, v28
.LBB120_552:
	s_or_b64 exec, exec, s[16:17]
	v_cmp_lt_u32_e64 s[16:17], 2, v26
	;; [unrolled: 26-line block ×29, first 2 shown]
	s_and_b64 s[20:21], s[16:17], s[94:95]
	s_waitcnt lgkmcnt(0)
	s_barrier
	s_and_saveexec_b64 s[16:17], s[20:21]
	s_cbranch_execz .LBB120_662
; %bb.661:
	ds_read_b32 v27, v27 offset:15744
	ds_read_b32 v30, v29
	s_waitcnt lgkmcnt(0)
	v_fmac_f32_e32 v28, v27, v30
.LBB120_662:
	s_or_b64 exec, exec, s[16:17]
	v_cmp_eq_u32_e64 s[16:17], 30, v26
	s_and_b64 s[20:21], s[16:17], s[94:95]
	s_barrier
	s_and_saveexec_b64 s[16:17], s[20:21]
	s_cbranch_execz .LBB120_664
; %bb.663:
	v_mov_b32_e32 v27, 0
	ds_read_b32 v27, v27 offset:16120
	s_waitcnt lgkmcnt(0)
	v_mul_f32_e32 v28, v28, v27
	ds_write_b32 v29, v28
.LBB120_664:
	s_or_b64 exec, exec, s[16:17]
	v_cmp_eq_u32_e64 s[16:17], 31, v26
	s_and_b64 s[16:17], s[16:17], s[94:95]
	s_waitcnt lgkmcnt(0)
	s_barrier
	s_and_saveexec_b64 s[20:21], s[16:17]
	s_cbranch_execz .LBB120_666
; %bb.665:
	v_mov_b32_e32 v26, 0
	ds_read_b32 v26, v26 offset:16124
	ds_read_b32 v27, v29
	s_waitcnt lgkmcnt(0)
	v_fmac_f32_e32 v28, v26, v27
.LBB120_666:
	s_or_b64 exec, exec, s[20:21]
	s_barrier
	s_and_saveexec_b64 s[20:21], s[16:17]
	s_cbranch_execz .LBB120_668
; %bb.667:
	v_mov_b32_e32 v26, 0
	ds_read_b32 v26, v26 offset:16380
	s_waitcnt lgkmcnt(0)
	v_mul_f32_e32 v28, v28, v26
	ds_write_b32 v29, v28
.LBB120_668:
	s_or_b64 exec, exec, s[20:21]
	s_waitcnt lgkmcnt(0)
	s_barrier
	s_barrier
	s_and_saveexec_b64 s[16:17], s[14:15]
; %bb.669:
	v_xor_b32_e32 v26, 0x80000000, v28
	ds_write_b32 v25, v26 offset:128
; %bb.670:
	s_or_b64 exec, exec, s[16:17]
	v_cmp_gt_u32_e64 s[14:15], 32, v0
	s_and_b64 s[14:15], s[12:13], s[14:15]
	s_waitcnt lgkmcnt(0)
	s_barrier
	s_barrier
	s_and_saveexec_b64 s[12:13], s[14:15]
	s_cbranch_execz .LBB120_672
; %bb.671:
	v_lshlrev_b32_e32 v25, 8, v0
	ds_read_b32 v26, v25 offset:128
	s_movk_i32 s14, 0xff04
	v_mad_i32_i24 v27, v0, s14, v25
	s_waitcnt lgkmcnt(0)
	ds_write_b32 v27, v26 offset:8192
	ds_read_b32 v26, v25 offset:132
	s_waitcnt lgkmcnt(0)
	ds_write_b32 v27, v26 offset:8448
	ds_read_b32 v26, v25 offset:136
	;; [unrolled: 3-line block ×31, first 2 shown]
	s_waitcnt lgkmcnt(0)
	ds_write_b32 v27, v25 offset:16128
.LBB120_672:
	s_or_b64 exec, exec, s[12:13]
	s_waitcnt lgkmcnt(0)
	s_barrier
	s_and_saveexec_b64 s[12:13], vcc
	s_cbranch_execz .LBB120_674
; %bb.673:
	v_mov_b32_e32 v27, 0
	ds_read_b64 v[25:26], v27 offset:8320
	ds_read_b32 v27, v27 offset:8580
	s_movk_i32 s14, 0x2000
	s_waitcnt lgkmcnt(0)
	v_mul_f32_e32 v25, v25, v27
	v_mul_f32_e32 v25, v26, v25
	v_add_u32_e64 v26, s14, 0
	ds_write2_b32 v26, v25, v25 offset0:33 offset1:96
.LBB120_674:
	s_or_b64 exec, exec, s[12:13]
	v_mov_b32_e32 v25, 0
	s_waitcnt lgkmcnt(0)
	s_barrier
	s_and_saveexec_b64 s[14:15], s[2:3]
	s_cbranch_execz .LBB120_678
; %bb.675:
	v_mul_u32_u24_e32 v25, 0x104, v5
	ds_read_b32 v27, v1 offset:8328
	ds_read_b32 v25, v25 offset:8320
	v_mov_b32_e32 v26, 0
	v_cmp_gt_u32_e64 s[12:13], 2, v4
	s_waitcnt lgkmcnt(0)
	v_fma_f32 v25, v27, v25, 0
	s_and_saveexec_b64 s[16:17], s[12:13]
	s_cbranch_execz .LBB120_677
; %bb.676:
	v_lshlrev_b32_e32 v27, 2, v0
	ds_read_b32 v27, v27 offset:8584
	ds_read_b32 v26, v26 offset:8324
	s_waitcnt lgkmcnt(0)
	v_fmac_f32_e32 v25, v27, v26
.LBB120_677:
	s_or_b64 exec, exec, s[16:17]
	v_xor_b32_e32 v25, 0x80000000, v25
.LBB120_678:
	s_or_b64 exec, exec, s[14:15]
	s_and_saveexec_b64 s[12:13], s[40:41]
	s_cbranch_execz .LBB120_680
; %bb.679:
	v_mov_b32_e32 v26, 0
	ds_read_b32 v26, v26 offset:8840
	s_waitcnt lgkmcnt(0)
	v_mul_f32_e32 v25, v25, v26
	ds_write_b32 v3, v25
.LBB120_680:
	s_or_b64 exec, exec, s[12:13]
	s_waitcnt lgkmcnt(0)
	s_barrier
	s_and_saveexec_b64 s[12:13], s[38:39]
	s_cbranch_execz .LBB120_682
; %bb.681:
	v_mov_b32_e32 v26, 0
	ds_read_b32 v26, v26 offset:8844
	ds_read_b32 v27, v3
	s_waitcnt lgkmcnt(0)
	v_fmac_f32_e32 v25, v26, v27
.LBB120_682:
	s_or_b64 exec, exec, s[12:13]
	s_barrier
	s_and_saveexec_b64 s[12:13], s[38:39]
	s_cbranch_execz .LBB120_684
; %bb.683:
	v_mov_b32_e32 v26, 0
	ds_read_b32 v26, v26 offset:9100
	s_waitcnt lgkmcnt(0)
	v_mul_f32_e32 v25, v25, v26
	ds_write_b32 v3, v25
.LBB120_684:
	s_or_b64 exec, exec, s[12:13]
	s_waitcnt lgkmcnt(0)
	s_barrier
	s_barrier
	s_and_saveexec_b64 s[12:13], s[2:3]
; %bb.685:
	v_xor_b32_e32 v25, 0x80000000, v25
	ds_write_b32 v1, v25 offset:8328
; %bb.686:
	s_or_b64 exec, exec, s[12:13]
	s_waitcnt lgkmcnt(0)
	s_barrier
	s_barrier
	s_and_saveexec_b64 s[12:13], s[42:43]
	s_cbranch_execz .LBB120_688
; %bb.687:
	v_lshlrev_b32_e32 v25, 2, v0
	s_movk_i32 s14, 0xfc
	v_mad_u32_u24 v26, v0, s14, v25
	ds_read_b32 v27, v26 offset:8328
	s_waitcnt lgkmcnt(0)
	ds_write_b32 v25, v27 offset:8832
	ds_read_b32 v26, v26 offset:8332
	s_waitcnt lgkmcnt(0)
	ds_write_b32 v25, v26 offset:9088
.LBB120_688:
	s_or_b64 exec, exec, s[12:13]
	s_waitcnt lgkmcnt(0)
	s_barrier
	s_and_saveexec_b64 s[12:13], vcc
	s_cbranch_execz .LBB120_690
; %bb.689:
	v_mov_b32_e32 v27, 0
	ds_read_b64 v[25:26], v27 offset:8840
	ds_read_b32 v27, v27 offset:9100
	s_movk_i32 s14, 0x2000
	s_waitcnt lgkmcnt(0)
	v_mul_f32_e32 v25, v25, v27
	v_mul_f32_e32 v25, v26, v25
	v_add_u32_e64 v26, s14, 0
	ds_write2_b32 v26, v25, v25 offset0:163 offset1:226
.LBB120_690:
	s_or_b64 exec, exec, s[12:13]
	v_mov_b32_e32 v25, 0
	s_waitcnt lgkmcnt(0)
	s_barrier
	s_and_saveexec_b64 s[14:15], s[18:19]
	s_cbranch_execz .LBB120_696
; %bb.691:
	v_mul_u32_u24_e32 v26, 0x104, v14
	ds_read_b32 v25, v6 offset:8336
	ds_read_b32 v27, v26 offset:8320
	v_cmp_gt_u32_e64 s[12:13], 12, v4
	s_waitcnt lgkmcnt(0)
	v_fma_f32 v25, v25, v27, 0
	s_and_saveexec_b64 s[16:17], s[12:13]
	s_cbranch_execnz .LBB120_1231
; %bb.692:
	s_or_b64 exec, exec, s[16:17]
	v_cmp_gt_u32_e64 s[12:13], 8, v4
	s_and_saveexec_b64 s[16:17], s[12:13]
	s_cbranch_execnz .LBB120_1232
.LBB120_693:
	s_or_b64 exec, exec, s[16:17]
	v_cmp_gt_u32_e64 s[12:13], 4, v4
	s_and_saveexec_b64 s[16:17], s[12:13]
	s_cbranch_execz .LBB120_695
.LBB120_694:
	v_lshlrev_b32_e32 v26, 2, v0
	v_mov_b32_e32 v27, 0
	ds_read_b32 v26, v26 offset:9104
	ds_read_b32 v27, v27 offset:8332
	s_waitcnt lgkmcnt(0)
	v_fmac_f32_e32 v25, v26, v27
.LBB120_695:
	s_or_b64 exec, exec, s[16:17]
	v_xor_b32_e32 v25, 0x80000000, v25
.LBB120_696:
	s_or_b64 exec, exec, s[14:15]
	s_and_saveexec_b64 s[12:13], s[46:47]
	s_cbranch_execz .LBB120_698
; %bb.697:
	v_mov_b32_e32 v26, 0
	ds_read_b32 v26, v26 offset:9360
	s_waitcnt lgkmcnt(0)
	v_mul_f32_e32 v25, v25, v26
	ds_write_b32 v12, v25
.LBB120_698:
	s_or_b64 exec, exec, s[12:13]
	s_waitcnt lgkmcnt(0)
	s_barrier
	s_and_saveexec_b64 s[12:13], s[48:49]
	s_cbranch_execz .LBB120_700
; %bb.699:
	ds_read_b32 v26, v11 offset:9360
	ds_read_b32 v27, v12
	s_waitcnt lgkmcnt(0)
	v_fmac_f32_e32 v25, v26, v27
.LBB120_700:
	s_or_b64 exec, exec, s[12:13]
	s_barrier
	s_and_saveexec_b64 s[12:13], s[50:51]
	s_cbranch_execz .LBB120_702
; %bb.701:
	v_mov_b32_e32 v26, 0
	ds_read_b32 v26, v26 offset:9620
	s_waitcnt lgkmcnt(0)
	v_mul_f32_e32 v25, v25, v26
	ds_write_b32 v12, v25
.LBB120_702:
	s_or_b64 exec, exec, s[12:13]
	s_waitcnt lgkmcnt(0)
	s_barrier
	s_and_saveexec_b64 s[12:13], s[52:53]
	s_cbranch_execz .LBB120_704
; %bb.703:
	ds_read_b32 v26, v11 offset:9616
	ds_read_b32 v27, v12
	s_waitcnt lgkmcnt(0)
	v_fmac_f32_e32 v25, v26, v27
.LBB120_704:
	s_or_b64 exec, exec, s[12:13]
	s_barrier
	s_and_saveexec_b64 s[12:13], s[54:55]
	s_cbranch_execz .LBB120_706
; %bb.705:
	v_mov_b32_e32 v26, 0
	ds_read_b32 v26, v26 offset:9880
	s_waitcnt lgkmcnt(0)
	v_mul_f32_e32 v25, v25, v26
	ds_write_b32 v12, v25
.LBB120_706:
	s_or_b64 exec, exec, s[12:13]
	s_waitcnt lgkmcnt(0)
	s_barrier
	s_and_saveexec_b64 s[12:13], s[44:45]
	s_cbranch_execz .LBB120_708
; %bb.707:
	v_mov_b32_e32 v26, 0
	ds_read_b32 v26, v26 offset:9884
	ds_read_b32 v27, v12
	s_waitcnt lgkmcnt(0)
	v_fmac_f32_e32 v25, v26, v27
.LBB120_708:
	s_or_b64 exec, exec, s[12:13]
	s_barrier
	s_and_saveexec_b64 s[12:13], s[44:45]
	s_cbranch_execz .LBB120_710
; %bb.709:
	v_mov_b32_e32 v26, 0
	ds_read_b32 v26, v26 offset:10140
	s_waitcnt lgkmcnt(0)
	v_mul_f32_e32 v25, v25, v26
	ds_write_b32 v12, v25
.LBB120_710:
	s_or_b64 exec, exec, s[12:13]
	s_waitcnt lgkmcnt(0)
	s_barrier
	s_barrier
	s_and_saveexec_b64 s[12:13], s[18:19]
; %bb.711:
	v_xor_b32_e32 v25, 0x80000000, v25
	ds_write_b32 v6, v25 offset:8336
; %bb.712:
	s_or_b64 exec, exec, s[12:13]
	s_waitcnt lgkmcnt(0)
	s_barrier
	s_barrier
	s_and_saveexec_b64 s[12:13], s[56:57]
	s_cbranch_execz .LBB120_714
; %bb.713:
	v_lshlrev_b32_e32 v25, 8, v0
	ds_read_b32 v26, v25 offset:8336
	s_movk_i32 s14, 0xff04
	v_mad_i32_i24 v27, v0, s14, v25
	s_waitcnt lgkmcnt(0)
	ds_write_b32 v27, v26 offset:9344
	ds_read_b32 v26, v25 offset:8340
	s_waitcnt lgkmcnt(0)
	ds_write_b32 v27, v26 offset:9600
	ds_read_b32 v26, v25 offset:8344
	;; [unrolled: 3-line block ×3, first 2 shown]
	s_waitcnt lgkmcnt(0)
	ds_write_b32 v27, v25 offset:10112
.LBB120_714:
	s_or_b64 exec, exec, s[12:13]
	s_waitcnt lgkmcnt(0)
	s_barrier
	s_and_saveexec_b64 s[12:13], vcc
	s_cbranch_execz .LBB120_716
; %bb.715:
	v_mov_b32_e32 v27, 0
	ds_read_b64 v[25:26], v27 offset:9360
	ds_read_b32 v27, v27 offset:9620
	s_movk_i32 s14, 0x2400
	s_waitcnt lgkmcnt(0)
	v_mul_f32_e32 v25, v25, v27
	v_mul_f32_e32 v25, v26, v25
	v_add_u32_e64 v26, s14, 0
	ds_write2_b32 v26, v25, v25 offset0:37 offset1:100
.LBB120_716:
	s_or_b64 exec, exec, s[12:13]
	v_mov_b32_e32 v25, 0
	s_waitcnt lgkmcnt(0)
	s_barrier
	s_and_saveexec_b64 s[14:15], s[2:3]
	s_cbranch_execz .LBB120_720
; %bb.717:
	v_mul_u32_u24_e32 v25, 0x104, v5
	ds_read_b32 v27, v1 offset:9368
	ds_read_b32 v25, v25 offset:9360
	v_mov_b32_e32 v26, 0
	v_cmp_gt_u32_e64 s[12:13], 2, v4
	s_waitcnt lgkmcnt(0)
	v_fma_f32 v25, v27, v25, 0
	s_and_saveexec_b64 s[16:17], s[12:13]
	s_cbranch_execz .LBB120_719
; %bb.718:
	v_lshlrev_b32_e32 v27, 2, v0
	ds_read_b32 v27, v27 offset:9624
	ds_read_b32 v26, v26 offset:9364
	s_waitcnt lgkmcnt(0)
	v_fmac_f32_e32 v25, v27, v26
.LBB120_719:
	s_or_b64 exec, exec, s[16:17]
	v_xor_b32_e32 v25, 0x80000000, v25
.LBB120_720:
	s_or_b64 exec, exec, s[14:15]
	s_and_saveexec_b64 s[12:13], s[40:41]
	s_cbranch_execz .LBB120_722
; %bb.721:
	v_mov_b32_e32 v26, 0
	ds_read_b32 v26, v26 offset:9880
	s_waitcnt lgkmcnt(0)
	v_mul_f32_e32 v25, v25, v26
	ds_write_b32 v3, v25
.LBB120_722:
	s_or_b64 exec, exec, s[12:13]
	s_waitcnt lgkmcnt(0)
	s_barrier
	s_and_saveexec_b64 s[12:13], s[38:39]
	s_cbranch_execz .LBB120_724
; %bb.723:
	v_mov_b32_e32 v26, 0
	ds_read_b32 v26, v26 offset:9884
	ds_read_b32 v27, v3
	s_waitcnt lgkmcnt(0)
	v_fmac_f32_e32 v25, v26, v27
.LBB120_724:
	s_or_b64 exec, exec, s[12:13]
	s_barrier
	s_and_saveexec_b64 s[12:13], s[38:39]
	s_cbranch_execz .LBB120_726
; %bb.725:
	v_mov_b32_e32 v26, 0
	ds_read_b32 v26, v26 offset:10140
	s_waitcnt lgkmcnt(0)
	v_mul_f32_e32 v25, v25, v26
	ds_write_b32 v3, v25
.LBB120_726:
	s_or_b64 exec, exec, s[12:13]
	s_waitcnt lgkmcnt(0)
	s_barrier
	s_barrier
	s_and_saveexec_b64 s[12:13], s[2:3]
; %bb.727:
	v_xor_b32_e32 v25, 0x80000000, v25
	ds_write_b32 v1, v25 offset:9368
; %bb.728:
	s_or_b64 exec, exec, s[12:13]
	s_waitcnt lgkmcnt(0)
	s_barrier
	s_barrier
	s_and_saveexec_b64 s[12:13], s[42:43]
	s_cbranch_execz .LBB120_730
; %bb.729:
	v_lshlrev_b32_e32 v25, 2, v0
	s_movk_i32 s14, 0xfc
	v_mad_u32_u24 v26, v0, s14, v25
	ds_read_b32 v27, v26 offset:9368
	s_waitcnt lgkmcnt(0)
	ds_write_b32 v25, v27 offset:9872
	ds_read_b32 v26, v26 offset:9372
	s_waitcnt lgkmcnt(0)
	ds_write_b32 v25, v26 offset:10128
.LBB120_730:
	s_or_b64 exec, exec, s[12:13]
	s_waitcnt lgkmcnt(0)
	s_barrier
	s_and_saveexec_b64 s[12:13], vcc
	s_cbranch_execz .LBB120_732
; %bb.731:
	v_mov_b32_e32 v27, 0
	ds_read_b64 v[25:26], v27 offset:9880
	ds_read_b32 v27, v27 offset:10140
	s_movk_i32 s14, 0x2400
	s_waitcnt lgkmcnt(0)
	v_mul_f32_e32 v25, v25, v27
	v_mul_f32_e32 v25, v26, v25
	v_add_u32_e64 v26, s14, 0
	ds_write2_b32 v26, v25, v25 offset0:167 offset1:230
.LBB120_732:
	s_or_b64 exec, exec, s[12:13]
	v_mov_b32_e32 v25, 0
	s_waitcnt lgkmcnt(0)
	s_barrier
	s_and_saveexec_b64 s[14:15], s[8:9]
	s_cbranch_execz .LBB120_742
; %bb.733:
	v_mul_u32_u24_e32 v26, 0x104, v19
	ds_read_b32 v25, v15 offset:8352
	ds_read_b32 v27, v26 offset:8320
	v_cmp_gt_u32_e64 s[12:13], 56, v4
	s_waitcnt lgkmcnt(0)
	v_fma_f32 v25, v25, v27, 0
	s_and_saveexec_b64 s[16:17], s[12:13]
	s_cbranch_execnz .LBB120_1233
; %bb.734:
	s_or_b64 exec, exec, s[16:17]
	v_cmp_gt_u32_e64 s[12:13], 48, v4
	s_and_saveexec_b64 s[16:17], s[12:13]
	s_cbranch_execnz .LBB120_1234
.LBB120_735:
	s_or_b64 exec, exec, s[16:17]
	v_cmp_gt_u32_e64 s[12:13], 40, v4
	s_and_saveexec_b64 s[16:17], s[12:13]
	s_cbranch_execnz .LBB120_1235
.LBB120_736:
	s_or_b64 exec, exec, s[16:17]
	v_cmp_gt_u32_e64 s[12:13], 32, v4
	s_and_saveexec_b64 s[16:17], s[12:13]
	s_cbranch_execnz .LBB120_1236
.LBB120_737:
	s_or_b64 exec, exec, s[16:17]
	v_cmp_gt_u32_e64 s[12:13], 24, v4
	s_and_saveexec_b64 s[16:17], s[12:13]
	s_cbranch_execnz .LBB120_1237
.LBB120_738:
	s_or_b64 exec, exec, s[16:17]
	v_cmp_gt_u32_e64 s[12:13], 16, v4
	s_and_saveexec_b64 s[16:17], s[12:13]
	s_cbranch_execnz .LBB120_1238
.LBB120_739:
	s_or_b64 exec, exec, s[16:17]
	v_cmp_gt_u32_e64 s[12:13], 8, v4
	s_and_saveexec_b64 s[16:17], s[12:13]
	s_cbranch_execz .LBB120_741
.LBB120_740:
	v_lshlrev_b32_e32 v26, 2, v0
	v_mov_b32_e32 v27, 0
	ds_read_b32 v26, v26 offset:10144
	ds_read_b32 v27, v27 offset:8348
	s_waitcnt lgkmcnt(0)
	v_fmac_f32_e32 v25, v26, v27
.LBB120_741:
	s_or_b64 exec, exec, s[16:17]
	v_xor_b32_e32 v25, 0x80000000, v25
.LBB120_742:
	s_or_b64 exec, exec, s[14:15]
	s_and_saveexec_b64 s[12:13], s[58:59]
	s_cbranch_execz .LBB120_744
; %bb.743:
	v_mov_b32_e32 v26, 0
	ds_read_b32 v26, v26 offset:10400
	s_waitcnt lgkmcnt(0)
	v_mul_f32_e32 v25, v25, v26
	ds_write_b32 v17, v25
.LBB120_744:
	s_or_b64 exec, exec, s[12:13]
	s_waitcnt lgkmcnt(0)
	s_barrier
	s_and_saveexec_b64 s[12:13], s[60:61]
	s_cbranch_execz .LBB120_746
; %bb.745:
	ds_read_b32 v26, v16 offset:10400
	ds_read_b32 v27, v17
	s_waitcnt lgkmcnt(0)
	v_fmac_f32_e32 v25, v26, v27
.LBB120_746:
	s_or_b64 exec, exec, s[12:13]
	s_barrier
	s_and_saveexec_b64 s[12:13], s[62:63]
	s_cbranch_execz .LBB120_748
; %bb.747:
	v_mov_b32_e32 v26, 0
	ds_read_b32 v26, v26 offset:10660
	s_waitcnt lgkmcnt(0)
	v_mul_f32_e32 v25, v25, v26
	ds_write_b32 v17, v25
.LBB120_748:
	s_or_b64 exec, exec, s[12:13]
	s_waitcnt lgkmcnt(0)
	s_barrier
	s_and_saveexec_b64 s[12:13], s[64:65]
	s_cbranch_execz .LBB120_750
; %bb.749:
	ds_read_b32 v26, v16 offset:10656
	ds_read_b32 v27, v17
	s_waitcnt lgkmcnt(0)
	v_fmac_f32_e32 v25, v26, v27
.LBB120_750:
	s_or_b64 exec, exec, s[12:13]
	s_barrier
	;; [unrolled: 22-line block ×6, first 2 shown]
	s_and_saveexec_b64 s[12:13], s[84:85]
	s_cbranch_execz .LBB120_768
; %bb.767:
	v_mov_b32_e32 v26, 0
	ds_read_b32 v26, v26 offset:11960
	s_waitcnt lgkmcnt(0)
	v_mul_f32_e32 v25, v25, v26
	ds_write_b32 v17, v25
.LBB120_768:
	s_or_b64 exec, exec, s[12:13]
	s_waitcnt lgkmcnt(0)
	s_barrier
	s_and_saveexec_b64 s[12:13], s[66:67]
	s_cbranch_execz .LBB120_770
; %bb.769:
	v_mov_b32_e32 v26, 0
	ds_read_b32 v26, v26 offset:11964
	ds_read_b32 v27, v17
	s_waitcnt lgkmcnt(0)
	v_fmac_f32_e32 v25, v26, v27
.LBB120_770:
	s_or_b64 exec, exec, s[12:13]
	s_barrier
	s_and_saveexec_b64 s[12:13], s[66:67]
	s_cbranch_execz .LBB120_772
; %bb.771:
	v_mov_b32_e32 v26, 0
	ds_read_b32 v26, v26 offset:12220
	s_waitcnt lgkmcnt(0)
	v_mul_f32_e32 v25, v25, v26
	ds_write_b32 v17, v25
.LBB120_772:
	s_or_b64 exec, exec, s[12:13]
	s_waitcnt lgkmcnt(0)
	s_barrier
	s_barrier
	s_and_saveexec_b64 s[12:13], s[8:9]
; %bb.773:
	v_xor_b32_e32 v25, 0x80000000, v25
	ds_write_b32 v15, v25 offset:8352
; %bb.774:
	s_or_b64 exec, exec, s[12:13]
	s_waitcnt lgkmcnt(0)
	s_barrier
	s_barrier
	s_and_saveexec_b64 s[12:13], s[86:87]
	s_cbranch_execz .LBB120_776
; %bb.775:
	v_lshlrev_b32_e32 v25, 8, v0
	ds_read_b32 v26, v25 offset:8352
	s_movk_i32 s14, 0xff04
	v_mad_i32_i24 v27, v0, s14, v25
	s_waitcnt lgkmcnt(0)
	ds_write_b32 v27, v26 offset:10368
	ds_read_b32 v26, v25 offset:8356
	s_waitcnt lgkmcnt(0)
	ds_write_b32 v27, v26 offset:10624
	ds_read_b32 v26, v25 offset:8360
	;; [unrolled: 3-line block ×7, first 2 shown]
	s_waitcnt lgkmcnt(0)
	ds_write_b32 v27, v25 offset:12160
.LBB120_776:
	s_or_b64 exec, exec, s[12:13]
	s_waitcnt lgkmcnt(0)
	s_barrier
	s_and_saveexec_b64 s[12:13], vcc
	s_cbranch_execz .LBB120_778
; %bb.777:
	v_mov_b32_e32 v27, 0
	ds_read_b64 v[25:26], v27 offset:10400
	ds_read_b32 v27, v27 offset:10660
	s_movk_i32 s14, 0x2800
	s_waitcnt lgkmcnt(0)
	v_mul_f32_e32 v25, v25, v27
	v_mul_f32_e32 v25, v26, v25
	v_add_u32_e64 v26, s14, 0
	ds_write2_b32 v26, v25, v25 offset0:41 offset1:104
.LBB120_778:
	s_or_b64 exec, exec, s[12:13]
	v_mov_b32_e32 v25, 0
	s_waitcnt lgkmcnt(0)
	s_barrier
	s_and_saveexec_b64 s[14:15], s[2:3]
	s_cbranch_execz .LBB120_782
; %bb.779:
	v_mul_u32_u24_e32 v25, 0x104, v5
	ds_read_b32 v27, v1 offset:10408
	ds_read_b32 v25, v25 offset:10400
	v_mov_b32_e32 v26, 0
	v_cmp_gt_u32_e64 s[12:13], 2, v4
	s_waitcnt lgkmcnt(0)
	v_fma_f32 v25, v27, v25, 0
	s_and_saveexec_b64 s[16:17], s[12:13]
	s_cbranch_execz .LBB120_781
; %bb.780:
	v_lshlrev_b32_e32 v27, 2, v0
	ds_read_b32 v27, v27 offset:10664
	ds_read_b32 v26, v26 offset:10404
	s_waitcnt lgkmcnt(0)
	v_fmac_f32_e32 v25, v27, v26
.LBB120_781:
	s_or_b64 exec, exec, s[16:17]
	v_xor_b32_e32 v25, 0x80000000, v25
.LBB120_782:
	s_or_b64 exec, exec, s[14:15]
	s_and_saveexec_b64 s[12:13], s[40:41]
	s_cbranch_execz .LBB120_784
; %bb.783:
	v_mov_b32_e32 v26, 0
	ds_read_b32 v26, v26 offset:10920
	s_waitcnt lgkmcnt(0)
	v_mul_f32_e32 v25, v25, v26
	ds_write_b32 v3, v25
.LBB120_784:
	s_or_b64 exec, exec, s[12:13]
	s_waitcnt lgkmcnt(0)
	s_barrier
	s_and_saveexec_b64 s[12:13], s[38:39]
	s_cbranch_execz .LBB120_786
; %bb.785:
	v_mov_b32_e32 v26, 0
	ds_read_b32 v26, v26 offset:10924
	ds_read_b32 v27, v3
	s_waitcnt lgkmcnt(0)
	v_fmac_f32_e32 v25, v26, v27
.LBB120_786:
	s_or_b64 exec, exec, s[12:13]
	s_barrier
	s_and_saveexec_b64 s[12:13], s[38:39]
	s_cbranch_execz .LBB120_788
; %bb.787:
	v_mov_b32_e32 v26, 0
	ds_read_b32 v26, v26 offset:11180
	s_waitcnt lgkmcnt(0)
	v_mul_f32_e32 v25, v25, v26
	ds_write_b32 v3, v25
.LBB120_788:
	s_or_b64 exec, exec, s[12:13]
	s_waitcnt lgkmcnt(0)
	s_barrier
	s_barrier
	s_and_saveexec_b64 s[12:13], s[2:3]
; %bb.789:
	v_xor_b32_e32 v25, 0x80000000, v25
	ds_write_b32 v1, v25 offset:10408
; %bb.790:
	s_or_b64 exec, exec, s[12:13]
	s_waitcnt lgkmcnt(0)
	s_barrier
	s_barrier
	s_and_saveexec_b64 s[12:13], s[42:43]
	s_cbranch_execz .LBB120_792
; %bb.791:
	v_lshlrev_b32_e32 v25, 2, v0
	s_movk_i32 s14, 0xfc
	v_mad_u32_u24 v26, v0, s14, v25
	ds_read_b32 v27, v26 offset:10408
	s_waitcnt lgkmcnt(0)
	ds_write_b32 v25, v27 offset:10912
	ds_read_b32 v26, v26 offset:10412
	s_waitcnt lgkmcnt(0)
	ds_write_b32 v25, v26 offset:11168
.LBB120_792:
	s_or_b64 exec, exec, s[12:13]
	s_waitcnt lgkmcnt(0)
	s_barrier
	s_and_saveexec_b64 s[12:13], vcc
	s_cbranch_execz .LBB120_794
; %bb.793:
	v_mov_b32_e32 v27, 0
	ds_read_b64 v[25:26], v27 offset:10920
	ds_read_b32 v27, v27 offset:11180
	s_movk_i32 s14, 0x2800
	s_waitcnt lgkmcnt(0)
	v_mul_f32_e32 v25, v25, v27
	v_mul_f32_e32 v25, v26, v25
	v_add_u32_e64 v26, s14, 0
	ds_write2_b32 v26, v25, v25 offset0:171 offset1:234
.LBB120_794:
	s_or_b64 exec, exec, s[12:13]
	v_mov_b32_e32 v25, 0
	s_waitcnt lgkmcnt(0)
	s_barrier
	s_and_saveexec_b64 s[14:15], s[18:19]
	s_cbranch_execz .LBB120_800
; %bb.795:
	v_mul_u32_u24_e32 v26, 0x104, v14
	ds_read_b32 v25, v6 offset:10416
	ds_read_b32 v27, v26 offset:10400
	v_cmp_gt_u32_e64 s[12:13], 12, v4
	s_waitcnt lgkmcnt(0)
	v_fma_f32 v25, v25, v27, 0
	s_and_saveexec_b64 s[16:17], s[12:13]
	s_cbranch_execnz .LBB120_1239
; %bb.796:
	s_or_b64 exec, exec, s[16:17]
	v_cmp_gt_u32_e64 s[12:13], 8, v4
	s_and_saveexec_b64 s[16:17], s[12:13]
	s_cbranch_execnz .LBB120_1240
.LBB120_797:
	s_or_b64 exec, exec, s[16:17]
	v_cmp_gt_u32_e64 s[12:13], 4, v4
	s_and_saveexec_b64 s[16:17], s[12:13]
	s_cbranch_execz .LBB120_799
.LBB120_798:
	v_lshlrev_b32_e32 v26, 2, v0
	v_mov_b32_e32 v27, 0
	ds_read_b32 v26, v26 offset:11184
	ds_read_b32 v27, v27 offset:10412
	s_waitcnt lgkmcnt(0)
	v_fmac_f32_e32 v25, v26, v27
.LBB120_799:
	s_or_b64 exec, exec, s[16:17]
	v_xor_b32_e32 v25, 0x80000000, v25
.LBB120_800:
	s_or_b64 exec, exec, s[14:15]
	s_and_saveexec_b64 s[12:13], s[46:47]
	s_cbranch_execz .LBB120_802
; %bb.801:
	v_mov_b32_e32 v26, 0
	ds_read_b32 v26, v26 offset:11440
	s_waitcnt lgkmcnt(0)
	v_mul_f32_e32 v25, v25, v26
	ds_write_b32 v12, v25
.LBB120_802:
	s_or_b64 exec, exec, s[12:13]
	s_waitcnt lgkmcnt(0)
	s_barrier
	s_and_saveexec_b64 s[12:13], s[48:49]
	s_cbranch_execz .LBB120_804
; %bb.803:
	ds_read_b32 v26, v11 offset:11440
	ds_read_b32 v27, v12
	s_waitcnt lgkmcnt(0)
	v_fmac_f32_e32 v25, v26, v27
.LBB120_804:
	s_or_b64 exec, exec, s[12:13]
	s_barrier
	s_and_saveexec_b64 s[12:13], s[50:51]
	s_cbranch_execz .LBB120_806
; %bb.805:
	v_mov_b32_e32 v26, 0
	ds_read_b32 v26, v26 offset:11700
	s_waitcnt lgkmcnt(0)
	v_mul_f32_e32 v25, v25, v26
	ds_write_b32 v12, v25
.LBB120_806:
	s_or_b64 exec, exec, s[12:13]
	s_waitcnt lgkmcnt(0)
	s_barrier
	s_and_saveexec_b64 s[12:13], s[52:53]
	s_cbranch_execz .LBB120_808
; %bb.807:
	ds_read_b32 v26, v11 offset:11696
	ds_read_b32 v27, v12
	s_waitcnt lgkmcnt(0)
	v_fmac_f32_e32 v25, v26, v27
.LBB120_808:
	s_or_b64 exec, exec, s[12:13]
	s_barrier
	s_and_saveexec_b64 s[12:13], s[54:55]
	s_cbranch_execz .LBB120_810
; %bb.809:
	v_mov_b32_e32 v26, 0
	ds_read_b32 v26, v26 offset:11960
	s_waitcnt lgkmcnt(0)
	v_mul_f32_e32 v25, v25, v26
	ds_write_b32 v12, v25
.LBB120_810:
	s_or_b64 exec, exec, s[12:13]
	s_waitcnt lgkmcnt(0)
	s_barrier
	s_and_saveexec_b64 s[12:13], s[44:45]
	s_cbranch_execz .LBB120_812
; %bb.811:
	v_mov_b32_e32 v26, 0
	ds_read_b32 v26, v26 offset:11964
	ds_read_b32 v27, v12
	s_waitcnt lgkmcnt(0)
	v_fmac_f32_e32 v25, v26, v27
.LBB120_812:
	s_or_b64 exec, exec, s[12:13]
	s_barrier
	s_and_saveexec_b64 s[12:13], s[44:45]
	s_cbranch_execz .LBB120_814
; %bb.813:
	v_mov_b32_e32 v26, 0
	ds_read_b32 v26, v26 offset:12220
	s_waitcnt lgkmcnt(0)
	v_mul_f32_e32 v25, v25, v26
	ds_write_b32 v12, v25
.LBB120_814:
	s_or_b64 exec, exec, s[12:13]
	s_waitcnt lgkmcnt(0)
	s_barrier
	s_barrier
	s_and_saveexec_b64 s[12:13], s[18:19]
; %bb.815:
	v_xor_b32_e32 v25, 0x80000000, v25
	ds_write_b32 v6, v25 offset:10416
; %bb.816:
	s_or_b64 exec, exec, s[12:13]
	s_waitcnt lgkmcnt(0)
	s_barrier
	s_barrier
	s_and_saveexec_b64 s[12:13], s[56:57]
	s_cbranch_execz .LBB120_818
; %bb.817:
	v_lshlrev_b32_e32 v25, 8, v0
	ds_read_b32 v26, v25 offset:10416
	s_movk_i32 s14, 0xff04
	v_mad_i32_i24 v27, v0, s14, v25
	s_waitcnt lgkmcnt(0)
	ds_write_b32 v27, v26 offset:11424
	ds_read_b32 v26, v25 offset:10420
	s_waitcnt lgkmcnt(0)
	ds_write_b32 v27, v26 offset:11680
	ds_read_b32 v26, v25 offset:10424
	;; [unrolled: 3-line block ×3, first 2 shown]
	s_waitcnt lgkmcnt(0)
	ds_write_b32 v27, v25 offset:12192
.LBB120_818:
	s_or_b64 exec, exec, s[12:13]
	s_waitcnt lgkmcnt(0)
	s_barrier
	s_and_saveexec_b64 s[12:13], vcc
	s_cbranch_execz .LBB120_820
; %bb.819:
	v_mov_b32_e32 v27, 0
	ds_read_b64 v[25:26], v27 offset:11440
	ds_read_b32 v27, v27 offset:11700
	s_movk_i32 s14, 0x2c00
	s_waitcnt lgkmcnt(0)
	v_mul_f32_e32 v25, v25, v27
	v_mul_f32_e32 v25, v26, v25
	v_add_u32_e64 v26, s14, 0
	ds_write2_b32 v26, v25, v25 offset0:45 offset1:108
.LBB120_820:
	s_or_b64 exec, exec, s[12:13]
	v_mov_b32_e32 v25, 0
	s_waitcnt lgkmcnt(0)
	s_barrier
	s_and_saveexec_b64 s[14:15], s[2:3]
	s_cbranch_execz .LBB120_824
; %bb.821:
	v_mul_u32_u24_e32 v25, 0x104, v5
	ds_read_b32 v27, v1 offset:11448
	ds_read_b32 v25, v25 offset:11440
	v_mov_b32_e32 v26, 0
	v_cmp_gt_u32_e64 s[12:13], 2, v4
	s_waitcnt lgkmcnt(0)
	v_fma_f32 v25, v27, v25, 0
	s_and_saveexec_b64 s[16:17], s[12:13]
	s_cbranch_execz .LBB120_823
; %bb.822:
	v_lshlrev_b32_e32 v27, 2, v0
	ds_read_b32 v27, v27 offset:11704
	ds_read_b32 v26, v26 offset:11444
	s_waitcnt lgkmcnt(0)
	v_fmac_f32_e32 v25, v27, v26
.LBB120_823:
	s_or_b64 exec, exec, s[16:17]
	v_xor_b32_e32 v25, 0x80000000, v25
.LBB120_824:
	s_or_b64 exec, exec, s[14:15]
	s_and_saveexec_b64 s[12:13], s[40:41]
	s_cbranch_execz .LBB120_826
; %bb.825:
	v_mov_b32_e32 v26, 0
	ds_read_b32 v26, v26 offset:11960
	s_waitcnt lgkmcnt(0)
	v_mul_f32_e32 v25, v25, v26
	ds_write_b32 v3, v25
.LBB120_826:
	s_or_b64 exec, exec, s[12:13]
	s_waitcnt lgkmcnt(0)
	s_barrier
	s_and_saveexec_b64 s[12:13], s[38:39]
	s_cbranch_execz .LBB120_828
; %bb.827:
	v_mov_b32_e32 v26, 0
	ds_read_b32 v26, v26 offset:11964
	ds_read_b32 v27, v3
	s_waitcnt lgkmcnt(0)
	v_fmac_f32_e32 v25, v26, v27
.LBB120_828:
	s_or_b64 exec, exec, s[12:13]
	s_barrier
	s_and_saveexec_b64 s[12:13], s[38:39]
	s_cbranch_execz .LBB120_830
; %bb.829:
	v_mov_b32_e32 v26, 0
	ds_read_b32 v26, v26 offset:12220
	s_waitcnt lgkmcnt(0)
	v_mul_f32_e32 v25, v25, v26
	ds_write_b32 v3, v25
.LBB120_830:
	s_or_b64 exec, exec, s[12:13]
	s_waitcnt lgkmcnt(0)
	s_barrier
	s_barrier
	s_and_saveexec_b64 s[12:13], s[2:3]
; %bb.831:
	v_xor_b32_e32 v25, 0x80000000, v25
	ds_write_b32 v1, v25 offset:11448
; %bb.832:
	s_or_b64 exec, exec, s[12:13]
	s_waitcnt lgkmcnt(0)
	s_barrier
	s_barrier
	s_and_saveexec_b64 s[12:13], s[42:43]
	s_cbranch_execz .LBB120_834
; %bb.833:
	v_lshlrev_b32_e32 v25, 2, v0
	s_movk_i32 s14, 0xfc
	v_mad_u32_u24 v26, v0, s14, v25
	ds_read_b32 v27, v26 offset:11448
	s_waitcnt lgkmcnt(0)
	ds_write_b32 v25, v27 offset:11952
	ds_read_b32 v26, v26 offset:11452
	s_waitcnt lgkmcnt(0)
	ds_write_b32 v25, v26 offset:12208
.LBB120_834:
	s_or_b64 exec, exec, s[12:13]
	s_waitcnt lgkmcnt(0)
	s_barrier
	s_and_saveexec_b64 s[12:13], vcc
	s_cbranch_execz .LBB120_836
; %bb.835:
	v_mov_b32_e32 v27, 0
	ds_read_b64 v[25:26], v27 offset:11960
	ds_read_b32 v27, v27 offset:12220
	s_movk_i32 s14, 0x2c00
	s_waitcnt lgkmcnt(0)
	v_mul_f32_e32 v25, v25, v27
	v_mul_f32_e32 v25, v26, v25
	v_add_u32_e64 v26, s14, 0
	ds_write2_b32 v26, v25, v25 offset0:175 offset1:238
.LBB120_836:
	s_or_b64 exec, exec, s[12:13]
	v_mov_b32_e32 v25, 0
	s_waitcnt lgkmcnt(0)
	s_barrier
	s_and_saveexec_b64 s[14:15], s[10:11]
	s_cbranch_execz .LBB120_864
; %bb.837:
	v_mul_u32_u24_e32 v26, 0x104, v24
	ds_read_b32 v25, v20 offset:8384
	ds_read_b32 v27, v26 offset:8320
	s_movk_i32 s12, 0xf0
	v_cmp_gt_u32_e64 s[12:13], s12, v4
	s_waitcnt lgkmcnt(0)
	v_fma_f32 v25, v25, v27, 0
	s_and_saveexec_b64 s[16:17], s[12:13]
	s_cbranch_execz .LBB120_839
; %bb.838:
	v_lshlrev_b32_e32 v27, 2, v24
	v_sub_u32_e32 v27, v26, v27
	v_lshl_add_u32 v27, v21, 2, v27
	ds_read_b32 v27, v27 offset:8640
	ds_read_b32 v28, v26 offset:8324
	s_waitcnt lgkmcnt(0)
	v_fmac_f32_e32 v25, v27, v28
.LBB120_839:
	s_or_b64 exec, exec, s[16:17]
	s_movk_i32 s12, 0xe0
	v_cmp_gt_u32_e64 s[12:13], s12, v4
	s_and_saveexec_b64 s[16:17], s[12:13]
	s_cbranch_execz .LBB120_841
; %bb.840:
	v_lshlrev_b32_e32 v27, 2, v24
	v_sub_u32_e32 v27, v26, v27
	v_lshl_add_u32 v27, v21, 2, v27
	ds_read_b32 v27, v27 offset:8896
	ds_read_b32 v28, v26 offset:8328
	s_waitcnt lgkmcnt(0)
	v_fmac_f32_e32 v25, v27, v28
.LBB120_841:
	s_or_b64 exec, exec, s[16:17]
	s_movk_i32 s12, 0xd0
	v_cmp_gt_u32_e64 s[12:13], s12, v4
	;; [unrolled: 14-line block ×7, first 2 shown]
	s_and_saveexec_b64 s[16:17], s[12:13]
	s_cbranch_execz .LBB120_853
; %bb.852:
	ds_read_b32 v24, v20 offset:10432
	ds_read_b32 v27, v26 offset:8352
	s_waitcnt lgkmcnt(0)
	v_fmac_f32_e32 v25, v24, v27
.LBB120_853:
	s_or_b64 exec, exec, s[16:17]
	s_movk_i32 s12, 0x70
	v_cmp_gt_u32_e64 s[12:13], s12, v4
	s_and_saveexec_b64 s[16:17], s[12:13]
	s_cbranch_execz .LBB120_855
; %bb.854:
	v_lshlrev_b32_e32 v24, 2, v21
	v_lshl_add_u32 v24, v23, 2, v24
	ds_read_b32 v24, v24 offset:10688
	ds_read_b32 v27, v26 offset:8356
	s_waitcnt lgkmcnt(0)
	v_fmac_f32_e32 v25, v24, v27
.LBB120_855:
	s_or_b64 exec, exec, s[16:17]
	s_movk_i32 s12, 0x60
	v_cmp_gt_u32_e64 s[12:13], s12, v4
	s_and_saveexec_b64 s[16:17], s[12:13]
	s_cbranch_execz .LBB120_857
; %bb.856:
	v_lshlrev_b32_e32 v24, 2, v21
	v_lshl_add_u32 v24, v23, 2, v24
	ds_read_b32 v24, v24 offset:10944
	ds_read_b32 v27, v26 offset:8360
	s_waitcnt lgkmcnt(0)
	v_fmac_f32_e32 v25, v24, v27
.LBB120_857:
	s_or_b64 exec, exec, s[16:17]
	s_movk_i32 s12, 0x50
	v_cmp_gt_u32_e64 s[12:13], s12, v4
	s_and_saveexec_b64 s[16:17], s[12:13]
	s_cbranch_execnz .LBB120_1241
; %bb.858:
	s_or_b64 exec, exec, s[16:17]
	v_cmp_gt_u32_e64 s[12:13], 64, v4
	s_and_saveexec_b64 s[16:17], s[12:13]
	s_cbranch_execnz .LBB120_1242
.LBB120_859:
	s_or_b64 exec, exec, s[16:17]
	v_cmp_gt_u32_e64 s[12:13], 48, v4
	s_and_saveexec_b64 s[16:17], s[12:13]
	s_cbranch_execnz .LBB120_1243
.LBB120_860:
	s_or_b64 exec, exec, s[16:17]
	v_cmp_gt_u32_e64 s[12:13], 32, v4
	s_and_saveexec_b64 s[16:17], s[12:13]
	s_cbranch_execnz .LBB120_1244
.LBB120_861:
	s_or_b64 exec, exec, s[16:17]
	v_cmp_gt_u32_e64 s[12:13], 16, v4
	s_and_saveexec_b64 s[16:17], s[12:13]
	s_cbranch_execz .LBB120_863
.LBB120_862:
	v_lshlrev_b32_e32 v23, 2, v0
	v_mov_b32_e32 v24, 0
	ds_read_b32 v23, v23 offset:12224
	ds_read_b32 v24, v24 offset:8380
	s_waitcnt lgkmcnt(0)
	v_fmac_f32_e32 v25, v23, v24
.LBB120_863:
	s_or_b64 exec, exec, s[16:17]
	v_xor_b32_e32 v25, 0x80000000, v25
.LBB120_864:
	s_or_b64 exec, exec, s[14:15]
	s_mov_b64 s[12:13], exec
	v_readlane_b32 s14, v33, 3
	v_readlane_b32 s15, v33, 4
	s_and_b64 s[14:15], s[12:13], s[14:15]
	s_mov_b64 exec, s[14:15]
	s_cbranch_execz .LBB120_866
; %bb.865:
	v_mov_b32_e32 v23, 0
	ds_read_b32 v23, v23 offset:12480
	s_waitcnt lgkmcnt(0)
	v_mul_f32_e32 v25, v25, v23
	ds_write_b32 v22, v25
.LBB120_866:
	s_or_b64 exec, exec, s[12:13]
	s_waitcnt lgkmcnt(0)
	s_barrier
	s_mov_b64 s[12:13], exec
	v_readlane_b32 s14, v33, 5
	v_readlane_b32 s15, v33, 6
	s_and_b64 s[14:15], s[12:13], s[14:15]
	s_mov_b64 exec, s[14:15]
	s_cbranch_execz .LBB120_868
; %bb.867:
	v_lshlrev_b32_e32 v23, 2, v21
	ds_read_b32 v23, v23 offset:12480
	ds_read_b32 v24, v22
	s_waitcnt lgkmcnt(0)
	v_fmac_f32_e32 v25, v23, v24
.LBB120_868:
	s_or_b64 exec, exec, s[12:13]
	s_barrier
	s_mov_b64 s[12:13], exec
	v_readlane_b32 s14, v33, 7
	v_readlane_b32 s15, v33, 8
	s_and_b64 s[14:15], s[12:13], s[14:15]
	s_mov_b64 exec, s[14:15]
	s_cbranch_execz .LBB120_870
; %bb.869:
	v_mov_b32_e32 v23, 0
	ds_read_b32 v23, v23 offset:12740
	s_waitcnt lgkmcnt(0)
	v_mul_f32_e32 v25, v25, v23
	ds_write_b32 v22, v25
.LBB120_870:
	s_or_b64 exec, exec, s[12:13]
	s_waitcnt lgkmcnt(0)
	s_barrier
	s_mov_b64 s[12:13], exec
	v_readlane_b32 s14, v33, 9
	v_readlane_b32 s15, v33, 10
	s_and_b64 s[14:15], s[12:13], s[14:15]
	s_mov_b64 exec, s[14:15]
	s_cbranch_execz .LBB120_872
; %bb.871:
	v_lshlrev_b32_e32 v23, 2, v21
	ds_read_b32 v23, v23 offset:12736
	ds_read_b32 v24, v22
	s_waitcnt lgkmcnt(0)
	v_fmac_f32_e32 v25, v23, v24
.LBB120_872:
	s_or_b64 exec, exec, s[12:13]
	s_barrier
	;; [unrolled: 31-line block ×13, first 2 shown]
	s_mov_b64 s[12:13], exec
	v_readlane_b32 s14, v33, 55
	v_readlane_b32 s15, v33, 56
	s_and_b64 s[14:15], s[12:13], s[14:15]
	s_mov_b64 exec, s[14:15]
	s_cbranch_execz .LBB120_918
; %bb.917:
	v_mov_b32_e32 v23, 0
	ds_read_b32 v23, v23 offset:15860
	s_waitcnt lgkmcnt(0)
	v_mul_f32_e32 v25, v25, v23
	ds_write_b32 v22, v25
.LBB120_918:
	s_or_b64 exec, exec, s[12:13]
	s_waitcnt lgkmcnt(0)
	s_barrier
	s_and_saveexec_b64 s[12:13], s[0:1]
	s_cbranch_execz .LBB120_920
; %bb.919:
	v_lshlrev_b32_e32 v21, 2, v21
	ds_read_b32 v21, v21 offset:15808
	ds_read_b32 v23, v22
	s_waitcnt lgkmcnt(0)
	v_fmac_f32_e32 v25, v21, v23
.LBB120_920:
	s_or_b64 exec, exec, s[12:13]
	s_barrier
	s_mov_b64 s[0:1], exec
	v_readlane_b32 s12, v33, 57
	v_readlane_b32 s13, v33, 58
	s_and_b64 s[12:13], s[0:1], s[12:13]
	s_mov_b64 exec, s[12:13]
	s_cbranch_execz .LBB120_922
; %bb.921:
	v_mov_b32_e32 v21, 0
	ds_read_b32 v21, v21 offset:16120
	s_waitcnt lgkmcnt(0)
	v_mul_f32_e32 v25, v25, v21
	ds_write_b32 v22, v25
.LBB120_922:
	s_or_b64 exec, exec, s[0:1]
	s_waitcnt lgkmcnt(0)
	s_barrier
	s_and_saveexec_b64 s[0:1], s[92:93]
	s_cbranch_execz .LBB120_924
; %bb.923:
	v_mov_b32_e32 v21, 0
	ds_read_b32 v21, v21 offset:16124
	ds_read_b32 v23, v22
	s_waitcnt lgkmcnt(0)
	v_fmac_f32_e32 v25, v21, v23
.LBB120_924:
	s_or_b64 exec, exec, s[0:1]
	s_barrier
	s_and_saveexec_b64 s[0:1], s[92:93]
	s_cbranch_execz .LBB120_926
; %bb.925:
	v_mov_b32_e32 v21, 0
	ds_read_b32 v21, v21 offset:16380
	s_waitcnt lgkmcnt(0)
	v_mul_f32_e32 v25, v25, v21
	ds_write_b32 v22, v25
.LBB120_926:
	s_or_b64 exec, exec, s[0:1]
	s_waitcnt lgkmcnt(0)
	s_barrier
	s_barrier
	s_and_saveexec_b64 s[0:1], s[10:11]
; %bb.927:
	v_xor_b32_e32 v21, 0x80000000, v25
	ds_write_b32 v20, v21 offset:8384
; %bb.928:
	s_or_b64 exec, exec, s[0:1]
	s_waitcnt lgkmcnt(0)
	s_barrier
	s_barrier
	s_mov_b64 s[0:1], exec
	v_readlane_b32 s10, v33, 59
	v_readlane_b32 s11, v33, 60
	s_and_b64 s[10:11], s[0:1], s[10:11]
	s_mov_b64 exec, s[10:11]
	s_cbranch_execz .LBB120_930
; %bb.929:
	v_lshlrev_b32_e32 v20, 8, v0
	ds_read_b32 v21, v20 offset:8384
	s_movk_i32 s10, 0xff04
	v_mad_i32_i24 v22, v0, s10, v20
	s_waitcnt lgkmcnt(0)
	ds_write_b32 v22, v21 offset:12416
	ds_read_b32 v21, v20 offset:8388
	s_waitcnt lgkmcnt(0)
	ds_write_b32 v22, v21 offset:12672
	ds_read_b32 v21, v20 offset:8392
	;; [unrolled: 3-line block ×15, first 2 shown]
	s_waitcnt lgkmcnt(0)
	ds_write_b32 v22, v20 offset:16256
.LBB120_930:
	s_or_b64 exec, exec, s[0:1]
	s_waitcnt lgkmcnt(0)
	s_barrier
	s_and_saveexec_b64 s[0:1], vcc
	s_cbranch_execz .LBB120_932
; %bb.931:
	v_mov_b32_e32 v22, 0
	ds_read_b64 v[20:21], v22 offset:12480
	ds_read_b32 v22, v22 offset:12740
	s_movk_i32 s10, 0x3000
	s_waitcnt lgkmcnt(0)
	v_mul_f32_e32 v20, v20, v22
	v_mul_f32_e32 v20, v21, v20
	v_add_u32_e64 v21, s10, 0
	ds_write2_b32 v21, v20, v20 offset0:49 offset1:112
.LBB120_932:
	s_or_b64 exec, exec, s[0:1]
	v_mov_b32_e32 v20, 0
	s_waitcnt lgkmcnt(0)
	s_barrier
	s_and_saveexec_b64 s[0:1], s[2:3]
	s_cbranch_execz .LBB120_936
; %bb.933:
	v_mul_u32_u24_e32 v20, 0x104, v5
	ds_read_b32 v22, v1 offset:12488
	ds_read_b32 v20, v20 offset:12480
	v_mov_b32_e32 v21, 0
	v_cmp_gt_u32_e64 s[10:11], 2, v4
	s_waitcnt lgkmcnt(0)
	v_fma_f32 v20, v22, v20, 0
	s_and_saveexec_b64 s[12:13], s[10:11]
	s_cbranch_execz .LBB120_935
; %bb.934:
	v_lshlrev_b32_e32 v22, 2, v0
	ds_read_b32 v22, v22 offset:12744
	ds_read_b32 v21, v21 offset:12484
	s_waitcnt lgkmcnt(0)
	v_fmac_f32_e32 v20, v22, v21
.LBB120_935:
	s_or_b64 exec, exec, s[12:13]
	v_xor_b32_e32 v20, 0x80000000, v20
.LBB120_936:
	s_or_b64 exec, exec, s[0:1]
	s_and_saveexec_b64 s[0:1], s[40:41]
	s_cbranch_execz .LBB120_938
; %bb.937:
	v_mov_b32_e32 v21, 0
	ds_read_b32 v21, v21 offset:13000
	s_waitcnt lgkmcnt(0)
	v_mul_f32_e32 v20, v20, v21
	ds_write_b32 v3, v20
.LBB120_938:
	s_or_b64 exec, exec, s[0:1]
	s_waitcnt lgkmcnt(0)
	s_barrier
	s_and_saveexec_b64 s[0:1], s[38:39]
	s_cbranch_execz .LBB120_940
; %bb.939:
	v_mov_b32_e32 v21, 0
	ds_read_b32 v21, v21 offset:13004
	ds_read_b32 v22, v3
	s_waitcnt lgkmcnt(0)
	v_fmac_f32_e32 v20, v21, v22
.LBB120_940:
	s_or_b64 exec, exec, s[0:1]
	s_barrier
	s_and_saveexec_b64 s[0:1], s[38:39]
	s_cbranch_execz .LBB120_942
; %bb.941:
	v_mov_b32_e32 v21, 0
	ds_read_b32 v21, v21 offset:13260
	s_waitcnt lgkmcnt(0)
	v_mul_f32_e32 v20, v20, v21
	ds_write_b32 v3, v20
.LBB120_942:
	s_or_b64 exec, exec, s[0:1]
	s_waitcnt lgkmcnt(0)
	s_barrier
	s_barrier
	s_and_saveexec_b64 s[0:1], s[2:3]
; %bb.943:
	v_xor_b32_e32 v20, 0x80000000, v20
	ds_write_b32 v1, v20 offset:12488
; %bb.944:
	s_or_b64 exec, exec, s[0:1]
	s_waitcnt lgkmcnt(0)
	s_barrier
	s_barrier
	s_and_saveexec_b64 s[0:1], s[42:43]
	s_cbranch_execz .LBB120_946
; %bb.945:
	v_lshlrev_b32_e32 v20, 2, v0
	s_movk_i32 s10, 0xfc
	v_mad_u32_u24 v21, v0, s10, v20
	ds_read_b32 v22, v21 offset:12488
	s_waitcnt lgkmcnt(0)
	ds_write_b32 v20, v22 offset:12992
	ds_read_b32 v21, v21 offset:12492
	s_waitcnt lgkmcnt(0)
	ds_write_b32 v20, v21 offset:13248
.LBB120_946:
	s_or_b64 exec, exec, s[0:1]
	s_waitcnt lgkmcnt(0)
	s_barrier
	s_and_saveexec_b64 s[0:1], vcc
	s_cbranch_execz .LBB120_948
; %bb.947:
	v_mov_b32_e32 v22, 0
	ds_read_b64 v[20:21], v22 offset:13000
	ds_read_b32 v22, v22 offset:13260
	s_movk_i32 s10, 0x3000
	s_waitcnt lgkmcnt(0)
	v_mul_f32_e32 v20, v20, v22
	v_mul_f32_e32 v20, v21, v20
	v_add_u32_e64 v21, s10, 0
	ds_write2_b32 v21, v20, v20 offset0:179 offset1:242
.LBB120_948:
	s_or_b64 exec, exec, s[0:1]
	v_mov_b32_e32 v20, 0
	s_waitcnt lgkmcnt(0)
	s_barrier
	s_and_saveexec_b64 s[0:1], s[18:19]
	s_cbranch_execz .LBB120_954
; %bb.949:
	v_mul_u32_u24_e32 v21, 0x104, v14
	ds_read_b32 v20, v6 offset:12496
	ds_read_b32 v22, v21 offset:12480
	v_cmp_gt_u32_e64 s[10:11], 12, v4
	s_waitcnt lgkmcnt(0)
	v_fma_f32 v20, v20, v22, 0
	s_and_saveexec_b64 s[12:13], s[10:11]
	s_cbranch_execnz .LBB120_1245
; %bb.950:
	s_or_b64 exec, exec, s[12:13]
	v_cmp_gt_u32_e64 s[10:11], 8, v4
	s_and_saveexec_b64 s[12:13], s[10:11]
	s_cbranch_execnz .LBB120_1246
.LBB120_951:
	s_or_b64 exec, exec, s[12:13]
	v_cmp_gt_u32_e64 s[10:11], 4, v4
	s_and_saveexec_b64 s[12:13], s[10:11]
	s_cbranch_execz .LBB120_953
.LBB120_952:
	v_lshlrev_b32_e32 v21, 2, v0
	v_mov_b32_e32 v22, 0
	ds_read_b32 v21, v21 offset:13264
	ds_read_b32 v22, v22 offset:12492
	s_waitcnt lgkmcnt(0)
	v_fmac_f32_e32 v20, v21, v22
.LBB120_953:
	s_or_b64 exec, exec, s[12:13]
	v_xor_b32_e32 v20, 0x80000000, v20
.LBB120_954:
	s_or_b64 exec, exec, s[0:1]
	s_and_saveexec_b64 s[0:1], s[46:47]
	s_cbranch_execz .LBB120_956
; %bb.955:
	v_mov_b32_e32 v21, 0
	ds_read_b32 v21, v21 offset:13520
	s_waitcnt lgkmcnt(0)
	v_mul_f32_e32 v20, v20, v21
	ds_write_b32 v12, v20
.LBB120_956:
	s_or_b64 exec, exec, s[0:1]
	s_waitcnt lgkmcnt(0)
	s_barrier
	s_and_saveexec_b64 s[0:1], s[48:49]
	s_cbranch_execz .LBB120_958
; %bb.957:
	ds_read_b32 v21, v11 offset:13520
	ds_read_b32 v22, v12
	s_waitcnt lgkmcnt(0)
	v_fmac_f32_e32 v20, v21, v22
.LBB120_958:
	s_or_b64 exec, exec, s[0:1]
	s_barrier
	s_and_saveexec_b64 s[0:1], s[50:51]
	s_cbranch_execz .LBB120_960
; %bb.959:
	v_mov_b32_e32 v21, 0
	ds_read_b32 v21, v21 offset:13780
	s_waitcnt lgkmcnt(0)
	v_mul_f32_e32 v20, v20, v21
	ds_write_b32 v12, v20
.LBB120_960:
	s_or_b64 exec, exec, s[0:1]
	s_waitcnt lgkmcnt(0)
	s_barrier
	s_and_saveexec_b64 s[0:1], s[52:53]
	s_cbranch_execz .LBB120_962
; %bb.961:
	ds_read_b32 v21, v11 offset:13776
	ds_read_b32 v22, v12
	s_waitcnt lgkmcnt(0)
	v_fmac_f32_e32 v20, v21, v22
.LBB120_962:
	s_or_b64 exec, exec, s[0:1]
	s_barrier
	s_and_saveexec_b64 s[0:1], s[54:55]
	s_cbranch_execz .LBB120_964
; %bb.963:
	v_mov_b32_e32 v21, 0
	ds_read_b32 v21, v21 offset:14040
	s_waitcnt lgkmcnt(0)
	v_mul_f32_e32 v20, v20, v21
	ds_write_b32 v12, v20
.LBB120_964:
	s_or_b64 exec, exec, s[0:1]
	s_waitcnt lgkmcnt(0)
	s_barrier
	s_and_saveexec_b64 s[0:1], s[44:45]
	s_cbranch_execz .LBB120_966
; %bb.965:
	v_mov_b32_e32 v21, 0
	ds_read_b32 v21, v21 offset:14044
	ds_read_b32 v22, v12
	s_waitcnt lgkmcnt(0)
	v_fmac_f32_e32 v20, v21, v22
.LBB120_966:
	s_or_b64 exec, exec, s[0:1]
	s_barrier
	s_and_saveexec_b64 s[0:1], s[44:45]
	s_cbranch_execz .LBB120_968
; %bb.967:
	v_mov_b32_e32 v21, 0
	ds_read_b32 v21, v21 offset:14300
	s_waitcnt lgkmcnt(0)
	v_mul_f32_e32 v20, v20, v21
	ds_write_b32 v12, v20
.LBB120_968:
	s_or_b64 exec, exec, s[0:1]
	s_waitcnt lgkmcnt(0)
	s_barrier
	s_barrier
	s_and_saveexec_b64 s[0:1], s[18:19]
; %bb.969:
	v_xor_b32_e32 v20, 0x80000000, v20
	ds_write_b32 v6, v20 offset:12496
; %bb.970:
	s_or_b64 exec, exec, s[0:1]
	s_waitcnt lgkmcnt(0)
	s_barrier
	s_barrier
	s_and_saveexec_b64 s[0:1], s[56:57]
	s_cbranch_execz .LBB120_972
; %bb.971:
	v_lshlrev_b32_e32 v20, 8, v0
	ds_read_b32 v21, v20 offset:12496
	s_movk_i32 s10, 0xff04
	v_mad_i32_i24 v22, v0, s10, v20
	s_waitcnt lgkmcnt(0)
	ds_write_b32 v22, v21 offset:13504
	ds_read_b32 v21, v20 offset:12500
	s_waitcnt lgkmcnt(0)
	ds_write_b32 v22, v21 offset:13760
	ds_read_b32 v21, v20 offset:12504
	;; [unrolled: 3-line block ×3, first 2 shown]
	s_waitcnt lgkmcnt(0)
	ds_write_b32 v22, v20 offset:14272
.LBB120_972:
	s_or_b64 exec, exec, s[0:1]
	s_waitcnt lgkmcnt(0)
	s_barrier
	s_and_saveexec_b64 s[0:1], vcc
	s_cbranch_execz .LBB120_974
; %bb.973:
	v_mov_b32_e32 v22, 0
	ds_read_b64 v[20:21], v22 offset:13520
	ds_read_b32 v22, v22 offset:13780
	s_movk_i32 s10, 0x3400
	s_waitcnt lgkmcnt(0)
	v_mul_f32_e32 v20, v20, v22
	v_mul_f32_e32 v20, v21, v20
	v_add_u32_e64 v21, s10, 0
	ds_write2_b32 v21, v20, v20 offset0:53 offset1:116
.LBB120_974:
	s_or_b64 exec, exec, s[0:1]
	v_mov_b32_e32 v20, 0
	s_waitcnt lgkmcnt(0)
	s_barrier
	s_and_saveexec_b64 s[0:1], s[2:3]
	s_cbranch_execz .LBB120_978
; %bb.975:
	v_mul_u32_u24_e32 v20, 0x104, v5
	ds_read_b32 v22, v1 offset:13528
	ds_read_b32 v20, v20 offset:13520
	v_mov_b32_e32 v21, 0
	v_cmp_gt_u32_e64 s[10:11], 2, v4
	s_waitcnt lgkmcnt(0)
	v_fma_f32 v20, v22, v20, 0
	s_and_saveexec_b64 s[12:13], s[10:11]
	s_cbranch_execz .LBB120_977
; %bb.976:
	v_lshlrev_b32_e32 v22, 2, v0
	ds_read_b32 v22, v22 offset:13784
	ds_read_b32 v21, v21 offset:13524
	s_waitcnt lgkmcnt(0)
	v_fmac_f32_e32 v20, v22, v21
.LBB120_977:
	s_or_b64 exec, exec, s[12:13]
	v_xor_b32_e32 v20, 0x80000000, v20
.LBB120_978:
	s_or_b64 exec, exec, s[0:1]
	s_and_saveexec_b64 s[0:1], s[40:41]
	s_cbranch_execz .LBB120_980
; %bb.979:
	v_mov_b32_e32 v21, 0
	ds_read_b32 v21, v21 offset:14040
	s_waitcnt lgkmcnt(0)
	v_mul_f32_e32 v20, v20, v21
	ds_write_b32 v3, v20
.LBB120_980:
	s_or_b64 exec, exec, s[0:1]
	s_waitcnt lgkmcnt(0)
	s_barrier
	s_and_saveexec_b64 s[0:1], s[38:39]
	s_cbranch_execz .LBB120_982
; %bb.981:
	v_mov_b32_e32 v21, 0
	ds_read_b32 v21, v21 offset:14044
	ds_read_b32 v22, v3
	s_waitcnt lgkmcnt(0)
	v_fmac_f32_e32 v20, v21, v22
.LBB120_982:
	s_or_b64 exec, exec, s[0:1]
	s_barrier
	s_and_saveexec_b64 s[0:1], s[38:39]
	s_cbranch_execz .LBB120_984
; %bb.983:
	v_mov_b32_e32 v21, 0
	ds_read_b32 v21, v21 offset:14300
	s_waitcnt lgkmcnt(0)
	v_mul_f32_e32 v20, v20, v21
	ds_write_b32 v3, v20
.LBB120_984:
	s_or_b64 exec, exec, s[0:1]
	s_waitcnt lgkmcnt(0)
	s_barrier
	s_barrier
	s_and_saveexec_b64 s[0:1], s[2:3]
; %bb.985:
	v_xor_b32_e32 v20, 0x80000000, v20
	ds_write_b32 v1, v20 offset:13528
; %bb.986:
	s_or_b64 exec, exec, s[0:1]
	s_waitcnt lgkmcnt(0)
	s_barrier
	s_barrier
	s_and_saveexec_b64 s[0:1], s[42:43]
	s_cbranch_execz .LBB120_988
; %bb.987:
	v_lshlrev_b32_e32 v20, 2, v0
	s_movk_i32 s10, 0xfc
	v_mad_u32_u24 v21, v0, s10, v20
	ds_read_b32 v22, v21 offset:13528
	s_waitcnt lgkmcnt(0)
	ds_write_b32 v20, v22 offset:14032
	ds_read_b32 v21, v21 offset:13532
	s_waitcnt lgkmcnt(0)
	ds_write_b32 v20, v21 offset:14288
.LBB120_988:
	s_or_b64 exec, exec, s[0:1]
	s_waitcnt lgkmcnt(0)
	s_barrier
	s_and_saveexec_b64 s[0:1], vcc
	s_cbranch_execz .LBB120_990
; %bb.989:
	v_mov_b32_e32 v22, 0
	ds_read_b64 v[20:21], v22 offset:14040
	ds_read_b32 v22, v22 offset:14300
	s_movk_i32 s10, 0x3400
	s_waitcnt lgkmcnt(0)
	v_mul_f32_e32 v20, v20, v22
	v_mul_f32_e32 v20, v21, v20
	v_add_u32_e64 v21, s10, 0
	ds_write2_b32 v21, v20, v20 offset0:183 offset1:246
.LBB120_990:
	s_or_b64 exec, exec, s[0:1]
	v_mov_b32_e32 v20, 0
	s_waitcnt lgkmcnt(0)
	s_barrier
	s_and_saveexec_b64 s[0:1], s[8:9]
	s_cbranch_execz .LBB120_1000
; %bb.991:
	v_mul_u32_u24_e32 v21, 0x104, v19
	ds_read_b32 v20, v15 offset:12512
	ds_read_b32 v22, v21 offset:12480
	v_cmp_gt_u32_e64 s[10:11], 56, v4
	s_waitcnt lgkmcnt(0)
	v_fma_f32 v20, v20, v22, 0
	s_and_saveexec_b64 s[12:13], s[10:11]
	s_cbranch_execnz .LBB120_1247
; %bb.992:
	s_or_b64 exec, exec, s[12:13]
	v_cmp_gt_u32_e64 s[10:11], 48, v4
	s_and_saveexec_b64 s[12:13], s[10:11]
	s_cbranch_execnz .LBB120_1248
.LBB120_993:
	s_or_b64 exec, exec, s[12:13]
	v_cmp_gt_u32_e64 s[10:11], 40, v4
	s_and_saveexec_b64 s[12:13], s[10:11]
	s_cbranch_execnz .LBB120_1249
.LBB120_994:
	s_or_b64 exec, exec, s[12:13]
	v_cmp_gt_u32_e64 s[10:11], 32, v4
	s_and_saveexec_b64 s[12:13], s[10:11]
	s_cbranch_execnz .LBB120_1250
.LBB120_995:
	s_or_b64 exec, exec, s[12:13]
	v_cmp_gt_u32_e64 s[10:11], 24, v4
	s_and_saveexec_b64 s[12:13], s[10:11]
	s_cbranch_execnz .LBB120_1251
.LBB120_996:
	s_or_b64 exec, exec, s[12:13]
	v_cmp_gt_u32_e64 s[10:11], 16, v4
	s_and_saveexec_b64 s[12:13], s[10:11]
	s_cbranch_execnz .LBB120_1252
.LBB120_997:
	s_or_b64 exec, exec, s[12:13]
	v_cmp_gt_u32_e64 s[10:11], 8, v4
	s_and_saveexec_b64 s[12:13], s[10:11]
	s_cbranch_execz .LBB120_999
.LBB120_998:
	v_lshlrev_b32_e32 v18, 2, v0
	v_mov_b32_e32 v19, 0
	ds_read_b32 v18, v18 offset:14304
	ds_read_b32 v19, v19 offset:12508
	s_waitcnt lgkmcnt(0)
	v_fmac_f32_e32 v20, v18, v19
.LBB120_999:
	s_or_b64 exec, exec, s[12:13]
	v_xor_b32_e32 v20, 0x80000000, v20
.LBB120_1000:
	s_or_b64 exec, exec, s[0:1]
	s_and_saveexec_b64 s[0:1], s[58:59]
	s_cbranch_execz .LBB120_1002
; %bb.1001:
	v_mov_b32_e32 v18, 0
	ds_read_b32 v18, v18 offset:14560
	s_waitcnt lgkmcnt(0)
	v_mul_f32_e32 v20, v20, v18
	ds_write_b32 v17, v20
.LBB120_1002:
	s_or_b64 exec, exec, s[0:1]
	s_waitcnt lgkmcnt(0)
	s_barrier
	s_and_saveexec_b64 s[0:1], s[60:61]
	s_cbranch_execz .LBB120_1004
; %bb.1003:
	ds_read_b32 v18, v16 offset:14560
	ds_read_b32 v19, v17
	s_waitcnt lgkmcnt(0)
	v_fmac_f32_e32 v20, v18, v19
.LBB120_1004:
	s_or_b64 exec, exec, s[0:1]
	s_barrier
	s_and_saveexec_b64 s[0:1], s[62:63]
	s_cbranch_execz .LBB120_1006
; %bb.1005:
	v_mov_b32_e32 v18, 0
	ds_read_b32 v18, v18 offset:14820
	s_waitcnt lgkmcnt(0)
	v_mul_f32_e32 v20, v20, v18
	ds_write_b32 v17, v20
.LBB120_1006:
	s_or_b64 exec, exec, s[0:1]
	s_waitcnt lgkmcnt(0)
	s_barrier
	s_and_saveexec_b64 s[0:1], s[64:65]
	s_cbranch_execz .LBB120_1008
; %bb.1007:
	ds_read_b32 v18, v16 offset:14816
	ds_read_b32 v19, v17
	s_waitcnt lgkmcnt(0)
	v_fmac_f32_e32 v20, v18, v19
.LBB120_1008:
	s_or_b64 exec, exec, s[0:1]
	s_barrier
	;; [unrolled: 22-line block ×6, first 2 shown]
	s_and_saveexec_b64 s[0:1], s[84:85]
	s_cbranch_execz .LBB120_1026
; %bb.1025:
	v_mov_b32_e32 v16, 0
	ds_read_b32 v16, v16 offset:16120
	s_waitcnt lgkmcnt(0)
	v_mul_f32_e32 v20, v20, v16
	ds_write_b32 v17, v20
.LBB120_1026:
	s_or_b64 exec, exec, s[0:1]
	s_waitcnt lgkmcnt(0)
	s_barrier
	s_and_saveexec_b64 s[0:1], s[66:67]
	s_cbranch_execz .LBB120_1028
; %bb.1027:
	v_mov_b32_e32 v16, 0
	ds_read_b32 v16, v16 offset:16124
	ds_read_b32 v18, v17
	s_waitcnt lgkmcnt(0)
	v_fmac_f32_e32 v20, v16, v18
.LBB120_1028:
	s_or_b64 exec, exec, s[0:1]
	s_barrier
	s_and_saveexec_b64 s[0:1], s[66:67]
	s_cbranch_execz .LBB120_1030
; %bb.1029:
	v_mov_b32_e32 v16, 0
	ds_read_b32 v16, v16 offset:16380
	s_waitcnt lgkmcnt(0)
	v_mul_f32_e32 v20, v20, v16
	ds_write_b32 v17, v20
.LBB120_1030:
	s_or_b64 exec, exec, s[0:1]
	s_waitcnt lgkmcnt(0)
	s_barrier
	s_barrier
	s_and_saveexec_b64 s[0:1], s[8:9]
; %bb.1031:
	v_xor_b32_e32 v16, 0x80000000, v20
	ds_write_b32 v15, v16 offset:12512
; %bb.1032:
	s_or_b64 exec, exec, s[0:1]
	s_waitcnt lgkmcnt(0)
	s_barrier
	s_barrier
	s_and_saveexec_b64 s[0:1], s[86:87]
	s_cbranch_execz .LBB120_1034
; %bb.1033:
	v_lshlrev_b32_e32 v15, 8, v0
	ds_read_b32 v16, v15 offset:12512
	s_movk_i32 s8, 0xff04
	v_mad_i32_i24 v17, v0, s8, v15
	s_waitcnt lgkmcnt(0)
	ds_write_b32 v17, v16 offset:14528
	ds_read_b32 v16, v15 offset:12516
	s_waitcnt lgkmcnt(0)
	ds_write_b32 v17, v16 offset:14784
	ds_read_b32 v16, v15 offset:12520
	;; [unrolled: 3-line block ×7, first 2 shown]
	s_waitcnt lgkmcnt(0)
	ds_write_b32 v17, v15 offset:16320
.LBB120_1034:
	s_or_b64 exec, exec, s[0:1]
	s_waitcnt lgkmcnt(0)
	s_barrier
	s_and_saveexec_b64 s[0:1], vcc
	s_cbranch_execz .LBB120_1036
; %bb.1035:
	v_mov_b32_e32 v17, 0
	ds_read_b64 v[15:16], v17 offset:14560
	ds_read_b32 v17, v17 offset:14820
	s_movk_i32 s8, 0x3800
	s_waitcnt lgkmcnt(0)
	v_mul_f32_e32 v15, v15, v17
	v_mul_f32_e32 v15, v16, v15
	v_add_u32_e64 v16, s8, 0
	ds_write2_b32 v16, v15, v15 offset0:57 offset1:120
.LBB120_1036:
	s_or_b64 exec, exec, s[0:1]
	v_mov_b32_e32 v15, 0
	s_waitcnt lgkmcnt(0)
	s_barrier
	s_and_saveexec_b64 s[0:1], s[2:3]
	s_cbranch_execz .LBB120_1040
; %bb.1037:
	v_mul_u32_u24_e32 v15, 0x104, v5
	ds_read_b32 v17, v1 offset:14568
	ds_read_b32 v15, v15 offset:14560
	v_mov_b32_e32 v16, 0
	v_cmp_gt_u32_e64 s[8:9], 2, v4
	s_waitcnt lgkmcnt(0)
	v_fma_f32 v15, v17, v15, 0
	s_and_saveexec_b64 s[10:11], s[8:9]
	s_cbranch_execz .LBB120_1039
; %bb.1038:
	v_lshlrev_b32_e32 v17, 2, v0
	ds_read_b32 v17, v17 offset:14824
	ds_read_b32 v16, v16 offset:14564
	s_waitcnt lgkmcnt(0)
	v_fmac_f32_e32 v15, v17, v16
.LBB120_1039:
	s_or_b64 exec, exec, s[10:11]
	v_xor_b32_e32 v15, 0x80000000, v15
.LBB120_1040:
	s_or_b64 exec, exec, s[0:1]
	s_and_saveexec_b64 s[0:1], s[40:41]
	s_cbranch_execz .LBB120_1042
; %bb.1041:
	v_mov_b32_e32 v16, 0
	ds_read_b32 v16, v16 offset:15080
	s_waitcnt lgkmcnt(0)
	v_mul_f32_e32 v15, v15, v16
	ds_write_b32 v3, v15
.LBB120_1042:
	s_or_b64 exec, exec, s[0:1]
	s_waitcnt lgkmcnt(0)
	s_barrier
	s_and_saveexec_b64 s[0:1], s[38:39]
	s_cbranch_execz .LBB120_1044
; %bb.1043:
	v_mov_b32_e32 v16, 0
	ds_read_b32 v16, v16 offset:15084
	ds_read_b32 v17, v3
	s_waitcnt lgkmcnt(0)
	v_fmac_f32_e32 v15, v16, v17
.LBB120_1044:
	s_or_b64 exec, exec, s[0:1]
	s_barrier
	s_and_saveexec_b64 s[0:1], s[38:39]
	s_cbranch_execz .LBB120_1046
; %bb.1045:
	v_mov_b32_e32 v16, 0
	ds_read_b32 v16, v16 offset:15340
	s_waitcnt lgkmcnt(0)
	v_mul_f32_e32 v15, v15, v16
	ds_write_b32 v3, v15
.LBB120_1046:
	s_or_b64 exec, exec, s[0:1]
	s_waitcnt lgkmcnt(0)
	s_barrier
	s_barrier
	s_and_saveexec_b64 s[0:1], s[2:3]
; %bb.1047:
	v_xor_b32_e32 v15, 0x80000000, v15
	ds_write_b32 v1, v15 offset:14568
; %bb.1048:
	s_or_b64 exec, exec, s[0:1]
	s_waitcnt lgkmcnt(0)
	s_barrier
	s_barrier
	s_and_saveexec_b64 s[0:1], s[42:43]
	s_cbranch_execz .LBB120_1050
; %bb.1049:
	v_lshlrev_b32_e32 v15, 2, v0
	s_movk_i32 s8, 0xfc
	v_mad_u32_u24 v16, v0, s8, v15
	ds_read_b32 v17, v16 offset:14568
	s_waitcnt lgkmcnt(0)
	ds_write_b32 v15, v17 offset:15072
	ds_read_b32 v16, v16 offset:14572
	s_waitcnt lgkmcnt(0)
	ds_write_b32 v15, v16 offset:15328
.LBB120_1050:
	s_or_b64 exec, exec, s[0:1]
	s_waitcnt lgkmcnt(0)
	s_barrier
	s_and_saveexec_b64 s[0:1], vcc
	s_cbranch_execz .LBB120_1052
; %bb.1051:
	v_mov_b32_e32 v17, 0
	ds_read_b64 v[15:16], v17 offset:15080
	ds_read_b32 v17, v17 offset:15340
	s_movk_i32 s8, 0x3800
	s_waitcnt lgkmcnt(0)
	v_mul_f32_e32 v15, v15, v17
	v_mul_f32_e32 v15, v16, v15
	v_add_u32_e64 v16, s8, 0
	ds_write2_b32 v16, v15, v15 offset0:187 offset1:250
.LBB120_1052:
	s_or_b64 exec, exec, s[0:1]
	v_mov_b32_e32 v15, 0
	s_waitcnt lgkmcnt(0)
	s_barrier
	s_and_saveexec_b64 s[0:1], s[18:19]
	s_cbranch_execz .LBB120_1058
; %bb.1053:
	v_mul_u32_u24_e32 v16, 0x104, v14
	ds_read_b32 v15, v6 offset:14576
	ds_read_b32 v17, v16 offset:14560
	v_cmp_gt_u32_e64 s[8:9], 12, v4
	s_waitcnt lgkmcnt(0)
	v_fma_f32 v15, v15, v17, 0
	s_and_saveexec_b64 s[10:11], s[8:9]
	s_cbranch_execnz .LBB120_1253
; %bb.1054:
	s_or_b64 exec, exec, s[10:11]
	v_cmp_gt_u32_e64 s[8:9], 8, v4
	s_and_saveexec_b64 s[10:11], s[8:9]
	s_cbranch_execnz .LBB120_1254
.LBB120_1055:
	s_or_b64 exec, exec, s[10:11]
	v_cmp_gt_u32_e64 s[8:9], 4, v4
	s_and_saveexec_b64 s[10:11], s[8:9]
	s_cbranch_execz .LBB120_1057
.LBB120_1056:
	v_lshlrev_b32_e32 v13, 2, v0
	v_mov_b32_e32 v14, 0
	ds_read_b32 v13, v13 offset:15344
	ds_read_b32 v14, v14 offset:14572
	s_waitcnt lgkmcnt(0)
	v_fmac_f32_e32 v15, v13, v14
.LBB120_1057:
	s_or_b64 exec, exec, s[10:11]
	v_xor_b32_e32 v15, 0x80000000, v15
.LBB120_1058:
	s_or_b64 exec, exec, s[0:1]
	s_and_saveexec_b64 s[0:1], s[46:47]
	s_cbranch_execz .LBB120_1060
; %bb.1059:
	v_mov_b32_e32 v13, 0
	ds_read_b32 v13, v13 offset:15600
	s_waitcnt lgkmcnt(0)
	v_mul_f32_e32 v15, v15, v13
	ds_write_b32 v12, v15
.LBB120_1060:
	s_or_b64 exec, exec, s[0:1]
	s_waitcnt lgkmcnt(0)
	s_barrier
	s_and_saveexec_b64 s[0:1], s[48:49]
	v_readlane_b32 s46, v33, 1
	v_readlane_b32 s47, v33, 2
	s_cbranch_execz .LBB120_1062
; %bb.1061:
	ds_read_b32 v13, v11 offset:15600
	ds_read_b32 v14, v12
	s_waitcnt lgkmcnt(0)
	v_fmac_f32_e32 v15, v13, v14
.LBB120_1062:
	s_or_b64 exec, exec, s[0:1]
	s_barrier
	s_and_saveexec_b64 s[0:1], s[50:51]
	s_cbranch_execz .LBB120_1064
; %bb.1063:
	v_mov_b32_e32 v13, 0
	ds_read_b32 v13, v13 offset:15860
	s_waitcnt lgkmcnt(0)
	v_mul_f32_e32 v15, v15, v13
	ds_write_b32 v12, v15
.LBB120_1064:
	s_or_b64 exec, exec, s[0:1]
	s_waitcnt lgkmcnt(0)
	s_barrier
	s_and_saveexec_b64 s[0:1], s[52:53]
	s_cbranch_execz .LBB120_1066
; %bb.1065:
	ds_read_b32 v11, v11 offset:15856
	ds_read_b32 v13, v12
	s_waitcnt lgkmcnt(0)
	v_fmac_f32_e32 v15, v11, v13
.LBB120_1066:
	s_or_b64 exec, exec, s[0:1]
	s_barrier
	s_and_saveexec_b64 s[0:1], s[54:55]
	s_cbranch_execz .LBB120_1068
; %bb.1067:
	v_mov_b32_e32 v11, 0
	ds_read_b32 v11, v11 offset:16120
	s_waitcnt lgkmcnt(0)
	v_mul_f32_e32 v15, v15, v11
	ds_write_b32 v12, v15
.LBB120_1068:
	s_or_b64 exec, exec, s[0:1]
	s_waitcnt lgkmcnt(0)
	s_barrier
	s_and_saveexec_b64 s[0:1], s[44:45]
	s_cbranch_execz .LBB120_1070
; %bb.1069:
	v_mov_b32_e32 v11, 0
	ds_read_b32 v11, v11 offset:16124
	ds_read_b32 v13, v12
	s_waitcnt lgkmcnt(0)
	v_fmac_f32_e32 v15, v11, v13
.LBB120_1070:
	s_or_b64 exec, exec, s[0:1]
	s_barrier
	s_and_saveexec_b64 s[0:1], s[44:45]
	s_cbranch_execz .LBB120_1072
; %bb.1071:
	v_mov_b32_e32 v11, 0
	ds_read_b32 v11, v11 offset:16380
	s_waitcnt lgkmcnt(0)
	v_mul_f32_e32 v15, v15, v11
	ds_write_b32 v12, v15
.LBB120_1072:
	s_or_b64 exec, exec, s[0:1]
	s_waitcnt lgkmcnt(0)
	s_barrier
	s_barrier
	s_and_saveexec_b64 s[0:1], s[18:19]
; %bb.1073:
	v_xor_b32_e32 v11, 0x80000000, v15
	ds_write_b32 v6, v11 offset:14576
; %bb.1074:
	s_or_b64 exec, exec, s[0:1]
	s_waitcnt lgkmcnt(0)
	s_barrier
	s_barrier
	s_and_saveexec_b64 s[0:1], s[56:57]
	s_cbranch_execz .LBB120_1076
; %bb.1075:
	v_lshlrev_b32_e32 v6, 8, v0
	ds_read_b32 v11, v6 offset:14576
	s_movk_i32 s8, 0xff04
	v_mad_i32_i24 v12, v0, s8, v6
	s_waitcnt lgkmcnt(0)
	ds_write_b32 v12, v11 offset:15584
	ds_read_b32 v11, v6 offset:14580
	s_waitcnt lgkmcnt(0)
	ds_write_b32 v12, v11 offset:15840
	ds_read_b32 v11, v6 offset:14584
	;; [unrolled: 3-line block ×3, first 2 shown]
	s_waitcnt lgkmcnt(0)
	ds_write_b32 v12, v6 offset:16352
.LBB120_1076:
	s_or_b64 exec, exec, s[0:1]
	s_waitcnt lgkmcnt(0)
	s_barrier
	s_and_saveexec_b64 s[0:1], vcc
	s_cbranch_execz .LBB120_1078
; %bb.1077:
	v_mov_b32_e32 v6, 0
	ds_read_b64 v[11:12], v6 offset:15600
	ds_read_b32 v6, v6 offset:15860
	s_movk_i32 s8, 0x3c00
	s_waitcnt lgkmcnt(0)
	v_mul_f32_e32 v6, v11, v6
	v_mul_f32_e32 v6, v12, v6
	v_add_u32_e64 v11, s8, 0
	ds_write2_b32 v11, v6, v6 offset0:61 offset1:124
.LBB120_1078:
	s_or_b64 exec, exec, s[0:1]
	v_mov_b32_e32 v6, 0
	s_waitcnt lgkmcnt(0)
	s_barrier
	s_and_saveexec_b64 s[0:1], s[2:3]
	s_cbranch_execz .LBB120_1082
; %bb.1079:
	v_mul_u32_u24_e32 v5, 0x104, v5
	ds_read_b32 v11, v1 offset:15608
	ds_read_b32 v5, v5 offset:15600
	v_mov_b32_e32 v6, 0
	v_cmp_gt_u32_e64 s[8:9], 2, v4
	s_waitcnt lgkmcnt(0)
	v_fma_f32 v5, v11, v5, 0
	s_and_saveexec_b64 s[10:11], s[8:9]
	s_cbranch_execz .LBB120_1081
; %bb.1080:
	v_lshlrev_b32_e32 v4, 2, v0
	ds_read_b32 v4, v4 offset:15864
	ds_read_b32 v6, v6 offset:15604
	s_waitcnt lgkmcnt(0)
	v_fmac_f32_e32 v5, v4, v6
.LBB120_1081:
	s_or_b64 exec, exec, s[10:11]
	v_xor_b32_e32 v6, 0x80000000, v5
.LBB120_1082:
	s_or_b64 exec, exec, s[0:1]
	s_and_saveexec_b64 s[0:1], s[40:41]
	s_cbranch_execz .LBB120_1084
; %bb.1083:
	v_mov_b32_e32 v4, 0
	ds_read_b32 v4, v4 offset:16120
	s_waitcnt lgkmcnt(0)
	v_mul_f32_e32 v6, v6, v4
	ds_write_b32 v3, v6
.LBB120_1084:
	s_or_b64 exec, exec, s[0:1]
	s_waitcnt lgkmcnt(0)
	s_barrier
	s_and_saveexec_b64 s[0:1], s[38:39]
	s_load_dword s22, s[4:5], 0x6c
	v_readlane_b32 s40, v33, 0
	s_cbranch_execz .LBB120_1086
; %bb.1085:
	v_mov_b32_e32 v4, 0
	ds_read_b32 v4, v4 offset:16124
	ds_read_b32 v5, v3
	s_waitcnt lgkmcnt(0)
	v_fmac_f32_e32 v6, v4, v5
.LBB120_1086:
	s_or_b64 exec, exec, s[0:1]
	s_waitcnt lgkmcnt(0)
	s_barrier
	s_and_saveexec_b64 s[0:1], s[38:39]
	s_cbranch_execz .LBB120_1088
; %bb.1087:
	v_mov_b32_e32 v4, 0
	ds_read_b32 v4, v4 offset:16380
	s_waitcnt lgkmcnt(0)
	v_mul_f32_e32 v6, v6, v4
	ds_write_b32 v3, v6
.LBB120_1088:
	s_or_b64 exec, exec, s[0:1]
	s_waitcnt lgkmcnt(0)
	s_barrier
	s_barrier
	s_and_saveexec_b64 s[0:1], s[2:3]
; %bb.1089:
	v_xor_b32_e32 v3, 0x80000000, v6
	ds_write_b32 v1, v3 offset:15608
; %bb.1090:
	s_or_b64 exec, exec, s[0:1]
	s_waitcnt lgkmcnt(0)
	s_barrier
	s_barrier
	s_and_saveexec_b64 s[0:1], s[42:43]
	s_cbranch_execz .LBB120_1092
; %bb.1091:
	v_lshlrev_b32_e32 v1, 2, v0
	s_movk_i32 s2, 0xfc
	v_mad_u32_u24 v3, v0, s2, v1
	ds_read_b32 v4, v3 offset:15608
	s_waitcnt lgkmcnt(0)
	ds_write_b32 v1, v4 offset:16112
	ds_read_b32 v3, v3 offset:15612
	s_waitcnt lgkmcnt(0)
	ds_write_b32 v1, v3 offset:16368
.LBB120_1092:
	s_or_b64 exec, exec, s[0:1]
	s_waitcnt lgkmcnt(0)
	s_barrier
	s_and_saveexec_b64 s[0:1], vcc
	s_cbranch_execz .LBB120_1094
; %bb.1093:
	v_mov_b32_e32 v1, 0
	ds_read_b64 v[3:4], v1 offset:16120
	ds_read_b32 v1, v1 offset:16380
	s_movk_i32 s2, 0x3c00
	s_waitcnt lgkmcnt(0)
	v_mul_f32_e32 v1, v3, v1
	v_mul_f32_e32 v1, v4, v1
	v_add_u32_e64 v3, s2, 0
	ds_write2_b32 v3, v1, v1 offset0:191 offset1:254
.LBB120_1094:
	s_or_b64 exec, exec, s[0:1]
.LBB120_1095:
	s_load_dwordx4 s[0:3], s[4:5], 0x30
	v_cmp_le_i32_e32 vcc, s88, v0
	v_mov_b32_e32 v11, 0
	v_add_u32_e32 v3, s33, v0
	s_waitcnt lgkmcnt(0)
	s_lshl_b64 s[0:1], s[2:3], 2
	s_add_u32 s20, s36, s0
	s_addc_u32 s21, s37, s1
	s_and_b64 s[14:15], vcc, s[28:29]
	v_cmp_eq_u32_e64 s[2:3], 0, v2
	s_xor_b64 s[0:1], s[14:15], -1
	s_and_b64 s[8:9], s[2:3], s[0:1]
	s_barrier
	s_and_saveexec_b64 s[0:1], s[8:9]
	s_cbranch_execz .LBB120_1097
; %bb.1096:
	v_ashrrev_i32_e32 v1, 31, v3
	v_mul_lo_u32 v6, s31, v3
	v_mad_u64_u32 v[4:5], s[8:9], s30, v3, 0
	v_mul_lo_u32 v1, s30, v1
	s_load_dword s8, s[4:5], 0x28
	v_add3_u32 v5, v5, v1, v6
	v_lshlrev_b64 v[4:5], 2, v[4:5]
	v_mov_b32_e32 v1, s21
	v_add_co_u32_e32 v4, vcc, s20, v4
	v_addc_co_u32_e32 v5, vcc, v1, v5, vcc
	flat_load_dword v1, v[4:5]
	s_waitcnt vmcnt(0) lgkmcnt(0)
	v_mul_f32_e64 v11, v1, -s8
.LBB120_1097:
	s_or_b64 exec, exec, s[0:1]
	s_load_dwordx2 s[0:1], s[4:5], 0x50
	s_and_b32 s4, 0xffff, s22
	v_mad_u32_u24 v1, v2, s4, v0
	s_cmp_lt_i32 s6, 1
	v_cmp_eq_u32_e64 s[4:5], 0, v1
	s_cbranch_scc1 .LBB120_1123
; %bb.1098:
	v_ashrrev_i32_e32 v6, 31, v3
	v_mul_lo_u32 v12, s35, v3
	v_mad_u64_u32 v[4:5], s[8:9], s34, v3, 0
	v_mul_lo_u32 v6, s34, v6
	s_lshl_b64 s[8:9], s[24:25], 2
	s_waitcnt lgkmcnt(0)
	s_add_u32 s16, s0, s8
	s_addc_u32 s17, s1, s9
	v_add3_u32 v5, v5, v6, v12
	v_cmp_gt_i32_e64 s[8:9], s26, v3
	v_lshlrev_b64 v[3:4], 2, v[4:5]
	v_mov_b32_e32 v6, 0x5000
	v_mov_b32_e32 v5, s90
	v_add_co_u32_e32 v14, vcc, s89, v3
	s_mov_b32 s22, 0
	v_cmp_gt_u32_e64 s[12:13], 64, v1
	v_lshl_add_u32 v12, v1, 2, v6
	v_lshl_or_b32 v13, v2, 2, v6
	s_add_i32 s91, s91, 1
	v_addc_co_u32_e32 v15, vcc, v5, v4, vcc
	v_mov_b32_e32 v17, -1
	v_mov_b32_e32 v16, 0
	s_branch .LBB120_1101
.LBB120_1099:                           ;   in Loop: Header=BB120_1101 Depth=1
	ds_read_b32 v3, v13 offset:192
	s_waitcnt vmcnt(0) lgkmcnt(0)
	v_fmac_f32_e32 v11, v5, v3
.LBB120_1100:                           ;   in Loop: Header=BB120_1101 Depth=1
	s_or_b64 exec, exec, s[18:19]
	s_add_i32 s22, s22, 1
	s_cmp_eq_u32 s22, s6
	s_cbranch_scc1 .LBB120_1123
.LBB120_1101:                           ; =>This Loop Header: Depth=1
                                        ;     Child Loop BB120_1103 Depth 2
	v_cmp_gt_i32_e32 vcc, s22, v17
	s_and_b64 s[18:19], s[4:5], vcc
	s_and_saveexec_b64 s[10:11], s[18:19]
	s_cbranch_execz .LBB120_1104
; %bb.1102:                             ;   in Loop: Header=BB120_1101 Depth=1
	global_load_dword v17, v16, s[16:17]
	s_waitcnt vmcnt(0)
	v_cmp_le_i32_e32 vcc, s22, v17
	s_cbranch_vccnz .LBB120_1104
.LBB120_1103:                           ;   Parent Loop BB120_1101 Depth=1
                                        ; =>  This Inner Loop Header: Depth=2
	buffer_wbinvl1_vol
	global_load_dword v17, v16, s[16:17]
	s_waitcnt vmcnt(0)
	v_cmp_gt_i32_e32 vcc, s22, v17
	s_cbranch_vccnz .LBB120_1103
.LBB120_1104:                           ;   in Loop: Header=BB120_1101 Depth=1
	s_or_b64 exec, exec, s[10:11]
	s_sub_i32 s23, s7, s22
	s_lshl_b32 s34, s23, 6
	buffer_wbinvl1_vol
	s_barrier
	s_and_saveexec_b64 s[10:11], s[12:13]
	s_cbranch_execz .LBB120_1108
; %bb.1105:                             ;   in Loop: Header=BB120_1101 Depth=1
	s_ashr_i32 s18, s34, 31
	v_mov_b32_e32 v4, s18
	v_or_b32_e32 v3, s34, v1
	v_cmp_gt_i64_e32 vcc, s[26:27], v[3:4]
	v_mov_b32_e32 v5, 0
	s_and_saveexec_b64 s[18:19], vcc
	s_cbranch_execz .LBB120_1107
; %bb.1106:                             ;   in Loop: Header=BB120_1101 Depth=1
	v_mul_lo_u32 v5, v4, s30
	v_mul_lo_u32 v6, v3, s31
	v_mad_u64_u32 v[3:4], s[36:37], v3, s30, 0
	v_add3_u32 v4, v4, v6, v5
	v_lshlrev_b64 v[3:4], 2, v[3:4]
	v_mov_b32_e32 v5, s21
	v_add_co_u32_e32 v3, vcc, s20, v3
	v_addc_co_u32_e32 v4, vcc, v5, v4, vcc
	flat_load_dword v5, v[3:4]
.LBB120_1107:                           ;   in Loop: Header=BB120_1101 Depth=1
	s_or_b64 exec, exec, s[18:19]
	s_waitcnt vmcnt(0) lgkmcnt(0)
	ds_write_b32 v12, v5
.LBB120_1108:                           ;   in Loop: Header=BB120_1101 Depth=1
	s_or_b64 exec, exec, s[10:11]
	v_add_u32_e32 v5, s34, v2
	v_ashrrev_i32_e32 v6, 31, v5
	v_lshlrev_b64 v[3:4], 2, v[5:6]
	s_cmp_lg_u32 s23, s91
	v_add_co_u32_e32 v3, vcc, v14, v3
	s_cselect_b64 s[10:11], -1, 0
	v_addc_co_u32_e32 v4, vcc, v15, v4, vcc
	v_cmp_gt_i32_e32 vcc, s26, v5
	v_cndmask_b32_e64 v6, 0, 1, s[10:11]
	s_and_b64 s[34:35], vcc, s[8:9]
	v_cmp_ne_u32_e64 s[10:11], 1, v6
	s_waitcnt lgkmcnt(0)
	s_barrier
	s_and_saveexec_b64 s[18:19], s[34:35]
	s_cbranch_execz .LBB120_1112
; %bb.1109:                             ;   in Loop: Header=BB120_1101 Depth=1
	s_and_b64 vcc, exec, s[10:11]
	v_mov_b32_e32 v6, v8
	s_cbranch_vccnz .LBB120_1111
; %bb.1110:                             ;   in Loop: Header=BB120_1101 Depth=1
	flat_load_dword v6, v[3:4]
.LBB120_1111:                           ;   in Loop: Header=BB120_1101 Depth=1
	ds_read_b32 v18, v13
	s_waitcnt vmcnt(0) lgkmcnt(0)
	v_fmac_f32_e32 v11, v6, v18
.LBB120_1112:                           ;   in Loop: Header=BB120_1101 Depth=1
	s_or_b64 exec, exec, s[18:19]
	v_add_u32_e32 v6, 16, v5
	v_cmp_gt_i32_e32 vcc, s26, v6
	s_and_b64 s[34:35], vcc, s[8:9]
	s_and_saveexec_b64 s[18:19], s[34:35]
	s_cbranch_execz .LBB120_1116
; %bb.1113:                             ;   in Loop: Header=BB120_1101 Depth=1
	s_and_b64 vcc, exec, s[10:11]
	v_mov_b32_e32 v6, v7
	s_cbranch_vccnz .LBB120_1115
; %bb.1114:                             ;   in Loop: Header=BB120_1101 Depth=1
	flat_load_dword v6, v[3:4] offset:64
.LBB120_1115:                           ;   in Loop: Header=BB120_1101 Depth=1
	ds_read_b32 v18, v13 offset:64
	s_waitcnt vmcnt(0) lgkmcnt(0)
	v_fmac_f32_e32 v11, v6, v18
.LBB120_1116:                           ;   in Loop: Header=BB120_1101 Depth=1
	s_or_b64 exec, exec, s[18:19]
	v_add_u32_e32 v6, 32, v5
	v_cmp_gt_i32_e32 vcc, s26, v6
	s_and_b64 s[34:35], vcc, s[8:9]
	s_and_saveexec_b64 s[18:19], s[34:35]
	s_cbranch_execz .LBB120_1120
; %bb.1117:                             ;   in Loop: Header=BB120_1101 Depth=1
	s_and_b64 vcc, exec, s[10:11]
	v_mov_b32_e32 v6, v10
	s_cbranch_vccnz .LBB120_1119
; %bb.1118:                             ;   in Loop: Header=BB120_1101 Depth=1
	flat_load_dword v6, v[3:4] offset:128
.LBB120_1119:                           ;   in Loop: Header=BB120_1101 Depth=1
	ds_read_b32 v18, v13 offset:128
	s_waitcnt vmcnt(0) lgkmcnt(0)
	v_fmac_f32_e32 v11, v6, v18
.LBB120_1120:                           ;   in Loop: Header=BB120_1101 Depth=1
	s_or_b64 exec, exec, s[18:19]
	v_add_u32_e32 v5, 48, v5
	v_cmp_gt_i32_e32 vcc, s26, v5
	s_and_b64 s[34:35], vcc, s[8:9]
	s_and_saveexec_b64 s[18:19], s[34:35]
	s_cbranch_execz .LBB120_1100
; %bb.1121:                             ;   in Loop: Header=BB120_1101 Depth=1
	s_and_b64 vcc, exec, s[10:11]
	v_mov_b32_e32 v5, v9
	s_cbranch_vccnz .LBB120_1099
; %bb.1122:                             ;   in Loop: Header=BB120_1101 Depth=1
	flat_load_dword v5, v[3:4] offset:192
	s_branch .LBB120_1099
.LBB120_1123:
	v_lshl_add_u32 v3, v2, 6, v0
	s_xor_b64 s[4:5], s[28:29], -1
	v_lshlrev_b32_e32 v3, 2, v3
	ds_write_b32 v3, v11 offset:16384
	s_waitcnt lgkmcnt(0)
	s_barrier
	s_and_saveexec_b64 s[6:7], s[2:3]
	s_cbranch_execz .LBB120_1125
; %bb.1124:
	v_lshlrev_b32_e32 v10, 2, v0
	ds_read2st64_b32 v[4:5], v10 offset0:65 offset1:66
	ds_read2st64_b32 v[6:7], v10 offset0:67 offset1:68
	;; [unrolled: 1-line block ×5, first 2 shown]
	s_waitcnt lgkmcnt(4)
	v_add_f32_e32 v4, v11, v4
	v_add_f32_e32 v4, v4, v5
	s_waitcnt lgkmcnt(3)
	v_add_f32_e32 v4, v4, v6
	v_add_f32_e32 v4, v4, v7
	;; [unrolled: 3-line block ×4, first 2 shown]
	ds_read2st64_b32 v[4:5], v10 offset0:75 offset1:76
	ds_read2st64_b32 v[6:7], v10 offset0:77 offset1:78
	ds_read_b32 v9, v10 offset:20224
	s_waitcnt lgkmcnt(3)
	v_add_f32_e32 v8, v8, v14
	v_add_f32_e32 v8, v8, v15
	s_waitcnt lgkmcnt(2)
	v_add_f32_e32 v4, v8, v4
	v_add_f32_e32 v4, v4, v5
	s_waitcnt lgkmcnt(1)
	v_add_f32_e32 v4, v4, v6
	v_add_f32_e32 v4, v4, v7
	s_waitcnt lgkmcnt(0)
	v_add_f32_e32 v4, v4, v9
	v_cndmask_b32_e64 v11, -v4, 0, s[14:15]
.LBB120_1125:
	s_or_b64 exec, exec, s[6:7]
	s_and_b64 vcc, exec, s[46:47]
	s_cbranch_vccnz .LBB120_1138
; %bb.1126:
	v_mov_b32_e32 v4, 0x5000
	v_lshl_or_b32 v5, v2, 2, v4
	s_and_saveexec_b64 s[6:7], s[2:3]
; %bb.1127:
	v_lshl_add_u32 v4, v0, 2, v5
	ds_write_b32 v4, v11
; %bb.1128:
	s_or_b64 exec, exec, s[6:7]
	v_cmp_le_u32_e32 vcc, v0, v2
	v_mov_b32_e32 v4, 0
	s_waitcnt lgkmcnt(0)
	s_barrier
	s_and_saveexec_b64 s[6:7], vcc
	s_cbranch_execz .LBB120_1130
; %bb.1129:
	ds_read_b32 v4, v3
	ds_read_b32 v6, v5
	s_waitcnt lgkmcnt(0)
	v_fma_f32 v4, v4, v6, 0
.LBB120_1130:
	s_or_b64 exec, exec, s[6:7]
	v_add_u32_e32 v6, 16, v2
	v_cmp_le_u32_e32 vcc, v0, v6
	s_and_saveexec_b64 s[6:7], vcc
	s_cbranch_execz .LBB120_1132
; %bb.1131:
	ds_read_b32 v6, v3 offset:4096
	ds_read_b32 v7, v5 offset:64
	s_waitcnt lgkmcnt(0)
	v_fmac_f32_e32 v4, v6, v7
.LBB120_1132:
	s_or_b64 exec, exec, s[6:7]
	v_add_u32_e32 v6, 32, v2
	v_cmp_le_u32_e32 vcc, v0, v6
	s_and_saveexec_b64 s[6:7], vcc
	s_cbranch_execz .LBB120_1134
; %bb.1133:
	ds_read_b32 v6, v3 offset:8192
	ds_read_b32 v7, v5 offset:128
	s_waitcnt lgkmcnt(0)
	v_fmac_f32_e32 v4, v6, v7
.LBB120_1134:
	s_or_b64 exec, exec, s[6:7]
	v_add_u32_e32 v2, 48, v2
	v_add_u32_e32 v6, 0x4000, v3
	v_cmp_le_u32_e32 vcc, v0, v2
	s_and_saveexec_b64 s[6:7], vcc
	s_cbranch_execz .LBB120_1136
; %bb.1135:
	ds_read_b32 v2, v3 offset:12288
	ds_read_b32 v3, v5 offset:192
	s_waitcnt lgkmcnt(0)
	v_fmac_f32_e32 v4, v2, v3
.LBB120_1136:
	s_or_b64 exec, exec, s[6:7]
	s_mov_b64 s[8:9], 0
	s_mov_b64 s[6:7], 0
	ds_write_b32 v6, v4
	s_waitcnt lgkmcnt(0)
	s_barrier
                                        ; implicit-def: $vgpr2
	s_and_saveexec_b64 s[10:11], s[2:3]
	s_cbranch_execz .LBB120_1201
; %bb.1137:
	v_lshlrev_b32_e32 v12, 2, v0
	ds_read2st64_b32 v[2:3], v12 offset0:65 offset1:66
	ds_read2st64_b32 v[5:6], v12 offset0:67 offset1:68
	;; [unrolled: 1-line block ×4, first 2 shown]
	s_mov_b64 s[6:7], exec
	s_waitcnt lgkmcnt(3)
	v_add_f32_e32 v2, v4, v2
	v_add_f32_e32 v2, v3, v2
	s_waitcnt lgkmcnt(2)
	v_add_f32_e32 v2, v5, v2
	v_add_f32_e32 v2, v6, v2
	;; [unrolled: 3-line block ×3, first 2 shown]
	s_waitcnt lgkmcnt(0)
	v_add_f32_e32 v4, v9, v2
	ds_read2st64_b32 v[2:3], v12 offset0:73 offset1:74
	v_add_f32_e32 v8, v10, v4
	ds_read2st64_b32 v[4:5], v12 offset0:75 offset1:76
	ds_read2st64_b32 v[6:7], v12 offset0:77 offset1:78
	ds_read_b32 v9, v12 offset:20224
	s_waitcnt lgkmcnt(3)
	v_add_f32_e32 v2, v2, v8
	v_add_f32_e32 v2, v3, v2
	s_waitcnt lgkmcnt(2)
	v_add_f32_e32 v2, v4, v2
	v_add_f32_e32 v2, v5, v2
	;; [unrolled: 3-line block ×3, first 2 shown]
	s_waitcnt lgkmcnt(0)
	v_add_f32_e32 v2, v9, v2
	s_or_b64 exec, exec, s[10:11]
	s_and_b64 vcc, exec, s[8:9]
	s_cbranch_vccnz .LBB120_1139
	s_branch .LBB120_1202
.LBB120_1138:
	s_mov_b64 s[6:7], 0
                                        ; implicit-def: $vgpr2
	s_cbranch_execz .LBB120_1202
.LBB120_1139:
	s_movk_i32 s8, 0x104
	v_lshlrev_b32_e32 v3, 8, v0
	v_mov_b32_e32 v4, 0x3c00
	v_mul_u32_u24_e32 v2, 0x104, v0
	v_sub_u32_e32 v3, 0, v3
	v_mad_u32_u24 v4, v0, s8, v4
	s_mov_b32 s10, 63
	s_movk_i32 s11, 0xc100
	v_mov_b32_e32 v5, 0
	s_branch .LBB120_1141
.LBB120_1140:                           ;   in Loop: Header=BB120_1141 Depth=1
	s_or_b64 exec, exec, s[8:9]
	s_add_i32 s10, s10, -4
	s_cmp_lg_u32 s12, 0
	v_add_u32_e32 v3, 0xfffffc00, v3
	s_barrier
	s_cbranch_scc0 .LBB120_1157
.LBB120_1141:                           ; =>This Inner Loop Header: Depth=1
	v_cmp_eq_u32_e32 vcc, s11, v3
	s_and_b64 s[12:13], s[2:3], vcc
	s_and_saveexec_b64 s[8:9], s[12:13]
	s_cbranch_execz .LBB120_1143
; %bb.1142:                             ;   in Loop: Header=BB120_1141 Depth=1
	ds_read_b32 v6, v2
	s_waitcnt lgkmcnt(0)
	v_mul_f32_e32 v11, v11, v6
	ds_write_b32 v5, v11 offset:20736
.LBB120_1143:                           ;   in Loop: Header=BB120_1141 Depth=1
	s_or_b64 exec, exec, s[8:9]
	v_cmp_gt_u32_e32 vcc, s10, v0
	s_and_b64 s[12:13], s[2:3], vcc
	v_add_u32_e32 v6, v4, v3
	s_waitcnt lgkmcnt(0)
	s_barrier
	s_and_saveexec_b64 s[8:9], s[12:13]
	s_cbranch_execz .LBB120_1145
; %bb.1144:                             ;   in Loop: Header=BB120_1141 Depth=1
	ds_read_b32 v7, v6 offset:768
	ds_read_b32 v8, v5 offset:20736
	s_waitcnt lgkmcnt(0)
	v_fmac_f32_e32 v11, v7, v8
.LBB120_1145:                           ;   in Loop: Header=BB120_1141 Depth=1
	s_or_b64 exec, exec, s[8:9]
	s_add_i32 s12, s10, -1
	v_cmp_eq_u32_e32 vcc, s12, v0
	s_and_b64 s[14:15], s[2:3], vcc
	s_barrier
	s_and_saveexec_b64 s[8:9], s[14:15]
	s_cbranch_execz .LBB120_1147
; %bb.1146:                             ;   in Loop: Header=BB120_1141 Depth=1
	ds_read_b32 v7, v2
	s_waitcnt lgkmcnt(0)
	v_mul_f32_e32 v11, v11, v7
	ds_write_b32 v5, v11 offset:20736
.LBB120_1147:                           ;   in Loop: Header=BB120_1141 Depth=1
	s_or_b64 exec, exec, s[8:9]
	v_cmp_gt_u32_e32 vcc, s12, v0
	s_and_b64 s[12:13], s[2:3], vcc
	s_waitcnt lgkmcnt(0)
	s_barrier
	s_and_saveexec_b64 s[8:9], s[12:13]
	s_cbranch_execz .LBB120_1149
; %bb.1148:                             ;   in Loop: Header=BB120_1141 Depth=1
	ds_read_b32 v7, v6 offset:512
	ds_read_b32 v8, v5 offset:20736
	s_waitcnt lgkmcnt(0)
	v_fmac_f32_e32 v11, v7, v8
.LBB120_1149:                           ;   in Loop: Header=BB120_1141 Depth=1
	s_or_b64 exec, exec, s[8:9]
	s_add_i32 s12, s10, -2
	v_cmp_eq_u32_e32 vcc, s12, v0
	s_and_b64 s[14:15], s[2:3], vcc
	s_barrier
	s_and_saveexec_b64 s[8:9], s[14:15]
	s_cbranch_execz .LBB120_1151
; %bb.1150:                             ;   in Loop: Header=BB120_1141 Depth=1
	ds_read_b32 v7, v2
	s_waitcnt lgkmcnt(0)
	v_mul_f32_e32 v11, v11, v7
	ds_write_b32 v5, v11 offset:20736
.LBB120_1151:                           ;   in Loop: Header=BB120_1141 Depth=1
	s_or_b64 exec, exec, s[8:9]
	v_cmp_gt_u32_e32 vcc, s12, v0
	s_and_b64 s[12:13], s[2:3], vcc
	;; [unrolled: 26-line block ×3, first 2 shown]
	s_waitcnt lgkmcnt(0)
	s_barrier
	s_and_saveexec_b64 s[8:9], s[14:15]
	s_cbranch_execz .LBB120_1140
; %bb.1156:                             ;   in Loop: Header=BB120_1141 Depth=1
	ds_read_b32 v6, v6
	ds_read_b32 v7, v5 offset:20736
	s_waitcnt lgkmcnt(0)
	v_fmac_f32_e32 v11, v6, v7
	s_branch .LBB120_1140
.LBB120_1157:
	s_mov_b64 s[8:9], -1
	s_and_b64 vcc, exec, s[4:5]
	s_cbranch_vccnz .LBB120_1203
; %bb.1158:
	s_andn2_b64 vcc, exec, s[8:9]
	s_cbranch_vccz .LBB120_1204
.LBB120_1159:
	s_and_saveexec_b64 s[2:3], s[6:7]
	s_cbranch_execz .LBB120_1161
.LBB120_1160:
	v_mov_b32_e32 v0, s40
	v_add_co_u32_e32 v2, vcc, s33, v1
	v_addc_co_u32_e32 v0, vcc, 0, v0, vcc
	v_mul_lo_u32 v0, v0, s30
	v_mul_lo_u32 v4, v2, s31
	v_mad_u64_u32 v[2:3], s[4:5], v2, s30, 0
	v_add3_u32 v3, v3, v4, v0
	v_lshlrev_b64 v[2:3], 2, v[2:3]
	v_mov_b32_e32 v0, s21
	v_add_co_u32_e32 v2, vcc, s20, v2
	v_addc_co_u32_e32 v3, vcc, v0, v3, vcc
	flat_store_dword v[2:3], v11
.LBB120_1161:
	s_or_b64 exec, exec, s[2:3]
	v_cmp_eq_u32_e32 vcc, 0, v1
	s_waitcnt vmcnt(0) lgkmcnt(0)
	buffer_wbinvl1_vol
	s_barrier
	s_and_saveexec_b64 s[2:3], vcc
	s_cbranch_execz .LBB120_1163
; %bb.1162:
	s_lshl_b64 s[4:5], s[24:25], 2
	s_add_u32 s0, s0, s4
	s_addc_u32 s1, s1, s5
	v_mov_b32_e32 v0, 0
	global_load_dword v1, v0, s[0:1]
	s_waitcnt vmcnt(0)
	v_add_u32_e32 v1, 1, v1
	global_store_dword v0, v1, s[0:1]
.LBB120_1163:
	s_or_b64 exec, exec, s[2:3]
	s_waitcnt vmcnt(0)
	buffer_wbinvl1_vol
	s_endpgm
.LBB120_1164:
                                        ; implicit-def: $vgpr9
                                        ; implicit-def: $vgpr10
                                        ; implicit-def: $vgpr7
                                        ; implicit-def: $vgpr8
                                        ; implicit-def: $sgpr33
	s_cbranch_execnz .LBB120_10
	s_branch .LBB120_11
.LBB120_1165:
	v_cmp_ne_u32_e32 vcc, v0, v2
	s_and_saveexec_b64 s[12:13], vcc
	s_xor_b64 s[12:13], exec, s[12:13]
; %bb.1166:
	v_or_b32_e32 v1, v2, v0
	v_cmp_gt_u32_e32 vcc, 64, v1
	s_and_b64 s[10:11], vcc, exec
                                        ; implicit-def: $vgpr5_vgpr6
; %bb.1167:
	s_or_saveexec_b64 s[12:13], s[12:13]
	v_mov_b32_e32 v1, 0
	s_xor_b64 exec, exec, s[12:13]
	s_cbranch_execz .LBB120_1169
; %bb.1168:
	v_lshlrev_b64 v[5:6], 2, v[5:6]
	v_mov_b32_e32 v1, s90
	v_add_co_u32_e32 v5, vcc, s89, v5
	v_addc_co_u32_e32 v6, vcc, v1, v6, vcc
	flat_load_dword v1, v[5:6]
	s_or_b64 s[10:11], s[10:11], exec
	s_waitcnt vmcnt(0) lgkmcnt(0)
	v_div_scale_f32 v5, s[14:15], v1, v1, 1.0
	v_div_scale_f32 v6, vcc, 1.0, v1, 1.0
	v_rcp_f32_e32 v12, v5
	v_fma_f32 v13, -v5, v12, 1.0
	v_fmac_f32_e32 v12, v13, v12
	v_mul_f32_e32 v13, v6, v12
	v_fma_f32 v14, -v5, v13, v6
	v_fmac_f32_e32 v13, v14, v12
	v_fma_f32 v5, -v5, v13, v6
	v_div_fmas_f32 v5, v5, v12, v13
	v_div_fixup_f32 v1, v5, v1, 1.0
.LBB120_1169:
	s_or_b64 exec, exec, s[12:13]
	s_and_b64 s[10:11], s[10:11], exec
                                        ; implicit-def: $vgpr5_vgpr6
	s_andn2_saveexec_b64 s[8:9], s[8:9]
	s_cbranch_execz .LBB120_14
.LBB120_1170:
	v_lshlrev_b64 v[5:6], 2, v[5:6]
	v_mov_b32_e32 v1, s90
	v_add_co_u32_e32 v5, vcc, s89, v5
	v_addc_co_u32_e32 v6, vcc, v1, v6, vcc
	flat_load_dword v1, v[5:6]
	s_or_b64 s[10:11], s[10:11], exec
	s_waitcnt vmcnt(0) lgkmcnt(0)
	v_xor_b32_e32 v1, 0x80000000, v1
	s_or_b64 exec, exec, s[8:9]
	s_and_saveexec_b64 s[8:9], s[10:11]
	s_cbranch_execnz .LBB120_15
	s_branch .LBB120_16
.LBB120_1171:
	v_cmp_ne_u32_e32 vcc, v0, v1
	s_and_saveexec_b64 s[10:11], vcc
	s_xor_b64 s[10:11], exec, s[10:11]
; %bb.1172:
	v_or_b32_e32 v5, v1, v0
	v_cmp_gt_u32_e32 vcc, 64, v5
	s_and_b64 s[8:9], vcc, exec
                                        ; implicit-def: $vgpr5_vgpr6
; %bb.1173:
	s_or_saveexec_b64 s[10:11], s[10:11]
	v_mov_b32_e32 v12, 0
	s_xor_b64 exec, exec, s[10:11]
	s_cbranch_execz .LBB120_1175
; %bb.1174:
	v_lshlrev_b64 v[5:6], 2, v[5:6]
	v_mov_b32_e32 v12, s90
	v_add_co_u32_e32 v5, vcc, s89, v5
	v_addc_co_u32_e32 v6, vcc, v12, v6, vcc
	flat_load_dword v5, v[5:6]
	s_or_b64 s[8:9], s[8:9], exec
	s_waitcnt vmcnt(0) lgkmcnt(0)
	v_div_scale_f32 v6, s[12:13], v5, v5, 1.0
	v_div_scale_f32 v12, vcc, 1.0, v5, 1.0
	v_rcp_f32_e32 v13, v6
	v_fma_f32 v14, -v6, v13, 1.0
	v_fmac_f32_e32 v13, v14, v13
	v_mul_f32_e32 v14, v12, v13
	v_fma_f32 v15, -v6, v14, v12
	v_fmac_f32_e32 v14, v15, v13
	v_fma_f32 v6, -v6, v14, v12
	v_div_fmas_f32 v6, v6, v13, v14
	v_div_fixup_f32 v12, v6, v5, 1.0
.LBB120_1175:
	s_or_b64 exec, exec, s[10:11]
	s_and_b64 s[8:9], s[8:9], exec
                                        ; implicit-def: $vgpr5_vgpr6
	s_andn2_saveexec_b64 s[2:3], s[2:3]
	s_cbranch_execz .LBB120_18
.LBB120_1176:
	v_lshlrev_b64 v[5:6], 2, v[5:6]
	v_mov_b32_e32 v12, s90
	v_add_co_u32_e32 v5, vcc, s89, v5
	v_addc_co_u32_e32 v6, vcc, v12, v6, vcc
	flat_load_dword v5, v[5:6]
	s_or_b64 s[8:9], s[8:9], exec
	s_waitcnt vmcnt(0) lgkmcnt(0)
	v_xor_b32_e32 v12, 0x80000000, v5
	s_or_b64 exec, exec, s[2:3]
	s_and_saveexec_b64 s[2:3], s[8:9]
	s_cbranch_execnz .LBB120_19
	s_branch .LBB120_20
.LBB120_1177:
	v_cmp_ne_u32_e32 vcc, v0, v1
	s_and_saveexec_b64 s[10:11], vcc
	s_xor_b64 s[10:11], exec, s[10:11]
; %bb.1178:
	v_or_b32_e32 v5, v1, v0
	v_cmp_gt_u32_e32 vcc, 64, v5
	s_and_b64 s[8:9], vcc, exec
                                        ; implicit-def: $vgpr5_vgpr6
; %bb.1179:
	s_or_saveexec_b64 s[10:11], s[10:11]
	v_mov_b32_e32 v12, 0
	s_xor_b64 exec, exec, s[10:11]
	s_cbranch_execz .LBB120_1181
; %bb.1180:
	v_lshlrev_b64 v[5:6], 2, v[5:6]
	v_mov_b32_e32 v12, s90
	v_add_co_u32_e32 v5, vcc, s89, v5
	v_addc_co_u32_e32 v6, vcc, v12, v6, vcc
	flat_load_dword v5, v[5:6]
	s_or_b64 s[8:9], s[8:9], exec
	s_waitcnt vmcnt(0) lgkmcnt(0)
	v_div_scale_f32 v6, s[12:13], v5, v5, 1.0
	v_div_scale_f32 v12, vcc, 1.0, v5, 1.0
	v_rcp_f32_e32 v13, v6
	v_fma_f32 v14, -v6, v13, 1.0
	v_fmac_f32_e32 v13, v14, v13
	v_mul_f32_e32 v14, v12, v13
	v_fma_f32 v15, -v6, v14, v12
	v_fmac_f32_e32 v14, v15, v13
	v_fma_f32 v6, -v6, v14, v12
	v_div_fmas_f32 v6, v6, v13, v14
	v_div_fixup_f32 v12, v6, v5, 1.0
.LBB120_1181:
	s_or_b64 exec, exec, s[10:11]
	s_and_b64 s[8:9], s[8:9], exec
                                        ; implicit-def: $vgpr5_vgpr6
	s_andn2_saveexec_b64 s[2:3], s[2:3]
	s_cbranch_execz .LBB120_22
.LBB120_1182:
	v_lshlrev_b64 v[5:6], 2, v[5:6]
	v_mov_b32_e32 v12, s90
	v_add_co_u32_e32 v5, vcc, s89, v5
	v_addc_co_u32_e32 v6, vcc, v12, v6, vcc
	flat_load_dword v5, v[5:6]
	s_or_b64 s[8:9], s[8:9], exec
	s_waitcnt vmcnt(0) lgkmcnt(0)
	v_xor_b32_e32 v12, 0x80000000, v5
	s_or_b64 exec, exec, s[2:3]
	s_and_saveexec_b64 s[2:3], s[8:9]
	s_cbranch_execnz .LBB120_23
	s_branch .LBB120_24
.LBB120_1183:
	v_cmp_ne_u32_e32 vcc, v0, v2
	s_xor_b64 s[12:13], s[2:3], -1
	s_or_b64 s[14:15], s[12:13], vcc
	s_mov_b64 s[12:13], 0
	s_and_saveexec_b64 s[16:17], s[14:15]
	s_xor_b64 s[14:15], exec, s[16:17]
; %bb.1184:
	v_or_b32_e32 v1, v2, v0
	v_cmp_gt_u32_e32 vcc, 64, v1
	s_and_b64 s[12:13], vcc, exec
                                        ; implicit-def: $vgpr5_vgpr6
; %bb.1185:
	s_or_saveexec_b64 s[14:15], s[14:15]
	v_mov_b32_e32 v1, 0
	s_xor_b64 exec, exec, s[14:15]
	s_cbranch_execz .LBB120_1187
; %bb.1186:
	v_lshlrev_b64 v[5:6], 2, v[5:6]
	v_mov_b32_e32 v1, s90
	v_add_co_u32_e32 v5, vcc, s89, v5
	v_addc_co_u32_e32 v6, vcc, v1, v6, vcc
	flat_load_dword v1, v[5:6]
	s_or_b64 s[12:13], s[12:13], exec
	s_waitcnt vmcnt(0) lgkmcnt(0)
	v_div_scale_f32 v5, s[16:17], v1, v1, 1.0
	v_div_scale_f32 v6, vcc, 1.0, v1, 1.0
	v_rcp_f32_e32 v12, v5
	v_fma_f32 v13, -v5, v12, 1.0
	v_fmac_f32_e32 v12, v13, v12
	v_mul_f32_e32 v13, v6, v12
	v_fma_f32 v14, -v5, v13, v6
	v_fmac_f32_e32 v13, v14, v12
	v_fma_f32 v5, -v5, v13, v6
	v_div_fmas_f32 v5, v5, v12, v13
	v_div_fixup_f32 v1, v5, v1, 1.0
.LBB120_1187:
	s_or_b64 exec, exec, s[14:15]
	s_and_b64 s[12:13], s[12:13], exec
                                        ; implicit-def: $vgpr5_vgpr6
	s_andn2_saveexec_b64 s[8:9], s[8:9]
	s_cbranch_execz .LBB120_36
.LBB120_1188:
	v_lshlrev_b64 v[5:6], 2, v[5:6]
	v_mov_b32_e32 v1, s90
	v_add_co_u32_e32 v5, vcc, s89, v5
	v_addc_co_u32_e32 v6, vcc, v1, v6, vcc
	flat_load_dword v1, v[5:6]
	s_or_b64 s[12:13], s[12:13], exec
	s_waitcnt vmcnt(0) lgkmcnt(0)
	v_xor_b32_e32 v1, 0x80000000, v1
	s_or_b64 exec, exec, s[8:9]
	s_and_saveexec_b64 s[8:9], s[12:13]
	s_cbranch_execnz .LBB120_37
	s_branch .LBB120_38
.LBB120_1189:
	v_cmp_ne_u32_e32 vcc, v0, v1
	s_xor_b64 s[12:13], s[2:3], -1
	s_or_b64 s[14:15], s[12:13], vcc
	s_mov_b64 s[12:13], 0
	s_and_saveexec_b64 s[16:17], s[14:15]
	s_xor_b64 s[14:15], exec, s[16:17]
; %bb.1190:
	v_or_b32_e32 v5, v1, v0
	v_cmp_gt_u32_e32 vcc, 64, v5
	s_and_b64 s[12:13], vcc, exec
                                        ; implicit-def: $vgpr5_vgpr6
; %bb.1191:
	s_or_saveexec_b64 s[14:15], s[14:15]
	v_mov_b32_e32 v12, 0
	s_xor_b64 exec, exec, s[14:15]
	s_cbranch_execz .LBB120_1193
; %bb.1192:
	v_lshlrev_b64 v[5:6], 2, v[5:6]
	v_mov_b32_e32 v12, s90
	v_add_co_u32_e32 v5, vcc, s89, v5
	v_addc_co_u32_e32 v6, vcc, v12, v6, vcc
	flat_load_dword v5, v[5:6]
	s_or_b64 s[12:13], s[12:13], exec
	s_waitcnt vmcnt(0) lgkmcnt(0)
	v_div_scale_f32 v6, s[16:17], v5, v5, 1.0
	v_div_scale_f32 v12, vcc, 1.0, v5, 1.0
	v_rcp_f32_e32 v13, v6
	v_fma_f32 v14, -v6, v13, 1.0
	v_fmac_f32_e32 v13, v14, v13
	v_mul_f32_e32 v14, v12, v13
	v_fma_f32 v15, -v6, v14, v12
	v_fmac_f32_e32 v14, v15, v13
	v_fma_f32 v6, -v6, v14, v12
	v_div_fmas_f32 v6, v6, v13, v14
	v_div_fixup_f32 v12, v6, v5, 1.0
.LBB120_1193:
	s_or_b64 exec, exec, s[14:15]
	s_and_b64 s[12:13], s[12:13], exec
                                        ; implicit-def: $vgpr5_vgpr6
	s_andn2_saveexec_b64 s[8:9], s[8:9]
	s_cbranch_execz .LBB120_40
.LBB120_1194:
	v_lshlrev_b64 v[5:6], 2, v[5:6]
	v_mov_b32_e32 v12, s90
	v_add_co_u32_e32 v5, vcc, s89, v5
	v_addc_co_u32_e32 v6, vcc, v12, v6, vcc
	flat_load_dword v5, v[5:6]
	s_or_b64 s[12:13], s[12:13], exec
	s_waitcnt vmcnt(0) lgkmcnt(0)
	v_xor_b32_e32 v12, 0x80000000, v5
	s_or_b64 exec, exec, s[8:9]
	s_and_saveexec_b64 s[8:9], s[12:13]
	s_cbranch_execnz .LBB120_41
	s_branch .LBB120_42
.LBB120_1195:
	v_cmp_ne_u32_e32 vcc, v0, v1
	s_xor_b64 s[12:13], s[2:3], -1
	s_or_b64 s[14:15], s[12:13], vcc
	s_mov_b64 s[12:13], 0
	s_and_saveexec_b64 s[16:17], s[14:15]
	s_xor_b64 s[14:15], exec, s[16:17]
; %bb.1196:
	v_or_b32_e32 v5, v1, v0
	v_cmp_gt_u32_e32 vcc, 64, v5
	s_and_b64 s[12:13], vcc, exec
                                        ; implicit-def: $vgpr5_vgpr6
; %bb.1197:
	s_or_saveexec_b64 s[14:15], s[14:15]
	v_mov_b32_e32 v12, 0
	s_xor_b64 exec, exec, s[14:15]
	s_cbranch_execz .LBB120_1199
; %bb.1198:
	v_lshlrev_b64 v[5:6], 2, v[5:6]
	v_mov_b32_e32 v12, s90
	v_add_co_u32_e32 v5, vcc, s89, v5
	v_addc_co_u32_e32 v6, vcc, v12, v6, vcc
	flat_load_dword v5, v[5:6]
	s_or_b64 s[12:13], s[12:13], exec
	s_waitcnt vmcnt(0) lgkmcnt(0)
	v_div_scale_f32 v6, s[16:17], v5, v5, 1.0
	v_div_scale_f32 v12, vcc, 1.0, v5, 1.0
	v_rcp_f32_e32 v13, v6
	v_fma_f32 v14, -v6, v13, 1.0
	v_fmac_f32_e32 v13, v14, v13
	v_mul_f32_e32 v14, v12, v13
	v_fma_f32 v15, -v6, v14, v12
	v_fmac_f32_e32 v14, v15, v13
	v_fma_f32 v6, -v6, v14, v12
	v_div_fmas_f32 v6, v6, v13, v14
	v_div_fixup_f32 v12, v6, v5, 1.0
.LBB120_1199:
	s_or_b64 exec, exec, s[14:15]
	s_and_b64 s[12:13], s[12:13], exec
                                        ; implicit-def: $vgpr5_vgpr6
	s_andn2_saveexec_b64 s[8:9], s[8:9]
	s_cbranch_execz .LBB120_44
.LBB120_1200:
	v_lshlrev_b64 v[5:6], 2, v[5:6]
	v_mov_b32_e32 v12, s90
	v_add_co_u32_e32 v5, vcc, s89, v5
	v_addc_co_u32_e32 v6, vcc, v12, v6, vcc
	flat_load_dword v5, v[5:6]
	s_or_b64 s[12:13], s[12:13], exec
	s_waitcnt vmcnt(0) lgkmcnt(0)
	v_xor_b32_e32 v12, 0x80000000, v5
	s_or_b64 exec, exec, s[8:9]
	s_and_saveexec_b64 s[8:9], s[12:13]
	s_cbranch_execnz .LBB120_45
	s_branch .LBB120_46
.LBB120_1201:
	s_or_b64 exec, exec, s[10:11]
	s_and_b64 vcc, exec, s[8:9]
	s_cbranch_vccnz .LBB120_1139
.LBB120_1202:
	v_mov_b32_e32 v11, v2
	s_and_saveexec_b64 s[2:3], s[6:7]
	s_cbranch_execnz .LBB120_1160
	s_branch .LBB120_1161
.LBB120_1203:
	s_andn2_b64 s[4:5], s[6:7], exec
	s_and_b64 s[6:7], s[2:3], exec
	s_or_b64 s[6:7], s[4:5], s[6:7]
	s_cbranch_execnz .LBB120_1159
.LBB120_1204:
	v_cmp_gt_i32_e32 vcc, s88, v0
	s_and_b64 s[2:3], s[2:3], vcc
	s_andn2_b64 s[4:5], s[6:7], exec
	s_and_b64 s[2:3], s[2:3], exec
	s_or_b64 s[6:7], s[4:5], s[2:3]
	s_and_saveexec_b64 s[2:3], s[6:7]
	s_cbranch_execnz .LBB120_1160
	s_branch .LBB120_1161
.LBB120_1205:
	v_lshlrev_b32_e32 v16, 2, v14
	v_sub_u32_e32 v16, v15, v16
	v_lshl_add_u32 v16, v13, 2, v16
	ds_read_b32 v16, v16 offset:272
	ds_read_b32 v17, v15 offset:4
	s_waitcnt lgkmcnt(0)
	v_fmac_f32_e32 v12, v16, v17
	s_or_b64 exec, exec, s[14:15]
	v_cmp_gt_u32_e64 s[10:11], 8, v4
	s_and_saveexec_b64 s[14:15], s[10:11]
	s_cbranch_execz .LBB120_79
.LBB120_1206:
	ds_read_b32 v16, v6 offset:528
	ds_read_b32 v15, v15 offset:8
	s_waitcnt lgkmcnt(0)
	v_fmac_f32_e32 v12, v16, v15
	s_or_b64 exec, exec, s[14:15]
	v_cmp_gt_u32_e64 s[10:11], 4, v4
	s_and_saveexec_b64 s[14:15], s[10:11]
	s_cbranch_execnz .LBB120_80
	s_branch .LBB120_81
.LBB120_1207:
	v_lshlrev_b32_e32 v21, 2, v19
	v_sub_u32_e32 v21, v20, v21
	v_lshl_add_u32 v21, v18, 2, v21
	ds_read_b32 v21, v21 offset:288
	ds_read_b32 v22, v20 offset:4
	s_waitcnt lgkmcnt(0)
	v_fmac_f32_e32 v17, v21, v22
	s_or_b64 exec, exec, s[16:17]
	v_cmp_gt_u32_e64 s[14:15], 48, v4
	s_and_saveexec_b64 s[16:17], s[14:15]
	s_cbranch_execz .LBB120_121
.LBB120_1208:
	v_lshlrev_b32_e32 v21, 2, v19
	v_sub_u32_e32 v21, v20, v21
	v_lshl_add_u32 v21, v18, 2, v21
	ds_read_b32 v21, v21 offset:544
	ds_read_b32 v22, v20 offset:8
	s_waitcnt lgkmcnt(0)
	v_fmac_f32_e32 v17, v21, v22
	s_or_b64 exec, exec, s[16:17]
	v_cmp_gt_u32_e64 s[14:15], 40, v4
	s_and_saveexec_b64 s[16:17], s[14:15]
	s_cbranch_execz .LBB120_122
.LBB120_1209:
	v_lshlrev_b32_e32 v21, 2, v19
	v_sub_u32_e32 v21, v20, v21
	v_lshl_add_u32 v21, v18, 2, v21
	ds_read_b32 v21, v21 offset:800
	ds_read_b32 v22, v20 offset:12
	s_waitcnt lgkmcnt(0)
	v_fmac_f32_e32 v17, v21, v22
	s_or_b64 exec, exec, s[16:17]
	v_cmp_gt_u32_e64 s[14:15], 32, v4
	s_and_saveexec_b64 s[16:17], s[14:15]
	s_cbranch_execz .LBB120_123
.LBB120_1210:
	ds_read_b32 v21, v15 offset:1056
	ds_read_b32 v22, v20 offset:16
	s_waitcnt lgkmcnt(0)
	v_fmac_f32_e32 v17, v21, v22
	s_or_b64 exec, exec, s[16:17]
	v_cmp_gt_u32_e64 s[14:15], 24, v4
	s_and_saveexec_b64 s[16:17], s[14:15]
	s_cbranch_execz .LBB120_124
.LBB120_1211:
	v_lshlrev_b32_e32 v21, 2, v19
	v_sub_u32_e32 v21, v20, v21
	v_lshl_add_u32 v21, v18, 2, v21
	ds_read_b32 v21, v21 offset:1312
	ds_read_b32 v22, v20 offset:20
	s_waitcnt lgkmcnt(0)
	v_fmac_f32_e32 v17, v21, v22
	s_or_b64 exec, exec, s[16:17]
	v_cmp_gt_u32_e64 s[14:15], 16, v4
	s_and_saveexec_b64 s[16:17], s[14:15]
	s_cbranch_execz .LBB120_125
.LBB120_1212:
	ds_read_b32 v21, v15 offset:1568
	ds_read_b32 v20, v20 offset:24
	s_waitcnt lgkmcnt(0)
	v_fmac_f32_e32 v17, v21, v20
	s_or_b64 exec, exec, s[16:17]
	v_cmp_gt_u32_e64 s[14:15], 8, v4
	s_and_saveexec_b64 s[16:17], s[14:15]
	s_cbranch_execnz .LBB120_126
	s_branch .LBB120_127
.LBB120_1213:
	v_lshlrev_b32_e32 v22, 2, v14
	v_sub_u32_e32 v22, v21, v22
	v_lshl_add_u32 v22, v13, 2, v22
	ds_read_b32 v22, v22 offset:2352
	ds_read_b32 v23, v21 offset:2084
	s_waitcnt lgkmcnt(0)
	v_fmac_f32_e32 v20, v22, v23
	s_or_b64 exec, exec, s[14:15]
	v_cmp_gt_u32_e64 s[10:11], 8, v4
	s_and_saveexec_b64 s[14:15], s[10:11]
	s_cbranch_execz .LBB120_183
.LBB120_1214:
	ds_read_b32 v22, v6 offset:2608
	ds_read_b32 v21, v21 offset:2088
	s_waitcnt lgkmcnt(0)
	v_fmac_f32_e32 v20, v22, v21
	s_or_b64 exec, exec, s[14:15]
	v_cmp_gt_u32_e64 s[10:11], 4, v4
	s_and_saveexec_b64 s[14:15], s[10:11]
	s_cbranch_execnz .LBB120_184
	s_branch .LBB120_185
.LBB120_1215:
	v_lshlrev_b32_e32 v26, 2, v21
	v_lshl_add_u32 v26, v23, 2, v26
	ds_read_b32 v26, v26 offset:2880
	ds_read_b32 v27, v25 offset:44
	s_waitcnt lgkmcnt(0)
	v_fmac_f32_e32 v22, v26, v27
	s_or_b64 exec, exec, s[20:21]
	v_cmp_gt_u32_e64 s[16:17], 64, v4
	s_and_saveexec_b64 s[20:21], s[16:17]
	s_cbranch_execz .LBB120_245
.LBB120_1216:
	ds_read_b32 v26, v20 offset:3136
	ds_read_b32 v27, v25 offset:48
	s_waitcnt lgkmcnt(0)
	v_fmac_f32_e32 v22, v26, v27
	s_or_b64 exec, exec, s[20:21]
	v_cmp_gt_u32_e64 s[16:17], 48, v4
	s_and_saveexec_b64 s[20:21], s[16:17]
	s_cbranch_execz .LBB120_246
.LBB120_1217:
	v_lshlrev_b32_e32 v26, 2, v21
	v_lshl_add_u32 v26, v23, 2, v26
	ds_read_b32 v26, v26 offset:3392
	ds_read_b32 v27, v25 offset:52
	s_waitcnt lgkmcnt(0)
	v_fmac_f32_e32 v22, v26, v27
	s_or_b64 exec, exec, s[20:21]
	v_cmp_gt_u32_e64 s[16:17], 32, v4
	s_and_saveexec_b64 s[20:21], s[16:17]
	s_cbranch_execz .LBB120_247
.LBB120_1218:
	ds_read_b32 v26, v20 offset:3648
	ds_read_b32 v25, v25 offset:56
	s_waitcnt lgkmcnt(0)
	v_fmac_f32_e32 v22, v26, v25
	s_or_b64 exec, exec, s[20:21]
	v_cmp_gt_u32_e64 s[16:17], 16, v4
	s_and_saveexec_b64 s[20:21], s[16:17]
	s_cbranch_execnz .LBB120_248
	s_branch .LBB120_249
.LBB120_1219:
	v_lshlrev_b32_e32 v27, 2, v14
	v_sub_u32_e32 v27, v26, v27
	v_lshl_add_u32 v27, v13, 2, v27
	ds_read_b32 v27, v27 offset:4432
	ds_read_b32 v28, v26 offset:4164
	s_waitcnt lgkmcnt(0)
	v_fmac_f32_e32 v25, v27, v28
	s_or_b64 exec, exec, s[20:21]
	v_cmp_gt_u32_e64 s[14:15], 8, v4
	s_and_saveexec_b64 s[20:21], s[14:15]
	s_cbranch_execz .LBB120_337
.LBB120_1220:
	ds_read_b32 v27, v6 offset:4688
	ds_read_b32 v26, v26 offset:4168
	s_waitcnt lgkmcnt(0)
	v_fmac_f32_e32 v25, v27, v26
	s_or_b64 exec, exec, s[20:21]
	v_cmp_gt_u32_e64 s[14:15], 4, v4
	s_and_saveexec_b64 s[20:21], s[14:15]
	s_cbranch_execnz .LBB120_338
	s_branch .LBB120_339
.LBB120_1221:
	v_lshlrev_b32_e32 v27, 2, v19
	v_sub_u32_e32 v27, v26, v27
	v_lshl_add_u32 v27, v18, 2, v27
	ds_read_b32 v27, v27 offset:4448
	ds_read_b32 v28, v26 offset:4164
	s_waitcnt lgkmcnt(0)
	v_fmac_f32_e32 v25, v27, v28
	s_or_b64 exec, exec, s[20:21]
	v_cmp_gt_u32_e64 s[14:15], 48, v4
	s_and_saveexec_b64 s[20:21], s[14:15]
	s_cbranch_execz .LBB120_379
.LBB120_1222:
	v_lshlrev_b32_e32 v27, 2, v19
	v_sub_u32_e32 v27, v26, v27
	v_lshl_add_u32 v27, v18, 2, v27
	ds_read_b32 v27, v27 offset:4704
	ds_read_b32 v28, v26 offset:4168
	s_waitcnt lgkmcnt(0)
	v_fmac_f32_e32 v25, v27, v28
	s_or_b64 exec, exec, s[20:21]
	v_cmp_gt_u32_e64 s[14:15], 40, v4
	s_and_saveexec_b64 s[20:21], s[14:15]
	s_cbranch_execz .LBB120_380
.LBB120_1223:
	v_lshlrev_b32_e32 v27, 2, v19
	v_sub_u32_e32 v27, v26, v27
	v_lshl_add_u32 v27, v18, 2, v27
	ds_read_b32 v27, v27 offset:4960
	ds_read_b32 v28, v26 offset:4172
	s_waitcnt lgkmcnt(0)
	v_fmac_f32_e32 v25, v27, v28
	s_or_b64 exec, exec, s[20:21]
	v_cmp_gt_u32_e64 s[14:15], 32, v4
	s_and_saveexec_b64 s[20:21], s[14:15]
	s_cbranch_execz .LBB120_381
.LBB120_1224:
	ds_read_b32 v27, v15 offset:5216
	ds_read_b32 v28, v26 offset:4176
	s_waitcnt lgkmcnt(0)
	v_fmac_f32_e32 v25, v27, v28
	s_or_b64 exec, exec, s[20:21]
	v_cmp_gt_u32_e64 s[14:15], 24, v4
	s_and_saveexec_b64 s[20:21], s[14:15]
	s_cbranch_execz .LBB120_382
.LBB120_1225:
	v_lshlrev_b32_e32 v27, 2, v19
	v_sub_u32_e32 v27, v26, v27
	v_lshl_add_u32 v27, v18, 2, v27
	ds_read_b32 v27, v27 offset:5472
	ds_read_b32 v28, v26 offset:4180
	s_waitcnt lgkmcnt(0)
	v_fmac_f32_e32 v25, v27, v28
	s_or_b64 exec, exec, s[20:21]
	v_cmp_gt_u32_e64 s[14:15], 16, v4
	s_and_saveexec_b64 s[20:21], s[14:15]
	s_cbranch_execz .LBB120_383
.LBB120_1226:
	ds_read_b32 v27, v15 offset:5728
	ds_read_b32 v26, v26 offset:4184
	s_waitcnt lgkmcnt(0)
	v_fmac_f32_e32 v25, v27, v26
	s_or_b64 exec, exec, s[20:21]
	v_cmp_gt_u32_e64 s[14:15], 8, v4
	s_and_saveexec_b64 s[20:21], s[14:15]
	s_cbranch_execnz .LBB120_384
	s_branch .LBB120_385
.LBB120_1227:
	v_lshlrev_b32_e32 v27, 2, v14
	v_sub_u32_e32 v27, v26, v27
	v_lshl_add_u32 v27, v13, 2, v27
	ds_read_b32 v27, v27 offset:6512
	ds_read_b32 v28, v26 offset:6244
	s_waitcnt lgkmcnt(0)
	v_fmac_f32_e32 v25, v27, v28
	s_or_b64 exec, exec, s[20:21]
	v_cmp_gt_u32_e64 s[14:15], 8, v4
	s_and_saveexec_b64 s[20:21], s[14:15]
	s_cbranch_execz .LBB120_441
.LBB120_1228:
	ds_read_b32 v27, v6 offset:6768
	ds_read_b32 v26, v26 offset:6248
	s_waitcnt lgkmcnt(0)
	v_fmac_f32_e32 v25, v27, v26
	s_or_b64 exec, exec, s[20:21]
	v_cmp_gt_u32_e64 s[14:15], 4, v4
	s_and_saveexec_b64 s[20:21], s[14:15]
	s_cbranch_execnz .LBB120_442
	s_branch .LBB120_443
.LBB120_1229:
	ds_read_b32 v31, v25 offset:7552
	ds_read_b32 v32, v30 offset:116
	s_waitcnt lgkmcnt(0)
	v_fmac_f32_e32 v28, v31, v32
	s_or_b64 exec, exec, s[22:23]
	v_cmp_gt_u32_e64 s[20:21], 64, v4
	s_and_saveexec_b64 s[22:23], s[20:21]
	s_cbranch_execz .LBB120_539
.LBB120_1230:
	ds_read_b32 v31, v25 offset:7808
	ds_read_b32 v30, v30 offset:120
	s_waitcnt lgkmcnt(0)
	v_fmac_f32_e32 v28, v31, v30
	s_or_b64 exec, exec, s[22:23]
	v_cmp_gt_u32_e64 s[20:21], 32, v4
	s_and_saveexec_b64 s[22:23], s[20:21]
	s_cbranch_execnz .LBB120_540
	s_branch .LBB120_541
.LBB120_1231:
	v_lshlrev_b32_e32 v27, 2, v14
	v_sub_u32_e32 v27, v26, v27
	v_lshl_add_u32 v27, v13, 2, v27
	ds_read_b32 v27, v27 offset:8592
	ds_read_b32 v28, v26 offset:8324
	s_waitcnt lgkmcnt(0)
	v_fmac_f32_e32 v25, v27, v28
	s_or_b64 exec, exec, s[16:17]
	v_cmp_gt_u32_e64 s[12:13], 8, v4
	s_and_saveexec_b64 s[16:17], s[12:13]
	s_cbranch_execz .LBB120_693
.LBB120_1232:
	ds_read_b32 v27, v6 offset:8848
	ds_read_b32 v26, v26 offset:8328
	s_waitcnt lgkmcnt(0)
	v_fmac_f32_e32 v25, v27, v26
	s_or_b64 exec, exec, s[16:17]
	v_cmp_gt_u32_e64 s[12:13], 4, v4
	s_and_saveexec_b64 s[16:17], s[12:13]
	s_cbranch_execnz .LBB120_694
	s_branch .LBB120_695
.LBB120_1233:
	v_lshlrev_b32_e32 v27, 2, v19
	v_sub_u32_e32 v27, v26, v27
	v_lshl_add_u32 v27, v18, 2, v27
	ds_read_b32 v27, v27 offset:8608
	ds_read_b32 v28, v26 offset:8324
	s_waitcnt lgkmcnt(0)
	v_fmac_f32_e32 v25, v27, v28
	s_or_b64 exec, exec, s[16:17]
	v_cmp_gt_u32_e64 s[12:13], 48, v4
	s_and_saveexec_b64 s[16:17], s[12:13]
	s_cbranch_execz .LBB120_735
.LBB120_1234:
	v_lshlrev_b32_e32 v27, 2, v19
	v_sub_u32_e32 v27, v26, v27
	v_lshl_add_u32 v27, v18, 2, v27
	ds_read_b32 v27, v27 offset:8864
	ds_read_b32 v28, v26 offset:8328
	s_waitcnt lgkmcnt(0)
	v_fmac_f32_e32 v25, v27, v28
	s_or_b64 exec, exec, s[16:17]
	v_cmp_gt_u32_e64 s[12:13], 40, v4
	s_and_saveexec_b64 s[16:17], s[12:13]
	s_cbranch_execz .LBB120_736
.LBB120_1235:
	v_lshlrev_b32_e32 v27, 2, v19
	v_sub_u32_e32 v27, v26, v27
	v_lshl_add_u32 v27, v18, 2, v27
	ds_read_b32 v27, v27 offset:9120
	ds_read_b32 v28, v26 offset:8332
	s_waitcnt lgkmcnt(0)
	v_fmac_f32_e32 v25, v27, v28
	s_or_b64 exec, exec, s[16:17]
	v_cmp_gt_u32_e64 s[12:13], 32, v4
	s_and_saveexec_b64 s[16:17], s[12:13]
	s_cbranch_execz .LBB120_737
.LBB120_1236:
	ds_read_b32 v27, v15 offset:9376
	ds_read_b32 v28, v26 offset:8336
	s_waitcnt lgkmcnt(0)
	v_fmac_f32_e32 v25, v27, v28
	s_or_b64 exec, exec, s[16:17]
	v_cmp_gt_u32_e64 s[12:13], 24, v4
	s_and_saveexec_b64 s[16:17], s[12:13]
	s_cbranch_execz .LBB120_738
.LBB120_1237:
	v_lshlrev_b32_e32 v27, 2, v19
	v_sub_u32_e32 v27, v26, v27
	v_lshl_add_u32 v27, v18, 2, v27
	ds_read_b32 v27, v27 offset:9632
	ds_read_b32 v28, v26 offset:8340
	s_waitcnt lgkmcnt(0)
	v_fmac_f32_e32 v25, v27, v28
	s_or_b64 exec, exec, s[16:17]
	v_cmp_gt_u32_e64 s[12:13], 16, v4
	s_and_saveexec_b64 s[16:17], s[12:13]
	s_cbranch_execz .LBB120_739
.LBB120_1238:
	ds_read_b32 v27, v15 offset:9888
	ds_read_b32 v26, v26 offset:8344
	s_waitcnt lgkmcnt(0)
	v_fmac_f32_e32 v25, v27, v26
	s_or_b64 exec, exec, s[16:17]
	v_cmp_gt_u32_e64 s[12:13], 8, v4
	s_and_saveexec_b64 s[16:17], s[12:13]
	s_cbranch_execnz .LBB120_740
	s_branch .LBB120_741
.LBB120_1239:
	v_lshlrev_b32_e32 v27, 2, v14
	v_sub_u32_e32 v27, v26, v27
	v_lshl_add_u32 v27, v13, 2, v27
	ds_read_b32 v27, v27 offset:10672
	ds_read_b32 v28, v26 offset:10404
	s_waitcnt lgkmcnt(0)
	v_fmac_f32_e32 v25, v27, v28
	s_or_b64 exec, exec, s[16:17]
	v_cmp_gt_u32_e64 s[12:13], 8, v4
	s_and_saveexec_b64 s[16:17], s[12:13]
	s_cbranch_execz .LBB120_797
.LBB120_1240:
	ds_read_b32 v27, v6 offset:10928
	ds_read_b32 v26, v26 offset:10408
	s_waitcnt lgkmcnt(0)
	v_fmac_f32_e32 v25, v27, v26
	s_or_b64 exec, exec, s[16:17]
	v_cmp_gt_u32_e64 s[12:13], 4, v4
	s_and_saveexec_b64 s[16:17], s[12:13]
	s_cbranch_execnz .LBB120_798
	s_branch .LBB120_799
.LBB120_1241:
	v_lshlrev_b32_e32 v24, 2, v21
	v_lshl_add_u32 v24, v23, 2, v24
	ds_read_b32 v24, v24 offset:11200
	ds_read_b32 v27, v26 offset:8364
	s_waitcnt lgkmcnt(0)
	v_fmac_f32_e32 v25, v24, v27
	s_or_b64 exec, exec, s[16:17]
	v_cmp_gt_u32_e64 s[12:13], 64, v4
	s_and_saveexec_b64 s[16:17], s[12:13]
	s_cbranch_execz .LBB120_859
.LBB120_1242:
	ds_read_b32 v24, v20 offset:11456
	ds_read_b32 v27, v26 offset:8368
	s_waitcnt lgkmcnt(0)
	v_fmac_f32_e32 v25, v24, v27
	s_or_b64 exec, exec, s[16:17]
	v_cmp_gt_u32_e64 s[12:13], 48, v4
	s_and_saveexec_b64 s[16:17], s[12:13]
	s_cbranch_execz .LBB120_860
.LBB120_1243:
	v_lshlrev_b32_e32 v24, 2, v21
	v_lshl_add_u32 v23, v23, 2, v24
	ds_read_b32 v23, v23 offset:11712
	ds_read_b32 v24, v26 offset:8372
	s_waitcnt lgkmcnt(0)
	v_fmac_f32_e32 v25, v23, v24
	s_or_b64 exec, exec, s[16:17]
	v_cmp_gt_u32_e64 s[12:13], 32, v4
	s_and_saveexec_b64 s[16:17], s[12:13]
	s_cbranch_execz .LBB120_861
.LBB120_1244:
	ds_read_b32 v23, v20 offset:11968
	ds_read_b32 v24, v26 offset:8376
	s_waitcnt lgkmcnt(0)
	v_fmac_f32_e32 v25, v23, v24
	s_or_b64 exec, exec, s[16:17]
	v_cmp_gt_u32_e64 s[12:13], 16, v4
	s_and_saveexec_b64 s[16:17], s[12:13]
	s_cbranch_execnz .LBB120_862
	s_branch .LBB120_863
.LBB120_1245:
	v_lshlrev_b32_e32 v22, 2, v14
	v_sub_u32_e32 v22, v21, v22
	v_lshl_add_u32 v22, v13, 2, v22
	ds_read_b32 v22, v22 offset:12752
	ds_read_b32 v23, v21 offset:12484
	s_waitcnt lgkmcnt(0)
	v_fmac_f32_e32 v20, v22, v23
	s_or_b64 exec, exec, s[12:13]
	v_cmp_gt_u32_e64 s[10:11], 8, v4
	s_and_saveexec_b64 s[12:13], s[10:11]
	s_cbranch_execz .LBB120_951
.LBB120_1246:
	ds_read_b32 v22, v6 offset:13008
	ds_read_b32 v21, v21 offset:12488
	s_waitcnt lgkmcnt(0)
	v_fmac_f32_e32 v20, v22, v21
	s_or_b64 exec, exec, s[12:13]
	v_cmp_gt_u32_e64 s[10:11], 4, v4
	s_and_saveexec_b64 s[12:13], s[10:11]
	s_cbranch_execnz .LBB120_952
	s_branch .LBB120_953
.LBB120_1247:
	v_lshlrev_b32_e32 v22, 2, v19
	v_sub_u32_e32 v22, v21, v22
	v_lshl_add_u32 v22, v18, 2, v22
	ds_read_b32 v22, v22 offset:12768
	ds_read_b32 v23, v21 offset:12484
	s_waitcnt lgkmcnt(0)
	v_fmac_f32_e32 v20, v22, v23
	s_or_b64 exec, exec, s[12:13]
	v_cmp_gt_u32_e64 s[10:11], 48, v4
	s_and_saveexec_b64 s[12:13], s[10:11]
	s_cbranch_execz .LBB120_993
.LBB120_1248:
	v_lshlrev_b32_e32 v22, 2, v19
	v_sub_u32_e32 v22, v21, v22
	v_lshl_add_u32 v22, v18, 2, v22
	ds_read_b32 v22, v22 offset:13024
	ds_read_b32 v23, v21 offset:12488
	s_waitcnt lgkmcnt(0)
	v_fmac_f32_e32 v20, v22, v23
	s_or_b64 exec, exec, s[12:13]
	v_cmp_gt_u32_e64 s[10:11], 40, v4
	s_and_saveexec_b64 s[12:13], s[10:11]
	s_cbranch_execz .LBB120_994
.LBB120_1249:
	v_lshlrev_b32_e32 v22, 2, v19
	v_sub_u32_e32 v22, v21, v22
	v_lshl_add_u32 v22, v18, 2, v22
	ds_read_b32 v22, v22 offset:13280
	ds_read_b32 v23, v21 offset:12492
	s_waitcnt lgkmcnt(0)
	v_fmac_f32_e32 v20, v22, v23
	s_or_b64 exec, exec, s[12:13]
	v_cmp_gt_u32_e64 s[10:11], 32, v4
	s_and_saveexec_b64 s[12:13], s[10:11]
	s_cbranch_execz .LBB120_995
.LBB120_1250:
	ds_read_b32 v22, v15 offset:13536
	ds_read_b32 v23, v21 offset:12496
	s_waitcnt lgkmcnt(0)
	v_fmac_f32_e32 v20, v22, v23
	s_or_b64 exec, exec, s[12:13]
	v_cmp_gt_u32_e64 s[10:11], 24, v4
	s_and_saveexec_b64 s[12:13], s[10:11]
	s_cbranch_execz .LBB120_996
.LBB120_1251:
	v_lshlrev_b32_e32 v19, 2, v19
	v_sub_u32_e32 v19, v21, v19
	v_lshl_add_u32 v18, v18, 2, v19
	ds_read_b32 v18, v18 offset:13792
	ds_read_b32 v19, v21 offset:12500
	s_waitcnt lgkmcnt(0)
	v_fmac_f32_e32 v20, v18, v19
	s_or_b64 exec, exec, s[12:13]
	v_cmp_gt_u32_e64 s[10:11], 16, v4
	s_and_saveexec_b64 s[12:13], s[10:11]
	s_cbranch_execz .LBB120_997
.LBB120_1252:
	ds_read_b32 v18, v15 offset:14048
	ds_read_b32 v19, v21 offset:12504
	s_waitcnt lgkmcnt(0)
	v_fmac_f32_e32 v20, v18, v19
	s_or_b64 exec, exec, s[12:13]
	v_cmp_gt_u32_e64 s[10:11], 8, v4
	s_and_saveexec_b64 s[12:13], s[10:11]
	s_cbranch_execnz .LBB120_998
	s_branch .LBB120_999
.LBB120_1253:
	v_lshlrev_b32_e32 v14, 2, v14
	v_sub_u32_e32 v14, v16, v14
	v_lshl_add_u32 v13, v13, 2, v14
	ds_read_b32 v13, v13 offset:14832
	ds_read_b32 v14, v16 offset:14564
	s_waitcnt lgkmcnt(0)
	v_fmac_f32_e32 v15, v13, v14
	s_or_b64 exec, exec, s[10:11]
	v_cmp_gt_u32_e64 s[8:9], 8, v4
	s_and_saveexec_b64 s[10:11], s[8:9]
	s_cbranch_execz .LBB120_1055
.LBB120_1254:
	ds_read_b32 v13, v6 offset:15088
	ds_read_b32 v14, v16 offset:14568
	s_waitcnt lgkmcnt(0)
	v_fmac_f32_e32 v15, v13, v14
	s_or_b64 exec, exec, s[10:11]
	v_cmp_gt_u32_e64 s[8:9], 4, v4
	s_and_saveexec_b64 s[10:11], s[8:9]
	s_cbranch_execnz .LBB120_1056
	s_branch .LBB120_1057
	.section	.rodata,"a",@progbits
	.p2align	6, 0x0
	.amdhsa_kernel _ZL19rocblas_trsv_deviceILi64ELi16ELb1ELb1ELb1ELb0EffPKPKfPKPfEviT7_lllT6_T8_lllPii
		.amdhsa_group_segment_fixed_size 20740
		.amdhsa_private_segment_fixed_size 0
		.amdhsa_kernarg_size 352
		.amdhsa_user_sgpr_count 6
		.amdhsa_user_sgpr_private_segment_buffer 1
		.amdhsa_user_sgpr_dispatch_ptr 0
		.amdhsa_user_sgpr_queue_ptr 0
		.amdhsa_user_sgpr_kernarg_segment_ptr 1
		.amdhsa_user_sgpr_dispatch_id 0
		.amdhsa_user_sgpr_flat_scratch_init 0
		.amdhsa_user_sgpr_private_segment_size 0
		.amdhsa_uses_dynamic_stack 0
		.amdhsa_system_sgpr_private_segment_wavefront_offset 0
		.amdhsa_system_sgpr_workgroup_id_x 1
		.amdhsa_system_sgpr_workgroup_id_y 0
		.amdhsa_system_sgpr_workgroup_id_z 1
		.amdhsa_system_sgpr_workgroup_info 0
		.amdhsa_system_vgpr_workitem_id 1
		.amdhsa_next_free_vgpr 34
		.amdhsa_next_free_sgpr 96
		.amdhsa_reserve_vcc 1
		.amdhsa_reserve_flat_scratch 0
		.amdhsa_float_round_mode_32 0
		.amdhsa_float_round_mode_16_64 0
		.amdhsa_float_denorm_mode_32 3
		.amdhsa_float_denorm_mode_16_64 3
		.amdhsa_dx10_clamp 1
		.amdhsa_ieee_mode 1
		.amdhsa_fp16_overflow 0
		.amdhsa_exception_fp_ieee_invalid_op 0
		.amdhsa_exception_fp_denorm_src 0
		.amdhsa_exception_fp_ieee_div_zero 0
		.amdhsa_exception_fp_ieee_overflow 0
		.amdhsa_exception_fp_ieee_underflow 0
		.amdhsa_exception_fp_ieee_inexact 0
		.amdhsa_exception_int_div_zero 0
	.end_amdhsa_kernel
	.section	.text._ZL19rocblas_trsv_deviceILi64ELi16ELb1ELb1ELb1ELb0EffPKPKfPKPfEviT7_lllT6_T8_lllPii,"axG",@progbits,_ZL19rocblas_trsv_deviceILi64ELi16ELb1ELb1ELb1ELb0EffPKPKfPKPfEviT7_lllT6_T8_lllPii,comdat
.Lfunc_end120:
	.size	_ZL19rocblas_trsv_deviceILi64ELi16ELb1ELb1ELb1ELb0EffPKPKfPKPfEviT7_lllT6_T8_lllPii, .Lfunc_end120-_ZL19rocblas_trsv_deviceILi64ELi16ELb1ELb1ELb1ELb0EffPKPKfPKPfEviT7_lllT6_T8_lllPii
                                        ; -- End function
	.set _ZL19rocblas_trsv_deviceILi64ELi16ELb1ELb1ELb1ELb0EffPKPKfPKPfEviT7_lllT6_T8_lllPii.num_vgpr, 34
	.set _ZL19rocblas_trsv_deviceILi64ELi16ELb1ELb1ELb1ELb0EffPKPKfPKPfEviT7_lllT6_T8_lllPii.num_agpr, 0
	.set _ZL19rocblas_trsv_deviceILi64ELi16ELb1ELb1ELb1ELb0EffPKPKfPKPfEviT7_lllT6_T8_lllPii.numbered_sgpr, 96
	.set _ZL19rocblas_trsv_deviceILi64ELi16ELb1ELb1ELb1ELb0EffPKPKfPKPfEviT7_lllT6_T8_lllPii.num_named_barrier, 0
	.set _ZL19rocblas_trsv_deviceILi64ELi16ELb1ELb1ELb1ELb0EffPKPKfPKPfEviT7_lllT6_T8_lllPii.private_seg_size, 0
	.set _ZL19rocblas_trsv_deviceILi64ELi16ELb1ELb1ELb1ELb0EffPKPKfPKPfEviT7_lllT6_T8_lllPii.uses_vcc, 1
	.set _ZL19rocblas_trsv_deviceILi64ELi16ELb1ELb1ELb1ELb0EffPKPKfPKPfEviT7_lllT6_T8_lllPii.uses_flat_scratch, 0
	.set _ZL19rocblas_trsv_deviceILi64ELi16ELb1ELb1ELb1ELb0EffPKPKfPKPfEviT7_lllT6_T8_lllPii.has_dyn_sized_stack, 0
	.set _ZL19rocblas_trsv_deviceILi64ELi16ELb1ELb1ELb1ELb0EffPKPKfPKPfEviT7_lllT6_T8_lllPii.has_recursion, 0
	.set _ZL19rocblas_trsv_deviceILi64ELi16ELb1ELb1ELb1ELb0EffPKPKfPKPfEviT7_lllT6_T8_lllPii.has_indirect_call, 0
	.section	.AMDGPU.csdata,"",@progbits
; Kernel info:
; codeLenInByte = 39432
; TotalNumSgprs: 100
; NumVgprs: 34
; ScratchSize: 0
; MemoryBound: 0
; FloatMode: 240
; IeeeMode: 1
; LDSByteSize: 20740 bytes/workgroup (compile time only)
; SGPRBlocks: 12
; VGPRBlocks: 8
; NumSGPRsForWavesPerEU: 100
; NumVGPRsForWavesPerEU: 34
; Occupancy: 7
; WaveLimiterHint : 1
; COMPUTE_PGM_RSRC2:SCRATCH_EN: 0
; COMPUTE_PGM_RSRC2:USER_SGPR: 6
; COMPUTE_PGM_RSRC2:TRAP_HANDLER: 0
; COMPUTE_PGM_RSRC2:TGID_X_EN: 1
; COMPUTE_PGM_RSRC2:TGID_Y_EN: 0
; COMPUTE_PGM_RSRC2:TGID_Z_EN: 1
; COMPUTE_PGM_RSRC2:TIDIG_COMP_CNT: 1
	.section	.text._ZL19rocblas_trsv_deviceILi64ELi16ELb0ELb0ELb0ELb1EdPKdPKS1_PKPdEviT7_lllT6_T8_lllPii,"axG",@progbits,_ZL19rocblas_trsv_deviceILi64ELi16ELb0ELb0ELb0ELb1EdPKdPKS1_PKPdEviT7_lllT6_T8_lllPii,comdat
	.globl	_ZL19rocblas_trsv_deviceILi64ELi16ELb0ELb0ELb0ELb1EdPKdPKS1_PKPdEviT7_lllT6_T8_lllPii ; -- Begin function _ZL19rocblas_trsv_deviceILi64ELi16ELb0ELb0ELb0ELb1EdPKdPKS1_PKPdEviT7_lllT6_T8_lllPii
	.p2align	8
	.type	_ZL19rocblas_trsv_deviceILi64ELi16ELb0ELb0ELb0ELb1EdPKdPKS1_PKPdEviT7_lllT6_T8_lllPii,@function
_ZL19rocblas_trsv_deviceILi64ELi16ELb0ELb0ELb0ELb1EdPKdPKS1_PKPdEviT7_lllT6_T8_lllPii: ; @_ZL19rocblas_trsv_deviceILi64ELi16ELb0ELb0ELb0ELb1EdPKdPKS1_PKPdEviT7_lllT6_T8_lllPii
; %bb.0:
	s_load_dwordx4 s[0:3], s[4:5], 0x8
	s_mov_b32 s24, s7
	s_mov_b32 s25, 0
	s_lshl_b64 s[8:9], s[24:25], 3
	s_waitcnt lgkmcnt(0)
	s_add_u32 s0, s0, s8
	s_addc_u32 s1, s1, s9
	s_load_dwordx2 s[10:11], s[0:1], 0x0
	s_load_dword s26, s[4:5], 0x0
	s_load_dwordx8 s[16:23], s[4:5], 0x28
	s_load_dwordx2 s[28:29], s[4:5], 0x18
	s_lshl_b64 s[0:1], s[2:3], 3
	s_waitcnt lgkmcnt(0)
	s_add_u32 s85, s10, s0
	s_addc_u32 s86, s11, s1
	s_add_u32 s0, s18, s8
	s_load_dword s7, s[4:5], 0x60
	s_addc_u32 s1, s19, s9
	s_load_dwordx2 s[34:35], s[0:1], 0x0
	s_load_dwordx2 s[30:31], s[16:17], 0x0
	s_load_dword s87, s[4:5], 0x6c
	s_waitcnt lgkmcnt(0)
	s_add_i32 s7, s7, -1
	s_sub_i32 s33, s7, s6
	s_cmp_eq_u32 s6, 0
	s_cbranch_scc1 .LBB121_10
; %bb.1:
	s_lshl_b32 s2, s33, 6
	v_add3_u32 v12, v1, s2, 64
	v_ashrrev_i32_e32 v2, 31, v12
	v_mul_lo_u32 v6, s28, v2
	v_mul_lo_u32 v7, s29, v12
	v_mad_u64_u32 v[2:3], s[0:1], s28, v12, 0
	v_add_u32_e32 v4, s2, v0
	v_ashrrev_i32_e32 v5, 31, v4
	v_add3_u32 v3, v3, v6, v7
	v_lshlrev_b64 v[2:3], 3, v[2:3]
	v_mov_b32_e32 v6, s86
	v_add_co_u32_e64 v7, s[0:1], s85, v2
	v_addc_co_u32_e64 v6, s[0:1], v6, v3, s[0:1]
	v_lshlrev_b64 v[2:3], 3, v[4:5]
	v_cmp_gt_i32_e32 vcc, s26, v4
	v_add_co_u32_e64 v10, s[0:1], v7, v2
	v_addc_co_u32_e64 v11, s[0:1], v6, v3, s[0:1]
	v_cmp_gt_i32_e64 s[0:1], s26, v12
	v_mov_b32_e32 v4, 0
	v_mov_b32_e32 v2, 0
	;; [unrolled: 1-line block ×4, first 2 shown]
	s_and_b64 s[2:3], vcc, s[0:1]
	s_barrier
	s_and_saveexec_b64 s[0:1], s[2:3]
	s_cbranch_execz .LBB121_3
; %bb.2:
	flat_load_dwordx2 v[2:3], v[10:11]
.LBB121_3:
	s_or_b64 exec, exec, s[0:1]
	v_add_u32_e32 v6, 16, v12
	v_cmp_gt_i32_e64 s[0:1], s26, v6
	s_and_b64 s[0:1], vcc, s[0:1]
	s_waitcnt vmcnt(0) lgkmcnt(0)
	s_barrier
	s_and_saveexec_b64 s[2:3], s[0:1]
	s_cbranch_execz .LBB121_5
; %bb.4:
	s_lshl_b64 s[0:1], s[28:29], 7
	v_mov_b32_e32 v5, s1
	v_add_co_u32_e64 v4, s[0:1], s0, v10
	v_addc_co_u32_e64 v5, s[0:1], v11, v5, s[0:1]
	flat_load_dwordx2 v[4:5], v[4:5]
.LBB121_5:
	s_or_b64 exec, exec, s[2:3]
	v_add_u32_e32 v6, 32, v12
	v_cmp_gt_i32_e64 s[0:1], s26, v6
	v_mov_b32_e32 v6, 0
	v_mov_b32_e32 v8, 0
	;; [unrolled: 1-line block ×4, first 2 shown]
	s_and_b64 s[0:1], vcc, s[0:1]
	s_waitcnt vmcnt(0) lgkmcnt(0)
	s_barrier
	s_and_saveexec_b64 s[2:3], s[0:1]
	s_cbranch_execz .LBB121_7
; %bb.6:
	s_lshl_b64 s[0:1], s[28:29], 8
	v_mov_b32_e32 v9, s1
	v_add_co_u32_e64 v8, s[0:1], s0, v10
	v_addc_co_u32_e64 v9, s[0:1], v11, v9, s[0:1]
	flat_load_dwordx2 v[8:9], v[8:9]
.LBB121_7:
	s_or_b64 exec, exec, s[2:3]
	v_add_u32_e32 v12, 48, v12
	v_cmp_gt_i32_e64 s[0:1], s26, v12
	s_and_b64 s[2:3], vcc, s[0:1]
	s_waitcnt vmcnt(0) lgkmcnt(0)
	s_barrier
	s_and_saveexec_b64 s[0:1], s[2:3]
	s_cbranch_execz .LBB121_9
; %bb.8:
	v_mov_b32_e32 v6, 0x180
	v_mad_u64_u32 v[6:7], s[2:3], s28, v6, v[10:11]
	s_mul_i32 s2, s29, 0x180
	v_add_u32_e32 v7, s2, v7
	flat_load_dwordx2 v[6:7], v[6:7]
.LBB121_9:
	s_or_b64 exec, exec, s[0:1]
	s_branch .LBB121_11
.LBB121_10:
                                        ; implicit-def: $vgpr6_vgpr7
                                        ; implicit-def: $vgpr8_vgpr9
                                        ; implicit-def: $vgpr4_vgpr5
                                        ; implicit-def: $vgpr2_vgpr3
.LBB121_11:
	s_ashr_i32 s27, s26, 31
	s_lshr_b32 s0, s27, 26
	s_add_i32 s0, s26, s0
	s_andn2_b32 s0, s0, 63
	s_sub_i32 s84, s26, s0
	s_add_i32 s0, s26, -1
	s_ashr_i32 s1, s0, 31
	s_lshr_b32 s1, s1, 26
	s_add_i32 s0, s0, s1
	s_ashr_i32 s0, s0, 6
	s_cmp_eq_u32 s0, s33
	s_cselect_b64 s[0:1], -1, 0
	s_cmp_lg_u32 s84, 0
	s_cselect_b64 s[2:3], -1, 0
	s_and_b64 s[18:19], s[2:3], s[0:1]
	s_mov_b64 s[2:3], -1
	s_and_b64 vcc, exec, s[18:19]
	v_cmp_le_u32_e64 s[0:1], v1, v0
	s_cbranch_vccnz .LBB121_33
; %bb.12:
	s_add_u32 s2, s28, 1
	s_addc_u32 s3, s29, 0
	s_lshl_b32 s8, s33, 6
	s_ashr_i32 s9, s8, 31
	s_mul_hi_u32 s10, s2, s8
	s_mul_i32 s9, s2, s9
	s_add_i32 s9, s10, s9
	s_mul_i32 s3, s3, s8
	s_add_i32 s3, s9, s3
	s_mul_i32 s2, s2, s8
	s_lshl_b64 s[2:3], s[2:3], 3
	s_add_u32 s2, s85, s2
	s_addc_u32 s3, s86, s3
	v_lshlrev_b32_e32 v14, 3, v0
	v_mov_b32_e32 v11, s3
	v_add_co_u32_e32 v10, vcc, s2, v14
	v_addc_co_u32_e32 v11, vcc, 0, v11, vcc
	s_mov_b64 s[2:3], 0
	s_and_saveexec_b64 s[8:9], s[0:1]
	s_xor_b64 s[0:1], exec, s[8:9]
; %bb.13:
	v_or_b32_e32 v12, v1, v0
	v_cmp_gt_u32_e32 vcc, 64, v12
	s_and_b64 s[2:3], vcc, exec
; %bb.14:
	s_or_saveexec_b64 s[0:1], s[0:1]
	v_mov_b32_e32 v12, 0
	v_mov_b32_e32 v13, 0
	s_xor_b64 exec, exec, s[0:1]
	s_cbranch_execz .LBB121_16
; %bb.15:
	v_mad_u64_u32 v[12:13], s[8:9], s28, v1, 0
	s_or_b64 s[2:3], s[2:3], exec
	v_mad_u64_u32 v[15:16], s[8:9], s29, v1, v[13:14]
	v_mov_b32_e32 v13, v15
	v_lshlrev_b64 v[12:13], 3, v[12:13]
	v_add_co_u32_e32 v12, vcc, v10, v12
	v_addc_co_u32_e32 v13, vcc, v11, v13, vcc
	flat_load_dwordx2 v[12:13], v[12:13]
	s_waitcnt vmcnt(0) lgkmcnt(0)
	v_xor_b32_e32 v13, 0x80000000, v13
.LBB121_16:
	s_or_b64 exec, exec, s[0:1]
	s_and_saveexec_b64 s[0:1], s[2:3]
; %bb.17:
	v_lshl_add_u32 v15, v1, 9, v14
	ds_write_b64 v15, v[12:13]
; %bb.18:
	s_or_b64 exec, exec, s[0:1]
	v_add_u32_e32 v15, 16, v1
	v_cmp_le_u32_e32 vcc, v15, v0
	s_mov_b64 s[0:1], 0
	s_and_saveexec_b64 s[2:3], vcc
	s_xor_b64 s[2:3], exec, s[2:3]
; %bb.19:
	v_or_b32_e32 v12, v15, v0
	v_cmp_gt_u32_e32 vcc, 64, v12
	s_and_b64 s[0:1], vcc, exec
; %bb.20:
	s_or_saveexec_b64 s[2:3], s[2:3]
	v_mov_b32_e32 v12, 0
	v_mov_b32_e32 v13, 0
	s_xor_b64 exec, exec, s[2:3]
	s_cbranch_execz .LBB121_22
; %bb.21:
	v_mad_u64_u32 v[12:13], s[8:9], s28, v15, 0
	s_or_b64 s[0:1], s[0:1], exec
	v_mad_u64_u32 v[16:17], s[8:9], s29, v15, v[13:14]
	v_mov_b32_e32 v13, v16
	v_lshlrev_b64 v[12:13], 3, v[12:13]
	v_add_co_u32_e32 v12, vcc, v10, v12
	v_addc_co_u32_e32 v13, vcc, v11, v13, vcc
	flat_load_dwordx2 v[12:13], v[12:13]
	s_waitcnt vmcnt(0) lgkmcnt(0)
	v_xor_b32_e32 v13, 0x80000000, v13
.LBB121_22:
	s_or_b64 exec, exec, s[2:3]
	s_and_saveexec_b64 s[2:3], s[0:1]
; %bb.23:
	v_lshl_add_u32 v15, v15, 9, v14
	ds_write_b64 v15, v[12:13]
; %bb.24:
	s_or_b64 exec, exec, s[2:3]
	v_add_u32_e32 v15, 32, v1
	v_cmp_le_u32_e32 vcc, v15, v0
	s_mov_b64 s[0:1], 0
	s_and_saveexec_b64 s[2:3], vcc
	s_xor_b64 s[2:3], exec, s[2:3]
; %bb.25:
	v_or_b32_e32 v12, v15, v0
	v_cmp_gt_u32_e32 vcc, 64, v12
	s_and_b64 s[0:1], vcc, exec
; %bb.26:
	s_or_saveexec_b64 s[2:3], s[2:3]
	v_mov_b32_e32 v12, 0
	v_mov_b32_e32 v13, 0
	s_xor_b64 exec, exec, s[2:3]
	s_cbranch_execz .LBB121_28
; %bb.27:
	v_mad_u64_u32 v[12:13], s[8:9], s28, v15, 0
	s_or_b64 s[0:1], s[0:1], exec
	v_mad_u64_u32 v[16:17], s[8:9], s29, v15, v[13:14]
	v_mov_b32_e32 v13, v16
	v_lshlrev_b64 v[12:13], 3, v[12:13]
	v_add_co_u32_e32 v12, vcc, v10, v12
	v_addc_co_u32_e32 v13, vcc, v11, v13, vcc
	flat_load_dwordx2 v[12:13], v[12:13]
	s_waitcnt vmcnt(0) lgkmcnt(0)
	v_xor_b32_e32 v13, 0x80000000, v13
.LBB121_28:
	s_or_b64 exec, exec, s[2:3]
	s_and_saveexec_b64 s[2:3], s[0:1]
; %bb.29:
	v_lshl_add_u32 v14, v15, 9, v14
	ds_write_b64 v14, v[12:13]
; %bb.30:
	s_or_b64 exec, exec, s[2:3]
	v_add_u32_e32 v14, 48, v1
	v_cmp_le_u32_e32 vcc, v14, v0
	s_mov_b64 s[0:1], -1
	s_mov_b64 s[2:3], 0
	s_mov_b64 s[8:9], 0
	s_and_saveexec_b64 s[10:11], vcc
	s_xor_b64 s[10:11], exec, s[10:11]
; %bb.31:
	v_or_b32_e32 v12, v14, v0
	v_cmp_gt_u32_e32 vcc, 64, v12
	s_and_b64 s[8:9], vcc, exec
	s_xor_b64 s[0:1], exec, -1
; %bb.32:
	s_or_b64 exec, exec, s[10:11]
	v_lshl_add_u32 v15, v14, 6, v0
	s_and_b64 vcc, exec, s[2:3]
	s_cbranch_vccnz .LBB121_34
	s_branch .LBB121_55
.LBB121_33:
	s_mov_b64 s[0:1], 0
	s_mov_b64 s[8:9], 0
                                        ; implicit-def: $vgpr15
                                        ; implicit-def: $vgpr10_vgpr11
                                        ; implicit-def: $vgpr14
	s_and_b64 vcc, exec, s[2:3]
	s_cbranch_vccz .LBB121_55
.LBB121_34:
	s_add_u32 s0, s28, 1
	s_addc_u32 s1, s29, 0
	s_lshl_b32 s2, s33, 6
	s_ashr_i32 s3, s2, 31
	s_mul_hi_u32 s10, s0, s2
	s_mul_i32 s3, s0, s3
	s_add_i32 s3, s10, s3
	s_mul_i32 s1, s1, s2
	s_add_i32 s1, s3, s1
	s_mul_i32 s0, s0, s2
	s_lshl_b64 s[0:1], s[0:1], 3
	s_add_u32 s0, s85, s0
	s_addc_u32 s1, s86, s1
	v_lshlrev_b32_e32 v14, 3, v0
	v_mov_b32_e32 v11, s1
	v_add_co_u32_e64 v10, s[0:1], s0, v14
	v_addc_co_u32_e64 v11, s[0:1], 0, v11, s[0:1]
	v_max_i32_e32 v12, v1, v0
	v_cmp_le_u32_e64 s[0:1], v1, v0
	v_cmp_le_i32_e64 s[2:3], s84, v12
	v_cmp_gt_i32_e32 vcc, s84, v0
	s_or_b64 s[0:1], s[2:3], s[0:1]
	s_mov_b64 s[2:3], 0
	s_and_saveexec_b64 s[10:11], s[0:1]
	s_xor_b64 s[10:11], exec, s[10:11]
; %bb.35:
	v_or_b32_e32 v12, v1, v0
	v_cmp_gt_u32_e64 s[0:1], 64, v12
	s_and_b64 s[2:3], s[0:1], exec
; %bb.36:
	s_or_saveexec_b64 s[10:11], s[10:11]
	v_mov_b32_e32 v12, 0
	v_mov_b32_e32 v13, 0
	s_xor_b64 exec, exec, s[10:11]
	s_cbranch_execz .LBB121_38
; %bb.37:
	v_mad_u64_u32 v[12:13], s[0:1], s28, v1, 0
	s_or_b64 s[2:3], s[2:3], exec
	v_mad_u64_u32 v[15:16], s[0:1], s29, v1, v[13:14]
	v_mov_b32_e32 v13, v15
	v_lshlrev_b64 v[12:13], 3, v[12:13]
	v_add_co_u32_e64 v12, s[0:1], v10, v12
	v_addc_co_u32_e64 v13, s[0:1], v11, v13, s[0:1]
	flat_load_dwordx2 v[12:13], v[12:13]
	s_waitcnt vmcnt(0) lgkmcnt(0)
	v_xor_b32_e32 v13, 0x80000000, v13
.LBB121_38:
	s_or_b64 exec, exec, s[10:11]
	s_and_saveexec_b64 s[0:1], s[2:3]
; %bb.39:
	v_lshl_add_u32 v15, v1, 9, v14
	ds_write_b64 v15, v[12:13]
; %bb.40:
	s_or_b64 exec, exec, s[0:1]
	v_add_u32_e32 v15, 16, v1
	v_cmp_gt_u32_e64 s[0:1], v15, v0
	v_cmp_gt_i32_e64 s[2:3], s84, v15
	s_and_b64 s[0:1], s[0:1], s[2:3]
	s_and_b64 s[0:1], s[0:1], vcc
	s_xor_b64 s[0:1], s[0:1], -1
	s_mov_b64 s[2:3], 0
	s_and_saveexec_b64 s[10:11], s[0:1]
	s_xor_b64 s[10:11], exec, s[10:11]
; %bb.41:
	v_or_b32_e32 v12, v15, v0
	v_cmp_gt_u32_e64 s[0:1], 64, v12
	s_and_b64 s[2:3], s[0:1], exec
; %bb.42:
	s_or_saveexec_b64 s[10:11], s[10:11]
	v_mov_b32_e32 v12, 0
	v_mov_b32_e32 v13, 0
	s_xor_b64 exec, exec, s[10:11]
	s_cbranch_execz .LBB121_44
; %bb.43:
	v_mad_u64_u32 v[12:13], s[0:1], s28, v15, 0
	s_or_b64 s[2:3], s[2:3], exec
	v_mad_u64_u32 v[16:17], s[0:1], s29, v15, v[13:14]
	v_mov_b32_e32 v13, v16
	v_lshlrev_b64 v[12:13], 3, v[12:13]
	v_add_co_u32_e64 v12, s[0:1], v10, v12
	v_addc_co_u32_e64 v13, s[0:1], v11, v13, s[0:1]
	flat_load_dwordx2 v[12:13], v[12:13]
	s_waitcnt vmcnt(0) lgkmcnt(0)
	v_xor_b32_e32 v13, 0x80000000, v13
.LBB121_44:
	s_or_b64 exec, exec, s[10:11]
	s_and_saveexec_b64 s[0:1], s[2:3]
; %bb.45:
	v_lshl_add_u32 v15, v15, 9, v14
	ds_write_b64 v15, v[12:13]
; %bb.46:
	s_or_b64 exec, exec, s[0:1]
	v_add_u32_e32 v15, 32, v1
	v_cmp_gt_u32_e64 s[0:1], v15, v0
	v_cmp_gt_i32_e64 s[2:3], s84, v15
	s_and_b64 s[0:1], s[0:1], s[2:3]
	s_and_b64 s[0:1], s[0:1], vcc
	s_xor_b64 s[0:1], s[0:1], -1
	s_mov_b64 s[2:3], 0
	s_and_saveexec_b64 s[10:11], s[0:1]
	s_xor_b64 s[10:11], exec, s[10:11]
; %bb.47:
	v_or_b32_e32 v12, v15, v0
	v_cmp_gt_u32_e64 s[0:1], 64, v12
	s_and_b64 s[2:3], s[0:1], exec
; %bb.48:
	s_or_saveexec_b64 s[10:11], s[10:11]
	v_mov_b32_e32 v12, 0
	v_mov_b32_e32 v13, 0
	s_xor_b64 exec, exec, s[10:11]
	s_cbranch_execz .LBB121_50
; %bb.49:
	v_mad_u64_u32 v[12:13], s[0:1], s28, v15, 0
	s_or_b64 s[2:3], s[2:3], exec
	v_mad_u64_u32 v[16:17], s[0:1], s29, v15, v[13:14]
	v_mov_b32_e32 v13, v16
	v_lshlrev_b64 v[12:13], 3, v[12:13]
	v_add_co_u32_e64 v12, s[0:1], v10, v12
	v_addc_co_u32_e64 v13, s[0:1], v11, v13, s[0:1]
	flat_load_dwordx2 v[12:13], v[12:13]
	s_waitcnt vmcnt(0) lgkmcnt(0)
	v_xor_b32_e32 v13, 0x80000000, v13
.LBB121_50:
	s_or_b64 exec, exec, s[10:11]
	s_and_saveexec_b64 s[0:1], s[2:3]
; %bb.51:
	v_lshl_add_u32 v14, v15, 9, v14
	ds_write_b64 v14, v[12:13]
; %bb.52:
	s_or_b64 exec, exec, s[0:1]
	v_add_u32_e32 v14, 48, v1
	v_cmp_gt_u32_e64 s[0:1], v14, v0
	v_cmp_gt_i32_e64 s[2:3], s84, v14
	s_and_b64 s[0:1], s[0:1], s[2:3]
	s_and_b64 s[2:3], s[0:1], vcc
	s_mov_b64 s[0:1], -1
	s_xor_b64 s[10:11], s[2:3], -1
	s_and_saveexec_b64 s[2:3], s[10:11]
; %bb.53:
	v_or_b32_e32 v12, v14, v0
	v_cmp_gt_u32_e32 vcc, 64, v12
	s_andn2_b64 s[0:1], s[8:9], exec
	s_and_b64 s[8:9], vcc, exec
	s_or_b64 s[8:9], s[0:1], s[8:9]
	s_xor_b64 s[0:1], exec, -1
; %bb.54:
	s_or_b64 exec, exec, s[2:3]
	v_lshl_add_u32 v15, v14, 6, v0
.LBB121_55:
	v_mov_b32_e32 v12, 0
	v_mov_b32_e32 v13, 0
	s_and_saveexec_b64 s[2:3], s[0:1]
	s_cbranch_execnz .LBB121_1077
; %bb.56:
	s_or_b64 exec, exec, s[2:3]
	s_and_saveexec_b64 s[0:1], s[8:9]
.LBB121_57:
	v_lshlrev_b32_e32 v10, 3, v15
	ds_write_b64 v10, v[12:13]
.LBB121_58:
	s_or_b64 exec, exec, s[0:1]
	s_cmp_lt_i32 s6, 5
	s_cselect_b64 s[0:1], -1, 0
	s_or_b64 s[36:37], s[0:1], s[18:19]
	s_and_b64 vcc, exec, s[36:37]
	s_waitcnt vmcnt(0) lgkmcnt(0)
	s_barrier
	s_cbranch_vccnz .LBB121_1034
; %bb.59:
	v_or_b32_e32 v10, v0, v1
	s_mov_b32 s2, 0
	v_cmp_eq_u32_e32 vcc, 0, v10
	s_and_saveexec_b64 s[0:1], vcc
	s_cbranch_execz .LBB121_61
; %bb.60:
	s_mov_b32 s3, 0x3ff00000
	v_mov_b32_e32 v11, s3
	v_mov_b32_e32 v10, s2
	s_movk_i32 s2, 0x7800
	v_add_u32_e64 v12, s2, 0
	ds_write2_b64 v12, v[10:11], v[10:11] offset0:190 offset1:255
.LBB121_61:
	s_or_b64 exec, exec, s[0:1]
	v_lshlrev_b32_e32 v10, 6, v1
	v_add_u32_e32 v15, v10, v0
	v_and_b32_e32 v11, v10, v0
	v_xor_b32_e32 v10, v10, v0
	v_lshrrev_b16_e32 v10, 1, v10
	v_add_u16_e32 v14, v11, v10
	v_mov_b32_e32 v10, 0
	v_and_b32_e32 v12, 1, v0
	v_sub_u32_e32 v13, 1, v14
	v_cmp_lt_u32_e64 s[2:3], 3, v15
	v_mov_b32_e32 v11, 0
	v_cmp_gt_u32_e64 s[0:1], 4, v15
	s_waitcnt lgkmcnt(0)
	s_barrier
	buffer_wbinvl1_vol
	s_and_saveexec_b64 s[10:11], s[0:1]
	s_cbranch_execz .LBB121_65
; %bb.62:
	v_lshlrev_b32_e32 v16, 9, v13
	v_lshlrev_b32_e32 v10, 3, v12
	ds_read_b64 v[10:11], v10 offset:32224
	ds_read_b64 v[16:17], v16 offset:32240
	v_cmp_gt_u32_e64 s[8:9], 2, v15
	s_waitcnt lgkmcnt(0)
	v_fma_f64 v[10:11], v[10:11], v[16:17], 0
	s_and_saveexec_b64 s[12:13], s[8:9]
	s_cbranch_execz .LBB121_64
; %bb.63:
	v_lshlrev_b32_e32 v16, 3, v0
	v_mov_b32_e32 v18, 0
	ds_read_b64 v[16:17], v16 offset:32736
	ds_read_b64 v[18:19], v18 offset:32760
	s_waitcnt lgkmcnt(0)
	v_fma_f64 v[10:11], v[16:17], v[18:19], v[10:11]
.LBB121_64:
	s_or_b64 exec, exec, s[12:13]
.LBB121_65:
	s_or_b64 exec, exec, s[10:11]
	v_mov_b32_e32 v16, 0x8000
	v_cmp_ne_u32_e64 s[8:9], 0, v12
	s_xor_b64 s[10:11], s[2:3], -1
	v_lshl_add_u32 v14, v14, 3, v16
	s_and_b64 s[40:41], s[8:9], s[10:11]
	s_and_saveexec_b64 s[2:3], s[40:41]
; %bb.66:
	v_xor_b32_e32 v17, 0x80000000, v11
	v_mov_b32_e32 v16, v10
	ds_write_b64 v14, v[16:17]
; %bb.67:
	s_or_b64 exec, exec, s[2:3]
	v_cmp_eq_u32_e64 s[2:3], 0, v12
	s_and_b64 s[38:39], s[2:3], s[10:11]
	s_waitcnt lgkmcnt(0)
	s_barrier
	s_and_saveexec_b64 s[2:3], s[38:39]
	s_cbranch_execz .LBB121_69
; %bb.68:
	v_mov_b32_e32 v16, 0
	ds_read_b64 v[16:17], v16 offset:31712
	ds_read_b64 v[18:19], v14
	s_waitcnt lgkmcnt(0)
	v_fma_f64 v[10:11], -v[16:17], v[18:19], v[10:11]
.LBB121_69:
	s_or_b64 exec, exec, s[2:3]
	s_barrier
	s_and_saveexec_b64 s[2:3], s[38:39]
; %bb.70:
	v_xor_b32_e32 v17, 0x80000000, v11
	v_mov_b32_e32 v16, v10
	ds_write_b64 v14, v[16:17]
; %bb.71:
	s_or_b64 exec, exec, s[2:3]
	s_waitcnt lgkmcnt(0)
	s_barrier
	s_barrier
	s_and_saveexec_b64 s[2:3], s[0:1]
; %bb.72:
	v_lshlrev_b32_e32 v16, 3, v12
	v_lshl_or_b32 v16, v13, 9, v16
	ds_write_b64 v16, v[10:11] offset:32224
; %bb.73:
	s_or_b64 exec, exec, s[2:3]
	s_waitcnt lgkmcnt(0)
	s_barrier
	s_barrier
	s_and_saveexec_b64 s[2:3], vcc
	s_cbranch_execz .LBB121_75
; %bb.74:
	s_mov_b64 s[8:9], 1.0
	v_mov_b32_e32 v11, s9
	v_mov_b32_e32 v10, s8
	s_movk_i32 s8, 0x7800
	v_add_u32_e64 v16, s8, 0
	ds_write2_b64 v16, v[10:11], v[10:11] offset0:60 offset1:125
.LBB121_75:
	s_or_b64 exec, exec, s[2:3]
	v_lshrrev_b32_e32 v18, 2, v15
	v_mov_b32_e32 v10, 0
	v_and_b32_e32 v16, 3, v0
	v_sub_u32_e32 v17, 3, v18
	v_cmp_lt_u32_e64 s[8:9], 15, v15
	v_mov_b32_e32 v11, 0
	v_cmp_gt_u32_e64 s[2:3], 16, v15
	s_waitcnt lgkmcnt(0)
	s_barrier
	buffer_wbinvl1_vol
	s_and_saveexec_b64 s[12:13], s[2:3]
	s_cbranch_execz .LBB121_81
; %bb.76:
	v_lshlrev_b32_e32 v20, 3, v16
	v_lshlrev_b32_e32 v19, 9, v17
	ds_read_b64 v[10:11], v20 offset:31168
	ds_read_b64 v[21:22], v19 offset:31200
	v_cmp_gt_u32_e64 s[10:11], 12, v15
	s_waitcnt lgkmcnt(0)
	v_fma_f64 v[10:11], v[10:11], v[21:22], 0
	s_and_saveexec_b64 s[14:15], s[10:11]
	s_cbranch_execnz .LBB121_1108
; %bb.77:
	s_or_b64 exec, exec, s[14:15]
	v_cmp_gt_u32_e64 s[10:11], 8, v15
	s_and_saveexec_b64 s[14:15], s[10:11]
	s_cbranch_execnz .LBB121_1109
.LBB121_78:
	s_or_b64 exec, exec, s[14:15]
	v_cmp_gt_u32_e64 s[10:11], 4, v15
	s_and_saveexec_b64 s[14:15], s[10:11]
	s_cbranch_execz .LBB121_80
.LBB121_79:
	v_lshlrev_b32_e32 v19, 3, v0
	v_mov_b32_e32 v21, 0
	ds_read_b64 v[19:20], v19 offset:32704
	ds_read_b64 v[21:22], v21 offset:32760
	s_waitcnt lgkmcnt(0)
	v_fma_f64 v[10:11], v[19:20], v[21:22], v[10:11]
.LBB121_80:
	s_or_b64 exec, exec, s[14:15]
.LBB121_81:
                                        ; implicit-def: $vgpr34 : SGPR spill to VGPR lane
	v_writelane_b32 v34, s30, 0
	v_writelane_b32 v34, s31, 1
	s_or_b64 exec, exec, s[12:13]
	v_mov_b32_e32 v19, 0x8000
	v_cmp_eq_u32_e64 s[10:11], 3, v16
	s_xor_b64 s[12:13], s[8:9], -1
	v_lshl_add_u32 v18, v18, 3, v19
	s_and_b64 s[44:45], s[10:11], s[12:13]
	s_and_saveexec_b64 s[8:9], s[44:45]
; %bb.82:
	v_xor_b32_e32 v20, 0x80000000, v11
	v_mov_b32_e32 v19, v10
	ds_write_b64 v18, v[19:20]
; %bb.83:
	s_or_b64 exec, exec, s[8:9]
	v_cmp_ne_u32_e64 s[8:9], 3, v16
	s_and_b64 s[46:47], s[8:9], s[12:13]
	s_waitcnt lgkmcnt(0)
	s_barrier
	s_and_saveexec_b64 s[8:9], s[46:47]
	s_cbranch_execz .LBB121_85
; %bb.84:
	v_lshlrev_b32_e32 v19, 3, v16
	ds_read_b64 v[19:20], v19 offset:30656
	ds_read_b64 v[21:22], v18
	s_waitcnt lgkmcnt(0)
	v_fma_f64 v[10:11], -v[19:20], v[21:22], v[10:11]
.LBB121_85:
	s_or_b64 exec, exec, s[8:9]
	v_cmp_eq_u32_e64 s[8:9], 2, v16
	s_and_b64 s[48:49], s[8:9], s[12:13]
	s_barrier
	s_and_saveexec_b64 s[8:9], s[48:49]
; %bb.86:
	v_xor_b32_e32 v20, 0x80000000, v11
	v_mov_b32_e32 v19, v10
	ds_write_b64 v18, v[19:20]
; %bb.87:
	s_or_b64 exec, exec, s[8:9]
	v_cmp_gt_u32_e64 s[8:9], 2, v16
	s_and_b64 s[50:51], s[8:9], s[12:13]
	s_waitcnt lgkmcnt(0)
	s_barrier
	s_and_saveexec_b64 s[8:9], s[50:51]
	s_cbranch_execz .LBB121_89
; %bb.88:
	v_lshlrev_b32_e32 v19, 3, v16
	ds_read_b64 v[19:20], v19 offset:30144
	ds_read_b64 v[21:22], v18
	s_waitcnt lgkmcnt(0)
	v_fma_f64 v[10:11], -v[19:20], v[21:22], v[10:11]
.LBB121_89:
	s_or_b64 exec, exec, s[8:9]
	v_cmp_eq_u32_e64 s[8:9], 1, v16
	s_and_b64 s[52:53], s[8:9], s[12:13]
	s_barrier
	s_and_saveexec_b64 s[8:9], s[52:53]
; %bb.90:
	v_xor_b32_e32 v20, 0x80000000, v11
	v_mov_b32_e32 v19, v10
	ds_write_b64 v18, v[19:20]
; %bb.91:
	s_or_b64 exec, exec, s[8:9]
	v_cmp_eq_u32_e64 s[8:9], 0, v16
	s_and_b64 s[42:43], s[8:9], s[12:13]
	s_waitcnt lgkmcnt(0)
	s_barrier
	s_and_saveexec_b64 s[8:9], s[42:43]
	s_cbranch_execz .LBB121_93
; %bb.92:
	v_mov_b32_e32 v19, 0
	ds_read_b64 v[19:20], v19 offset:29632
	ds_read_b64 v[21:22], v18
	s_waitcnt lgkmcnt(0)
	v_fma_f64 v[10:11], -v[19:20], v[21:22], v[10:11]
.LBB121_93:
	s_or_b64 exec, exec, s[8:9]
	s_barrier
	s_and_saveexec_b64 s[8:9], s[42:43]
; %bb.94:
	v_xor_b32_e32 v20, 0x80000000, v11
	v_mov_b32_e32 v19, v10
	ds_write_b64 v18, v[19:20]
; %bb.95:
	s_or_b64 exec, exec, s[8:9]
	s_waitcnt lgkmcnt(0)
	s_barrier
	s_barrier
	s_and_saveexec_b64 s[8:9], s[2:3]
; %bb.96:
	v_lshlrev_b32_e32 v19, 3, v16
	v_lshl_or_b32 v19, v17, 9, v19
	ds_write_b64 v19, v[10:11] offset:31168
; %bb.97:
	s_or_b64 exec, exec, s[8:9]
	s_waitcnt lgkmcnt(0)
	s_barrier
	s_barrier
	s_and_saveexec_b64 s[8:9], vcc
	s_cbranch_execz .LBB121_99
; %bb.98:
	s_mov_b64 s[10:11], 1.0
	v_mov_b32_e32 v10, s10
	v_mov_b32_e32 v11, s11
	s_movk_i32 s10, 0x7000
	v_add_u32_e64 v19, s10, 0
	ds_write2_b64 v19, v[10:11], v[10:11] offset0:186 offset1:251
.LBB121_99:
	s_or_b64 exec, exec, s[8:9]
	v_mov_b32_e32 v10, 0
	v_mov_b32_e32 v11, 0
	s_waitcnt lgkmcnt(0)
	s_barrier
	buffer_wbinvl1_vol
	s_and_saveexec_b64 s[10:11], s[0:1]
	s_cbranch_execz .LBB121_103
; %bb.100:
	v_lshlrev_b32_e32 v19, 9, v13
	v_lshlrev_b32_e32 v10, 3, v12
	ds_read_b64 v[10:11], v10 offset:30144
	ds_read_b64 v[19:20], v19 offset:30160
	v_cmp_gt_u32_e64 s[8:9], 2, v15
	s_waitcnt lgkmcnt(0)
	v_fma_f64 v[10:11], v[10:11], v[19:20], 0
	s_and_saveexec_b64 s[12:13], s[8:9]
	s_cbranch_execz .LBB121_102
; %bb.101:
	v_lshlrev_b32_e32 v19, 3, v0
	v_mov_b32_e32 v21, 0
	ds_read_b64 v[19:20], v19 offset:30656
	ds_read_b64 v[21:22], v21 offset:30680
	s_waitcnt lgkmcnt(0)
	v_fma_f64 v[10:11], v[19:20], v[21:22], v[10:11]
.LBB121_102:
	s_or_b64 exec, exec, s[12:13]
.LBB121_103:
	s_or_b64 exec, exec, s[10:11]
	s_and_saveexec_b64 s[8:9], s[40:41]
; %bb.104:
	v_xor_b32_e32 v20, 0x80000000, v11
	v_mov_b32_e32 v19, v10
	ds_write_b64 v14, v[19:20]
; %bb.105:
	s_or_b64 exec, exec, s[8:9]
	s_waitcnt lgkmcnt(0)
	s_barrier
	s_and_saveexec_b64 s[8:9], s[38:39]
	s_cbranch_execz .LBB121_107
; %bb.106:
	v_mov_b32_e32 v19, 0
	ds_read_b64 v[19:20], v19 offset:29632
	ds_read_b64 v[21:22], v14
	s_waitcnt lgkmcnt(0)
	v_fma_f64 v[10:11], -v[19:20], v[21:22], v[10:11]
.LBB121_107:
	s_or_b64 exec, exec, s[8:9]
	s_barrier
	s_and_saveexec_b64 s[8:9], s[38:39]
; %bb.108:
	v_xor_b32_e32 v20, 0x80000000, v11
	v_mov_b32_e32 v19, v10
	ds_write_b64 v14, v[19:20]
; %bb.109:
	s_or_b64 exec, exec, s[8:9]
	s_waitcnt lgkmcnt(0)
	s_barrier
	s_barrier
	s_and_saveexec_b64 s[8:9], s[0:1]
; %bb.110:
	v_lshlrev_b32_e32 v19, 3, v12
	v_lshl_or_b32 v19, v13, 9, v19
	ds_write_b64 v19, v[10:11] offset:30144
; %bb.111:
	s_or_b64 exec, exec, s[8:9]
	s_waitcnt lgkmcnt(0)
	s_barrier
	s_barrier
	s_and_saveexec_b64 s[8:9], vcc
	s_cbranch_execz .LBB121_113
; %bb.112:
	s_mov_b64 s[10:11], 1.0
	v_mov_b32_e32 v10, s10
	v_mov_b32_e32 v11, s11
	s_movk_i32 s10, 0x7000
	v_add_u32_e64 v19, s10, 0
	ds_write2_b64 v19, v[10:11], v[10:11] offset0:56 offset1:121
.LBB121_113:
	s_or_b64 exec, exec, s[8:9]
	v_lshrrev_b32_e32 v21, 3, v15
	v_mov_b32_e32 v10, 0
	v_and_b32_e32 v19, 7, v0
	v_sub_u32_e32 v20, 7, v21
	v_cmp_lt_u32_e64 s[8:9], 63, v15
	v_mov_b32_e32 v11, 0
	v_cmp_gt_u32_e64 s[14:15], 64, v15
	s_waitcnt lgkmcnt(0)
	s_barrier
	buffer_wbinvl1_vol
	s_and_saveexec_b64 s[12:13], s[14:15]
	s_cbranch_execz .LBB121_123
; %bb.114:
	v_lshlrev_b32_e32 v23, 3, v19
	v_lshlrev_b32_e32 v22, 9, v20
	ds_read_b64 v[10:11], v23 offset:29056
	ds_read_b64 v[24:25], v22 offset:29120
	v_cmp_gt_u32_e64 s[10:11], 56, v15
	s_waitcnt lgkmcnt(0)
	v_fma_f64 v[10:11], v[10:11], v[24:25], 0
	s_and_saveexec_b64 s[16:17], s[10:11]
	s_cbranch_execnz .LBB121_1110
; %bb.115:
	s_or_b64 exec, exec, s[16:17]
	v_cmp_gt_u32_e64 s[10:11], 48, v15
	s_and_saveexec_b64 s[16:17], s[10:11]
	s_cbranch_execnz .LBB121_1111
.LBB121_116:
	s_or_b64 exec, exec, s[16:17]
	v_cmp_gt_u32_e64 s[10:11], 40, v15
	s_and_saveexec_b64 s[16:17], s[10:11]
	s_cbranch_execnz .LBB121_1112
.LBB121_117:
	s_or_b64 exec, exec, s[16:17]
	v_cmp_gt_u32_e64 s[10:11], 32, v15
	s_and_saveexec_b64 s[16:17], s[10:11]
	s_cbranch_execnz .LBB121_1113
.LBB121_118:
	s_or_b64 exec, exec, s[16:17]
	v_cmp_gt_u32_e64 s[10:11], 24, v15
	s_and_saveexec_b64 s[16:17], s[10:11]
	s_cbranch_execnz .LBB121_1114
.LBB121_119:
	s_or_b64 exec, exec, s[16:17]
	s_and_saveexec_b64 s[10:11], s[2:3]
	s_cbranch_execnz .LBB121_1115
.LBB121_120:
	s_or_b64 exec, exec, s[10:11]
	v_cmp_gt_u32_e64 s[10:11], 8, v15
	s_and_saveexec_b64 s[16:17], s[10:11]
	s_cbranch_execz .LBB121_122
.LBB121_121:
	v_lshlrev_b32_e32 v22, 3, v0
	v_mov_b32_e32 v24, 0
	ds_read_b64 v[22:23], v22 offset:32640
	ds_read_b64 v[24:25], v24 offset:32760
	s_waitcnt lgkmcnt(0)
	v_fma_f64 v[10:11], v[22:23], v[24:25], v[10:11]
.LBB121_122:
	s_or_b64 exec, exec, s[16:17]
.LBB121_123:
	s_or_b64 exec, exec, s[12:13]
	v_mov_b32_e32 v22, 0x8000
	v_cmp_eq_u32_e64 s[10:11], 7, v19
	s_xor_b64 s[12:13], s[8:9], -1
	v_lshl_add_u32 v21, v21, 3, v22
	s_and_b64 s[54:55], s[10:11], s[12:13]
	s_and_saveexec_b64 s[8:9], s[54:55]
; %bb.124:
	v_xor_b32_e32 v23, 0x80000000, v11
	v_mov_b32_e32 v22, v10
	ds_write_b64 v21, v[22:23]
; %bb.125:
	s_or_b64 exec, exec, s[8:9]
	v_cmp_ne_u32_e64 s[8:9], 7, v19
	s_and_b64 s[56:57], s[8:9], s[12:13]
	s_waitcnt lgkmcnt(0)
	s_barrier
	s_and_saveexec_b64 s[8:9], s[56:57]
	s_cbranch_execz .LBB121_127
; %bb.126:
	v_lshlrev_b32_e32 v22, 3, v19
	ds_read_b64 v[22:23], v22 offset:28544
	ds_read_b64 v[24:25], v21
	s_waitcnt lgkmcnt(0)
	v_fma_f64 v[10:11], -v[22:23], v[24:25], v[10:11]
.LBB121_127:
	s_or_b64 exec, exec, s[8:9]
	v_cmp_eq_u32_e64 s[8:9], 6, v19
	s_and_b64 s[58:59], s[8:9], s[12:13]
	s_barrier
	s_and_saveexec_b64 s[8:9], s[58:59]
; %bb.128:
	v_xor_b32_e32 v23, 0x80000000, v11
	v_mov_b32_e32 v22, v10
	ds_write_b64 v21, v[22:23]
; %bb.129:
	s_or_b64 exec, exec, s[8:9]
	v_cmp_gt_u32_e64 s[8:9], 6, v19
	s_and_b64 s[60:61], s[8:9], s[12:13]
	s_waitcnt lgkmcnt(0)
	s_barrier
	s_and_saveexec_b64 s[8:9], s[60:61]
	s_cbranch_execz .LBB121_131
; %bb.130:
	v_lshlrev_b32_e32 v22, 3, v19
	ds_read_b64 v[22:23], v22 offset:28032
	ds_read_b64 v[24:25], v21
	s_waitcnt lgkmcnt(0)
	v_fma_f64 v[10:11], -v[22:23], v[24:25], v[10:11]
.LBB121_131:
	s_or_b64 exec, exec, s[8:9]
	v_cmp_eq_u32_e64 s[8:9], 5, v19
	s_and_b64 s[62:63], s[8:9], s[12:13]
	s_barrier
	s_and_saveexec_b64 s[8:9], s[62:63]
; %bb.132:
	v_xor_b32_e32 v23, 0x80000000, v11
	v_mov_b32_e32 v22, v10
	ds_write_b64 v21, v[22:23]
; %bb.133:
	s_or_b64 exec, exec, s[8:9]
	v_cmp_gt_u32_e64 s[8:9], 5, v19
	;; [unrolled: 24-line block ×5, first 2 shown]
	s_and_b64 s[78:79], s[8:9], s[12:13]
	s_waitcnt lgkmcnt(0)
	s_barrier
	s_and_saveexec_b64 s[8:9], s[78:79]
	s_cbranch_execz .LBB121_147
; %bb.146:
	v_lshlrev_b32_e32 v22, 3, v19
	ds_read_b64 v[22:23], v22 offset:25984
	ds_read_b64 v[24:25], v21
	s_waitcnt lgkmcnt(0)
	v_fma_f64 v[10:11], -v[22:23], v[24:25], v[10:11]
.LBB121_147:
	s_or_b64 exec, exec, s[8:9]
	v_cmp_eq_u32_e64 s[8:9], 1, v19
	s_and_b64 s[80:81], s[8:9], s[12:13]
	s_barrier
	s_and_saveexec_b64 s[8:9], s[80:81]
; %bb.148:
	v_xor_b32_e32 v23, 0x80000000, v11
	v_mov_b32_e32 v22, v10
	ds_write_b64 v21, v[22:23]
; %bb.149:
	s_or_b64 exec, exec, s[8:9]
	v_cmp_eq_u32_e64 s[8:9], 0, v19
	s_and_b64 s[64:65], s[8:9], s[12:13]
	s_waitcnt lgkmcnt(0)
	s_barrier
	s_and_saveexec_b64 s[8:9], s[64:65]
	s_cbranch_execz .LBB121_151
; %bb.150:
	v_mov_b32_e32 v22, 0
	ds_read_b64 v[22:23], v22 offset:25472
	ds_read_b64 v[24:25], v21
	s_waitcnt lgkmcnt(0)
	v_fma_f64 v[10:11], -v[22:23], v[24:25], v[10:11]
.LBB121_151:
	s_or_b64 exec, exec, s[8:9]
	s_barrier
	s_and_saveexec_b64 s[8:9], s[64:65]
; %bb.152:
	v_xor_b32_e32 v23, 0x80000000, v11
	v_mov_b32_e32 v22, v10
	ds_write_b64 v21, v[22:23]
; %bb.153:
	s_or_b64 exec, exec, s[8:9]
	s_waitcnt lgkmcnt(0)
	s_barrier
	s_barrier
	s_and_saveexec_b64 s[8:9], s[14:15]
; %bb.154:
	v_lshlrev_b32_e32 v22, 3, v19
	v_lshl_or_b32 v22, v20, 9, v22
	ds_write_b64 v22, v[10:11] offset:29056
; %bb.155:
	s_or_b64 exec, exec, s[8:9]
	s_waitcnt lgkmcnt(0)
	s_barrier
	s_barrier
	s_and_saveexec_b64 s[8:9], vcc
	s_cbranch_execz .LBB121_157
; %bb.156:
	s_mov_b64 s[10:11], 1.0
	v_mov_b32_e32 v10, s10
	v_mov_b32_e32 v11, s11
	s_movk_i32 s10, 0x6800
	v_add_u32_e64 v22, s10, 0
	ds_write2_b64 v22, v[10:11], v[10:11] offset0:182 offset1:247
.LBB121_157:
	s_or_b64 exec, exec, s[8:9]
	v_mov_b32_e32 v10, 0
	v_mov_b32_e32 v11, 0
	s_waitcnt lgkmcnt(0)
	s_barrier
	buffer_wbinvl1_vol
	s_and_saveexec_b64 s[10:11], s[0:1]
	s_cbranch_execz .LBB121_161
; %bb.158:
	v_lshlrev_b32_e32 v22, 9, v13
	v_lshlrev_b32_e32 v10, 3, v12
	ds_read_b64 v[10:11], v10 offset:28064
	ds_read_b64 v[22:23], v22 offset:28080
	v_cmp_gt_u32_e64 s[8:9], 2, v15
	s_waitcnt lgkmcnt(0)
	v_fma_f64 v[10:11], v[10:11], v[22:23], 0
	s_and_saveexec_b64 s[12:13], s[8:9]
	s_cbranch_execz .LBB121_160
; %bb.159:
	v_lshlrev_b32_e32 v22, 3, v0
	v_mov_b32_e32 v24, 0
	ds_read_b64 v[22:23], v22 offset:28576
	ds_read_b64 v[24:25], v24 offset:28600
	s_waitcnt lgkmcnt(0)
	v_fma_f64 v[10:11], v[22:23], v[24:25], v[10:11]
.LBB121_160:
	s_or_b64 exec, exec, s[12:13]
.LBB121_161:
	s_or_b64 exec, exec, s[10:11]
	s_and_saveexec_b64 s[8:9], s[40:41]
; %bb.162:
	v_xor_b32_e32 v23, 0x80000000, v11
	v_mov_b32_e32 v22, v10
	ds_write_b64 v14, v[22:23]
; %bb.163:
	s_or_b64 exec, exec, s[8:9]
	s_waitcnt lgkmcnt(0)
	s_barrier
	s_and_saveexec_b64 s[8:9], s[38:39]
	s_cbranch_execz .LBB121_165
; %bb.164:
	v_mov_b32_e32 v22, 0
	ds_read_b64 v[22:23], v22 offset:27552
	ds_read_b64 v[24:25], v14
	s_waitcnt lgkmcnt(0)
	v_fma_f64 v[10:11], -v[22:23], v[24:25], v[10:11]
.LBB121_165:
	s_or_b64 exec, exec, s[8:9]
	s_barrier
	s_and_saveexec_b64 s[8:9], s[38:39]
; %bb.166:
	v_xor_b32_e32 v23, 0x80000000, v11
	v_mov_b32_e32 v22, v10
	ds_write_b64 v14, v[22:23]
; %bb.167:
	s_or_b64 exec, exec, s[8:9]
	s_waitcnt lgkmcnt(0)
	s_barrier
	s_barrier
	s_and_saveexec_b64 s[8:9], s[0:1]
; %bb.168:
	v_lshlrev_b32_e32 v22, 3, v12
	v_lshl_or_b32 v22, v13, 9, v22
	ds_write_b64 v22, v[10:11] offset:28064
; %bb.169:
	s_or_b64 exec, exec, s[8:9]
	s_waitcnt lgkmcnt(0)
	s_barrier
	s_barrier
	s_and_saveexec_b64 s[8:9], vcc
	s_cbranch_execz .LBB121_171
; %bb.170:
	s_mov_b64 s[10:11], 1.0
	v_mov_b32_e32 v10, s10
	v_mov_b32_e32 v11, s11
	s_movk_i32 s10, 0x6800
	v_add_u32_e64 v22, s10, 0
	ds_write2_b64 v22, v[10:11], v[10:11] offset0:52 offset1:117
.LBB121_171:
	s_or_b64 exec, exec, s[8:9]
	v_mov_b32_e32 v10, 0
	v_mov_b32_e32 v11, 0
	s_waitcnt lgkmcnt(0)
	s_barrier
	buffer_wbinvl1_vol
	s_and_saveexec_b64 s[10:11], s[2:3]
	s_cbranch_execz .LBB121_177
; %bb.172:
	v_lshlrev_b32_e32 v23, 3, v16
	v_lshlrev_b32_e32 v22, 9, v17
	ds_read_b64 v[10:11], v23 offset:27008
	ds_read_b64 v[24:25], v22 offset:27040
	v_cmp_gt_u32_e64 s[8:9], 12, v15
	s_waitcnt lgkmcnt(0)
	v_fma_f64 v[10:11], v[10:11], v[24:25], 0
	s_and_saveexec_b64 s[12:13], s[8:9]
	s_cbranch_execnz .LBB121_1116
; %bb.173:
	s_or_b64 exec, exec, s[12:13]
	v_cmp_gt_u32_e64 s[8:9], 8, v15
	s_and_saveexec_b64 s[12:13], s[8:9]
	s_cbranch_execnz .LBB121_1117
.LBB121_174:
	s_or_b64 exec, exec, s[12:13]
	v_cmp_gt_u32_e64 s[8:9], 4, v15
	s_and_saveexec_b64 s[12:13], s[8:9]
	s_cbranch_execz .LBB121_176
.LBB121_175:
	v_lshlrev_b32_e32 v22, 3, v0
	v_mov_b32_e32 v24, 0
	ds_read_b64 v[22:23], v22 offset:28544
	ds_read_b64 v[24:25], v24 offset:28600
	s_waitcnt lgkmcnt(0)
	v_fma_f64 v[10:11], v[22:23], v[24:25], v[10:11]
.LBB121_176:
	s_or_b64 exec, exec, s[12:13]
.LBB121_177:
	s_or_b64 exec, exec, s[10:11]
	s_and_saveexec_b64 s[8:9], s[44:45]
; %bb.178:
	v_xor_b32_e32 v23, 0x80000000, v11
	v_mov_b32_e32 v22, v10
	ds_write_b64 v18, v[22:23]
; %bb.179:
	s_or_b64 exec, exec, s[8:9]
	s_waitcnt lgkmcnt(0)
	s_barrier
	s_and_saveexec_b64 s[8:9], s[46:47]
	s_cbranch_execz .LBB121_181
; %bb.180:
	v_lshlrev_b32_e32 v22, 3, v16
	ds_read_b64 v[22:23], v22 offset:26496
	ds_read_b64 v[24:25], v18
	s_waitcnt lgkmcnt(0)
	v_fma_f64 v[10:11], -v[22:23], v[24:25], v[10:11]
.LBB121_181:
	s_or_b64 exec, exec, s[8:9]
	s_barrier
	s_and_saveexec_b64 s[8:9], s[48:49]
; %bb.182:
	v_xor_b32_e32 v23, 0x80000000, v11
	v_mov_b32_e32 v22, v10
	ds_write_b64 v18, v[22:23]
; %bb.183:
	s_or_b64 exec, exec, s[8:9]
	s_waitcnt lgkmcnt(0)
	s_barrier
	s_and_saveexec_b64 s[8:9], s[50:51]
	s_cbranch_execz .LBB121_185
; %bb.184:
	v_lshlrev_b32_e32 v22, 3, v16
	ds_read_b64 v[22:23], v22 offset:25984
	ds_read_b64 v[24:25], v18
	s_waitcnt lgkmcnt(0)
	v_fma_f64 v[10:11], -v[22:23], v[24:25], v[10:11]
.LBB121_185:
	s_or_b64 exec, exec, s[8:9]
	s_barrier
	s_and_saveexec_b64 s[8:9], s[52:53]
; %bb.186:
	v_xor_b32_e32 v23, 0x80000000, v11
	v_mov_b32_e32 v22, v10
	ds_write_b64 v18, v[22:23]
; %bb.187:
	s_or_b64 exec, exec, s[8:9]
	s_waitcnt lgkmcnt(0)
	s_barrier
	s_and_saveexec_b64 s[8:9], s[42:43]
	s_cbranch_execz .LBB121_189
; %bb.188:
	v_mov_b32_e32 v22, 0
	ds_read_b64 v[22:23], v22 offset:25472
	ds_read_b64 v[24:25], v18
	s_waitcnt lgkmcnt(0)
	v_fma_f64 v[10:11], -v[22:23], v[24:25], v[10:11]
.LBB121_189:
	s_or_b64 exec, exec, s[8:9]
	s_barrier
	s_and_saveexec_b64 s[8:9], s[42:43]
; %bb.190:
	v_xor_b32_e32 v23, 0x80000000, v11
	v_mov_b32_e32 v22, v10
	ds_write_b64 v18, v[22:23]
; %bb.191:
	s_or_b64 exec, exec, s[8:9]
	s_waitcnt lgkmcnt(0)
	s_barrier
	s_barrier
	s_and_saveexec_b64 s[8:9], s[2:3]
; %bb.192:
	v_lshlrev_b32_e32 v22, 3, v16
	v_lshl_or_b32 v22, v17, 9, v22
	ds_write_b64 v22, v[10:11] offset:27008
; %bb.193:
	s_or_b64 exec, exec, s[8:9]
	s_waitcnt lgkmcnt(0)
	s_barrier
	s_barrier
	s_and_saveexec_b64 s[8:9], vcc
	s_cbranch_execz .LBB121_195
; %bb.194:
	s_mov_b64 s[10:11], 1.0
	v_mov_b32_e32 v10, s10
	v_mov_b32_e32 v11, s11
	s_movk_i32 s10, 0x6000
	v_add_u32_e64 v22, s10, 0
	ds_write2_b64 v22, v[10:11], v[10:11] offset0:178 offset1:243
.LBB121_195:
	s_or_b64 exec, exec, s[8:9]
	v_mov_b32_e32 v10, 0
	v_mov_b32_e32 v11, 0
	s_waitcnt lgkmcnt(0)
	s_barrier
	buffer_wbinvl1_vol
	s_and_saveexec_b64 s[10:11], s[0:1]
	s_cbranch_execz .LBB121_199
; %bb.196:
	v_lshlrev_b32_e32 v22, 9, v13
	v_lshlrev_b32_e32 v10, 3, v12
	ds_read_b64 v[10:11], v10 offset:25984
	ds_read_b64 v[22:23], v22 offset:26000
	v_cmp_gt_u32_e64 s[8:9], 2, v15
	s_waitcnt lgkmcnt(0)
	v_fma_f64 v[10:11], v[10:11], v[22:23], 0
	s_and_saveexec_b64 s[12:13], s[8:9]
	s_cbranch_execz .LBB121_198
; %bb.197:
	v_lshlrev_b32_e32 v22, 3, v0
	v_mov_b32_e32 v24, 0
	ds_read_b64 v[22:23], v22 offset:26496
	ds_read_b64 v[24:25], v24 offset:26520
	s_waitcnt lgkmcnt(0)
	v_fma_f64 v[10:11], v[22:23], v[24:25], v[10:11]
.LBB121_198:
	s_or_b64 exec, exec, s[12:13]
.LBB121_199:
	s_or_b64 exec, exec, s[10:11]
	s_and_saveexec_b64 s[8:9], s[40:41]
; %bb.200:
	v_xor_b32_e32 v23, 0x80000000, v11
	v_mov_b32_e32 v22, v10
	ds_write_b64 v14, v[22:23]
; %bb.201:
	s_or_b64 exec, exec, s[8:9]
	s_waitcnt lgkmcnt(0)
	s_barrier
	s_and_saveexec_b64 s[8:9], s[38:39]
	s_cbranch_execz .LBB121_203
; %bb.202:
	v_mov_b32_e32 v22, 0
	ds_read_b64 v[22:23], v22 offset:25472
	ds_read_b64 v[24:25], v14
	s_waitcnt lgkmcnt(0)
	v_fma_f64 v[10:11], -v[22:23], v[24:25], v[10:11]
.LBB121_203:
	s_or_b64 exec, exec, s[8:9]
	s_barrier
	s_and_saveexec_b64 s[8:9], s[38:39]
; %bb.204:
	v_xor_b32_e32 v23, 0x80000000, v11
	v_mov_b32_e32 v22, v10
	ds_write_b64 v14, v[22:23]
; %bb.205:
	s_or_b64 exec, exec, s[8:9]
	s_waitcnt lgkmcnt(0)
	s_barrier
	s_barrier
	s_and_saveexec_b64 s[8:9], s[0:1]
; %bb.206:
	v_lshlrev_b32_e32 v22, 3, v12
	v_lshl_or_b32 v22, v13, 9, v22
	ds_write_b64 v22, v[10:11] offset:25984
; %bb.207:
	s_or_b64 exec, exec, s[8:9]
	s_waitcnt lgkmcnt(0)
	s_barrier
	s_barrier
	s_and_saveexec_b64 s[8:9], vcc
	s_cbranch_execz .LBB121_209
; %bb.208:
	s_mov_b64 s[10:11], 1.0
	v_mov_b32_e32 v10, s10
	v_mov_b32_e32 v11, s11
	s_movk_i32 s10, 0x6000
	v_add_u32_e64 v22, s10, 0
	ds_write2_b64 v22, v[10:11], v[10:11] offset0:48 offset1:113
.LBB121_209:
	s_or_b64 exec, exec, s[8:9]
	s_movk_i32 s8, 0xff
	v_lshrrev_b32_e32 v24, 4, v15
	v_cmp_lt_u32_e64 s[10:11], s8, v15
	s_movk_i32 s8, 0x100
	v_mov_b32_e32 v10, 0
	v_and_b32_e32 v22, 15, v0
	v_sub_u32_e32 v23, 15, v24
	v_mov_b32_e32 v11, 0
	v_cmp_gt_u32_e64 s[8:9], s8, v15
	s_waitcnt lgkmcnt(0)
	s_barrier
	buffer_wbinvl1_vol
	s_and_saveexec_b64 s[16:17], s[8:9]
	s_cbranch_execz .LBB121_237
; %bb.210:
	v_lshlrev_b32_e32 v26, 3, v22
	v_lshlrev_b32_e32 v25, 9, v23
	ds_read_b64 v[10:11], v26 offset:24832
	ds_read_b64 v[27:28], v25 offset:24960
	s_movk_i32 s12, 0xf0
	v_cmp_gt_u32_e64 s[12:13], s12, v15
	s_waitcnt lgkmcnt(0)
	v_fma_f64 v[10:11], v[10:11], v[27:28], 0
	s_and_saveexec_b64 s[30:31], s[12:13]
	s_cbranch_execz .LBB121_212
; %bb.211:
	ds_read_b64 v[27:28], v26 offset:25344
	ds_read_b64 v[29:30], v25 offset:24968
	s_waitcnt lgkmcnt(0)
	v_fma_f64 v[10:11], v[27:28], v[29:30], v[10:11]
.LBB121_212:
	s_or_b64 exec, exec, s[30:31]
	s_movk_i32 s12, 0xe0
	v_cmp_gt_u32_e64 s[12:13], s12, v15
	s_and_saveexec_b64 s[30:31], s[12:13]
	s_cbranch_execz .LBB121_214
; %bb.213:
	ds_read_b64 v[27:28], v26 offset:25856
	ds_read_b64 v[29:30], v25 offset:24976
	s_waitcnt lgkmcnt(0)
	v_fma_f64 v[10:11], v[27:28], v[29:30], v[10:11]
.LBB121_214:
	s_or_b64 exec, exec, s[30:31]
	s_movk_i32 s12, 0xd0
	v_cmp_gt_u32_e64 s[12:13], s12, v15
	;; [unrolled: 11-line block ×10, first 2 shown]
	s_and_saveexec_b64 s[30:31], s[12:13]
	s_cbranch_execnz .LBB121_1118
; %bb.231:
	s_or_b64 exec, exec, s[30:31]
	s_and_saveexec_b64 s[12:13], s[14:15]
	s_cbranch_execnz .LBB121_1119
.LBB121_232:
	s_or_b64 exec, exec, s[12:13]
	v_cmp_gt_u32_e64 s[12:13], 48, v15
	s_and_saveexec_b64 s[30:31], s[12:13]
	s_cbranch_execnz .LBB121_1120
.LBB121_233:
	s_or_b64 exec, exec, s[30:31]
	v_cmp_gt_u32_e64 s[12:13], 32, v15
	s_and_saveexec_b64 s[30:31], s[12:13]
	s_cbranch_execnz .LBB121_1121
.LBB121_234:
	s_or_b64 exec, exec, s[30:31]
	v_cmp_gt_u32_e64 s[12:13], 16, v15
	s_and_saveexec_b64 s[30:31], s[12:13]
	s_cbranch_execz .LBB121_236
.LBB121_235:
	v_lshlrev_b32_e32 v25, 3, v0
	v_mov_b32_e32 v27, 0
	ds_read_b64 v[25:26], v25 offset:32512
	ds_read_b64 v[27:28], v27 offset:32760
	s_waitcnt lgkmcnt(0)
	v_fma_f64 v[10:11], v[25:26], v[27:28], v[10:11]
.LBB121_236:
	s_or_b64 exec, exec, s[30:31]
.LBB121_237:
	s_or_b64 exec, exec, s[16:17]
	v_mov_b32_e32 v25, 0x8000
	v_lshl_add_u32 v24, v24, 3, v25
	v_cmp_eq_u32_e64 s[12:13], 15, v22
	s_xor_b64 s[16:17], s[10:11], -1
	s_and_b64 s[12:13], s[12:13], s[16:17]
	s_mov_b64 s[10:11], exec
	v_writelane_b32 v34, s12, 2
	v_writelane_b32 v34, s13, 3
	s_and_b64 s[12:13], s[10:11], s[12:13]
	s_mov_b64 exec, s[12:13]
; %bb.238:
	v_xor_b32_e32 v26, 0x80000000, v11
	v_mov_b32_e32 v25, v10
	ds_write_b64 v24, v[25:26]
; %bb.239:
	s_or_b64 exec, exec, s[10:11]
	v_cmp_ne_u32_e64 s[10:11], 15, v22
	s_waitcnt lgkmcnt(0)
	s_barrier
	s_and_b64 s[12:13], s[10:11], s[16:17]
	s_mov_b64 s[10:11], exec
	v_writelane_b32 v34, s12, 4
	v_writelane_b32 v34, s13, 5
	s_and_b64 s[12:13], s[10:11], s[12:13]
	s_mov_b64 exec, s[12:13]
	s_cbranch_execz .LBB121_241
; %bb.240:
	v_lshlrev_b32_e32 v25, 3, v22
	ds_read_b64 v[25:26], v25 offset:24320
	ds_read_b64 v[27:28], v24
	s_waitcnt lgkmcnt(0)
	v_fma_f64 v[10:11], -v[25:26], v[27:28], v[10:11]
.LBB121_241:
	s_or_b64 exec, exec, s[10:11]
	v_cmp_eq_u32_e64 s[10:11], 14, v22
	s_barrier
	s_and_b64 s[12:13], s[10:11], s[16:17]
	s_mov_b64 s[10:11], exec
	v_writelane_b32 v34, s12, 6
	v_writelane_b32 v34, s13, 7
	s_and_b64 s[12:13], s[10:11], s[12:13]
	s_mov_b64 exec, s[12:13]
; %bb.242:
	v_xor_b32_e32 v26, 0x80000000, v11
	v_mov_b32_e32 v25, v10
	ds_write_b64 v24, v[25:26]
; %bb.243:
	s_or_b64 exec, exec, s[10:11]
	v_cmp_gt_u32_e64 s[10:11], 14, v22
	s_waitcnt lgkmcnt(0)
	s_barrier
	s_and_b64 s[12:13], s[10:11], s[16:17]
	s_mov_b64 s[10:11], exec
	v_writelane_b32 v34, s12, 8
	v_writelane_b32 v34, s13, 9
	s_and_b64 s[12:13], s[10:11], s[12:13]
	s_mov_b64 exec, s[12:13]
	s_cbranch_execz .LBB121_245
; %bb.244:
	v_lshlrev_b32_e32 v25, 3, v22
	ds_read_b64 v[25:26], v25 offset:23808
	ds_read_b64 v[27:28], v24
	s_waitcnt lgkmcnt(0)
	v_fma_f64 v[10:11], -v[25:26], v[27:28], v[10:11]
.LBB121_245:
	s_or_b64 exec, exec, s[10:11]
	v_cmp_eq_u32_e64 s[10:11], 13, v22
	s_barrier
	s_and_b64 s[12:13], s[10:11], s[16:17]
	s_mov_b64 s[10:11], exec
	v_writelane_b32 v34, s12, 10
	v_writelane_b32 v34, s13, 11
	s_and_b64 s[12:13], s[10:11], s[12:13]
	s_mov_b64 exec, s[12:13]
; %bb.246:
	v_xor_b32_e32 v26, 0x80000000, v11
	v_mov_b32_e32 v25, v10
	ds_write_b64 v24, v[25:26]
; %bb.247:
	s_or_b64 exec, exec, s[10:11]
	v_cmp_gt_u32_e64 s[10:11], 13, v22
	;; [unrolled: 32-line block ×12, first 2 shown]
	s_waitcnt lgkmcnt(0)
	s_barrier
	s_and_b64 s[12:13], s[10:11], s[16:17]
	s_mov_b64 s[10:11], exec
	v_writelane_b32 v34, s12, 52
	v_writelane_b32 v34, s13, 53
	s_and_b64 s[12:13], s[10:11], s[12:13]
	s_mov_b64 exec, s[12:13]
	s_cbranch_execz .LBB121_289
; %bb.288:
	v_lshlrev_b32_e32 v25, 3, v22
	ds_read_b64 v[25:26], v25 offset:18176
	ds_read_b64 v[27:28], v24
	s_waitcnt lgkmcnt(0)
	v_fma_f64 v[10:11], -v[25:26], v[27:28], v[10:11]
.LBB121_289:
	s_or_b64 exec, exec, s[10:11]
	v_cmp_eq_u32_e64 s[10:11], 2, v22
	s_and_b64 s[88:89], s[10:11], s[16:17]
	s_barrier
	s_and_saveexec_b64 s[10:11], s[88:89]
; %bb.290:
	v_xor_b32_e32 v26, 0x80000000, v11
	v_mov_b32_e32 v25, v10
	ds_write_b64 v24, v[25:26]
; %bb.291:
	s_or_b64 exec, exec, s[10:11]
	v_cmp_gt_u32_e64 s[10:11], 2, v22
	s_and_b64 s[90:91], s[10:11], s[16:17]
	s_waitcnt lgkmcnt(0)
	s_barrier
	s_and_saveexec_b64 s[10:11], s[90:91]
	s_cbranch_execz .LBB121_293
; %bb.292:
	v_lshlrev_b32_e32 v25, 3, v22
	ds_read_b64 v[25:26], v25 offset:17664
	ds_read_b64 v[27:28], v24
	s_waitcnt lgkmcnt(0)
	v_fma_f64 v[10:11], -v[25:26], v[27:28], v[10:11]
.LBB121_293:
	s_or_b64 exec, exec, s[10:11]
	v_cmp_eq_u32_e64 s[10:11], 1, v22
	s_and_b64 s[94:95], s[10:11], s[16:17]
	s_barrier
	s_and_saveexec_b64 s[10:11], s[94:95]
; %bb.294:
	v_xor_b32_e32 v26, 0x80000000, v11
	v_mov_b32_e32 v25, v10
	ds_write_b64 v24, v[25:26]
; %bb.295:
	s_or_b64 exec, exec, s[10:11]
	v_cmp_eq_u32_e64 s[10:11], 0, v22
	s_and_b64 s[92:93], s[10:11], s[16:17]
	s_waitcnt lgkmcnt(0)
	s_barrier
	s_and_saveexec_b64 s[10:11], s[92:93]
	s_cbranch_execz .LBB121_297
; %bb.296:
	v_mov_b32_e32 v25, 0
	ds_read_b64 v[25:26], v25 offset:17152
	ds_read_b64 v[27:28], v24
	s_waitcnt lgkmcnt(0)
	v_fma_f64 v[10:11], -v[25:26], v[27:28], v[10:11]
.LBB121_297:
	s_or_b64 exec, exec, s[10:11]
	s_barrier
	s_and_saveexec_b64 s[10:11], s[92:93]
; %bb.298:
	v_xor_b32_e32 v26, 0x80000000, v11
	v_mov_b32_e32 v25, v10
	ds_write_b64 v24, v[25:26]
; %bb.299:
	s_or_b64 exec, exec, s[10:11]
	s_waitcnt lgkmcnt(0)
	s_barrier
	s_barrier
	s_and_saveexec_b64 s[10:11], s[8:9]
; %bb.300:
	v_lshlrev_b32_e32 v25, 3, v22
	v_lshl_or_b32 v25, v23, 9, v25
	ds_write_b64 v25, v[10:11] offset:24832
; %bb.301:
	s_or_b64 exec, exec, s[10:11]
	s_waitcnt lgkmcnt(0)
	s_barrier
	s_barrier
	s_and_saveexec_b64 s[10:11], vcc
	s_cbranch_execz .LBB121_303
; %bb.302:
	s_mov_b64 s[12:13], 1.0
	v_mov_b32_e32 v10, s12
	v_mov_b32_e32 v11, s13
	s_movk_i32 s12, 0x5800
	v_add_u32_e64 v25, s12, 0
	ds_write2_b64 v25, v[10:11], v[10:11] offset0:174 offset1:239
.LBB121_303:
	s_or_b64 exec, exec, s[10:11]
	v_mov_b32_e32 v10, 0
	v_mov_b32_e32 v11, 0
	s_waitcnt lgkmcnt(0)
	s_barrier
	buffer_wbinvl1_vol
	s_and_saveexec_b64 s[12:13], s[0:1]
	s_cbranch_execz .LBB121_307
; %bb.304:
	v_lshlrev_b32_e32 v25, 9, v13
	v_lshlrev_b32_e32 v10, 3, v12
	ds_read_b64 v[10:11], v10 offset:23904
	ds_read_b64 v[25:26], v25 offset:23920
	v_cmp_gt_u32_e64 s[10:11], 2, v15
	s_waitcnt lgkmcnt(0)
	v_fma_f64 v[10:11], v[10:11], v[25:26], 0
	s_and_saveexec_b64 s[16:17], s[10:11]
	s_cbranch_execz .LBB121_306
; %bb.305:
	v_lshlrev_b32_e32 v25, 3, v0
	v_mov_b32_e32 v27, 0
	ds_read_b64 v[25:26], v25 offset:24416
	ds_read_b64 v[27:28], v27 offset:24440
	s_waitcnt lgkmcnt(0)
	v_fma_f64 v[10:11], v[25:26], v[27:28], v[10:11]
.LBB121_306:
	s_or_b64 exec, exec, s[16:17]
.LBB121_307:
	s_or_b64 exec, exec, s[12:13]
	s_and_saveexec_b64 s[10:11], s[40:41]
; %bb.308:
	v_xor_b32_e32 v26, 0x80000000, v11
	v_mov_b32_e32 v25, v10
	ds_write_b64 v14, v[25:26]
; %bb.309:
	s_or_b64 exec, exec, s[10:11]
	s_waitcnt lgkmcnt(0)
	s_barrier
	s_and_saveexec_b64 s[10:11], s[38:39]
	s_cbranch_execz .LBB121_311
; %bb.310:
	v_mov_b32_e32 v25, 0
	ds_read_b64 v[25:26], v25 offset:23392
	ds_read_b64 v[27:28], v14
	s_waitcnt lgkmcnt(0)
	v_fma_f64 v[10:11], -v[25:26], v[27:28], v[10:11]
.LBB121_311:
	s_or_b64 exec, exec, s[10:11]
	s_barrier
	s_and_saveexec_b64 s[10:11], s[38:39]
; %bb.312:
	v_xor_b32_e32 v26, 0x80000000, v11
	v_mov_b32_e32 v25, v10
	ds_write_b64 v14, v[25:26]
; %bb.313:
	s_or_b64 exec, exec, s[10:11]
	s_waitcnt lgkmcnt(0)
	s_barrier
	s_barrier
	s_and_saveexec_b64 s[10:11], s[0:1]
; %bb.314:
	v_lshlrev_b32_e32 v25, 3, v12
	v_lshl_or_b32 v25, v13, 9, v25
	ds_write_b64 v25, v[10:11] offset:23904
; %bb.315:
	s_or_b64 exec, exec, s[10:11]
	s_waitcnt lgkmcnt(0)
	s_barrier
	s_barrier
	s_and_saveexec_b64 s[10:11], vcc
	s_cbranch_execz .LBB121_317
; %bb.316:
	s_mov_b64 s[12:13], 1.0
	v_mov_b32_e32 v10, s12
	v_mov_b32_e32 v11, s13
	s_movk_i32 s12, 0x5800
	v_add_u32_e64 v25, s12, 0
	ds_write2_b64 v25, v[10:11], v[10:11] offset0:44 offset1:109
.LBB121_317:
	s_or_b64 exec, exec, s[10:11]
	v_mov_b32_e32 v10, 0
	v_mov_b32_e32 v11, 0
	s_waitcnt lgkmcnt(0)
	s_barrier
	buffer_wbinvl1_vol
	s_and_saveexec_b64 s[12:13], s[2:3]
	s_cbranch_execz .LBB121_323
; %bb.318:
	v_lshlrev_b32_e32 v26, 3, v16
	v_lshlrev_b32_e32 v25, 9, v17
	ds_read_b64 v[10:11], v26 offset:22848
	ds_read_b64 v[27:28], v25 offset:22880
	v_cmp_gt_u32_e64 s[10:11], 12, v15
	s_waitcnt lgkmcnt(0)
	v_fma_f64 v[10:11], v[10:11], v[27:28], 0
	s_and_saveexec_b64 s[16:17], s[10:11]
	s_cbranch_execnz .LBB121_1122
; %bb.319:
	s_or_b64 exec, exec, s[16:17]
	v_cmp_gt_u32_e64 s[10:11], 8, v15
	s_and_saveexec_b64 s[16:17], s[10:11]
	s_cbranch_execnz .LBB121_1123
.LBB121_320:
	s_or_b64 exec, exec, s[16:17]
	v_cmp_gt_u32_e64 s[10:11], 4, v15
	s_and_saveexec_b64 s[16:17], s[10:11]
	s_cbranch_execz .LBB121_322
.LBB121_321:
	v_lshlrev_b32_e32 v25, 3, v0
	v_mov_b32_e32 v27, 0
	ds_read_b64 v[25:26], v25 offset:24384
	ds_read_b64 v[27:28], v27 offset:24440
	s_waitcnt lgkmcnt(0)
	v_fma_f64 v[10:11], v[25:26], v[27:28], v[10:11]
.LBB121_322:
	s_or_b64 exec, exec, s[16:17]
.LBB121_323:
	s_or_b64 exec, exec, s[12:13]
	s_and_saveexec_b64 s[10:11], s[44:45]
; %bb.324:
	v_xor_b32_e32 v26, 0x80000000, v11
	v_mov_b32_e32 v25, v10
	ds_write_b64 v18, v[25:26]
; %bb.325:
	s_or_b64 exec, exec, s[10:11]
	s_waitcnt lgkmcnt(0)
	s_barrier
	s_and_saveexec_b64 s[10:11], s[46:47]
	s_cbranch_execz .LBB121_327
; %bb.326:
	v_lshlrev_b32_e32 v25, 3, v16
	ds_read_b64 v[25:26], v25 offset:22336
	ds_read_b64 v[27:28], v18
	s_waitcnt lgkmcnt(0)
	v_fma_f64 v[10:11], -v[25:26], v[27:28], v[10:11]
.LBB121_327:
	s_or_b64 exec, exec, s[10:11]
	s_barrier
	s_and_saveexec_b64 s[10:11], s[48:49]
; %bb.328:
	v_xor_b32_e32 v26, 0x80000000, v11
	v_mov_b32_e32 v25, v10
	ds_write_b64 v18, v[25:26]
; %bb.329:
	s_or_b64 exec, exec, s[10:11]
	s_waitcnt lgkmcnt(0)
	s_barrier
	s_and_saveexec_b64 s[10:11], s[50:51]
	s_cbranch_execz .LBB121_331
; %bb.330:
	v_lshlrev_b32_e32 v25, 3, v16
	ds_read_b64 v[25:26], v25 offset:21824
	ds_read_b64 v[27:28], v18
	s_waitcnt lgkmcnt(0)
	v_fma_f64 v[10:11], -v[25:26], v[27:28], v[10:11]
.LBB121_331:
	s_or_b64 exec, exec, s[10:11]
	s_barrier
	s_and_saveexec_b64 s[10:11], s[52:53]
; %bb.332:
	v_xor_b32_e32 v26, 0x80000000, v11
	v_mov_b32_e32 v25, v10
	ds_write_b64 v18, v[25:26]
; %bb.333:
	s_or_b64 exec, exec, s[10:11]
	s_waitcnt lgkmcnt(0)
	s_barrier
	s_and_saveexec_b64 s[10:11], s[42:43]
	s_cbranch_execz .LBB121_335
; %bb.334:
	v_mov_b32_e32 v25, 0
	ds_read_b64 v[25:26], v25 offset:21312
	ds_read_b64 v[27:28], v18
	s_waitcnt lgkmcnt(0)
	v_fma_f64 v[10:11], -v[25:26], v[27:28], v[10:11]
.LBB121_335:
	s_or_b64 exec, exec, s[10:11]
	s_barrier
	s_and_saveexec_b64 s[10:11], s[42:43]
; %bb.336:
	v_xor_b32_e32 v26, 0x80000000, v11
	v_mov_b32_e32 v25, v10
	ds_write_b64 v18, v[25:26]
; %bb.337:
	s_or_b64 exec, exec, s[10:11]
	s_waitcnt lgkmcnt(0)
	s_barrier
	s_barrier
	s_and_saveexec_b64 s[10:11], s[2:3]
; %bb.338:
	v_lshlrev_b32_e32 v25, 3, v16
	v_lshl_or_b32 v25, v17, 9, v25
	ds_write_b64 v25, v[10:11] offset:22848
; %bb.339:
	s_or_b64 exec, exec, s[10:11]
	s_waitcnt lgkmcnt(0)
	s_barrier
	s_barrier
	s_and_saveexec_b64 s[10:11], vcc
	s_cbranch_execz .LBB121_341
; %bb.340:
	s_mov_b64 s[12:13], 1.0
	v_mov_b32_e32 v10, s12
	v_mov_b32_e32 v11, s13
	s_movk_i32 s12, 0x5000
	v_add_u32_e64 v25, s12, 0
	ds_write2_b64 v25, v[10:11], v[10:11] offset0:170 offset1:235
.LBB121_341:
	s_or_b64 exec, exec, s[10:11]
	v_mov_b32_e32 v10, 0
	v_mov_b32_e32 v11, 0
	s_waitcnt lgkmcnt(0)
	s_barrier
	buffer_wbinvl1_vol
	s_and_saveexec_b64 s[12:13], s[0:1]
	s_cbranch_execz .LBB121_345
; %bb.342:
	v_lshlrev_b32_e32 v25, 9, v13
	v_lshlrev_b32_e32 v10, 3, v12
	ds_read_b64 v[10:11], v10 offset:21824
	ds_read_b64 v[25:26], v25 offset:21840
	v_cmp_gt_u32_e64 s[10:11], 2, v15
	s_waitcnt lgkmcnt(0)
	v_fma_f64 v[10:11], v[10:11], v[25:26], 0
	s_and_saveexec_b64 s[16:17], s[10:11]
	s_cbranch_execz .LBB121_344
; %bb.343:
	v_lshlrev_b32_e32 v25, 3, v0
	v_mov_b32_e32 v27, 0
	ds_read_b64 v[25:26], v25 offset:22336
	ds_read_b64 v[27:28], v27 offset:22360
	s_waitcnt lgkmcnt(0)
	v_fma_f64 v[10:11], v[25:26], v[27:28], v[10:11]
.LBB121_344:
	s_or_b64 exec, exec, s[16:17]
.LBB121_345:
	s_or_b64 exec, exec, s[12:13]
	s_and_saveexec_b64 s[10:11], s[40:41]
; %bb.346:
	v_xor_b32_e32 v26, 0x80000000, v11
	v_mov_b32_e32 v25, v10
	ds_write_b64 v14, v[25:26]
; %bb.347:
	s_or_b64 exec, exec, s[10:11]
	s_waitcnt lgkmcnt(0)
	s_barrier
	s_and_saveexec_b64 s[10:11], s[38:39]
	s_cbranch_execz .LBB121_349
; %bb.348:
	v_mov_b32_e32 v25, 0
	ds_read_b64 v[25:26], v25 offset:21312
	ds_read_b64 v[27:28], v14
	s_waitcnt lgkmcnt(0)
	v_fma_f64 v[10:11], -v[25:26], v[27:28], v[10:11]
.LBB121_349:
	s_or_b64 exec, exec, s[10:11]
	s_barrier
	s_and_saveexec_b64 s[10:11], s[38:39]
; %bb.350:
	v_xor_b32_e32 v26, 0x80000000, v11
	v_mov_b32_e32 v25, v10
	ds_write_b64 v14, v[25:26]
; %bb.351:
	s_or_b64 exec, exec, s[10:11]
	s_waitcnt lgkmcnt(0)
	s_barrier
	s_barrier
	s_and_saveexec_b64 s[10:11], s[0:1]
; %bb.352:
	v_lshlrev_b32_e32 v25, 3, v12
	v_lshl_or_b32 v25, v13, 9, v25
	ds_write_b64 v25, v[10:11] offset:21824
; %bb.353:
	s_or_b64 exec, exec, s[10:11]
	s_waitcnt lgkmcnt(0)
	s_barrier
	s_barrier
	s_and_saveexec_b64 s[10:11], vcc
	s_cbranch_execz .LBB121_355
; %bb.354:
	s_mov_b64 s[12:13], 1.0
	v_mov_b32_e32 v10, s12
	v_mov_b32_e32 v11, s13
	s_movk_i32 s12, 0x5000
	v_add_u32_e64 v25, s12, 0
	ds_write2_b64 v25, v[10:11], v[10:11] offset0:40 offset1:105
.LBB121_355:
	s_or_b64 exec, exec, s[10:11]
	v_mov_b32_e32 v10, 0
	v_mov_b32_e32 v11, 0
	s_waitcnt lgkmcnt(0)
	s_barrier
	buffer_wbinvl1_vol
	s_and_saveexec_b64 s[12:13], s[14:15]
	s_cbranch_execz .LBB121_365
; %bb.356:
	v_lshlrev_b32_e32 v26, 3, v19
	v_lshlrev_b32_e32 v25, 9, v20
	ds_read_b64 v[10:11], v26 offset:20736
	ds_read_b64 v[27:28], v25 offset:20800
	v_cmp_gt_u32_e64 s[10:11], 56, v15
	s_waitcnt lgkmcnt(0)
	v_fma_f64 v[10:11], v[10:11], v[27:28], 0
	s_and_saveexec_b64 s[16:17], s[10:11]
	s_cbranch_execnz .LBB121_1124
; %bb.357:
	s_or_b64 exec, exec, s[16:17]
	v_cmp_gt_u32_e64 s[10:11], 48, v15
	s_and_saveexec_b64 s[16:17], s[10:11]
	s_cbranch_execnz .LBB121_1125
.LBB121_358:
	s_or_b64 exec, exec, s[16:17]
	v_cmp_gt_u32_e64 s[10:11], 40, v15
	s_and_saveexec_b64 s[16:17], s[10:11]
	s_cbranch_execnz .LBB121_1126
.LBB121_359:
	s_or_b64 exec, exec, s[16:17]
	v_cmp_gt_u32_e64 s[10:11], 32, v15
	s_and_saveexec_b64 s[16:17], s[10:11]
	s_cbranch_execnz .LBB121_1127
.LBB121_360:
	s_or_b64 exec, exec, s[16:17]
	v_cmp_gt_u32_e64 s[10:11], 24, v15
	s_and_saveexec_b64 s[16:17], s[10:11]
	s_cbranch_execnz .LBB121_1128
.LBB121_361:
	s_or_b64 exec, exec, s[16:17]
	s_and_saveexec_b64 s[10:11], s[2:3]
	s_cbranch_execnz .LBB121_1129
.LBB121_362:
	s_or_b64 exec, exec, s[10:11]
	v_cmp_gt_u32_e64 s[10:11], 8, v15
	s_and_saveexec_b64 s[16:17], s[10:11]
	s_cbranch_execz .LBB121_364
.LBB121_363:
	v_lshlrev_b32_e32 v25, 3, v0
	v_mov_b32_e32 v27, 0
	ds_read_b64 v[25:26], v25 offset:24320
	ds_read_b64 v[27:28], v27 offset:24440
	s_waitcnt lgkmcnt(0)
	v_fma_f64 v[10:11], v[25:26], v[27:28], v[10:11]
.LBB121_364:
	s_or_b64 exec, exec, s[16:17]
.LBB121_365:
	s_or_b64 exec, exec, s[12:13]
	s_and_saveexec_b64 s[10:11], s[54:55]
; %bb.366:
	v_xor_b32_e32 v26, 0x80000000, v11
	v_mov_b32_e32 v25, v10
	ds_write_b64 v21, v[25:26]
; %bb.367:
	s_or_b64 exec, exec, s[10:11]
	s_waitcnt lgkmcnt(0)
	s_barrier
	s_and_saveexec_b64 s[10:11], s[56:57]
	s_cbranch_execz .LBB121_369
; %bb.368:
	v_lshlrev_b32_e32 v25, 3, v19
	ds_read_b64 v[25:26], v25 offset:20224
	ds_read_b64 v[27:28], v21
	s_waitcnt lgkmcnt(0)
	v_fma_f64 v[10:11], -v[25:26], v[27:28], v[10:11]
.LBB121_369:
	s_or_b64 exec, exec, s[10:11]
	s_barrier
	s_and_saveexec_b64 s[10:11], s[58:59]
; %bb.370:
	v_xor_b32_e32 v26, 0x80000000, v11
	v_mov_b32_e32 v25, v10
	ds_write_b64 v21, v[25:26]
; %bb.371:
	s_or_b64 exec, exec, s[10:11]
	s_waitcnt lgkmcnt(0)
	s_barrier
	s_and_saveexec_b64 s[10:11], s[60:61]
	s_cbranch_execz .LBB121_373
; %bb.372:
	v_lshlrev_b32_e32 v25, 3, v19
	ds_read_b64 v[25:26], v25 offset:19712
	ds_read_b64 v[27:28], v21
	s_waitcnt lgkmcnt(0)
	v_fma_f64 v[10:11], -v[25:26], v[27:28], v[10:11]
.LBB121_373:
	s_or_b64 exec, exec, s[10:11]
	s_barrier
	;; [unrolled: 20-line block ×6, first 2 shown]
	s_and_saveexec_b64 s[10:11], s[80:81]
; %bb.390:
	v_xor_b32_e32 v26, 0x80000000, v11
	v_mov_b32_e32 v25, v10
	ds_write_b64 v21, v[25:26]
; %bb.391:
	s_or_b64 exec, exec, s[10:11]
	s_waitcnt lgkmcnt(0)
	s_barrier
	s_and_saveexec_b64 s[10:11], s[64:65]
	s_cbranch_execz .LBB121_393
; %bb.392:
	v_mov_b32_e32 v25, 0
	ds_read_b64 v[25:26], v25 offset:17152
	ds_read_b64 v[27:28], v21
	s_waitcnt lgkmcnt(0)
	v_fma_f64 v[10:11], -v[25:26], v[27:28], v[10:11]
.LBB121_393:
	s_or_b64 exec, exec, s[10:11]
	s_barrier
	s_and_saveexec_b64 s[10:11], s[64:65]
; %bb.394:
	v_xor_b32_e32 v26, 0x80000000, v11
	v_mov_b32_e32 v25, v10
	ds_write_b64 v21, v[25:26]
; %bb.395:
	s_or_b64 exec, exec, s[10:11]
	s_waitcnt lgkmcnt(0)
	s_barrier
	s_barrier
	s_and_saveexec_b64 s[10:11], s[14:15]
; %bb.396:
	v_lshlrev_b32_e32 v25, 3, v19
	v_lshl_or_b32 v25, v20, 9, v25
	ds_write_b64 v25, v[10:11] offset:20736
; %bb.397:
	s_or_b64 exec, exec, s[10:11]
	s_waitcnt lgkmcnt(0)
	s_barrier
	s_barrier
	s_and_saveexec_b64 s[10:11], vcc
	s_cbranch_execz .LBB121_399
; %bb.398:
	s_mov_b64 s[12:13], 1.0
	v_mov_b32_e32 v10, s12
	v_mov_b32_e32 v11, s13
	s_movk_i32 s12, 0x4800
	v_add_u32_e64 v25, s12, 0
	ds_write2_b64 v25, v[10:11], v[10:11] offset0:166 offset1:231
.LBB121_399:
	s_or_b64 exec, exec, s[10:11]
	v_mov_b32_e32 v10, 0
	v_mov_b32_e32 v11, 0
	s_waitcnt lgkmcnt(0)
	s_barrier
	buffer_wbinvl1_vol
	s_and_saveexec_b64 s[12:13], s[0:1]
	s_cbranch_execz .LBB121_403
; %bb.400:
	v_lshlrev_b32_e32 v25, 9, v13
	v_lshlrev_b32_e32 v10, 3, v12
	ds_read_b64 v[10:11], v10 offset:19744
	ds_read_b64 v[25:26], v25 offset:19760
	v_cmp_gt_u32_e64 s[10:11], 2, v15
	s_waitcnt lgkmcnt(0)
	v_fma_f64 v[10:11], v[10:11], v[25:26], 0
	s_and_saveexec_b64 s[16:17], s[10:11]
	s_cbranch_execz .LBB121_402
; %bb.401:
	v_lshlrev_b32_e32 v25, 3, v0
	v_mov_b32_e32 v27, 0
	ds_read_b64 v[25:26], v25 offset:20256
	ds_read_b64 v[27:28], v27 offset:20280
	s_waitcnt lgkmcnt(0)
	v_fma_f64 v[10:11], v[25:26], v[27:28], v[10:11]
.LBB121_402:
	s_or_b64 exec, exec, s[16:17]
.LBB121_403:
	s_or_b64 exec, exec, s[12:13]
	s_and_saveexec_b64 s[10:11], s[40:41]
; %bb.404:
	v_xor_b32_e32 v26, 0x80000000, v11
	v_mov_b32_e32 v25, v10
	ds_write_b64 v14, v[25:26]
; %bb.405:
	s_or_b64 exec, exec, s[10:11]
	s_waitcnt lgkmcnt(0)
	s_barrier
	s_and_saveexec_b64 s[10:11], s[38:39]
	s_cbranch_execz .LBB121_407
; %bb.406:
	v_mov_b32_e32 v25, 0
	ds_read_b64 v[25:26], v25 offset:19232
	ds_read_b64 v[27:28], v14
	s_waitcnt lgkmcnt(0)
	v_fma_f64 v[10:11], -v[25:26], v[27:28], v[10:11]
.LBB121_407:
	s_or_b64 exec, exec, s[10:11]
	s_barrier
	s_and_saveexec_b64 s[10:11], s[38:39]
; %bb.408:
	v_xor_b32_e32 v26, 0x80000000, v11
	v_mov_b32_e32 v25, v10
	ds_write_b64 v14, v[25:26]
; %bb.409:
	s_or_b64 exec, exec, s[10:11]
	s_waitcnt lgkmcnt(0)
	s_barrier
	s_barrier
	s_and_saveexec_b64 s[10:11], s[0:1]
; %bb.410:
	v_lshlrev_b32_e32 v25, 3, v12
	v_lshl_or_b32 v25, v13, 9, v25
	ds_write_b64 v25, v[10:11] offset:19744
; %bb.411:
	s_or_b64 exec, exec, s[10:11]
	s_waitcnt lgkmcnt(0)
	s_barrier
	s_barrier
	s_and_saveexec_b64 s[10:11], vcc
	s_cbranch_execz .LBB121_413
; %bb.412:
	s_mov_b64 s[12:13], 1.0
	v_mov_b32_e32 v10, s12
	v_mov_b32_e32 v11, s13
	s_movk_i32 s12, 0x4800
	v_add_u32_e64 v25, s12, 0
	ds_write2_b64 v25, v[10:11], v[10:11] offset0:36 offset1:101
.LBB121_413:
	s_or_b64 exec, exec, s[10:11]
	v_mov_b32_e32 v10, 0
	v_mov_b32_e32 v11, 0
	s_waitcnt lgkmcnt(0)
	s_barrier
	buffer_wbinvl1_vol
	s_and_saveexec_b64 s[12:13], s[2:3]
	s_cbranch_execz .LBB121_419
; %bb.414:
	v_lshlrev_b32_e32 v26, 3, v16
	v_lshlrev_b32_e32 v25, 9, v17
	ds_read_b64 v[10:11], v26 offset:18688
	ds_read_b64 v[27:28], v25 offset:18720
	v_cmp_gt_u32_e64 s[10:11], 12, v15
	s_waitcnt lgkmcnt(0)
	v_fma_f64 v[10:11], v[10:11], v[27:28], 0
	s_and_saveexec_b64 s[16:17], s[10:11]
	s_cbranch_execnz .LBB121_1130
; %bb.415:
	s_or_b64 exec, exec, s[16:17]
	v_cmp_gt_u32_e64 s[10:11], 8, v15
	s_and_saveexec_b64 s[16:17], s[10:11]
	s_cbranch_execnz .LBB121_1131
.LBB121_416:
	s_or_b64 exec, exec, s[16:17]
	v_cmp_gt_u32_e64 s[10:11], 4, v15
	s_and_saveexec_b64 s[16:17], s[10:11]
	s_cbranch_execz .LBB121_418
.LBB121_417:
	v_lshlrev_b32_e32 v25, 3, v0
	v_mov_b32_e32 v27, 0
	ds_read_b64 v[25:26], v25 offset:20224
	ds_read_b64 v[27:28], v27 offset:20280
	s_waitcnt lgkmcnt(0)
	v_fma_f64 v[10:11], v[25:26], v[27:28], v[10:11]
.LBB121_418:
	s_or_b64 exec, exec, s[16:17]
.LBB121_419:
	s_or_b64 exec, exec, s[12:13]
	s_and_saveexec_b64 s[10:11], s[44:45]
; %bb.420:
	v_xor_b32_e32 v26, 0x80000000, v11
	v_mov_b32_e32 v25, v10
	ds_write_b64 v18, v[25:26]
; %bb.421:
	s_or_b64 exec, exec, s[10:11]
	s_waitcnt lgkmcnt(0)
	s_barrier
	s_and_saveexec_b64 s[10:11], s[46:47]
	s_cbranch_execz .LBB121_423
; %bb.422:
	v_lshlrev_b32_e32 v25, 3, v16
	ds_read_b64 v[25:26], v25 offset:18176
	ds_read_b64 v[27:28], v18
	s_waitcnt lgkmcnt(0)
	v_fma_f64 v[10:11], -v[25:26], v[27:28], v[10:11]
.LBB121_423:
	s_or_b64 exec, exec, s[10:11]
	s_barrier
	s_and_saveexec_b64 s[10:11], s[48:49]
; %bb.424:
	v_xor_b32_e32 v26, 0x80000000, v11
	v_mov_b32_e32 v25, v10
	ds_write_b64 v18, v[25:26]
; %bb.425:
	s_or_b64 exec, exec, s[10:11]
	s_waitcnt lgkmcnt(0)
	s_barrier
	s_and_saveexec_b64 s[10:11], s[50:51]
	s_cbranch_execz .LBB121_427
; %bb.426:
	v_lshlrev_b32_e32 v25, 3, v16
	ds_read_b64 v[25:26], v25 offset:17664
	ds_read_b64 v[27:28], v18
	s_waitcnt lgkmcnt(0)
	v_fma_f64 v[10:11], -v[25:26], v[27:28], v[10:11]
.LBB121_427:
	s_or_b64 exec, exec, s[10:11]
	s_barrier
	s_and_saveexec_b64 s[10:11], s[52:53]
; %bb.428:
	v_xor_b32_e32 v26, 0x80000000, v11
	v_mov_b32_e32 v25, v10
	ds_write_b64 v18, v[25:26]
; %bb.429:
	s_or_b64 exec, exec, s[10:11]
	s_waitcnt lgkmcnt(0)
	s_barrier
	s_and_saveexec_b64 s[10:11], s[42:43]
	s_cbranch_execz .LBB121_431
; %bb.430:
	v_mov_b32_e32 v25, 0
	ds_read_b64 v[25:26], v25 offset:17152
	ds_read_b64 v[27:28], v18
	s_waitcnt lgkmcnt(0)
	v_fma_f64 v[10:11], -v[25:26], v[27:28], v[10:11]
.LBB121_431:
	s_or_b64 exec, exec, s[10:11]
	s_barrier
	s_and_saveexec_b64 s[10:11], s[42:43]
; %bb.432:
	v_xor_b32_e32 v26, 0x80000000, v11
	v_mov_b32_e32 v25, v10
	ds_write_b64 v18, v[25:26]
; %bb.433:
	s_or_b64 exec, exec, s[10:11]
	s_waitcnt lgkmcnt(0)
	s_barrier
	s_barrier
	s_and_saveexec_b64 s[10:11], s[2:3]
; %bb.434:
	v_lshlrev_b32_e32 v25, 3, v16
	v_lshl_or_b32 v25, v17, 9, v25
	ds_write_b64 v25, v[10:11] offset:18688
; %bb.435:
	s_or_b64 exec, exec, s[10:11]
	s_waitcnt lgkmcnt(0)
	s_barrier
	s_barrier
	s_and_saveexec_b64 s[10:11], vcc
	s_cbranch_execz .LBB121_437
; %bb.436:
	s_mov_b64 s[12:13], 1.0
	v_mov_b32_e32 v10, s12
	v_mov_b32_e32 v11, s13
	s_movk_i32 s12, 0x4000
	v_add_u32_e64 v25, s12, 0
	ds_write2_b64 v25, v[10:11], v[10:11] offset0:162 offset1:227
.LBB121_437:
	s_or_b64 exec, exec, s[10:11]
	v_mov_b32_e32 v10, 0
	v_mov_b32_e32 v11, 0
	s_waitcnt lgkmcnt(0)
	s_barrier
	buffer_wbinvl1_vol
	s_and_saveexec_b64 s[12:13], s[0:1]
	s_cbranch_execz .LBB121_441
; %bb.438:
	v_lshlrev_b32_e32 v25, 9, v13
	v_lshlrev_b32_e32 v10, 3, v12
	ds_read_b64 v[10:11], v10 offset:17664
	ds_read_b64 v[25:26], v25 offset:17680
	v_cmp_gt_u32_e64 s[10:11], 2, v15
	s_waitcnt lgkmcnt(0)
	v_fma_f64 v[10:11], v[10:11], v[25:26], 0
	s_and_saveexec_b64 s[16:17], s[10:11]
	s_cbranch_execz .LBB121_440
; %bb.439:
	v_lshlrev_b32_e32 v25, 3, v0
	v_mov_b32_e32 v27, 0
	ds_read_b64 v[25:26], v25 offset:18176
	ds_read_b64 v[27:28], v27 offset:18200
	s_waitcnt lgkmcnt(0)
	v_fma_f64 v[10:11], v[25:26], v[27:28], v[10:11]
.LBB121_440:
	s_or_b64 exec, exec, s[16:17]
.LBB121_441:
	s_or_b64 exec, exec, s[12:13]
	s_and_saveexec_b64 s[10:11], s[40:41]
; %bb.442:
	v_xor_b32_e32 v26, 0x80000000, v11
	v_mov_b32_e32 v25, v10
	ds_write_b64 v14, v[25:26]
; %bb.443:
	s_or_b64 exec, exec, s[10:11]
	s_waitcnt lgkmcnt(0)
	s_barrier
	s_and_saveexec_b64 s[10:11], s[38:39]
	s_cbranch_execz .LBB121_445
; %bb.444:
	v_mov_b32_e32 v25, 0
	ds_read_b64 v[25:26], v25 offset:17152
	ds_read_b64 v[27:28], v14
	s_waitcnt lgkmcnt(0)
	v_fma_f64 v[10:11], -v[25:26], v[27:28], v[10:11]
.LBB121_445:
	s_or_b64 exec, exec, s[10:11]
	s_barrier
	s_and_saveexec_b64 s[10:11], s[38:39]
; %bb.446:
	v_xor_b32_e32 v26, 0x80000000, v11
	v_mov_b32_e32 v25, v10
	ds_write_b64 v14, v[25:26]
; %bb.447:
	s_or_b64 exec, exec, s[10:11]
	s_waitcnt lgkmcnt(0)
	s_barrier
	s_barrier
	s_and_saveexec_b64 s[10:11], s[0:1]
; %bb.448:
	v_lshlrev_b32_e32 v25, 3, v12
	v_lshl_or_b32 v25, v13, 9, v25
	ds_write_b64 v25, v[10:11] offset:17664
; %bb.449:
	s_or_b64 exec, exec, s[10:11]
	s_waitcnt lgkmcnt(0)
	s_barrier
	s_barrier
	s_and_saveexec_b64 s[10:11], vcc
	s_cbranch_execz .LBB121_451
; %bb.450:
	s_mov_b64 s[12:13], 1.0
	v_mov_b32_e32 v10, s12
	v_mov_b32_e32 v11, s13
	s_movk_i32 s12, 0x4000
	v_add_u32_e64 v25, s12, 0
	ds_write2_b64 v25, v[10:11], v[10:11] offset0:32 offset1:97
.LBB121_451:
	s_or_b64 exec, exec, s[10:11]
	s_movk_i32 s10, 0x3ff
	v_and_b32_e32 v27, 31, v0
	v_lshrrev_b32_e32 v28, 5, v15
	v_cmp_lt_u32_e64 s[12:13], s10, v15
	s_movk_i32 s10, 0x400
	v_mov_b32_e32 v10, 0
	v_sub_u32_e32 v25, 31, v28
	v_cmp_gt_u32_e64 s[10:11], s10, v15
	v_mov_b32_e32 v11, 0
	v_lshlrev_b32_e32 v26, 3, v27
	s_waitcnt lgkmcnt(0)
	s_barrier
	buffer_wbinvl1_vol
	s_and_saveexec_b64 s[30:31], s[10:11]
	s_cbranch_execz .LBB121_513
; %bb.452:
	v_lshlrev_b32_e32 v29, 9, v25
	ds_read_b64 v[10:11], v26 offset:16384
	ds_read_b64 v[30:31], v29 offset:16640
	s_movk_i32 s16, 0x3e0
	v_cmp_gt_u32_e64 s[16:17], s16, v15
	s_waitcnt lgkmcnt(0)
	v_fma_f64 v[10:11], v[10:11], v[30:31], 0
	s_and_saveexec_b64 s[82:83], s[16:17]
	s_cbranch_execz .LBB121_454
; %bb.453:
	ds_read_b64 v[30:31], v26 offset:16896
	ds_read_b64 v[32:33], v29 offset:16648
	s_waitcnt lgkmcnt(0)
	v_fma_f64 v[10:11], v[30:31], v[32:33], v[10:11]
.LBB121_454:
	s_or_b64 exec, exec, s[82:83]
	s_movk_i32 s16, 0x3c0
	v_cmp_gt_u32_e64 s[16:17], s16, v15
	s_and_saveexec_b64 s[82:83], s[16:17]
	s_cbranch_execz .LBB121_456
; %bb.455:
	ds_read_b64 v[30:31], v26 offset:17408
	ds_read_b64 v[32:33], v29 offset:16656
	s_waitcnt lgkmcnt(0)
	v_fma_f64 v[10:11], v[30:31], v[32:33], v[10:11]
.LBB121_456:
	s_or_b64 exec, exec, s[82:83]
	s_movk_i32 s16, 0x3a0
	v_cmp_gt_u32_e64 s[16:17], s16, v15
	;; [unrolled: 11-line block ×22, first 2 shown]
	s_and_saveexec_b64 s[82:83], s[16:17]
	s_cbranch_execz .LBB121_498
; %bb.497:
	ds_read_b64 v[30:31], v26 offset:28160
	ds_read_b64 v[32:33], v29 offset:16824
	s_waitcnt lgkmcnt(0)
	v_fma_f64 v[10:11], v[30:31], v[32:33], v[10:11]
.LBB121_498:
	s_or_b64 exec, exec, s[82:83]
	s_and_saveexec_b64 s[16:17], s[8:9]
	s_cbranch_execz .LBB121_500
; %bb.499:
	ds_read_b64 v[30:31], v26 offset:28672
	ds_read_b64 v[32:33], v29 offset:16832
	s_waitcnt lgkmcnt(0)
	v_fma_f64 v[10:11], v[30:31], v[32:33], v[10:11]
.LBB121_500:
	s_or_b64 exec, exec, s[16:17]
	s_movk_i32 s16, 0xe0
	v_cmp_gt_u32_e64 s[16:17], s16, v15
	s_and_saveexec_b64 s[82:83], s[16:17]
	s_cbranch_execz .LBB121_502
; %bb.501:
	ds_read_b64 v[30:31], v26 offset:29184
	ds_read_b64 v[32:33], v29 offset:16840
	s_waitcnt lgkmcnt(0)
	v_fma_f64 v[10:11], v[30:31], v[32:33], v[10:11]
.LBB121_502:
	s_or_b64 exec, exec, s[82:83]
	s_movk_i32 s16, 0xc0
	v_cmp_gt_u32_e64 s[16:17], s16, v15
	;; [unrolled: 11-line block ×5, first 2 shown]
	s_and_saveexec_b64 s[82:83], s[16:17]
	s_cbranch_execnz .LBB121_1132
; %bb.509:
	s_or_b64 exec, exec, s[82:83]
	s_and_saveexec_b64 s[16:17], s[14:15]
	s_cbranch_execnz .LBB121_1133
.LBB121_510:
	s_or_b64 exec, exec, s[16:17]
	v_cmp_gt_u32_e64 s[16:17], 32, v15
	s_and_saveexec_b64 s[82:83], s[16:17]
	s_cbranch_execz .LBB121_512
.LBB121_511:
	v_lshlrev_b32_e32 v29, 3, v0
	v_mov_b32_e32 v31, 0
	ds_read_b64 v[29:30], v29 offset:32256
	ds_read_b64 v[31:32], v31 offset:32760
	s_waitcnt lgkmcnt(0)
	v_fma_f64 v[10:11], v[29:30], v[31:32], v[10:11]
.LBB121_512:
	s_or_b64 exec, exec, s[82:83]
.LBB121_513:
	s_or_b64 exec, exec, s[30:31]
	v_mov_b32_e32 v29, 0x8000
	v_cmp_eq_u32_e64 s[16:17], 31, v27
	s_xor_b64 s[30:31], s[12:13], -1
	v_lshl_add_u32 v28, v28, 3, v29
	s_and_b64 s[16:17], s[30:31], s[16:17]
	s_and_saveexec_b64 s[12:13], s[16:17]
; %bb.514:
	v_xor_b32_e32 v30, 0x80000000, v11
	v_mov_b32_e32 v29, v10
	ds_write_b64 v28, v[29:30]
; %bb.515:
	s_or_b64 exec, exec, s[12:13]
	v_cmp_ne_u32_e64 s[12:13], 31, v27
	s_and_b64 s[16:17], s[30:31], s[12:13]
	s_waitcnt lgkmcnt(0)
	s_barrier
	s_and_saveexec_b64 s[12:13], s[16:17]
	s_cbranch_execz .LBB121_517
; %bb.516:
	ds_read_b64 v[29:30], v26 offset:15872
	ds_read_b64 v[31:32], v28
	s_waitcnt lgkmcnt(0)
	v_fma_f64 v[10:11], -v[29:30], v[31:32], v[10:11]
.LBB121_517:
	s_or_b64 exec, exec, s[12:13]
	v_cmp_eq_u32_e64 s[12:13], 30, v27
	s_and_b64 s[16:17], s[30:31], s[12:13]
	s_barrier
	s_and_saveexec_b64 s[12:13], s[16:17]
; %bb.518:
	v_xor_b32_e32 v30, 0x80000000, v11
	v_mov_b32_e32 v29, v10
	ds_write_b64 v28, v[29:30]
; %bb.519:
	s_or_b64 exec, exec, s[12:13]
	v_cmp_gt_u32_e64 s[12:13], 30, v27
	s_and_b64 s[16:17], s[30:31], s[12:13]
	s_waitcnt lgkmcnt(0)
	s_barrier
	s_and_saveexec_b64 s[12:13], s[16:17]
	s_cbranch_execz .LBB121_521
; %bb.520:
	ds_read_b64 v[29:30], v26 offset:15360
	ds_read_b64 v[31:32], v28
	s_waitcnt lgkmcnt(0)
	v_fma_f64 v[10:11], -v[29:30], v[31:32], v[10:11]
.LBB121_521:
	s_or_b64 exec, exec, s[12:13]
	v_cmp_eq_u32_e64 s[12:13], 29, v27
	s_and_b64 s[16:17], s[30:31], s[12:13]
	s_barrier
	s_and_saveexec_b64 s[12:13], s[16:17]
; %bb.522:
	v_xor_b32_e32 v30, 0x80000000, v11
	v_mov_b32_e32 v29, v10
	ds_write_b64 v28, v[29:30]
; %bb.523:
	s_or_b64 exec, exec, s[12:13]
	v_cmp_gt_u32_e64 s[12:13], 29, v27
	;; [unrolled: 23-line block ×29, first 2 shown]
	s_and_b64 s[16:17], s[30:31], s[12:13]
	s_waitcnt lgkmcnt(0)
	s_barrier
	s_and_saveexec_b64 s[12:13], s[16:17]
	s_cbranch_execz .LBB121_633
; %bb.632:
	ds_read_b64 v[29:30], v26 offset:1024
	ds_read_b64 v[31:32], v28
	s_waitcnt lgkmcnt(0)
	v_fma_f64 v[10:11], -v[29:30], v[31:32], v[10:11]
.LBB121_633:
	s_or_b64 exec, exec, s[12:13]
	v_cmp_eq_u32_e64 s[12:13], 1, v27
	s_and_b64 s[16:17], s[30:31], s[12:13]
	s_barrier
	s_and_saveexec_b64 s[12:13], s[16:17]
; %bb.634:
	v_xor_b32_e32 v30, 0x80000000, v11
	v_mov_b32_e32 v29, v10
	ds_write_b64 v28, v[29:30]
; %bb.635:
	s_or_b64 exec, exec, s[12:13]
	v_cmp_eq_u32_e64 s[12:13], 0, v27
	s_and_b64 s[12:13], s[30:31], s[12:13]
	s_waitcnt lgkmcnt(0)
	s_barrier
	s_and_saveexec_b64 s[16:17], s[12:13]
	s_cbranch_execz .LBB121_637
; %bb.636:
	ds_read_b64 v[29:30], v26 offset:512
	ds_read_b64 v[31:32], v28
	s_waitcnt lgkmcnt(0)
	v_fma_f64 v[10:11], -v[29:30], v[31:32], v[10:11]
.LBB121_637:
	s_or_b64 exec, exec, s[16:17]
	s_barrier
	s_and_saveexec_b64 s[16:17], s[12:13]
; %bb.638:
	v_xor_b32_e32 v30, 0x80000000, v11
	v_mov_b32_e32 v29, v10
	ds_write_b64 v28, v[29:30]
; %bb.639:
	s_or_b64 exec, exec, s[16:17]
	s_waitcnt lgkmcnt(0)
	s_barrier
	s_barrier
	s_and_saveexec_b64 s[12:13], s[10:11]
; %bb.640:
	v_lshl_or_b32 v25, v25, 9, v26
	ds_write_b64 v25, v[10:11] offset:16384
; %bb.641:
	s_or_b64 exec, exec, s[12:13]
	s_waitcnt lgkmcnt(0)
	s_barrier
	s_barrier
	s_and_saveexec_b64 s[10:11], vcc
	s_cbranch_execz .LBB121_643
; %bb.642:
	s_mov_b64 s[12:13], 1.0
	v_mov_b32_e32 v10, s12
	v_mov_b32_e32 v11, s13
	s_movk_i32 s12, 0x3800
	v_add_u32_e64 v25, s12, 0
	ds_write2_b64 v25, v[10:11], v[10:11] offset0:158 offset1:223
.LBB121_643:
	s_or_b64 exec, exec, s[10:11]
	v_mov_b32_e32 v10, 0
	v_mov_b32_e32 v11, 0
	s_waitcnt lgkmcnt(0)
	s_barrier
	buffer_wbinvl1_vol
	s_and_saveexec_b64 s[12:13], s[0:1]
	s_cbranch_execz .LBB121_647
; %bb.644:
	v_lshlrev_b32_e32 v25, 9, v13
	v_lshlrev_b32_e32 v10, 3, v12
	ds_read_b64 v[10:11], v10 offset:15584
	ds_read_b64 v[25:26], v25 offset:15600
	v_cmp_gt_u32_e64 s[10:11], 2, v15
	s_waitcnt lgkmcnt(0)
	v_fma_f64 v[10:11], v[10:11], v[25:26], 0
	s_and_saveexec_b64 s[16:17], s[10:11]
	s_cbranch_execz .LBB121_646
; %bb.645:
	v_lshlrev_b32_e32 v25, 3, v0
	v_mov_b32_e32 v27, 0
	ds_read_b64 v[25:26], v25 offset:16096
	ds_read_b64 v[27:28], v27 offset:16120
	s_waitcnt lgkmcnt(0)
	v_fma_f64 v[10:11], v[25:26], v[27:28], v[10:11]
.LBB121_646:
	s_or_b64 exec, exec, s[16:17]
.LBB121_647:
	s_or_b64 exec, exec, s[12:13]
	s_and_saveexec_b64 s[10:11], s[40:41]
; %bb.648:
	v_xor_b32_e32 v26, 0x80000000, v11
	v_mov_b32_e32 v25, v10
	ds_write_b64 v14, v[25:26]
; %bb.649:
	s_or_b64 exec, exec, s[10:11]
	s_waitcnt lgkmcnt(0)
	s_barrier
	s_and_saveexec_b64 s[10:11], s[38:39]
	s_cbranch_execz .LBB121_651
; %bb.650:
	v_mov_b32_e32 v25, 0
	ds_read_b64 v[25:26], v25 offset:15072
	ds_read_b64 v[27:28], v14
	s_waitcnt lgkmcnt(0)
	v_fma_f64 v[10:11], -v[25:26], v[27:28], v[10:11]
.LBB121_651:
	s_or_b64 exec, exec, s[10:11]
	s_barrier
	s_and_saveexec_b64 s[10:11], s[38:39]
; %bb.652:
	v_xor_b32_e32 v26, 0x80000000, v11
	v_mov_b32_e32 v25, v10
	ds_write_b64 v14, v[25:26]
; %bb.653:
	s_or_b64 exec, exec, s[10:11]
	s_waitcnt lgkmcnt(0)
	s_barrier
	s_barrier
	s_and_saveexec_b64 s[10:11], s[0:1]
; %bb.654:
	v_lshlrev_b32_e32 v25, 3, v12
	v_lshl_or_b32 v25, v13, 9, v25
	ds_write_b64 v25, v[10:11] offset:15584
; %bb.655:
	s_or_b64 exec, exec, s[10:11]
	s_waitcnt lgkmcnt(0)
	s_barrier
	s_barrier
	s_and_saveexec_b64 s[10:11], vcc
	s_cbranch_execz .LBB121_657
; %bb.656:
	s_mov_b64 s[12:13], 1.0
	v_mov_b32_e32 v10, s12
	v_mov_b32_e32 v11, s13
	s_movk_i32 s12, 0x3800
	v_add_u32_e64 v25, s12, 0
	ds_write2_b64 v25, v[10:11], v[10:11] offset0:28 offset1:93
.LBB121_657:
	s_or_b64 exec, exec, s[10:11]
	v_mov_b32_e32 v10, 0
	v_mov_b32_e32 v11, 0
	s_waitcnt lgkmcnt(0)
	s_barrier
	buffer_wbinvl1_vol
	s_and_saveexec_b64 s[12:13], s[2:3]
	s_cbranch_execz .LBB121_663
; %bb.658:
	v_lshlrev_b32_e32 v26, 3, v16
	v_lshlrev_b32_e32 v25, 9, v17
	ds_read_b64 v[10:11], v26 offset:14528
	ds_read_b64 v[27:28], v25 offset:14560
	v_cmp_gt_u32_e64 s[10:11], 12, v15
	s_waitcnt lgkmcnt(0)
	v_fma_f64 v[10:11], v[10:11], v[27:28], 0
	s_and_saveexec_b64 s[16:17], s[10:11]
	s_cbranch_execnz .LBB121_1134
; %bb.659:
	s_or_b64 exec, exec, s[16:17]
	v_cmp_gt_u32_e64 s[10:11], 8, v15
	s_and_saveexec_b64 s[16:17], s[10:11]
	s_cbranch_execnz .LBB121_1135
.LBB121_660:
	s_or_b64 exec, exec, s[16:17]
	v_cmp_gt_u32_e64 s[10:11], 4, v15
	s_and_saveexec_b64 s[16:17], s[10:11]
	s_cbranch_execz .LBB121_662
.LBB121_661:
	v_lshlrev_b32_e32 v25, 3, v0
	v_mov_b32_e32 v27, 0
	ds_read_b64 v[25:26], v25 offset:16064
	ds_read_b64 v[27:28], v27 offset:16120
	s_waitcnt lgkmcnt(0)
	v_fma_f64 v[10:11], v[25:26], v[27:28], v[10:11]
.LBB121_662:
	s_or_b64 exec, exec, s[16:17]
.LBB121_663:
	s_or_b64 exec, exec, s[12:13]
	s_and_saveexec_b64 s[10:11], s[44:45]
; %bb.664:
	v_xor_b32_e32 v26, 0x80000000, v11
	v_mov_b32_e32 v25, v10
	ds_write_b64 v18, v[25:26]
; %bb.665:
	s_or_b64 exec, exec, s[10:11]
	s_waitcnt lgkmcnt(0)
	s_barrier
	s_and_saveexec_b64 s[10:11], s[46:47]
	s_cbranch_execz .LBB121_667
; %bb.666:
	v_lshlrev_b32_e32 v25, 3, v16
	ds_read_b64 v[25:26], v25 offset:14016
	ds_read_b64 v[27:28], v18
	s_waitcnt lgkmcnt(0)
	v_fma_f64 v[10:11], -v[25:26], v[27:28], v[10:11]
.LBB121_667:
	s_or_b64 exec, exec, s[10:11]
	s_barrier
	s_and_saveexec_b64 s[10:11], s[48:49]
; %bb.668:
	v_xor_b32_e32 v26, 0x80000000, v11
	v_mov_b32_e32 v25, v10
	ds_write_b64 v18, v[25:26]
; %bb.669:
	s_or_b64 exec, exec, s[10:11]
	s_waitcnt lgkmcnt(0)
	s_barrier
	s_and_saveexec_b64 s[10:11], s[50:51]
	s_cbranch_execz .LBB121_671
; %bb.670:
	v_lshlrev_b32_e32 v25, 3, v16
	ds_read_b64 v[25:26], v25 offset:13504
	ds_read_b64 v[27:28], v18
	s_waitcnt lgkmcnt(0)
	v_fma_f64 v[10:11], -v[25:26], v[27:28], v[10:11]
.LBB121_671:
	s_or_b64 exec, exec, s[10:11]
	s_barrier
	s_and_saveexec_b64 s[10:11], s[52:53]
; %bb.672:
	v_xor_b32_e32 v26, 0x80000000, v11
	v_mov_b32_e32 v25, v10
	ds_write_b64 v18, v[25:26]
; %bb.673:
	s_or_b64 exec, exec, s[10:11]
	s_waitcnt lgkmcnt(0)
	s_barrier
	s_and_saveexec_b64 s[10:11], s[42:43]
	s_cbranch_execz .LBB121_675
; %bb.674:
	v_mov_b32_e32 v25, 0
	ds_read_b64 v[25:26], v25 offset:12992
	ds_read_b64 v[27:28], v18
	s_waitcnt lgkmcnt(0)
	v_fma_f64 v[10:11], -v[25:26], v[27:28], v[10:11]
.LBB121_675:
	s_or_b64 exec, exec, s[10:11]
	s_barrier
	s_and_saveexec_b64 s[10:11], s[42:43]
; %bb.676:
	v_xor_b32_e32 v26, 0x80000000, v11
	v_mov_b32_e32 v25, v10
	ds_write_b64 v18, v[25:26]
; %bb.677:
	s_or_b64 exec, exec, s[10:11]
	s_waitcnt lgkmcnt(0)
	s_barrier
	s_barrier
	s_and_saveexec_b64 s[10:11], s[2:3]
; %bb.678:
	v_lshlrev_b32_e32 v25, 3, v16
	v_lshl_or_b32 v25, v17, 9, v25
	ds_write_b64 v25, v[10:11] offset:14528
; %bb.679:
	s_or_b64 exec, exec, s[10:11]
	s_waitcnt lgkmcnt(0)
	s_barrier
	s_barrier
	s_and_saveexec_b64 s[10:11], vcc
	s_cbranch_execz .LBB121_681
; %bb.680:
	s_mov_b64 s[12:13], 1.0
	v_mov_b32_e32 v10, s12
	v_mov_b32_e32 v11, s13
	s_movk_i32 s12, 0x3000
	v_add_u32_e64 v25, s12, 0
	ds_write2_b64 v25, v[10:11], v[10:11] offset0:154 offset1:219
.LBB121_681:
	s_or_b64 exec, exec, s[10:11]
	v_mov_b32_e32 v10, 0
	v_mov_b32_e32 v11, 0
	s_waitcnt lgkmcnt(0)
	s_barrier
	buffer_wbinvl1_vol
	s_and_saveexec_b64 s[12:13], s[0:1]
	s_cbranch_execz .LBB121_685
; %bb.682:
	v_lshlrev_b32_e32 v25, 9, v13
	v_lshlrev_b32_e32 v10, 3, v12
	ds_read_b64 v[10:11], v10 offset:13504
	ds_read_b64 v[25:26], v25 offset:13520
	v_cmp_gt_u32_e64 s[10:11], 2, v15
	s_waitcnt lgkmcnt(0)
	v_fma_f64 v[10:11], v[10:11], v[25:26], 0
	s_and_saveexec_b64 s[16:17], s[10:11]
	s_cbranch_execz .LBB121_684
; %bb.683:
	v_lshlrev_b32_e32 v25, 3, v0
	v_mov_b32_e32 v27, 0
	ds_read_b64 v[25:26], v25 offset:14016
	ds_read_b64 v[27:28], v27 offset:14040
	s_waitcnt lgkmcnt(0)
	v_fma_f64 v[10:11], v[25:26], v[27:28], v[10:11]
.LBB121_684:
	s_or_b64 exec, exec, s[16:17]
.LBB121_685:
	s_or_b64 exec, exec, s[12:13]
	s_and_saveexec_b64 s[10:11], s[40:41]
; %bb.686:
	v_xor_b32_e32 v26, 0x80000000, v11
	v_mov_b32_e32 v25, v10
	ds_write_b64 v14, v[25:26]
; %bb.687:
	s_or_b64 exec, exec, s[10:11]
	s_waitcnt lgkmcnt(0)
	s_barrier
	s_and_saveexec_b64 s[10:11], s[38:39]
	s_cbranch_execz .LBB121_689
; %bb.688:
	v_mov_b32_e32 v25, 0
	ds_read_b64 v[25:26], v25 offset:12992
	ds_read_b64 v[27:28], v14
	s_waitcnt lgkmcnt(0)
	v_fma_f64 v[10:11], -v[25:26], v[27:28], v[10:11]
.LBB121_689:
	s_or_b64 exec, exec, s[10:11]
	s_barrier
	s_and_saveexec_b64 s[10:11], s[38:39]
; %bb.690:
	v_xor_b32_e32 v26, 0x80000000, v11
	v_mov_b32_e32 v25, v10
	ds_write_b64 v14, v[25:26]
; %bb.691:
	s_or_b64 exec, exec, s[10:11]
	s_waitcnt lgkmcnt(0)
	s_barrier
	s_barrier
	s_and_saveexec_b64 s[10:11], s[0:1]
; %bb.692:
	v_lshlrev_b32_e32 v25, 3, v12
	v_lshl_or_b32 v25, v13, 9, v25
	ds_write_b64 v25, v[10:11] offset:13504
; %bb.693:
	s_or_b64 exec, exec, s[10:11]
	s_waitcnt lgkmcnt(0)
	s_barrier
	s_barrier
	s_and_saveexec_b64 s[10:11], vcc
	s_cbranch_execz .LBB121_695
; %bb.694:
	s_mov_b64 s[12:13], 1.0
	v_mov_b32_e32 v10, s12
	v_mov_b32_e32 v11, s13
	s_movk_i32 s12, 0x3000
	v_add_u32_e64 v25, s12, 0
	ds_write2_b64 v25, v[10:11], v[10:11] offset0:24 offset1:89
.LBB121_695:
	s_or_b64 exec, exec, s[10:11]
	v_mov_b32_e32 v10, 0
	v_mov_b32_e32 v11, 0
	s_waitcnt lgkmcnt(0)
	s_barrier
	buffer_wbinvl1_vol
	s_and_saveexec_b64 s[12:13], s[14:15]
	s_cbranch_execz .LBB121_705
; %bb.696:
	v_lshlrev_b32_e32 v26, 3, v19
	v_lshlrev_b32_e32 v25, 9, v20
	ds_read_b64 v[10:11], v26 offset:12416
	ds_read_b64 v[27:28], v25 offset:12480
	v_cmp_gt_u32_e64 s[10:11], 56, v15
	s_waitcnt lgkmcnt(0)
	v_fma_f64 v[10:11], v[10:11], v[27:28], 0
	s_and_saveexec_b64 s[16:17], s[10:11]
	s_cbranch_execnz .LBB121_1136
; %bb.697:
	s_or_b64 exec, exec, s[16:17]
	v_cmp_gt_u32_e64 s[10:11], 48, v15
	s_and_saveexec_b64 s[16:17], s[10:11]
	s_cbranch_execnz .LBB121_1137
.LBB121_698:
	s_or_b64 exec, exec, s[16:17]
	v_cmp_gt_u32_e64 s[10:11], 40, v15
	s_and_saveexec_b64 s[16:17], s[10:11]
	s_cbranch_execnz .LBB121_1138
.LBB121_699:
	s_or_b64 exec, exec, s[16:17]
	v_cmp_gt_u32_e64 s[10:11], 32, v15
	s_and_saveexec_b64 s[16:17], s[10:11]
	s_cbranch_execnz .LBB121_1139
.LBB121_700:
	s_or_b64 exec, exec, s[16:17]
	v_cmp_gt_u32_e64 s[10:11], 24, v15
	s_and_saveexec_b64 s[16:17], s[10:11]
	s_cbranch_execnz .LBB121_1140
.LBB121_701:
	s_or_b64 exec, exec, s[16:17]
	s_and_saveexec_b64 s[10:11], s[2:3]
	s_cbranch_execnz .LBB121_1141
.LBB121_702:
	s_or_b64 exec, exec, s[10:11]
	v_cmp_gt_u32_e64 s[10:11], 8, v15
	s_and_saveexec_b64 s[16:17], s[10:11]
	s_cbranch_execz .LBB121_704
.LBB121_703:
	v_lshlrev_b32_e32 v25, 3, v0
	v_mov_b32_e32 v27, 0
	ds_read_b64 v[25:26], v25 offset:16000
	ds_read_b64 v[27:28], v27 offset:16120
	s_waitcnt lgkmcnt(0)
	v_fma_f64 v[10:11], v[25:26], v[27:28], v[10:11]
.LBB121_704:
	s_or_b64 exec, exec, s[16:17]
.LBB121_705:
	s_or_b64 exec, exec, s[12:13]
	s_and_saveexec_b64 s[10:11], s[54:55]
; %bb.706:
	v_xor_b32_e32 v26, 0x80000000, v11
	v_mov_b32_e32 v25, v10
	ds_write_b64 v21, v[25:26]
; %bb.707:
	s_or_b64 exec, exec, s[10:11]
	s_waitcnt lgkmcnt(0)
	s_barrier
	s_and_saveexec_b64 s[10:11], s[56:57]
	s_cbranch_execz .LBB121_709
; %bb.708:
	v_lshlrev_b32_e32 v25, 3, v19
	ds_read_b64 v[25:26], v25 offset:11904
	ds_read_b64 v[27:28], v21
	s_waitcnt lgkmcnt(0)
	v_fma_f64 v[10:11], -v[25:26], v[27:28], v[10:11]
.LBB121_709:
	s_or_b64 exec, exec, s[10:11]
	s_barrier
	s_and_saveexec_b64 s[10:11], s[58:59]
; %bb.710:
	v_xor_b32_e32 v26, 0x80000000, v11
	v_mov_b32_e32 v25, v10
	ds_write_b64 v21, v[25:26]
; %bb.711:
	s_or_b64 exec, exec, s[10:11]
	s_waitcnt lgkmcnt(0)
	s_barrier
	s_and_saveexec_b64 s[10:11], s[60:61]
	s_cbranch_execz .LBB121_713
; %bb.712:
	v_lshlrev_b32_e32 v25, 3, v19
	ds_read_b64 v[25:26], v25 offset:11392
	ds_read_b64 v[27:28], v21
	s_waitcnt lgkmcnt(0)
	v_fma_f64 v[10:11], -v[25:26], v[27:28], v[10:11]
.LBB121_713:
	s_or_b64 exec, exec, s[10:11]
	s_barrier
	;; [unrolled: 20-line block ×6, first 2 shown]
	s_and_saveexec_b64 s[10:11], s[80:81]
; %bb.730:
	v_xor_b32_e32 v26, 0x80000000, v11
	v_mov_b32_e32 v25, v10
	ds_write_b64 v21, v[25:26]
; %bb.731:
	s_or_b64 exec, exec, s[10:11]
	s_waitcnt lgkmcnt(0)
	s_barrier
	s_and_saveexec_b64 s[10:11], s[64:65]
	s_cbranch_execz .LBB121_733
; %bb.732:
	v_mov_b32_e32 v25, 0
	ds_read_b64 v[25:26], v25 offset:8832
	ds_read_b64 v[27:28], v21
	s_waitcnt lgkmcnt(0)
	v_fma_f64 v[10:11], -v[25:26], v[27:28], v[10:11]
.LBB121_733:
	s_or_b64 exec, exec, s[10:11]
	s_barrier
	s_and_saveexec_b64 s[10:11], s[64:65]
; %bb.734:
	v_xor_b32_e32 v26, 0x80000000, v11
	v_mov_b32_e32 v25, v10
	ds_write_b64 v21, v[25:26]
; %bb.735:
	s_or_b64 exec, exec, s[10:11]
	s_waitcnt lgkmcnt(0)
	s_barrier
	s_barrier
	s_and_saveexec_b64 s[10:11], s[14:15]
; %bb.736:
	v_lshlrev_b32_e32 v25, 3, v19
	v_lshl_or_b32 v25, v20, 9, v25
	ds_write_b64 v25, v[10:11] offset:12416
; %bb.737:
	s_or_b64 exec, exec, s[10:11]
	s_waitcnt lgkmcnt(0)
	s_barrier
	s_barrier
	s_and_saveexec_b64 s[10:11], vcc
	s_cbranch_execz .LBB121_739
; %bb.738:
	s_mov_b64 s[12:13], 1.0
	v_mov_b32_e32 v10, s12
	v_mov_b32_e32 v11, s13
	s_movk_i32 s12, 0x2800
	v_add_u32_e64 v25, s12, 0
	ds_write2_b64 v25, v[10:11], v[10:11] offset0:150 offset1:215
.LBB121_739:
	s_or_b64 exec, exec, s[10:11]
	v_mov_b32_e32 v10, 0
	v_mov_b32_e32 v11, 0
	s_waitcnt lgkmcnt(0)
	s_barrier
	buffer_wbinvl1_vol
	s_and_saveexec_b64 s[12:13], s[0:1]
	s_cbranch_execz .LBB121_743
; %bb.740:
	v_lshlrev_b32_e32 v25, 9, v13
	v_lshlrev_b32_e32 v10, 3, v12
	ds_read_b64 v[10:11], v10 offset:11424
	ds_read_b64 v[25:26], v25 offset:11440
	v_cmp_gt_u32_e64 s[10:11], 2, v15
	s_waitcnt lgkmcnt(0)
	v_fma_f64 v[10:11], v[10:11], v[25:26], 0
	s_and_saveexec_b64 s[16:17], s[10:11]
	s_cbranch_execz .LBB121_742
; %bb.741:
	v_lshlrev_b32_e32 v25, 3, v0
	v_mov_b32_e32 v27, 0
	ds_read_b64 v[25:26], v25 offset:11936
	ds_read_b64 v[27:28], v27 offset:11960
	s_waitcnt lgkmcnt(0)
	v_fma_f64 v[10:11], v[25:26], v[27:28], v[10:11]
.LBB121_742:
	s_or_b64 exec, exec, s[16:17]
.LBB121_743:
	s_or_b64 exec, exec, s[12:13]
	s_and_saveexec_b64 s[10:11], s[40:41]
; %bb.744:
	v_xor_b32_e32 v26, 0x80000000, v11
	v_mov_b32_e32 v25, v10
	ds_write_b64 v14, v[25:26]
; %bb.745:
	s_or_b64 exec, exec, s[10:11]
	s_waitcnt lgkmcnt(0)
	s_barrier
	s_and_saveexec_b64 s[10:11], s[38:39]
	s_cbranch_execz .LBB121_747
; %bb.746:
	v_mov_b32_e32 v25, 0
	ds_read_b64 v[25:26], v25 offset:10912
	ds_read_b64 v[27:28], v14
	s_waitcnt lgkmcnt(0)
	v_fma_f64 v[10:11], -v[25:26], v[27:28], v[10:11]
.LBB121_747:
	s_or_b64 exec, exec, s[10:11]
	s_barrier
	s_and_saveexec_b64 s[10:11], s[38:39]
; %bb.748:
	v_xor_b32_e32 v26, 0x80000000, v11
	v_mov_b32_e32 v25, v10
	ds_write_b64 v14, v[25:26]
; %bb.749:
	s_or_b64 exec, exec, s[10:11]
	s_waitcnt lgkmcnt(0)
	s_barrier
	s_barrier
	s_and_saveexec_b64 s[10:11], s[0:1]
; %bb.750:
	v_lshlrev_b32_e32 v25, 3, v12
	v_lshl_or_b32 v25, v13, 9, v25
	ds_write_b64 v25, v[10:11] offset:11424
; %bb.751:
	s_or_b64 exec, exec, s[10:11]
	s_waitcnt lgkmcnt(0)
	s_barrier
	s_barrier
	s_and_saveexec_b64 s[10:11], vcc
	s_cbranch_execz .LBB121_753
; %bb.752:
	s_mov_b64 s[12:13], 1.0
	v_mov_b32_e32 v10, s12
	v_mov_b32_e32 v11, s13
	s_movk_i32 s12, 0x2800
	v_add_u32_e64 v25, s12, 0
	ds_write2_b64 v25, v[10:11], v[10:11] offset0:20 offset1:85
.LBB121_753:
	s_or_b64 exec, exec, s[10:11]
	v_mov_b32_e32 v10, 0
	v_mov_b32_e32 v11, 0
	s_waitcnt lgkmcnt(0)
	s_barrier
	buffer_wbinvl1_vol
	s_and_saveexec_b64 s[12:13], s[2:3]
	s_cbranch_execz .LBB121_759
; %bb.754:
	v_lshlrev_b32_e32 v26, 3, v16
	v_lshlrev_b32_e32 v25, 9, v17
	ds_read_b64 v[10:11], v26 offset:10368
	ds_read_b64 v[27:28], v25 offset:10400
	v_cmp_gt_u32_e64 s[10:11], 12, v15
	s_waitcnt lgkmcnt(0)
	v_fma_f64 v[10:11], v[10:11], v[27:28], 0
	s_and_saveexec_b64 s[16:17], s[10:11]
	s_cbranch_execnz .LBB121_1142
; %bb.755:
	s_or_b64 exec, exec, s[16:17]
	v_cmp_gt_u32_e64 s[10:11], 8, v15
	s_and_saveexec_b64 s[16:17], s[10:11]
	s_cbranch_execnz .LBB121_1143
.LBB121_756:
	s_or_b64 exec, exec, s[16:17]
	v_cmp_gt_u32_e64 s[10:11], 4, v15
	s_and_saveexec_b64 s[16:17], s[10:11]
	s_cbranch_execz .LBB121_758
.LBB121_757:
	v_lshlrev_b32_e32 v25, 3, v0
	v_mov_b32_e32 v27, 0
	ds_read_b64 v[25:26], v25 offset:11904
	ds_read_b64 v[27:28], v27 offset:11960
	s_waitcnt lgkmcnt(0)
	v_fma_f64 v[10:11], v[25:26], v[27:28], v[10:11]
.LBB121_758:
	s_or_b64 exec, exec, s[16:17]
.LBB121_759:
	s_or_b64 exec, exec, s[12:13]
	s_and_saveexec_b64 s[10:11], s[44:45]
; %bb.760:
	v_xor_b32_e32 v26, 0x80000000, v11
	v_mov_b32_e32 v25, v10
	ds_write_b64 v18, v[25:26]
; %bb.761:
	s_or_b64 exec, exec, s[10:11]
	s_waitcnt lgkmcnt(0)
	s_barrier
	s_and_saveexec_b64 s[10:11], s[46:47]
	s_cbranch_execz .LBB121_763
; %bb.762:
	v_lshlrev_b32_e32 v25, 3, v16
	ds_read_b64 v[25:26], v25 offset:9856
	ds_read_b64 v[27:28], v18
	s_waitcnt lgkmcnt(0)
	v_fma_f64 v[10:11], -v[25:26], v[27:28], v[10:11]
.LBB121_763:
	s_or_b64 exec, exec, s[10:11]
	s_barrier
	s_and_saveexec_b64 s[10:11], s[48:49]
; %bb.764:
	v_xor_b32_e32 v26, 0x80000000, v11
	v_mov_b32_e32 v25, v10
	ds_write_b64 v18, v[25:26]
; %bb.765:
	s_or_b64 exec, exec, s[10:11]
	s_waitcnt lgkmcnt(0)
	s_barrier
	s_and_saveexec_b64 s[10:11], s[50:51]
	s_cbranch_execz .LBB121_767
; %bb.766:
	v_lshlrev_b32_e32 v25, 3, v16
	ds_read_b64 v[25:26], v25 offset:9344
	ds_read_b64 v[27:28], v18
	s_waitcnt lgkmcnt(0)
	v_fma_f64 v[10:11], -v[25:26], v[27:28], v[10:11]
.LBB121_767:
	s_or_b64 exec, exec, s[10:11]
	s_barrier
	s_and_saveexec_b64 s[10:11], s[52:53]
; %bb.768:
	v_xor_b32_e32 v26, 0x80000000, v11
	v_mov_b32_e32 v25, v10
	ds_write_b64 v18, v[25:26]
; %bb.769:
	s_or_b64 exec, exec, s[10:11]
	s_waitcnt lgkmcnt(0)
	s_barrier
	s_and_saveexec_b64 s[10:11], s[42:43]
	s_cbranch_execz .LBB121_771
; %bb.770:
	v_mov_b32_e32 v25, 0
	ds_read_b64 v[25:26], v25 offset:8832
	ds_read_b64 v[27:28], v18
	s_waitcnt lgkmcnt(0)
	v_fma_f64 v[10:11], -v[25:26], v[27:28], v[10:11]
.LBB121_771:
	s_or_b64 exec, exec, s[10:11]
	s_barrier
	s_and_saveexec_b64 s[10:11], s[42:43]
; %bb.772:
	v_xor_b32_e32 v26, 0x80000000, v11
	v_mov_b32_e32 v25, v10
	ds_write_b64 v18, v[25:26]
; %bb.773:
	s_or_b64 exec, exec, s[10:11]
	s_waitcnt lgkmcnt(0)
	s_barrier
	s_barrier
	s_and_saveexec_b64 s[10:11], s[2:3]
; %bb.774:
	v_lshlrev_b32_e32 v25, 3, v16
	v_lshl_or_b32 v25, v17, 9, v25
	ds_write_b64 v25, v[10:11] offset:10368
; %bb.775:
	s_or_b64 exec, exec, s[10:11]
	s_waitcnt lgkmcnt(0)
	s_barrier
	s_barrier
	s_and_saveexec_b64 s[10:11], vcc
	s_cbranch_execz .LBB121_777
; %bb.776:
	s_mov_b64 s[12:13], 1.0
	v_mov_b32_e32 v10, s12
	v_mov_b32_e32 v11, s13
	s_movk_i32 s12, 0x2000
	v_add_u32_e64 v25, s12, 0
	ds_write2_b64 v25, v[10:11], v[10:11] offset0:146 offset1:211
.LBB121_777:
	s_or_b64 exec, exec, s[10:11]
	v_mov_b32_e32 v10, 0
	v_mov_b32_e32 v11, 0
	s_waitcnt lgkmcnt(0)
	s_barrier
	buffer_wbinvl1_vol
	s_and_saveexec_b64 s[12:13], s[0:1]
	s_cbranch_execz .LBB121_781
; %bb.778:
	v_lshlrev_b32_e32 v25, 9, v13
	v_lshlrev_b32_e32 v10, 3, v12
	ds_read_b64 v[10:11], v10 offset:9344
	ds_read_b64 v[25:26], v25 offset:9360
	v_cmp_gt_u32_e64 s[10:11], 2, v15
	s_waitcnt lgkmcnt(0)
	v_fma_f64 v[10:11], v[10:11], v[25:26], 0
	s_and_saveexec_b64 s[16:17], s[10:11]
	s_cbranch_execz .LBB121_780
; %bb.779:
	v_lshlrev_b32_e32 v25, 3, v0
	v_mov_b32_e32 v27, 0
	ds_read_b64 v[25:26], v25 offset:9856
	ds_read_b64 v[27:28], v27 offset:9880
	s_waitcnt lgkmcnt(0)
	v_fma_f64 v[10:11], v[25:26], v[27:28], v[10:11]
.LBB121_780:
	s_or_b64 exec, exec, s[16:17]
.LBB121_781:
	s_or_b64 exec, exec, s[12:13]
	s_and_saveexec_b64 s[10:11], s[40:41]
; %bb.782:
	v_xor_b32_e32 v26, 0x80000000, v11
	v_mov_b32_e32 v25, v10
	ds_write_b64 v14, v[25:26]
; %bb.783:
	s_or_b64 exec, exec, s[10:11]
	s_waitcnt lgkmcnt(0)
	s_barrier
	s_and_saveexec_b64 s[10:11], s[38:39]
	s_cbranch_execz .LBB121_785
; %bb.784:
	v_mov_b32_e32 v25, 0
	ds_read_b64 v[25:26], v25 offset:8832
	ds_read_b64 v[27:28], v14
	s_waitcnt lgkmcnt(0)
	v_fma_f64 v[10:11], -v[25:26], v[27:28], v[10:11]
.LBB121_785:
	s_or_b64 exec, exec, s[10:11]
	s_barrier
	s_and_saveexec_b64 s[10:11], s[38:39]
; %bb.786:
	v_xor_b32_e32 v26, 0x80000000, v11
	v_mov_b32_e32 v25, v10
	ds_write_b64 v14, v[25:26]
; %bb.787:
	s_or_b64 exec, exec, s[10:11]
	s_waitcnt lgkmcnt(0)
	s_barrier
	s_barrier
	s_and_saveexec_b64 s[10:11], s[0:1]
; %bb.788:
	v_lshlrev_b32_e32 v25, 3, v12
	v_lshl_or_b32 v25, v13, 9, v25
	ds_write_b64 v25, v[10:11] offset:9344
; %bb.789:
	s_or_b64 exec, exec, s[10:11]
	s_waitcnt lgkmcnt(0)
	s_barrier
	s_barrier
	s_and_saveexec_b64 s[10:11], vcc
	s_cbranch_execz .LBB121_791
; %bb.790:
	s_mov_b64 s[12:13], 1.0
	v_mov_b32_e32 v10, s12
	v_mov_b32_e32 v11, s13
	s_movk_i32 s12, 0x2000
	v_add_u32_e64 v25, s12, 0
	ds_write2_b64 v25, v[10:11], v[10:11] offset0:16 offset1:81
.LBB121_791:
	s_or_b64 exec, exec, s[10:11]
	v_mov_b32_e32 v10, 0
	v_mov_b32_e32 v11, 0
	s_waitcnt lgkmcnt(0)
	s_barrier
	buffer_wbinvl1_vol
	s_and_saveexec_b64 s[12:13], s[8:9]
	s_cbranch_execz .LBB121_819
; %bb.792:
	v_lshlrev_b32_e32 v26, 3, v22
	v_lshlrev_b32_e32 v25, 9, v23
	ds_read_b64 v[10:11], v26 offset:8192
	ds_read_b64 v[27:28], v25 offset:8320
	s_movk_i32 s10, 0xf0
	v_cmp_gt_u32_e64 s[10:11], s10, v15
	s_waitcnt lgkmcnt(0)
	v_fma_f64 v[10:11], v[10:11], v[27:28], 0
	s_and_saveexec_b64 s[16:17], s[10:11]
	s_cbranch_execz .LBB121_794
; %bb.793:
	ds_read_b64 v[27:28], v26 offset:8704
	ds_read_b64 v[29:30], v25 offset:8328
	s_waitcnt lgkmcnt(0)
	v_fma_f64 v[10:11], v[27:28], v[29:30], v[10:11]
.LBB121_794:
	s_or_b64 exec, exec, s[16:17]
	s_movk_i32 s10, 0xe0
	v_cmp_gt_u32_e64 s[10:11], s10, v15
	s_and_saveexec_b64 s[16:17], s[10:11]
	s_cbranch_execz .LBB121_796
; %bb.795:
	ds_read_b64 v[27:28], v26 offset:9216
	ds_read_b64 v[29:30], v25 offset:8336
	s_waitcnt lgkmcnt(0)
	v_fma_f64 v[10:11], v[27:28], v[29:30], v[10:11]
.LBB121_796:
	s_or_b64 exec, exec, s[16:17]
	s_movk_i32 s10, 0xd0
	v_cmp_gt_u32_e64 s[10:11], s10, v15
	;; [unrolled: 11-line block ×10, first 2 shown]
	s_and_saveexec_b64 s[16:17], s[10:11]
	s_cbranch_execnz .LBB121_1144
; %bb.813:
	s_or_b64 exec, exec, s[16:17]
	s_and_saveexec_b64 s[10:11], s[14:15]
	s_cbranch_execnz .LBB121_1145
.LBB121_814:
	s_or_b64 exec, exec, s[10:11]
	v_cmp_gt_u32_e64 s[10:11], 48, v15
	s_and_saveexec_b64 s[16:17], s[10:11]
	s_cbranch_execnz .LBB121_1146
.LBB121_815:
	s_or_b64 exec, exec, s[16:17]
	v_cmp_gt_u32_e64 s[10:11], 32, v15
	s_and_saveexec_b64 s[16:17], s[10:11]
	s_cbranch_execnz .LBB121_1147
.LBB121_816:
	s_or_b64 exec, exec, s[16:17]
	v_cmp_gt_u32_e64 s[10:11], 16, v15
	s_and_saveexec_b64 s[16:17], s[10:11]
	s_cbranch_execz .LBB121_818
.LBB121_817:
	v_lshlrev_b32_e32 v25, 3, v0
	v_mov_b32_e32 v27, 0
	ds_read_b64 v[25:26], v25 offset:15872
	ds_read_b64 v[27:28], v27 offset:16120
	s_waitcnt lgkmcnt(0)
	v_fma_f64 v[10:11], v[25:26], v[27:28], v[10:11]
.LBB121_818:
	s_or_b64 exec, exec, s[16:17]
.LBB121_819:
	s_or_b64 exec, exec, s[12:13]
	s_mov_b64 s[10:11], exec
	v_readlane_b32 s12, v34, 2
	v_readlane_b32 s13, v34, 3
	s_and_b64 s[12:13], s[10:11], s[12:13]
	s_mov_b64 exec, s[12:13]
; %bb.820:
	v_xor_b32_e32 v26, 0x80000000, v11
	v_mov_b32_e32 v25, v10
	ds_write_b64 v24, v[25:26]
; %bb.821:
	s_or_b64 exec, exec, s[10:11]
	s_waitcnt lgkmcnt(0)
	s_barrier
	s_mov_b64 s[10:11], exec
	v_readlane_b32 s12, v34, 4
	v_readlane_b32 s13, v34, 5
	s_and_b64 s[12:13], s[10:11], s[12:13]
	s_mov_b64 exec, s[12:13]
	s_cbranch_execz .LBB121_823
; %bb.822:
	v_lshlrev_b32_e32 v25, 3, v22
	ds_read_b64 v[25:26], v25 offset:7680
	ds_read_b64 v[27:28], v24
	s_waitcnt lgkmcnt(0)
	v_fma_f64 v[10:11], -v[25:26], v[27:28], v[10:11]
.LBB121_823:
	s_or_b64 exec, exec, s[10:11]
	s_barrier
	s_mov_b64 s[10:11], exec
	v_readlane_b32 s12, v34, 6
	v_readlane_b32 s13, v34, 7
	s_and_b64 s[12:13], s[10:11], s[12:13]
	s_mov_b64 exec, s[12:13]
; %bb.824:
	v_xor_b32_e32 v26, 0x80000000, v11
	v_mov_b32_e32 v25, v10
	ds_write_b64 v24, v[25:26]
; %bb.825:
	s_or_b64 exec, exec, s[10:11]
	s_waitcnt lgkmcnt(0)
	s_barrier
	s_mov_b64 s[10:11], exec
	v_readlane_b32 s12, v34, 8
	v_readlane_b32 s13, v34, 9
	s_and_b64 s[12:13], s[10:11], s[12:13]
	s_mov_b64 exec, s[12:13]
	s_cbranch_execz .LBB121_827
; %bb.826:
	v_lshlrev_b32_e32 v25, 3, v22
	ds_read_b64 v[25:26], v25 offset:7168
	ds_read_b64 v[27:28], v24
	s_waitcnt lgkmcnt(0)
	v_fma_f64 v[10:11], -v[25:26], v[27:28], v[10:11]
.LBB121_827:
	s_or_b64 exec, exec, s[10:11]
	s_barrier
	s_mov_b64 s[10:11], exec
	v_readlane_b32 s12, v34, 10
	v_readlane_b32 s13, v34, 11
	s_and_b64 s[12:13], s[10:11], s[12:13]
	s_mov_b64 exec, s[12:13]
; %bb.828:
	v_xor_b32_e32 v26, 0x80000000, v11
	v_mov_b32_e32 v25, v10
	ds_write_b64 v24, v[25:26]
; %bb.829:
	s_or_b64 exec, exec, s[10:11]
	s_waitcnt lgkmcnt(0)
	s_barrier
	s_mov_b64 s[10:11], exec
	v_readlane_b32 s12, v34, 12
	v_readlane_b32 s13, v34, 13
	s_and_b64 s[12:13], s[10:11], s[12:13]
	s_mov_b64 exec, s[12:13]
	s_cbranch_execz .LBB121_831
; %bb.830:
	v_lshlrev_b32_e32 v25, 3, v22
	ds_read_b64 v[25:26], v25 offset:6656
	ds_read_b64 v[27:28], v24
	s_waitcnt lgkmcnt(0)
	v_fma_f64 v[10:11], -v[25:26], v[27:28], v[10:11]
.LBB121_831:
	s_or_b64 exec, exec, s[10:11]
	s_barrier
	s_mov_b64 s[10:11], exec
	v_readlane_b32 s12, v34, 14
	v_readlane_b32 s13, v34, 15
	s_and_b64 s[12:13], s[10:11], s[12:13]
	s_mov_b64 exec, s[12:13]
; %bb.832:
	v_xor_b32_e32 v26, 0x80000000, v11
	v_mov_b32_e32 v25, v10
	ds_write_b64 v24, v[25:26]
; %bb.833:
	s_or_b64 exec, exec, s[10:11]
	s_waitcnt lgkmcnt(0)
	s_barrier
	s_mov_b64 s[10:11], exec
	v_readlane_b32 s12, v34, 16
	v_readlane_b32 s13, v34, 17
	s_and_b64 s[12:13], s[10:11], s[12:13]
	s_mov_b64 exec, s[12:13]
	s_cbranch_execz .LBB121_835
; %bb.834:
	v_lshlrev_b32_e32 v25, 3, v22
	ds_read_b64 v[25:26], v25 offset:6144
	ds_read_b64 v[27:28], v24
	s_waitcnt lgkmcnt(0)
	v_fma_f64 v[10:11], -v[25:26], v[27:28], v[10:11]
.LBB121_835:
	s_or_b64 exec, exec, s[10:11]
	s_barrier
	s_mov_b64 s[10:11], exec
	v_readlane_b32 s12, v34, 18
	v_readlane_b32 s13, v34, 19
	s_and_b64 s[12:13], s[10:11], s[12:13]
	s_mov_b64 exec, s[12:13]
; %bb.836:
	v_xor_b32_e32 v26, 0x80000000, v11
	v_mov_b32_e32 v25, v10
	ds_write_b64 v24, v[25:26]
; %bb.837:
	s_or_b64 exec, exec, s[10:11]
	s_waitcnt lgkmcnt(0)
	s_barrier
	s_mov_b64 s[10:11], exec
	v_readlane_b32 s12, v34, 20
	v_readlane_b32 s13, v34, 21
	s_and_b64 s[12:13], s[10:11], s[12:13]
	s_mov_b64 exec, s[12:13]
	s_cbranch_execz .LBB121_839
; %bb.838:
	v_lshlrev_b32_e32 v25, 3, v22
	ds_read_b64 v[25:26], v25 offset:5632
	ds_read_b64 v[27:28], v24
	s_waitcnt lgkmcnt(0)
	v_fma_f64 v[10:11], -v[25:26], v[27:28], v[10:11]
.LBB121_839:
	s_or_b64 exec, exec, s[10:11]
	s_barrier
	s_mov_b64 s[10:11], exec
	v_readlane_b32 s12, v34, 22
	v_readlane_b32 s13, v34, 23
	s_and_b64 s[12:13], s[10:11], s[12:13]
	s_mov_b64 exec, s[12:13]
; %bb.840:
	v_xor_b32_e32 v26, 0x80000000, v11
	v_mov_b32_e32 v25, v10
	ds_write_b64 v24, v[25:26]
; %bb.841:
	s_or_b64 exec, exec, s[10:11]
	s_waitcnt lgkmcnt(0)
	s_barrier
	s_mov_b64 s[10:11], exec
	v_readlane_b32 s12, v34, 24
	v_readlane_b32 s13, v34, 25
	s_and_b64 s[12:13], s[10:11], s[12:13]
	s_mov_b64 exec, s[12:13]
	s_cbranch_execz .LBB121_843
; %bb.842:
	v_lshlrev_b32_e32 v25, 3, v22
	ds_read_b64 v[25:26], v25 offset:5120
	ds_read_b64 v[27:28], v24
	s_waitcnt lgkmcnt(0)
	v_fma_f64 v[10:11], -v[25:26], v[27:28], v[10:11]
.LBB121_843:
	s_or_b64 exec, exec, s[10:11]
	s_barrier
	s_mov_b64 s[10:11], exec
	v_readlane_b32 s12, v34, 26
	v_readlane_b32 s13, v34, 27
	s_and_b64 s[12:13], s[10:11], s[12:13]
	s_mov_b64 exec, s[12:13]
; %bb.844:
	v_xor_b32_e32 v26, 0x80000000, v11
	v_mov_b32_e32 v25, v10
	ds_write_b64 v24, v[25:26]
; %bb.845:
	s_or_b64 exec, exec, s[10:11]
	s_waitcnt lgkmcnt(0)
	s_barrier
	s_mov_b64 s[10:11], exec
	v_readlane_b32 s12, v34, 28
	v_readlane_b32 s13, v34, 29
	s_and_b64 s[12:13], s[10:11], s[12:13]
	s_mov_b64 exec, s[12:13]
	s_cbranch_execz .LBB121_847
; %bb.846:
	v_lshlrev_b32_e32 v25, 3, v22
	ds_read_b64 v[25:26], v25 offset:4608
	ds_read_b64 v[27:28], v24
	s_waitcnt lgkmcnt(0)
	v_fma_f64 v[10:11], -v[25:26], v[27:28], v[10:11]
.LBB121_847:
	s_or_b64 exec, exec, s[10:11]
	s_barrier
	s_mov_b64 s[10:11], exec
	v_readlane_b32 s12, v34, 30
	v_readlane_b32 s13, v34, 31
	s_and_b64 s[12:13], s[10:11], s[12:13]
	s_mov_b64 exec, s[12:13]
; %bb.848:
	v_xor_b32_e32 v26, 0x80000000, v11
	v_mov_b32_e32 v25, v10
	ds_write_b64 v24, v[25:26]
; %bb.849:
	s_or_b64 exec, exec, s[10:11]
	s_waitcnt lgkmcnt(0)
	s_barrier
	s_mov_b64 s[10:11], exec
	v_readlane_b32 s12, v34, 32
	v_readlane_b32 s13, v34, 33
	s_and_b64 s[12:13], s[10:11], s[12:13]
	s_mov_b64 exec, s[12:13]
	s_cbranch_execz .LBB121_851
; %bb.850:
	v_lshlrev_b32_e32 v25, 3, v22
	ds_read_b64 v[25:26], v25 offset:4096
	ds_read_b64 v[27:28], v24
	s_waitcnt lgkmcnt(0)
	v_fma_f64 v[10:11], -v[25:26], v[27:28], v[10:11]
.LBB121_851:
	s_or_b64 exec, exec, s[10:11]
	s_barrier
	s_mov_b64 s[10:11], exec
	v_readlane_b32 s12, v34, 34
	v_readlane_b32 s13, v34, 35
	s_and_b64 s[12:13], s[10:11], s[12:13]
	s_mov_b64 exec, s[12:13]
; %bb.852:
	v_xor_b32_e32 v26, 0x80000000, v11
	v_mov_b32_e32 v25, v10
	ds_write_b64 v24, v[25:26]
; %bb.853:
	s_or_b64 exec, exec, s[10:11]
	s_waitcnt lgkmcnt(0)
	s_barrier
	s_mov_b64 s[10:11], exec
	v_readlane_b32 s12, v34, 36
	v_readlane_b32 s13, v34, 37
	s_and_b64 s[12:13], s[10:11], s[12:13]
	s_mov_b64 exec, s[12:13]
	s_cbranch_execz .LBB121_855
; %bb.854:
	v_lshlrev_b32_e32 v25, 3, v22
	ds_read_b64 v[25:26], v25 offset:3584
	ds_read_b64 v[27:28], v24
	s_waitcnt lgkmcnt(0)
	v_fma_f64 v[10:11], -v[25:26], v[27:28], v[10:11]
.LBB121_855:
	s_or_b64 exec, exec, s[10:11]
	s_barrier
	s_mov_b64 s[10:11], exec
	v_readlane_b32 s12, v34, 38
	v_readlane_b32 s13, v34, 39
	s_and_b64 s[12:13], s[10:11], s[12:13]
	s_mov_b64 exec, s[12:13]
; %bb.856:
	v_xor_b32_e32 v26, 0x80000000, v11
	v_mov_b32_e32 v25, v10
	ds_write_b64 v24, v[25:26]
; %bb.857:
	s_or_b64 exec, exec, s[10:11]
	s_waitcnt lgkmcnt(0)
	s_barrier
	s_mov_b64 s[10:11], exec
	v_readlane_b32 s12, v34, 40
	v_readlane_b32 s13, v34, 41
	s_and_b64 s[12:13], s[10:11], s[12:13]
	s_mov_b64 exec, s[12:13]
	s_cbranch_execz .LBB121_859
; %bb.858:
	v_lshlrev_b32_e32 v25, 3, v22
	ds_read_b64 v[25:26], v25 offset:3072
	ds_read_b64 v[27:28], v24
	s_waitcnt lgkmcnt(0)
	v_fma_f64 v[10:11], -v[25:26], v[27:28], v[10:11]
.LBB121_859:
	s_or_b64 exec, exec, s[10:11]
	s_barrier
	s_mov_b64 s[10:11], exec
	v_readlane_b32 s12, v34, 42
	v_readlane_b32 s13, v34, 43
	s_and_b64 s[12:13], s[10:11], s[12:13]
	s_mov_b64 exec, s[12:13]
; %bb.860:
	v_xor_b32_e32 v26, 0x80000000, v11
	v_mov_b32_e32 v25, v10
	ds_write_b64 v24, v[25:26]
; %bb.861:
	s_or_b64 exec, exec, s[10:11]
	s_waitcnt lgkmcnt(0)
	s_barrier
	s_mov_b64 s[10:11], exec
	v_readlane_b32 s12, v34, 44
	v_readlane_b32 s13, v34, 45
	s_and_b64 s[12:13], s[10:11], s[12:13]
	s_mov_b64 exec, s[12:13]
	s_cbranch_execz .LBB121_863
; %bb.862:
	v_lshlrev_b32_e32 v25, 3, v22
	ds_read_b64 v[25:26], v25 offset:2560
	ds_read_b64 v[27:28], v24
	s_waitcnt lgkmcnt(0)
	v_fma_f64 v[10:11], -v[25:26], v[27:28], v[10:11]
.LBB121_863:
	s_or_b64 exec, exec, s[10:11]
	s_barrier
	s_mov_b64 s[10:11], exec
	v_readlane_b32 s12, v34, 46
	v_readlane_b32 s13, v34, 47
	s_and_b64 s[12:13], s[10:11], s[12:13]
	s_mov_b64 exec, s[12:13]
; %bb.864:
	v_xor_b32_e32 v26, 0x80000000, v11
	v_mov_b32_e32 v25, v10
	ds_write_b64 v24, v[25:26]
; %bb.865:
	s_or_b64 exec, exec, s[10:11]
	s_waitcnt lgkmcnt(0)
	s_barrier
	s_mov_b64 s[10:11], exec
	v_readlane_b32 s12, v34, 48
	v_readlane_b32 s13, v34, 49
	s_and_b64 s[12:13], s[10:11], s[12:13]
	s_mov_b64 exec, s[12:13]
	s_cbranch_execz .LBB121_867
; %bb.866:
	v_lshlrev_b32_e32 v25, 3, v22
	ds_read_b64 v[25:26], v25 offset:2048
	ds_read_b64 v[27:28], v24
	s_waitcnt lgkmcnt(0)
	v_fma_f64 v[10:11], -v[25:26], v[27:28], v[10:11]
.LBB121_867:
	s_or_b64 exec, exec, s[10:11]
	s_barrier
	s_mov_b64 s[10:11], exec
	v_readlane_b32 s12, v34, 50
	v_readlane_b32 s13, v34, 51
	s_and_b64 s[12:13], s[10:11], s[12:13]
	s_mov_b64 exec, s[12:13]
; %bb.868:
	v_xor_b32_e32 v26, 0x80000000, v11
	v_mov_b32_e32 v25, v10
	ds_write_b64 v24, v[25:26]
; %bb.869:
	s_or_b64 exec, exec, s[10:11]
	s_waitcnt lgkmcnt(0)
	s_barrier
	s_mov_b64 s[10:11], exec
	v_readlane_b32 s12, v34, 52
	v_readlane_b32 s13, v34, 53
	s_and_b64 s[12:13], s[10:11], s[12:13]
	s_mov_b64 exec, s[12:13]
	s_cbranch_execz .LBB121_871
; %bb.870:
	v_lshlrev_b32_e32 v25, 3, v22
	ds_read_b64 v[25:26], v25 offset:1536
	ds_read_b64 v[27:28], v24
	s_waitcnt lgkmcnt(0)
	v_fma_f64 v[10:11], -v[25:26], v[27:28], v[10:11]
.LBB121_871:
	s_or_b64 exec, exec, s[10:11]
	s_barrier
	s_and_saveexec_b64 s[10:11], s[88:89]
; %bb.872:
	v_xor_b32_e32 v26, 0x80000000, v11
	v_mov_b32_e32 v25, v10
	ds_write_b64 v24, v[25:26]
; %bb.873:
	s_or_b64 exec, exec, s[10:11]
	s_waitcnt lgkmcnt(0)
	s_barrier
	s_and_saveexec_b64 s[10:11], s[90:91]
	s_cbranch_execz .LBB121_875
; %bb.874:
	v_lshlrev_b32_e32 v25, 3, v22
	ds_read_b64 v[25:26], v25 offset:1024
	ds_read_b64 v[27:28], v24
	s_waitcnt lgkmcnt(0)
	v_fma_f64 v[10:11], -v[25:26], v[27:28], v[10:11]
.LBB121_875:
	s_or_b64 exec, exec, s[10:11]
	s_barrier
	s_and_saveexec_b64 s[10:11], s[94:95]
; %bb.876:
	v_xor_b32_e32 v26, 0x80000000, v11
	v_mov_b32_e32 v25, v10
	ds_write_b64 v24, v[25:26]
; %bb.877:
	s_or_b64 exec, exec, s[10:11]
	s_waitcnt lgkmcnt(0)
	s_barrier
	s_and_saveexec_b64 s[10:11], s[92:93]
	s_cbranch_execz .LBB121_879
; %bb.878:
	v_mov_b32_e32 v25, 0
	ds_read_b64 v[25:26], v25 offset:512
	ds_read_b64 v[27:28], v24
	s_waitcnt lgkmcnt(0)
	v_fma_f64 v[10:11], -v[25:26], v[27:28], v[10:11]
.LBB121_879:
	s_or_b64 exec, exec, s[10:11]
	s_barrier
	s_and_saveexec_b64 s[10:11], s[92:93]
; %bb.880:
	v_xor_b32_e32 v26, 0x80000000, v11
	v_mov_b32_e32 v25, v10
	ds_write_b64 v24, v[25:26]
; %bb.881:
	s_or_b64 exec, exec, s[10:11]
	s_waitcnt lgkmcnt(0)
	s_barrier
	s_barrier
	s_and_saveexec_b64 s[10:11], s[8:9]
; %bb.882:
	v_lshlrev_b32_e32 v22, 3, v22
	v_lshl_or_b32 v22, v23, 9, v22
	ds_write_b64 v22, v[10:11] offset:8192
; %bb.883:
	s_or_b64 exec, exec, s[10:11]
	s_waitcnt lgkmcnt(0)
	s_barrier
	s_barrier
	s_and_saveexec_b64 s[8:9], vcc
	s_cbranch_execz .LBB121_885
; %bb.884:
	s_mov_b64 s[10:11], 1.0
	v_mov_b32_e32 v10, s10
	v_mov_b32_e32 v11, s11
	s_movk_i32 s10, 0x1800
	v_add_u32_e64 v22, s10, 0
	ds_write2_b64 v22, v[10:11], v[10:11] offset0:142 offset1:207
.LBB121_885:
	s_or_b64 exec, exec, s[8:9]
	v_mov_b32_e32 v10, 0
	v_mov_b32_e32 v11, 0
	s_waitcnt lgkmcnt(0)
	s_barrier
	buffer_wbinvl1_vol
	s_and_saveexec_b64 s[10:11], s[0:1]
	s_cbranch_execz .LBB121_889
; %bb.886:
	v_lshlrev_b32_e32 v22, 9, v13
	v_lshlrev_b32_e32 v10, 3, v12
	ds_read_b64 v[10:11], v10 offset:7264
	ds_read_b64 v[22:23], v22 offset:7280
	v_cmp_gt_u32_e64 s[8:9], 2, v15
	s_waitcnt lgkmcnt(0)
	v_fma_f64 v[10:11], v[10:11], v[22:23], 0
	s_and_saveexec_b64 s[12:13], s[8:9]
	s_cbranch_execz .LBB121_888
; %bb.887:
	v_lshlrev_b32_e32 v22, 3, v0
	v_mov_b32_e32 v24, 0
	ds_read_b64 v[22:23], v22 offset:7776
	ds_read_b64 v[24:25], v24 offset:7800
	s_waitcnt lgkmcnt(0)
	v_fma_f64 v[10:11], v[22:23], v[24:25], v[10:11]
.LBB121_888:
	s_or_b64 exec, exec, s[12:13]
.LBB121_889:
	s_or_b64 exec, exec, s[10:11]
	s_and_saveexec_b64 s[8:9], s[40:41]
; %bb.890:
	v_xor_b32_e32 v23, 0x80000000, v11
	v_mov_b32_e32 v22, v10
	ds_write_b64 v14, v[22:23]
; %bb.891:
	s_or_b64 exec, exec, s[8:9]
	s_waitcnt lgkmcnt(0)
	s_barrier
	s_and_saveexec_b64 s[8:9], s[38:39]
	s_cbranch_execz .LBB121_893
; %bb.892:
	v_mov_b32_e32 v22, 0
	ds_read_b64 v[22:23], v22 offset:6752
	ds_read_b64 v[24:25], v14
	s_waitcnt lgkmcnt(0)
	v_fma_f64 v[10:11], -v[22:23], v[24:25], v[10:11]
.LBB121_893:
	s_or_b64 exec, exec, s[8:9]
	s_barrier
	s_and_saveexec_b64 s[8:9], s[38:39]
; %bb.894:
	v_xor_b32_e32 v23, 0x80000000, v11
	v_mov_b32_e32 v22, v10
	ds_write_b64 v14, v[22:23]
; %bb.895:
	s_or_b64 exec, exec, s[8:9]
	s_waitcnt lgkmcnt(0)
	s_barrier
	s_barrier
	s_and_saveexec_b64 s[8:9], s[0:1]
; %bb.896:
	v_lshlrev_b32_e32 v22, 3, v12
	v_lshl_or_b32 v22, v13, 9, v22
	ds_write_b64 v22, v[10:11] offset:7264
; %bb.897:
	s_or_b64 exec, exec, s[8:9]
	s_waitcnt lgkmcnt(0)
	s_barrier
	s_barrier
	s_and_saveexec_b64 s[8:9], vcc
	s_cbranch_execz .LBB121_899
; %bb.898:
	s_mov_b64 s[10:11], 1.0
	v_mov_b32_e32 v10, s10
	v_mov_b32_e32 v11, s11
	s_movk_i32 s10, 0x1800
	v_add_u32_e64 v22, s10, 0
	ds_write2_b64 v22, v[10:11], v[10:11] offset0:12 offset1:77
.LBB121_899:
	s_or_b64 exec, exec, s[8:9]
	v_mov_b32_e32 v10, 0
	v_mov_b32_e32 v11, 0
	s_waitcnt lgkmcnt(0)
	s_barrier
	buffer_wbinvl1_vol
	s_and_saveexec_b64 s[10:11], s[2:3]
	s_cbranch_execz .LBB121_905
; %bb.900:
	v_lshlrev_b32_e32 v23, 3, v16
	v_lshlrev_b32_e32 v22, 9, v17
	ds_read_b64 v[10:11], v23 offset:6208
	ds_read_b64 v[24:25], v22 offset:6240
	v_cmp_gt_u32_e64 s[8:9], 12, v15
	s_waitcnt lgkmcnt(0)
	v_fma_f64 v[10:11], v[10:11], v[24:25], 0
	s_and_saveexec_b64 s[12:13], s[8:9]
	s_cbranch_execnz .LBB121_1148
; %bb.901:
	s_or_b64 exec, exec, s[12:13]
	v_cmp_gt_u32_e64 s[8:9], 8, v15
	s_and_saveexec_b64 s[12:13], s[8:9]
	s_cbranch_execnz .LBB121_1149
.LBB121_902:
	s_or_b64 exec, exec, s[12:13]
	v_cmp_gt_u32_e64 s[8:9], 4, v15
	s_and_saveexec_b64 s[12:13], s[8:9]
	s_cbranch_execz .LBB121_904
.LBB121_903:
	v_lshlrev_b32_e32 v22, 3, v0
	v_mov_b32_e32 v24, 0
	ds_read_b64 v[22:23], v22 offset:7744
	ds_read_b64 v[24:25], v24 offset:7800
	s_waitcnt lgkmcnt(0)
	v_fma_f64 v[10:11], v[22:23], v[24:25], v[10:11]
.LBB121_904:
	s_or_b64 exec, exec, s[12:13]
.LBB121_905:
	s_or_b64 exec, exec, s[10:11]
	s_and_saveexec_b64 s[8:9], s[44:45]
; %bb.906:
	v_xor_b32_e32 v23, 0x80000000, v11
	v_mov_b32_e32 v22, v10
	ds_write_b64 v18, v[22:23]
; %bb.907:
	s_or_b64 exec, exec, s[8:9]
	s_waitcnt lgkmcnt(0)
	s_barrier
	s_and_saveexec_b64 s[8:9], s[46:47]
	s_cbranch_execz .LBB121_909
; %bb.908:
	v_lshlrev_b32_e32 v22, 3, v16
	ds_read_b64 v[22:23], v22 offset:5696
	ds_read_b64 v[24:25], v18
	s_waitcnt lgkmcnt(0)
	v_fma_f64 v[10:11], -v[22:23], v[24:25], v[10:11]
.LBB121_909:
	s_or_b64 exec, exec, s[8:9]
	s_barrier
	s_and_saveexec_b64 s[8:9], s[48:49]
; %bb.910:
	v_xor_b32_e32 v23, 0x80000000, v11
	v_mov_b32_e32 v22, v10
	ds_write_b64 v18, v[22:23]
; %bb.911:
	s_or_b64 exec, exec, s[8:9]
	s_waitcnt lgkmcnt(0)
	s_barrier
	s_and_saveexec_b64 s[8:9], s[50:51]
	s_cbranch_execz .LBB121_913
; %bb.912:
	v_lshlrev_b32_e32 v22, 3, v16
	ds_read_b64 v[22:23], v22 offset:5184
	ds_read_b64 v[24:25], v18
	s_waitcnt lgkmcnt(0)
	v_fma_f64 v[10:11], -v[22:23], v[24:25], v[10:11]
.LBB121_913:
	s_or_b64 exec, exec, s[8:9]
	s_barrier
	s_and_saveexec_b64 s[8:9], s[52:53]
; %bb.914:
	v_xor_b32_e32 v23, 0x80000000, v11
	v_mov_b32_e32 v22, v10
	ds_write_b64 v18, v[22:23]
; %bb.915:
	s_or_b64 exec, exec, s[8:9]
	s_waitcnt lgkmcnt(0)
	s_barrier
	s_and_saveexec_b64 s[8:9], s[42:43]
	s_cbranch_execz .LBB121_917
; %bb.916:
	v_mov_b32_e32 v22, 0
	ds_read_b64 v[22:23], v22 offset:4672
	ds_read_b64 v[24:25], v18
	s_waitcnt lgkmcnt(0)
	v_fma_f64 v[10:11], -v[22:23], v[24:25], v[10:11]
.LBB121_917:
	s_or_b64 exec, exec, s[8:9]
	s_barrier
	s_and_saveexec_b64 s[8:9], s[42:43]
; %bb.918:
	v_xor_b32_e32 v23, 0x80000000, v11
	v_mov_b32_e32 v22, v10
	ds_write_b64 v18, v[22:23]
; %bb.919:
	s_or_b64 exec, exec, s[8:9]
	s_waitcnt lgkmcnt(0)
	s_barrier
	s_barrier
	s_and_saveexec_b64 s[8:9], s[2:3]
; %bb.920:
	v_lshlrev_b32_e32 v22, 3, v16
	v_lshl_or_b32 v22, v17, 9, v22
	ds_write_b64 v22, v[10:11] offset:6208
; %bb.921:
	s_or_b64 exec, exec, s[8:9]
	s_waitcnt lgkmcnt(0)
	s_barrier
	s_barrier
	s_and_saveexec_b64 s[8:9], vcc
	s_cbranch_execz .LBB121_923
; %bb.922:
	s_mov_b64 s[10:11], 1.0
	v_mov_b32_e32 v10, s10
	v_mov_b32_e32 v11, s11
	s_movk_i32 s10, 0x1000
	v_add_u32_e64 v22, s10, 0
	ds_write2_b64 v22, v[10:11], v[10:11] offset0:138 offset1:203
.LBB121_923:
	s_or_b64 exec, exec, s[8:9]
	v_mov_b32_e32 v10, 0
	v_mov_b32_e32 v11, 0
	s_waitcnt lgkmcnt(0)
	s_barrier
	buffer_wbinvl1_vol
	s_and_saveexec_b64 s[10:11], s[0:1]
	s_cbranch_execz .LBB121_927
; %bb.924:
	v_lshlrev_b32_e32 v22, 9, v13
	v_lshlrev_b32_e32 v10, 3, v12
	ds_read_b64 v[10:11], v10 offset:5184
	ds_read_b64 v[22:23], v22 offset:5200
	v_cmp_gt_u32_e64 s[8:9], 2, v15
	s_waitcnt lgkmcnt(0)
	v_fma_f64 v[10:11], v[10:11], v[22:23], 0
	s_and_saveexec_b64 s[12:13], s[8:9]
	s_cbranch_execz .LBB121_926
; %bb.925:
	v_lshlrev_b32_e32 v22, 3, v0
	v_mov_b32_e32 v24, 0
	ds_read_b64 v[22:23], v22 offset:5696
	ds_read_b64 v[24:25], v24 offset:5720
	s_waitcnt lgkmcnt(0)
	v_fma_f64 v[10:11], v[22:23], v[24:25], v[10:11]
.LBB121_926:
	s_or_b64 exec, exec, s[12:13]
.LBB121_927:
	s_or_b64 exec, exec, s[10:11]
	s_and_saveexec_b64 s[8:9], s[40:41]
; %bb.928:
	v_xor_b32_e32 v23, 0x80000000, v11
	v_mov_b32_e32 v22, v10
	ds_write_b64 v14, v[22:23]
; %bb.929:
	s_or_b64 exec, exec, s[8:9]
	s_waitcnt lgkmcnt(0)
	s_barrier
	s_and_saveexec_b64 s[8:9], s[38:39]
	s_cbranch_execz .LBB121_931
; %bb.930:
	v_mov_b32_e32 v22, 0
	ds_read_b64 v[22:23], v22 offset:4672
	ds_read_b64 v[24:25], v14
	s_waitcnt lgkmcnt(0)
	v_fma_f64 v[10:11], -v[22:23], v[24:25], v[10:11]
.LBB121_931:
	s_or_b64 exec, exec, s[8:9]
	s_barrier
	s_and_saveexec_b64 s[8:9], s[38:39]
; %bb.932:
	v_xor_b32_e32 v23, 0x80000000, v11
	v_mov_b32_e32 v22, v10
	ds_write_b64 v14, v[22:23]
; %bb.933:
	s_or_b64 exec, exec, s[8:9]
	s_waitcnt lgkmcnt(0)
	s_barrier
	s_barrier
	s_and_saveexec_b64 s[8:9], s[0:1]
; %bb.934:
	v_lshlrev_b32_e32 v22, 3, v12
	v_lshl_or_b32 v22, v13, 9, v22
	ds_write_b64 v22, v[10:11] offset:5184
; %bb.935:
	s_or_b64 exec, exec, s[8:9]
	s_waitcnt lgkmcnt(0)
	s_barrier
	s_barrier
	s_and_saveexec_b64 s[8:9], vcc
	s_cbranch_execz .LBB121_937
; %bb.936:
	s_mov_b64 s[10:11], 1.0
	v_mov_b32_e32 v10, s10
	v_mov_b32_e32 v11, s11
	s_movk_i32 s10, 0x1000
	v_add_u32_e64 v22, s10, 0
	ds_write2_b64 v22, v[10:11], v[10:11] offset0:8 offset1:73
.LBB121_937:
	s_or_b64 exec, exec, s[8:9]
	v_mov_b32_e32 v10, 0
	v_mov_b32_e32 v11, 0
	s_waitcnt lgkmcnt(0)
	s_barrier
	buffer_wbinvl1_vol
	s_and_saveexec_b64 s[10:11], s[14:15]
	s_cbranch_execz .LBB121_947
; %bb.938:
	v_lshlrev_b32_e32 v23, 3, v19
	v_lshlrev_b32_e32 v22, 9, v20
	ds_read_b64 v[10:11], v23 offset:4096
	ds_read_b64 v[24:25], v22 offset:4160
	v_cmp_gt_u32_e64 s[8:9], 56, v15
	s_waitcnt lgkmcnt(0)
	v_fma_f64 v[10:11], v[10:11], v[24:25], 0
	s_and_saveexec_b64 s[12:13], s[8:9]
	s_cbranch_execnz .LBB121_1150
; %bb.939:
	s_or_b64 exec, exec, s[12:13]
	v_cmp_gt_u32_e64 s[8:9], 48, v15
	s_and_saveexec_b64 s[12:13], s[8:9]
	s_cbranch_execnz .LBB121_1151
.LBB121_940:
	s_or_b64 exec, exec, s[12:13]
	v_cmp_gt_u32_e64 s[8:9], 40, v15
	s_and_saveexec_b64 s[12:13], s[8:9]
	s_cbranch_execnz .LBB121_1152
.LBB121_941:
	s_or_b64 exec, exec, s[12:13]
	v_cmp_gt_u32_e64 s[8:9], 32, v15
	s_and_saveexec_b64 s[12:13], s[8:9]
	s_cbranch_execnz .LBB121_1153
.LBB121_942:
	s_or_b64 exec, exec, s[12:13]
	v_cmp_gt_u32_e64 s[8:9], 24, v15
	s_and_saveexec_b64 s[12:13], s[8:9]
	s_cbranch_execnz .LBB121_1154
.LBB121_943:
	s_or_b64 exec, exec, s[12:13]
	s_and_saveexec_b64 s[8:9], s[2:3]
	s_cbranch_execnz .LBB121_1155
.LBB121_944:
	s_or_b64 exec, exec, s[8:9]
	v_cmp_gt_u32_e64 s[8:9], 8, v15
	s_and_saveexec_b64 s[12:13], s[8:9]
	s_cbranch_execz .LBB121_946
.LBB121_945:
	v_lshlrev_b32_e32 v22, 3, v0
	v_mov_b32_e32 v24, 0
	ds_read_b64 v[22:23], v22 offset:7680
	ds_read_b64 v[24:25], v24 offset:7800
	s_waitcnt lgkmcnt(0)
	v_fma_f64 v[10:11], v[22:23], v[24:25], v[10:11]
.LBB121_946:
	s_or_b64 exec, exec, s[12:13]
.LBB121_947:
	s_or_b64 exec, exec, s[10:11]
	s_and_saveexec_b64 s[8:9], s[54:55]
; %bb.948:
	v_xor_b32_e32 v23, 0x80000000, v11
	v_mov_b32_e32 v22, v10
	ds_write_b64 v21, v[22:23]
; %bb.949:
	s_or_b64 exec, exec, s[8:9]
	s_waitcnt lgkmcnt(0)
	s_barrier
	s_and_saveexec_b64 s[8:9], s[56:57]
	s_cbranch_execz .LBB121_951
; %bb.950:
	v_lshlrev_b32_e32 v22, 3, v19
	ds_read_b64 v[22:23], v22 offset:3584
	ds_read_b64 v[24:25], v21
	s_waitcnt lgkmcnt(0)
	v_fma_f64 v[10:11], -v[22:23], v[24:25], v[10:11]
.LBB121_951:
	s_or_b64 exec, exec, s[8:9]
	s_barrier
	s_and_saveexec_b64 s[8:9], s[58:59]
; %bb.952:
	v_xor_b32_e32 v23, 0x80000000, v11
	v_mov_b32_e32 v22, v10
	ds_write_b64 v21, v[22:23]
; %bb.953:
	s_or_b64 exec, exec, s[8:9]
	s_waitcnt lgkmcnt(0)
	s_barrier
	s_and_saveexec_b64 s[8:9], s[60:61]
	s_cbranch_execz .LBB121_955
; %bb.954:
	v_lshlrev_b32_e32 v22, 3, v19
	ds_read_b64 v[22:23], v22 offset:3072
	ds_read_b64 v[24:25], v21
	s_waitcnt lgkmcnt(0)
	v_fma_f64 v[10:11], -v[22:23], v[24:25], v[10:11]
.LBB121_955:
	s_or_b64 exec, exec, s[8:9]
	s_barrier
	;; [unrolled: 20-line block ×6, first 2 shown]
	s_and_saveexec_b64 s[8:9], s[80:81]
; %bb.972:
	v_xor_b32_e32 v23, 0x80000000, v11
	v_mov_b32_e32 v22, v10
	ds_write_b64 v21, v[22:23]
; %bb.973:
	s_or_b64 exec, exec, s[8:9]
	s_waitcnt lgkmcnt(0)
	s_barrier
	s_and_saveexec_b64 s[8:9], s[64:65]
	s_cbranch_execz .LBB121_975
; %bb.974:
	v_mov_b32_e32 v22, 0
	ds_read_b64 v[22:23], v22 offset:512
	ds_read_b64 v[24:25], v21
	s_waitcnt lgkmcnt(0)
	v_fma_f64 v[10:11], -v[22:23], v[24:25], v[10:11]
.LBB121_975:
	s_or_b64 exec, exec, s[8:9]
	s_barrier
	s_and_saveexec_b64 s[8:9], s[64:65]
; %bb.976:
	v_xor_b32_e32 v23, 0x80000000, v11
	v_mov_b32_e32 v22, v10
	ds_write_b64 v21, v[22:23]
; %bb.977:
	s_or_b64 exec, exec, s[8:9]
	s_waitcnt lgkmcnt(0)
	s_barrier
	s_barrier
	s_and_saveexec_b64 s[8:9], s[14:15]
; %bb.978:
	v_lshlrev_b32_e32 v19, 3, v19
	v_lshl_or_b32 v19, v20, 9, v19
	ds_write_b64 v19, v[10:11] offset:4096
; %bb.979:
	s_or_b64 exec, exec, s[8:9]
	s_waitcnt lgkmcnt(0)
	s_barrier
	s_barrier
	s_and_saveexec_b64 s[8:9], vcc
	s_cbranch_execz .LBB121_981
; %bb.980:
	s_mov_b64 s[10:11], 1.0
	v_mov_b32_e32 v10, s10
	v_mov_b32_e32 v11, s11
	s_movk_i32 s10, 0x800
	v_add_u32_e64 v19, s10, 0
	ds_write2_b64 v19, v[10:11], v[10:11] offset0:134 offset1:199
.LBB121_981:
	s_or_b64 exec, exec, s[8:9]
	v_mov_b32_e32 v10, 0
	v_mov_b32_e32 v11, 0
	s_waitcnt lgkmcnt(0)
	s_barrier
	buffer_wbinvl1_vol
	s_and_saveexec_b64 s[10:11], s[0:1]
	s_cbranch_execz .LBB121_985
; %bb.982:
	v_lshlrev_b32_e32 v19, 9, v13
	v_lshlrev_b32_e32 v10, 3, v12
	ds_read_b64 v[10:11], v10 offset:3104
	ds_read_b64 v[19:20], v19 offset:3120
	v_cmp_gt_u32_e64 s[8:9], 2, v15
	s_waitcnt lgkmcnt(0)
	v_fma_f64 v[10:11], v[10:11], v[19:20], 0
	s_and_saveexec_b64 s[12:13], s[8:9]
	s_cbranch_execz .LBB121_984
; %bb.983:
	v_lshlrev_b32_e32 v19, 3, v0
	v_mov_b32_e32 v21, 0
	ds_read_b64 v[19:20], v19 offset:3616
	ds_read_b64 v[21:22], v21 offset:3640
	s_waitcnt lgkmcnt(0)
	v_fma_f64 v[10:11], v[19:20], v[21:22], v[10:11]
.LBB121_984:
	s_or_b64 exec, exec, s[12:13]
.LBB121_985:
	s_or_b64 exec, exec, s[10:11]
	s_and_saveexec_b64 s[8:9], s[40:41]
; %bb.986:
	v_xor_b32_e32 v20, 0x80000000, v11
	v_mov_b32_e32 v19, v10
	ds_write_b64 v14, v[19:20]
; %bb.987:
	s_or_b64 exec, exec, s[8:9]
	s_waitcnt lgkmcnt(0)
	s_barrier
	s_and_saveexec_b64 s[8:9], s[38:39]
	s_cbranch_execz .LBB121_989
; %bb.988:
	v_mov_b32_e32 v19, 0
	ds_read_b64 v[19:20], v19 offset:2592
	ds_read_b64 v[21:22], v14
	s_waitcnt lgkmcnt(0)
	v_fma_f64 v[10:11], -v[19:20], v[21:22], v[10:11]
.LBB121_989:
	s_or_b64 exec, exec, s[8:9]
	s_barrier
	s_and_saveexec_b64 s[8:9], s[38:39]
; %bb.990:
	v_xor_b32_e32 v20, 0x80000000, v11
	v_mov_b32_e32 v19, v10
	ds_write_b64 v14, v[19:20]
; %bb.991:
	s_or_b64 exec, exec, s[8:9]
	s_waitcnt lgkmcnt(0)
	s_barrier
	s_barrier
	s_and_saveexec_b64 s[8:9], s[0:1]
; %bb.992:
	v_lshlrev_b32_e32 v19, 3, v12
	v_lshl_or_b32 v19, v13, 9, v19
	ds_write_b64 v19, v[10:11] offset:3104
; %bb.993:
	s_or_b64 exec, exec, s[8:9]
	s_waitcnt lgkmcnt(0)
	s_barrier
	s_barrier
	s_and_saveexec_b64 s[8:9], vcc
	s_cbranch_execz .LBB121_995
; %bb.994:
	s_mov_b64 s[10:11], 1.0
	v_mov_b32_e32 v10, s10
	v_mov_b32_e32 v11, s11
	s_movk_i32 s10, 0x800
	v_add_u32_e64 v19, s10, 0
	ds_write2_b64 v19, v[10:11], v[10:11] offset0:4 offset1:69
.LBB121_995:
	s_or_b64 exec, exec, s[8:9]
	v_mov_b32_e32 v10, 0
	v_mov_b32_e32 v11, 0
	s_waitcnt lgkmcnt(0)
	s_barrier
	buffer_wbinvl1_vol
	s_and_saveexec_b64 s[10:11], s[2:3]
	s_cbranch_execz .LBB121_1001
; %bb.996:
	v_lshlrev_b32_e32 v20, 3, v16
	v_lshlrev_b32_e32 v19, 9, v17
	ds_read_b64 v[10:11], v20 offset:2048
	ds_read_b64 v[21:22], v19 offset:2080
	v_cmp_gt_u32_e64 s[8:9], 12, v15
	s_waitcnt lgkmcnt(0)
	v_fma_f64 v[10:11], v[10:11], v[21:22], 0
	s_and_saveexec_b64 s[12:13], s[8:9]
	s_cbranch_execnz .LBB121_1156
; %bb.997:
	s_or_b64 exec, exec, s[12:13]
	v_cmp_gt_u32_e64 s[8:9], 8, v15
	s_and_saveexec_b64 s[12:13], s[8:9]
	s_cbranch_execnz .LBB121_1157
.LBB121_998:
	s_or_b64 exec, exec, s[12:13]
	v_cmp_gt_u32_e64 s[8:9], 4, v15
	s_and_saveexec_b64 s[12:13], s[8:9]
	s_cbranch_execz .LBB121_1000
.LBB121_999:
	v_lshlrev_b32_e32 v19, 3, v0
	v_mov_b32_e32 v21, 0
	ds_read_b64 v[19:20], v19 offset:3584
	ds_read_b64 v[21:22], v21 offset:3640
	s_waitcnt lgkmcnt(0)
	v_fma_f64 v[10:11], v[19:20], v[21:22], v[10:11]
.LBB121_1000:
	s_or_b64 exec, exec, s[12:13]
.LBB121_1001:
	s_or_b64 exec, exec, s[10:11]
	s_and_saveexec_b64 s[8:9], s[44:45]
; %bb.1002:
	v_xor_b32_e32 v20, 0x80000000, v11
	v_mov_b32_e32 v19, v10
	ds_write_b64 v18, v[19:20]
; %bb.1003:
	s_or_b64 exec, exec, s[8:9]
	s_waitcnt lgkmcnt(0)
	s_barrier
	s_and_saveexec_b64 s[8:9], s[46:47]
	v_readlane_b32 s30, v34, 0
	v_readlane_b32 s31, v34, 1
	s_cbranch_execz .LBB121_1005
; %bb.1004:
	v_lshlrev_b32_e32 v19, 3, v16
	ds_read_b64 v[19:20], v19 offset:1536
	ds_read_b64 v[21:22], v18
	s_waitcnt lgkmcnt(0)
	v_fma_f64 v[10:11], -v[19:20], v[21:22], v[10:11]
.LBB121_1005:
	s_or_b64 exec, exec, s[8:9]
	s_barrier
	s_and_saveexec_b64 s[8:9], s[48:49]
; %bb.1006:
	v_xor_b32_e32 v20, 0x80000000, v11
	v_mov_b32_e32 v19, v10
	ds_write_b64 v18, v[19:20]
; %bb.1007:
	s_or_b64 exec, exec, s[8:9]
	s_waitcnt lgkmcnt(0)
	s_barrier
	s_and_saveexec_b64 s[8:9], s[50:51]
	s_cbranch_execz .LBB121_1009
; %bb.1008:
	v_lshlrev_b32_e32 v19, 3, v16
	ds_read_b64 v[19:20], v19 offset:1024
	ds_read_b64 v[21:22], v18
	s_waitcnt lgkmcnt(0)
	v_fma_f64 v[10:11], -v[19:20], v[21:22], v[10:11]
.LBB121_1009:
	s_or_b64 exec, exec, s[8:9]
	s_barrier
	s_and_saveexec_b64 s[8:9], s[52:53]
; %bb.1010:
	v_xor_b32_e32 v20, 0x80000000, v11
	v_mov_b32_e32 v19, v10
	ds_write_b64 v18, v[19:20]
; %bb.1011:
	s_or_b64 exec, exec, s[8:9]
	s_waitcnt lgkmcnt(0)
	s_barrier
	s_and_saveexec_b64 s[8:9], s[42:43]
	s_cbranch_execz .LBB121_1013
; %bb.1012:
	v_mov_b32_e32 v19, 0
	ds_read_b64 v[19:20], v19 offset:512
	ds_read_b64 v[21:22], v18
	s_waitcnt lgkmcnt(0)
	v_fma_f64 v[10:11], -v[19:20], v[21:22], v[10:11]
.LBB121_1013:
	s_or_b64 exec, exec, s[8:9]
	s_barrier
	s_and_saveexec_b64 s[8:9], s[42:43]
; %bb.1014:
	v_xor_b32_e32 v20, 0x80000000, v11
	v_mov_b32_e32 v19, v10
	ds_write_b64 v18, v[19:20]
; %bb.1015:
	s_or_b64 exec, exec, s[8:9]
	s_waitcnt lgkmcnt(0)
	s_barrier
	s_barrier
	s_and_saveexec_b64 s[8:9], s[2:3]
; %bb.1016:
	v_lshlrev_b32_e32 v16, 3, v16
	v_lshl_or_b32 v16, v17, 9, v16
	ds_write_b64 v16, v[10:11] offset:2048
; %bb.1017:
	s_or_b64 exec, exec, s[8:9]
	s_waitcnt lgkmcnt(0)
	s_barrier
	s_barrier
	s_and_saveexec_b64 s[2:3], vcc
; %bb.1018:
	s_mov_b64 s[8:9], 1.0
	v_mov_b32_e32 v11, s9
	v_mov_b32_e32 v16, 0
	;; [unrolled: 1-line block ×3, first 2 shown]
	ds_write2_b64 v16, v[10:11], v[10:11] offset0:130 offset1:195
; %bb.1019:
	s_or_b64 exec, exec, s[2:3]
	v_mov_b32_e32 v10, 0
	v_mov_b32_e32 v11, 0
	s_waitcnt lgkmcnt(0)
	s_barrier
	buffer_wbinvl1_vol
	s_and_saveexec_b64 s[8:9], s[0:1]
	s_cbranch_execz .LBB121_1023
; %bb.1020:
	v_lshlrev_b32_e32 v16, 9, v13
	v_lshlrev_b32_e32 v10, 3, v12
	ds_read_b64 v[10:11], v10 offset:1024
	ds_read_b64 v[16:17], v16 offset:1040
	v_cmp_gt_u32_e64 s[2:3], 2, v15
	s_waitcnt lgkmcnt(0)
	v_fma_f64 v[10:11], v[10:11], v[16:17], 0
	s_and_saveexec_b64 s[10:11], s[2:3]
	s_cbranch_execz .LBB121_1022
; %bb.1021:
	v_lshlrev_b32_e32 v15, 3, v0
	v_mov_b32_e32 v17, 0
	ds_read_b64 v[15:16], v15 offset:1536
	ds_read_b64 v[17:18], v17 offset:1560
	s_waitcnt lgkmcnt(0)
	v_fma_f64 v[10:11], v[15:16], v[17:18], v[10:11]
.LBB121_1022:
	s_or_b64 exec, exec, s[10:11]
.LBB121_1023:
	s_or_b64 exec, exec, s[8:9]
	s_and_saveexec_b64 s[2:3], s[40:41]
; %bb.1024:
	v_xor_b32_e32 v16, 0x80000000, v11
	v_mov_b32_e32 v15, v10
	ds_write_b64 v14, v[15:16]
; %bb.1025:
	s_or_b64 exec, exec, s[2:3]
	s_waitcnt lgkmcnt(0)
	s_barrier
	s_and_saveexec_b64 s[2:3], s[38:39]
	s_cbranch_execz .LBB121_1027
; %bb.1026:
	v_mov_b32_e32 v15, 0
	ds_read_b64 v[15:16], v15 offset:512
	ds_read_b64 v[17:18], v14
	s_waitcnt lgkmcnt(0)
	v_fma_f64 v[10:11], -v[15:16], v[17:18], v[10:11]
.LBB121_1027:
	s_or_b64 exec, exec, s[2:3]
	s_barrier
	s_and_saveexec_b64 s[2:3], s[38:39]
; %bb.1028:
	v_xor_b32_e32 v16, 0x80000000, v11
	v_mov_b32_e32 v15, v10
	ds_write_b64 v14, v[15:16]
; %bb.1029:
	s_or_b64 exec, exec, s[2:3]
	s_waitcnt lgkmcnt(0)
	s_barrier
	s_barrier
	s_and_saveexec_b64 s[2:3], s[0:1]
; %bb.1030:
	v_lshlrev_b32_e32 v12, 3, v12
	v_lshl_or_b32 v12, v13, 9, v12
	ds_write_b64 v12, v[10:11] offset:1024
; %bb.1031:
	s_or_b64 exec, exec, s[2:3]
	s_waitcnt lgkmcnt(0)
	s_barrier
	s_barrier
	s_and_saveexec_b64 s[0:1], vcc
; %bb.1032:
	s_mov_b64 s[2:3], 1.0
	v_mov_b32_e32 v11, s3
	v_mov_b32_e32 v12, 0
	;; [unrolled: 1-line block ×3, first 2 shown]
	ds_write2_b64 v12, v[10:11], v[10:11] offset1:65
; %bb.1033:
	s_or_b64 exec, exec, s[0:1]
.LBB121_1034:
	s_lshl_b64 s[0:1], s[20:21], 3
	s_add_u32 s38, s34, s0
	v_cmp_le_i32_e32 vcc, s84, v0
	s_addc_u32 s39, s35, s1
	s_and_b64 s[14:15], vcc, s[18:19]
	v_cmp_eq_u32_e64 s[0:1], 0, v1
	s_xor_b64 s[2:3], s[14:15], -1
	v_mov_b32_e32 v10, 0
	s_and_b64 s[8:9], s[0:1], s[2:3]
	v_mov_b32_e32 v11, 0
	v_lshl_add_u32 v12, s33, 6, v0
	s_waitcnt lgkmcnt(0)
	s_barrier
	s_and_saveexec_b64 s[2:3], s[8:9]
	s_cbranch_execz .LBB121_1036
; %bb.1035:
	v_ashrrev_i32_e32 v13, 31, v12
	v_mul_lo_u32 v14, s23, v12
	v_mad_u64_u32 v[10:11], s[8:9], s22, v12, 0
	v_mul_lo_u32 v13, s22, v13
	v_add3_u32 v11, v11, v13, v14
	v_lshlrev_b64 v[10:11], 3, v[10:11]
	v_mov_b32_e32 v13, s39
	v_add_co_u32_e32 v10, vcc, s38, v10
	v_addc_co_u32_e32 v11, vcc, v13, v11, vcc
	flat_load_dwordx2 v[10:11], v[10:11]
	s_waitcnt vmcnt(0) lgkmcnt(0)
	v_mul_f64 v[10:11], v[10:11], -s[30:31]
.LBB121_1036:
	s_or_b64 exec, exec, s[2:3]
	s_load_dwordx2 s[12:13], s[4:5], 0x50
	s_and_b32 s2, 0xffff, s87
	v_mad_u32_u24 v16, v1, s2, v0
	v_mov_b32_e32 v17, 0
	s_cmp_lt_i32 s6, 1
	v_cmp_eq_u32_e64 s[2:3], 0, v16
	s_cbranch_scc1 .LBB121_1062
; %bb.1037:
	v_ashrrev_i32_e32 v13, 31, v12
	v_cmp_gt_i32_e64 s[10:11], s26, v12
	v_lshlrev_b64 v[12:13], 3, v[12:13]
	s_lshl_b64 s[4:5], s[24:25], 2
	v_mov_b32_e32 v14, 0xa000
	s_waitcnt lgkmcnt(0)
	s_add_u32 s16, s12, s4
	v_lshl_add_u32 v18, v16, 3, v14
	v_lshl_or_b32 v19, v1, 3, v14
	v_mov_b32_e32 v14, s86
	v_add_co_u32_e32 v20, vcc, s85, v12
	s_mul_i32 s8, s29, 0x180
	s_mul_hi_u32 s9, s28, 0x180
	s_mov_b32 s40, 0
	s_addc_u32 s17, s13, s5
	v_cmp_gt_u32_e64 s[4:5], 64, v16
	s_add_i32 s41, s33, 1
	v_addc_co_u32_e32 v21, vcc, v14, v13, vcc
	s_lshl_b64 s[20:21], s[28:29], 7
	s_lshl_b64 s[30:31], s[28:29], 8
	s_add_i32 s42, s9, s8
	s_mul_i32 s43, s28, 0x180
	v_mov_b32_e32 v22, -1
	s_branch .LBB121_1040
.LBB121_1038:                           ;   in Loop: Header=BB121_1040 Depth=1
	ds_read_b64 v[12:13], v19 offset:384
	s_waitcnt vmcnt(0) lgkmcnt(0)
	v_fma_f64 v[10:11], v[14:15], v[12:13], v[10:11]
.LBB121_1039:                           ;   in Loop: Header=BB121_1040 Depth=1
	s_or_b64 exec, exec, s[34:35]
	s_add_i32 s40, s40, 1
	s_cmp_eq_u32 s40, s6
	s_cbranch_scc1 .LBB121_1062
.LBB121_1040:                           ; =>This Loop Header: Depth=1
                                        ;     Child Loop BB121_1042 Depth 2
	v_cmp_gt_i32_e32 vcc, s40, v22
	s_and_b64 s[34:35], s[2:3], vcc
	s_and_saveexec_b64 s[8:9], s[34:35]
	s_cbranch_execz .LBB121_1043
; %bb.1041:                             ;   in Loop: Header=BB121_1040 Depth=1
	global_load_dword v22, v17, s[16:17]
	s_waitcnt vmcnt(0)
	v_cmp_le_i32_e32 vcc, s40, v22
	s_cbranch_vccnz .LBB121_1043
.LBB121_1042:                           ;   Parent Loop BB121_1040 Depth=1
                                        ; =>  This Inner Loop Header: Depth=2
	buffer_wbinvl1_vol
	global_load_dword v22, v17, s[16:17]
	s_waitcnt vmcnt(0)
	v_cmp_gt_i32_e32 vcc, s40, v22
	s_cbranch_vccnz .LBB121_1042
.LBB121_1043:                           ;   in Loop: Header=BB121_1040 Depth=1
	s_or_b64 exec, exec, s[8:9]
	s_sub_i32 s44, s7, s40
	s_lshl_b32 s45, s44, 6
	buffer_wbinvl1_vol
	s_barrier
	s_and_saveexec_b64 s[8:9], s[4:5]
	s_cbranch_execz .LBB121_1047
; %bb.1044:                             ;   in Loop: Header=BB121_1040 Depth=1
	s_ashr_i32 s34, s45, 31
	v_mov_b32_e32 v13, s34
	v_or_b32_e32 v12, s45, v16
	v_cmp_gt_i64_e32 vcc, s[26:27], v[12:13]
	v_mov_b32_e32 v14, 0
	v_mov_b32_e32 v15, 0
	s_and_saveexec_b64 s[34:35], vcc
	s_cbranch_execz .LBB121_1046
; %bb.1045:                             ;   in Loop: Header=BB121_1040 Depth=1
	v_mul_lo_u32 v14, v13, s22
	v_mul_lo_u32 v15, v12, s23
	v_mad_u64_u32 v[12:13], s[46:47], v12, s22, 0
	v_add3_u32 v13, v13, v15, v14
	v_lshlrev_b64 v[12:13], 3, v[12:13]
	v_mov_b32_e32 v14, s39
	v_add_co_u32_e32 v12, vcc, s38, v12
	v_addc_co_u32_e32 v13, vcc, v14, v13, vcc
	flat_load_dwordx2 v[14:15], v[12:13]
.LBB121_1046:                           ;   in Loop: Header=BB121_1040 Depth=1
	s_or_b64 exec, exec, s[34:35]
	s_waitcnt vmcnt(0) lgkmcnt(0)
	ds_write_b64 v18, v[14:15]
.LBB121_1047:                           ;   in Loop: Header=BB121_1040 Depth=1
	s_or_b64 exec, exec, s[8:9]
	v_add_u32_e32 v23, s45, v1
	v_ashrrev_i32_e32 v14, 31, v23
	v_mul_lo_u32 v15, s29, v23
	v_mad_u64_u32 v[12:13], s[8:9], s28, v23, 0
	v_mul_lo_u32 v14, s28, v14
	s_cmp_lg_u32 s44, s41
	s_cselect_b64 s[8:9], -1, 0
	s_waitcnt lgkmcnt(0)
	v_add3_u32 v13, v13, v14, v15
	v_lshlrev_b64 v[12:13], 3, v[12:13]
	v_cndmask_b32_e64 v14, 0, 1, s[8:9]
	v_add_co_u32_e32 v12, vcc, v20, v12
	v_addc_co_u32_e32 v13, vcc, v21, v13, vcc
	v_cmp_gt_i32_e32 vcc, s26, v23
	s_and_b64 s[44:45], s[10:11], vcc
	v_cmp_ne_u32_e64 s[8:9], 1, v14
	s_barrier
	s_and_saveexec_b64 s[34:35], s[44:45]
	s_cbranch_execz .LBB121_1051
; %bb.1048:                             ;   in Loop: Header=BB121_1040 Depth=1
	v_mov_b32_e32 v15, v3
	s_and_b64 vcc, exec, s[8:9]
	v_mov_b32_e32 v14, v2
	s_cbranch_vccnz .LBB121_1050
; %bb.1049:                             ;   in Loop: Header=BB121_1040 Depth=1
	flat_load_dwordx2 v[14:15], v[12:13]
.LBB121_1050:                           ;   in Loop: Header=BB121_1040 Depth=1
	ds_read_b64 v[24:25], v19
	s_waitcnt vmcnt(0) lgkmcnt(0)
	v_fma_f64 v[10:11], v[14:15], v[24:25], v[10:11]
.LBB121_1051:                           ;   in Loop: Header=BB121_1040 Depth=1
	s_or_b64 exec, exec, s[34:35]
	v_add_u32_e32 v14, 16, v23
	v_cmp_gt_i32_e32 vcc, s26, v14
	s_and_b64 s[44:45], s[10:11], vcc
	s_and_saveexec_b64 s[34:35], s[44:45]
	s_cbranch_execz .LBB121_1055
; %bb.1052:                             ;   in Loop: Header=BB121_1040 Depth=1
	v_mov_b32_e32 v15, v5
	s_and_b64 vcc, exec, s[8:9]
	v_mov_b32_e32 v14, v4
	s_cbranch_vccnz .LBB121_1054
; %bb.1053:                             ;   in Loop: Header=BB121_1040 Depth=1
	v_mov_b32_e32 v15, s21
	v_add_co_u32_e32 v14, vcc, s20, v12
	v_addc_co_u32_e32 v15, vcc, v13, v15, vcc
	flat_load_dwordx2 v[14:15], v[14:15]
.LBB121_1054:                           ;   in Loop: Header=BB121_1040 Depth=1
	ds_read_b64 v[24:25], v19 offset:128
	s_waitcnt vmcnt(0) lgkmcnt(0)
	v_fma_f64 v[10:11], v[14:15], v[24:25], v[10:11]
.LBB121_1055:                           ;   in Loop: Header=BB121_1040 Depth=1
	s_or_b64 exec, exec, s[34:35]
	v_add_u32_e32 v14, 32, v23
	v_cmp_gt_i32_e32 vcc, s26, v14
	s_and_b64 s[44:45], s[10:11], vcc
	s_and_saveexec_b64 s[34:35], s[44:45]
	s_cbranch_execz .LBB121_1059
; %bb.1056:                             ;   in Loop: Header=BB121_1040 Depth=1
	v_mov_b32_e32 v15, v9
	s_and_b64 vcc, exec, s[8:9]
	v_mov_b32_e32 v14, v8
	s_cbranch_vccnz .LBB121_1058
; %bb.1057:                             ;   in Loop: Header=BB121_1040 Depth=1
	v_mov_b32_e32 v15, s31
	v_add_co_u32_e32 v14, vcc, s30, v12
	v_addc_co_u32_e32 v15, vcc, v13, v15, vcc
	flat_load_dwordx2 v[14:15], v[14:15]
.LBB121_1058:                           ;   in Loop: Header=BB121_1040 Depth=1
	ds_read_b64 v[24:25], v19 offset:256
	s_waitcnt vmcnt(0) lgkmcnt(0)
	v_fma_f64 v[10:11], v[14:15], v[24:25], v[10:11]
.LBB121_1059:                           ;   in Loop: Header=BB121_1040 Depth=1
	s_or_b64 exec, exec, s[34:35]
	v_add_u32_e32 v14, 48, v23
	v_cmp_gt_i32_e32 vcc, s26, v14
	s_and_b64 s[44:45], s[10:11], vcc
	s_and_saveexec_b64 s[34:35], s[44:45]
	s_cbranch_execz .LBB121_1039
; %bb.1060:                             ;   in Loop: Header=BB121_1040 Depth=1
	v_mov_b32_e32 v15, v7
	s_and_b64 vcc, exec, s[8:9]
	v_mov_b32_e32 v14, v6
	s_cbranch_vccnz .LBB121_1038
; %bb.1061:                             ;   in Loop: Header=BB121_1040 Depth=1
	v_mov_b32_e32 v14, s42
	v_add_co_u32_e32 v12, vcc, s43, v12
	v_addc_co_u32_e32 v13, vcc, v13, v14, vcc
	flat_load_dwordx2 v[14:15], v[12:13]
	s_branch .LBB121_1038
.LBB121_1062:
	v_lshl_add_u32 v2, v1, 6, v0
	s_xor_b64 s[2:3], s[18:19], -1
	s_xor_b64 s[4:5], s[36:37], -1
	v_lshlrev_b32_e32 v4, 3, v2
	ds_write_b64 v4, v[10:11] offset:32768
	s_waitcnt lgkmcnt(0)
	s_barrier
	s_and_saveexec_b64 s[6:7], s[0:1]
	s_cbranch_execz .LBB121_1064
; %bb.1063:
	v_lshlrev_b32_e32 v15, 3, v0
	ds_read2st64_b64 v[5:8], v15 offset0:65 offset1:66
	ds_read_b64 v[2:3], v15 offset:40448
	s_waitcnt lgkmcnt(1)
	v_add_f64 v[5:6], v[10:11], v[5:6]
	v_add_f64 v[13:14], v[5:6], v[7:8]
	ds_read2st64_b64 v[5:8], v15 offset0:67 offset1:68
	ds_read2st64_b64 v[9:12], v15 offset0:69 offset1:70
	s_waitcnt lgkmcnt(1)
	v_add_f64 v[5:6], v[13:14], v[5:6]
	v_add_f64 v[5:6], v[5:6], v[7:8]
	s_waitcnt lgkmcnt(0)
	v_add_f64 v[5:6], v[5:6], v[9:10]
	v_add_f64 v[13:14], v[5:6], v[11:12]
	ds_read2st64_b64 v[5:8], v15 offset0:71 offset1:72
	ds_read2st64_b64 v[9:12], v15 offset0:73 offset1:74
	s_waitcnt lgkmcnt(1)
	v_add_f64 v[5:6], v[13:14], v[5:6]
	v_add_f64 v[5:6], v[5:6], v[7:8]
	;; [unrolled: 8-line block ×3, first 2 shown]
	s_waitcnt lgkmcnt(0)
	v_add_f64 v[5:6], v[5:6], v[9:10]
	v_add_f64 v[5:6], v[5:6], v[11:12]
	;; [unrolled: 1-line block ×3, first 2 shown]
	v_xor_b32_e32 v3, 0x80000000, v3
	v_cndmask_b32_e64 v11, v3, 0, s[14:15]
	v_cndmask_b32_e64 v10, v2, 0, s[14:15]
.LBB121_1064:
	s_or_b64 exec, exec, s[6:7]
	s_andn2_b64 vcc, exec, s[4:5]
	s_cbranch_vccnz .LBB121_1078
; %bb.1065:
	v_mov_b32_e32 v2, 0xa000
	v_lshl_or_b32 v5, v1, 3, v2
	s_and_saveexec_b64 s[4:5], s[0:1]
; %bb.1066:
	v_lshl_add_u32 v2, v0, 3, v5
	ds_write_b64 v2, v[10:11]
; %bb.1067:
	s_or_b64 exec, exec, s[4:5]
	v_mov_b32_e32 v2, 0
	v_mov_b32_e32 v3, 0
	v_cmp_le_u32_e32 vcc, v0, v1
	s_waitcnt lgkmcnt(0)
	s_barrier
	s_and_saveexec_b64 s[4:5], vcc
	s_cbranch_execz .LBB121_1069
; %bb.1068:
	ds_read_b64 v[2:3], v4
	ds_read_b64 v[6:7], v5
	s_waitcnt lgkmcnt(0)
	v_fma_f64 v[2:3], v[2:3], v[6:7], 0
.LBB121_1069:
	s_or_b64 exec, exec, s[4:5]
	v_add_u32_e32 v6, 16, v1
	v_cmp_le_u32_e32 vcc, v0, v6
	s_and_saveexec_b64 s[4:5], vcc
	s_cbranch_execz .LBB121_1071
; %bb.1070:
	ds_read_b64 v[6:7], v4 offset:8192
	ds_read_b64 v[8:9], v5 offset:128
	s_waitcnt lgkmcnt(0)
	v_fma_f64 v[2:3], v[6:7], v[8:9], v[2:3]
.LBB121_1071:
	s_or_b64 exec, exec, s[4:5]
	v_add_u32_e32 v6, 32, v1
	v_cmp_le_u32_e32 vcc, v0, v6
	s_and_saveexec_b64 s[4:5], vcc
	s_cbranch_execz .LBB121_1073
; %bb.1072:
	ds_read_b64 v[6:7], v4 offset:16384
	ds_read_b64 v[8:9], v5 offset:256
	s_waitcnt lgkmcnt(0)
	v_fma_f64 v[2:3], v[6:7], v[8:9], v[2:3]
.LBB121_1073:
	s_or_b64 exec, exec, s[4:5]
	v_add_u32_e32 v1, 48, v1
	v_add_u32_e32 v6, 0x8000, v4
	v_cmp_le_u32_e32 vcc, v0, v1
	s_and_saveexec_b64 s[4:5], vcc
	s_cbranch_execz .LBB121_1075
; %bb.1074:
	ds_read_b64 v[7:8], v4 offset:24576
	ds_read_b64 v[4:5], v5 offset:384
	s_waitcnt lgkmcnt(0)
	v_fma_f64 v[2:3], v[7:8], v[4:5], v[2:3]
.LBB121_1075:
	s_or_b64 exec, exec, s[4:5]
	s_mov_b64 s[6:7], 0
	s_mov_b64 s[4:5], 0
	ds_write_b64 v6, v[2:3]
	s_waitcnt lgkmcnt(0)
	s_barrier
                                        ; implicit-def: $vgpr4_vgpr5
	s_and_saveexec_b64 s[8:9], s[0:1]
	s_cbranch_execz .LBB121_1104
; %bb.1076:
	v_lshlrev_b32_e32 v9, 3, v0
	ds_read2st64_b64 v[4:7], v9 offset0:65 offset1:66
	ds_read_b64 v[12:13], v9 offset:40448
	s_mov_b64 s[4:5], exec
	s_waitcnt lgkmcnt(1)
	v_add_f64 v[1:2], v[2:3], v[4:5]
	v_add_f64 v[14:15], v[6:7], v[1:2]
	ds_read2st64_b64 v[1:4], v9 offset0:67 offset1:68
	ds_read2st64_b64 v[5:8], v9 offset0:69 offset1:70
	s_waitcnt lgkmcnt(1)
	v_add_f64 v[1:2], v[1:2], v[14:15]
	v_add_f64 v[1:2], v[3:4], v[1:2]
	s_waitcnt lgkmcnt(0)
	v_add_f64 v[1:2], v[5:6], v[1:2]
	v_add_f64 v[14:15], v[7:8], v[1:2]
	ds_read2st64_b64 v[1:4], v9 offset0:71 offset1:72
	ds_read2st64_b64 v[5:8], v9 offset0:73 offset1:74
	s_waitcnt lgkmcnt(1)
	v_add_f64 v[1:2], v[1:2], v[14:15]
	v_add_f64 v[1:2], v[3:4], v[1:2]
	;; [unrolled: 8-line block ×3, first 2 shown]
	s_waitcnt lgkmcnt(0)
	v_add_f64 v[1:2], v[5:6], v[1:2]
	v_add_f64 v[1:2], v[7:8], v[1:2]
	;; [unrolled: 1-line block ×3, first 2 shown]
	s_or_b64 exec, exec, s[8:9]
	s_and_b64 vcc, exec, s[6:7]
	s_cbranch_vccnz .LBB121_1079
	s_branch .LBB121_1105
.LBB121_1077:
	v_mad_u64_u32 v[12:13], s[0:1], s28, v14, 0
	s_or_b64 s[8:9], s[8:9], exec
	v_mad_u64_u32 v[13:14], s[0:1], s29, v14, v[13:14]
	v_lshlrev_b64 v[12:13], 3, v[12:13]
	v_add_co_u32_e32 v10, vcc, v10, v12
	v_addc_co_u32_e32 v11, vcc, v11, v13, vcc
	flat_load_dwordx2 v[12:13], v[10:11]
	s_waitcnt vmcnt(0) lgkmcnt(0)
	v_xor_b32_e32 v13, 0x80000000, v13
	s_or_b64 exec, exec, s[2:3]
	s_and_saveexec_b64 s[0:1], s[8:9]
	s_cbranch_execnz .LBB121_57
	s_branch .LBB121_58
.LBB121_1078:
	s_mov_b64 s[4:5], 0
                                        ; implicit-def: $vgpr4_vgpr5
	s_cbranch_execz .LBB121_1105
.LBB121_1079:
	v_mov_b32_e32 v1, 0x7800
	v_lshl_add_u32 v1, v0, 3, v1
	v_mov_b32_e32 v3, 63
	v_mov_b32_e32 v2, 0
	s_branch .LBB121_1081
.LBB121_1080:                           ;   in Loop: Header=BB121_1081 Depth=1
	s_or_b64 exec, exec, s[6:7]
	v_subrev_co_u32_e32 v3, vcc, 1, v3
	s_andn2_b64 vcc, exec, vcc
	v_add_u32_e32 v1, 0xfffff800, v1
	s_barrier
	s_cbranch_vccz .LBB121_1097
.LBB121_1081:                           ; =>This Inner Loop Header: Depth=1
	v_cmp_eq_u32_e32 vcc, v0, v3
	s_and_b64 s[8:9], s[0:1], vcc
	s_and_saveexec_b64 s[6:7], s[8:9]
; %bb.1082:                             ;   in Loop: Header=BB121_1081 Depth=1
	ds_write_b64 v2, v[10:11] offset:41472
; %bb.1083:                             ;   in Loop: Header=BB121_1081 Depth=1
	s_or_b64 exec, exec, s[6:7]
	v_cmp_lt_u32_e32 vcc, v0, v3
	s_and_b64 s[8:9], s[0:1], vcc
	s_waitcnt lgkmcnt(0)
	s_barrier
	s_and_saveexec_b64 s[6:7], s[8:9]
	s_cbranch_execz .LBB121_1085
; %bb.1084:                             ;   in Loop: Header=BB121_1081 Depth=1
	ds_read_b64 v[4:5], v1 offset:1536
	ds_read_b64 v[6:7], v2 offset:41472
	s_waitcnt lgkmcnt(0)
	v_fma_f64 v[10:11], v[4:5], v[6:7], v[10:11]
.LBB121_1085:                           ;   in Loop: Header=BB121_1081 Depth=1
	s_or_b64 exec, exec, s[6:7]
	v_add_u32_e32 v3, -1, v3
	v_cmp_eq_u32_e32 vcc, v0, v3
	s_and_b64 s[8:9], s[0:1], vcc
	s_barrier
	s_and_saveexec_b64 s[6:7], s[8:9]
; %bb.1086:                             ;   in Loop: Header=BB121_1081 Depth=1
	ds_write_b64 v2, v[10:11] offset:41472
; %bb.1087:                             ;   in Loop: Header=BB121_1081 Depth=1
	s_or_b64 exec, exec, s[6:7]
	v_cmp_lt_u32_e32 vcc, v0, v3
	s_and_b64 s[8:9], s[0:1], vcc
	s_waitcnt lgkmcnt(0)
	s_barrier
	s_and_saveexec_b64 s[6:7], s[8:9]
	s_cbranch_execz .LBB121_1089
; %bb.1088:                             ;   in Loop: Header=BB121_1081 Depth=1
	ds_read_b64 v[4:5], v1 offset:1024
	ds_read_b64 v[6:7], v2 offset:41472
	s_waitcnt lgkmcnt(0)
	v_fma_f64 v[10:11], v[4:5], v[6:7], v[10:11]
.LBB121_1089:                           ;   in Loop: Header=BB121_1081 Depth=1
	s_or_b64 exec, exec, s[6:7]
	v_add_u32_e32 v3, -1, v3
	v_cmp_eq_u32_e32 vcc, v0, v3
	s_and_b64 s[8:9], s[0:1], vcc
	s_barrier
	;; [unrolled: 22-line block ×3, first 2 shown]
	s_and_saveexec_b64 s[6:7], s[8:9]
; %bb.1094:                             ;   in Loop: Header=BB121_1081 Depth=1
	ds_write_b64 v2, v[10:11] offset:41472
; %bb.1095:                             ;   in Loop: Header=BB121_1081 Depth=1
	s_or_b64 exec, exec, s[6:7]
	v_cmp_lt_u32_e32 vcc, v0, v3
	s_and_b64 s[8:9], s[0:1], vcc
	s_waitcnt lgkmcnt(0)
	s_barrier
	s_and_saveexec_b64 s[6:7], s[8:9]
	s_cbranch_execz .LBB121_1080
; %bb.1096:                             ;   in Loop: Header=BB121_1081 Depth=1
	ds_read_b64 v[4:5], v1
	ds_read_b64 v[6:7], v2 offset:41472
	s_waitcnt lgkmcnt(0)
	v_fma_f64 v[10:11], v[4:5], v[6:7], v[10:11]
	s_branch .LBB121_1080
.LBB121_1097:
	s_mov_b64 s[6:7], -1
	s_and_b64 vcc, exec, s[2:3]
	s_cbranch_vccnz .LBB121_1106
; %bb.1098:
	s_andn2_b64 vcc, exec, s[6:7]
	s_cbranch_vccz .LBB121_1107
.LBB121_1099:
	s_and_saveexec_b64 s[0:1], s[4:5]
	s_cbranch_execz .LBB121_1101
.LBB121_1100:
	s_lshl_b32 s2, s33, 6
	s_ashr_i32 s3, s2, 31
	v_mov_b32_e32 v0, s3
	v_add_co_u32_e32 v1, vcc, s2, v16
	v_addc_co_u32_e32 v0, vcc, 0, v0, vcc
	v_mul_lo_u32 v2, v0, s22
	v_mul_lo_u32 v3, v1, s23
	v_mad_u64_u32 v[0:1], s[2:3], v1, s22, 0
	v_add3_u32 v1, v1, v3, v2
	v_lshlrev_b64 v[0:1], 3, v[0:1]
	v_mov_b32_e32 v2, s39
	v_add_co_u32_e32 v0, vcc, s38, v0
	v_addc_co_u32_e32 v1, vcc, v2, v1, vcc
	flat_store_dwordx2 v[0:1], v[10:11]
.LBB121_1101:
	s_or_b64 exec, exec, s[0:1]
	v_cmp_eq_u32_e32 vcc, 0, v16
	s_waitcnt vmcnt(0) lgkmcnt(0)
	buffer_wbinvl1_vol
	s_barrier
	s_and_saveexec_b64 s[0:1], vcc
	s_cbranch_execz .LBB121_1103
; %bb.1102:
	s_lshl_b64 s[2:3], s[24:25], 2
	s_add_u32 s2, s12, s2
	s_addc_u32 s3, s13, s3
	v_mov_b32_e32 v0, 0
	global_load_dword v1, v0, s[2:3]
	s_waitcnt vmcnt(0)
	v_add_u32_e32 v1, 1, v1
	global_store_dword v0, v1, s[2:3]
.LBB121_1103:
	s_or_b64 exec, exec, s[0:1]
	s_waitcnt vmcnt(0)
	buffer_wbinvl1_vol
	s_endpgm
.LBB121_1104:
	s_or_b64 exec, exec, s[8:9]
	s_and_b64 vcc, exec, s[6:7]
	s_cbranch_vccnz .LBB121_1079
.LBB121_1105:
	v_mov_b32_e32 v11, v5
	v_mov_b32_e32 v10, v4
	s_and_saveexec_b64 s[0:1], s[4:5]
	s_cbranch_execnz .LBB121_1100
	s_branch .LBB121_1101
.LBB121_1106:
	s_andn2_b64 s[2:3], s[4:5], exec
	s_and_b64 s[4:5], s[0:1], exec
	s_or_b64 s[4:5], s[2:3], s[4:5]
	s_cbranch_execnz .LBB121_1099
.LBB121_1107:
	v_cmp_gt_i32_e32 vcc, s84, v0
	s_and_b64 s[0:1], s[0:1], vcc
	s_andn2_b64 s[2:3], s[4:5], exec
	s_and_b64 s[0:1], s[0:1], exec
	s_or_b64 s[4:5], s[2:3], s[0:1]
	s_and_saveexec_b64 s[0:1], s[4:5]
	s_cbranch_execnz .LBB121_1100
	s_branch .LBB121_1101
.LBB121_1108:
	ds_read_b64 v[21:22], v20 offset:31680
	ds_read_b64 v[23:24], v19 offset:31208
	s_waitcnt lgkmcnt(0)
	v_fma_f64 v[10:11], v[21:22], v[23:24], v[10:11]
	s_or_b64 exec, exec, s[14:15]
	v_cmp_gt_u32_e64 s[10:11], 8, v15
	s_and_saveexec_b64 s[14:15], s[10:11]
	s_cbranch_execz .LBB121_78
.LBB121_1109:
	ds_read_b64 v[20:21], v20 offset:32192
	ds_read_b64 v[22:23], v19 offset:31216
	s_waitcnt lgkmcnt(0)
	v_fma_f64 v[10:11], v[20:21], v[22:23], v[10:11]
	s_or_b64 exec, exec, s[14:15]
	v_cmp_gt_u32_e64 s[10:11], 4, v15
	s_and_saveexec_b64 s[14:15], s[10:11]
	s_cbranch_execnz .LBB121_79
	s_branch .LBB121_80
.LBB121_1110:
	ds_read_b64 v[24:25], v23 offset:29568
	ds_read_b64 v[26:27], v22 offset:29128
	s_waitcnt lgkmcnt(0)
	v_fma_f64 v[10:11], v[24:25], v[26:27], v[10:11]
	s_or_b64 exec, exec, s[16:17]
	v_cmp_gt_u32_e64 s[10:11], 48, v15
	s_and_saveexec_b64 s[16:17], s[10:11]
	s_cbranch_execz .LBB121_116
.LBB121_1111:
	ds_read_b64 v[24:25], v23 offset:30080
	ds_read_b64 v[26:27], v22 offset:29136
	s_waitcnt lgkmcnt(0)
	v_fma_f64 v[10:11], v[24:25], v[26:27], v[10:11]
	s_or_b64 exec, exec, s[16:17]
	v_cmp_gt_u32_e64 s[10:11], 40, v15
	s_and_saveexec_b64 s[16:17], s[10:11]
	s_cbranch_execz .LBB121_117
.LBB121_1112:
	ds_read_b64 v[24:25], v23 offset:30592
	ds_read_b64 v[26:27], v22 offset:29144
	s_waitcnt lgkmcnt(0)
	v_fma_f64 v[10:11], v[24:25], v[26:27], v[10:11]
	s_or_b64 exec, exec, s[16:17]
	v_cmp_gt_u32_e64 s[10:11], 32, v15
	s_and_saveexec_b64 s[16:17], s[10:11]
	s_cbranch_execz .LBB121_118
.LBB121_1113:
	ds_read_b64 v[24:25], v23 offset:31104
	ds_read_b64 v[26:27], v22 offset:29152
	s_waitcnt lgkmcnt(0)
	v_fma_f64 v[10:11], v[24:25], v[26:27], v[10:11]
	s_or_b64 exec, exec, s[16:17]
	v_cmp_gt_u32_e64 s[10:11], 24, v15
	s_and_saveexec_b64 s[16:17], s[10:11]
	s_cbranch_execz .LBB121_119
.LBB121_1114:
	ds_read_b64 v[24:25], v23 offset:31616
	ds_read_b64 v[26:27], v22 offset:29160
	s_waitcnt lgkmcnt(0)
	v_fma_f64 v[10:11], v[24:25], v[26:27], v[10:11]
	s_or_b64 exec, exec, s[16:17]
	s_and_saveexec_b64 s[10:11], s[2:3]
	s_cbranch_execz .LBB121_120
.LBB121_1115:
	ds_read_b64 v[23:24], v23 offset:32128
	ds_read_b64 v[25:26], v22 offset:29168
	s_waitcnt lgkmcnt(0)
	v_fma_f64 v[10:11], v[23:24], v[25:26], v[10:11]
	s_or_b64 exec, exec, s[10:11]
	v_cmp_gt_u32_e64 s[10:11], 8, v15
	s_and_saveexec_b64 s[16:17], s[10:11]
	s_cbranch_execnz .LBB121_121
	s_branch .LBB121_122
.LBB121_1116:
	ds_read_b64 v[24:25], v23 offset:27520
	ds_read_b64 v[26:27], v22 offset:27048
	s_waitcnt lgkmcnt(0)
	v_fma_f64 v[10:11], v[24:25], v[26:27], v[10:11]
	s_or_b64 exec, exec, s[12:13]
	v_cmp_gt_u32_e64 s[8:9], 8, v15
	s_and_saveexec_b64 s[12:13], s[8:9]
	s_cbranch_execz .LBB121_174
.LBB121_1117:
	ds_read_b64 v[23:24], v23 offset:28032
	ds_read_b64 v[25:26], v22 offset:27056
	s_waitcnt lgkmcnt(0)
	v_fma_f64 v[10:11], v[23:24], v[25:26], v[10:11]
	s_or_b64 exec, exec, s[12:13]
	v_cmp_gt_u32_e64 s[8:9], 4, v15
	s_and_saveexec_b64 s[12:13], s[8:9]
	s_cbranch_execnz .LBB121_175
	s_branch .LBB121_176
.LBB121_1118:
	ds_read_b64 v[27:28], v26 offset:30464
	ds_read_b64 v[29:30], v25 offset:25048
	s_waitcnt lgkmcnt(0)
	v_fma_f64 v[10:11], v[27:28], v[29:30], v[10:11]
	s_or_b64 exec, exec, s[30:31]
	s_and_saveexec_b64 s[12:13], s[14:15]
	s_cbranch_execz .LBB121_232
.LBB121_1119:
	ds_read_b64 v[27:28], v26 offset:30976
	ds_read_b64 v[29:30], v25 offset:25056
	s_waitcnt lgkmcnt(0)
	v_fma_f64 v[10:11], v[27:28], v[29:30], v[10:11]
	s_or_b64 exec, exec, s[12:13]
	v_cmp_gt_u32_e64 s[12:13], 48, v15
	s_and_saveexec_b64 s[30:31], s[12:13]
	s_cbranch_execz .LBB121_233
.LBB121_1120:
	ds_read_b64 v[27:28], v26 offset:31488
	ds_read_b64 v[29:30], v25 offset:25064
	s_waitcnt lgkmcnt(0)
	v_fma_f64 v[10:11], v[27:28], v[29:30], v[10:11]
	s_or_b64 exec, exec, s[30:31]
	v_cmp_gt_u32_e64 s[12:13], 32, v15
	s_and_saveexec_b64 s[30:31], s[12:13]
	s_cbranch_execz .LBB121_234
.LBB121_1121:
	ds_read_b64 v[26:27], v26 offset:32000
	ds_read_b64 v[28:29], v25 offset:25072
	s_waitcnt lgkmcnt(0)
	v_fma_f64 v[10:11], v[26:27], v[28:29], v[10:11]
	s_or_b64 exec, exec, s[30:31]
	v_cmp_gt_u32_e64 s[12:13], 16, v15
	s_and_saveexec_b64 s[30:31], s[12:13]
	s_cbranch_execnz .LBB121_235
	s_branch .LBB121_236
.LBB121_1122:
	ds_read_b64 v[27:28], v26 offset:23360
	ds_read_b64 v[29:30], v25 offset:22888
	s_waitcnt lgkmcnt(0)
	v_fma_f64 v[10:11], v[27:28], v[29:30], v[10:11]
	s_or_b64 exec, exec, s[16:17]
	v_cmp_gt_u32_e64 s[10:11], 8, v15
	s_and_saveexec_b64 s[16:17], s[10:11]
	s_cbranch_execz .LBB121_320
.LBB121_1123:
	ds_read_b64 v[26:27], v26 offset:23872
	ds_read_b64 v[28:29], v25 offset:22896
	s_waitcnt lgkmcnt(0)
	v_fma_f64 v[10:11], v[26:27], v[28:29], v[10:11]
	s_or_b64 exec, exec, s[16:17]
	v_cmp_gt_u32_e64 s[10:11], 4, v15
	s_and_saveexec_b64 s[16:17], s[10:11]
	s_cbranch_execnz .LBB121_321
	s_branch .LBB121_322
.LBB121_1124:
	ds_read_b64 v[27:28], v26 offset:21248
	ds_read_b64 v[29:30], v25 offset:20808
	s_waitcnt lgkmcnt(0)
	v_fma_f64 v[10:11], v[27:28], v[29:30], v[10:11]
	s_or_b64 exec, exec, s[16:17]
	v_cmp_gt_u32_e64 s[10:11], 48, v15
	s_and_saveexec_b64 s[16:17], s[10:11]
	s_cbranch_execz .LBB121_358
.LBB121_1125:
	ds_read_b64 v[27:28], v26 offset:21760
	ds_read_b64 v[29:30], v25 offset:20816
	s_waitcnt lgkmcnt(0)
	v_fma_f64 v[10:11], v[27:28], v[29:30], v[10:11]
	s_or_b64 exec, exec, s[16:17]
	v_cmp_gt_u32_e64 s[10:11], 40, v15
	s_and_saveexec_b64 s[16:17], s[10:11]
	s_cbranch_execz .LBB121_359
.LBB121_1126:
	ds_read_b64 v[27:28], v26 offset:22272
	ds_read_b64 v[29:30], v25 offset:20824
	s_waitcnt lgkmcnt(0)
	v_fma_f64 v[10:11], v[27:28], v[29:30], v[10:11]
	s_or_b64 exec, exec, s[16:17]
	v_cmp_gt_u32_e64 s[10:11], 32, v15
	s_and_saveexec_b64 s[16:17], s[10:11]
	s_cbranch_execz .LBB121_360
.LBB121_1127:
	ds_read_b64 v[27:28], v26 offset:22784
	ds_read_b64 v[29:30], v25 offset:20832
	s_waitcnt lgkmcnt(0)
	v_fma_f64 v[10:11], v[27:28], v[29:30], v[10:11]
	s_or_b64 exec, exec, s[16:17]
	v_cmp_gt_u32_e64 s[10:11], 24, v15
	s_and_saveexec_b64 s[16:17], s[10:11]
	s_cbranch_execz .LBB121_361
.LBB121_1128:
	ds_read_b64 v[27:28], v26 offset:23296
	ds_read_b64 v[29:30], v25 offset:20840
	s_waitcnt lgkmcnt(0)
	v_fma_f64 v[10:11], v[27:28], v[29:30], v[10:11]
	s_or_b64 exec, exec, s[16:17]
	s_and_saveexec_b64 s[10:11], s[2:3]
	s_cbranch_execz .LBB121_362
.LBB121_1129:
	ds_read_b64 v[26:27], v26 offset:23808
	ds_read_b64 v[28:29], v25 offset:20848
	s_waitcnt lgkmcnt(0)
	v_fma_f64 v[10:11], v[26:27], v[28:29], v[10:11]
	s_or_b64 exec, exec, s[10:11]
	v_cmp_gt_u32_e64 s[10:11], 8, v15
	s_and_saveexec_b64 s[16:17], s[10:11]
	s_cbranch_execnz .LBB121_363
	s_branch .LBB121_364
.LBB121_1130:
	ds_read_b64 v[27:28], v26 offset:19200
	ds_read_b64 v[29:30], v25 offset:18728
	s_waitcnt lgkmcnt(0)
	v_fma_f64 v[10:11], v[27:28], v[29:30], v[10:11]
	s_or_b64 exec, exec, s[16:17]
	v_cmp_gt_u32_e64 s[10:11], 8, v15
	s_and_saveexec_b64 s[16:17], s[10:11]
	s_cbranch_execz .LBB121_416
.LBB121_1131:
	ds_read_b64 v[26:27], v26 offset:19712
	ds_read_b64 v[28:29], v25 offset:18736
	s_waitcnt lgkmcnt(0)
	v_fma_f64 v[10:11], v[26:27], v[28:29], v[10:11]
	s_or_b64 exec, exec, s[16:17]
	v_cmp_gt_u32_e64 s[10:11], 4, v15
	s_and_saveexec_b64 s[16:17], s[10:11]
	s_cbranch_execnz .LBB121_417
	s_branch .LBB121_418
.LBB121_1132:
	ds_read_b64 v[30:31], v26 offset:31232
	ds_read_b64 v[32:33], v29 offset:16872
	s_waitcnt lgkmcnt(0)
	v_fma_f64 v[10:11], v[30:31], v[32:33], v[10:11]
	s_or_b64 exec, exec, s[82:83]
	s_and_saveexec_b64 s[16:17], s[14:15]
	s_cbranch_execz .LBB121_510
.LBB121_1133:
	ds_read_b64 v[30:31], v26 offset:31744
	ds_read_b64 v[32:33], v29 offset:16880
	s_waitcnt lgkmcnt(0)
	v_fma_f64 v[10:11], v[30:31], v[32:33], v[10:11]
	s_or_b64 exec, exec, s[16:17]
	v_cmp_gt_u32_e64 s[16:17], 32, v15
	s_and_saveexec_b64 s[82:83], s[16:17]
	s_cbranch_execnz .LBB121_511
	s_branch .LBB121_512
.LBB121_1134:
	ds_read_b64 v[27:28], v26 offset:15040
	ds_read_b64 v[29:30], v25 offset:14568
	s_waitcnt lgkmcnt(0)
	v_fma_f64 v[10:11], v[27:28], v[29:30], v[10:11]
	s_or_b64 exec, exec, s[16:17]
	v_cmp_gt_u32_e64 s[10:11], 8, v15
	s_and_saveexec_b64 s[16:17], s[10:11]
	s_cbranch_execz .LBB121_660
.LBB121_1135:
	ds_read_b64 v[26:27], v26 offset:15552
	ds_read_b64 v[28:29], v25 offset:14576
	s_waitcnt lgkmcnt(0)
	v_fma_f64 v[10:11], v[26:27], v[28:29], v[10:11]
	s_or_b64 exec, exec, s[16:17]
	v_cmp_gt_u32_e64 s[10:11], 4, v15
	s_and_saveexec_b64 s[16:17], s[10:11]
	s_cbranch_execnz .LBB121_661
	s_branch .LBB121_662
.LBB121_1136:
	ds_read_b64 v[27:28], v26 offset:12928
	ds_read_b64 v[29:30], v25 offset:12488
	s_waitcnt lgkmcnt(0)
	v_fma_f64 v[10:11], v[27:28], v[29:30], v[10:11]
	s_or_b64 exec, exec, s[16:17]
	v_cmp_gt_u32_e64 s[10:11], 48, v15
	s_and_saveexec_b64 s[16:17], s[10:11]
	s_cbranch_execz .LBB121_698
.LBB121_1137:
	ds_read_b64 v[27:28], v26 offset:13440
	ds_read_b64 v[29:30], v25 offset:12496
	s_waitcnt lgkmcnt(0)
	v_fma_f64 v[10:11], v[27:28], v[29:30], v[10:11]
	s_or_b64 exec, exec, s[16:17]
	v_cmp_gt_u32_e64 s[10:11], 40, v15
	s_and_saveexec_b64 s[16:17], s[10:11]
	s_cbranch_execz .LBB121_699
.LBB121_1138:
	ds_read_b64 v[27:28], v26 offset:13952
	ds_read_b64 v[29:30], v25 offset:12504
	s_waitcnt lgkmcnt(0)
	v_fma_f64 v[10:11], v[27:28], v[29:30], v[10:11]
	s_or_b64 exec, exec, s[16:17]
	v_cmp_gt_u32_e64 s[10:11], 32, v15
	s_and_saveexec_b64 s[16:17], s[10:11]
	s_cbranch_execz .LBB121_700
.LBB121_1139:
	ds_read_b64 v[27:28], v26 offset:14464
	ds_read_b64 v[29:30], v25 offset:12512
	s_waitcnt lgkmcnt(0)
	v_fma_f64 v[10:11], v[27:28], v[29:30], v[10:11]
	s_or_b64 exec, exec, s[16:17]
	v_cmp_gt_u32_e64 s[10:11], 24, v15
	s_and_saveexec_b64 s[16:17], s[10:11]
	s_cbranch_execz .LBB121_701
.LBB121_1140:
	ds_read_b64 v[27:28], v26 offset:14976
	ds_read_b64 v[29:30], v25 offset:12520
	s_waitcnt lgkmcnt(0)
	v_fma_f64 v[10:11], v[27:28], v[29:30], v[10:11]
	s_or_b64 exec, exec, s[16:17]
	s_and_saveexec_b64 s[10:11], s[2:3]
	s_cbranch_execz .LBB121_702
.LBB121_1141:
	ds_read_b64 v[26:27], v26 offset:15488
	ds_read_b64 v[28:29], v25 offset:12528
	s_waitcnt lgkmcnt(0)
	v_fma_f64 v[10:11], v[26:27], v[28:29], v[10:11]
	s_or_b64 exec, exec, s[10:11]
	v_cmp_gt_u32_e64 s[10:11], 8, v15
	s_and_saveexec_b64 s[16:17], s[10:11]
	s_cbranch_execnz .LBB121_703
	s_branch .LBB121_704
.LBB121_1142:
	ds_read_b64 v[27:28], v26 offset:10880
	ds_read_b64 v[29:30], v25 offset:10408
	s_waitcnt lgkmcnt(0)
	v_fma_f64 v[10:11], v[27:28], v[29:30], v[10:11]
	s_or_b64 exec, exec, s[16:17]
	v_cmp_gt_u32_e64 s[10:11], 8, v15
	s_and_saveexec_b64 s[16:17], s[10:11]
	s_cbranch_execz .LBB121_756
.LBB121_1143:
	ds_read_b64 v[26:27], v26 offset:11392
	ds_read_b64 v[28:29], v25 offset:10416
	s_waitcnt lgkmcnt(0)
	v_fma_f64 v[10:11], v[26:27], v[28:29], v[10:11]
	s_or_b64 exec, exec, s[16:17]
	v_cmp_gt_u32_e64 s[10:11], 4, v15
	s_and_saveexec_b64 s[16:17], s[10:11]
	s_cbranch_execnz .LBB121_757
	s_branch .LBB121_758
.LBB121_1144:
	ds_read_b64 v[27:28], v26 offset:13824
	ds_read_b64 v[29:30], v25 offset:8408
	s_waitcnt lgkmcnt(0)
	v_fma_f64 v[10:11], v[27:28], v[29:30], v[10:11]
	s_or_b64 exec, exec, s[16:17]
	s_and_saveexec_b64 s[10:11], s[14:15]
	s_cbranch_execz .LBB121_814
.LBB121_1145:
	ds_read_b64 v[27:28], v26 offset:14336
	ds_read_b64 v[29:30], v25 offset:8416
	s_waitcnt lgkmcnt(0)
	v_fma_f64 v[10:11], v[27:28], v[29:30], v[10:11]
	s_or_b64 exec, exec, s[10:11]
	v_cmp_gt_u32_e64 s[10:11], 48, v15
	s_and_saveexec_b64 s[16:17], s[10:11]
	s_cbranch_execz .LBB121_815
.LBB121_1146:
	ds_read_b64 v[27:28], v26 offset:14848
	ds_read_b64 v[29:30], v25 offset:8424
	s_waitcnt lgkmcnt(0)
	v_fma_f64 v[10:11], v[27:28], v[29:30], v[10:11]
	s_or_b64 exec, exec, s[16:17]
	v_cmp_gt_u32_e64 s[10:11], 32, v15
	s_and_saveexec_b64 s[16:17], s[10:11]
	s_cbranch_execz .LBB121_816
.LBB121_1147:
	ds_read_b64 v[26:27], v26 offset:15360
	ds_read_b64 v[28:29], v25 offset:8432
	s_waitcnt lgkmcnt(0)
	v_fma_f64 v[10:11], v[26:27], v[28:29], v[10:11]
	s_or_b64 exec, exec, s[16:17]
	v_cmp_gt_u32_e64 s[10:11], 16, v15
	s_and_saveexec_b64 s[16:17], s[10:11]
	s_cbranch_execnz .LBB121_817
	s_branch .LBB121_818
.LBB121_1148:
	ds_read_b64 v[24:25], v23 offset:6720
	ds_read_b64 v[26:27], v22 offset:6248
	s_waitcnt lgkmcnt(0)
	v_fma_f64 v[10:11], v[24:25], v[26:27], v[10:11]
	s_or_b64 exec, exec, s[12:13]
	v_cmp_gt_u32_e64 s[8:9], 8, v15
	s_and_saveexec_b64 s[12:13], s[8:9]
	s_cbranch_execz .LBB121_902
.LBB121_1149:
	ds_read_b64 v[23:24], v23 offset:7232
	ds_read_b64 v[25:26], v22 offset:6256
	s_waitcnt lgkmcnt(0)
	v_fma_f64 v[10:11], v[23:24], v[25:26], v[10:11]
	s_or_b64 exec, exec, s[12:13]
	v_cmp_gt_u32_e64 s[8:9], 4, v15
	s_and_saveexec_b64 s[12:13], s[8:9]
	s_cbranch_execnz .LBB121_903
	s_branch .LBB121_904
.LBB121_1150:
	ds_read_b64 v[24:25], v23 offset:4608
	ds_read_b64 v[26:27], v22 offset:4168
	s_waitcnt lgkmcnt(0)
	v_fma_f64 v[10:11], v[24:25], v[26:27], v[10:11]
	s_or_b64 exec, exec, s[12:13]
	v_cmp_gt_u32_e64 s[8:9], 48, v15
	s_and_saveexec_b64 s[12:13], s[8:9]
	s_cbranch_execz .LBB121_940
.LBB121_1151:
	ds_read_b64 v[24:25], v23 offset:5120
	ds_read_b64 v[26:27], v22 offset:4176
	s_waitcnt lgkmcnt(0)
	v_fma_f64 v[10:11], v[24:25], v[26:27], v[10:11]
	s_or_b64 exec, exec, s[12:13]
	v_cmp_gt_u32_e64 s[8:9], 40, v15
	s_and_saveexec_b64 s[12:13], s[8:9]
	s_cbranch_execz .LBB121_941
.LBB121_1152:
	ds_read_b64 v[24:25], v23 offset:5632
	ds_read_b64 v[26:27], v22 offset:4184
	s_waitcnt lgkmcnt(0)
	v_fma_f64 v[10:11], v[24:25], v[26:27], v[10:11]
	s_or_b64 exec, exec, s[12:13]
	v_cmp_gt_u32_e64 s[8:9], 32, v15
	s_and_saveexec_b64 s[12:13], s[8:9]
	s_cbranch_execz .LBB121_942
.LBB121_1153:
	ds_read_b64 v[24:25], v23 offset:6144
	ds_read_b64 v[26:27], v22 offset:4192
	s_waitcnt lgkmcnt(0)
	v_fma_f64 v[10:11], v[24:25], v[26:27], v[10:11]
	s_or_b64 exec, exec, s[12:13]
	v_cmp_gt_u32_e64 s[8:9], 24, v15
	s_and_saveexec_b64 s[12:13], s[8:9]
	s_cbranch_execz .LBB121_943
.LBB121_1154:
	ds_read_b64 v[24:25], v23 offset:6656
	ds_read_b64 v[26:27], v22 offset:4200
	s_waitcnt lgkmcnt(0)
	v_fma_f64 v[10:11], v[24:25], v[26:27], v[10:11]
	s_or_b64 exec, exec, s[12:13]
	s_and_saveexec_b64 s[8:9], s[2:3]
	s_cbranch_execz .LBB121_944
.LBB121_1155:
	ds_read_b64 v[23:24], v23 offset:7168
	ds_read_b64 v[25:26], v22 offset:4208
	s_waitcnt lgkmcnt(0)
	v_fma_f64 v[10:11], v[23:24], v[25:26], v[10:11]
	s_or_b64 exec, exec, s[8:9]
	v_cmp_gt_u32_e64 s[8:9], 8, v15
	s_and_saveexec_b64 s[12:13], s[8:9]
	s_cbranch_execnz .LBB121_945
	s_branch .LBB121_946
.LBB121_1156:
	ds_read_b64 v[21:22], v20 offset:2560
	ds_read_b64 v[23:24], v19 offset:2088
	s_waitcnt lgkmcnt(0)
	v_fma_f64 v[10:11], v[21:22], v[23:24], v[10:11]
	s_or_b64 exec, exec, s[12:13]
	v_cmp_gt_u32_e64 s[8:9], 8, v15
	s_and_saveexec_b64 s[12:13], s[8:9]
	s_cbranch_execz .LBB121_998
.LBB121_1157:
	ds_read_b64 v[20:21], v20 offset:3072
	ds_read_b64 v[22:23], v19 offset:2096
	s_waitcnt lgkmcnt(0)
	v_fma_f64 v[10:11], v[20:21], v[22:23], v[10:11]
	s_or_b64 exec, exec, s[12:13]
	v_cmp_gt_u32_e64 s[8:9], 4, v15
	s_and_saveexec_b64 s[12:13], s[8:9]
	s_cbranch_execnz .LBB121_999
	s_branch .LBB121_1000
	.section	.rodata,"a",@progbits
	.p2align	6, 0x0
	.amdhsa_kernel _ZL19rocblas_trsv_deviceILi64ELi16ELb0ELb0ELb0ELb1EdPKdPKS1_PKPdEviT7_lllT6_T8_lllPii
		.amdhsa_group_segment_fixed_size 41480
		.amdhsa_private_segment_fixed_size 0
		.amdhsa_kernarg_size 352
		.amdhsa_user_sgpr_count 6
		.amdhsa_user_sgpr_private_segment_buffer 1
		.amdhsa_user_sgpr_dispatch_ptr 0
		.amdhsa_user_sgpr_queue_ptr 0
		.amdhsa_user_sgpr_kernarg_segment_ptr 1
		.amdhsa_user_sgpr_dispatch_id 0
		.amdhsa_user_sgpr_flat_scratch_init 0
		.amdhsa_user_sgpr_private_segment_size 0
		.amdhsa_uses_dynamic_stack 0
		.amdhsa_system_sgpr_private_segment_wavefront_offset 0
		.amdhsa_system_sgpr_workgroup_id_x 1
		.amdhsa_system_sgpr_workgroup_id_y 0
		.amdhsa_system_sgpr_workgroup_id_z 1
		.amdhsa_system_sgpr_workgroup_info 0
		.amdhsa_system_vgpr_workitem_id 1
		.amdhsa_next_free_vgpr 49
		.amdhsa_next_free_sgpr 98
		.amdhsa_reserve_vcc 1
		.amdhsa_reserve_flat_scratch 0
		.amdhsa_float_round_mode_32 0
		.amdhsa_float_round_mode_16_64 0
		.amdhsa_float_denorm_mode_32 3
		.amdhsa_float_denorm_mode_16_64 3
		.amdhsa_dx10_clamp 1
		.amdhsa_ieee_mode 1
		.amdhsa_fp16_overflow 0
		.amdhsa_exception_fp_ieee_invalid_op 0
		.amdhsa_exception_fp_denorm_src 0
		.amdhsa_exception_fp_ieee_div_zero 0
		.amdhsa_exception_fp_ieee_overflow 0
		.amdhsa_exception_fp_ieee_underflow 0
		.amdhsa_exception_fp_ieee_inexact 0
		.amdhsa_exception_int_div_zero 0
	.end_amdhsa_kernel
	.section	.text._ZL19rocblas_trsv_deviceILi64ELi16ELb0ELb0ELb0ELb1EdPKdPKS1_PKPdEviT7_lllT6_T8_lllPii,"axG",@progbits,_ZL19rocblas_trsv_deviceILi64ELi16ELb0ELb0ELb0ELb1EdPKdPKS1_PKPdEviT7_lllT6_T8_lllPii,comdat
.Lfunc_end121:
	.size	_ZL19rocblas_trsv_deviceILi64ELi16ELb0ELb0ELb0ELb1EdPKdPKS1_PKPdEviT7_lllT6_T8_lllPii, .Lfunc_end121-_ZL19rocblas_trsv_deviceILi64ELi16ELb0ELb0ELb0ELb1EdPKdPKS1_PKPdEviT7_lllT6_T8_lllPii
                                        ; -- End function
	.set _ZL19rocblas_trsv_deviceILi64ELi16ELb0ELb0ELb0ELb1EdPKdPKS1_PKPdEviT7_lllT6_T8_lllPii.num_vgpr, 35
	.set _ZL19rocblas_trsv_deviceILi64ELi16ELb0ELb0ELb0ELb1EdPKdPKS1_PKPdEviT7_lllT6_T8_lllPii.num_agpr, 0
	.set _ZL19rocblas_trsv_deviceILi64ELi16ELb0ELb0ELb0ELb1EdPKdPKS1_PKPdEviT7_lllT6_T8_lllPii.numbered_sgpr, 96
	.set _ZL19rocblas_trsv_deviceILi64ELi16ELb0ELb0ELb0ELb1EdPKdPKS1_PKPdEviT7_lllT6_T8_lllPii.num_named_barrier, 0
	.set _ZL19rocblas_trsv_deviceILi64ELi16ELb0ELb0ELb0ELb1EdPKdPKS1_PKPdEviT7_lllT6_T8_lllPii.private_seg_size, 0
	.set _ZL19rocblas_trsv_deviceILi64ELi16ELb0ELb0ELb0ELb1EdPKdPKS1_PKPdEviT7_lllT6_T8_lllPii.uses_vcc, 1
	.set _ZL19rocblas_trsv_deviceILi64ELi16ELb0ELb0ELb0ELb1EdPKdPKS1_PKPdEviT7_lllT6_T8_lllPii.uses_flat_scratch, 0
	.set _ZL19rocblas_trsv_deviceILi64ELi16ELb0ELb0ELb0ELb1EdPKdPKS1_PKPdEviT7_lllT6_T8_lllPii.has_dyn_sized_stack, 0
	.set _ZL19rocblas_trsv_deviceILi64ELi16ELb0ELb0ELb0ELb1EdPKdPKS1_PKPdEviT7_lllT6_T8_lllPii.has_recursion, 0
	.set _ZL19rocblas_trsv_deviceILi64ELi16ELb0ELb0ELb0ELb1EdPKdPKS1_PKPdEviT7_lllT6_T8_lllPii.has_indirect_call, 0
	.section	.AMDGPU.csdata,"",@progbits
; Kernel info:
; codeLenInByte = 31760
; TotalNumSgprs: 100
; NumVgprs: 35
; ScratchSize: 0
; MemoryBound: 0
; FloatMode: 240
; IeeeMode: 1
; LDSByteSize: 41480 bytes/workgroup (compile time only)
; SGPRBlocks: 12
; VGPRBlocks: 12
; NumSGPRsForWavesPerEU: 102
; NumVGPRsForWavesPerEU: 49
; Occupancy: 4
; WaveLimiterHint : 1
; COMPUTE_PGM_RSRC2:SCRATCH_EN: 0
; COMPUTE_PGM_RSRC2:USER_SGPR: 6
; COMPUTE_PGM_RSRC2:TRAP_HANDLER: 0
; COMPUTE_PGM_RSRC2:TGID_X_EN: 1
; COMPUTE_PGM_RSRC2:TGID_Y_EN: 0
; COMPUTE_PGM_RSRC2:TGID_Z_EN: 1
; COMPUTE_PGM_RSRC2:TIDIG_COMP_CNT: 1
	.section	.text._ZL19rocblas_trsv_deviceILi64ELi16ELb0ELb1ELb0ELb1EdPKdPKS1_PKPdEviT7_lllT6_T8_lllPii,"axG",@progbits,_ZL19rocblas_trsv_deviceILi64ELi16ELb0ELb1ELb0ELb1EdPKdPKS1_PKPdEviT7_lllT6_T8_lllPii,comdat
	.globl	_ZL19rocblas_trsv_deviceILi64ELi16ELb0ELb1ELb0ELb1EdPKdPKS1_PKPdEviT7_lllT6_T8_lllPii ; -- Begin function _ZL19rocblas_trsv_deviceILi64ELi16ELb0ELb1ELb0ELb1EdPKdPKS1_PKPdEviT7_lllT6_T8_lllPii
	.p2align	8
	.type	_ZL19rocblas_trsv_deviceILi64ELi16ELb0ELb1ELb0ELb1EdPKdPKS1_PKPdEviT7_lllT6_T8_lllPii,@function
_ZL19rocblas_trsv_deviceILi64ELi16ELb0ELb1ELb0ELb1EdPKdPKS1_PKPdEviT7_lllT6_T8_lllPii: ; @_ZL19rocblas_trsv_deviceILi64ELi16ELb0ELb1ELb0ELb1EdPKdPKS1_PKPdEviT7_lllT6_T8_lllPii
; %bb.0:
	s_load_dwordx4 s[0:3], s[4:5], 0x8
	s_mov_b32 s28, s7
	s_mov_b32 s29, 0
	s_lshl_b64 s[8:9], s[28:29], 3
	s_waitcnt lgkmcnt(0)
	s_add_u32 s0, s0, s8
	s_addc_u32 s1, s1, s9
	s_load_dwordx2 s[10:11], s[0:1], 0x0
	s_load_dword s33, s[4:5], 0x0
	s_load_dwordx8 s[20:27], s[4:5], 0x28
	s_load_dwordx2 s[30:31], s[4:5], 0x18
	s_lshl_b64 s[0:1], s[2:3], 3
	s_waitcnt lgkmcnt(0)
	s_add_u32 s88, s10, s0
	s_addc_u32 s89, s11, s1
	s_add_u32 s0, s22, s8
	s_addc_u32 s1, s23, s9
	s_load_dwordx2 s[36:37], s[0:1], 0x0
	s_load_dwordx2 s[34:35], s[20:21], 0x0
	s_load_dword s16, s[4:5], 0x6c
	s_cmp_eq_u32 s6, 0
	s_cbranch_scc1 .LBB122_10
; %bb.1:
	s_lshl_b32 s2, s6, 6
	v_add_u32_e32 v4, s2, v0
	v_ashrrev_i32_e32 v2, 31, v4
	v_mul_lo_u32 v5, s30, v2
	v_mul_lo_u32 v6, s31, v4
	v_mad_u64_u32 v[2:3], s[0:1], s30, v4, 0
	v_add_u32_e32 v7, s2, v1
	v_subrev_u32_e32 v10, 64, v7
	v_add3_u32 v3, v3, v5, v6
	v_lshlrev_b64 v[2:3], 3, v[2:3]
	v_ashrrev_i32_e32 v11, 31, v10
	v_cmp_gt_i32_e32 vcc, s33, v4
	v_mov_b32_e32 v4, s89
	v_add_co_u32_e64 v5, s[0:1], s88, v2
	v_addc_co_u32_e64 v4, s[0:1], v4, v3, s[0:1]
	v_lshlrev_b64 v[2:3], 3, v[10:11]
	s_waitcnt lgkmcnt(0)
	v_add_co_u32_e64 v11, s[0:1], v5, v2
	v_addc_co_u32_e64 v12, s[0:1], v4, v3, s[0:1]
	v_cmp_gt_i32_e64 s[0:1], s33, v10
	v_mov_b32_e32 v2, 0
	v_mov_b32_e32 v4, 0
	v_mov_b32_e32 v3, 0
	v_mov_b32_e32 v5, 0
	s_and_b64 s[2:3], s[0:1], vcc
	s_barrier
	s_and_saveexec_b64 s[0:1], s[2:3]
	s_cbranch_execz .LBB122_3
; %bb.2:
	flat_load_dwordx2 v[4:5], v[11:12]
.LBB122_3:
	s_or_b64 exec, exec, s[0:1]
	v_add_u32_e32 v6, 16, v10
	v_cmp_gt_i32_e64 s[0:1], s33, v6
	s_and_b64 s[2:3], s[0:1], vcc
	s_waitcnt vmcnt(0) lgkmcnt(0)
	s_barrier
	s_and_saveexec_b64 s[0:1], s[2:3]
	s_cbranch_execz .LBB122_5
; %bb.4:
	flat_load_dwordx2 v[2:3], v[11:12] offset:128
.LBB122_5:
	s_or_b64 exec, exec, s[0:1]
	v_add_u32_e32 v6, 32, v10
	v_cmp_gt_i32_e64 s[0:1], s33, v6
	v_mov_b32_e32 v6, 0
	v_mov_b32_e32 v8, 0
	;; [unrolled: 1-line block ×4, first 2 shown]
	s_and_b64 s[2:3], s[0:1], vcc
	s_waitcnt vmcnt(0) lgkmcnt(0)
	s_barrier
	s_and_saveexec_b64 s[0:1], s[2:3]
	s_cbranch_execz .LBB122_7
; %bb.6:
	flat_load_dwordx2 v[8:9], v[11:12] offset:256
.LBB122_7:
	s_or_b64 exec, exec, s[0:1]
	v_add_u32_e32 v10, 48, v10
	v_cmp_gt_i32_e64 s[0:1], s33, v10
	s_and_b64 s[2:3], s[0:1], vcc
	s_waitcnt vmcnt(0) lgkmcnt(0)
	s_barrier
	s_and_saveexec_b64 s[0:1], s[2:3]
	s_cbranch_execz .LBB122_9
; %bb.8:
	flat_load_dwordx2 v[6:7], v[11:12] offset:384
.LBB122_9:
	s_or_b64 exec, exec, s[0:1]
	s_branch .LBB122_11
.LBB122_10:
                                        ; implicit-def: $vgpr6_vgpr7
                                        ; implicit-def: $vgpr8_vgpr9
                                        ; implicit-def: $vgpr2_vgpr3
                                        ; implicit-def: $vgpr4_vgpr5
.LBB122_11:
	s_ashr_i32 s0, s33, 31
	s_lshr_b32 s0, s0, 26
	s_add_i32 s0, s33, s0
	s_andn2_b32 s0, s0, 63
	s_sub_i32 s7, s33, s0
	s_add_i32 s0, s33, -1
	s_ashr_i32 s1, s0, 31
	s_lshr_b32 s1, s1, 26
	s_add_i32 s0, s0, s1
	s_ashr_i32 s0, s0, 6
	s_cmp_eq_u32 s0, s6
	s_cselect_b64 s[0:1], -1, 0
	s_cmp_lg_u32 s7, 0
	s_cselect_b64 s[2:3], -1, 0
	s_and_b64 s[22:23], s[2:3], s[0:1]
	s_cmp_lt_i32 s6, 5
	s_cselect_b64 s[2:3], -1, 0
	s_mov_b64 s[12:13], -1
	s_or_b64 s[0:1], s[2:3], s[22:23]
	v_lshlrev_b32_e32 v14, 6, v0
	s_and_b64 vcc, exec, s[22:23]
	v_cmp_le_u32_e64 s[8:9], v1, v0
	v_lshlrev_b32_e32 v18, 3, v0
	s_cbranch_vccnz .LBB122_33
; %bb.12:
	s_add_u32 s10, s30, 1
	s_addc_u32 s11, s31, 0
	s_lshl_b32 s12, s6, 6
	s_ashr_i32 s13, s12, 31
	s_mul_hi_u32 s14, s10, s12
	s_mul_i32 s13, s10, s13
	s_add_i32 s13, s14, s13
	s_mul_i32 s11, s11, s12
	s_add_i32 s11, s13, s11
	s_mul_i32 s10, s10, s12
	s_lshl_b64 s[10:11], s[10:11], 3
	s_add_u32 s10, s88, s10
	s_addc_u32 s11, s89, s11
	v_lshlrev_b32_e32 v10, 3, v0
	v_mov_b32_e32 v11, s11
	v_add_co_u32_e32 v10, vcc, s10, v10
	v_addc_co_u32_e32 v11, vcc, 0, v11, vcc
	s_mov_b64 s[10:11], 0
	s_and_saveexec_b64 s[12:13], s[8:9]
	s_xor_b64 s[8:9], exec, s[12:13]
; %bb.13:
	v_or_b32_e32 v12, v1, v0
	v_cmp_gt_u32_e32 vcc, 64, v12
	s_and_b64 s[10:11], vcc, exec
; %bb.14:
	s_or_saveexec_b64 s[8:9], s[8:9]
	v_mov_b32_e32 v12, 0
	v_mov_b32_e32 v13, 0
	s_xor_b64 exec, exec, s[8:9]
	s_cbranch_execz .LBB122_16
; %bb.15:
	v_mad_u64_u32 v[12:13], s[12:13], s30, v1, 0
	s_or_b64 s[10:11], s[10:11], exec
	v_mad_u64_u32 v[15:16], s[12:13], s31, v1, v[13:14]
	v_mov_b32_e32 v13, v15
	v_lshlrev_b64 v[12:13], 3, v[12:13]
	v_add_co_u32_e32 v12, vcc, v10, v12
	v_addc_co_u32_e32 v13, vcc, v11, v13, vcc
	flat_load_dwordx2 v[12:13], v[12:13]
	s_waitcnt vmcnt(0) lgkmcnt(0)
	v_xor_b32_e32 v13, 0x80000000, v13
.LBB122_16:
	s_or_b64 exec, exec, s[8:9]
	s_and_saveexec_b64 s[8:9], s[10:11]
; %bb.17:
	v_add_u32_e32 v15, v1, v14
	v_lshl_add_u32 v16, v1, 6, v0
	v_cndmask_b32_e64 v15, v16, v15, s[2:3]
	v_lshlrev_b32_e32 v15, 3, v15
	ds_write_b64 v15, v[12:13]
; %bb.18:
	s_or_b64 exec, exec, s[8:9]
	v_add_u32_e32 v15, 16, v1
	v_cmp_le_u32_e32 vcc, v15, v0
	s_mov_b64 s[2:3], 0
	s_and_saveexec_b64 s[8:9], vcc
	s_xor_b64 s[8:9], exec, s[8:9]
; %bb.19:
	v_or_b32_e32 v12, v15, v0
	v_cmp_gt_u32_e32 vcc, 64, v12
	s_and_b64 s[2:3], vcc, exec
; %bb.20:
	s_or_saveexec_b64 s[8:9], s[8:9]
	v_mov_b32_e32 v12, 0
	v_mov_b32_e32 v13, 0
	s_xor_b64 exec, exec, s[8:9]
	s_cbranch_execz .LBB122_22
; %bb.21:
	v_mad_u64_u32 v[12:13], s[10:11], s30, v15, 0
	s_or_b64 s[2:3], s[2:3], exec
	v_mad_u64_u32 v[16:17], s[10:11], s31, v15, v[13:14]
	v_mov_b32_e32 v13, v16
	v_lshlrev_b64 v[12:13], 3, v[12:13]
	v_add_co_u32_e32 v12, vcc, v10, v12
	v_addc_co_u32_e32 v13, vcc, v11, v13, vcc
	flat_load_dwordx2 v[12:13], v[12:13]
	s_waitcnt vmcnt(0) lgkmcnt(0)
	v_xor_b32_e32 v13, 0x80000000, v13
.LBB122_22:
	s_or_b64 exec, exec, s[8:9]
	s_and_saveexec_b64 s[8:9], s[2:3]
; %bb.23:
	v_add_u32_e32 v16, v15, v14
	v_lshl_add_u32 v15, v15, 6, v0
	v_cndmask_b32_e64 v15, v15, v16, s[0:1]
	v_lshlrev_b32_e32 v15, 3, v15
	ds_write_b64 v15, v[12:13]
; %bb.24:
	s_or_b64 exec, exec, s[8:9]
	v_add_u32_e32 v15, 32, v1
	v_cmp_le_u32_e32 vcc, v15, v0
	s_mov_b64 s[2:3], 0
	s_and_saveexec_b64 s[8:9], vcc
	s_xor_b64 s[8:9], exec, s[8:9]
; %bb.25:
	v_or_b32_e32 v12, v15, v0
	v_cmp_gt_u32_e32 vcc, 64, v12
	s_and_b64 s[2:3], vcc, exec
; %bb.26:
	s_or_saveexec_b64 s[8:9], s[8:9]
	v_mov_b32_e32 v12, 0
	v_mov_b32_e32 v13, 0
	s_xor_b64 exec, exec, s[8:9]
	s_cbranch_execz .LBB122_28
; %bb.27:
	v_mad_u64_u32 v[12:13], s[10:11], s30, v15, 0
	s_or_b64 s[2:3], s[2:3], exec
	v_mad_u64_u32 v[16:17], s[10:11], s31, v15, v[13:14]
	v_mov_b32_e32 v13, v16
	v_lshlrev_b64 v[12:13], 3, v[12:13]
	v_add_co_u32_e32 v12, vcc, v10, v12
	v_addc_co_u32_e32 v13, vcc, v11, v13, vcc
	flat_load_dwordx2 v[12:13], v[12:13]
	s_waitcnt vmcnt(0) lgkmcnt(0)
	v_xor_b32_e32 v13, 0x80000000, v13
.LBB122_28:
	s_or_b64 exec, exec, s[8:9]
	s_and_saveexec_b64 s[8:9], s[2:3]
; %bb.29:
	v_add_u32_e32 v16, v15, v14
	v_lshl_add_u32 v15, v15, 6, v0
	v_cndmask_b32_e64 v15, v15, v16, s[0:1]
	v_lshlrev_b32_e32 v15, 3, v15
	ds_write_b64 v15, v[12:13]
; %bb.30:
	s_or_b64 exec, exec, s[8:9]
	v_add_u32_e32 v15, 48, v1
	v_add_u32_e32 v12, v15, v14
	v_lshl_add_u32 v13, v15, 6, v0
	v_cmp_le_u32_e32 vcc, v15, v0
	s_mov_b64 s[2:3], -1
	s_mov_b64 s[12:13], 0
	s_mov_b64 s[10:11], 0
	s_and_saveexec_b64 s[8:9], vcc
	s_xor_b64 s[8:9], exec, s[8:9]
; %bb.31:
	v_or_b32_e32 v16, v15, v0
	v_cmp_gt_u32_e32 vcc, 64, v16
	s_and_b64 s[10:11], vcc, exec
	s_xor_b64 s[2:3], exec, -1
; %bb.32:
	s_or_b64 exec, exec, s[8:9]
	v_cndmask_b32_e64 v16, v13, v12, s[0:1]
	s_and_b64 vcc, exec, s[12:13]
	s_cbranch_vccnz .LBB122_34
	s_branch .LBB122_55
.LBB122_33:
	s_mov_b64 s[2:3], 0
	s_mov_b64 s[10:11], 0
                                        ; implicit-def: $vgpr16
                                        ; implicit-def: $vgpr10_vgpr11
                                        ; implicit-def: $vgpr15
	s_and_b64 vcc, exec, s[12:13]
	s_cbranch_vccz .LBB122_55
.LBB122_34:
	s_add_u32 s2, s30, 1
	s_addc_u32 s3, s31, 0
	s_lshl_b32 s8, s6, 6
	s_ashr_i32 s9, s8, 31
	s_mul_hi_u32 s12, s2, s8
	s_mul_i32 s9, s2, s9
	s_add_i32 s9, s12, s9
	s_mul_i32 s3, s3, s8
	s_add_i32 s3, s9, s3
	s_mul_i32 s2, s2, s8
	s_lshl_b64 s[2:3], s[2:3], 3
	s_add_u32 s2, s88, s2
	s_addc_u32 s3, s89, s3
	v_lshlrev_b32_e32 v10, 3, v0
	v_mov_b32_e32 v11, s3
	v_add_co_u32_e64 v10, s[2:3], s2, v10
	v_addc_co_u32_e64 v11, s[2:3], 0, v11, s[2:3]
	v_max_i32_e32 v12, v1, v0
	v_cmp_le_u32_e64 s[2:3], v1, v0
	v_cmp_le_i32_e64 s[8:9], s7, v12
	v_cmp_gt_i32_e32 vcc, s7, v0
	s_or_b64 s[2:3], s[8:9], s[2:3]
	s_mov_b64 s[8:9], 0
	s_and_saveexec_b64 s[12:13], s[2:3]
	s_xor_b64 s[12:13], exec, s[12:13]
; %bb.35:
	v_or_b32_e32 v12, v1, v0
	v_cmp_gt_u32_e64 s[2:3], 64, v12
	s_and_b64 s[8:9], s[2:3], exec
; %bb.36:
	s_or_saveexec_b64 s[12:13], s[12:13]
	v_mov_b32_e32 v12, 0
	v_mov_b32_e32 v13, 0
	s_xor_b64 exec, exec, s[12:13]
	s_cbranch_execz .LBB122_38
; %bb.37:
	v_mad_u64_u32 v[12:13], s[2:3], s30, v1, 0
	s_or_b64 s[8:9], s[8:9], exec
	v_mad_u64_u32 v[15:16], s[2:3], s31, v1, v[13:14]
	v_mov_b32_e32 v13, v15
	v_lshlrev_b64 v[12:13], 3, v[12:13]
	v_add_co_u32_e64 v12, s[2:3], v10, v12
	v_addc_co_u32_e64 v13, s[2:3], v11, v13, s[2:3]
	flat_load_dwordx2 v[12:13], v[12:13]
	s_waitcnt vmcnt(0) lgkmcnt(0)
	v_xor_b32_e32 v13, 0x80000000, v13
.LBB122_38:
	s_or_b64 exec, exec, s[12:13]
	s_and_saveexec_b64 s[2:3], s[8:9]
; %bb.39:
	v_lshlrev_b32_e32 v15, 3, v14
	v_lshl_add_u32 v15, v1, 3, v15
	ds_write_b64 v15, v[12:13]
; %bb.40:
	s_or_b64 exec, exec, s[2:3]
	v_add_u32_e32 v15, 16, v1
	v_cmp_gt_u32_e64 s[2:3], v15, v0
	v_cmp_gt_i32_e64 s[8:9], s7, v15
	s_and_b64 s[2:3], s[2:3], s[8:9]
	s_and_b64 s[2:3], s[2:3], vcc
	s_xor_b64 s[2:3], s[2:3], -1
	s_mov_b64 s[8:9], 0
	s_and_saveexec_b64 s[12:13], s[2:3]
	s_xor_b64 s[12:13], exec, s[12:13]
; %bb.41:
	v_or_b32_e32 v12, v15, v0
	v_cmp_gt_u32_e64 s[2:3], 64, v12
	s_and_b64 s[8:9], s[2:3], exec
; %bb.42:
	s_or_saveexec_b64 s[12:13], s[12:13]
	v_mov_b32_e32 v12, 0
	v_mov_b32_e32 v13, 0
	s_xor_b64 exec, exec, s[12:13]
	s_cbranch_execz .LBB122_44
; %bb.43:
	v_mad_u64_u32 v[12:13], s[2:3], s30, v15, 0
	s_or_b64 s[8:9], s[8:9], exec
	v_mad_u64_u32 v[16:17], s[2:3], s31, v15, v[13:14]
	v_mov_b32_e32 v13, v16
	v_lshlrev_b64 v[12:13], 3, v[12:13]
	v_add_co_u32_e64 v12, s[2:3], v10, v12
	v_addc_co_u32_e64 v13, s[2:3], v11, v13, s[2:3]
	flat_load_dwordx2 v[12:13], v[12:13]
	s_waitcnt vmcnt(0) lgkmcnt(0)
	v_xor_b32_e32 v13, 0x80000000, v13
.LBB122_44:
	s_or_b64 exec, exec, s[12:13]
	s_and_saveexec_b64 s[2:3], s[8:9]
; %bb.45:
	v_add_u32_e32 v16, v15, v14
	v_lshl_add_u32 v15, v15, 6, v0
	v_cndmask_b32_e64 v15, v15, v16, s[0:1]
	v_lshlrev_b32_e32 v15, 3, v15
	ds_write_b64 v15, v[12:13]
; %bb.46:
	s_or_b64 exec, exec, s[2:3]
	v_add_u32_e32 v15, 32, v1
	v_cmp_gt_u32_e64 s[2:3], v15, v0
	v_cmp_gt_i32_e64 s[8:9], s7, v15
	s_and_b64 s[2:3], s[2:3], s[8:9]
	s_and_b64 s[2:3], s[2:3], vcc
	s_xor_b64 s[2:3], s[2:3], -1
	s_mov_b64 s[8:9], 0
	s_and_saveexec_b64 s[12:13], s[2:3]
	s_xor_b64 s[12:13], exec, s[12:13]
; %bb.47:
	v_or_b32_e32 v12, v15, v0
	v_cmp_gt_u32_e64 s[2:3], 64, v12
	s_and_b64 s[8:9], s[2:3], exec
; %bb.48:
	s_or_saveexec_b64 s[12:13], s[12:13]
	v_mov_b32_e32 v12, 0
	v_mov_b32_e32 v13, 0
	s_xor_b64 exec, exec, s[12:13]
	s_cbranch_execz .LBB122_50
; %bb.49:
	v_mad_u64_u32 v[12:13], s[2:3], s30, v15, 0
	s_or_b64 s[8:9], s[8:9], exec
	v_mad_u64_u32 v[16:17], s[2:3], s31, v15, v[13:14]
	v_mov_b32_e32 v13, v16
	v_lshlrev_b64 v[12:13], 3, v[12:13]
	v_add_co_u32_e64 v12, s[2:3], v10, v12
	v_addc_co_u32_e64 v13, s[2:3], v11, v13, s[2:3]
	flat_load_dwordx2 v[12:13], v[12:13]
	s_waitcnt vmcnt(0) lgkmcnt(0)
	v_xor_b32_e32 v13, 0x80000000, v13
.LBB122_50:
	s_or_b64 exec, exec, s[12:13]
	s_and_saveexec_b64 s[2:3], s[8:9]
; %bb.51:
	v_add_u32_e32 v16, v15, v14
	v_lshl_add_u32 v15, v15, 6, v0
	v_cndmask_b32_e64 v15, v15, v16, s[0:1]
	v_lshlrev_b32_e32 v15, 3, v15
	ds_write_b64 v15, v[12:13]
; %bb.52:
	s_or_b64 exec, exec, s[2:3]
	v_add_u32_e32 v15, 48, v1
	v_cmp_gt_u32_e64 s[2:3], v15, v0
	v_cmp_gt_i32_e64 s[8:9], s7, v15
	s_and_b64 s[2:3], s[2:3], s[8:9]
	s_and_b64 s[8:9], s[2:3], vcc
	v_add_u32_e32 v12, v15, v14
	v_lshl_add_u32 v13, v15, 6, v0
	s_mov_b64 s[2:3], -1
	s_xor_b64 s[12:13], s[8:9], -1
	s_and_saveexec_b64 s[8:9], s[12:13]
; %bb.53:
	v_or_b32_e32 v14, v15, v0
	v_cmp_gt_u32_e32 vcc, 64, v14
	s_andn2_b64 s[2:3], s[10:11], exec
	s_and_b64 s[10:11], vcc, exec
	s_or_b64 s[10:11], s[2:3], s[10:11]
	s_xor_b64 s[2:3], exec, -1
; %bb.54:
	s_or_b64 exec, exec, s[8:9]
	v_cndmask_b32_e64 v16, v13, v12, s[0:1]
.LBB122_55:
	v_mov_b32_e32 v12, 0
	v_mov_b32_e32 v13, 0
	s_and_saveexec_b64 s[8:9], s[2:3]
	s_cbranch_execnz .LBB122_1139
; %bb.56:
	s_or_b64 exec, exec, s[8:9]
	s_xor_b64 s[0:1], s[0:1], -1
	s_and_saveexec_b64 s[2:3], s[10:11]
.LBB122_57:
	v_lshlrev_b32_e32 v10, 3, v16
	ds_write_b64 v10, v[12:13]
.LBB122_58:
	s_or_b64 exec, exec, s[2:3]
	v_cndmask_b32_e64 v10, 0, 1, s[0:1]
	v_cmp_ne_u32_e64 s[46:47], 1, v10
	s_andn2_b64 vcc, exec, s[0:1]
	s_waitcnt vmcnt(0) lgkmcnt(0)
	s_barrier
	s_cbranch_vccnz .LBB122_1096
; %bb.59:
	v_or_b32_e32 v10, v0, v1
	v_cmp_eq_u32_e32 vcc, 0, v10
	s_and_saveexec_b64 s[0:1], vcc
	s_cbranch_execz .LBB122_61
; %bb.60:
	v_mov_b32_e32 v10, 0
	ds_read_b64 v[12:13], v10 offset:32752
	v_mov_b32_e32 v11, 0x3ff00000
	ds_write_b64 v10, v[10:11] offset:32760
	s_waitcnt lgkmcnt(1)
	ds_write_b128 v10, v[10:13] offset:32240
.LBB122_61:
	s_or_b64 exec, exec, s[0:1]
	v_lshlrev_b32_e32 v10, 6, v1
	v_add_u32_e32 v15, v10, v0
	v_and_b32_e32 v11, v10, v0
	v_xor_b32_e32 v10, v10, v0
	v_lshrrev_b16_e32 v10, 1, v10
	v_add_u16_e32 v14, v11, v10
	v_mov_b32_e32 v10, 0
	v_and_b32_e32 v12, 1, v0
	v_sub_u32_e32 v13, 1, v14
	v_cmp_lt_u32_e64 s[8:9], 3, v15
	v_mov_b32_e32 v11, 0
	v_cmp_gt_u32_e64 s[2:3], 4, v15
	s_waitcnt lgkmcnt(0)
	s_barrier
	buffer_wbinvl1_vol
	s_and_saveexec_b64 s[0:1], s[2:3]
	s_cbranch_execz .LBB122_65
; %bb.62:
	v_lshlrev_b32_e32 v16, 9, v13
	v_lshlrev_b32_e32 v10, 3, v12
	ds_read_b64 v[10:11], v10 offset:32224
	ds_read_b64 v[16:17], v16 offset:32240
	v_cmp_gt_u32_e64 s[10:11], 2, v15
	s_waitcnt lgkmcnt(0)
	v_fma_f64 v[10:11], v[10:11], v[16:17], 0
	s_and_saveexec_b64 s[12:13], s[10:11]
	s_cbranch_execz .LBB122_64
; %bb.63:
	v_lshlrev_b32_e32 v16, 3, v0
	v_mov_b32_e32 v19, 0
	ds_read_b64 v[16:17], v16 offset:32736
	ds_read_b64 v[19:20], v19 offset:32760
	s_waitcnt lgkmcnt(0)
	v_fma_f64 v[10:11], v[16:17], v[19:20], v[10:11]
.LBB122_64:
	s_or_b64 exec, exec, s[12:13]
.LBB122_65:
	s_or_b64 exec, exec, s[0:1]
	v_mov_b32_e32 v16, 0x8000
	v_cmp_ne_u32_e64 s[10:11], 0, v12
	s_xor_b64 s[0:1], s[8:9], -1
	v_lshl_add_u32 v14, v14, 3, v16
	s_and_b64 s[40:41], s[10:11], s[0:1]
	s_and_saveexec_b64 s[8:9], s[40:41]
; %bb.66:
	v_xor_b32_e32 v17, 0x80000000, v11
	v_mov_b32_e32 v16, v10
	ds_write_b64 v14, v[16:17]
; %bb.67:
	s_or_b64 exec, exec, s[8:9]
	v_cmp_eq_u32_e64 s[8:9], 0, v12
	s_and_b64 s[38:39], s[8:9], s[0:1]
	s_waitcnt lgkmcnt(0)
	s_barrier
	s_and_saveexec_b64 s[0:1], s[38:39]
	s_cbranch_execz .LBB122_69
; %bb.68:
	v_mov_b32_e32 v16, 0
	ds_read_b64 v[16:17], v16 offset:31712
	ds_read_b64 v[19:20], v14
	s_waitcnt lgkmcnt(0)
	v_fma_f64 v[10:11], -v[16:17], v[19:20], v[10:11]
.LBB122_69:
	s_or_b64 exec, exec, s[0:1]
	s_barrier
	s_and_saveexec_b64 s[0:1], s[38:39]
; %bb.70:
	v_xor_b32_e32 v17, 0x80000000, v11
	v_mov_b32_e32 v16, v10
	ds_write_b64 v14, v[16:17]
; %bb.71:
	s_or_b64 exec, exec, s[0:1]
	s_waitcnt lgkmcnt(0)
	s_barrier
	s_barrier
	s_and_saveexec_b64 s[0:1], s[2:3]
; %bb.72:
	v_lshlrev_b32_e32 v16, 3, v12
	v_lshl_or_b32 v16, v13, 9, v16
	ds_write_b64 v16, v[10:11] offset:32224
; %bb.73:
	s_or_b64 exec, exec, s[0:1]
	v_cmp_eq_u32_e64 s[12:13], 0, v1
	v_cmp_gt_u32_e64 s[8:9], 2, v0
	s_and_b64 s[42:43], s[12:13], s[8:9]
	s_waitcnt lgkmcnt(0)
	s_barrier
	s_barrier
	s_and_saveexec_b64 s[0:1], s[42:43]
	s_cbranch_execz .LBB122_75
; %bb.74:
	v_lshlrev_b32_e32 v16, 3, v0
	s_movk_i32 s8, 0x1f8
	v_mad_u32_u24 v17, v0, s8, v16
	ds_read_b64 v[10:11], v17 offset:32224
	s_waitcnt lgkmcnt(0)
	ds_write_b64 v16, v[10:11] offset:31216
	ds_read_b64 v[10:11], v17 offset:32232
	s_waitcnt lgkmcnt(0)
	ds_write_b64 v16, v[10:11] offset:31728
.LBB122_75:
	s_or_b64 exec, exec, s[0:1]
	s_waitcnt lgkmcnt(0)
	s_barrier
	s_and_saveexec_b64 s[0:1], vcc
	s_cbranch_execz .LBB122_77
; %bb.76:
	v_mov_b32_e32 v19, 0
	ds_read_b64 v[21:22], v19 offset:31712
	v_mov_b32_e32 v20, 0x3ff00000
	ds_write_b64 v19, v[19:20] offset:31720
	s_waitcnt lgkmcnt(1)
	ds_write_b128 v19, v[19:22] offset:31200
.LBB122_77:
	s_or_b64 exec, exec, s[0:1]
	v_lshrrev_b32_e32 v19, 2, v15
	v_mov_b32_e32 v10, 0
	v_and_b32_e32 v16, 3, v0
	v_sub_u32_e32 v17, 3, v19
	v_cmp_lt_u32_e64 s[8:9], 15, v15
	v_mov_b32_e32 v11, 0
	v_cmp_gt_u32_e64 s[18:19], 16, v15
	s_waitcnt lgkmcnt(0)
	s_barrier
	buffer_wbinvl1_vol
	s_and_saveexec_b64 s[0:1], s[18:19]
	s_cbranch_execz .LBB122_83
; %bb.78:
	v_lshlrev_b32_e32 v21, 3, v16
	v_lshlrev_b32_e32 v20, 9, v17
	ds_read_b64 v[10:11], v21 offset:31168
	ds_read_b64 v[22:23], v20 offset:31200
	v_cmp_gt_u32_e64 s[10:11], 12, v15
	s_waitcnt lgkmcnt(0)
	v_fma_f64 v[10:11], v[10:11], v[22:23], 0
	s_and_saveexec_b64 s[14:15], s[10:11]
	s_cbranch_execnz .LBB122_1172
; %bb.79:
	s_or_b64 exec, exec, s[14:15]
	v_cmp_gt_u32_e64 s[10:11], 8, v15
	s_and_saveexec_b64 s[14:15], s[10:11]
	s_cbranch_execnz .LBB122_1173
.LBB122_80:
	s_or_b64 exec, exec, s[14:15]
	v_cmp_gt_u32_e64 s[10:11], 4, v15
	s_and_saveexec_b64 s[14:15], s[10:11]
	s_cbranch_execz .LBB122_82
.LBB122_81:
	v_lshlrev_b32_e32 v20, 3, v0
	v_mov_b32_e32 v22, 0
	ds_read_b64 v[20:21], v20 offset:32704
	ds_read_b64 v[22:23], v22 offset:32760
	s_waitcnt lgkmcnt(0)
	v_fma_f64 v[10:11], v[20:21], v[22:23], v[10:11]
.LBB122_82:
	s_or_b64 exec, exec, s[14:15]
.LBB122_83:
                                        ; implicit-def: $vgpr35 : SGPR spill to VGPR lane
	v_writelane_b32 v35, s46, 0
	v_writelane_b32 v35, s47, 1
	v_writelane_b32 v35, s34, 2
	v_writelane_b32 v35, s35, 3
	s_or_b64 exec, exec, s[0:1]
	v_mov_b32_e32 v20, 0x8000
	v_cmp_eq_u32_e64 s[10:11], 3, v16
	s_xor_b64 s[0:1], s[8:9], -1
	v_lshl_add_u32 v19, v19, 3, v20
	s_and_b64 s[46:47], s[10:11], s[0:1]
	s_and_saveexec_b64 s[8:9], s[46:47]
; %bb.84:
	v_xor_b32_e32 v21, 0x80000000, v11
	v_mov_b32_e32 v20, v10
	ds_write_b64 v19, v[20:21]
; %bb.85:
	s_or_b64 exec, exec, s[8:9]
	v_cmp_ne_u32_e64 s[8:9], 3, v16
	s_and_b64 s[48:49], s[8:9], s[0:1]
	s_waitcnt lgkmcnt(0)
	s_barrier
	s_and_saveexec_b64 s[8:9], s[48:49]
	s_cbranch_execz .LBB122_87
; %bb.86:
	v_lshlrev_b32_e32 v20, 3, v16
	ds_read_b64 v[20:21], v20 offset:30656
	ds_read_b64 v[22:23], v19
	s_waitcnt lgkmcnt(0)
	v_fma_f64 v[10:11], -v[20:21], v[22:23], v[10:11]
.LBB122_87:
	s_or_b64 exec, exec, s[8:9]
	v_cmp_eq_u32_e64 s[8:9], 2, v16
	s_and_b64 s[50:51], s[8:9], s[0:1]
	s_barrier
	s_and_saveexec_b64 s[8:9], s[50:51]
; %bb.88:
	v_xor_b32_e32 v21, 0x80000000, v11
	v_mov_b32_e32 v20, v10
	ds_write_b64 v19, v[20:21]
; %bb.89:
	s_or_b64 exec, exec, s[8:9]
	v_cmp_gt_u32_e64 s[8:9], 2, v16
	s_and_b64 s[52:53], s[8:9], s[0:1]
	s_waitcnt lgkmcnt(0)
	s_barrier
	s_and_saveexec_b64 s[8:9], s[52:53]
	s_cbranch_execz .LBB122_91
; %bb.90:
	v_lshlrev_b32_e32 v20, 3, v16
	ds_read_b64 v[20:21], v20 offset:30144
	ds_read_b64 v[22:23], v19
	s_waitcnt lgkmcnt(0)
	v_fma_f64 v[10:11], -v[20:21], v[22:23], v[10:11]
.LBB122_91:
	s_or_b64 exec, exec, s[8:9]
	v_cmp_eq_u32_e64 s[8:9], 1, v16
	s_and_b64 s[54:55], s[8:9], s[0:1]
	s_barrier
	s_and_saveexec_b64 s[8:9], s[54:55]
; %bb.92:
	v_xor_b32_e32 v21, 0x80000000, v11
	v_mov_b32_e32 v20, v10
	ds_write_b64 v19, v[20:21]
; %bb.93:
	s_or_b64 exec, exec, s[8:9]
	v_cmp_eq_u32_e64 s[8:9], 0, v16
	s_and_b64 s[44:45], s[8:9], s[0:1]
	s_waitcnt lgkmcnt(0)
	s_barrier
	s_and_saveexec_b64 s[0:1], s[44:45]
	s_cbranch_execz .LBB122_95
; %bb.94:
	v_mov_b32_e32 v20, 0
	ds_read_b64 v[20:21], v20 offset:29632
	ds_read_b64 v[22:23], v19
	s_waitcnt lgkmcnt(0)
	v_fma_f64 v[10:11], -v[20:21], v[22:23], v[10:11]
.LBB122_95:
	s_or_b64 exec, exec, s[0:1]
	s_barrier
	s_and_saveexec_b64 s[0:1], s[44:45]
; %bb.96:
	v_xor_b32_e32 v21, 0x80000000, v11
	v_mov_b32_e32 v20, v10
	ds_write_b64 v19, v[20:21]
; %bb.97:
	s_or_b64 exec, exec, s[0:1]
	s_waitcnt lgkmcnt(0)
	s_barrier
	s_barrier
	s_and_saveexec_b64 s[0:1], s[18:19]
; %bb.98:
	v_lshlrev_b32_e32 v20, 3, v16
	v_lshl_or_b32 v20, v17, 9, v20
	ds_write_b64 v20, v[10:11] offset:31168
; %bb.99:
	s_or_b64 exec, exec, s[0:1]
	v_cmp_gt_u32_e64 s[8:9], 4, v0
	s_and_b64 s[56:57], s[12:13], s[8:9]
	s_waitcnt lgkmcnt(0)
	s_barrier
	s_barrier
	s_and_saveexec_b64 s[0:1], s[56:57]
	s_cbranch_execz .LBB122_101
; %bb.100:
	v_lshlrev_b32_e32 v20, 9, v0
	ds_read_b64 v[10:11], v20 offset:31168
	s_movk_i32 s8, 0xfe08
	v_mad_i32_i24 v21, v0, s8, v20
	s_waitcnt lgkmcnt(0)
	ds_write_b64 v21, v[10:11] offset:29152
	ds_read_b64 v[10:11], v20 offset:31176
	s_waitcnt lgkmcnt(0)
	ds_write_b64 v21, v[10:11] offset:29664
	ds_read_b64 v[10:11], v20 offset:31184
	;; [unrolled: 3-line block ×3, first 2 shown]
	s_waitcnt lgkmcnt(0)
	ds_write_b64 v21, v[10:11] offset:30688
.LBB122_101:
	s_or_b64 exec, exec, s[0:1]
	s_waitcnt lgkmcnt(0)
	s_barrier
	s_and_saveexec_b64 s[0:1], vcc
	s_cbranch_execz .LBB122_103
; %bb.102:
	v_mov_b32_e32 v20, 0
	ds_read_b64 v[22:23], v20 offset:30672
	v_mov_b32_e32 v21, 0x3ff00000
	ds_write_b64 v20, v[20:21] offset:30680
	s_waitcnt lgkmcnt(1)
	ds_write_b128 v20, v[20:23] offset:30160
.LBB122_103:
	s_or_b64 exec, exec, s[0:1]
	v_mov_b32_e32 v10, 0
	v_mov_b32_e32 v11, 0
	s_waitcnt lgkmcnt(0)
	s_barrier
	buffer_wbinvl1_vol
	s_and_saveexec_b64 s[0:1], s[2:3]
	s_cbranch_execz .LBB122_107
; %bb.104:
	v_lshlrev_b32_e32 v20, 9, v13
	v_lshlrev_b32_e32 v10, 3, v12
	ds_read_b64 v[10:11], v10 offset:30144
	ds_read_b64 v[20:21], v20 offset:30160
	v_cmp_gt_u32_e64 s[8:9], 2, v15
	s_waitcnt lgkmcnt(0)
	v_fma_f64 v[10:11], v[10:11], v[20:21], 0
	s_and_saveexec_b64 s[10:11], s[8:9]
	s_cbranch_execz .LBB122_106
; %bb.105:
	v_lshlrev_b32_e32 v20, 3, v0
	v_mov_b32_e32 v22, 0
	ds_read_b64 v[20:21], v20 offset:30656
	ds_read_b64 v[22:23], v22 offset:30680
	s_waitcnt lgkmcnt(0)
	v_fma_f64 v[10:11], v[20:21], v[22:23], v[10:11]
.LBB122_106:
	s_or_b64 exec, exec, s[10:11]
.LBB122_107:
	s_or_b64 exec, exec, s[0:1]
	s_and_saveexec_b64 s[0:1], s[40:41]
; %bb.108:
	v_xor_b32_e32 v21, 0x80000000, v11
	v_mov_b32_e32 v20, v10
	ds_write_b64 v14, v[20:21]
; %bb.109:
	s_or_b64 exec, exec, s[0:1]
	s_waitcnt lgkmcnt(0)
	s_barrier
	s_and_saveexec_b64 s[0:1], s[38:39]
	s_cbranch_execz .LBB122_111
; %bb.110:
	v_mov_b32_e32 v20, 0
	ds_read_b64 v[20:21], v20 offset:29632
	ds_read_b64 v[22:23], v14
	s_waitcnt lgkmcnt(0)
	v_fma_f64 v[10:11], -v[20:21], v[22:23], v[10:11]
.LBB122_111:
	s_or_b64 exec, exec, s[0:1]
	s_barrier
	s_and_saveexec_b64 s[0:1], s[38:39]
; %bb.112:
	v_xor_b32_e32 v21, 0x80000000, v11
	v_mov_b32_e32 v20, v10
	ds_write_b64 v14, v[20:21]
; %bb.113:
	s_or_b64 exec, exec, s[0:1]
	s_waitcnt lgkmcnt(0)
	s_barrier
	s_barrier
	s_and_saveexec_b64 s[0:1], s[2:3]
; %bb.114:
	v_lshlrev_b32_e32 v20, 3, v12
	v_lshl_or_b32 v20, v13, 9, v20
	ds_write_b64 v20, v[10:11] offset:30144
; %bb.115:
	s_or_b64 exec, exec, s[0:1]
	s_waitcnt lgkmcnt(0)
	s_barrier
	s_barrier
	s_and_saveexec_b64 s[0:1], s[42:43]
	s_cbranch_execz .LBB122_117
; %bb.116:
	v_lshlrev_b32_e32 v20, 3, v0
	s_movk_i32 s8, 0x1f8
	v_mad_u32_u24 v21, v0, s8, v20
	ds_read_b64 v[10:11], v21 offset:30144
	s_waitcnt lgkmcnt(0)
	ds_write_b64 v20, v[10:11] offset:29136
	ds_read_b64 v[10:11], v21 offset:30152
	s_waitcnt lgkmcnt(0)
	ds_write_b64 v20, v[10:11] offset:29648
.LBB122_117:
	s_or_b64 exec, exec, s[0:1]
	s_waitcnt lgkmcnt(0)
	s_barrier
	s_and_saveexec_b64 s[0:1], vcc
	s_cbranch_execz .LBB122_119
; %bb.118:
	v_mov_b32_e32 v20, 0
	ds_read_b64 v[22:23], v20 offset:29632
	v_mov_b32_e32 v21, 0x3ff00000
	ds_write_b64 v20, v[20:21] offset:29640
	s_waitcnt lgkmcnt(1)
	ds_write_b128 v20, v[20:23] offset:29120
.LBB122_119:
	s_or_b64 exec, exec, s[0:1]
	v_lshrrev_b32_e32 v22, 3, v15
	v_mov_b32_e32 v10, 0
	v_and_b32_e32 v20, 7, v0
	v_sub_u32_e32 v21, 7, v22
	v_cmp_lt_u32_e64 s[10:11], 63, v15
	v_mov_b32_e32 v11, 0
	v_cmp_gt_u32_e64 s[8:9], 64, v15
	s_waitcnt lgkmcnt(0)
	s_barrier
	buffer_wbinvl1_vol
	s_and_saveexec_b64 s[0:1], s[8:9]
	s_cbranch_execz .LBB122_129
; %bb.120:
	v_lshlrev_b32_e32 v24, 3, v20
	v_lshlrev_b32_e32 v23, 9, v21
	ds_read_b64 v[10:11], v24 offset:29056
	ds_read_b64 v[25:26], v23 offset:29120
	v_cmp_gt_u32_e64 s[14:15], 56, v15
	s_waitcnt lgkmcnt(0)
	v_fma_f64 v[10:11], v[10:11], v[25:26], 0
	s_and_saveexec_b64 s[16:17], s[14:15]
	s_cbranch_execnz .LBB122_1174
; %bb.121:
	s_or_b64 exec, exec, s[16:17]
	v_cmp_gt_u32_e64 s[14:15], 48, v15
	s_and_saveexec_b64 s[16:17], s[14:15]
	s_cbranch_execnz .LBB122_1175
.LBB122_122:
	s_or_b64 exec, exec, s[16:17]
	v_cmp_gt_u32_e64 s[14:15], 40, v15
	s_and_saveexec_b64 s[16:17], s[14:15]
	s_cbranch_execnz .LBB122_1176
.LBB122_123:
	s_or_b64 exec, exec, s[16:17]
	v_cmp_gt_u32_e64 s[14:15], 32, v15
	s_and_saveexec_b64 s[16:17], s[14:15]
	s_cbranch_execnz .LBB122_1177
.LBB122_124:
	s_or_b64 exec, exec, s[16:17]
	v_cmp_gt_u32_e64 s[14:15], 24, v15
	s_and_saveexec_b64 s[16:17], s[14:15]
	s_cbranch_execnz .LBB122_1178
.LBB122_125:
	s_or_b64 exec, exec, s[16:17]
	s_and_saveexec_b64 s[14:15], s[18:19]
	s_cbranch_execnz .LBB122_1179
.LBB122_126:
	s_or_b64 exec, exec, s[14:15]
	v_cmp_gt_u32_e64 s[14:15], 8, v15
	s_and_saveexec_b64 s[16:17], s[14:15]
	s_cbranch_execz .LBB122_128
.LBB122_127:
	v_lshlrev_b32_e32 v23, 3, v0
	v_mov_b32_e32 v25, 0
	ds_read_b64 v[23:24], v23 offset:32640
	ds_read_b64 v[25:26], v25 offset:32760
	s_waitcnt lgkmcnt(0)
	v_fma_f64 v[10:11], v[23:24], v[25:26], v[10:11]
.LBB122_128:
	s_or_b64 exec, exec, s[16:17]
.LBB122_129:
	s_or_b64 exec, exec, s[0:1]
	v_mov_b32_e32 v23, 0x8000
	v_cmp_eq_u32_e64 s[14:15], 7, v20
	s_xor_b64 s[0:1], s[10:11], -1
	v_lshl_add_u32 v22, v22, 3, v23
	s_and_b64 s[58:59], s[14:15], s[0:1]
	s_and_saveexec_b64 s[10:11], s[58:59]
; %bb.130:
	v_xor_b32_e32 v24, 0x80000000, v11
	v_mov_b32_e32 v23, v10
	ds_write_b64 v22, v[23:24]
; %bb.131:
	s_or_b64 exec, exec, s[10:11]
	v_cmp_ne_u32_e64 s[10:11], 7, v20
	s_and_b64 s[60:61], s[10:11], s[0:1]
	s_waitcnt lgkmcnt(0)
	s_barrier
	s_and_saveexec_b64 s[10:11], s[60:61]
	s_cbranch_execz .LBB122_133
; %bb.132:
	v_lshlrev_b32_e32 v23, 3, v20
	ds_read_b64 v[23:24], v23 offset:28544
	ds_read_b64 v[25:26], v22
	s_waitcnt lgkmcnt(0)
	v_fma_f64 v[10:11], -v[23:24], v[25:26], v[10:11]
.LBB122_133:
	s_or_b64 exec, exec, s[10:11]
	v_cmp_eq_u32_e64 s[10:11], 6, v20
	s_and_b64 s[62:63], s[10:11], s[0:1]
	s_barrier
	s_and_saveexec_b64 s[10:11], s[62:63]
; %bb.134:
	v_xor_b32_e32 v24, 0x80000000, v11
	v_mov_b32_e32 v23, v10
	ds_write_b64 v22, v[23:24]
; %bb.135:
	s_or_b64 exec, exec, s[10:11]
	v_cmp_gt_u32_e64 s[10:11], 6, v20
	s_and_b64 s[64:65], s[10:11], s[0:1]
	s_waitcnt lgkmcnt(0)
	s_barrier
	s_and_saveexec_b64 s[10:11], s[64:65]
	s_cbranch_execz .LBB122_137
; %bb.136:
	v_lshlrev_b32_e32 v23, 3, v20
	ds_read_b64 v[23:24], v23 offset:28032
	ds_read_b64 v[25:26], v22
	s_waitcnt lgkmcnt(0)
	v_fma_f64 v[10:11], -v[23:24], v[25:26], v[10:11]
.LBB122_137:
	s_or_b64 exec, exec, s[10:11]
	v_cmp_eq_u32_e64 s[10:11], 5, v20
	s_and_b64 s[66:67], s[10:11], s[0:1]
	s_barrier
	s_and_saveexec_b64 s[10:11], s[66:67]
; %bb.138:
	v_xor_b32_e32 v24, 0x80000000, v11
	v_mov_b32_e32 v23, v10
	ds_write_b64 v22, v[23:24]
; %bb.139:
	s_or_b64 exec, exec, s[10:11]
	v_cmp_gt_u32_e64 s[10:11], 5, v20
	;; [unrolled: 24-line block ×5, first 2 shown]
	s_and_b64 s[82:83], s[10:11], s[0:1]
	s_waitcnt lgkmcnt(0)
	s_barrier
	s_and_saveexec_b64 s[10:11], s[82:83]
	s_cbranch_execz .LBB122_153
; %bb.152:
	v_lshlrev_b32_e32 v23, 3, v20
	ds_read_b64 v[23:24], v23 offset:25984
	ds_read_b64 v[25:26], v22
	s_waitcnt lgkmcnt(0)
	v_fma_f64 v[10:11], -v[23:24], v[25:26], v[10:11]
.LBB122_153:
	s_or_b64 exec, exec, s[10:11]
	v_cmp_eq_u32_e64 s[10:11], 1, v20
	s_and_b64 s[84:85], s[10:11], s[0:1]
	s_barrier
	s_and_saveexec_b64 s[10:11], s[84:85]
; %bb.154:
	v_xor_b32_e32 v24, 0x80000000, v11
	v_mov_b32_e32 v23, v10
	ds_write_b64 v22, v[23:24]
; %bb.155:
	s_or_b64 exec, exec, s[10:11]
	v_cmp_eq_u32_e64 s[10:11], 0, v20
	s_and_b64 s[68:69], s[10:11], s[0:1]
	s_waitcnt lgkmcnt(0)
	s_barrier
	s_and_saveexec_b64 s[0:1], s[68:69]
	s_cbranch_execz .LBB122_157
; %bb.156:
	v_mov_b32_e32 v23, 0
	ds_read_b64 v[23:24], v23 offset:25472
	ds_read_b64 v[25:26], v22
	s_waitcnt lgkmcnt(0)
	v_fma_f64 v[10:11], -v[23:24], v[25:26], v[10:11]
.LBB122_157:
	s_or_b64 exec, exec, s[0:1]
	s_barrier
	s_and_saveexec_b64 s[0:1], s[68:69]
; %bb.158:
	v_xor_b32_e32 v24, 0x80000000, v11
	v_mov_b32_e32 v23, v10
	ds_write_b64 v22, v[23:24]
; %bb.159:
	s_or_b64 exec, exec, s[0:1]
	s_waitcnt lgkmcnt(0)
	s_barrier
	s_barrier
	s_and_saveexec_b64 s[0:1], s[8:9]
; %bb.160:
	v_lshlrev_b32_e32 v23, 3, v20
	v_lshl_or_b32 v23, v21, 9, v23
	ds_write_b64 v23, v[10:11] offset:29056
; %bb.161:
	s_or_b64 exec, exec, s[0:1]
	v_cmp_gt_u32_e64 s[10:11], 8, v0
	s_and_b64 s[86:87], s[12:13], s[10:11]
	s_waitcnt lgkmcnt(0)
	s_barrier
	s_barrier
	s_and_saveexec_b64 s[0:1], s[86:87]
	s_cbranch_execz .LBB122_163
; %bb.162:
	v_lshlrev_b32_e32 v23, 9, v0
	ds_read_b64 v[10:11], v23 offset:29056
	s_movk_i32 s10, 0xfe08
	v_mad_i32_i24 v24, v0, s10, v23
	s_waitcnt lgkmcnt(0)
	ds_write_b64 v24, v[10:11] offset:25024
	ds_read_b64 v[10:11], v23 offset:29064
	s_waitcnt lgkmcnt(0)
	ds_write_b64 v24, v[10:11] offset:25536
	ds_read_b64 v[10:11], v23 offset:29072
	;; [unrolled: 3-line block ×7, first 2 shown]
	s_waitcnt lgkmcnt(0)
	ds_write_b64 v24, v[10:11] offset:28608
.LBB122_163:
	s_or_b64 exec, exec, s[0:1]
	s_waitcnt lgkmcnt(0)
	s_barrier
	s_and_saveexec_b64 s[0:1], vcc
	s_cbranch_execz .LBB122_165
; %bb.164:
	v_mov_b32_e32 v23, 0
	ds_read_b64 v[25:26], v23 offset:28592
	v_mov_b32_e32 v24, 0x3ff00000
	ds_write_b64 v23, v[23:24] offset:28600
	s_waitcnt lgkmcnt(1)
	ds_write_b128 v23, v[23:26] offset:28080
.LBB122_165:
	s_or_b64 exec, exec, s[0:1]
	v_mov_b32_e32 v10, 0
	v_mov_b32_e32 v11, 0
	s_waitcnt lgkmcnt(0)
	s_barrier
	buffer_wbinvl1_vol
	s_and_saveexec_b64 s[0:1], s[2:3]
	s_cbranch_execz .LBB122_169
; %bb.166:
	v_lshlrev_b32_e32 v23, 9, v13
	v_lshlrev_b32_e32 v10, 3, v12
	ds_read_b64 v[10:11], v10 offset:28064
	ds_read_b64 v[23:24], v23 offset:28080
	v_cmp_gt_u32_e64 s[10:11], 2, v15
	s_waitcnt lgkmcnt(0)
	v_fma_f64 v[10:11], v[10:11], v[23:24], 0
	s_and_saveexec_b64 s[14:15], s[10:11]
	s_cbranch_execz .LBB122_168
; %bb.167:
	v_lshlrev_b32_e32 v23, 3, v0
	v_mov_b32_e32 v25, 0
	ds_read_b64 v[23:24], v23 offset:28576
	ds_read_b64 v[25:26], v25 offset:28600
	s_waitcnt lgkmcnt(0)
	v_fma_f64 v[10:11], v[23:24], v[25:26], v[10:11]
.LBB122_168:
	s_or_b64 exec, exec, s[14:15]
.LBB122_169:
	s_or_b64 exec, exec, s[0:1]
	s_and_saveexec_b64 s[0:1], s[40:41]
; %bb.170:
	v_xor_b32_e32 v24, 0x80000000, v11
	v_mov_b32_e32 v23, v10
	ds_write_b64 v14, v[23:24]
; %bb.171:
	s_or_b64 exec, exec, s[0:1]
	s_waitcnt lgkmcnt(0)
	s_barrier
	s_and_saveexec_b64 s[0:1], s[38:39]
	s_cbranch_execz .LBB122_173
; %bb.172:
	v_mov_b32_e32 v23, 0
	ds_read_b64 v[23:24], v23 offset:27552
	ds_read_b64 v[25:26], v14
	s_waitcnt lgkmcnt(0)
	v_fma_f64 v[10:11], -v[23:24], v[25:26], v[10:11]
.LBB122_173:
	s_or_b64 exec, exec, s[0:1]
	s_barrier
	s_and_saveexec_b64 s[0:1], s[38:39]
; %bb.174:
	v_xor_b32_e32 v24, 0x80000000, v11
	v_mov_b32_e32 v23, v10
	ds_write_b64 v14, v[23:24]
; %bb.175:
	s_or_b64 exec, exec, s[0:1]
	s_waitcnt lgkmcnt(0)
	s_barrier
	s_barrier
	s_and_saveexec_b64 s[0:1], s[2:3]
; %bb.176:
	v_lshlrev_b32_e32 v23, 3, v12
	v_lshl_or_b32 v23, v13, 9, v23
	ds_write_b64 v23, v[10:11] offset:28064
; %bb.177:
	s_or_b64 exec, exec, s[0:1]
	s_waitcnt lgkmcnt(0)
	s_barrier
	s_barrier
	s_and_saveexec_b64 s[0:1], s[42:43]
	s_cbranch_execz .LBB122_179
; %bb.178:
	v_lshlrev_b32_e32 v23, 3, v0
	s_movk_i32 s10, 0x1f8
	v_mad_u32_u24 v24, v0, s10, v23
	ds_read_b64 v[10:11], v24 offset:28064
	s_waitcnt lgkmcnt(0)
	ds_write_b64 v23, v[10:11] offset:27056
	ds_read_b64 v[10:11], v24 offset:28072
	s_waitcnt lgkmcnt(0)
	ds_write_b64 v23, v[10:11] offset:27568
.LBB122_179:
	s_or_b64 exec, exec, s[0:1]
	s_waitcnt lgkmcnt(0)
	s_barrier
	s_and_saveexec_b64 s[0:1], vcc
	s_cbranch_execz .LBB122_181
; %bb.180:
	v_mov_b32_e32 v23, 0
	ds_read_b64 v[25:26], v23 offset:27552
	v_mov_b32_e32 v24, 0x3ff00000
	ds_write_b64 v23, v[23:24] offset:27560
	s_waitcnt lgkmcnt(1)
	ds_write_b128 v23, v[23:26] offset:27040
.LBB122_181:
	s_or_b64 exec, exec, s[0:1]
	v_mov_b32_e32 v10, 0
	v_mov_b32_e32 v11, 0
	s_waitcnt lgkmcnt(0)
	s_barrier
	buffer_wbinvl1_vol
	s_and_saveexec_b64 s[0:1], s[18:19]
	s_cbranch_execz .LBB122_187
; %bb.182:
	v_lshlrev_b32_e32 v24, 3, v16
	v_lshlrev_b32_e32 v23, 9, v17
	ds_read_b64 v[10:11], v24 offset:27008
	ds_read_b64 v[25:26], v23 offset:27040
	v_cmp_gt_u32_e64 s[10:11], 12, v15
	s_waitcnt lgkmcnt(0)
	v_fma_f64 v[10:11], v[10:11], v[25:26], 0
	s_and_saveexec_b64 s[14:15], s[10:11]
	s_cbranch_execnz .LBB122_1180
; %bb.183:
	s_or_b64 exec, exec, s[14:15]
	v_cmp_gt_u32_e64 s[10:11], 8, v15
	s_and_saveexec_b64 s[14:15], s[10:11]
	s_cbranch_execnz .LBB122_1181
.LBB122_184:
	s_or_b64 exec, exec, s[14:15]
	v_cmp_gt_u32_e64 s[10:11], 4, v15
	s_and_saveexec_b64 s[14:15], s[10:11]
	s_cbranch_execz .LBB122_186
.LBB122_185:
	v_lshlrev_b32_e32 v23, 3, v0
	v_mov_b32_e32 v25, 0
	ds_read_b64 v[23:24], v23 offset:28544
	ds_read_b64 v[25:26], v25 offset:28600
	s_waitcnt lgkmcnt(0)
	v_fma_f64 v[10:11], v[23:24], v[25:26], v[10:11]
.LBB122_186:
	s_or_b64 exec, exec, s[14:15]
.LBB122_187:
	s_or_b64 exec, exec, s[0:1]
	s_and_saveexec_b64 s[0:1], s[46:47]
; %bb.188:
	v_xor_b32_e32 v24, 0x80000000, v11
	v_mov_b32_e32 v23, v10
	ds_write_b64 v19, v[23:24]
; %bb.189:
	s_or_b64 exec, exec, s[0:1]
	s_waitcnt lgkmcnt(0)
	s_barrier
	s_and_saveexec_b64 s[0:1], s[48:49]
	s_cbranch_execz .LBB122_191
; %bb.190:
	v_lshlrev_b32_e32 v23, 3, v16
	ds_read_b64 v[23:24], v23 offset:26496
	ds_read_b64 v[25:26], v19
	s_waitcnt lgkmcnt(0)
	v_fma_f64 v[10:11], -v[23:24], v[25:26], v[10:11]
.LBB122_191:
	s_or_b64 exec, exec, s[0:1]
	s_barrier
	s_and_saveexec_b64 s[0:1], s[50:51]
; %bb.192:
	v_xor_b32_e32 v24, 0x80000000, v11
	v_mov_b32_e32 v23, v10
	ds_write_b64 v19, v[23:24]
; %bb.193:
	s_or_b64 exec, exec, s[0:1]
	s_waitcnt lgkmcnt(0)
	s_barrier
	s_and_saveexec_b64 s[0:1], s[52:53]
	s_cbranch_execz .LBB122_195
; %bb.194:
	v_lshlrev_b32_e32 v23, 3, v16
	ds_read_b64 v[23:24], v23 offset:25984
	ds_read_b64 v[25:26], v19
	s_waitcnt lgkmcnt(0)
	v_fma_f64 v[10:11], -v[23:24], v[25:26], v[10:11]
.LBB122_195:
	s_or_b64 exec, exec, s[0:1]
	s_barrier
	s_and_saveexec_b64 s[0:1], s[54:55]
; %bb.196:
	v_xor_b32_e32 v24, 0x80000000, v11
	v_mov_b32_e32 v23, v10
	ds_write_b64 v19, v[23:24]
; %bb.197:
	s_or_b64 exec, exec, s[0:1]
	s_waitcnt lgkmcnt(0)
	s_barrier
	s_and_saveexec_b64 s[0:1], s[44:45]
	s_cbranch_execz .LBB122_199
; %bb.198:
	v_mov_b32_e32 v23, 0
	ds_read_b64 v[23:24], v23 offset:25472
	ds_read_b64 v[25:26], v19
	s_waitcnt lgkmcnt(0)
	v_fma_f64 v[10:11], -v[23:24], v[25:26], v[10:11]
.LBB122_199:
	s_or_b64 exec, exec, s[0:1]
	s_barrier
	s_and_saveexec_b64 s[0:1], s[44:45]
; %bb.200:
	v_xor_b32_e32 v24, 0x80000000, v11
	v_mov_b32_e32 v23, v10
	ds_write_b64 v19, v[23:24]
; %bb.201:
	s_or_b64 exec, exec, s[0:1]
	s_waitcnt lgkmcnt(0)
	s_barrier
	s_barrier
	s_and_saveexec_b64 s[0:1], s[18:19]
; %bb.202:
	v_lshlrev_b32_e32 v23, 3, v16
	v_lshl_or_b32 v23, v17, 9, v23
	ds_write_b64 v23, v[10:11] offset:27008
; %bb.203:
	s_or_b64 exec, exec, s[0:1]
	s_waitcnt lgkmcnt(0)
	s_barrier
	s_barrier
	s_and_saveexec_b64 s[0:1], s[56:57]
	s_cbranch_execz .LBB122_205
; %bb.204:
	v_lshlrev_b32_e32 v23, 9, v0
	ds_read_b64 v[10:11], v23 offset:27008
	s_movk_i32 s10, 0xfe08
	v_mad_i32_i24 v24, v0, s10, v23
	s_waitcnt lgkmcnt(0)
	ds_write_b64 v24, v[10:11] offset:24992
	ds_read_b64 v[10:11], v23 offset:27016
	s_waitcnt lgkmcnt(0)
	ds_write_b64 v24, v[10:11] offset:25504
	ds_read_b64 v[10:11], v23 offset:27024
	s_waitcnt lgkmcnt(0)
	ds_write_b64 v24, v[10:11] offset:26016
	ds_read_b64 v[10:11], v23 offset:27032
	s_waitcnt lgkmcnt(0)
	ds_write_b64 v24, v[10:11] offset:26528
.LBB122_205:
	s_or_b64 exec, exec, s[0:1]
	s_waitcnt lgkmcnt(0)
	s_barrier
	s_and_saveexec_b64 s[0:1], vcc
	s_cbranch_execz .LBB122_207
; %bb.206:
	v_mov_b32_e32 v23, 0
	ds_read_b64 v[25:26], v23 offset:26512
	v_mov_b32_e32 v24, 0x3ff00000
	ds_write_b64 v23, v[23:24] offset:26520
	s_waitcnt lgkmcnt(1)
	ds_write_b128 v23, v[23:26] offset:26000
.LBB122_207:
	s_or_b64 exec, exec, s[0:1]
	v_mov_b32_e32 v10, 0
	v_mov_b32_e32 v11, 0
	s_waitcnt lgkmcnt(0)
	s_barrier
	buffer_wbinvl1_vol
	s_and_saveexec_b64 s[0:1], s[2:3]
	s_cbranch_execz .LBB122_211
; %bb.208:
	v_lshlrev_b32_e32 v23, 9, v13
	v_lshlrev_b32_e32 v10, 3, v12
	ds_read_b64 v[10:11], v10 offset:25984
	ds_read_b64 v[23:24], v23 offset:26000
	v_cmp_gt_u32_e64 s[10:11], 2, v15
	s_waitcnt lgkmcnt(0)
	v_fma_f64 v[10:11], v[10:11], v[23:24], 0
	s_and_saveexec_b64 s[14:15], s[10:11]
	s_cbranch_execz .LBB122_210
; %bb.209:
	v_lshlrev_b32_e32 v23, 3, v0
	v_mov_b32_e32 v25, 0
	ds_read_b64 v[23:24], v23 offset:26496
	ds_read_b64 v[25:26], v25 offset:26520
	s_waitcnt lgkmcnt(0)
	v_fma_f64 v[10:11], v[23:24], v[25:26], v[10:11]
.LBB122_210:
	s_or_b64 exec, exec, s[14:15]
.LBB122_211:
	s_or_b64 exec, exec, s[0:1]
	s_and_saveexec_b64 s[0:1], s[40:41]
; %bb.212:
	v_xor_b32_e32 v24, 0x80000000, v11
	v_mov_b32_e32 v23, v10
	ds_write_b64 v14, v[23:24]
; %bb.213:
	s_or_b64 exec, exec, s[0:1]
	s_waitcnt lgkmcnt(0)
	s_barrier
	s_and_saveexec_b64 s[0:1], s[38:39]
	s_cbranch_execz .LBB122_215
; %bb.214:
	v_mov_b32_e32 v23, 0
	ds_read_b64 v[23:24], v23 offset:25472
	ds_read_b64 v[25:26], v14
	s_waitcnt lgkmcnt(0)
	v_fma_f64 v[10:11], -v[23:24], v[25:26], v[10:11]
.LBB122_215:
	s_or_b64 exec, exec, s[0:1]
	s_barrier
	s_and_saveexec_b64 s[0:1], s[38:39]
; %bb.216:
	v_xor_b32_e32 v24, 0x80000000, v11
	v_mov_b32_e32 v23, v10
	ds_write_b64 v14, v[23:24]
; %bb.217:
	s_or_b64 exec, exec, s[0:1]
	s_waitcnt lgkmcnt(0)
	s_barrier
	s_barrier
	s_and_saveexec_b64 s[0:1], s[2:3]
; %bb.218:
	v_lshlrev_b32_e32 v23, 3, v12
	v_lshl_or_b32 v23, v13, 9, v23
	ds_write_b64 v23, v[10:11] offset:25984
; %bb.219:
	s_or_b64 exec, exec, s[0:1]
	s_waitcnt lgkmcnt(0)
	s_barrier
	s_barrier
	s_and_saveexec_b64 s[0:1], s[42:43]
	s_cbranch_execz .LBB122_221
; %bb.220:
	v_lshlrev_b32_e32 v23, 3, v0
	s_movk_i32 s10, 0x1f8
	v_mad_u32_u24 v24, v0, s10, v23
	ds_read_b64 v[10:11], v24 offset:25984
	s_waitcnt lgkmcnt(0)
	ds_write_b64 v23, v[10:11] offset:24976
	ds_read_b64 v[10:11], v24 offset:25992
	s_waitcnt lgkmcnt(0)
	ds_write_b64 v23, v[10:11] offset:25488
.LBB122_221:
	s_or_b64 exec, exec, s[0:1]
	s_waitcnt lgkmcnt(0)
	s_barrier
	s_and_saveexec_b64 s[0:1], vcc
	s_cbranch_execz .LBB122_223
; %bb.222:
	v_mov_b32_e32 v23, 0
	ds_read_b64 v[25:26], v23 offset:25472
	v_mov_b32_e32 v24, 0x3ff00000
	ds_write_b64 v23, v[23:24] offset:25480
	s_waitcnt lgkmcnt(1)
	ds_write_b128 v23, v[23:26] offset:24960
.LBB122_223:
	s_or_b64 exec, exec, s[0:1]
	s_movk_i32 s0, 0xff
	v_lshrrev_b32_e32 v25, 4, v15
	v_cmp_lt_u32_e64 s[14:15], s0, v15
	s_movk_i32 s0, 0x100
	v_mov_b32_e32 v10, 0
	v_and_b32_e32 v23, 15, v0
	v_sub_u32_e32 v24, 15, v25
	v_mov_b32_e32 v11, 0
	v_cmp_gt_u32_e64 s[10:11], s0, v15
	s_waitcnt lgkmcnt(0)
	s_barrier
	buffer_wbinvl1_vol
	s_and_saveexec_b64 s[0:1], s[10:11]
	s_cbranch_execz .LBB122_251
; %bb.224:
	v_lshlrev_b32_e32 v27, 3, v23
	v_lshlrev_b32_e32 v26, 9, v24
	ds_read_b64 v[10:11], v27 offset:24832
	ds_read_b64 v[28:29], v26 offset:24960
	s_movk_i32 s16, 0xf0
	v_cmp_gt_u32_e64 s[16:17], s16, v15
	s_waitcnt lgkmcnt(0)
	v_fma_f64 v[10:11], v[10:11], v[28:29], 0
	s_and_saveexec_b64 s[20:21], s[16:17]
	s_cbranch_execz .LBB122_226
; %bb.225:
	ds_read_b64 v[28:29], v27 offset:25344
	ds_read_b64 v[30:31], v26 offset:24968
	s_waitcnt lgkmcnt(0)
	v_fma_f64 v[10:11], v[28:29], v[30:31], v[10:11]
.LBB122_226:
	s_or_b64 exec, exec, s[20:21]
	s_movk_i32 s16, 0xe0
	v_cmp_gt_u32_e64 s[16:17], s16, v15
	s_and_saveexec_b64 s[20:21], s[16:17]
	s_cbranch_execz .LBB122_228
; %bb.227:
	ds_read_b64 v[28:29], v27 offset:25856
	ds_read_b64 v[30:31], v26 offset:24976
	s_waitcnt lgkmcnt(0)
	v_fma_f64 v[10:11], v[28:29], v[30:31], v[10:11]
.LBB122_228:
	s_or_b64 exec, exec, s[20:21]
	s_movk_i32 s16, 0xd0
	v_cmp_gt_u32_e64 s[16:17], s16, v15
	;; [unrolled: 11-line block ×10, first 2 shown]
	s_and_saveexec_b64 s[20:21], s[16:17]
	s_cbranch_execnz .LBB122_1182
; %bb.245:
	s_or_b64 exec, exec, s[20:21]
	s_and_saveexec_b64 s[16:17], s[8:9]
	s_cbranch_execnz .LBB122_1183
.LBB122_246:
	s_or_b64 exec, exec, s[16:17]
	v_cmp_gt_u32_e64 s[16:17], 48, v15
	s_and_saveexec_b64 s[20:21], s[16:17]
	s_cbranch_execnz .LBB122_1184
.LBB122_247:
	s_or_b64 exec, exec, s[20:21]
	v_cmp_gt_u32_e64 s[16:17], 32, v15
	s_and_saveexec_b64 s[20:21], s[16:17]
	s_cbranch_execnz .LBB122_1185
.LBB122_248:
	s_or_b64 exec, exec, s[20:21]
	v_cmp_gt_u32_e64 s[16:17], 16, v15
	s_and_saveexec_b64 s[20:21], s[16:17]
	s_cbranch_execz .LBB122_250
.LBB122_249:
	v_lshlrev_b32_e32 v26, 3, v0
	v_mov_b32_e32 v28, 0
	ds_read_b64 v[26:27], v26 offset:32512
	ds_read_b64 v[28:29], v28 offset:32760
	s_waitcnt lgkmcnt(0)
	v_fma_f64 v[10:11], v[26:27], v[28:29], v[10:11]
.LBB122_250:
	s_or_b64 exec, exec, s[20:21]
.LBB122_251:
	s_or_b64 exec, exec, s[0:1]
	v_mov_b32_e32 v26, 0x8000
	v_lshl_add_u32 v25, v25, 3, v26
	v_cmp_eq_u32_e64 s[16:17], 15, v23
	s_xor_b64 s[20:21], s[14:15], -1
	s_and_b64 s[14:15], s[16:17], s[20:21]
	s_mov_b64 s[0:1], exec
	v_writelane_b32 v35, s14, 4
	v_writelane_b32 v35, s15, 5
	s_and_b64 s[14:15], s[0:1], s[14:15]
	s_mov_b64 exec, s[14:15]
; %bb.252:
	v_xor_b32_e32 v27, 0x80000000, v11
	v_mov_b32_e32 v26, v10
	ds_write_b64 v25, v[26:27]
; %bb.253:
	s_or_b64 exec, exec, s[0:1]
	v_cmp_ne_u32_e64 s[14:15], 15, v23
	s_waitcnt lgkmcnt(0)
	s_barrier
	s_and_b64 s[14:15], s[14:15], s[20:21]
	s_mov_b64 s[0:1], exec
	v_writelane_b32 v35, s14, 6
	v_writelane_b32 v35, s15, 7
	s_and_b64 s[14:15], s[0:1], s[14:15]
	s_mov_b64 exec, s[14:15]
	s_cbranch_execz .LBB122_255
; %bb.254:
	v_lshlrev_b32_e32 v26, 3, v23
	ds_read_b64 v[26:27], v26 offset:24320
	ds_read_b64 v[28:29], v25
	s_waitcnt lgkmcnt(0)
	v_fma_f64 v[10:11], -v[26:27], v[28:29], v[10:11]
.LBB122_255:
	s_or_b64 exec, exec, s[0:1]
	v_cmp_eq_u32_e64 s[14:15], 14, v23
	s_barrier
	s_and_b64 s[14:15], s[14:15], s[20:21]
	s_mov_b64 s[0:1], exec
	v_writelane_b32 v35, s14, 8
	v_writelane_b32 v35, s15, 9
	s_and_b64 s[14:15], s[0:1], s[14:15]
	s_mov_b64 exec, s[14:15]
; %bb.256:
	v_xor_b32_e32 v27, 0x80000000, v11
	v_mov_b32_e32 v26, v10
	ds_write_b64 v25, v[26:27]
; %bb.257:
	s_or_b64 exec, exec, s[0:1]
	v_cmp_gt_u32_e64 s[14:15], 14, v23
	s_waitcnt lgkmcnt(0)
	s_barrier
	s_and_b64 s[14:15], s[14:15], s[20:21]
	s_mov_b64 s[0:1], exec
	v_writelane_b32 v35, s14, 10
	v_writelane_b32 v35, s15, 11
	s_and_b64 s[14:15], s[0:1], s[14:15]
	s_mov_b64 exec, s[14:15]
	s_cbranch_execz .LBB122_259
; %bb.258:
	v_lshlrev_b32_e32 v26, 3, v23
	ds_read_b64 v[26:27], v26 offset:23808
	ds_read_b64 v[28:29], v25
	s_waitcnt lgkmcnt(0)
	v_fma_f64 v[10:11], -v[26:27], v[28:29], v[10:11]
.LBB122_259:
	s_or_b64 exec, exec, s[0:1]
	v_cmp_eq_u32_e64 s[14:15], 13, v23
	s_barrier
	s_and_b64 s[14:15], s[14:15], s[20:21]
	s_mov_b64 s[0:1], exec
	v_writelane_b32 v35, s14, 12
	v_writelane_b32 v35, s15, 13
	s_and_b64 s[14:15], s[0:1], s[14:15]
	s_mov_b64 exec, s[14:15]
; %bb.260:
	v_xor_b32_e32 v27, 0x80000000, v11
	v_mov_b32_e32 v26, v10
	ds_write_b64 v25, v[26:27]
; %bb.261:
	s_or_b64 exec, exec, s[0:1]
	v_cmp_gt_u32_e64 s[14:15], 13, v23
	s_waitcnt lgkmcnt(0)
	s_barrier
	s_and_b64 s[14:15], s[14:15], s[20:21]
	s_mov_b64 s[0:1], exec
	v_writelane_b32 v35, s14, 14
	v_writelane_b32 v35, s15, 15
	s_and_b64 s[14:15], s[0:1], s[14:15]
	s_mov_b64 exec, s[14:15]
	s_cbranch_execz .LBB122_263
; %bb.262:
	v_lshlrev_b32_e32 v26, 3, v23
	ds_read_b64 v[26:27], v26 offset:23296
	ds_read_b64 v[28:29], v25
	s_waitcnt lgkmcnt(0)
	v_fma_f64 v[10:11], -v[26:27], v[28:29], v[10:11]
.LBB122_263:
	s_or_b64 exec, exec, s[0:1]
	v_cmp_eq_u32_e64 s[14:15], 12, v23
	s_barrier
	s_and_b64 s[14:15], s[14:15], s[20:21]
	s_mov_b64 s[0:1], exec
	v_writelane_b32 v35, s14, 16
	v_writelane_b32 v35, s15, 17
	s_and_b64 s[14:15], s[0:1], s[14:15]
	s_mov_b64 exec, s[14:15]
; %bb.264:
	v_xor_b32_e32 v27, 0x80000000, v11
	v_mov_b32_e32 v26, v10
	ds_write_b64 v25, v[26:27]
; %bb.265:
	s_or_b64 exec, exec, s[0:1]
	v_cmp_gt_u32_e64 s[14:15], 12, v23
	s_waitcnt lgkmcnt(0)
	s_barrier
	s_and_b64 s[14:15], s[14:15], s[20:21]
	s_mov_b64 s[0:1], exec
	v_writelane_b32 v35, s14, 18
	v_writelane_b32 v35, s15, 19
	s_and_b64 s[14:15], s[0:1], s[14:15]
	s_mov_b64 exec, s[14:15]
	s_cbranch_execz .LBB122_267
; %bb.266:
	v_lshlrev_b32_e32 v26, 3, v23
	ds_read_b64 v[26:27], v26 offset:22784
	ds_read_b64 v[28:29], v25
	s_waitcnt lgkmcnt(0)
	v_fma_f64 v[10:11], -v[26:27], v[28:29], v[10:11]
.LBB122_267:
	s_or_b64 exec, exec, s[0:1]
	v_cmp_eq_u32_e64 s[14:15], 11, v23
	s_barrier
	s_and_b64 s[14:15], s[14:15], s[20:21]
	s_mov_b64 s[0:1], exec
	v_writelane_b32 v35, s14, 20
	v_writelane_b32 v35, s15, 21
	s_and_b64 s[14:15], s[0:1], s[14:15]
	s_mov_b64 exec, s[14:15]
; %bb.268:
	v_xor_b32_e32 v27, 0x80000000, v11
	v_mov_b32_e32 v26, v10
	ds_write_b64 v25, v[26:27]
; %bb.269:
	s_or_b64 exec, exec, s[0:1]
	v_cmp_gt_u32_e64 s[14:15], 11, v23
	s_waitcnt lgkmcnt(0)
	s_barrier
	s_and_b64 s[14:15], s[14:15], s[20:21]
	s_mov_b64 s[0:1], exec
	v_writelane_b32 v35, s14, 22
	v_writelane_b32 v35, s15, 23
	s_and_b64 s[14:15], s[0:1], s[14:15]
	s_mov_b64 exec, s[14:15]
	s_cbranch_execz .LBB122_271
; %bb.270:
	v_lshlrev_b32_e32 v26, 3, v23
	ds_read_b64 v[26:27], v26 offset:22272
	ds_read_b64 v[28:29], v25
	s_waitcnt lgkmcnt(0)
	v_fma_f64 v[10:11], -v[26:27], v[28:29], v[10:11]
.LBB122_271:
	s_or_b64 exec, exec, s[0:1]
	v_cmp_eq_u32_e64 s[14:15], 10, v23
	s_barrier
	s_and_b64 s[14:15], s[14:15], s[20:21]
	s_mov_b64 s[0:1], exec
	v_writelane_b32 v35, s14, 24
	v_writelane_b32 v35, s15, 25
	s_and_b64 s[14:15], s[0:1], s[14:15]
	s_mov_b64 exec, s[14:15]
; %bb.272:
	v_xor_b32_e32 v27, 0x80000000, v11
	v_mov_b32_e32 v26, v10
	ds_write_b64 v25, v[26:27]
; %bb.273:
	s_or_b64 exec, exec, s[0:1]
	v_cmp_gt_u32_e64 s[14:15], 10, v23
	s_waitcnt lgkmcnt(0)
	s_barrier
	s_and_b64 s[14:15], s[14:15], s[20:21]
	s_mov_b64 s[0:1], exec
	v_writelane_b32 v35, s14, 26
	v_writelane_b32 v35, s15, 27
	s_and_b64 s[14:15], s[0:1], s[14:15]
	s_mov_b64 exec, s[14:15]
	s_cbranch_execz .LBB122_275
; %bb.274:
	v_lshlrev_b32_e32 v26, 3, v23
	ds_read_b64 v[26:27], v26 offset:21760
	ds_read_b64 v[28:29], v25
	s_waitcnt lgkmcnt(0)
	v_fma_f64 v[10:11], -v[26:27], v[28:29], v[10:11]
.LBB122_275:
	s_or_b64 exec, exec, s[0:1]
	v_cmp_eq_u32_e64 s[14:15], 9, v23
	s_barrier
	s_and_b64 s[14:15], s[14:15], s[20:21]
	s_mov_b64 s[0:1], exec
	v_writelane_b32 v35, s14, 28
	v_writelane_b32 v35, s15, 29
	s_and_b64 s[14:15], s[0:1], s[14:15]
	s_mov_b64 exec, s[14:15]
; %bb.276:
	v_xor_b32_e32 v27, 0x80000000, v11
	v_mov_b32_e32 v26, v10
	ds_write_b64 v25, v[26:27]
; %bb.277:
	s_or_b64 exec, exec, s[0:1]
	v_cmp_gt_u32_e64 s[14:15], 9, v23
	s_waitcnt lgkmcnt(0)
	s_barrier
	s_and_b64 s[14:15], s[14:15], s[20:21]
	s_mov_b64 s[0:1], exec
	v_writelane_b32 v35, s14, 30
	v_writelane_b32 v35, s15, 31
	s_and_b64 s[14:15], s[0:1], s[14:15]
	s_mov_b64 exec, s[14:15]
	s_cbranch_execz .LBB122_279
; %bb.278:
	v_lshlrev_b32_e32 v26, 3, v23
	ds_read_b64 v[26:27], v26 offset:21248
	ds_read_b64 v[28:29], v25
	s_waitcnt lgkmcnt(0)
	v_fma_f64 v[10:11], -v[26:27], v[28:29], v[10:11]
.LBB122_279:
	s_or_b64 exec, exec, s[0:1]
	v_cmp_eq_u32_e64 s[14:15], 8, v23
	s_barrier
	s_and_b64 s[14:15], s[14:15], s[20:21]
	s_mov_b64 s[0:1], exec
	v_writelane_b32 v35, s14, 32
	v_writelane_b32 v35, s15, 33
	s_and_b64 s[14:15], s[0:1], s[14:15]
	s_mov_b64 exec, s[14:15]
; %bb.280:
	v_xor_b32_e32 v27, 0x80000000, v11
	v_mov_b32_e32 v26, v10
	ds_write_b64 v25, v[26:27]
; %bb.281:
	s_or_b64 exec, exec, s[0:1]
	v_cmp_gt_u32_e64 s[14:15], 8, v23
	s_waitcnt lgkmcnt(0)
	s_barrier
	s_and_b64 s[14:15], s[14:15], s[20:21]
	s_mov_b64 s[0:1], exec
	v_writelane_b32 v35, s14, 34
	v_writelane_b32 v35, s15, 35
	s_and_b64 s[14:15], s[0:1], s[14:15]
	s_mov_b64 exec, s[14:15]
	s_cbranch_execz .LBB122_283
; %bb.282:
	v_lshlrev_b32_e32 v26, 3, v23
	ds_read_b64 v[26:27], v26 offset:20736
	ds_read_b64 v[28:29], v25
	s_waitcnt lgkmcnt(0)
	v_fma_f64 v[10:11], -v[26:27], v[28:29], v[10:11]
.LBB122_283:
	s_or_b64 exec, exec, s[0:1]
	v_cmp_eq_u32_e64 s[14:15], 7, v23
	s_barrier
	s_and_b64 s[14:15], s[14:15], s[20:21]
	s_mov_b64 s[0:1], exec
	v_writelane_b32 v35, s14, 36
	v_writelane_b32 v35, s15, 37
	s_and_b64 s[14:15], s[0:1], s[14:15]
	s_mov_b64 exec, s[14:15]
; %bb.284:
	v_xor_b32_e32 v27, 0x80000000, v11
	v_mov_b32_e32 v26, v10
	ds_write_b64 v25, v[26:27]
; %bb.285:
	s_or_b64 exec, exec, s[0:1]
	v_cmp_gt_u32_e64 s[14:15], 7, v23
	s_waitcnt lgkmcnt(0)
	s_barrier
	s_and_b64 s[14:15], s[14:15], s[20:21]
	s_mov_b64 s[0:1], exec
	v_writelane_b32 v35, s14, 38
	v_writelane_b32 v35, s15, 39
	s_and_b64 s[14:15], s[0:1], s[14:15]
	s_mov_b64 exec, s[14:15]
	s_cbranch_execz .LBB122_287
; %bb.286:
	v_lshlrev_b32_e32 v26, 3, v23
	ds_read_b64 v[26:27], v26 offset:20224
	ds_read_b64 v[28:29], v25
	s_waitcnt lgkmcnt(0)
	v_fma_f64 v[10:11], -v[26:27], v[28:29], v[10:11]
.LBB122_287:
	s_or_b64 exec, exec, s[0:1]
	v_cmp_eq_u32_e64 s[14:15], 6, v23
	s_barrier
	s_and_b64 s[14:15], s[14:15], s[20:21]
	s_mov_b64 s[0:1], exec
	v_writelane_b32 v35, s14, 40
	v_writelane_b32 v35, s15, 41
	s_and_b64 s[14:15], s[0:1], s[14:15]
	s_mov_b64 exec, s[14:15]
; %bb.288:
	v_xor_b32_e32 v27, 0x80000000, v11
	v_mov_b32_e32 v26, v10
	ds_write_b64 v25, v[26:27]
; %bb.289:
	s_or_b64 exec, exec, s[0:1]
	v_cmp_gt_u32_e64 s[14:15], 6, v23
	s_waitcnt lgkmcnt(0)
	s_barrier
	s_and_b64 s[14:15], s[14:15], s[20:21]
	s_mov_b64 s[0:1], exec
	v_writelane_b32 v35, s14, 42
	v_writelane_b32 v35, s15, 43
	s_and_b64 s[14:15], s[0:1], s[14:15]
	s_mov_b64 exec, s[14:15]
	s_cbranch_execz .LBB122_291
; %bb.290:
	v_lshlrev_b32_e32 v26, 3, v23
	ds_read_b64 v[26:27], v26 offset:19712
	ds_read_b64 v[28:29], v25
	s_waitcnt lgkmcnt(0)
	v_fma_f64 v[10:11], -v[26:27], v[28:29], v[10:11]
.LBB122_291:
	s_or_b64 exec, exec, s[0:1]
	v_cmp_eq_u32_e64 s[14:15], 5, v23
	s_barrier
	s_and_b64 s[14:15], s[14:15], s[20:21]
	s_mov_b64 s[0:1], exec
	v_writelane_b32 v35, s14, 44
	v_writelane_b32 v35, s15, 45
	s_and_b64 s[14:15], s[0:1], s[14:15]
	s_mov_b64 exec, s[14:15]
; %bb.292:
	v_xor_b32_e32 v27, 0x80000000, v11
	v_mov_b32_e32 v26, v10
	ds_write_b64 v25, v[26:27]
; %bb.293:
	s_or_b64 exec, exec, s[0:1]
	v_cmp_gt_u32_e64 s[14:15], 5, v23
	s_waitcnt lgkmcnt(0)
	s_barrier
	s_and_b64 s[14:15], s[14:15], s[20:21]
	s_mov_b64 s[0:1], exec
	v_writelane_b32 v35, s14, 46
	v_writelane_b32 v35, s15, 47
	s_and_b64 s[14:15], s[0:1], s[14:15]
	s_mov_b64 exec, s[14:15]
	s_cbranch_execz .LBB122_295
; %bb.294:
	v_lshlrev_b32_e32 v26, 3, v23
	ds_read_b64 v[26:27], v26 offset:19200
	ds_read_b64 v[28:29], v25
	s_waitcnt lgkmcnt(0)
	v_fma_f64 v[10:11], -v[26:27], v[28:29], v[10:11]
.LBB122_295:
	s_or_b64 exec, exec, s[0:1]
	v_cmp_eq_u32_e64 s[14:15], 4, v23
	s_barrier
	s_and_b64 s[14:15], s[14:15], s[20:21]
	s_mov_b64 s[0:1], exec
	v_writelane_b32 v35, s14, 48
	v_writelane_b32 v35, s15, 49
	s_and_b64 s[14:15], s[0:1], s[14:15]
	s_mov_b64 exec, s[14:15]
; %bb.296:
	v_xor_b32_e32 v27, 0x80000000, v11
	v_mov_b32_e32 v26, v10
	ds_write_b64 v25, v[26:27]
; %bb.297:
	s_or_b64 exec, exec, s[0:1]
	v_cmp_gt_u32_e64 s[14:15], 4, v23
	s_waitcnt lgkmcnt(0)
	s_barrier
	s_and_b64 s[14:15], s[14:15], s[20:21]
	s_mov_b64 s[0:1], exec
	v_writelane_b32 v35, s14, 50
	v_writelane_b32 v35, s15, 51
	s_and_b64 s[14:15], s[0:1], s[14:15]
	s_mov_b64 exec, s[14:15]
	s_cbranch_execz .LBB122_299
; %bb.298:
	v_lshlrev_b32_e32 v26, 3, v23
	ds_read_b64 v[26:27], v26 offset:18688
	ds_read_b64 v[28:29], v25
	s_waitcnt lgkmcnt(0)
	v_fma_f64 v[10:11], -v[26:27], v[28:29], v[10:11]
.LBB122_299:
	s_or_b64 exec, exec, s[0:1]
	v_cmp_eq_u32_e64 s[14:15], 3, v23
	s_barrier
	s_and_b64 s[14:15], s[14:15], s[20:21]
	s_mov_b64 s[0:1], exec
	v_writelane_b32 v35, s14, 52
	v_writelane_b32 v35, s15, 53
	s_and_b64 s[14:15], s[0:1], s[14:15]
	s_mov_b64 exec, s[14:15]
; %bb.300:
	v_xor_b32_e32 v27, 0x80000000, v11
	v_mov_b32_e32 v26, v10
	ds_write_b64 v25, v[26:27]
; %bb.301:
	s_or_b64 exec, exec, s[0:1]
	v_cmp_gt_u32_e64 s[14:15], 3, v23
	s_waitcnt lgkmcnt(0)
	s_barrier
	s_and_b64 s[14:15], s[14:15], s[20:21]
	s_mov_b64 s[0:1], exec
	v_writelane_b32 v35, s14, 54
	v_writelane_b32 v35, s15, 55
	s_and_b64 s[14:15], s[0:1], s[14:15]
	s_mov_b64 exec, s[14:15]
	s_cbranch_execz .LBB122_303
; %bb.302:
	v_lshlrev_b32_e32 v26, 3, v23
	ds_read_b64 v[26:27], v26 offset:18176
	ds_read_b64 v[28:29], v25
	s_waitcnt lgkmcnt(0)
	v_fma_f64 v[10:11], -v[26:27], v[28:29], v[10:11]
.LBB122_303:
	s_or_b64 exec, exec, s[0:1]
	v_cmp_eq_u32_e64 s[14:15], 2, v23
	s_barrier
	s_and_b64 s[14:15], s[14:15], s[20:21]
	s_mov_b64 s[0:1], exec
	v_writelane_b32 v35, s14, 56
	v_writelane_b32 v35, s15, 57
	s_and_b64 s[14:15], s[0:1], s[14:15]
	s_mov_b64 exec, s[14:15]
; %bb.304:
	v_xor_b32_e32 v27, 0x80000000, v11
	v_mov_b32_e32 v26, v10
	ds_write_b64 v25, v[26:27]
; %bb.305:
	s_or_b64 exec, exec, s[0:1]
	v_cmp_gt_u32_e64 s[14:15], 2, v23
	s_and_b64 s[0:1], s[14:15], s[20:21]
	s_waitcnt lgkmcnt(0)
	s_barrier
	s_and_saveexec_b64 s[14:15], s[0:1]
	s_cbranch_execz .LBB122_307
; %bb.306:
	v_lshlrev_b32_e32 v26, 3, v23
	ds_read_b64 v[26:27], v26 offset:17664
	ds_read_b64 v[28:29], v25
	s_waitcnt lgkmcnt(0)
	v_fma_f64 v[10:11], -v[26:27], v[28:29], v[10:11]
.LBB122_307:
	s_or_b64 exec, exec, s[14:15]
	v_cmp_eq_u32_e64 s[14:15], 1, v23
	s_barrier
	s_and_b64 s[16:17], s[14:15], s[20:21]
	s_mov_b64 s[14:15], exec
	v_writelane_b32 v35, s16, 58
	v_writelane_b32 v35, s17, 59
	s_and_b64 s[16:17], s[14:15], s[16:17]
	s_mov_b64 exec, s[16:17]
; %bb.308:
	v_xor_b32_e32 v27, 0x80000000, v11
	v_mov_b32_e32 v26, v10
	ds_write_b64 v25, v[26:27]
; %bb.309:
	s_or_b64 exec, exec, s[14:15]
	v_cmp_eq_u32_e64 s[14:15], 0, v23
	s_and_b64 s[94:95], s[14:15], s[20:21]
	s_waitcnt lgkmcnt(0)
	s_barrier
	s_and_saveexec_b64 s[14:15], s[94:95]
	s_cbranch_execz .LBB122_311
; %bb.310:
	v_mov_b32_e32 v26, 0
	ds_read_b64 v[26:27], v26 offset:17152
	ds_read_b64 v[28:29], v25
	s_waitcnt lgkmcnt(0)
	v_fma_f64 v[10:11], -v[26:27], v[28:29], v[10:11]
.LBB122_311:
	s_or_b64 exec, exec, s[14:15]
	s_barrier
	s_and_saveexec_b64 s[14:15], s[94:95]
; %bb.312:
	v_xor_b32_e32 v27, 0x80000000, v11
	v_mov_b32_e32 v26, v10
	ds_write_b64 v25, v[26:27]
; %bb.313:
	s_or_b64 exec, exec, s[14:15]
	s_waitcnt lgkmcnt(0)
	s_barrier
	s_barrier
	s_and_saveexec_b64 s[14:15], s[10:11]
; %bb.314:
	v_lshlrev_b32_e32 v26, 3, v23
	v_lshl_or_b32 v26, v24, 9, v26
	ds_write_b64 v26, v[10:11] offset:24832
; %bb.315:
	s_or_b64 exec, exec, s[14:15]
	v_cmp_gt_u32_e64 s[14:15], 16, v0
	s_and_b64 s[90:91], s[12:13], s[14:15]
	s_waitcnt lgkmcnt(0)
	s_barrier
	s_barrier
	s_and_saveexec_b64 s[14:15], s[90:91]
	s_cbranch_execz .LBB122_317
; %bb.316:
	v_lshlrev_b32_e32 v26, 9, v0
	ds_read_b64 v[10:11], v26 offset:24832
	s_movk_i32 s16, 0xfe08
	v_mad_i32_i24 v27, v0, s16, v26
	s_waitcnt lgkmcnt(0)
	ds_write_b64 v27, v[10:11] offset:16768
	ds_read_b64 v[10:11], v26 offset:24840
	s_waitcnt lgkmcnt(0)
	ds_write_b64 v27, v[10:11] offset:17280
	ds_read_b64 v[10:11], v26 offset:24848
	;; [unrolled: 3-line block ×15, first 2 shown]
	s_waitcnt lgkmcnt(0)
	ds_write_b64 v27, v[10:11] offset:24448
.LBB122_317:
	s_or_b64 exec, exec, s[14:15]
	s_waitcnt lgkmcnt(0)
	s_barrier
	s_and_saveexec_b64 s[14:15], vcc
	s_cbranch_execz .LBB122_319
; %bb.318:
	v_mov_b32_e32 v26, 0
	ds_read_b64 v[28:29], v26 offset:24432
	v_mov_b32_e32 v27, 0x3ff00000
	ds_write_b64 v26, v[26:27] offset:24440
	s_waitcnt lgkmcnt(1)
	ds_write_b128 v26, v[26:29] offset:23920
.LBB122_319:
	s_or_b64 exec, exec, s[14:15]
	v_mov_b32_e32 v10, 0
	v_mov_b32_e32 v11, 0
	s_waitcnt lgkmcnt(0)
	s_barrier
	buffer_wbinvl1_vol
	s_and_saveexec_b64 s[16:17], s[2:3]
	s_cbranch_execz .LBB122_323
; %bb.320:
	v_lshlrev_b32_e32 v26, 9, v13
	v_lshlrev_b32_e32 v10, 3, v12
	ds_read_b64 v[10:11], v10 offset:23904
	ds_read_b64 v[26:27], v26 offset:23920
	v_cmp_gt_u32_e64 s[14:15], 2, v15
	s_waitcnt lgkmcnt(0)
	v_fma_f64 v[10:11], v[10:11], v[26:27], 0
	s_and_saveexec_b64 s[20:21], s[14:15]
	s_cbranch_execz .LBB122_322
; %bb.321:
	v_lshlrev_b32_e32 v26, 3, v0
	v_mov_b32_e32 v28, 0
	ds_read_b64 v[26:27], v26 offset:24416
	ds_read_b64 v[28:29], v28 offset:24440
	s_waitcnt lgkmcnt(0)
	v_fma_f64 v[10:11], v[26:27], v[28:29], v[10:11]
.LBB122_322:
	s_or_b64 exec, exec, s[20:21]
.LBB122_323:
	s_or_b64 exec, exec, s[16:17]
	s_and_saveexec_b64 s[14:15], s[40:41]
; %bb.324:
	v_xor_b32_e32 v27, 0x80000000, v11
	v_mov_b32_e32 v26, v10
	ds_write_b64 v14, v[26:27]
; %bb.325:
	s_or_b64 exec, exec, s[14:15]
	s_waitcnt lgkmcnt(0)
	s_barrier
	s_and_saveexec_b64 s[14:15], s[38:39]
	s_cbranch_execz .LBB122_327
; %bb.326:
	v_mov_b32_e32 v26, 0
	ds_read_b64 v[26:27], v26 offset:23392
	ds_read_b64 v[28:29], v14
	s_waitcnt lgkmcnt(0)
	v_fma_f64 v[10:11], -v[26:27], v[28:29], v[10:11]
.LBB122_327:
	s_or_b64 exec, exec, s[14:15]
	s_barrier
	s_and_saveexec_b64 s[14:15], s[38:39]
; %bb.328:
	v_xor_b32_e32 v27, 0x80000000, v11
	v_mov_b32_e32 v26, v10
	ds_write_b64 v14, v[26:27]
; %bb.329:
	s_or_b64 exec, exec, s[14:15]
	s_waitcnt lgkmcnt(0)
	s_barrier
	s_barrier
	s_and_saveexec_b64 s[14:15], s[2:3]
; %bb.330:
	v_lshlrev_b32_e32 v26, 3, v12
	v_lshl_or_b32 v26, v13, 9, v26
	ds_write_b64 v26, v[10:11] offset:23904
; %bb.331:
	s_or_b64 exec, exec, s[14:15]
	s_waitcnt lgkmcnt(0)
	s_barrier
	s_barrier
	s_and_saveexec_b64 s[14:15], s[42:43]
	s_cbranch_execz .LBB122_333
; %bb.332:
	v_lshlrev_b32_e32 v26, 3, v0
	s_movk_i32 s16, 0x1f8
	v_mad_u32_u24 v27, v0, s16, v26
	ds_read_b64 v[10:11], v27 offset:23904
	s_waitcnt lgkmcnt(0)
	ds_write_b64 v26, v[10:11] offset:22896
	ds_read_b64 v[10:11], v27 offset:23912
	s_waitcnt lgkmcnt(0)
	ds_write_b64 v26, v[10:11] offset:23408
.LBB122_333:
	s_or_b64 exec, exec, s[14:15]
	s_waitcnt lgkmcnt(0)
	s_barrier
	s_and_saveexec_b64 s[14:15], vcc
	s_cbranch_execz .LBB122_335
; %bb.334:
	v_mov_b32_e32 v26, 0
	ds_read_b64 v[28:29], v26 offset:23392
	v_mov_b32_e32 v27, 0x3ff00000
	ds_write_b64 v26, v[26:27] offset:23400
	s_waitcnt lgkmcnt(1)
	ds_write_b128 v26, v[26:29] offset:22880
.LBB122_335:
	s_or_b64 exec, exec, s[14:15]
	v_mov_b32_e32 v10, 0
	v_mov_b32_e32 v11, 0
	s_waitcnt lgkmcnt(0)
	s_barrier
	buffer_wbinvl1_vol
	s_and_saveexec_b64 s[16:17], s[18:19]
	s_cbranch_execz .LBB122_341
; %bb.336:
	v_lshlrev_b32_e32 v27, 3, v16
	v_lshlrev_b32_e32 v26, 9, v17
	ds_read_b64 v[10:11], v27 offset:22848
	ds_read_b64 v[28:29], v26 offset:22880
	v_cmp_gt_u32_e64 s[14:15], 12, v15
	s_waitcnt lgkmcnt(0)
	v_fma_f64 v[10:11], v[10:11], v[28:29], 0
	s_and_saveexec_b64 s[20:21], s[14:15]
	s_cbranch_execnz .LBB122_1186
; %bb.337:
	s_or_b64 exec, exec, s[20:21]
	v_cmp_gt_u32_e64 s[14:15], 8, v15
	s_and_saveexec_b64 s[20:21], s[14:15]
	s_cbranch_execnz .LBB122_1187
.LBB122_338:
	s_or_b64 exec, exec, s[20:21]
	v_cmp_gt_u32_e64 s[14:15], 4, v15
	s_and_saveexec_b64 s[20:21], s[14:15]
	s_cbranch_execz .LBB122_340
.LBB122_339:
	v_lshlrev_b32_e32 v26, 3, v0
	v_mov_b32_e32 v28, 0
	ds_read_b64 v[26:27], v26 offset:24384
	ds_read_b64 v[28:29], v28 offset:24440
	s_waitcnt lgkmcnt(0)
	v_fma_f64 v[10:11], v[26:27], v[28:29], v[10:11]
.LBB122_340:
	s_or_b64 exec, exec, s[20:21]
.LBB122_341:
	s_or_b64 exec, exec, s[16:17]
	s_and_saveexec_b64 s[14:15], s[46:47]
; %bb.342:
	v_xor_b32_e32 v27, 0x80000000, v11
	v_mov_b32_e32 v26, v10
	ds_write_b64 v19, v[26:27]
; %bb.343:
	s_or_b64 exec, exec, s[14:15]
	s_waitcnt lgkmcnt(0)
	s_barrier
	s_and_saveexec_b64 s[14:15], s[48:49]
	s_cbranch_execz .LBB122_345
; %bb.344:
	v_lshlrev_b32_e32 v26, 3, v16
	ds_read_b64 v[26:27], v26 offset:22336
	ds_read_b64 v[28:29], v19
	s_waitcnt lgkmcnt(0)
	v_fma_f64 v[10:11], -v[26:27], v[28:29], v[10:11]
.LBB122_345:
	s_or_b64 exec, exec, s[14:15]
	s_barrier
	s_and_saveexec_b64 s[14:15], s[50:51]
; %bb.346:
	v_xor_b32_e32 v27, 0x80000000, v11
	v_mov_b32_e32 v26, v10
	ds_write_b64 v19, v[26:27]
; %bb.347:
	s_or_b64 exec, exec, s[14:15]
	s_waitcnt lgkmcnt(0)
	s_barrier
	s_and_saveexec_b64 s[14:15], s[52:53]
	s_cbranch_execz .LBB122_349
; %bb.348:
	v_lshlrev_b32_e32 v26, 3, v16
	ds_read_b64 v[26:27], v26 offset:21824
	ds_read_b64 v[28:29], v19
	s_waitcnt lgkmcnt(0)
	v_fma_f64 v[10:11], -v[26:27], v[28:29], v[10:11]
.LBB122_349:
	s_or_b64 exec, exec, s[14:15]
	s_barrier
	s_and_saveexec_b64 s[14:15], s[54:55]
; %bb.350:
	v_xor_b32_e32 v27, 0x80000000, v11
	v_mov_b32_e32 v26, v10
	ds_write_b64 v19, v[26:27]
; %bb.351:
	s_or_b64 exec, exec, s[14:15]
	s_waitcnt lgkmcnt(0)
	s_barrier
	s_and_saveexec_b64 s[14:15], s[44:45]
	s_cbranch_execz .LBB122_353
; %bb.352:
	v_mov_b32_e32 v26, 0
	ds_read_b64 v[26:27], v26 offset:21312
	ds_read_b64 v[28:29], v19
	s_waitcnt lgkmcnt(0)
	v_fma_f64 v[10:11], -v[26:27], v[28:29], v[10:11]
.LBB122_353:
	s_or_b64 exec, exec, s[14:15]
	s_barrier
	s_and_saveexec_b64 s[14:15], s[44:45]
; %bb.354:
	v_xor_b32_e32 v27, 0x80000000, v11
	v_mov_b32_e32 v26, v10
	ds_write_b64 v19, v[26:27]
; %bb.355:
	s_or_b64 exec, exec, s[14:15]
	s_waitcnt lgkmcnt(0)
	s_barrier
	s_barrier
	s_and_saveexec_b64 s[14:15], s[18:19]
; %bb.356:
	v_lshlrev_b32_e32 v26, 3, v16
	v_lshl_or_b32 v26, v17, 9, v26
	ds_write_b64 v26, v[10:11] offset:22848
; %bb.357:
	s_or_b64 exec, exec, s[14:15]
	s_waitcnt lgkmcnt(0)
	s_barrier
	s_barrier
	s_and_saveexec_b64 s[14:15], s[56:57]
	s_cbranch_execz .LBB122_359
; %bb.358:
	v_lshlrev_b32_e32 v26, 9, v0
	ds_read_b64 v[10:11], v26 offset:22848
	s_movk_i32 s16, 0xfe08
	v_mad_i32_i24 v27, v0, s16, v26
	s_waitcnt lgkmcnt(0)
	ds_write_b64 v27, v[10:11] offset:20832
	ds_read_b64 v[10:11], v26 offset:22856
	s_waitcnt lgkmcnt(0)
	ds_write_b64 v27, v[10:11] offset:21344
	ds_read_b64 v[10:11], v26 offset:22864
	;; [unrolled: 3-line block ×3, first 2 shown]
	s_waitcnt lgkmcnt(0)
	ds_write_b64 v27, v[10:11] offset:22368
.LBB122_359:
	s_or_b64 exec, exec, s[14:15]
	s_waitcnt lgkmcnt(0)
	s_barrier
	s_and_saveexec_b64 s[14:15], vcc
	s_cbranch_execz .LBB122_361
; %bb.360:
	v_mov_b32_e32 v26, 0
	ds_read_b64 v[28:29], v26 offset:22352
	v_mov_b32_e32 v27, 0x3ff00000
	ds_write_b64 v26, v[26:27] offset:22360
	s_waitcnt lgkmcnt(1)
	ds_write_b128 v26, v[26:29] offset:21840
.LBB122_361:
	s_or_b64 exec, exec, s[14:15]
	v_mov_b32_e32 v10, 0
	v_mov_b32_e32 v11, 0
	s_waitcnt lgkmcnt(0)
	s_barrier
	buffer_wbinvl1_vol
	s_and_saveexec_b64 s[16:17], s[2:3]
	s_cbranch_execz .LBB122_365
; %bb.362:
	v_lshlrev_b32_e32 v26, 9, v13
	v_lshlrev_b32_e32 v10, 3, v12
	ds_read_b64 v[10:11], v10 offset:21824
	ds_read_b64 v[26:27], v26 offset:21840
	v_cmp_gt_u32_e64 s[14:15], 2, v15
	s_waitcnt lgkmcnt(0)
	v_fma_f64 v[10:11], v[10:11], v[26:27], 0
	s_and_saveexec_b64 s[20:21], s[14:15]
	s_cbranch_execz .LBB122_364
; %bb.363:
	v_lshlrev_b32_e32 v26, 3, v0
	v_mov_b32_e32 v28, 0
	ds_read_b64 v[26:27], v26 offset:22336
	ds_read_b64 v[28:29], v28 offset:22360
	s_waitcnt lgkmcnt(0)
	v_fma_f64 v[10:11], v[26:27], v[28:29], v[10:11]
.LBB122_364:
	s_or_b64 exec, exec, s[20:21]
.LBB122_365:
	s_or_b64 exec, exec, s[16:17]
	s_and_saveexec_b64 s[14:15], s[40:41]
; %bb.366:
	v_xor_b32_e32 v27, 0x80000000, v11
	v_mov_b32_e32 v26, v10
	ds_write_b64 v14, v[26:27]
; %bb.367:
	s_or_b64 exec, exec, s[14:15]
	s_waitcnt lgkmcnt(0)
	s_barrier
	s_and_saveexec_b64 s[14:15], s[38:39]
	s_cbranch_execz .LBB122_369
; %bb.368:
	v_mov_b32_e32 v26, 0
	ds_read_b64 v[26:27], v26 offset:21312
	ds_read_b64 v[28:29], v14
	s_waitcnt lgkmcnt(0)
	v_fma_f64 v[10:11], -v[26:27], v[28:29], v[10:11]
.LBB122_369:
	s_or_b64 exec, exec, s[14:15]
	s_barrier
	s_and_saveexec_b64 s[14:15], s[38:39]
; %bb.370:
	v_xor_b32_e32 v27, 0x80000000, v11
	v_mov_b32_e32 v26, v10
	ds_write_b64 v14, v[26:27]
; %bb.371:
	s_or_b64 exec, exec, s[14:15]
	s_waitcnt lgkmcnt(0)
	s_barrier
	s_barrier
	s_and_saveexec_b64 s[14:15], s[2:3]
; %bb.372:
	v_lshlrev_b32_e32 v26, 3, v12
	v_lshl_or_b32 v26, v13, 9, v26
	ds_write_b64 v26, v[10:11] offset:21824
; %bb.373:
	s_or_b64 exec, exec, s[14:15]
	s_waitcnt lgkmcnt(0)
	s_barrier
	s_barrier
	s_and_saveexec_b64 s[14:15], s[42:43]
	s_cbranch_execz .LBB122_375
; %bb.374:
	v_lshlrev_b32_e32 v26, 3, v0
	s_movk_i32 s16, 0x1f8
	v_mad_u32_u24 v27, v0, s16, v26
	ds_read_b64 v[10:11], v27 offset:21824
	s_waitcnt lgkmcnt(0)
	ds_write_b64 v26, v[10:11] offset:20816
	ds_read_b64 v[10:11], v27 offset:21832
	s_waitcnt lgkmcnt(0)
	ds_write_b64 v26, v[10:11] offset:21328
.LBB122_375:
	s_or_b64 exec, exec, s[14:15]
	s_waitcnt lgkmcnt(0)
	s_barrier
	s_and_saveexec_b64 s[14:15], vcc
	s_cbranch_execz .LBB122_377
; %bb.376:
	v_mov_b32_e32 v26, 0
	ds_read_b64 v[28:29], v26 offset:21312
	v_mov_b32_e32 v27, 0x3ff00000
	ds_write_b64 v26, v[26:27] offset:21320
	s_waitcnt lgkmcnt(1)
	ds_write_b128 v26, v[26:29] offset:20800
.LBB122_377:
	s_or_b64 exec, exec, s[14:15]
	v_mov_b32_e32 v10, 0
	v_mov_b32_e32 v11, 0
	s_waitcnt lgkmcnt(0)
	s_barrier
	buffer_wbinvl1_vol
	s_and_saveexec_b64 s[16:17], s[8:9]
	s_cbranch_execz .LBB122_387
; %bb.378:
	v_lshlrev_b32_e32 v27, 3, v20
	v_lshlrev_b32_e32 v26, 9, v21
	ds_read_b64 v[10:11], v27 offset:20736
	ds_read_b64 v[28:29], v26 offset:20800
	v_cmp_gt_u32_e64 s[14:15], 56, v15
	s_waitcnt lgkmcnt(0)
	v_fma_f64 v[10:11], v[10:11], v[28:29], 0
	s_and_saveexec_b64 s[20:21], s[14:15]
	s_cbranch_execnz .LBB122_1188
; %bb.379:
	s_or_b64 exec, exec, s[20:21]
	v_cmp_gt_u32_e64 s[14:15], 48, v15
	s_and_saveexec_b64 s[20:21], s[14:15]
	s_cbranch_execnz .LBB122_1189
.LBB122_380:
	s_or_b64 exec, exec, s[20:21]
	v_cmp_gt_u32_e64 s[14:15], 40, v15
	s_and_saveexec_b64 s[20:21], s[14:15]
	s_cbranch_execnz .LBB122_1190
.LBB122_381:
	s_or_b64 exec, exec, s[20:21]
	v_cmp_gt_u32_e64 s[14:15], 32, v15
	s_and_saveexec_b64 s[20:21], s[14:15]
	s_cbranch_execnz .LBB122_1191
.LBB122_382:
	s_or_b64 exec, exec, s[20:21]
	v_cmp_gt_u32_e64 s[14:15], 24, v15
	s_and_saveexec_b64 s[20:21], s[14:15]
	s_cbranch_execnz .LBB122_1192
.LBB122_383:
	s_or_b64 exec, exec, s[20:21]
	s_and_saveexec_b64 s[14:15], s[18:19]
	s_cbranch_execnz .LBB122_1193
.LBB122_384:
	s_or_b64 exec, exec, s[14:15]
	v_cmp_gt_u32_e64 s[14:15], 8, v15
	s_and_saveexec_b64 s[20:21], s[14:15]
	s_cbranch_execz .LBB122_386
.LBB122_385:
	v_lshlrev_b32_e32 v26, 3, v0
	v_mov_b32_e32 v28, 0
	ds_read_b64 v[26:27], v26 offset:24320
	ds_read_b64 v[28:29], v28 offset:24440
	s_waitcnt lgkmcnt(0)
	v_fma_f64 v[10:11], v[26:27], v[28:29], v[10:11]
.LBB122_386:
	s_or_b64 exec, exec, s[20:21]
.LBB122_387:
	s_or_b64 exec, exec, s[16:17]
	s_and_saveexec_b64 s[14:15], s[58:59]
; %bb.388:
	v_xor_b32_e32 v27, 0x80000000, v11
	v_mov_b32_e32 v26, v10
	ds_write_b64 v22, v[26:27]
; %bb.389:
	s_or_b64 exec, exec, s[14:15]
	s_waitcnt lgkmcnt(0)
	s_barrier
	s_and_saveexec_b64 s[14:15], s[60:61]
	s_cbranch_execz .LBB122_391
; %bb.390:
	v_lshlrev_b32_e32 v26, 3, v20
	ds_read_b64 v[26:27], v26 offset:20224
	ds_read_b64 v[28:29], v22
	s_waitcnt lgkmcnt(0)
	v_fma_f64 v[10:11], -v[26:27], v[28:29], v[10:11]
.LBB122_391:
	s_or_b64 exec, exec, s[14:15]
	s_barrier
	s_and_saveexec_b64 s[14:15], s[62:63]
; %bb.392:
	v_xor_b32_e32 v27, 0x80000000, v11
	v_mov_b32_e32 v26, v10
	ds_write_b64 v22, v[26:27]
; %bb.393:
	s_or_b64 exec, exec, s[14:15]
	s_waitcnt lgkmcnt(0)
	s_barrier
	s_and_saveexec_b64 s[14:15], s[64:65]
	s_cbranch_execz .LBB122_395
; %bb.394:
	v_lshlrev_b32_e32 v26, 3, v20
	ds_read_b64 v[26:27], v26 offset:19712
	ds_read_b64 v[28:29], v22
	s_waitcnt lgkmcnt(0)
	v_fma_f64 v[10:11], -v[26:27], v[28:29], v[10:11]
.LBB122_395:
	s_or_b64 exec, exec, s[14:15]
	s_barrier
	s_and_saveexec_b64 s[14:15], s[66:67]
; %bb.396:
	v_xor_b32_e32 v27, 0x80000000, v11
	v_mov_b32_e32 v26, v10
	ds_write_b64 v22, v[26:27]
; %bb.397:
	s_or_b64 exec, exec, s[14:15]
	s_waitcnt lgkmcnt(0)
	s_barrier
	s_and_saveexec_b64 s[14:15], s[70:71]
	s_cbranch_execz .LBB122_399
; %bb.398:
	v_lshlrev_b32_e32 v26, 3, v20
	ds_read_b64 v[26:27], v26 offset:19200
	ds_read_b64 v[28:29], v22
	s_waitcnt lgkmcnt(0)
	v_fma_f64 v[10:11], -v[26:27], v[28:29], v[10:11]
.LBB122_399:
	s_or_b64 exec, exec, s[14:15]
	s_barrier
	s_and_saveexec_b64 s[14:15], s[72:73]
; %bb.400:
	v_xor_b32_e32 v27, 0x80000000, v11
	v_mov_b32_e32 v26, v10
	ds_write_b64 v22, v[26:27]
; %bb.401:
	s_or_b64 exec, exec, s[14:15]
	s_waitcnt lgkmcnt(0)
	s_barrier
	s_and_saveexec_b64 s[14:15], s[74:75]
	s_cbranch_execz .LBB122_403
; %bb.402:
	v_lshlrev_b32_e32 v26, 3, v20
	ds_read_b64 v[26:27], v26 offset:18688
	ds_read_b64 v[28:29], v22
	s_waitcnt lgkmcnt(0)
	v_fma_f64 v[10:11], -v[26:27], v[28:29], v[10:11]
.LBB122_403:
	s_or_b64 exec, exec, s[14:15]
	s_barrier
	s_and_saveexec_b64 s[14:15], s[76:77]
; %bb.404:
	v_xor_b32_e32 v27, 0x80000000, v11
	v_mov_b32_e32 v26, v10
	ds_write_b64 v22, v[26:27]
; %bb.405:
	s_or_b64 exec, exec, s[14:15]
	s_waitcnt lgkmcnt(0)
	s_barrier
	s_and_saveexec_b64 s[14:15], s[78:79]
	s_cbranch_execz .LBB122_407
; %bb.406:
	v_lshlrev_b32_e32 v26, 3, v20
	ds_read_b64 v[26:27], v26 offset:18176
	ds_read_b64 v[28:29], v22
	s_waitcnt lgkmcnt(0)
	v_fma_f64 v[10:11], -v[26:27], v[28:29], v[10:11]
.LBB122_407:
	s_or_b64 exec, exec, s[14:15]
	s_barrier
	s_and_saveexec_b64 s[14:15], s[80:81]
; %bb.408:
	v_xor_b32_e32 v27, 0x80000000, v11
	v_mov_b32_e32 v26, v10
	ds_write_b64 v22, v[26:27]
; %bb.409:
	s_or_b64 exec, exec, s[14:15]
	s_waitcnt lgkmcnt(0)
	s_barrier
	s_and_saveexec_b64 s[14:15], s[82:83]
	s_cbranch_execz .LBB122_411
; %bb.410:
	v_lshlrev_b32_e32 v26, 3, v20
	ds_read_b64 v[26:27], v26 offset:17664
	ds_read_b64 v[28:29], v22
	s_waitcnt lgkmcnt(0)
	v_fma_f64 v[10:11], -v[26:27], v[28:29], v[10:11]
.LBB122_411:
	s_or_b64 exec, exec, s[14:15]
	s_barrier
	s_and_saveexec_b64 s[14:15], s[84:85]
; %bb.412:
	v_xor_b32_e32 v27, 0x80000000, v11
	v_mov_b32_e32 v26, v10
	ds_write_b64 v22, v[26:27]
; %bb.413:
	s_or_b64 exec, exec, s[14:15]
	s_waitcnt lgkmcnt(0)
	s_barrier
	s_and_saveexec_b64 s[14:15], s[68:69]
	s_cbranch_execz .LBB122_415
; %bb.414:
	v_mov_b32_e32 v26, 0
	ds_read_b64 v[26:27], v26 offset:17152
	ds_read_b64 v[28:29], v22
	s_waitcnt lgkmcnt(0)
	v_fma_f64 v[10:11], -v[26:27], v[28:29], v[10:11]
.LBB122_415:
	s_or_b64 exec, exec, s[14:15]
	s_barrier
	s_and_saveexec_b64 s[14:15], s[68:69]
; %bb.416:
	v_xor_b32_e32 v27, 0x80000000, v11
	v_mov_b32_e32 v26, v10
	ds_write_b64 v22, v[26:27]
; %bb.417:
	s_or_b64 exec, exec, s[14:15]
	s_waitcnt lgkmcnt(0)
	s_barrier
	s_barrier
	s_and_saveexec_b64 s[14:15], s[8:9]
; %bb.418:
	v_lshlrev_b32_e32 v26, 3, v20
	v_lshl_or_b32 v26, v21, 9, v26
	ds_write_b64 v26, v[10:11] offset:20736
; %bb.419:
	s_or_b64 exec, exec, s[14:15]
	s_waitcnt lgkmcnt(0)
	s_barrier
	s_barrier
	s_and_saveexec_b64 s[14:15], s[86:87]
	s_cbranch_execz .LBB122_421
; %bb.420:
	v_lshlrev_b32_e32 v26, 9, v0
	ds_read_b64 v[10:11], v26 offset:20736
	s_movk_i32 s16, 0xfe08
	v_mad_i32_i24 v27, v0, s16, v26
	s_waitcnt lgkmcnt(0)
	ds_write_b64 v27, v[10:11] offset:16704
	ds_read_b64 v[10:11], v26 offset:20744
	s_waitcnt lgkmcnt(0)
	ds_write_b64 v27, v[10:11] offset:17216
	ds_read_b64 v[10:11], v26 offset:20752
	;; [unrolled: 3-line block ×7, first 2 shown]
	s_waitcnt lgkmcnt(0)
	ds_write_b64 v27, v[10:11] offset:20288
.LBB122_421:
	s_or_b64 exec, exec, s[14:15]
	s_waitcnt lgkmcnt(0)
	s_barrier
	s_and_saveexec_b64 s[14:15], vcc
	s_cbranch_execz .LBB122_423
; %bb.422:
	v_mov_b32_e32 v26, 0
	ds_read_b64 v[28:29], v26 offset:20272
	v_mov_b32_e32 v27, 0x3ff00000
	ds_write_b64 v26, v[26:27] offset:20280
	s_waitcnt lgkmcnt(1)
	ds_write_b128 v26, v[26:29] offset:19760
.LBB122_423:
	s_or_b64 exec, exec, s[14:15]
	v_mov_b32_e32 v10, 0
	v_mov_b32_e32 v11, 0
	s_waitcnt lgkmcnt(0)
	s_barrier
	buffer_wbinvl1_vol
	s_and_saveexec_b64 s[16:17], s[2:3]
	s_cbranch_execz .LBB122_427
; %bb.424:
	v_lshlrev_b32_e32 v26, 9, v13
	v_lshlrev_b32_e32 v10, 3, v12
	ds_read_b64 v[10:11], v10 offset:19744
	ds_read_b64 v[26:27], v26 offset:19760
	v_cmp_gt_u32_e64 s[14:15], 2, v15
	s_waitcnt lgkmcnt(0)
	v_fma_f64 v[10:11], v[10:11], v[26:27], 0
	s_and_saveexec_b64 s[20:21], s[14:15]
	s_cbranch_execz .LBB122_426
; %bb.425:
	v_lshlrev_b32_e32 v26, 3, v0
	v_mov_b32_e32 v28, 0
	ds_read_b64 v[26:27], v26 offset:20256
	ds_read_b64 v[28:29], v28 offset:20280
	s_waitcnt lgkmcnt(0)
	v_fma_f64 v[10:11], v[26:27], v[28:29], v[10:11]
.LBB122_426:
	s_or_b64 exec, exec, s[20:21]
.LBB122_427:
	s_or_b64 exec, exec, s[16:17]
	s_and_saveexec_b64 s[14:15], s[40:41]
; %bb.428:
	v_xor_b32_e32 v27, 0x80000000, v11
	v_mov_b32_e32 v26, v10
	ds_write_b64 v14, v[26:27]
; %bb.429:
	s_or_b64 exec, exec, s[14:15]
	s_waitcnt lgkmcnt(0)
	s_barrier
	s_and_saveexec_b64 s[14:15], s[38:39]
	s_cbranch_execz .LBB122_431
; %bb.430:
	v_mov_b32_e32 v26, 0
	ds_read_b64 v[26:27], v26 offset:19232
	ds_read_b64 v[28:29], v14
	s_waitcnt lgkmcnt(0)
	v_fma_f64 v[10:11], -v[26:27], v[28:29], v[10:11]
.LBB122_431:
	s_or_b64 exec, exec, s[14:15]
	s_barrier
	s_and_saveexec_b64 s[14:15], s[38:39]
; %bb.432:
	v_xor_b32_e32 v27, 0x80000000, v11
	v_mov_b32_e32 v26, v10
	ds_write_b64 v14, v[26:27]
; %bb.433:
	s_or_b64 exec, exec, s[14:15]
	s_waitcnt lgkmcnt(0)
	s_barrier
	s_barrier
	s_and_saveexec_b64 s[14:15], s[2:3]
; %bb.434:
	v_lshlrev_b32_e32 v26, 3, v12
	v_lshl_or_b32 v26, v13, 9, v26
	ds_write_b64 v26, v[10:11] offset:19744
; %bb.435:
	s_or_b64 exec, exec, s[14:15]
	s_waitcnt lgkmcnt(0)
	s_barrier
	s_barrier
	s_and_saveexec_b64 s[14:15], s[42:43]
	s_cbranch_execz .LBB122_437
; %bb.436:
	v_lshlrev_b32_e32 v26, 3, v0
	s_movk_i32 s16, 0x1f8
	v_mad_u32_u24 v27, v0, s16, v26
	ds_read_b64 v[10:11], v27 offset:19744
	s_waitcnt lgkmcnt(0)
	ds_write_b64 v26, v[10:11] offset:18736
	ds_read_b64 v[10:11], v27 offset:19752
	s_waitcnt lgkmcnt(0)
	ds_write_b64 v26, v[10:11] offset:19248
.LBB122_437:
	s_or_b64 exec, exec, s[14:15]
	s_waitcnt lgkmcnt(0)
	s_barrier
	s_and_saveexec_b64 s[14:15], vcc
	s_cbranch_execz .LBB122_439
; %bb.438:
	v_mov_b32_e32 v26, 0
	ds_read_b64 v[28:29], v26 offset:19232
	v_mov_b32_e32 v27, 0x3ff00000
	ds_write_b64 v26, v[26:27] offset:19240
	s_waitcnt lgkmcnt(1)
	ds_write_b128 v26, v[26:29] offset:18720
.LBB122_439:
	s_or_b64 exec, exec, s[14:15]
	v_mov_b32_e32 v10, 0
	v_mov_b32_e32 v11, 0
	s_waitcnt lgkmcnt(0)
	s_barrier
	buffer_wbinvl1_vol
	s_and_saveexec_b64 s[16:17], s[18:19]
	s_cbranch_execz .LBB122_445
; %bb.440:
	v_lshlrev_b32_e32 v27, 3, v16
	v_lshlrev_b32_e32 v26, 9, v17
	ds_read_b64 v[10:11], v27 offset:18688
	ds_read_b64 v[28:29], v26 offset:18720
	v_cmp_gt_u32_e64 s[14:15], 12, v15
	s_waitcnt lgkmcnt(0)
	v_fma_f64 v[10:11], v[10:11], v[28:29], 0
	s_and_saveexec_b64 s[20:21], s[14:15]
	s_cbranch_execnz .LBB122_1194
; %bb.441:
	s_or_b64 exec, exec, s[20:21]
	v_cmp_gt_u32_e64 s[14:15], 8, v15
	s_and_saveexec_b64 s[20:21], s[14:15]
	s_cbranch_execnz .LBB122_1195
.LBB122_442:
	s_or_b64 exec, exec, s[20:21]
	v_cmp_gt_u32_e64 s[14:15], 4, v15
	s_and_saveexec_b64 s[20:21], s[14:15]
	s_cbranch_execz .LBB122_444
.LBB122_443:
	v_lshlrev_b32_e32 v26, 3, v0
	v_mov_b32_e32 v28, 0
	ds_read_b64 v[26:27], v26 offset:20224
	ds_read_b64 v[28:29], v28 offset:20280
	s_waitcnt lgkmcnt(0)
	v_fma_f64 v[10:11], v[26:27], v[28:29], v[10:11]
.LBB122_444:
	s_or_b64 exec, exec, s[20:21]
.LBB122_445:
	s_or_b64 exec, exec, s[16:17]
	s_and_saveexec_b64 s[14:15], s[46:47]
; %bb.446:
	v_xor_b32_e32 v27, 0x80000000, v11
	v_mov_b32_e32 v26, v10
	ds_write_b64 v19, v[26:27]
; %bb.447:
	s_or_b64 exec, exec, s[14:15]
	s_waitcnt lgkmcnt(0)
	s_barrier
	s_and_saveexec_b64 s[14:15], s[48:49]
	s_cbranch_execz .LBB122_449
; %bb.448:
	v_lshlrev_b32_e32 v26, 3, v16
	ds_read_b64 v[26:27], v26 offset:18176
	ds_read_b64 v[28:29], v19
	s_waitcnt lgkmcnt(0)
	v_fma_f64 v[10:11], -v[26:27], v[28:29], v[10:11]
.LBB122_449:
	s_or_b64 exec, exec, s[14:15]
	s_barrier
	s_and_saveexec_b64 s[14:15], s[50:51]
; %bb.450:
	v_xor_b32_e32 v27, 0x80000000, v11
	v_mov_b32_e32 v26, v10
	ds_write_b64 v19, v[26:27]
; %bb.451:
	s_or_b64 exec, exec, s[14:15]
	s_waitcnt lgkmcnt(0)
	s_barrier
	s_and_saveexec_b64 s[14:15], s[52:53]
	s_cbranch_execz .LBB122_453
; %bb.452:
	v_lshlrev_b32_e32 v26, 3, v16
	ds_read_b64 v[26:27], v26 offset:17664
	ds_read_b64 v[28:29], v19
	s_waitcnt lgkmcnt(0)
	v_fma_f64 v[10:11], -v[26:27], v[28:29], v[10:11]
.LBB122_453:
	s_or_b64 exec, exec, s[14:15]
	s_barrier
	s_and_saveexec_b64 s[14:15], s[54:55]
; %bb.454:
	v_xor_b32_e32 v27, 0x80000000, v11
	v_mov_b32_e32 v26, v10
	ds_write_b64 v19, v[26:27]
; %bb.455:
	s_or_b64 exec, exec, s[14:15]
	s_waitcnt lgkmcnt(0)
	s_barrier
	s_and_saveexec_b64 s[14:15], s[44:45]
	s_cbranch_execz .LBB122_457
; %bb.456:
	v_mov_b32_e32 v26, 0
	ds_read_b64 v[26:27], v26 offset:17152
	ds_read_b64 v[28:29], v19
	s_waitcnt lgkmcnt(0)
	v_fma_f64 v[10:11], -v[26:27], v[28:29], v[10:11]
.LBB122_457:
	s_or_b64 exec, exec, s[14:15]
	s_barrier
	s_and_saveexec_b64 s[14:15], s[44:45]
; %bb.458:
	v_xor_b32_e32 v27, 0x80000000, v11
	v_mov_b32_e32 v26, v10
	ds_write_b64 v19, v[26:27]
; %bb.459:
	s_or_b64 exec, exec, s[14:15]
	s_waitcnt lgkmcnt(0)
	s_barrier
	s_barrier
	s_and_saveexec_b64 s[14:15], s[18:19]
; %bb.460:
	v_lshlrev_b32_e32 v26, 3, v16
	v_lshl_or_b32 v26, v17, 9, v26
	ds_write_b64 v26, v[10:11] offset:18688
; %bb.461:
	s_or_b64 exec, exec, s[14:15]
	s_waitcnt lgkmcnt(0)
	s_barrier
	s_barrier
	s_and_saveexec_b64 s[14:15], s[56:57]
	s_cbranch_execz .LBB122_463
; %bb.462:
	v_lshlrev_b32_e32 v26, 9, v0
	ds_read_b64 v[10:11], v26 offset:18688
	s_movk_i32 s16, 0xfe08
	v_mad_i32_i24 v27, v0, s16, v26
	s_waitcnt lgkmcnt(0)
	ds_write_b64 v27, v[10:11] offset:16672
	ds_read_b64 v[10:11], v26 offset:18696
	s_waitcnt lgkmcnt(0)
	ds_write_b64 v27, v[10:11] offset:17184
	ds_read_b64 v[10:11], v26 offset:18704
	;; [unrolled: 3-line block ×3, first 2 shown]
	s_waitcnt lgkmcnt(0)
	ds_write_b64 v27, v[10:11] offset:18208
.LBB122_463:
	s_or_b64 exec, exec, s[14:15]
	s_waitcnt lgkmcnt(0)
	s_barrier
	s_and_saveexec_b64 s[14:15], vcc
	s_cbranch_execz .LBB122_465
; %bb.464:
	v_mov_b32_e32 v26, 0
	ds_read_b64 v[28:29], v26 offset:18192
	v_mov_b32_e32 v27, 0x3ff00000
	ds_write_b64 v26, v[26:27] offset:18200
	s_waitcnt lgkmcnt(1)
	ds_write_b128 v26, v[26:29] offset:17680
.LBB122_465:
	s_or_b64 exec, exec, s[14:15]
	v_mov_b32_e32 v10, 0
	v_mov_b32_e32 v11, 0
	s_waitcnt lgkmcnt(0)
	s_barrier
	buffer_wbinvl1_vol
	s_and_saveexec_b64 s[16:17], s[2:3]
	s_cbranch_execz .LBB122_469
; %bb.466:
	v_lshlrev_b32_e32 v26, 9, v13
	v_lshlrev_b32_e32 v10, 3, v12
	ds_read_b64 v[10:11], v10 offset:17664
	ds_read_b64 v[26:27], v26 offset:17680
	v_cmp_gt_u32_e64 s[14:15], 2, v15
	s_waitcnt lgkmcnt(0)
	v_fma_f64 v[10:11], v[10:11], v[26:27], 0
	s_and_saveexec_b64 s[20:21], s[14:15]
	s_cbranch_execz .LBB122_468
; %bb.467:
	v_lshlrev_b32_e32 v26, 3, v0
	v_mov_b32_e32 v28, 0
	ds_read_b64 v[26:27], v26 offset:18176
	ds_read_b64 v[28:29], v28 offset:18200
	s_waitcnt lgkmcnt(0)
	v_fma_f64 v[10:11], v[26:27], v[28:29], v[10:11]
.LBB122_468:
	s_or_b64 exec, exec, s[20:21]
.LBB122_469:
	s_or_b64 exec, exec, s[16:17]
	s_and_saveexec_b64 s[14:15], s[40:41]
; %bb.470:
	v_xor_b32_e32 v27, 0x80000000, v11
	v_mov_b32_e32 v26, v10
	ds_write_b64 v14, v[26:27]
; %bb.471:
	s_or_b64 exec, exec, s[14:15]
	s_waitcnt lgkmcnt(0)
	s_barrier
	s_and_saveexec_b64 s[14:15], s[38:39]
	s_cbranch_execz .LBB122_473
; %bb.472:
	v_mov_b32_e32 v26, 0
	ds_read_b64 v[26:27], v26 offset:17152
	ds_read_b64 v[28:29], v14
	s_waitcnt lgkmcnt(0)
	v_fma_f64 v[10:11], -v[26:27], v[28:29], v[10:11]
.LBB122_473:
	s_or_b64 exec, exec, s[14:15]
	s_barrier
	s_and_saveexec_b64 s[14:15], s[38:39]
; %bb.474:
	v_xor_b32_e32 v27, 0x80000000, v11
	v_mov_b32_e32 v26, v10
	ds_write_b64 v14, v[26:27]
; %bb.475:
	s_or_b64 exec, exec, s[14:15]
	s_waitcnt lgkmcnt(0)
	s_barrier
	s_barrier
	s_and_saveexec_b64 s[14:15], s[2:3]
; %bb.476:
	v_lshlrev_b32_e32 v26, 3, v12
	v_lshl_or_b32 v26, v13, 9, v26
	ds_write_b64 v26, v[10:11] offset:17664
; %bb.477:
	s_or_b64 exec, exec, s[14:15]
	s_waitcnt lgkmcnt(0)
	s_barrier
	s_barrier
	s_and_saveexec_b64 s[14:15], s[42:43]
	s_cbranch_execz .LBB122_479
; %bb.478:
	v_lshlrev_b32_e32 v26, 3, v0
	s_movk_i32 s16, 0x1f8
	v_mad_u32_u24 v27, v0, s16, v26
	ds_read_b64 v[10:11], v27 offset:17664
	s_waitcnt lgkmcnt(0)
	ds_write_b64 v26, v[10:11] offset:16656
	ds_read_b64 v[10:11], v27 offset:17672
	s_waitcnt lgkmcnt(0)
	ds_write_b64 v26, v[10:11] offset:17168
.LBB122_479:
	s_or_b64 exec, exec, s[14:15]
	s_waitcnt lgkmcnt(0)
	s_barrier
	s_and_saveexec_b64 s[14:15], vcc
	s_cbranch_execz .LBB122_481
; %bb.480:
	v_mov_b32_e32 v26, 0
	ds_read_b64 v[28:29], v26 offset:17152
	v_mov_b32_e32 v27, 0x3ff00000
	ds_write_b64 v26, v[26:27] offset:17160
	s_waitcnt lgkmcnt(1)
	ds_write_b128 v26, v[26:29] offset:16640
.LBB122_481:
	s_or_b64 exec, exec, s[14:15]
	s_movk_i32 s14, 0x3ff
	v_and_b32_e32 v28, 31, v0
	v_lshrrev_b32_e32 v29, 5, v15
	v_cmp_lt_u32_e64 s[16:17], s14, v15
	s_movk_i32 s14, 0x400
	v_mov_b32_e32 v10, 0
	v_sub_u32_e32 v26, 31, v29
	v_cmp_gt_u32_e64 s[14:15], s14, v15
	v_mov_b32_e32 v11, 0
	v_lshlrev_b32_e32 v27, 3, v28
	s_waitcnt lgkmcnt(0)
	s_barrier
	buffer_wbinvl1_vol
	s_and_saveexec_b64 s[92:93], s[14:15]
	s_cbranch_execz .LBB122_543
; %bb.482:
	v_lshlrev_b32_e32 v30, 9, v26
	ds_read_b64 v[10:11], v27 offset:16384
	ds_read_b64 v[31:32], v30 offset:16640
	s_movk_i32 s20, 0x3e0
	v_cmp_gt_u32_e64 s[20:21], s20, v15
	s_waitcnt lgkmcnt(0)
	v_fma_f64 v[10:11], v[10:11], v[31:32], 0
	s_and_saveexec_b64 s[34:35], s[20:21]
	s_cbranch_execz .LBB122_484
; %bb.483:
	ds_read_b64 v[31:32], v27 offset:16896
	ds_read_b64 v[33:34], v30 offset:16648
	s_waitcnt lgkmcnt(0)
	v_fma_f64 v[10:11], v[31:32], v[33:34], v[10:11]
.LBB122_484:
	s_or_b64 exec, exec, s[34:35]
	s_movk_i32 s20, 0x3c0
	v_cmp_gt_u32_e64 s[20:21], s20, v15
	s_and_saveexec_b64 s[34:35], s[20:21]
	s_cbranch_execz .LBB122_486
; %bb.485:
	ds_read_b64 v[31:32], v27 offset:17408
	ds_read_b64 v[33:34], v30 offset:16656
	s_waitcnt lgkmcnt(0)
	v_fma_f64 v[10:11], v[31:32], v[33:34], v[10:11]
.LBB122_486:
	s_or_b64 exec, exec, s[34:35]
	s_movk_i32 s20, 0x3a0
	v_cmp_gt_u32_e64 s[20:21], s20, v15
	s_and_saveexec_b64 s[34:35], s[20:21]
	s_cbranch_execz .LBB122_488
; %bb.487:
	ds_read_b64 v[31:32], v27 offset:17920
	ds_read_b64 v[33:34], v30 offset:16664
	s_waitcnt lgkmcnt(0)
	v_fma_f64 v[10:11], v[31:32], v[33:34], v[10:11]
.LBB122_488:
	s_or_b64 exec, exec, s[34:35]
	s_movk_i32 s20, 0x380
	v_cmp_gt_u32_e64 s[20:21], s20, v15
	s_and_saveexec_b64 s[34:35], s[20:21]
	s_cbranch_execz .LBB122_490
; %bb.489:
	ds_read_b64 v[31:32], v27 offset:18432
	ds_read_b64 v[33:34], v30 offset:16672
	s_waitcnt lgkmcnt(0)
	v_fma_f64 v[10:11], v[31:32], v[33:34], v[10:11]
.LBB122_490:
	s_or_b64 exec, exec, s[34:35]
	s_movk_i32 s20, 0x360
	v_cmp_gt_u32_e64 s[20:21], s20, v15
	s_and_saveexec_b64 s[34:35], s[20:21]
	s_cbranch_execz .LBB122_492
; %bb.491:
	ds_read_b64 v[31:32], v27 offset:18944
	ds_read_b64 v[33:34], v30 offset:16680
	s_waitcnt lgkmcnt(0)
	v_fma_f64 v[10:11], v[31:32], v[33:34], v[10:11]
.LBB122_492:
	s_or_b64 exec, exec, s[34:35]
	s_movk_i32 s20, 0x340
	v_cmp_gt_u32_e64 s[20:21], s20, v15
	s_and_saveexec_b64 s[34:35], s[20:21]
	s_cbranch_execz .LBB122_494
; %bb.493:
	ds_read_b64 v[31:32], v27 offset:19456
	ds_read_b64 v[33:34], v30 offset:16688
	s_waitcnt lgkmcnt(0)
	v_fma_f64 v[10:11], v[31:32], v[33:34], v[10:11]
.LBB122_494:
	s_or_b64 exec, exec, s[34:35]
	s_movk_i32 s20, 0x320
	v_cmp_gt_u32_e64 s[20:21], s20, v15
	s_and_saveexec_b64 s[34:35], s[20:21]
	s_cbranch_execz .LBB122_496
; %bb.495:
	ds_read_b64 v[31:32], v27 offset:19968
	ds_read_b64 v[33:34], v30 offset:16696
	s_waitcnt lgkmcnt(0)
	v_fma_f64 v[10:11], v[31:32], v[33:34], v[10:11]
.LBB122_496:
	s_or_b64 exec, exec, s[34:35]
	s_movk_i32 s20, 0x300
	v_cmp_gt_u32_e64 s[20:21], s20, v15
	s_and_saveexec_b64 s[34:35], s[20:21]
	s_cbranch_execz .LBB122_498
; %bb.497:
	ds_read_b64 v[31:32], v27 offset:20480
	ds_read_b64 v[33:34], v30 offset:16704
	s_waitcnt lgkmcnt(0)
	v_fma_f64 v[10:11], v[31:32], v[33:34], v[10:11]
.LBB122_498:
	s_or_b64 exec, exec, s[34:35]
	s_movk_i32 s20, 0x2e0
	v_cmp_gt_u32_e64 s[20:21], s20, v15
	s_and_saveexec_b64 s[34:35], s[20:21]
	s_cbranch_execz .LBB122_500
; %bb.499:
	ds_read_b64 v[31:32], v27 offset:20992
	ds_read_b64 v[33:34], v30 offset:16712
	s_waitcnt lgkmcnt(0)
	v_fma_f64 v[10:11], v[31:32], v[33:34], v[10:11]
.LBB122_500:
	s_or_b64 exec, exec, s[34:35]
	s_movk_i32 s20, 0x2c0
	v_cmp_gt_u32_e64 s[20:21], s20, v15
	s_and_saveexec_b64 s[34:35], s[20:21]
	s_cbranch_execz .LBB122_502
; %bb.501:
	ds_read_b64 v[31:32], v27 offset:21504
	ds_read_b64 v[33:34], v30 offset:16720
	s_waitcnt lgkmcnt(0)
	v_fma_f64 v[10:11], v[31:32], v[33:34], v[10:11]
.LBB122_502:
	s_or_b64 exec, exec, s[34:35]
	s_movk_i32 s20, 0x2a0
	v_cmp_gt_u32_e64 s[20:21], s20, v15
	s_and_saveexec_b64 s[34:35], s[20:21]
	s_cbranch_execz .LBB122_504
; %bb.503:
	ds_read_b64 v[31:32], v27 offset:22016
	ds_read_b64 v[33:34], v30 offset:16728
	s_waitcnt lgkmcnt(0)
	v_fma_f64 v[10:11], v[31:32], v[33:34], v[10:11]
.LBB122_504:
	s_or_b64 exec, exec, s[34:35]
	s_movk_i32 s20, 0x280
	v_cmp_gt_u32_e64 s[20:21], s20, v15
	s_and_saveexec_b64 s[34:35], s[20:21]
	s_cbranch_execz .LBB122_506
; %bb.505:
	ds_read_b64 v[31:32], v27 offset:22528
	ds_read_b64 v[33:34], v30 offset:16736
	s_waitcnt lgkmcnt(0)
	v_fma_f64 v[10:11], v[31:32], v[33:34], v[10:11]
.LBB122_506:
	s_or_b64 exec, exec, s[34:35]
	s_movk_i32 s20, 0x260
	v_cmp_gt_u32_e64 s[20:21], s20, v15
	s_and_saveexec_b64 s[34:35], s[20:21]
	s_cbranch_execz .LBB122_508
; %bb.507:
	ds_read_b64 v[31:32], v27 offset:23040
	ds_read_b64 v[33:34], v30 offset:16744
	s_waitcnt lgkmcnt(0)
	v_fma_f64 v[10:11], v[31:32], v[33:34], v[10:11]
.LBB122_508:
	s_or_b64 exec, exec, s[34:35]
	s_movk_i32 s20, 0x240
	v_cmp_gt_u32_e64 s[20:21], s20, v15
	s_and_saveexec_b64 s[34:35], s[20:21]
	s_cbranch_execz .LBB122_510
; %bb.509:
	ds_read_b64 v[31:32], v27 offset:23552
	ds_read_b64 v[33:34], v30 offset:16752
	s_waitcnt lgkmcnt(0)
	v_fma_f64 v[10:11], v[31:32], v[33:34], v[10:11]
.LBB122_510:
	s_or_b64 exec, exec, s[34:35]
	s_movk_i32 s20, 0x220
	v_cmp_gt_u32_e64 s[20:21], s20, v15
	s_and_saveexec_b64 s[34:35], s[20:21]
	s_cbranch_execz .LBB122_512
; %bb.511:
	ds_read_b64 v[31:32], v27 offset:24064
	ds_read_b64 v[33:34], v30 offset:16760
	s_waitcnt lgkmcnt(0)
	v_fma_f64 v[10:11], v[31:32], v[33:34], v[10:11]
.LBB122_512:
	s_or_b64 exec, exec, s[34:35]
	s_movk_i32 s20, 0x200
	v_cmp_gt_u32_e64 s[20:21], s20, v15
	s_and_saveexec_b64 s[34:35], s[20:21]
	s_cbranch_execz .LBB122_514
; %bb.513:
	ds_read_b64 v[31:32], v27 offset:24576
	ds_read_b64 v[33:34], v30 offset:16768
	s_waitcnt lgkmcnt(0)
	v_fma_f64 v[10:11], v[31:32], v[33:34], v[10:11]
.LBB122_514:
	s_or_b64 exec, exec, s[34:35]
	s_movk_i32 s20, 0x1e0
	v_cmp_gt_u32_e64 s[20:21], s20, v15
	s_and_saveexec_b64 s[34:35], s[20:21]
	s_cbranch_execz .LBB122_516
; %bb.515:
	ds_read_b64 v[31:32], v27 offset:25088
	ds_read_b64 v[33:34], v30 offset:16776
	s_waitcnt lgkmcnt(0)
	v_fma_f64 v[10:11], v[31:32], v[33:34], v[10:11]
.LBB122_516:
	s_or_b64 exec, exec, s[34:35]
	s_movk_i32 s20, 0x1c0
	v_cmp_gt_u32_e64 s[20:21], s20, v15
	s_and_saveexec_b64 s[34:35], s[20:21]
	s_cbranch_execz .LBB122_518
; %bb.517:
	ds_read_b64 v[31:32], v27 offset:25600
	ds_read_b64 v[33:34], v30 offset:16784
	s_waitcnt lgkmcnt(0)
	v_fma_f64 v[10:11], v[31:32], v[33:34], v[10:11]
.LBB122_518:
	s_or_b64 exec, exec, s[34:35]
	s_movk_i32 s20, 0x1a0
	v_cmp_gt_u32_e64 s[20:21], s20, v15
	s_and_saveexec_b64 s[34:35], s[20:21]
	s_cbranch_execz .LBB122_520
; %bb.519:
	ds_read_b64 v[31:32], v27 offset:26112
	ds_read_b64 v[33:34], v30 offset:16792
	s_waitcnt lgkmcnt(0)
	v_fma_f64 v[10:11], v[31:32], v[33:34], v[10:11]
.LBB122_520:
	s_or_b64 exec, exec, s[34:35]
	s_movk_i32 s20, 0x180
	v_cmp_gt_u32_e64 s[20:21], s20, v15
	s_and_saveexec_b64 s[34:35], s[20:21]
	s_cbranch_execz .LBB122_522
; %bb.521:
	ds_read_b64 v[31:32], v27 offset:26624
	ds_read_b64 v[33:34], v30 offset:16800
	s_waitcnt lgkmcnt(0)
	v_fma_f64 v[10:11], v[31:32], v[33:34], v[10:11]
.LBB122_522:
	s_or_b64 exec, exec, s[34:35]
	s_movk_i32 s20, 0x160
	v_cmp_gt_u32_e64 s[20:21], s20, v15
	s_and_saveexec_b64 s[34:35], s[20:21]
	s_cbranch_execz .LBB122_524
; %bb.523:
	ds_read_b64 v[31:32], v27 offset:27136
	ds_read_b64 v[33:34], v30 offset:16808
	s_waitcnt lgkmcnt(0)
	v_fma_f64 v[10:11], v[31:32], v[33:34], v[10:11]
.LBB122_524:
	s_or_b64 exec, exec, s[34:35]
	s_movk_i32 s20, 0x140
	v_cmp_gt_u32_e64 s[20:21], s20, v15
	s_and_saveexec_b64 s[34:35], s[20:21]
	s_cbranch_execz .LBB122_526
; %bb.525:
	ds_read_b64 v[31:32], v27 offset:27648
	ds_read_b64 v[33:34], v30 offset:16816
	s_waitcnt lgkmcnt(0)
	v_fma_f64 v[10:11], v[31:32], v[33:34], v[10:11]
.LBB122_526:
	s_or_b64 exec, exec, s[34:35]
	s_movk_i32 s20, 0x120
	v_cmp_gt_u32_e64 s[20:21], s20, v15
	s_and_saveexec_b64 s[34:35], s[20:21]
	s_cbranch_execz .LBB122_528
; %bb.527:
	ds_read_b64 v[31:32], v27 offset:28160
	ds_read_b64 v[33:34], v30 offset:16824
	s_waitcnt lgkmcnt(0)
	v_fma_f64 v[10:11], v[31:32], v[33:34], v[10:11]
.LBB122_528:
	s_or_b64 exec, exec, s[34:35]
	s_and_saveexec_b64 s[20:21], s[10:11]
	s_cbranch_execz .LBB122_530
; %bb.529:
	ds_read_b64 v[31:32], v27 offset:28672
	ds_read_b64 v[33:34], v30 offset:16832
	s_waitcnt lgkmcnt(0)
	v_fma_f64 v[10:11], v[31:32], v[33:34], v[10:11]
.LBB122_530:
	s_or_b64 exec, exec, s[20:21]
	s_movk_i32 s20, 0xe0
	v_cmp_gt_u32_e64 s[20:21], s20, v15
	s_and_saveexec_b64 s[34:35], s[20:21]
	s_cbranch_execz .LBB122_532
; %bb.531:
	ds_read_b64 v[31:32], v27 offset:29184
	ds_read_b64 v[33:34], v30 offset:16840
	s_waitcnt lgkmcnt(0)
	v_fma_f64 v[10:11], v[31:32], v[33:34], v[10:11]
.LBB122_532:
	s_or_b64 exec, exec, s[34:35]
	s_movk_i32 s20, 0xc0
	v_cmp_gt_u32_e64 s[20:21], s20, v15
	;; [unrolled: 11-line block ×5, first 2 shown]
	s_and_saveexec_b64 s[34:35], s[20:21]
	s_cbranch_execnz .LBB122_1196
; %bb.539:
	s_or_b64 exec, exec, s[34:35]
	s_and_saveexec_b64 s[20:21], s[8:9]
	s_cbranch_execnz .LBB122_1197
.LBB122_540:
	s_or_b64 exec, exec, s[20:21]
	v_cmp_gt_u32_e64 s[20:21], 32, v15
	s_and_saveexec_b64 s[34:35], s[20:21]
	s_cbranch_execz .LBB122_542
.LBB122_541:
	v_lshlrev_b32_e32 v30, 3, v0
	v_mov_b32_e32 v32, 0
	ds_read_b64 v[30:31], v30 offset:32256
	ds_read_b64 v[32:33], v32 offset:32760
	s_waitcnt lgkmcnt(0)
	v_fma_f64 v[10:11], v[30:31], v[32:33], v[10:11]
.LBB122_542:
	s_or_b64 exec, exec, s[34:35]
.LBB122_543:
	s_or_b64 exec, exec, s[92:93]
	v_mov_b32_e32 v30, 0x8000
	v_cmp_eq_u32_e64 s[20:21], 31, v28
	s_xor_b64 s[92:93], s[16:17], -1
	v_lshl_add_u32 v29, v29, 3, v30
	s_and_b64 s[20:21], s[92:93], s[20:21]
	s_and_saveexec_b64 s[16:17], s[20:21]
; %bb.544:
	v_xor_b32_e32 v31, 0x80000000, v11
	v_mov_b32_e32 v30, v10
	ds_write_b64 v29, v[30:31]
; %bb.545:
	s_or_b64 exec, exec, s[16:17]
	v_cmp_ne_u32_e64 s[16:17], 31, v28
	s_and_b64 s[20:21], s[92:93], s[16:17]
	s_waitcnt lgkmcnt(0)
	s_barrier
	s_and_saveexec_b64 s[16:17], s[20:21]
	s_cbranch_execz .LBB122_547
; %bb.546:
	ds_read_b64 v[30:31], v27 offset:15872
	ds_read_b64 v[32:33], v29
	s_waitcnt lgkmcnt(0)
	v_fma_f64 v[10:11], -v[30:31], v[32:33], v[10:11]
.LBB122_547:
	s_or_b64 exec, exec, s[16:17]
	v_cmp_eq_u32_e64 s[16:17], 30, v28
	s_and_b64 s[20:21], s[92:93], s[16:17]
	s_barrier
	s_and_saveexec_b64 s[16:17], s[20:21]
; %bb.548:
	v_xor_b32_e32 v31, 0x80000000, v11
	v_mov_b32_e32 v30, v10
	ds_write_b64 v29, v[30:31]
; %bb.549:
	s_or_b64 exec, exec, s[16:17]
	v_cmp_gt_u32_e64 s[16:17], 30, v28
	s_and_b64 s[20:21], s[92:93], s[16:17]
	s_waitcnt lgkmcnt(0)
	s_barrier
	s_and_saveexec_b64 s[16:17], s[20:21]
	s_cbranch_execz .LBB122_551
; %bb.550:
	ds_read_b64 v[30:31], v27 offset:15360
	ds_read_b64 v[32:33], v29
	s_waitcnt lgkmcnt(0)
	v_fma_f64 v[10:11], -v[30:31], v[32:33], v[10:11]
.LBB122_551:
	s_or_b64 exec, exec, s[16:17]
	v_cmp_eq_u32_e64 s[16:17], 29, v28
	s_and_b64 s[20:21], s[92:93], s[16:17]
	s_barrier
	s_and_saveexec_b64 s[16:17], s[20:21]
; %bb.552:
	v_xor_b32_e32 v31, 0x80000000, v11
	v_mov_b32_e32 v30, v10
	ds_write_b64 v29, v[30:31]
; %bb.553:
	s_or_b64 exec, exec, s[16:17]
	v_cmp_gt_u32_e64 s[16:17], 29, v28
	;; [unrolled: 23-line block ×29, first 2 shown]
	s_and_b64 s[20:21], s[92:93], s[16:17]
	s_waitcnt lgkmcnt(0)
	s_barrier
	s_and_saveexec_b64 s[16:17], s[20:21]
	s_cbranch_execz .LBB122_663
; %bb.662:
	ds_read_b64 v[30:31], v27 offset:1024
	ds_read_b64 v[32:33], v29
	s_waitcnt lgkmcnt(0)
	v_fma_f64 v[10:11], -v[30:31], v[32:33], v[10:11]
.LBB122_663:
	s_or_b64 exec, exec, s[16:17]
	v_cmp_eq_u32_e64 s[16:17], 1, v28
	s_and_b64 s[20:21], s[92:93], s[16:17]
	s_barrier
	s_and_saveexec_b64 s[16:17], s[20:21]
; %bb.664:
	v_xor_b32_e32 v31, 0x80000000, v11
	v_mov_b32_e32 v30, v10
	ds_write_b64 v29, v[30:31]
; %bb.665:
	s_or_b64 exec, exec, s[16:17]
	v_cmp_eq_u32_e64 s[16:17], 0, v28
	s_and_b64 s[16:17], s[92:93], s[16:17]
	s_waitcnt lgkmcnt(0)
	s_barrier
	s_and_saveexec_b64 s[20:21], s[16:17]
	s_cbranch_execz .LBB122_667
; %bb.666:
	ds_read_b64 v[30:31], v27 offset:512
	ds_read_b64 v[32:33], v29
	s_waitcnt lgkmcnt(0)
	v_fma_f64 v[10:11], -v[30:31], v[32:33], v[10:11]
.LBB122_667:
	s_or_b64 exec, exec, s[20:21]
	s_barrier
	s_and_saveexec_b64 s[20:21], s[16:17]
; %bb.668:
	v_xor_b32_e32 v31, 0x80000000, v11
	v_mov_b32_e32 v30, v10
	ds_write_b64 v29, v[30:31]
; %bb.669:
	s_or_b64 exec, exec, s[20:21]
	s_waitcnt lgkmcnt(0)
	s_barrier
	s_barrier
	s_and_saveexec_b64 s[16:17], s[14:15]
; %bb.670:
	v_lshl_or_b32 v26, v26, 9, v27
	ds_write_b64 v26, v[10:11] offset:16384
; %bb.671:
	s_or_b64 exec, exec, s[16:17]
	v_cmp_gt_u32_e64 s[14:15], 32, v0
	s_and_b64 s[14:15], s[12:13], s[14:15]
	s_waitcnt lgkmcnt(0)
	s_barrier
	s_barrier
	s_and_saveexec_b64 s[12:13], s[14:15]
	s_cbranch_execz .LBB122_673
; %bb.672:
	v_lshlrev_b32_e32 v26, 9, v0
	ds_read_b64 v[10:11], v26 offset:16384
	s_movk_i32 s14, 0xfe08
	v_mad_i32_i24 v27, v0, s14, v26
	s_waitcnt lgkmcnt(0)
	ds_write_b64 v27, v[10:11] offset:256
	ds_read_b64 v[10:11], v26 offset:16392
	s_waitcnt lgkmcnt(0)
	ds_write_b64 v27, v[10:11] offset:768
	ds_read_b64 v[10:11], v26 offset:16400
	;; [unrolled: 3-line block ×31, first 2 shown]
	s_waitcnt lgkmcnt(0)
	ds_write_b64 v27, v[10:11] offset:16128
.LBB122_673:
	s_or_b64 exec, exec, s[12:13]
	s_waitcnt lgkmcnt(0)
	s_barrier
	s_and_saveexec_b64 s[12:13], vcc
	s_cbranch_execz .LBB122_675
; %bb.674:
	v_mov_b32_e32 v26, 0
	ds_read_b64 v[28:29], v26 offset:16112
	v_mov_b32_e32 v27, 0x3ff00000
	ds_write_b64 v26, v[26:27] offset:16120
	s_waitcnt lgkmcnt(1)
	ds_write_b128 v26, v[26:29] offset:15600
.LBB122_675:
	s_or_b64 exec, exec, s[12:13]
	v_mov_b32_e32 v10, 0
	v_mov_b32_e32 v11, 0
	s_waitcnt lgkmcnt(0)
	s_barrier
	buffer_wbinvl1_vol
	s_and_saveexec_b64 s[14:15], s[2:3]
	s_cbranch_execz .LBB122_679
; %bb.676:
	v_lshlrev_b32_e32 v26, 9, v13
	v_lshlrev_b32_e32 v10, 3, v12
	ds_read_b64 v[10:11], v10 offset:15584
	ds_read_b64 v[26:27], v26 offset:15600
	v_cmp_gt_u32_e64 s[12:13], 2, v15
	s_waitcnt lgkmcnt(0)
	v_fma_f64 v[10:11], v[10:11], v[26:27], 0
	s_and_saveexec_b64 s[16:17], s[12:13]
	s_cbranch_execz .LBB122_678
; %bb.677:
	v_lshlrev_b32_e32 v26, 3, v0
	v_mov_b32_e32 v28, 0
	ds_read_b64 v[26:27], v26 offset:16096
	ds_read_b64 v[28:29], v28 offset:16120
	s_waitcnt lgkmcnt(0)
	v_fma_f64 v[10:11], v[26:27], v[28:29], v[10:11]
.LBB122_678:
	s_or_b64 exec, exec, s[16:17]
.LBB122_679:
	s_or_b64 exec, exec, s[14:15]
	s_and_saveexec_b64 s[12:13], s[40:41]
; %bb.680:
	v_xor_b32_e32 v27, 0x80000000, v11
	v_mov_b32_e32 v26, v10
	ds_write_b64 v14, v[26:27]
; %bb.681:
	s_or_b64 exec, exec, s[12:13]
	s_waitcnt lgkmcnt(0)
	s_barrier
	s_and_saveexec_b64 s[12:13], s[38:39]
	s_cbranch_execz .LBB122_683
; %bb.682:
	v_mov_b32_e32 v26, 0
	ds_read_b64 v[26:27], v26 offset:15072
	ds_read_b64 v[28:29], v14
	s_waitcnt lgkmcnt(0)
	v_fma_f64 v[10:11], -v[26:27], v[28:29], v[10:11]
.LBB122_683:
	s_or_b64 exec, exec, s[12:13]
	s_barrier
	s_and_saveexec_b64 s[12:13], s[38:39]
; %bb.684:
	v_xor_b32_e32 v27, 0x80000000, v11
	v_mov_b32_e32 v26, v10
	ds_write_b64 v14, v[26:27]
; %bb.685:
	s_or_b64 exec, exec, s[12:13]
	s_waitcnt lgkmcnt(0)
	s_barrier
	s_barrier
	s_and_saveexec_b64 s[12:13], s[2:3]
; %bb.686:
	v_lshlrev_b32_e32 v26, 3, v12
	v_lshl_or_b32 v26, v13, 9, v26
	ds_write_b64 v26, v[10:11] offset:15584
; %bb.687:
	s_or_b64 exec, exec, s[12:13]
	s_waitcnt lgkmcnt(0)
	s_barrier
	s_barrier
	s_and_saveexec_b64 s[12:13], s[42:43]
	s_cbranch_execz .LBB122_689
; %bb.688:
	v_lshlrev_b32_e32 v26, 3, v0
	s_movk_i32 s14, 0x1f8
	v_mad_u32_u24 v27, v0, s14, v26
	ds_read_b64 v[10:11], v27 offset:15584
	s_waitcnt lgkmcnt(0)
	ds_write_b64 v26, v[10:11] offset:14576
	ds_read_b64 v[10:11], v27 offset:15592
	s_waitcnt lgkmcnt(0)
	ds_write_b64 v26, v[10:11] offset:15088
.LBB122_689:
	s_or_b64 exec, exec, s[12:13]
	s_waitcnt lgkmcnt(0)
	s_barrier
	s_and_saveexec_b64 s[12:13], vcc
	s_cbranch_execz .LBB122_691
; %bb.690:
	v_mov_b32_e32 v26, 0
	ds_read_b64 v[28:29], v26 offset:15072
	v_mov_b32_e32 v27, 0x3ff00000
	ds_write_b64 v26, v[26:27] offset:15080
	s_waitcnt lgkmcnt(1)
	ds_write_b128 v26, v[26:29] offset:14560
.LBB122_691:
	s_or_b64 exec, exec, s[12:13]
	v_mov_b32_e32 v10, 0
	v_mov_b32_e32 v11, 0
	s_waitcnt lgkmcnt(0)
	s_barrier
	buffer_wbinvl1_vol
	s_and_saveexec_b64 s[14:15], s[18:19]
	s_cbranch_execz .LBB122_697
; %bb.692:
	v_lshlrev_b32_e32 v27, 3, v16
	v_lshlrev_b32_e32 v26, 9, v17
	ds_read_b64 v[10:11], v27 offset:14528
	ds_read_b64 v[28:29], v26 offset:14560
	v_cmp_gt_u32_e64 s[12:13], 12, v15
	s_waitcnt lgkmcnt(0)
	v_fma_f64 v[10:11], v[10:11], v[28:29], 0
	s_and_saveexec_b64 s[16:17], s[12:13]
	s_cbranch_execnz .LBB122_1198
; %bb.693:
	s_or_b64 exec, exec, s[16:17]
	v_cmp_gt_u32_e64 s[12:13], 8, v15
	s_and_saveexec_b64 s[16:17], s[12:13]
	s_cbranch_execnz .LBB122_1199
.LBB122_694:
	s_or_b64 exec, exec, s[16:17]
	v_cmp_gt_u32_e64 s[12:13], 4, v15
	s_and_saveexec_b64 s[16:17], s[12:13]
	s_cbranch_execz .LBB122_696
.LBB122_695:
	v_lshlrev_b32_e32 v26, 3, v0
	v_mov_b32_e32 v28, 0
	ds_read_b64 v[26:27], v26 offset:16064
	ds_read_b64 v[28:29], v28 offset:16120
	s_waitcnt lgkmcnt(0)
	v_fma_f64 v[10:11], v[26:27], v[28:29], v[10:11]
.LBB122_696:
	s_or_b64 exec, exec, s[16:17]
.LBB122_697:
	s_or_b64 exec, exec, s[14:15]
	s_and_saveexec_b64 s[12:13], s[46:47]
; %bb.698:
	v_xor_b32_e32 v27, 0x80000000, v11
	v_mov_b32_e32 v26, v10
	ds_write_b64 v19, v[26:27]
; %bb.699:
	s_or_b64 exec, exec, s[12:13]
	s_waitcnt lgkmcnt(0)
	s_barrier
	s_and_saveexec_b64 s[12:13], s[48:49]
	s_cbranch_execz .LBB122_701
; %bb.700:
	v_lshlrev_b32_e32 v26, 3, v16
	ds_read_b64 v[26:27], v26 offset:14016
	ds_read_b64 v[28:29], v19
	s_waitcnt lgkmcnt(0)
	v_fma_f64 v[10:11], -v[26:27], v[28:29], v[10:11]
.LBB122_701:
	s_or_b64 exec, exec, s[12:13]
	s_barrier
	s_and_saveexec_b64 s[12:13], s[50:51]
; %bb.702:
	v_xor_b32_e32 v27, 0x80000000, v11
	v_mov_b32_e32 v26, v10
	ds_write_b64 v19, v[26:27]
; %bb.703:
	s_or_b64 exec, exec, s[12:13]
	s_waitcnt lgkmcnt(0)
	s_barrier
	s_and_saveexec_b64 s[12:13], s[52:53]
	s_cbranch_execz .LBB122_705
; %bb.704:
	v_lshlrev_b32_e32 v26, 3, v16
	ds_read_b64 v[26:27], v26 offset:13504
	ds_read_b64 v[28:29], v19
	s_waitcnt lgkmcnt(0)
	v_fma_f64 v[10:11], -v[26:27], v[28:29], v[10:11]
.LBB122_705:
	s_or_b64 exec, exec, s[12:13]
	s_barrier
	s_and_saveexec_b64 s[12:13], s[54:55]
; %bb.706:
	v_xor_b32_e32 v27, 0x80000000, v11
	v_mov_b32_e32 v26, v10
	ds_write_b64 v19, v[26:27]
; %bb.707:
	s_or_b64 exec, exec, s[12:13]
	s_waitcnt lgkmcnt(0)
	s_barrier
	s_and_saveexec_b64 s[12:13], s[44:45]
	s_cbranch_execz .LBB122_709
; %bb.708:
	v_mov_b32_e32 v26, 0
	ds_read_b64 v[26:27], v26 offset:12992
	ds_read_b64 v[28:29], v19
	s_waitcnt lgkmcnt(0)
	v_fma_f64 v[10:11], -v[26:27], v[28:29], v[10:11]
.LBB122_709:
	s_or_b64 exec, exec, s[12:13]
	s_barrier
	s_and_saveexec_b64 s[12:13], s[44:45]
; %bb.710:
	v_xor_b32_e32 v27, 0x80000000, v11
	v_mov_b32_e32 v26, v10
	ds_write_b64 v19, v[26:27]
; %bb.711:
	s_or_b64 exec, exec, s[12:13]
	s_waitcnt lgkmcnt(0)
	s_barrier
	s_barrier
	s_and_saveexec_b64 s[12:13], s[18:19]
; %bb.712:
	v_lshlrev_b32_e32 v26, 3, v16
	v_lshl_or_b32 v26, v17, 9, v26
	ds_write_b64 v26, v[10:11] offset:14528
; %bb.713:
	s_or_b64 exec, exec, s[12:13]
	s_waitcnt lgkmcnt(0)
	s_barrier
	s_barrier
	s_and_saveexec_b64 s[12:13], s[56:57]
	s_cbranch_execz .LBB122_715
; %bb.714:
	v_lshlrev_b32_e32 v26, 9, v0
	ds_read_b64 v[10:11], v26 offset:14528
	s_movk_i32 s14, 0xfe08
	v_mad_i32_i24 v27, v0, s14, v26
	s_waitcnt lgkmcnt(0)
	ds_write_b64 v27, v[10:11] offset:12512
	ds_read_b64 v[10:11], v26 offset:14536
	s_waitcnt lgkmcnt(0)
	ds_write_b64 v27, v[10:11] offset:13024
	ds_read_b64 v[10:11], v26 offset:14544
	;; [unrolled: 3-line block ×3, first 2 shown]
	s_waitcnt lgkmcnt(0)
	ds_write_b64 v27, v[10:11] offset:14048
.LBB122_715:
	s_or_b64 exec, exec, s[12:13]
	s_waitcnt lgkmcnt(0)
	s_barrier
	s_and_saveexec_b64 s[12:13], vcc
	s_cbranch_execz .LBB122_717
; %bb.716:
	v_mov_b32_e32 v26, 0
	ds_read_b64 v[28:29], v26 offset:14032
	v_mov_b32_e32 v27, 0x3ff00000
	ds_write_b64 v26, v[26:27] offset:14040
	s_waitcnt lgkmcnt(1)
	ds_write_b128 v26, v[26:29] offset:13520
.LBB122_717:
	s_or_b64 exec, exec, s[12:13]
	v_mov_b32_e32 v10, 0
	v_mov_b32_e32 v11, 0
	s_waitcnt lgkmcnt(0)
	s_barrier
	buffer_wbinvl1_vol
	s_and_saveexec_b64 s[14:15], s[2:3]
	s_cbranch_execz .LBB122_721
; %bb.718:
	v_lshlrev_b32_e32 v26, 9, v13
	v_lshlrev_b32_e32 v10, 3, v12
	ds_read_b64 v[10:11], v10 offset:13504
	ds_read_b64 v[26:27], v26 offset:13520
	v_cmp_gt_u32_e64 s[12:13], 2, v15
	s_waitcnt lgkmcnt(0)
	v_fma_f64 v[10:11], v[10:11], v[26:27], 0
	s_and_saveexec_b64 s[16:17], s[12:13]
	s_cbranch_execz .LBB122_720
; %bb.719:
	v_lshlrev_b32_e32 v26, 3, v0
	v_mov_b32_e32 v28, 0
	ds_read_b64 v[26:27], v26 offset:14016
	ds_read_b64 v[28:29], v28 offset:14040
	s_waitcnt lgkmcnt(0)
	v_fma_f64 v[10:11], v[26:27], v[28:29], v[10:11]
.LBB122_720:
	s_or_b64 exec, exec, s[16:17]
.LBB122_721:
	s_or_b64 exec, exec, s[14:15]
	s_and_saveexec_b64 s[12:13], s[40:41]
; %bb.722:
	v_xor_b32_e32 v27, 0x80000000, v11
	v_mov_b32_e32 v26, v10
	ds_write_b64 v14, v[26:27]
; %bb.723:
	s_or_b64 exec, exec, s[12:13]
	s_waitcnt lgkmcnt(0)
	s_barrier
	s_and_saveexec_b64 s[12:13], s[38:39]
	s_cbranch_execz .LBB122_725
; %bb.724:
	v_mov_b32_e32 v26, 0
	ds_read_b64 v[26:27], v26 offset:12992
	ds_read_b64 v[28:29], v14
	s_waitcnt lgkmcnt(0)
	v_fma_f64 v[10:11], -v[26:27], v[28:29], v[10:11]
.LBB122_725:
	s_or_b64 exec, exec, s[12:13]
	s_barrier
	s_and_saveexec_b64 s[12:13], s[38:39]
; %bb.726:
	v_xor_b32_e32 v27, 0x80000000, v11
	v_mov_b32_e32 v26, v10
	ds_write_b64 v14, v[26:27]
; %bb.727:
	s_or_b64 exec, exec, s[12:13]
	s_waitcnt lgkmcnt(0)
	s_barrier
	s_barrier
	s_and_saveexec_b64 s[12:13], s[2:3]
; %bb.728:
	v_lshlrev_b32_e32 v26, 3, v12
	v_lshl_or_b32 v26, v13, 9, v26
	ds_write_b64 v26, v[10:11] offset:13504
; %bb.729:
	s_or_b64 exec, exec, s[12:13]
	s_waitcnt lgkmcnt(0)
	s_barrier
	s_barrier
	s_and_saveexec_b64 s[12:13], s[42:43]
	s_cbranch_execz .LBB122_731
; %bb.730:
	v_lshlrev_b32_e32 v26, 3, v0
	s_movk_i32 s14, 0x1f8
	v_mad_u32_u24 v27, v0, s14, v26
	ds_read_b64 v[10:11], v27 offset:13504
	s_waitcnt lgkmcnt(0)
	ds_write_b64 v26, v[10:11] offset:12496
	ds_read_b64 v[10:11], v27 offset:13512
	s_waitcnt lgkmcnt(0)
	ds_write_b64 v26, v[10:11] offset:13008
.LBB122_731:
	s_or_b64 exec, exec, s[12:13]
	s_waitcnt lgkmcnt(0)
	s_barrier
	s_and_saveexec_b64 s[12:13], vcc
	s_cbranch_execz .LBB122_733
; %bb.732:
	v_mov_b32_e32 v26, 0
	ds_read_b64 v[28:29], v26 offset:12992
	v_mov_b32_e32 v27, 0x3ff00000
	ds_write_b64 v26, v[26:27] offset:13000
	s_waitcnt lgkmcnt(1)
	ds_write_b128 v26, v[26:29] offset:12480
.LBB122_733:
	s_or_b64 exec, exec, s[12:13]
	v_mov_b32_e32 v10, 0
	v_mov_b32_e32 v11, 0
	s_waitcnt lgkmcnt(0)
	s_barrier
	buffer_wbinvl1_vol
	s_and_saveexec_b64 s[14:15], s[8:9]
	s_cbranch_execz .LBB122_743
; %bb.734:
	v_lshlrev_b32_e32 v27, 3, v20
	v_lshlrev_b32_e32 v26, 9, v21
	ds_read_b64 v[10:11], v27 offset:12416
	ds_read_b64 v[28:29], v26 offset:12480
	v_cmp_gt_u32_e64 s[12:13], 56, v15
	s_waitcnt lgkmcnt(0)
	v_fma_f64 v[10:11], v[10:11], v[28:29], 0
	s_and_saveexec_b64 s[16:17], s[12:13]
	s_cbranch_execnz .LBB122_1200
; %bb.735:
	s_or_b64 exec, exec, s[16:17]
	v_cmp_gt_u32_e64 s[12:13], 48, v15
	s_and_saveexec_b64 s[16:17], s[12:13]
	s_cbranch_execnz .LBB122_1201
.LBB122_736:
	s_or_b64 exec, exec, s[16:17]
	v_cmp_gt_u32_e64 s[12:13], 40, v15
	s_and_saveexec_b64 s[16:17], s[12:13]
	s_cbranch_execnz .LBB122_1202
.LBB122_737:
	s_or_b64 exec, exec, s[16:17]
	v_cmp_gt_u32_e64 s[12:13], 32, v15
	s_and_saveexec_b64 s[16:17], s[12:13]
	s_cbranch_execnz .LBB122_1203
.LBB122_738:
	s_or_b64 exec, exec, s[16:17]
	v_cmp_gt_u32_e64 s[12:13], 24, v15
	s_and_saveexec_b64 s[16:17], s[12:13]
	s_cbranch_execnz .LBB122_1204
.LBB122_739:
	s_or_b64 exec, exec, s[16:17]
	s_and_saveexec_b64 s[12:13], s[18:19]
	s_cbranch_execnz .LBB122_1205
.LBB122_740:
	s_or_b64 exec, exec, s[12:13]
	v_cmp_gt_u32_e64 s[12:13], 8, v15
	s_and_saveexec_b64 s[16:17], s[12:13]
	s_cbranch_execz .LBB122_742
.LBB122_741:
	v_lshlrev_b32_e32 v26, 3, v0
	v_mov_b32_e32 v28, 0
	ds_read_b64 v[26:27], v26 offset:16000
	ds_read_b64 v[28:29], v28 offset:16120
	s_waitcnt lgkmcnt(0)
	v_fma_f64 v[10:11], v[26:27], v[28:29], v[10:11]
.LBB122_742:
	s_or_b64 exec, exec, s[16:17]
.LBB122_743:
	s_or_b64 exec, exec, s[14:15]
	s_and_saveexec_b64 s[12:13], s[58:59]
; %bb.744:
	v_xor_b32_e32 v27, 0x80000000, v11
	v_mov_b32_e32 v26, v10
	ds_write_b64 v22, v[26:27]
; %bb.745:
	s_or_b64 exec, exec, s[12:13]
	s_waitcnt lgkmcnt(0)
	s_barrier
	s_and_saveexec_b64 s[12:13], s[60:61]
	s_cbranch_execz .LBB122_747
; %bb.746:
	v_lshlrev_b32_e32 v26, 3, v20
	ds_read_b64 v[26:27], v26 offset:11904
	ds_read_b64 v[28:29], v22
	s_waitcnt lgkmcnt(0)
	v_fma_f64 v[10:11], -v[26:27], v[28:29], v[10:11]
.LBB122_747:
	s_or_b64 exec, exec, s[12:13]
	s_barrier
	s_and_saveexec_b64 s[12:13], s[62:63]
; %bb.748:
	v_xor_b32_e32 v27, 0x80000000, v11
	v_mov_b32_e32 v26, v10
	ds_write_b64 v22, v[26:27]
; %bb.749:
	s_or_b64 exec, exec, s[12:13]
	s_waitcnt lgkmcnt(0)
	s_barrier
	s_and_saveexec_b64 s[12:13], s[64:65]
	s_cbranch_execz .LBB122_751
; %bb.750:
	v_lshlrev_b32_e32 v26, 3, v20
	ds_read_b64 v[26:27], v26 offset:11392
	ds_read_b64 v[28:29], v22
	s_waitcnt lgkmcnt(0)
	v_fma_f64 v[10:11], -v[26:27], v[28:29], v[10:11]
.LBB122_751:
	s_or_b64 exec, exec, s[12:13]
	s_barrier
	;; [unrolled: 20-line block ×6, first 2 shown]
	s_and_saveexec_b64 s[12:13], s[84:85]
; %bb.768:
	v_xor_b32_e32 v27, 0x80000000, v11
	v_mov_b32_e32 v26, v10
	ds_write_b64 v22, v[26:27]
; %bb.769:
	s_or_b64 exec, exec, s[12:13]
	s_waitcnt lgkmcnt(0)
	s_barrier
	s_and_saveexec_b64 s[12:13], s[68:69]
	s_cbranch_execz .LBB122_771
; %bb.770:
	v_mov_b32_e32 v26, 0
	ds_read_b64 v[26:27], v26 offset:8832
	ds_read_b64 v[28:29], v22
	s_waitcnt lgkmcnt(0)
	v_fma_f64 v[10:11], -v[26:27], v[28:29], v[10:11]
.LBB122_771:
	s_or_b64 exec, exec, s[12:13]
	s_barrier
	s_and_saveexec_b64 s[12:13], s[68:69]
; %bb.772:
	v_xor_b32_e32 v27, 0x80000000, v11
	v_mov_b32_e32 v26, v10
	ds_write_b64 v22, v[26:27]
; %bb.773:
	s_or_b64 exec, exec, s[12:13]
	s_waitcnt lgkmcnt(0)
	s_barrier
	s_barrier
	s_and_saveexec_b64 s[12:13], s[8:9]
; %bb.774:
	v_lshlrev_b32_e32 v26, 3, v20
	v_lshl_or_b32 v26, v21, 9, v26
	ds_write_b64 v26, v[10:11] offset:12416
; %bb.775:
	s_or_b64 exec, exec, s[12:13]
	s_waitcnt lgkmcnt(0)
	s_barrier
	s_barrier
	s_and_saveexec_b64 s[12:13], s[86:87]
	s_cbranch_execz .LBB122_777
; %bb.776:
	v_lshlrev_b32_e32 v26, 9, v0
	ds_read_b64 v[10:11], v26 offset:12416
	s_movk_i32 s14, 0xfe08
	v_mad_i32_i24 v27, v0, s14, v26
	s_waitcnt lgkmcnt(0)
	ds_write_b64 v27, v[10:11] offset:8384
	ds_read_b64 v[10:11], v26 offset:12424
	s_waitcnt lgkmcnt(0)
	ds_write_b64 v27, v[10:11] offset:8896
	ds_read_b64 v[10:11], v26 offset:12432
	s_waitcnt lgkmcnt(0)
	ds_write_b64 v27, v[10:11] offset:9408
	ds_read_b64 v[10:11], v26 offset:12440
	s_waitcnt lgkmcnt(0)
	ds_write_b64 v27, v[10:11] offset:9920
	ds_read_b64 v[10:11], v26 offset:12448
	s_waitcnt lgkmcnt(0)
	ds_write_b64 v27, v[10:11] offset:10432
	ds_read_b64 v[10:11], v26 offset:12456
	s_waitcnt lgkmcnt(0)
	ds_write_b64 v27, v[10:11] offset:10944
	ds_read_b64 v[10:11], v26 offset:12464
	s_waitcnt lgkmcnt(0)
	ds_write_b64 v27, v[10:11] offset:11456
	ds_read_b64 v[10:11], v26 offset:12472
	s_waitcnt lgkmcnt(0)
	ds_write_b64 v27, v[10:11] offset:11968
.LBB122_777:
	s_or_b64 exec, exec, s[12:13]
	s_waitcnt lgkmcnt(0)
	s_barrier
	s_and_saveexec_b64 s[12:13], vcc
	s_cbranch_execz .LBB122_779
; %bb.778:
	v_mov_b32_e32 v26, 0
	ds_read_b64 v[28:29], v26 offset:11952
	v_mov_b32_e32 v27, 0x3ff00000
	ds_write_b64 v26, v[26:27] offset:11960
	s_waitcnt lgkmcnt(1)
	ds_write_b128 v26, v[26:29] offset:11440
.LBB122_779:
	s_or_b64 exec, exec, s[12:13]
	v_mov_b32_e32 v10, 0
	v_mov_b32_e32 v11, 0
	s_waitcnt lgkmcnt(0)
	s_barrier
	buffer_wbinvl1_vol
	s_and_saveexec_b64 s[14:15], s[2:3]
	s_cbranch_execz .LBB122_783
; %bb.780:
	v_lshlrev_b32_e32 v26, 9, v13
	v_lshlrev_b32_e32 v10, 3, v12
	ds_read_b64 v[10:11], v10 offset:11424
	ds_read_b64 v[26:27], v26 offset:11440
	v_cmp_gt_u32_e64 s[12:13], 2, v15
	s_waitcnt lgkmcnt(0)
	v_fma_f64 v[10:11], v[10:11], v[26:27], 0
	s_and_saveexec_b64 s[16:17], s[12:13]
	s_cbranch_execz .LBB122_782
; %bb.781:
	v_lshlrev_b32_e32 v26, 3, v0
	v_mov_b32_e32 v28, 0
	ds_read_b64 v[26:27], v26 offset:11936
	ds_read_b64 v[28:29], v28 offset:11960
	s_waitcnt lgkmcnt(0)
	v_fma_f64 v[10:11], v[26:27], v[28:29], v[10:11]
.LBB122_782:
	s_or_b64 exec, exec, s[16:17]
.LBB122_783:
	s_or_b64 exec, exec, s[14:15]
	s_and_saveexec_b64 s[12:13], s[40:41]
; %bb.784:
	v_xor_b32_e32 v27, 0x80000000, v11
	v_mov_b32_e32 v26, v10
	ds_write_b64 v14, v[26:27]
; %bb.785:
	s_or_b64 exec, exec, s[12:13]
	s_waitcnt lgkmcnt(0)
	s_barrier
	s_and_saveexec_b64 s[12:13], s[38:39]
	s_cbranch_execz .LBB122_787
; %bb.786:
	v_mov_b32_e32 v26, 0
	ds_read_b64 v[26:27], v26 offset:10912
	ds_read_b64 v[28:29], v14
	s_waitcnt lgkmcnt(0)
	v_fma_f64 v[10:11], -v[26:27], v[28:29], v[10:11]
.LBB122_787:
	s_or_b64 exec, exec, s[12:13]
	s_barrier
	s_and_saveexec_b64 s[12:13], s[38:39]
; %bb.788:
	v_xor_b32_e32 v27, 0x80000000, v11
	v_mov_b32_e32 v26, v10
	ds_write_b64 v14, v[26:27]
; %bb.789:
	s_or_b64 exec, exec, s[12:13]
	s_waitcnt lgkmcnt(0)
	s_barrier
	s_barrier
	s_and_saveexec_b64 s[12:13], s[2:3]
; %bb.790:
	v_lshlrev_b32_e32 v26, 3, v12
	v_lshl_or_b32 v26, v13, 9, v26
	ds_write_b64 v26, v[10:11] offset:11424
; %bb.791:
	s_or_b64 exec, exec, s[12:13]
	s_waitcnt lgkmcnt(0)
	s_barrier
	s_barrier
	s_and_saveexec_b64 s[12:13], s[42:43]
	s_cbranch_execz .LBB122_793
; %bb.792:
	v_lshlrev_b32_e32 v26, 3, v0
	s_movk_i32 s14, 0x1f8
	v_mad_u32_u24 v27, v0, s14, v26
	ds_read_b64 v[10:11], v27 offset:11424
	s_waitcnt lgkmcnt(0)
	ds_write_b64 v26, v[10:11] offset:10416
	ds_read_b64 v[10:11], v27 offset:11432
	s_waitcnt lgkmcnt(0)
	ds_write_b64 v26, v[10:11] offset:10928
.LBB122_793:
	s_or_b64 exec, exec, s[12:13]
	s_waitcnt lgkmcnt(0)
	s_barrier
	s_and_saveexec_b64 s[12:13], vcc
	s_cbranch_execz .LBB122_795
; %bb.794:
	v_mov_b32_e32 v26, 0
	ds_read_b64 v[28:29], v26 offset:10912
	v_mov_b32_e32 v27, 0x3ff00000
	ds_write_b64 v26, v[26:27] offset:10920
	s_waitcnt lgkmcnt(1)
	ds_write_b128 v26, v[26:29] offset:10400
.LBB122_795:
	s_or_b64 exec, exec, s[12:13]
	v_mov_b32_e32 v10, 0
	v_mov_b32_e32 v11, 0
	s_waitcnt lgkmcnt(0)
	s_barrier
	buffer_wbinvl1_vol
	s_and_saveexec_b64 s[14:15], s[18:19]
	s_cbranch_execz .LBB122_801
; %bb.796:
	v_lshlrev_b32_e32 v27, 3, v16
	v_lshlrev_b32_e32 v26, 9, v17
	ds_read_b64 v[10:11], v27 offset:10368
	ds_read_b64 v[28:29], v26 offset:10400
	v_cmp_gt_u32_e64 s[12:13], 12, v15
	s_waitcnt lgkmcnt(0)
	v_fma_f64 v[10:11], v[10:11], v[28:29], 0
	s_and_saveexec_b64 s[16:17], s[12:13]
	s_cbranch_execnz .LBB122_1206
; %bb.797:
	s_or_b64 exec, exec, s[16:17]
	v_cmp_gt_u32_e64 s[12:13], 8, v15
	s_and_saveexec_b64 s[16:17], s[12:13]
	s_cbranch_execnz .LBB122_1207
.LBB122_798:
	s_or_b64 exec, exec, s[16:17]
	v_cmp_gt_u32_e64 s[12:13], 4, v15
	s_and_saveexec_b64 s[16:17], s[12:13]
	s_cbranch_execz .LBB122_800
.LBB122_799:
	v_lshlrev_b32_e32 v26, 3, v0
	v_mov_b32_e32 v28, 0
	ds_read_b64 v[26:27], v26 offset:11904
	ds_read_b64 v[28:29], v28 offset:11960
	s_waitcnt lgkmcnt(0)
	v_fma_f64 v[10:11], v[26:27], v[28:29], v[10:11]
.LBB122_800:
	s_or_b64 exec, exec, s[16:17]
.LBB122_801:
	s_or_b64 exec, exec, s[14:15]
	s_and_saveexec_b64 s[12:13], s[46:47]
; %bb.802:
	v_xor_b32_e32 v27, 0x80000000, v11
	v_mov_b32_e32 v26, v10
	ds_write_b64 v19, v[26:27]
; %bb.803:
	s_or_b64 exec, exec, s[12:13]
	s_waitcnt lgkmcnt(0)
	s_barrier
	s_and_saveexec_b64 s[12:13], s[48:49]
	s_cbranch_execz .LBB122_805
; %bb.804:
	v_lshlrev_b32_e32 v26, 3, v16
	ds_read_b64 v[26:27], v26 offset:9856
	ds_read_b64 v[28:29], v19
	s_waitcnt lgkmcnt(0)
	v_fma_f64 v[10:11], -v[26:27], v[28:29], v[10:11]
.LBB122_805:
	s_or_b64 exec, exec, s[12:13]
	s_barrier
	s_and_saveexec_b64 s[12:13], s[50:51]
; %bb.806:
	v_xor_b32_e32 v27, 0x80000000, v11
	v_mov_b32_e32 v26, v10
	ds_write_b64 v19, v[26:27]
; %bb.807:
	s_or_b64 exec, exec, s[12:13]
	s_waitcnt lgkmcnt(0)
	s_barrier
	s_and_saveexec_b64 s[12:13], s[52:53]
	s_cbranch_execz .LBB122_809
; %bb.808:
	v_lshlrev_b32_e32 v26, 3, v16
	ds_read_b64 v[26:27], v26 offset:9344
	ds_read_b64 v[28:29], v19
	s_waitcnt lgkmcnt(0)
	v_fma_f64 v[10:11], -v[26:27], v[28:29], v[10:11]
.LBB122_809:
	s_or_b64 exec, exec, s[12:13]
	s_barrier
	s_and_saveexec_b64 s[12:13], s[54:55]
; %bb.810:
	v_xor_b32_e32 v27, 0x80000000, v11
	v_mov_b32_e32 v26, v10
	ds_write_b64 v19, v[26:27]
; %bb.811:
	s_or_b64 exec, exec, s[12:13]
	s_waitcnt lgkmcnt(0)
	s_barrier
	s_and_saveexec_b64 s[12:13], s[44:45]
	s_cbranch_execz .LBB122_813
; %bb.812:
	v_mov_b32_e32 v26, 0
	ds_read_b64 v[26:27], v26 offset:8832
	ds_read_b64 v[28:29], v19
	s_waitcnt lgkmcnt(0)
	v_fma_f64 v[10:11], -v[26:27], v[28:29], v[10:11]
.LBB122_813:
	s_or_b64 exec, exec, s[12:13]
	s_barrier
	s_and_saveexec_b64 s[12:13], s[44:45]
; %bb.814:
	v_xor_b32_e32 v27, 0x80000000, v11
	v_mov_b32_e32 v26, v10
	ds_write_b64 v19, v[26:27]
; %bb.815:
	s_or_b64 exec, exec, s[12:13]
	s_waitcnt lgkmcnt(0)
	s_barrier
	s_barrier
	s_and_saveexec_b64 s[12:13], s[18:19]
; %bb.816:
	v_lshlrev_b32_e32 v26, 3, v16
	v_lshl_or_b32 v26, v17, 9, v26
	ds_write_b64 v26, v[10:11] offset:10368
; %bb.817:
	s_or_b64 exec, exec, s[12:13]
	s_waitcnt lgkmcnt(0)
	s_barrier
	s_barrier
	s_and_saveexec_b64 s[12:13], s[56:57]
	s_cbranch_execz .LBB122_819
; %bb.818:
	v_lshlrev_b32_e32 v26, 9, v0
	ds_read_b64 v[10:11], v26 offset:10368
	s_movk_i32 s14, 0xfe08
	v_mad_i32_i24 v27, v0, s14, v26
	s_waitcnt lgkmcnt(0)
	ds_write_b64 v27, v[10:11] offset:8352
	ds_read_b64 v[10:11], v26 offset:10376
	s_waitcnt lgkmcnt(0)
	ds_write_b64 v27, v[10:11] offset:8864
	ds_read_b64 v[10:11], v26 offset:10384
	;; [unrolled: 3-line block ×3, first 2 shown]
	s_waitcnt lgkmcnt(0)
	ds_write_b64 v27, v[10:11] offset:9888
.LBB122_819:
	s_or_b64 exec, exec, s[12:13]
	s_waitcnt lgkmcnt(0)
	s_barrier
	s_and_saveexec_b64 s[12:13], vcc
	s_cbranch_execz .LBB122_821
; %bb.820:
	v_mov_b32_e32 v26, 0
	ds_read_b64 v[28:29], v26 offset:9872
	v_mov_b32_e32 v27, 0x3ff00000
	ds_write_b64 v26, v[26:27] offset:9880
	s_waitcnt lgkmcnt(1)
	ds_write_b128 v26, v[26:29] offset:9360
.LBB122_821:
	s_or_b64 exec, exec, s[12:13]
	v_mov_b32_e32 v10, 0
	v_mov_b32_e32 v11, 0
	s_waitcnt lgkmcnt(0)
	s_barrier
	buffer_wbinvl1_vol
	s_and_saveexec_b64 s[14:15], s[2:3]
	s_cbranch_execz .LBB122_825
; %bb.822:
	v_lshlrev_b32_e32 v26, 9, v13
	v_lshlrev_b32_e32 v10, 3, v12
	ds_read_b64 v[10:11], v10 offset:9344
	ds_read_b64 v[26:27], v26 offset:9360
	v_cmp_gt_u32_e64 s[12:13], 2, v15
	s_waitcnt lgkmcnt(0)
	v_fma_f64 v[10:11], v[10:11], v[26:27], 0
	s_and_saveexec_b64 s[16:17], s[12:13]
	s_cbranch_execz .LBB122_824
; %bb.823:
	v_lshlrev_b32_e32 v26, 3, v0
	v_mov_b32_e32 v28, 0
	ds_read_b64 v[26:27], v26 offset:9856
	ds_read_b64 v[28:29], v28 offset:9880
	s_waitcnt lgkmcnt(0)
	v_fma_f64 v[10:11], v[26:27], v[28:29], v[10:11]
.LBB122_824:
	s_or_b64 exec, exec, s[16:17]
.LBB122_825:
	s_or_b64 exec, exec, s[14:15]
	s_and_saveexec_b64 s[12:13], s[40:41]
; %bb.826:
	v_xor_b32_e32 v27, 0x80000000, v11
	v_mov_b32_e32 v26, v10
	ds_write_b64 v14, v[26:27]
; %bb.827:
	s_or_b64 exec, exec, s[12:13]
	s_waitcnt lgkmcnt(0)
	s_barrier
	s_and_saveexec_b64 s[12:13], s[38:39]
	s_cbranch_execz .LBB122_829
; %bb.828:
	v_mov_b32_e32 v26, 0
	ds_read_b64 v[26:27], v26 offset:8832
	ds_read_b64 v[28:29], v14
	s_waitcnt lgkmcnt(0)
	v_fma_f64 v[10:11], -v[26:27], v[28:29], v[10:11]
.LBB122_829:
	s_or_b64 exec, exec, s[12:13]
	s_barrier
	s_and_saveexec_b64 s[12:13], s[38:39]
; %bb.830:
	v_xor_b32_e32 v27, 0x80000000, v11
	v_mov_b32_e32 v26, v10
	ds_write_b64 v14, v[26:27]
; %bb.831:
	s_or_b64 exec, exec, s[12:13]
	s_waitcnt lgkmcnt(0)
	s_barrier
	s_barrier
	s_and_saveexec_b64 s[12:13], s[2:3]
; %bb.832:
	v_lshlrev_b32_e32 v26, 3, v12
	v_lshl_or_b32 v26, v13, 9, v26
	ds_write_b64 v26, v[10:11] offset:9344
; %bb.833:
	s_or_b64 exec, exec, s[12:13]
	s_waitcnt lgkmcnt(0)
	s_barrier
	s_barrier
	s_and_saveexec_b64 s[12:13], s[42:43]
	s_cbranch_execz .LBB122_835
; %bb.834:
	v_lshlrev_b32_e32 v26, 3, v0
	s_movk_i32 s14, 0x1f8
	v_mad_u32_u24 v27, v0, s14, v26
	ds_read_b64 v[10:11], v27 offset:9344
	s_waitcnt lgkmcnt(0)
	ds_write_b64 v26, v[10:11] offset:8336
	ds_read_b64 v[10:11], v27 offset:9352
	s_waitcnt lgkmcnt(0)
	ds_write_b64 v26, v[10:11] offset:8848
.LBB122_835:
	s_or_b64 exec, exec, s[12:13]
	s_waitcnt lgkmcnt(0)
	s_barrier
	s_and_saveexec_b64 s[12:13], vcc
	s_cbranch_execz .LBB122_837
; %bb.836:
	v_mov_b32_e32 v26, 0
	ds_read_b64 v[28:29], v26 offset:8832
	v_mov_b32_e32 v27, 0x3ff00000
	ds_write_b64 v26, v[26:27] offset:8840
	s_waitcnt lgkmcnt(1)
	ds_write_b128 v26, v[26:29] offset:8320
.LBB122_837:
	s_or_b64 exec, exec, s[12:13]
	v_mov_b32_e32 v10, 0
	v_mov_b32_e32 v11, 0
	s_waitcnt lgkmcnt(0)
	s_barrier
	buffer_wbinvl1_vol
	s_and_saveexec_b64 s[14:15], s[10:11]
	s_cbranch_execz .LBB122_865
; %bb.838:
	v_lshlrev_b32_e32 v27, 3, v23
	v_lshlrev_b32_e32 v26, 9, v24
	ds_read_b64 v[10:11], v27 offset:8192
	ds_read_b64 v[28:29], v26 offset:8320
	s_movk_i32 s12, 0xf0
	v_cmp_gt_u32_e64 s[12:13], s12, v15
	s_waitcnt lgkmcnt(0)
	v_fma_f64 v[10:11], v[10:11], v[28:29], 0
	s_and_saveexec_b64 s[16:17], s[12:13]
	s_cbranch_execz .LBB122_840
; %bb.839:
	ds_read_b64 v[28:29], v27 offset:8704
	ds_read_b64 v[30:31], v26 offset:8328
	s_waitcnt lgkmcnt(0)
	v_fma_f64 v[10:11], v[28:29], v[30:31], v[10:11]
.LBB122_840:
	s_or_b64 exec, exec, s[16:17]
	s_movk_i32 s12, 0xe0
	v_cmp_gt_u32_e64 s[12:13], s12, v15
	s_and_saveexec_b64 s[16:17], s[12:13]
	s_cbranch_execz .LBB122_842
; %bb.841:
	ds_read_b64 v[28:29], v27 offset:9216
	ds_read_b64 v[30:31], v26 offset:8336
	s_waitcnt lgkmcnt(0)
	v_fma_f64 v[10:11], v[28:29], v[30:31], v[10:11]
.LBB122_842:
	s_or_b64 exec, exec, s[16:17]
	s_movk_i32 s12, 0xd0
	v_cmp_gt_u32_e64 s[12:13], s12, v15
	;; [unrolled: 11-line block ×10, first 2 shown]
	s_and_saveexec_b64 s[16:17], s[12:13]
	s_cbranch_execnz .LBB122_1208
; %bb.859:
	s_or_b64 exec, exec, s[16:17]
	s_and_saveexec_b64 s[12:13], s[8:9]
	s_cbranch_execnz .LBB122_1209
.LBB122_860:
	s_or_b64 exec, exec, s[12:13]
	v_cmp_gt_u32_e64 s[12:13], 48, v15
	s_and_saveexec_b64 s[16:17], s[12:13]
	s_cbranch_execnz .LBB122_1210
.LBB122_861:
	s_or_b64 exec, exec, s[16:17]
	v_cmp_gt_u32_e64 s[12:13], 32, v15
	s_and_saveexec_b64 s[16:17], s[12:13]
	s_cbranch_execnz .LBB122_1211
.LBB122_862:
	s_or_b64 exec, exec, s[16:17]
	v_cmp_gt_u32_e64 s[12:13], 16, v15
	s_and_saveexec_b64 s[16:17], s[12:13]
	s_cbranch_execz .LBB122_864
.LBB122_863:
	v_lshlrev_b32_e32 v26, 3, v0
	v_mov_b32_e32 v28, 0
	ds_read_b64 v[26:27], v26 offset:15872
	ds_read_b64 v[28:29], v28 offset:16120
	s_waitcnt lgkmcnt(0)
	v_fma_f64 v[10:11], v[26:27], v[28:29], v[10:11]
.LBB122_864:
	s_or_b64 exec, exec, s[16:17]
.LBB122_865:
	s_or_b64 exec, exec, s[14:15]
	s_mov_b64 s[12:13], exec
	v_readlane_b32 s14, v35, 4
	v_readlane_b32 s15, v35, 5
	s_and_b64 s[14:15], s[12:13], s[14:15]
	s_mov_b64 exec, s[14:15]
; %bb.866:
	v_xor_b32_e32 v27, 0x80000000, v11
	v_mov_b32_e32 v26, v10
	ds_write_b64 v25, v[26:27]
; %bb.867:
	s_or_b64 exec, exec, s[12:13]
	s_waitcnt lgkmcnt(0)
	s_barrier
	s_mov_b64 s[12:13], exec
	v_readlane_b32 s14, v35, 6
	v_readlane_b32 s15, v35, 7
	s_and_b64 s[14:15], s[12:13], s[14:15]
	s_mov_b64 exec, s[14:15]
	s_cbranch_execz .LBB122_869
; %bb.868:
	v_lshlrev_b32_e32 v26, 3, v23
	ds_read_b64 v[26:27], v26 offset:7680
	ds_read_b64 v[28:29], v25
	s_waitcnt lgkmcnt(0)
	v_fma_f64 v[10:11], -v[26:27], v[28:29], v[10:11]
.LBB122_869:
	s_or_b64 exec, exec, s[12:13]
	s_barrier
	s_mov_b64 s[12:13], exec
	v_readlane_b32 s14, v35, 8
	v_readlane_b32 s15, v35, 9
	s_and_b64 s[14:15], s[12:13], s[14:15]
	s_mov_b64 exec, s[14:15]
; %bb.870:
	v_xor_b32_e32 v27, 0x80000000, v11
	v_mov_b32_e32 v26, v10
	ds_write_b64 v25, v[26:27]
; %bb.871:
	s_or_b64 exec, exec, s[12:13]
	s_waitcnt lgkmcnt(0)
	s_barrier
	s_mov_b64 s[12:13], exec
	v_readlane_b32 s14, v35, 10
	v_readlane_b32 s15, v35, 11
	s_and_b64 s[14:15], s[12:13], s[14:15]
	s_mov_b64 exec, s[14:15]
	s_cbranch_execz .LBB122_873
; %bb.872:
	v_lshlrev_b32_e32 v26, 3, v23
	ds_read_b64 v[26:27], v26 offset:7168
	ds_read_b64 v[28:29], v25
	s_waitcnt lgkmcnt(0)
	v_fma_f64 v[10:11], -v[26:27], v[28:29], v[10:11]
.LBB122_873:
	s_or_b64 exec, exec, s[12:13]
	s_barrier
	;; [unrolled: 28-line block ×13, first 2 shown]
	s_mov_b64 s[12:13], exec
	v_readlane_b32 s14, v35, 56
	v_readlane_b32 s15, v35, 57
	s_and_b64 s[14:15], s[12:13], s[14:15]
	s_mov_b64 exec, s[14:15]
; %bb.918:
	v_xor_b32_e32 v27, 0x80000000, v11
	v_mov_b32_e32 v26, v10
	ds_write_b64 v25, v[26:27]
; %bb.919:
	s_or_b64 exec, exec, s[12:13]
	s_waitcnt lgkmcnt(0)
	s_barrier
	s_and_saveexec_b64 s[12:13], s[0:1]
	s_cbranch_execz .LBB122_921
; %bb.920:
	v_lshlrev_b32_e32 v26, 3, v23
	ds_read_b64 v[26:27], v26 offset:1024
	ds_read_b64 v[28:29], v25
	s_waitcnt lgkmcnt(0)
	v_fma_f64 v[10:11], -v[26:27], v[28:29], v[10:11]
.LBB122_921:
	s_or_b64 exec, exec, s[12:13]
	s_barrier
	s_mov_b64 s[0:1], exec
	v_readlane_b32 s12, v35, 58
	v_readlane_b32 s13, v35, 59
	s_and_b64 s[12:13], s[0:1], s[12:13]
	s_mov_b64 exec, s[12:13]
; %bb.922:
	v_xor_b32_e32 v27, 0x80000000, v11
	v_mov_b32_e32 v26, v10
	ds_write_b64 v25, v[26:27]
; %bb.923:
	s_or_b64 exec, exec, s[0:1]
	s_waitcnt lgkmcnt(0)
	s_barrier
	s_and_saveexec_b64 s[0:1], s[94:95]
	s_cbranch_execz .LBB122_925
; %bb.924:
	v_mov_b32_e32 v26, 0
	ds_read_b64 v[26:27], v26 offset:512
	ds_read_b64 v[28:29], v25
	s_waitcnt lgkmcnt(0)
	v_fma_f64 v[10:11], -v[26:27], v[28:29], v[10:11]
.LBB122_925:
	s_or_b64 exec, exec, s[0:1]
	s_barrier
	s_and_saveexec_b64 s[0:1], s[94:95]
; %bb.926:
	v_xor_b32_e32 v27, 0x80000000, v11
	v_mov_b32_e32 v26, v10
	ds_write_b64 v25, v[26:27]
; %bb.927:
	s_or_b64 exec, exec, s[0:1]
	s_waitcnt lgkmcnt(0)
	s_barrier
	s_barrier
	s_and_saveexec_b64 s[0:1], s[10:11]
; %bb.928:
	v_lshlrev_b32_e32 v23, 3, v23
	v_lshl_or_b32 v23, v24, 9, v23
	ds_write_b64 v23, v[10:11] offset:8192
; %bb.929:
	s_or_b64 exec, exec, s[0:1]
	s_waitcnt lgkmcnt(0)
	s_barrier
	s_barrier
	s_and_saveexec_b64 s[0:1], s[90:91]
	s_cbranch_execz .LBB122_931
; %bb.930:
	v_lshlrev_b32_e32 v23, 9, v0
	ds_read_b64 v[10:11], v23 offset:8192
	s_movk_i32 s10, 0xfe08
	v_mad_i32_i24 v24, v0, s10, v23
	s_waitcnt lgkmcnt(0)
	ds_write_b64 v24, v[10:11] offset:128
	ds_read_b64 v[10:11], v23 offset:8200
	s_waitcnt lgkmcnt(0)
	ds_write_b64 v24, v[10:11] offset:640
	ds_read_b64 v[10:11], v23 offset:8208
	;; [unrolled: 3-line block ×15, first 2 shown]
	s_waitcnt lgkmcnt(0)
	ds_write_b64 v24, v[10:11] offset:7808
.LBB122_931:
	s_or_b64 exec, exec, s[0:1]
	s_waitcnt lgkmcnt(0)
	s_barrier
	s_and_saveexec_b64 s[0:1], vcc
	s_cbranch_execz .LBB122_933
; %bb.932:
	v_mov_b32_e32 v23, 0
	ds_read_b64 v[25:26], v23 offset:7792
	v_mov_b32_e32 v24, 0x3ff00000
	ds_write_b64 v23, v[23:24] offset:7800
	s_waitcnt lgkmcnt(1)
	ds_write_b128 v23, v[23:26] offset:7280
.LBB122_933:
	s_or_b64 exec, exec, s[0:1]
	v_mov_b32_e32 v10, 0
	v_mov_b32_e32 v11, 0
	s_waitcnt lgkmcnt(0)
	s_barrier
	buffer_wbinvl1_vol
	s_and_saveexec_b64 s[0:1], s[2:3]
	s_cbranch_execz .LBB122_937
; %bb.934:
	v_lshlrev_b32_e32 v23, 9, v13
	v_lshlrev_b32_e32 v10, 3, v12
	ds_read_b64 v[10:11], v10 offset:7264
	ds_read_b64 v[23:24], v23 offset:7280
	v_cmp_gt_u32_e64 s[10:11], 2, v15
	s_waitcnt lgkmcnt(0)
	v_fma_f64 v[10:11], v[10:11], v[23:24], 0
	s_and_saveexec_b64 s[12:13], s[10:11]
	s_cbranch_execz .LBB122_936
; %bb.935:
	v_lshlrev_b32_e32 v23, 3, v0
	v_mov_b32_e32 v25, 0
	ds_read_b64 v[23:24], v23 offset:7776
	ds_read_b64 v[25:26], v25 offset:7800
	s_waitcnt lgkmcnt(0)
	v_fma_f64 v[10:11], v[23:24], v[25:26], v[10:11]
.LBB122_936:
	s_or_b64 exec, exec, s[12:13]
.LBB122_937:
	s_or_b64 exec, exec, s[0:1]
	s_and_saveexec_b64 s[0:1], s[40:41]
; %bb.938:
	v_xor_b32_e32 v24, 0x80000000, v11
	v_mov_b32_e32 v23, v10
	ds_write_b64 v14, v[23:24]
; %bb.939:
	s_or_b64 exec, exec, s[0:1]
	s_waitcnt lgkmcnt(0)
	s_barrier
	s_and_saveexec_b64 s[0:1], s[38:39]
	s_cbranch_execz .LBB122_941
; %bb.940:
	v_mov_b32_e32 v23, 0
	ds_read_b64 v[23:24], v23 offset:6752
	ds_read_b64 v[25:26], v14
	s_waitcnt lgkmcnt(0)
	v_fma_f64 v[10:11], -v[23:24], v[25:26], v[10:11]
.LBB122_941:
	s_or_b64 exec, exec, s[0:1]
	s_barrier
	s_and_saveexec_b64 s[0:1], s[38:39]
; %bb.942:
	v_xor_b32_e32 v24, 0x80000000, v11
	v_mov_b32_e32 v23, v10
	ds_write_b64 v14, v[23:24]
; %bb.943:
	s_or_b64 exec, exec, s[0:1]
	s_waitcnt lgkmcnt(0)
	s_barrier
	s_barrier
	s_and_saveexec_b64 s[0:1], s[2:3]
; %bb.944:
	v_lshlrev_b32_e32 v23, 3, v12
	v_lshl_or_b32 v23, v13, 9, v23
	ds_write_b64 v23, v[10:11] offset:7264
; %bb.945:
	s_or_b64 exec, exec, s[0:1]
	s_waitcnt lgkmcnt(0)
	s_barrier
	s_barrier
	s_and_saveexec_b64 s[0:1], s[42:43]
	s_cbranch_execz .LBB122_947
; %bb.946:
	v_lshlrev_b32_e32 v23, 3, v0
	s_movk_i32 s10, 0x1f8
	v_mad_u32_u24 v24, v0, s10, v23
	ds_read_b64 v[10:11], v24 offset:7264
	s_waitcnt lgkmcnt(0)
	ds_write_b64 v23, v[10:11] offset:6256
	ds_read_b64 v[10:11], v24 offset:7272
	s_waitcnt lgkmcnt(0)
	ds_write_b64 v23, v[10:11] offset:6768
.LBB122_947:
	s_or_b64 exec, exec, s[0:1]
	s_waitcnt lgkmcnt(0)
	s_barrier
	s_and_saveexec_b64 s[0:1], vcc
	s_cbranch_execz .LBB122_949
; %bb.948:
	v_mov_b32_e32 v23, 0
	ds_read_b64 v[25:26], v23 offset:6752
	v_mov_b32_e32 v24, 0x3ff00000
	ds_write_b64 v23, v[23:24] offset:6760
	s_waitcnt lgkmcnt(1)
	ds_write_b128 v23, v[23:26] offset:6240
.LBB122_949:
	s_or_b64 exec, exec, s[0:1]
	v_mov_b32_e32 v10, 0
	v_mov_b32_e32 v11, 0
	s_waitcnt lgkmcnt(0)
	s_barrier
	buffer_wbinvl1_vol
	s_and_saveexec_b64 s[0:1], s[18:19]
	s_cbranch_execz .LBB122_955
; %bb.950:
	v_lshlrev_b32_e32 v24, 3, v16
	v_lshlrev_b32_e32 v23, 9, v17
	ds_read_b64 v[10:11], v24 offset:6208
	ds_read_b64 v[25:26], v23 offset:6240
	v_cmp_gt_u32_e64 s[10:11], 12, v15
	s_waitcnt lgkmcnt(0)
	v_fma_f64 v[10:11], v[10:11], v[25:26], 0
	s_and_saveexec_b64 s[12:13], s[10:11]
	s_cbranch_execnz .LBB122_1212
; %bb.951:
	s_or_b64 exec, exec, s[12:13]
	v_cmp_gt_u32_e64 s[10:11], 8, v15
	s_and_saveexec_b64 s[12:13], s[10:11]
	s_cbranch_execnz .LBB122_1213
.LBB122_952:
	s_or_b64 exec, exec, s[12:13]
	v_cmp_gt_u32_e64 s[10:11], 4, v15
	s_and_saveexec_b64 s[12:13], s[10:11]
	s_cbranch_execz .LBB122_954
.LBB122_953:
	v_lshlrev_b32_e32 v23, 3, v0
	v_mov_b32_e32 v25, 0
	ds_read_b64 v[23:24], v23 offset:7744
	ds_read_b64 v[25:26], v25 offset:7800
	s_waitcnt lgkmcnt(0)
	v_fma_f64 v[10:11], v[23:24], v[25:26], v[10:11]
.LBB122_954:
	s_or_b64 exec, exec, s[12:13]
.LBB122_955:
	s_or_b64 exec, exec, s[0:1]
	s_and_saveexec_b64 s[0:1], s[46:47]
; %bb.956:
	v_xor_b32_e32 v24, 0x80000000, v11
	v_mov_b32_e32 v23, v10
	ds_write_b64 v19, v[23:24]
; %bb.957:
	s_or_b64 exec, exec, s[0:1]
	s_waitcnt lgkmcnt(0)
	s_barrier
	s_and_saveexec_b64 s[0:1], s[48:49]
	s_cbranch_execz .LBB122_959
; %bb.958:
	v_lshlrev_b32_e32 v23, 3, v16
	ds_read_b64 v[23:24], v23 offset:5696
	ds_read_b64 v[25:26], v19
	s_waitcnt lgkmcnt(0)
	v_fma_f64 v[10:11], -v[23:24], v[25:26], v[10:11]
.LBB122_959:
	s_or_b64 exec, exec, s[0:1]
	s_barrier
	s_and_saveexec_b64 s[0:1], s[50:51]
; %bb.960:
	v_xor_b32_e32 v24, 0x80000000, v11
	v_mov_b32_e32 v23, v10
	ds_write_b64 v19, v[23:24]
; %bb.961:
	s_or_b64 exec, exec, s[0:1]
	s_waitcnt lgkmcnt(0)
	s_barrier
	s_and_saveexec_b64 s[0:1], s[52:53]
	s_cbranch_execz .LBB122_963
; %bb.962:
	v_lshlrev_b32_e32 v23, 3, v16
	ds_read_b64 v[23:24], v23 offset:5184
	ds_read_b64 v[25:26], v19
	s_waitcnt lgkmcnt(0)
	v_fma_f64 v[10:11], -v[23:24], v[25:26], v[10:11]
.LBB122_963:
	s_or_b64 exec, exec, s[0:1]
	s_barrier
	s_and_saveexec_b64 s[0:1], s[54:55]
; %bb.964:
	v_xor_b32_e32 v24, 0x80000000, v11
	v_mov_b32_e32 v23, v10
	ds_write_b64 v19, v[23:24]
; %bb.965:
	s_or_b64 exec, exec, s[0:1]
	s_waitcnt lgkmcnt(0)
	s_barrier
	s_and_saveexec_b64 s[0:1], s[44:45]
	s_cbranch_execz .LBB122_967
; %bb.966:
	v_mov_b32_e32 v23, 0
	ds_read_b64 v[23:24], v23 offset:4672
	ds_read_b64 v[25:26], v19
	s_waitcnt lgkmcnt(0)
	v_fma_f64 v[10:11], -v[23:24], v[25:26], v[10:11]
.LBB122_967:
	s_or_b64 exec, exec, s[0:1]
	s_barrier
	s_and_saveexec_b64 s[0:1], s[44:45]
; %bb.968:
	v_xor_b32_e32 v24, 0x80000000, v11
	v_mov_b32_e32 v23, v10
	ds_write_b64 v19, v[23:24]
; %bb.969:
	s_or_b64 exec, exec, s[0:1]
	s_waitcnt lgkmcnt(0)
	s_barrier
	s_barrier
	s_and_saveexec_b64 s[0:1], s[18:19]
; %bb.970:
	v_lshlrev_b32_e32 v23, 3, v16
	v_lshl_or_b32 v23, v17, 9, v23
	ds_write_b64 v23, v[10:11] offset:6208
; %bb.971:
	s_or_b64 exec, exec, s[0:1]
	s_waitcnt lgkmcnt(0)
	s_barrier
	s_barrier
	s_and_saveexec_b64 s[0:1], s[56:57]
	s_cbranch_execz .LBB122_973
; %bb.972:
	v_lshlrev_b32_e32 v23, 9, v0
	ds_read_b64 v[10:11], v23 offset:6208
	s_movk_i32 s10, 0xfe08
	v_mad_i32_i24 v24, v0, s10, v23
	s_waitcnt lgkmcnt(0)
	ds_write_b64 v24, v[10:11] offset:4192
	ds_read_b64 v[10:11], v23 offset:6216
	s_waitcnt lgkmcnt(0)
	ds_write_b64 v24, v[10:11] offset:4704
	ds_read_b64 v[10:11], v23 offset:6224
	;; [unrolled: 3-line block ×3, first 2 shown]
	s_waitcnt lgkmcnt(0)
	ds_write_b64 v24, v[10:11] offset:5728
.LBB122_973:
	s_or_b64 exec, exec, s[0:1]
	s_waitcnt lgkmcnt(0)
	s_barrier
	s_and_saveexec_b64 s[0:1], vcc
	s_cbranch_execz .LBB122_975
; %bb.974:
	v_mov_b32_e32 v23, 0
	ds_read_b64 v[25:26], v23 offset:5712
	v_mov_b32_e32 v24, 0x3ff00000
	ds_write_b64 v23, v[23:24] offset:5720
	s_waitcnt lgkmcnt(1)
	ds_write_b128 v23, v[23:26] offset:5200
.LBB122_975:
	s_or_b64 exec, exec, s[0:1]
	v_mov_b32_e32 v10, 0
	v_mov_b32_e32 v11, 0
	s_waitcnt lgkmcnt(0)
	s_barrier
	buffer_wbinvl1_vol
	s_and_saveexec_b64 s[0:1], s[2:3]
	s_cbranch_execz .LBB122_979
; %bb.976:
	v_lshlrev_b32_e32 v23, 9, v13
	v_lshlrev_b32_e32 v10, 3, v12
	ds_read_b64 v[10:11], v10 offset:5184
	ds_read_b64 v[23:24], v23 offset:5200
	v_cmp_gt_u32_e64 s[10:11], 2, v15
	s_waitcnt lgkmcnt(0)
	v_fma_f64 v[10:11], v[10:11], v[23:24], 0
	s_and_saveexec_b64 s[12:13], s[10:11]
	s_cbranch_execz .LBB122_978
; %bb.977:
	v_lshlrev_b32_e32 v23, 3, v0
	v_mov_b32_e32 v25, 0
	ds_read_b64 v[23:24], v23 offset:5696
	ds_read_b64 v[25:26], v25 offset:5720
	s_waitcnt lgkmcnt(0)
	v_fma_f64 v[10:11], v[23:24], v[25:26], v[10:11]
.LBB122_978:
	s_or_b64 exec, exec, s[12:13]
.LBB122_979:
	s_or_b64 exec, exec, s[0:1]
	s_and_saveexec_b64 s[0:1], s[40:41]
; %bb.980:
	v_xor_b32_e32 v24, 0x80000000, v11
	v_mov_b32_e32 v23, v10
	ds_write_b64 v14, v[23:24]
; %bb.981:
	s_or_b64 exec, exec, s[0:1]
	s_waitcnt lgkmcnt(0)
	s_barrier
	s_and_saveexec_b64 s[0:1], s[38:39]
	s_cbranch_execz .LBB122_983
; %bb.982:
	v_mov_b32_e32 v23, 0
	ds_read_b64 v[23:24], v23 offset:4672
	ds_read_b64 v[25:26], v14
	s_waitcnt lgkmcnt(0)
	v_fma_f64 v[10:11], -v[23:24], v[25:26], v[10:11]
.LBB122_983:
	s_or_b64 exec, exec, s[0:1]
	s_barrier
	s_and_saveexec_b64 s[0:1], s[38:39]
; %bb.984:
	v_xor_b32_e32 v24, 0x80000000, v11
	v_mov_b32_e32 v23, v10
	ds_write_b64 v14, v[23:24]
; %bb.985:
	s_or_b64 exec, exec, s[0:1]
	s_waitcnt lgkmcnt(0)
	s_barrier
	s_barrier
	s_and_saveexec_b64 s[0:1], s[2:3]
; %bb.986:
	v_lshlrev_b32_e32 v23, 3, v12
	v_lshl_or_b32 v23, v13, 9, v23
	ds_write_b64 v23, v[10:11] offset:5184
; %bb.987:
	s_or_b64 exec, exec, s[0:1]
	s_waitcnt lgkmcnt(0)
	s_barrier
	s_barrier
	s_and_saveexec_b64 s[0:1], s[42:43]
	s_cbranch_execz .LBB122_989
; %bb.988:
	v_lshlrev_b32_e32 v23, 3, v0
	s_movk_i32 s10, 0x1f8
	v_mad_u32_u24 v24, v0, s10, v23
	ds_read_b64 v[10:11], v24 offset:5184
	s_waitcnt lgkmcnt(0)
	ds_write_b64 v23, v[10:11] offset:4176
	ds_read_b64 v[10:11], v24 offset:5192
	s_waitcnt lgkmcnt(0)
	ds_write_b64 v23, v[10:11] offset:4688
.LBB122_989:
	s_or_b64 exec, exec, s[0:1]
	s_waitcnt lgkmcnt(0)
	s_barrier
	s_and_saveexec_b64 s[0:1], vcc
	s_cbranch_execz .LBB122_991
; %bb.990:
	v_mov_b32_e32 v23, 0
	ds_read_b64 v[25:26], v23 offset:4672
	v_mov_b32_e32 v24, 0x3ff00000
	ds_write_b64 v23, v[23:24] offset:4680
	s_waitcnt lgkmcnt(1)
	ds_write_b128 v23, v[23:26] offset:4160
.LBB122_991:
	s_or_b64 exec, exec, s[0:1]
	v_mov_b32_e32 v10, 0
	v_mov_b32_e32 v11, 0
	s_waitcnt lgkmcnt(0)
	s_barrier
	buffer_wbinvl1_vol
	s_and_saveexec_b64 s[0:1], s[8:9]
	s_cbranch_execz .LBB122_1001
; %bb.992:
	v_lshlrev_b32_e32 v24, 3, v20
	v_lshlrev_b32_e32 v23, 9, v21
	ds_read_b64 v[10:11], v24 offset:4096
	ds_read_b64 v[25:26], v23 offset:4160
	v_cmp_gt_u32_e64 s[10:11], 56, v15
	s_waitcnt lgkmcnt(0)
	v_fma_f64 v[10:11], v[10:11], v[25:26], 0
	s_and_saveexec_b64 s[12:13], s[10:11]
	s_cbranch_execnz .LBB122_1214
; %bb.993:
	s_or_b64 exec, exec, s[12:13]
	v_cmp_gt_u32_e64 s[10:11], 48, v15
	s_and_saveexec_b64 s[12:13], s[10:11]
	s_cbranch_execnz .LBB122_1215
.LBB122_994:
	s_or_b64 exec, exec, s[12:13]
	v_cmp_gt_u32_e64 s[10:11], 40, v15
	s_and_saveexec_b64 s[12:13], s[10:11]
	s_cbranch_execnz .LBB122_1216
.LBB122_995:
	s_or_b64 exec, exec, s[12:13]
	v_cmp_gt_u32_e64 s[10:11], 32, v15
	s_and_saveexec_b64 s[12:13], s[10:11]
	s_cbranch_execnz .LBB122_1217
.LBB122_996:
	s_or_b64 exec, exec, s[12:13]
	v_cmp_gt_u32_e64 s[10:11], 24, v15
	s_and_saveexec_b64 s[12:13], s[10:11]
	s_cbranch_execnz .LBB122_1218
.LBB122_997:
	s_or_b64 exec, exec, s[12:13]
	s_and_saveexec_b64 s[10:11], s[18:19]
	s_cbranch_execnz .LBB122_1219
.LBB122_998:
	s_or_b64 exec, exec, s[10:11]
	v_cmp_gt_u32_e64 s[10:11], 8, v15
	s_and_saveexec_b64 s[12:13], s[10:11]
	s_cbranch_execz .LBB122_1000
.LBB122_999:
	v_lshlrev_b32_e32 v23, 3, v0
	v_mov_b32_e32 v25, 0
	ds_read_b64 v[23:24], v23 offset:7680
	ds_read_b64 v[25:26], v25 offset:7800
	s_waitcnt lgkmcnt(0)
	v_fma_f64 v[10:11], v[23:24], v[25:26], v[10:11]
.LBB122_1000:
	s_or_b64 exec, exec, s[12:13]
.LBB122_1001:
	s_or_b64 exec, exec, s[0:1]
	s_and_saveexec_b64 s[0:1], s[58:59]
; %bb.1002:
	v_xor_b32_e32 v24, 0x80000000, v11
	v_mov_b32_e32 v23, v10
	ds_write_b64 v22, v[23:24]
; %bb.1003:
	s_or_b64 exec, exec, s[0:1]
	s_waitcnt lgkmcnt(0)
	s_barrier
	s_and_saveexec_b64 s[0:1], s[60:61]
	s_cbranch_execz .LBB122_1005
; %bb.1004:
	v_lshlrev_b32_e32 v23, 3, v20
	ds_read_b64 v[23:24], v23 offset:3584
	ds_read_b64 v[25:26], v22
	s_waitcnt lgkmcnt(0)
	v_fma_f64 v[10:11], -v[23:24], v[25:26], v[10:11]
.LBB122_1005:
	s_or_b64 exec, exec, s[0:1]
	s_barrier
	s_and_saveexec_b64 s[0:1], s[62:63]
; %bb.1006:
	v_xor_b32_e32 v24, 0x80000000, v11
	v_mov_b32_e32 v23, v10
	ds_write_b64 v22, v[23:24]
; %bb.1007:
	s_or_b64 exec, exec, s[0:1]
	s_waitcnt lgkmcnt(0)
	s_barrier
	s_and_saveexec_b64 s[0:1], s[64:65]
	s_cbranch_execz .LBB122_1009
; %bb.1008:
	v_lshlrev_b32_e32 v23, 3, v20
	ds_read_b64 v[23:24], v23 offset:3072
	ds_read_b64 v[25:26], v22
	s_waitcnt lgkmcnt(0)
	v_fma_f64 v[10:11], -v[23:24], v[25:26], v[10:11]
.LBB122_1009:
	s_or_b64 exec, exec, s[0:1]
	s_barrier
	;; [unrolled: 20-line block ×6, first 2 shown]
	s_and_saveexec_b64 s[0:1], s[84:85]
; %bb.1026:
	v_xor_b32_e32 v24, 0x80000000, v11
	v_mov_b32_e32 v23, v10
	ds_write_b64 v22, v[23:24]
; %bb.1027:
	s_or_b64 exec, exec, s[0:1]
	s_waitcnt lgkmcnt(0)
	s_barrier
	s_and_saveexec_b64 s[0:1], s[68:69]
	s_cbranch_execz .LBB122_1029
; %bb.1028:
	v_mov_b32_e32 v23, 0
	ds_read_b64 v[23:24], v23 offset:512
	ds_read_b64 v[25:26], v22
	s_waitcnt lgkmcnt(0)
	v_fma_f64 v[10:11], -v[23:24], v[25:26], v[10:11]
.LBB122_1029:
	s_or_b64 exec, exec, s[0:1]
	s_barrier
	s_and_saveexec_b64 s[0:1], s[68:69]
; %bb.1030:
	v_xor_b32_e32 v24, 0x80000000, v11
	v_mov_b32_e32 v23, v10
	ds_write_b64 v22, v[23:24]
; %bb.1031:
	s_or_b64 exec, exec, s[0:1]
	s_waitcnt lgkmcnt(0)
	s_barrier
	s_barrier
	s_and_saveexec_b64 s[0:1], s[8:9]
; %bb.1032:
	v_lshlrev_b32_e32 v20, 3, v20
	v_lshl_or_b32 v20, v21, 9, v20
	ds_write_b64 v20, v[10:11] offset:4096
; %bb.1033:
	s_or_b64 exec, exec, s[0:1]
	s_waitcnt lgkmcnt(0)
	s_barrier
	s_barrier
	s_and_saveexec_b64 s[0:1], s[86:87]
	s_cbranch_execz .LBB122_1035
; %bb.1034:
	v_lshlrev_b32_e32 v20, 9, v0
	ds_read_b64 v[10:11], v20 offset:4096
	s_movk_i32 s8, 0xfe08
	v_mad_i32_i24 v21, v0, s8, v20
	s_waitcnt lgkmcnt(0)
	ds_write_b64 v21, v[10:11] offset:64
	ds_read_b64 v[10:11], v20 offset:4104
	s_waitcnt lgkmcnt(0)
	ds_write_b64 v21, v[10:11] offset:576
	ds_read_b64 v[10:11], v20 offset:4112
	;; [unrolled: 3-line block ×7, first 2 shown]
	s_waitcnt lgkmcnt(0)
	ds_write_b64 v21, v[10:11] offset:3648
.LBB122_1035:
	s_or_b64 exec, exec, s[0:1]
	s_waitcnt lgkmcnt(0)
	s_barrier
	s_and_saveexec_b64 s[0:1], vcc
	s_cbranch_execz .LBB122_1037
; %bb.1036:
	v_mov_b32_e32 v20, 0
	ds_read_b64 v[22:23], v20 offset:3632
	v_mov_b32_e32 v21, 0x3ff00000
	ds_write_b64 v20, v[20:21] offset:3640
	s_waitcnt lgkmcnt(1)
	ds_write_b128 v20, v[20:23] offset:3120
.LBB122_1037:
	s_or_b64 exec, exec, s[0:1]
	v_mov_b32_e32 v10, 0
	v_mov_b32_e32 v11, 0
	s_waitcnt lgkmcnt(0)
	s_barrier
	buffer_wbinvl1_vol
	s_and_saveexec_b64 s[0:1], s[2:3]
	s_cbranch_execz .LBB122_1041
; %bb.1038:
	v_lshlrev_b32_e32 v20, 9, v13
	v_lshlrev_b32_e32 v10, 3, v12
	ds_read_b64 v[10:11], v10 offset:3104
	ds_read_b64 v[20:21], v20 offset:3120
	v_cmp_gt_u32_e64 s[8:9], 2, v15
	s_waitcnt lgkmcnt(0)
	v_fma_f64 v[10:11], v[10:11], v[20:21], 0
	s_and_saveexec_b64 s[10:11], s[8:9]
	s_cbranch_execz .LBB122_1040
; %bb.1039:
	v_lshlrev_b32_e32 v20, 3, v0
	v_mov_b32_e32 v22, 0
	ds_read_b64 v[20:21], v20 offset:3616
	ds_read_b64 v[22:23], v22 offset:3640
	s_waitcnt lgkmcnt(0)
	v_fma_f64 v[10:11], v[20:21], v[22:23], v[10:11]
.LBB122_1040:
	s_or_b64 exec, exec, s[10:11]
.LBB122_1041:
	s_or_b64 exec, exec, s[0:1]
	s_and_saveexec_b64 s[0:1], s[40:41]
; %bb.1042:
	v_xor_b32_e32 v21, 0x80000000, v11
	v_mov_b32_e32 v20, v10
	ds_write_b64 v14, v[20:21]
; %bb.1043:
	s_or_b64 exec, exec, s[0:1]
	s_waitcnt lgkmcnt(0)
	s_barrier
	s_and_saveexec_b64 s[0:1], s[38:39]
	s_cbranch_execz .LBB122_1045
; %bb.1044:
	v_mov_b32_e32 v20, 0
	ds_read_b64 v[20:21], v20 offset:2592
	ds_read_b64 v[22:23], v14
	s_waitcnt lgkmcnt(0)
	v_fma_f64 v[10:11], -v[20:21], v[22:23], v[10:11]
.LBB122_1045:
	s_or_b64 exec, exec, s[0:1]
	s_barrier
	s_and_saveexec_b64 s[0:1], s[38:39]
; %bb.1046:
	v_xor_b32_e32 v21, 0x80000000, v11
	v_mov_b32_e32 v20, v10
	ds_write_b64 v14, v[20:21]
; %bb.1047:
	s_or_b64 exec, exec, s[0:1]
	s_waitcnt lgkmcnt(0)
	s_barrier
	s_barrier
	s_and_saveexec_b64 s[0:1], s[2:3]
; %bb.1048:
	v_lshlrev_b32_e32 v20, 3, v12
	v_lshl_or_b32 v20, v13, 9, v20
	ds_write_b64 v20, v[10:11] offset:3104
; %bb.1049:
	s_or_b64 exec, exec, s[0:1]
	s_waitcnt lgkmcnt(0)
	s_barrier
	s_barrier
	s_and_saveexec_b64 s[0:1], s[42:43]
	s_cbranch_execz .LBB122_1051
; %bb.1050:
	v_lshlrev_b32_e32 v20, 3, v0
	s_movk_i32 s8, 0x1f8
	v_mad_u32_u24 v21, v0, s8, v20
	ds_read_b64 v[10:11], v21 offset:3104
	s_waitcnt lgkmcnt(0)
	ds_write_b64 v20, v[10:11] offset:2096
	ds_read_b64 v[10:11], v21 offset:3112
	s_waitcnt lgkmcnt(0)
	ds_write_b64 v20, v[10:11] offset:2608
.LBB122_1051:
	s_or_b64 exec, exec, s[0:1]
	s_waitcnt lgkmcnt(0)
	s_barrier
	s_and_saveexec_b64 s[0:1], vcc
	s_cbranch_execz .LBB122_1053
; %bb.1052:
	v_mov_b32_e32 v20, 0
	ds_read_b64 v[22:23], v20 offset:2592
	v_mov_b32_e32 v21, 0x3ff00000
	ds_write_b64 v20, v[20:21] offset:2600
	s_waitcnt lgkmcnt(1)
	ds_write_b128 v20, v[20:23] offset:2080
.LBB122_1053:
	s_or_b64 exec, exec, s[0:1]
	v_mov_b32_e32 v10, 0
	v_mov_b32_e32 v11, 0
	s_waitcnt lgkmcnt(0)
	s_barrier
	buffer_wbinvl1_vol
	s_and_saveexec_b64 s[0:1], s[18:19]
	s_cbranch_execz .LBB122_1059
; %bb.1054:
	v_lshlrev_b32_e32 v21, 3, v16
	v_lshlrev_b32_e32 v20, 9, v17
	ds_read_b64 v[10:11], v21 offset:2048
	ds_read_b64 v[22:23], v20 offset:2080
	v_cmp_gt_u32_e64 s[8:9], 12, v15
	s_waitcnt lgkmcnt(0)
	v_fma_f64 v[10:11], v[10:11], v[22:23], 0
	s_and_saveexec_b64 s[10:11], s[8:9]
	s_cbranch_execnz .LBB122_1220
; %bb.1055:
	s_or_b64 exec, exec, s[10:11]
	v_cmp_gt_u32_e64 s[8:9], 8, v15
	s_and_saveexec_b64 s[10:11], s[8:9]
	s_cbranch_execnz .LBB122_1221
.LBB122_1056:
	s_or_b64 exec, exec, s[10:11]
	v_cmp_gt_u32_e64 s[8:9], 4, v15
	s_and_saveexec_b64 s[10:11], s[8:9]
	s_cbranch_execz .LBB122_1058
.LBB122_1057:
	v_lshlrev_b32_e32 v20, 3, v0
	v_mov_b32_e32 v22, 0
	ds_read_b64 v[20:21], v20 offset:3584
	ds_read_b64 v[22:23], v22 offset:3640
	s_waitcnt lgkmcnt(0)
	v_fma_f64 v[10:11], v[20:21], v[22:23], v[10:11]
.LBB122_1058:
	s_or_b64 exec, exec, s[10:11]
.LBB122_1059:
	s_or_b64 exec, exec, s[0:1]
	s_and_saveexec_b64 s[0:1], s[46:47]
; %bb.1060:
	v_xor_b32_e32 v21, 0x80000000, v11
	v_mov_b32_e32 v20, v10
	ds_write_b64 v19, v[20:21]
; %bb.1061:
	s_or_b64 exec, exec, s[0:1]
	s_waitcnt lgkmcnt(0)
	s_barrier
	s_and_saveexec_b64 s[0:1], s[48:49]
	s_load_dword s16, s[4:5], 0x6c
	v_readlane_b32 s34, v35, 2
	v_readlane_b32 s46, v35, 0
	;; [unrolled: 1-line block ×4, first 2 shown]
	s_cbranch_execz .LBB122_1063
; %bb.1062:
	v_lshlrev_b32_e32 v20, 3, v16
	ds_read_b64 v[20:21], v20 offset:1536
	ds_read_b64 v[22:23], v19
	s_waitcnt lgkmcnt(0)
	v_fma_f64 v[10:11], -v[20:21], v[22:23], v[10:11]
.LBB122_1063:
	s_or_b64 exec, exec, s[0:1]
	s_waitcnt lgkmcnt(0)
	s_barrier
	s_and_saveexec_b64 s[0:1], s[50:51]
; %bb.1064:
	v_xor_b32_e32 v21, 0x80000000, v11
	v_mov_b32_e32 v20, v10
	ds_write_b64 v19, v[20:21]
; %bb.1065:
	s_or_b64 exec, exec, s[0:1]
	s_waitcnt lgkmcnt(0)
	s_barrier
	s_and_saveexec_b64 s[0:1], s[52:53]
	s_cbranch_execz .LBB122_1067
; %bb.1066:
	v_lshlrev_b32_e32 v20, 3, v16
	ds_read_b64 v[20:21], v20 offset:1024
	ds_read_b64 v[22:23], v19
	s_waitcnt lgkmcnt(0)
	v_fma_f64 v[10:11], -v[20:21], v[22:23], v[10:11]
.LBB122_1067:
	s_or_b64 exec, exec, s[0:1]
	s_barrier
	s_and_saveexec_b64 s[0:1], s[54:55]
; %bb.1068:
	v_xor_b32_e32 v21, 0x80000000, v11
	v_mov_b32_e32 v20, v10
	ds_write_b64 v19, v[20:21]
; %bb.1069:
	s_or_b64 exec, exec, s[0:1]
	s_waitcnt lgkmcnt(0)
	s_barrier
	s_and_saveexec_b64 s[0:1], s[44:45]
	s_cbranch_execz .LBB122_1071
; %bb.1070:
	v_mov_b32_e32 v20, 0
	ds_read_b64 v[20:21], v20 offset:512
	ds_read_b64 v[22:23], v19
	s_waitcnt lgkmcnt(0)
	v_fma_f64 v[10:11], -v[20:21], v[22:23], v[10:11]
.LBB122_1071:
	s_or_b64 exec, exec, s[0:1]
	s_barrier
	s_and_saveexec_b64 s[0:1], s[44:45]
; %bb.1072:
	v_xor_b32_e32 v21, 0x80000000, v11
	v_mov_b32_e32 v20, v10
	ds_write_b64 v19, v[20:21]
; %bb.1073:
	s_or_b64 exec, exec, s[0:1]
	s_waitcnt lgkmcnt(0)
	s_barrier
	s_barrier
	s_and_saveexec_b64 s[0:1], s[18:19]
; %bb.1074:
	v_lshlrev_b32_e32 v16, 3, v16
	v_lshl_or_b32 v16, v17, 9, v16
	ds_write_b64 v16, v[10:11] offset:2048
; %bb.1075:
	s_or_b64 exec, exec, s[0:1]
	s_waitcnt lgkmcnt(0)
	s_barrier
	s_barrier
	s_and_saveexec_b64 s[0:1], s[56:57]
	s_cbranch_execz .LBB122_1077
; %bb.1076:
	v_lshlrev_b32_e32 v16, 9, v0
	ds_read_b64 v[10:11], v16 offset:2048
	s_movk_i32 s8, 0xfe08
	v_mad_i32_i24 v17, v0, s8, v16
	s_waitcnt lgkmcnt(0)
	ds_write_b64 v17, v[10:11] offset:32
	ds_read_b64 v[10:11], v16 offset:2056
	s_waitcnt lgkmcnt(0)
	ds_write_b64 v17, v[10:11] offset:544
	ds_read_b64 v[10:11], v16 offset:2064
	;; [unrolled: 3-line block ×3, first 2 shown]
	s_waitcnt lgkmcnt(0)
	ds_write_b64 v17, v[10:11] offset:1568
.LBB122_1077:
	s_or_b64 exec, exec, s[0:1]
	s_waitcnt lgkmcnt(0)
	s_barrier
	s_and_saveexec_b64 s[0:1], vcc
	s_cbranch_execz .LBB122_1079
; %bb.1078:
	v_mov_b32_e32 v19, 0
	ds_read_b64 v[21:22], v19 offset:1552
	v_mov_b32_e32 v20, 0x3ff00000
	ds_write_b64 v19, v[19:20] offset:1560
	s_waitcnt lgkmcnt(1)
	ds_write_b128 v19, v[19:22] offset:1040
.LBB122_1079:
	s_or_b64 exec, exec, s[0:1]
	v_mov_b32_e32 v10, 0
	v_mov_b32_e32 v11, 0
	s_waitcnt lgkmcnt(0)
	s_barrier
	buffer_wbinvl1_vol
	s_and_saveexec_b64 s[0:1], s[2:3]
	s_cbranch_execz .LBB122_1083
; %bb.1080:
	v_lshlrev_b32_e32 v16, 9, v13
	v_lshlrev_b32_e32 v10, 3, v12
	ds_read_b64 v[10:11], v10 offset:1024
	ds_read_b64 v[16:17], v16 offset:1040
	v_cmp_gt_u32_e64 s[8:9], 2, v15
	s_waitcnt lgkmcnt(0)
	v_fma_f64 v[10:11], v[10:11], v[16:17], 0
	s_and_saveexec_b64 s[10:11], s[8:9]
	s_cbranch_execz .LBB122_1082
; %bb.1081:
	v_lshlrev_b32_e32 v15, 3, v0
	v_mov_b32_e32 v17, 0
	ds_read_b64 v[15:16], v15 offset:1536
	ds_read_b64 v[19:20], v17 offset:1560
	s_waitcnt lgkmcnt(0)
	v_fma_f64 v[10:11], v[15:16], v[19:20], v[10:11]
.LBB122_1082:
	s_or_b64 exec, exec, s[10:11]
.LBB122_1083:
	s_or_b64 exec, exec, s[0:1]
	s_and_saveexec_b64 s[0:1], s[40:41]
; %bb.1084:
	v_xor_b32_e32 v16, 0x80000000, v11
	v_mov_b32_e32 v15, v10
	ds_write_b64 v14, v[15:16]
; %bb.1085:
	s_or_b64 exec, exec, s[0:1]
	s_waitcnt lgkmcnt(0)
	s_barrier
	s_and_saveexec_b64 s[0:1], s[38:39]
	s_cbranch_execz .LBB122_1087
; %bb.1086:
	v_mov_b32_e32 v15, 0
	ds_read_b64 v[15:16], v15 offset:512
	ds_read_b64 v[19:20], v14
	s_waitcnt lgkmcnt(0)
	v_fma_f64 v[10:11], -v[15:16], v[19:20], v[10:11]
.LBB122_1087:
	s_or_b64 exec, exec, s[0:1]
	s_barrier
	s_and_saveexec_b64 s[0:1], s[38:39]
; %bb.1088:
	v_xor_b32_e32 v16, 0x80000000, v11
	v_mov_b32_e32 v15, v10
	ds_write_b64 v14, v[15:16]
; %bb.1089:
	s_or_b64 exec, exec, s[0:1]
	s_waitcnt lgkmcnt(0)
	s_barrier
	s_barrier
	s_and_saveexec_b64 s[0:1], s[2:3]
; %bb.1090:
	v_lshlrev_b32_e32 v12, 3, v12
	v_lshl_or_b32 v12, v13, 9, v12
	ds_write_b64 v12, v[10:11] offset:1024
; %bb.1091:
	s_or_b64 exec, exec, s[0:1]
	s_waitcnt lgkmcnt(0)
	s_barrier
	s_barrier
	s_and_saveexec_b64 s[0:1], s[42:43]
	s_cbranch_execz .LBB122_1093
; %bb.1092:
	v_lshlrev_b32_e32 v12, 3, v0
	s_movk_i32 s2, 0x1f8
	v_mad_u32_u24 v13, v0, s2, v12
	ds_read_b64 v[10:11], v13 offset:1024
	s_waitcnt lgkmcnt(0)
	ds_write_b64 v12, v[10:11] offset:16
	ds_read_b64 v[10:11], v13 offset:1032
	s_waitcnt lgkmcnt(0)
	ds_write_b64 v12, v[10:11] offset:528
.LBB122_1093:
	s_or_b64 exec, exec, s[0:1]
	s_waitcnt lgkmcnt(0)
	s_barrier
	s_and_saveexec_b64 s[0:1], vcc
	s_cbranch_execz .LBB122_1095
; %bb.1094:
	v_mov_b32_e32 v10, 0
	ds_read_b64 v[12:13], v10 offset:512
	v_mov_b32_e32 v11, 0x3ff00000
	ds_write_b64 v10, v[10:11] offset:520
	s_waitcnt lgkmcnt(1)
	ds_write_b128 v10, v[10:13]
.LBB122_1095:
	s_or_b64 exec, exec, s[0:1]
.LBB122_1096:
	s_lshl_b64 s[0:1], s[24:25], 3
	s_add_u32 s20, s36, s0
	v_cmp_le_i32_e32 vcc, s7, v0
	s_addc_u32 s21, s37, s1
	s_and_b64 s[14:15], vcc, s[22:23]
	v_cmp_eq_u32_e64 s[2:3], 0, v1
	s_xor_b64 s[0:1], s[14:15], -1
	v_mov_b32_e32 v10, 0
	s_and_b64 s[8:9], s[2:3], s[0:1]
	v_mov_b32_e32 v11, 0
	v_lshl_add_u32 v12, s6, 6, v0
	s_waitcnt lgkmcnt(0)
	s_barrier
	s_and_saveexec_b64 s[0:1], s[8:9]
	s_cbranch_execz .LBB122_1098
; %bb.1097:
	v_ashrrev_i32_e32 v13, 31, v12
	v_mul_lo_u32 v14, s27, v12
	v_mad_u64_u32 v[10:11], s[8:9], s26, v12, 0
	v_mul_lo_u32 v13, s26, v13
	v_add3_u32 v11, v11, v13, v14
	v_lshlrev_b64 v[10:11], 3, v[10:11]
	v_mov_b32_e32 v13, s21
	v_add_co_u32_e32 v10, vcc, s20, v10
	v_addc_co_u32_e32 v11, vcc, v13, v11, vcc
	flat_load_dwordx2 v[10:11], v[10:11]
	s_waitcnt vmcnt(0) lgkmcnt(0)
	v_mul_f64 v[10:11], v[10:11], -s[34:35]
.LBB122_1098:
	s_or_b64 exec, exec, s[0:1]
	s_load_dwordx2 s[0:1], s[4:5], 0x50
	s_and_b32 s4, 0xffff, s16
	v_mad_u32_u24 v19, v1, s4, v0
	v_mov_b32_e32 v13, 0
	s_cmp_lt_i32 s6, 1
	v_cmp_eq_u32_e64 s[4:5], 0, v19
	s_cbranch_scc1 .LBB122_1124
; %bb.1099:
	v_mad_u64_u32 v[14:15], s[8:9], s30, v12, 0
	s_mov_b32 s24, 0
	v_cmp_gt_u32_e64 s[12:13], 64, v19
	v_mad_u64_u32 v[15:16], s[8:9], s31, v12, v[15:16]
	s_lshl_b64 s[8:9], s[28:29], 2
	s_waitcnt lgkmcnt(0)
	s_add_u32 s16, s0, s8
	v_lshlrev_b64 v[14:15], 3, v[14:15]
	s_addc_u32 s17, s1, s9
	v_mov_b32_e32 v16, 0xa000
	v_cmp_gt_i32_e64 s[8:9], s33, v12
	v_mov_b32_e32 v12, s89
	v_add_co_u32_e32 v22, vcc, s88, v14
	v_lshl_add_u32 v20, v19, 3, v16
	v_lshl_or_b32 v21, v1, 3, v16
	s_add_i32 s25, s6, -1
	v_addc_co_u32_e32 v23, vcc, v12, v15, vcc
	v_mov_b32_e32 v24, -1
	s_branch .LBB122_1102
.LBB122_1100:                           ;   in Loop: Header=BB122_1102 Depth=1
	ds_read_b64 v[14:15], v21 offset:384
	s_waitcnt vmcnt(0) lgkmcnt(0)
	v_fma_f64 v[10:11], v[16:17], v[14:15], v[10:11]
.LBB122_1101:                           ;   in Loop: Header=BB122_1102 Depth=1
	s_or_b64 exec, exec, s[18:19]
	s_add_i32 s24, s24, 1
	s_cmp_eq_u32 s24, s6
	s_cbranch_scc1 .LBB122_1124
.LBB122_1102:                           ; =>This Loop Header: Depth=1
                                        ;     Child Loop BB122_1104 Depth 2
	v_cmp_gt_i32_e32 vcc, s24, v24
	s_and_b64 s[18:19], s[4:5], vcc
	s_and_saveexec_b64 s[10:11], s[18:19]
	s_cbranch_execz .LBB122_1105
; %bb.1103:                             ;   in Loop: Header=BB122_1102 Depth=1
	global_load_dword v24, v13, s[16:17]
	s_waitcnt vmcnt(0)
	v_cmp_le_i32_e32 vcc, s24, v24
	s_cbranch_vccnz .LBB122_1105
.LBB122_1104:                           ;   Parent Loop BB122_1102 Depth=1
                                        ; =>  This Inner Loop Header: Depth=2
	buffer_wbinvl1_vol
	global_load_dword v24, v13, s[16:17]
	s_waitcnt vmcnt(0)
	v_cmp_gt_i32_e32 vcc, s24, v24
	s_cbranch_vccnz .LBB122_1104
.LBB122_1105:                           ;   in Loop: Header=BB122_1102 Depth=1
	s_or_b64 exec, exec, s[10:11]
	s_lshl_b32 s30, s24, 6
	buffer_wbinvl1_vol
	s_barrier
	s_and_saveexec_b64 s[10:11], s[12:13]
	s_cbranch_execz .LBB122_1109
; %bb.1106:                             ;   in Loop: Header=BB122_1102 Depth=1
	v_or_b32_e32 v12, s30, v19
	v_mov_b32_e32 v14, 0
	v_mov_b32_e32 v15, 0
	v_cmp_gt_i32_e32 vcc, s33, v12
	s_and_saveexec_b64 s[18:19], vcc
	s_cbranch_execz .LBB122_1108
; %bb.1107:                             ;   in Loop: Header=BB122_1102 Depth=1
	v_mad_u64_u32 v[14:15], s[34:35], s26, v12, 0
	v_mad_u64_u32 v[15:16], s[34:35], s27, v12, v[15:16]
	v_mov_b32_e32 v12, s21
	v_lshlrev_b64 v[14:15], 3, v[14:15]
	v_add_co_u32_e32 v14, vcc, s20, v14
	v_addc_co_u32_e32 v15, vcc, v12, v15, vcc
	flat_load_dwordx2 v[14:15], v[14:15]
.LBB122_1108:                           ;   in Loop: Header=BB122_1102 Depth=1
	s_or_b64 exec, exec, s[18:19]
	s_waitcnt vmcnt(0) lgkmcnt(0)
	ds_write_b64 v20, v[14:15]
.LBB122_1109:                           ;   in Loop: Header=BB122_1102 Depth=1
	s_or_b64 exec, exec, s[10:11]
	v_add_u32_e32 v12, s30, v1
	v_lshlrev_b64 v[14:15], 3, v[12:13]
	s_cmp_lg_u32 s24, s25
	v_add_co_u32_e32 v14, vcc, v22, v14
	s_cselect_b64 s[10:11], -1, 0
	v_addc_co_u32_e32 v15, vcc, v23, v15, vcc
	v_cmp_gt_i32_e32 vcc, s33, v12
	v_cndmask_b32_e64 v16, 0, 1, s[10:11]
	s_and_b64 s[30:31], vcc, s[8:9]
	v_cmp_ne_u32_e64 s[10:11], 1, v16
	s_waitcnt lgkmcnt(0)
	s_barrier
	s_and_saveexec_b64 s[18:19], s[30:31]
	s_cbranch_execz .LBB122_1113
; %bb.1110:                             ;   in Loop: Header=BB122_1102 Depth=1
	v_mov_b32_e32 v17, v5
	s_and_b64 vcc, exec, s[10:11]
	v_mov_b32_e32 v16, v4
	s_cbranch_vccnz .LBB122_1112
; %bb.1111:                             ;   in Loop: Header=BB122_1102 Depth=1
	flat_load_dwordx2 v[16:17], v[14:15]
.LBB122_1112:                           ;   in Loop: Header=BB122_1102 Depth=1
	ds_read_b64 v[25:26], v21
	s_waitcnt vmcnt(0) lgkmcnt(0)
	v_fma_f64 v[10:11], v[16:17], v[25:26], v[10:11]
.LBB122_1113:                           ;   in Loop: Header=BB122_1102 Depth=1
	s_or_b64 exec, exec, s[18:19]
	v_add_u32_e32 v16, 16, v12
	v_cmp_gt_i32_e32 vcc, s33, v16
	s_and_b64 s[30:31], vcc, s[8:9]
	s_and_saveexec_b64 s[18:19], s[30:31]
	s_cbranch_execz .LBB122_1117
; %bb.1114:                             ;   in Loop: Header=BB122_1102 Depth=1
	v_mov_b32_e32 v17, v3
	s_and_b64 vcc, exec, s[10:11]
	v_mov_b32_e32 v16, v2
	s_cbranch_vccnz .LBB122_1116
; %bb.1115:                             ;   in Loop: Header=BB122_1102 Depth=1
	flat_load_dwordx2 v[16:17], v[14:15] offset:128
.LBB122_1116:                           ;   in Loop: Header=BB122_1102 Depth=1
	ds_read_b64 v[25:26], v21 offset:128
	s_waitcnt vmcnt(0) lgkmcnt(0)
	v_fma_f64 v[10:11], v[16:17], v[25:26], v[10:11]
.LBB122_1117:                           ;   in Loop: Header=BB122_1102 Depth=1
	s_or_b64 exec, exec, s[18:19]
	v_add_u32_e32 v16, 32, v12
	v_cmp_gt_i32_e32 vcc, s33, v16
	s_and_b64 s[30:31], vcc, s[8:9]
	s_and_saveexec_b64 s[18:19], s[30:31]
	s_cbranch_execz .LBB122_1121
; %bb.1118:                             ;   in Loop: Header=BB122_1102 Depth=1
	v_mov_b32_e32 v17, v9
	s_and_b64 vcc, exec, s[10:11]
	v_mov_b32_e32 v16, v8
	s_cbranch_vccnz .LBB122_1120
; %bb.1119:                             ;   in Loop: Header=BB122_1102 Depth=1
	flat_load_dwordx2 v[16:17], v[14:15] offset:256
.LBB122_1120:                           ;   in Loop: Header=BB122_1102 Depth=1
	ds_read_b64 v[25:26], v21 offset:256
	s_waitcnt vmcnt(0) lgkmcnt(0)
	v_fma_f64 v[10:11], v[16:17], v[25:26], v[10:11]
.LBB122_1121:                           ;   in Loop: Header=BB122_1102 Depth=1
	s_or_b64 exec, exec, s[18:19]
	v_add_u32_e32 v12, 48, v12
	v_cmp_gt_i32_e32 vcc, s33, v12
	s_and_b64 s[30:31], vcc, s[8:9]
	s_and_saveexec_b64 s[18:19], s[30:31]
	s_cbranch_execz .LBB122_1101
; %bb.1122:                             ;   in Loop: Header=BB122_1102 Depth=1
	v_mov_b32_e32 v17, v7
	s_and_b64 vcc, exec, s[10:11]
	v_mov_b32_e32 v16, v6
	s_cbranch_vccnz .LBB122_1100
; %bb.1123:                             ;   in Loop: Header=BB122_1102 Depth=1
	flat_load_dwordx2 v[16:17], v[14:15] offset:384
	s_branch .LBB122_1100
.LBB122_1124:
	v_lshl_add_u32 v2, v1, 6, v0
	s_xor_b64 s[4:5], s[22:23], -1
	v_lshlrev_b32_e32 v4, 3, v2
	ds_write_b64 v4, v[10:11] offset:32768
	s_waitcnt lgkmcnt(0)
	s_barrier
	s_and_saveexec_b64 s[8:9], s[2:3]
	s_cbranch_execz .LBB122_1126
; %bb.1125:
	v_lshlrev_b32_e32 v15, 3, v0
	ds_read2st64_b64 v[5:8], v15 offset0:65 offset1:66
	ds_read_b64 v[2:3], v15 offset:40448
	s_waitcnt lgkmcnt(1)
	v_add_f64 v[5:6], v[10:11], v[5:6]
	v_add_f64 v[13:14], v[5:6], v[7:8]
	ds_read2st64_b64 v[5:8], v15 offset0:67 offset1:68
	ds_read2st64_b64 v[9:12], v15 offset0:69 offset1:70
	s_waitcnt lgkmcnt(1)
	v_add_f64 v[5:6], v[13:14], v[5:6]
	v_add_f64 v[5:6], v[5:6], v[7:8]
	s_waitcnt lgkmcnt(0)
	v_add_f64 v[5:6], v[5:6], v[9:10]
	v_add_f64 v[13:14], v[5:6], v[11:12]
	ds_read2st64_b64 v[5:8], v15 offset0:71 offset1:72
	ds_read2st64_b64 v[9:12], v15 offset0:73 offset1:74
	s_waitcnt lgkmcnt(1)
	v_add_f64 v[5:6], v[13:14], v[5:6]
	v_add_f64 v[5:6], v[5:6], v[7:8]
	;; [unrolled: 8-line block ×3, first 2 shown]
	s_waitcnt lgkmcnt(0)
	v_add_f64 v[5:6], v[5:6], v[9:10]
	v_add_f64 v[5:6], v[5:6], v[11:12]
	;; [unrolled: 1-line block ×3, first 2 shown]
	v_xor_b32_e32 v3, 0x80000000, v3
	v_cndmask_b32_e64 v11, v3, 0, s[14:15]
	v_cndmask_b32_e64 v10, v2, 0, s[14:15]
.LBB122_1126:
	s_or_b64 exec, exec, s[8:9]
	s_and_b64 vcc, exec, s[46:47]
	s_cbranch_vccnz .LBB122_1140
; %bb.1127:
	v_mov_b32_e32 v2, 0xa000
	v_lshl_or_b32 v5, v1, 3, v2
	s_and_saveexec_b64 s[8:9], s[2:3]
; %bb.1128:
	v_lshl_add_u32 v2, v0, 3, v5
	ds_write_b64 v2, v[10:11]
; %bb.1129:
	s_or_b64 exec, exec, s[8:9]
	v_mov_b32_e32 v2, 0
	v_mov_b32_e32 v3, 0
	v_cmp_le_u32_e32 vcc, v1, v0
	s_waitcnt lgkmcnt(0)
	s_barrier
	s_and_saveexec_b64 s[8:9], vcc
	s_cbranch_execz .LBB122_1131
; %bb.1130:
	ds_read_b64 v[2:3], v4
	ds_read_b64 v[6:7], v5
	s_waitcnt lgkmcnt(0)
	v_fma_f64 v[2:3], v[2:3], v[6:7], 0
.LBB122_1131:
	s_or_b64 exec, exec, s[8:9]
	v_add_u32_e32 v6, 16, v1
	v_cmp_ge_u32_e32 vcc, v0, v6
	s_and_saveexec_b64 s[8:9], vcc
	s_cbranch_execz .LBB122_1133
; %bb.1132:
	ds_read_b64 v[6:7], v4 offset:8192
	ds_read_b64 v[8:9], v5 offset:128
	s_waitcnt lgkmcnt(0)
	v_fma_f64 v[2:3], v[6:7], v[8:9], v[2:3]
.LBB122_1133:
	s_or_b64 exec, exec, s[8:9]
	v_add_u32_e32 v6, 32, v1
	v_cmp_ge_u32_e32 vcc, v0, v6
	s_and_saveexec_b64 s[8:9], vcc
	s_cbranch_execz .LBB122_1135
; %bb.1134:
	ds_read_b64 v[6:7], v4 offset:16384
	ds_read_b64 v[8:9], v5 offset:256
	s_waitcnt lgkmcnt(0)
	v_fma_f64 v[2:3], v[6:7], v[8:9], v[2:3]
.LBB122_1135:
	s_or_b64 exec, exec, s[8:9]
	v_add_u32_e32 v1, 48, v1
	v_add_u32_e32 v6, 0x8000, v4
	v_cmp_ge_u32_e32 vcc, v0, v1
	s_and_saveexec_b64 s[8:9], vcc
	s_cbranch_execz .LBB122_1137
; %bb.1136:
	ds_read_b64 v[7:8], v4 offset:24576
	ds_read_b64 v[4:5], v5 offset:384
	s_waitcnt lgkmcnt(0)
	v_fma_f64 v[2:3], v[7:8], v[4:5], v[2:3]
.LBB122_1137:
	s_or_b64 exec, exec, s[8:9]
	s_mov_b64 s[10:11], 0
	s_mov_b64 s[8:9], 0
	ds_write_b64 v6, v[2:3]
	s_waitcnt lgkmcnt(0)
	s_barrier
                                        ; implicit-def: $vgpr6_vgpr7
                                        ; implicit-def: $vgpr4_vgpr5
	s_and_saveexec_b64 s[12:13], s[2:3]
	s_cbranch_execz .LBB122_1161
; %bb.1138:
	v_lshlrev_b32_e32 v9, 3, v0
	ds_read2st64_b64 v[4:7], v9 offset0:65 offset1:66
	ds_read_b64 v[12:13], v9 offset:40448
	s_mov_b64 s[8:9], exec
	s_waitcnt lgkmcnt(1)
	v_add_f64 v[1:2], v[2:3], v[4:5]
	v_add_f64 v[14:15], v[6:7], v[1:2]
	ds_read2st64_b64 v[1:4], v9 offset0:67 offset1:68
	ds_read2st64_b64 v[5:8], v9 offset0:69 offset1:70
	s_waitcnt lgkmcnt(1)
	v_add_f64 v[1:2], v[1:2], v[14:15]
	v_add_f64 v[1:2], v[3:4], v[1:2]
	s_waitcnt lgkmcnt(0)
	v_add_f64 v[1:2], v[5:6], v[1:2]
	v_add_f64 v[14:15], v[7:8], v[1:2]
	ds_read2st64_b64 v[1:4], v9 offset0:71 offset1:72
	ds_read2st64_b64 v[5:8], v9 offset0:73 offset1:74
	s_waitcnt lgkmcnt(1)
	v_add_f64 v[1:2], v[1:2], v[14:15]
	v_add_f64 v[1:2], v[3:4], v[1:2]
	;; [unrolled: 8-line block ×3, first 2 shown]
	v_lshl_add_u32 v3, s6, 6, v19
	s_waitcnt lgkmcnt(0)
	v_add_f64 v[1:2], v[5:6], v[1:2]
	v_mad_u64_u32 v[4:5], s[14:15], s26, v3, 0
	v_add_f64 v[1:2], v[7:8], v[1:2]
	v_add_f64 v[6:7], v[12:13], v[1:2]
	v_mov_b32_e32 v1, v5
	v_mad_u64_u32 v[1:2], s[14:15], s27, v3, v[1:2]
	v_mov_b32_e32 v5, v1
	s_or_b64 exec, exec, s[12:13]
	s_and_b64 vcc, exec, s[10:11]
	s_cbranch_vccnz .LBB122_1141
	s_branch .LBB122_1162
.LBB122_1139:
	v_mad_u64_u32 v[12:13], s[2:3], s30, v15, 0
	s_or_b64 s[10:11], s[10:11], exec
	v_mad_u64_u32 v[13:14], s[2:3], s31, v15, v[13:14]
	v_lshlrev_b64 v[12:13], 3, v[12:13]
	v_add_co_u32_e32 v10, vcc, v10, v12
	v_addc_co_u32_e32 v11, vcc, v11, v13, vcc
	flat_load_dwordx2 v[12:13], v[10:11]
	s_waitcnt vmcnt(0) lgkmcnt(0)
	v_xor_b32_e32 v13, 0x80000000, v13
	s_or_b64 exec, exec, s[8:9]
	s_xor_b64 s[0:1], s[0:1], -1
	s_and_saveexec_b64 s[2:3], s[10:11]
	s_cbranch_execnz .LBB122_57
	s_branch .LBB122_58
.LBB122_1140:
	s_mov_b64 s[8:9], 0
                                        ; implicit-def: $vgpr6_vgpr7
                                        ; implicit-def: $vgpr4_vgpr5
	s_cbranch_execz .LBB122_1162
.LBB122_1141:
	s_mov_b32 s12, 0
	v_mov_b32_e32 v1, 0
	v_mov_b32_e32 v2, v0
	s_branch .LBB122_1143
.LBB122_1142:                           ;   in Loop: Header=BB122_1143 Depth=1
	s_or_b64 exec, exec, s[10:11]
	s_add_i32 s12, s12, 4
	v_add_u32_e32 v18, 0x800, v18
	s_cmp_lg_u32 s12, 64
	v_add_u32_e32 v2, -4, v2
	s_barrier
	s_cbranch_scc0 .LBB122_1159
.LBB122_1143:                           ; =>This Inner Loop Header: Depth=1
	v_cmp_eq_u32_e32 vcc, 0, v2
	s_and_b64 s[14:15], s[2:3], vcc
	s_and_saveexec_b64 s[10:11], s[14:15]
; %bb.1144:                             ;   in Loop: Header=BB122_1143 Depth=1
	ds_write_b64 v1, v[10:11] offset:41472
; %bb.1145:                             ;   in Loop: Header=BB122_1143 Depth=1
	s_or_b64 exec, exec, s[10:11]
	v_cmp_lt_u32_e32 vcc, s12, v0
	s_and_b64 s[14:15], s[2:3], vcc
	s_waitcnt lgkmcnt(0)
	s_barrier
	s_and_saveexec_b64 s[10:11], s[14:15]
	s_cbranch_execz .LBB122_1147
; %bb.1146:                             ;   in Loop: Header=BB122_1143 Depth=1
	ds_read_b64 v[3:4], v18
	ds_read_b64 v[5:6], v1 offset:41472
	s_waitcnt lgkmcnt(0)
	v_fma_f64 v[10:11], v[3:4], v[5:6], v[10:11]
.LBB122_1147:                           ;   in Loop: Header=BB122_1143 Depth=1
	s_or_b64 exec, exec, s[10:11]
	s_or_b32 s13, s12, 1
	v_cmp_eq_u32_e32 vcc, s13, v0
	s_and_b64 s[14:15], s[2:3], vcc
	s_barrier
	s_and_saveexec_b64 s[10:11], s[14:15]
; %bb.1148:                             ;   in Loop: Header=BB122_1143 Depth=1
	ds_write_b64 v1, v[10:11] offset:41472
; %bb.1149:                             ;   in Loop: Header=BB122_1143 Depth=1
	s_or_b64 exec, exec, s[10:11]
	v_cmp_lt_u32_e32 vcc, s13, v0
	s_and_b64 s[14:15], s[2:3], vcc
	s_waitcnt lgkmcnt(0)
	s_barrier
	s_and_saveexec_b64 s[10:11], s[14:15]
	s_cbranch_execz .LBB122_1151
; %bb.1150:                             ;   in Loop: Header=BB122_1143 Depth=1
	ds_read_b64 v[3:4], v18 offset:512
	ds_read_b64 v[5:6], v1 offset:41472
	s_waitcnt lgkmcnt(0)
	v_fma_f64 v[10:11], v[3:4], v[5:6], v[10:11]
.LBB122_1151:                           ;   in Loop: Header=BB122_1143 Depth=1
	s_or_b64 exec, exec, s[10:11]
	s_or_b32 s13, s12, 2
	v_cmp_eq_u32_e32 vcc, s13, v0
	s_and_b64 s[14:15], s[2:3], vcc
	s_barrier
	s_and_saveexec_b64 s[10:11], s[14:15]
; %bb.1152:                             ;   in Loop: Header=BB122_1143 Depth=1
	ds_write_b64 v1, v[10:11] offset:41472
; %bb.1153:                             ;   in Loop: Header=BB122_1143 Depth=1
	s_or_b64 exec, exec, s[10:11]
	v_cmp_lt_u32_e32 vcc, s13, v0
	s_and_b64 s[14:15], s[2:3], vcc
	s_waitcnt lgkmcnt(0)
	s_barrier
	s_and_saveexec_b64 s[10:11], s[14:15]
	s_cbranch_execz .LBB122_1155
; %bb.1154:                             ;   in Loop: Header=BB122_1143 Depth=1
	ds_read_b64 v[3:4], v18 offset:1024
	ds_read_b64 v[5:6], v1 offset:41472
	s_waitcnt lgkmcnt(0)
	v_fma_f64 v[10:11], v[3:4], v[5:6], v[10:11]
.LBB122_1155:                           ;   in Loop: Header=BB122_1143 Depth=1
	s_or_b64 exec, exec, s[10:11]
	s_or_b32 s13, s12, 3
	v_cmp_eq_u32_e32 vcc, s13, v0
	s_and_b64 s[14:15], s[2:3], vcc
	s_barrier
	s_and_saveexec_b64 s[10:11], s[14:15]
; %bb.1156:                             ;   in Loop: Header=BB122_1143 Depth=1
	ds_write_b64 v1, v[10:11] offset:41472
; %bb.1157:                             ;   in Loop: Header=BB122_1143 Depth=1
	s_or_b64 exec, exec, s[10:11]
	v_cmp_lt_u32_e32 vcc, s13, v0
	s_and_b64 s[14:15], s[2:3], vcc
	s_waitcnt lgkmcnt(0)
	s_barrier
	s_and_saveexec_b64 s[10:11], s[14:15]
	s_cbranch_execz .LBB122_1142
; %bb.1158:                             ;   in Loop: Header=BB122_1143 Depth=1
	ds_read_b64 v[3:4], v18 offset:1536
	ds_read_b64 v[5:6], v1 offset:41472
	s_waitcnt lgkmcnt(0)
	v_fma_f64 v[10:11], v[3:4], v[5:6], v[10:11]
	s_branch .LBB122_1142
.LBB122_1159:
	s_and_b64 vcc, exec, s[4:5]
	s_cbranch_vccz .LBB122_1163
; %bb.1160:
	s_and_b64 s[4:5], s[2:3], exec
	s_cbranch_execz .LBB122_1164
	s_branch .LBB122_1165
.LBB122_1161:
	s_or_b64 exec, exec, s[12:13]
	s_and_b64 vcc, exec, s[10:11]
	s_cbranch_vccnz .LBB122_1141
.LBB122_1162:
	v_mov_b32_e32 v11, v7
	v_mov_b32_e32 v10, v6
	s_and_saveexec_b64 s[2:3], s[8:9]
	s_cbranch_execnz .LBB122_1168
	s_branch .LBB122_1169
.LBB122_1163:
	s_mov_b64 s[4:5], 0
.LBB122_1164:
	v_cmp_gt_i32_e32 vcc, s7, v0
	s_and_b64 s[2:3], s[2:3], vcc
	s_andn2_b64 s[4:5], s[4:5], exec
	s_and_b64 s[2:3], s[2:3], exec
	s_or_b64 s[4:5], s[4:5], s[2:3]
.LBB122_1165:
                                        ; implicit-def: $vgpr4_vgpr5
	s_and_saveexec_b64 s[2:3], s[4:5]
	s_cbranch_execz .LBB122_1167
; %bb.1166:
	s_lshl_b32 s4, s6, 6
	s_ashr_i32 s5, s4, 31
	v_mov_b32_e32 v0, s5
	v_add_co_u32_e32 v1, vcc, s4, v19
	v_addc_co_u32_e32 v0, vcc, 0, v0, vcc
	v_mul_lo_u32 v0, v0, s26
	v_mul_lo_u32 v2, v1, s27
	v_mad_u64_u32 v[4:5], s[4:5], v1, s26, 0
	s_or_b64 s[8:9], s[8:9], exec
	v_add3_u32 v5, v5, v2, v0
.LBB122_1167:
	s_or_b64 exec, exec, s[2:3]
	s_and_saveexec_b64 s[2:3], s[8:9]
	s_cbranch_execz .LBB122_1169
.LBB122_1168:
	v_lshlrev_b64 v[0:1], 3, v[4:5]
	v_mov_b32_e32 v2, s21
	v_add_co_u32_e32 v0, vcc, s20, v0
	v_addc_co_u32_e32 v1, vcc, v2, v1, vcc
	flat_store_dwordx2 v[0:1], v[10:11]
.LBB122_1169:
	s_or_b64 exec, exec, s[2:3]
	v_cmp_eq_u32_e32 vcc, 0, v19
	s_waitcnt vmcnt(0) lgkmcnt(0)
	buffer_wbinvl1_vol
	s_barrier
	s_and_saveexec_b64 s[2:3], vcc
	s_cbranch_execz .LBB122_1171
; %bb.1170:
	s_lshl_b64 s[4:5], s[28:29], 2
	s_add_u32 s0, s0, s4
	s_addc_u32 s1, s1, s5
	v_mov_b32_e32 v0, 0
	global_load_dword v1, v0, s[0:1]
	s_waitcnt vmcnt(0)
	v_add_u32_e32 v1, 1, v1
	global_store_dword v0, v1, s[0:1]
.LBB122_1171:
	s_or_b64 exec, exec, s[2:3]
	s_waitcnt vmcnt(0)
	buffer_wbinvl1_vol
	s_endpgm
.LBB122_1172:
	ds_read_b64 v[22:23], v21 offset:31680
	ds_read_b64 v[24:25], v20 offset:31208
	s_waitcnt lgkmcnt(0)
	v_fma_f64 v[10:11], v[22:23], v[24:25], v[10:11]
	s_or_b64 exec, exec, s[14:15]
	v_cmp_gt_u32_e64 s[10:11], 8, v15
	s_and_saveexec_b64 s[14:15], s[10:11]
	s_cbranch_execz .LBB122_80
.LBB122_1173:
	ds_read_b64 v[21:22], v21 offset:32192
	ds_read_b64 v[23:24], v20 offset:31216
	s_waitcnt lgkmcnt(0)
	v_fma_f64 v[10:11], v[21:22], v[23:24], v[10:11]
	s_or_b64 exec, exec, s[14:15]
	v_cmp_gt_u32_e64 s[10:11], 4, v15
	s_and_saveexec_b64 s[14:15], s[10:11]
	s_cbranch_execnz .LBB122_81
	s_branch .LBB122_82
.LBB122_1174:
	ds_read_b64 v[25:26], v24 offset:29568
	ds_read_b64 v[27:28], v23 offset:29128
	s_waitcnt lgkmcnt(0)
	v_fma_f64 v[10:11], v[25:26], v[27:28], v[10:11]
	s_or_b64 exec, exec, s[16:17]
	v_cmp_gt_u32_e64 s[14:15], 48, v15
	s_and_saveexec_b64 s[16:17], s[14:15]
	s_cbranch_execz .LBB122_122
.LBB122_1175:
	ds_read_b64 v[25:26], v24 offset:30080
	ds_read_b64 v[27:28], v23 offset:29136
	s_waitcnt lgkmcnt(0)
	v_fma_f64 v[10:11], v[25:26], v[27:28], v[10:11]
	s_or_b64 exec, exec, s[16:17]
	v_cmp_gt_u32_e64 s[14:15], 40, v15
	s_and_saveexec_b64 s[16:17], s[14:15]
	s_cbranch_execz .LBB122_123
.LBB122_1176:
	ds_read_b64 v[25:26], v24 offset:30592
	ds_read_b64 v[27:28], v23 offset:29144
	s_waitcnt lgkmcnt(0)
	v_fma_f64 v[10:11], v[25:26], v[27:28], v[10:11]
	s_or_b64 exec, exec, s[16:17]
	v_cmp_gt_u32_e64 s[14:15], 32, v15
	s_and_saveexec_b64 s[16:17], s[14:15]
	s_cbranch_execz .LBB122_124
.LBB122_1177:
	ds_read_b64 v[25:26], v24 offset:31104
	ds_read_b64 v[27:28], v23 offset:29152
	s_waitcnt lgkmcnt(0)
	v_fma_f64 v[10:11], v[25:26], v[27:28], v[10:11]
	s_or_b64 exec, exec, s[16:17]
	v_cmp_gt_u32_e64 s[14:15], 24, v15
	s_and_saveexec_b64 s[16:17], s[14:15]
	s_cbranch_execz .LBB122_125
.LBB122_1178:
	ds_read_b64 v[25:26], v24 offset:31616
	ds_read_b64 v[27:28], v23 offset:29160
	s_waitcnt lgkmcnt(0)
	v_fma_f64 v[10:11], v[25:26], v[27:28], v[10:11]
	s_or_b64 exec, exec, s[16:17]
	s_and_saveexec_b64 s[14:15], s[18:19]
	s_cbranch_execz .LBB122_126
.LBB122_1179:
	ds_read_b64 v[24:25], v24 offset:32128
	ds_read_b64 v[26:27], v23 offset:29168
	s_waitcnt lgkmcnt(0)
	v_fma_f64 v[10:11], v[24:25], v[26:27], v[10:11]
	s_or_b64 exec, exec, s[14:15]
	v_cmp_gt_u32_e64 s[14:15], 8, v15
	s_and_saveexec_b64 s[16:17], s[14:15]
	s_cbranch_execnz .LBB122_127
	s_branch .LBB122_128
.LBB122_1180:
	ds_read_b64 v[25:26], v24 offset:27520
	ds_read_b64 v[27:28], v23 offset:27048
	s_waitcnt lgkmcnt(0)
	v_fma_f64 v[10:11], v[25:26], v[27:28], v[10:11]
	s_or_b64 exec, exec, s[14:15]
	v_cmp_gt_u32_e64 s[10:11], 8, v15
	s_and_saveexec_b64 s[14:15], s[10:11]
	s_cbranch_execz .LBB122_184
.LBB122_1181:
	ds_read_b64 v[24:25], v24 offset:28032
	ds_read_b64 v[26:27], v23 offset:27056
	s_waitcnt lgkmcnt(0)
	v_fma_f64 v[10:11], v[24:25], v[26:27], v[10:11]
	s_or_b64 exec, exec, s[14:15]
	v_cmp_gt_u32_e64 s[10:11], 4, v15
	s_and_saveexec_b64 s[14:15], s[10:11]
	s_cbranch_execnz .LBB122_185
	s_branch .LBB122_186
.LBB122_1182:
	ds_read_b64 v[28:29], v27 offset:30464
	ds_read_b64 v[30:31], v26 offset:25048
	s_waitcnt lgkmcnt(0)
	v_fma_f64 v[10:11], v[28:29], v[30:31], v[10:11]
	s_or_b64 exec, exec, s[20:21]
	s_and_saveexec_b64 s[16:17], s[8:9]
	s_cbranch_execz .LBB122_246
.LBB122_1183:
	ds_read_b64 v[28:29], v27 offset:30976
	ds_read_b64 v[30:31], v26 offset:25056
	s_waitcnt lgkmcnt(0)
	v_fma_f64 v[10:11], v[28:29], v[30:31], v[10:11]
	s_or_b64 exec, exec, s[16:17]
	v_cmp_gt_u32_e64 s[16:17], 48, v15
	s_and_saveexec_b64 s[20:21], s[16:17]
	s_cbranch_execz .LBB122_247
.LBB122_1184:
	ds_read_b64 v[28:29], v27 offset:31488
	ds_read_b64 v[30:31], v26 offset:25064
	s_waitcnt lgkmcnt(0)
	v_fma_f64 v[10:11], v[28:29], v[30:31], v[10:11]
	s_or_b64 exec, exec, s[20:21]
	v_cmp_gt_u32_e64 s[16:17], 32, v15
	s_and_saveexec_b64 s[20:21], s[16:17]
	s_cbranch_execz .LBB122_248
.LBB122_1185:
	ds_read_b64 v[27:28], v27 offset:32000
	ds_read_b64 v[29:30], v26 offset:25072
	s_waitcnt lgkmcnt(0)
	v_fma_f64 v[10:11], v[27:28], v[29:30], v[10:11]
	s_or_b64 exec, exec, s[20:21]
	v_cmp_gt_u32_e64 s[16:17], 16, v15
	s_and_saveexec_b64 s[20:21], s[16:17]
	s_cbranch_execnz .LBB122_249
	s_branch .LBB122_250
.LBB122_1186:
	ds_read_b64 v[28:29], v27 offset:23360
	ds_read_b64 v[30:31], v26 offset:22888
	s_waitcnt lgkmcnt(0)
	v_fma_f64 v[10:11], v[28:29], v[30:31], v[10:11]
	s_or_b64 exec, exec, s[20:21]
	v_cmp_gt_u32_e64 s[14:15], 8, v15
	s_and_saveexec_b64 s[20:21], s[14:15]
	s_cbranch_execz .LBB122_338
.LBB122_1187:
	ds_read_b64 v[27:28], v27 offset:23872
	ds_read_b64 v[29:30], v26 offset:22896
	s_waitcnt lgkmcnt(0)
	v_fma_f64 v[10:11], v[27:28], v[29:30], v[10:11]
	s_or_b64 exec, exec, s[20:21]
	v_cmp_gt_u32_e64 s[14:15], 4, v15
	s_and_saveexec_b64 s[20:21], s[14:15]
	s_cbranch_execnz .LBB122_339
	s_branch .LBB122_340
.LBB122_1188:
	ds_read_b64 v[28:29], v27 offset:21248
	ds_read_b64 v[30:31], v26 offset:20808
	s_waitcnt lgkmcnt(0)
	v_fma_f64 v[10:11], v[28:29], v[30:31], v[10:11]
	s_or_b64 exec, exec, s[20:21]
	v_cmp_gt_u32_e64 s[14:15], 48, v15
	s_and_saveexec_b64 s[20:21], s[14:15]
	s_cbranch_execz .LBB122_380
.LBB122_1189:
	ds_read_b64 v[28:29], v27 offset:21760
	ds_read_b64 v[30:31], v26 offset:20816
	s_waitcnt lgkmcnt(0)
	v_fma_f64 v[10:11], v[28:29], v[30:31], v[10:11]
	s_or_b64 exec, exec, s[20:21]
	v_cmp_gt_u32_e64 s[14:15], 40, v15
	s_and_saveexec_b64 s[20:21], s[14:15]
	s_cbranch_execz .LBB122_381
.LBB122_1190:
	ds_read_b64 v[28:29], v27 offset:22272
	ds_read_b64 v[30:31], v26 offset:20824
	s_waitcnt lgkmcnt(0)
	v_fma_f64 v[10:11], v[28:29], v[30:31], v[10:11]
	s_or_b64 exec, exec, s[20:21]
	v_cmp_gt_u32_e64 s[14:15], 32, v15
	s_and_saveexec_b64 s[20:21], s[14:15]
	s_cbranch_execz .LBB122_382
.LBB122_1191:
	ds_read_b64 v[28:29], v27 offset:22784
	ds_read_b64 v[30:31], v26 offset:20832
	s_waitcnt lgkmcnt(0)
	v_fma_f64 v[10:11], v[28:29], v[30:31], v[10:11]
	s_or_b64 exec, exec, s[20:21]
	v_cmp_gt_u32_e64 s[14:15], 24, v15
	s_and_saveexec_b64 s[20:21], s[14:15]
	s_cbranch_execz .LBB122_383
.LBB122_1192:
	ds_read_b64 v[28:29], v27 offset:23296
	ds_read_b64 v[30:31], v26 offset:20840
	s_waitcnt lgkmcnt(0)
	v_fma_f64 v[10:11], v[28:29], v[30:31], v[10:11]
	s_or_b64 exec, exec, s[20:21]
	s_and_saveexec_b64 s[14:15], s[18:19]
	s_cbranch_execz .LBB122_384
.LBB122_1193:
	ds_read_b64 v[27:28], v27 offset:23808
	ds_read_b64 v[29:30], v26 offset:20848
	s_waitcnt lgkmcnt(0)
	v_fma_f64 v[10:11], v[27:28], v[29:30], v[10:11]
	s_or_b64 exec, exec, s[14:15]
	v_cmp_gt_u32_e64 s[14:15], 8, v15
	s_and_saveexec_b64 s[20:21], s[14:15]
	s_cbranch_execnz .LBB122_385
	s_branch .LBB122_386
.LBB122_1194:
	ds_read_b64 v[28:29], v27 offset:19200
	ds_read_b64 v[30:31], v26 offset:18728
	s_waitcnt lgkmcnt(0)
	v_fma_f64 v[10:11], v[28:29], v[30:31], v[10:11]
	s_or_b64 exec, exec, s[20:21]
	v_cmp_gt_u32_e64 s[14:15], 8, v15
	s_and_saveexec_b64 s[20:21], s[14:15]
	s_cbranch_execz .LBB122_442
.LBB122_1195:
	ds_read_b64 v[27:28], v27 offset:19712
	ds_read_b64 v[29:30], v26 offset:18736
	s_waitcnt lgkmcnt(0)
	v_fma_f64 v[10:11], v[27:28], v[29:30], v[10:11]
	s_or_b64 exec, exec, s[20:21]
	v_cmp_gt_u32_e64 s[14:15], 4, v15
	s_and_saveexec_b64 s[20:21], s[14:15]
	s_cbranch_execnz .LBB122_443
	s_branch .LBB122_444
.LBB122_1196:
	ds_read_b64 v[31:32], v27 offset:31232
	ds_read_b64 v[33:34], v30 offset:16872
	s_waitcnt lgkmcnt(0)
	v_fma_f64 v[10:11], v[31:32], v[33:34], v[10:11]
	s_or_b64 exec, exec, s[34:35]
	s_and_saveexec_b64 s[20:21], s[8:9]
	s_cbranch_execz .LBB122_540
.LBB122_1197:
	ds_read_b64 v[31:32], v27 offset:31744
	ds_read_b64 v[33:34], v30 offset:16880
	s_waitcnt lgkmcnt(0)
	v_fma_f64 v[10:11], v[31:32], v[33:34], v[10:11]
	s_or_b64 exec, exec, s[20:21]
	v_cmp_gt_u32_e64 s[20:21], 32, v15
	s_and_saveexec_b64 s[34:35], s[20:21]
	s_cbranch_execnz .LBB122_541
	s_branch .LBB122_542
.LBB122_1198:
	ds_read_b64 v[28:29], v27 offset:15040
	ds_read_b64 v[30:31], v26 offset:14568
	s_waitcnt lgkmcnt(0)
	v_fma_f64 v[10:11], v[28:29], v[30:31], v[10:11]
	s_or_b64 exec, exec, s[16:17]
	v_cmp_gt_u32_e64 s[12:13], 8, v15
	s_and_saveexec_b64 s[16:17], s[12:13]
	s_cbranch_execz .LBB122_694
.LBB122_1199:
	ds_read_b64 v[27:28], v27 offset:15552
	ds_read_b64 v[29:30], v26 offset:14576
	s_waitcnt lgkmcnt(0)
	v_fma_f64 v[10:11], v[27:28], v[29:30], v[10:11]
	s_or_b64 exec, exec, s[16:17]
	v_cmp_gt_u32_e64 s[12:13], 4, v15
	s_and_saveexec_b64 s[16:17], s[12:13]
	s_cbranch_execnz .LBB122_695
	s_branch .LBB122_696
.LBB122_1200:
	ds_read_b64 v[28:29], v27 offset:12928
	ds_read_b64 v[30:31], v26 offset:12488
	s_waitcnt lgkmcnt(0)
	v_fma_f64 v[10:11], v[28:29], v[30:31], v[10:11]
	s_or_b64 exec, exec, s[16:17]
	v_cmp_gt_u32_e64 s[12:13], 48, v15
	s_and_saveexec_b64 s[16:17], s[12:13]
	s_cbranch_execz .LBB122_736
.LBB122_1201:
	ds_read_b64 v[28:29], v27 offset:13440
	ds_read_b64 v[30:31], v26 offset:12496
	s_waitcnt lgkmcnt(0)
	v_fma_f64 v[10:11], v[28:29], v[30:31], v[10:11]
	s_or_b64 exec, exec, s[16:17]
	v_cmp_gt_u32_e64 s[12:13], 40, v15
	s_and_saveexec_b64 s[16:17], s[12:13]
	s_cbranch_execz .LBB122_737
.LBB122_1202:
	ds_read_b64 v[28:29], v27 offset:13952
	ds_read_b64 v[30:31], v26 offset:12504
	s_waitcnt lgkmcnt(0)
	v_fma_f64 v[10:11], v[28:29], v[30:31], v[10:11]
	s_or_b64 exec, exec, s[16:17]
	v_cmp_gt_u32_e64 s[12:13], 32, v15
	s_and_saveexec_b64 s[16:17], s[12:13]
	s_cbranch_execz .LBB122_738
.LBB122_1203:
	ds_read_b64 v[28:29], v27 offset:14464
	ds_read_b64 v[30:31], v26 offset:12512
	s_waitcnt lgkmcnt(0)
	v_fma_f64 v[10:11], v[28:29], v[30:31], v[10:11]
	s_or_b64 exec, exec, s[16:17]
	v_cmp_gt_u32_e64 s[12:13], 24, v15
	s_and_saveexec_b64 s[16:17], s[12:13]
	s_cbranch_execz .LBB122_739
.LBB122_1204:
	ds_read_b64 v[28:29], v27 offset:14976
	ds_read_b64 v[30:31], v26 offset:12520
	s_waitcnt lgkmcnt(0)
	v_fma_f64 v[10:11], v[28:29], v[30:31], v[10:11]
	s_or_b64 exec, exec, s[16:17]
	s_and_saveexec_b64 s[12:13], s[18:19]
	s_cbranch_execz .LBB122_740
.LBB122_1205:
	ds_read_b64 v[27:28], v27 offset:15488
	ds_read_b64 v[29:30], v26 offset:12528
	s_waitcnt lgkmcnt(0)
	v_fma_f64 v[10:11], v[27:28], v[29:30], v[10:11]
	s_or_b64 exec, exec, s[12:13]
	v_cmp_gt_u32_e64 s[12:13], 8, v15
	s_and_saveexec_b64 s[16:17], s[12:13]
	s_cbranch_execnz .LBB122_741
	s_branch .LBB122_742
.LBB122_1206:
	ds_read_b64 v[28:29], v27 offset:10880
	ds_read_b64 v[30:31], v26 offset:10408
	s_waitcnt lgkmcnt(0)
	v_fma_f64 v[10:11], v[28:29], v[30:31], v[10:11]
	s_or_b64 exec, exec, s[16:17]
	v_cmp_gt_u32_e64 s[12:13], 8, v15
	s_and_saveexec_b64 s[16:17], s[12:13]
	s_cbranch_execz .LBB122_798
.LBB122_1207:
	ds_read_b64 v[27:28], v27 offset:11392
	ds_read_b64 v[29:30], v26 offset:10416
	s_waitcnt lgkmcnt(0)
	v_fma_f64 v[10:11], v[27:28], v[29:30], v[10:11]
	s_or_b64 exec, exec, s[16:17]
	v_cmp_gt_u32_e64 s[12:13], 4, v15
	s_and_saveexec_b64 s[16:17], s[12:13]
	s_cbranch_execnz .LBB122_799
	s_branch .LBB122_800
.LBB122_1208:
	ds_read_b64 v[28:29], v27 offset:13824
	ds_read_b64 v[30:31], v26 offset:8408
	s_waitcnt lgkmcnt(0)
	v_fma_f64 v[10:11], v[28:29], v[30:31], v[10:11]
	s_or_b64 exec, exec, s[16:17]
	s_and_saveexec_b64 s[12:13], s[8:9]
	s_cbranch_execz .LBB122_860
.LBB122_1209:
	ds_read_b64 v[28:29], v27 offset:14336
	ds_read_b64 v[30:31], v26 offset:8416
	s_waitcnt lgkmcnt(0)
	v_fma_f64 v[10:11], v[28:29], v[30:31], v[10:11]
	s_or_b64 exec, exec, s[12:13]
	v_cmp_gt_u32_e64 s[12:13], 48, v15
	s_and_saveexec_b64 s[16:17], s[12:13]
	s_cbranch_execz .LBB122_861
.LBB122_1210:
	ds_read_b64 v[28:29], v27 offset:14848
	ds_read_b64 v[30:31], v26 offset:8424
	s_waitcnt lgkmcnt(0)
	v_fma_f64 v[10:11], v[28:29], v[30:31], v[10:11]
	s_or_b64 exec, exec, s[16:17]
	v_cmp_gt_u32_e64 s[12:13], 32, v15
	s_and_saveexec_b64 s[16:17], s[12:13]
	s_cbranch_execz .LBB122_862
.LBB122_1211:
	ds_read_b64 v[27:28], v27 offset:15360
	ds_read_b64 v[29:30], v26 offset:8432
	s_waitcnt lgkmcnt(0)
	v_fma_f64 v[10:11], v[27:28], v[29:30], v[10:11]
	s_or_b64 exec, exec, s[16:17]
	v_cmp_gt_u32_e64 s[12:13], 16, v15
	s_and_saveexec_b64 s[16:17], s[12:13]
	s_cbranch_execnz .LBB122_863
	s_branch .LBB122_864
.LBB122_1212:
	ds_read_b64 v[25:26], v24 offset:6720
	ds_read_b64 v[27:28], v23 offset:6248
	s_waitcnt lgkmcnt(0)
	v_fma_f64 v[10:11], v[25:26], v[27:28], v[10:11]
	s_or_b64 exec, exec, s[12:13]
	v_cmp_gt_u32_e64 s[10:11], 8, v15
	s_and_saveexec_b64 s[12:13], s[10:11]
	s_cbranch_execz .LBB122_952
.LBB122_1213:
	ds_read_b64 v[24:25], v24 offset:7232
	ds_read_b64 v[26:27], v23 offset:6256
	s_waitcnt lgkmcnt(0)
	v_fma_f64 v[10:11], v[24:25], v[26:27], v[10:11]
	s_or_b64 exec, exec, s[12:13]
	v_cmp_gt_u32_e64 s[10:11], 4, v15
	s_and_saveexec_b64 s[12:13], s[10:11]
	s_cbranch_execnz .LBB122_953
	s_branch .LBB122_954
.LBB122_1214:
	ds_read_b64 v[25:26], v24 offset:4608
	ds_read_b64 v[27:28], v23 offset:4168
	s_waitcnt lgkmcnt(0)
	v_fma_f64 v[10:11], v[25:26], v[27:28], v[10:11]
	s_or_b64 exec, exec, s[12:13]
	v_cmp_gt_u32_e64 s[10:11], 48, v15
	s_and_saveexec_b64 s[12:13], s[10:11]
	s_cbranch_execz .LBB122_994
.LBB122_1215:
	ds_read_b64 v[25:26], v24 offset:5120
	ds_read_b64 v[27:28], v23 offset:4176
	s_waitcnt lgkmcnt(0)
	v_fma_f64 v[10:11], v[25:26], v[27:28], v[10:11]
	s_or_b64 exec, exec, s[12:13]
	v_cmp_gt_u32_e64 s[10:11], 40, v15
	s_and_saveexec_b64 s[12:13], s[10:11]
	s_cbranch_execz .LBB122_995
.LBB122_1216:
	ds_read_b64 v[25:26], v24 offset:5632
	ds_read_b64 v[27:28], v23 offset:4184
	s_waitcnt lgkmcnt(0)
	v_fma_f64 v[10:11], v[25:26], v[27:28], v[10:11]
	s_or_b64 exec, exec, s[12:13]
	v_cmp_gt_u32_e64 s[10:11], 32, v15
	s_and_saveexec_b64 s[12:13], s[10:11]
	s_cbranch_execz .LBB122_996
.LBB122_1217:
	ds_read_b64 v[25:26], v24 offset:6144
	ds_read_b64 v[27:28], v23 offset:4192
	s_waitcnt lgkmcnt(0)
	v_fma_f64 v[10:11], v[25:26], v[27:28], v[10:11]
	s_or_b64 exec, exec, s[12:13]
	v_cmp_gt_u32_e64 s[10:11], 24, v15
	s_and_saveexec_b64 s[12:13], s[10:11]
	s_cbranch_execz .LBB122_997
.LBB122_1218:
	ds_read_b64 v[25:26], v24 offset:6656
	ds_read_b64 v[27:28], v23 offset:4200
	s_waitcnt lgkmcnt(0)
	v_fma_f64 v[10:11], v[25:26], v[27:28], v[10:11]
	s_or_b64 exec, exec, s[12:13]
	s_and_saveexec_b64 s[10:11], s[18:19]
	s_cbranch_execz .LBB122_998
.LBB122_1219:
	ds_read_b64 v[24:25], v24 offset:7168
	ds_read_b64 v[26:27], v23 offset:4208
	s_waitcnt lgkmcnt(0)
	v_fma_f64 v[10:11], v[24:25], v[26:27], v[10:11]
	s_or_b64 exec, exec, s[10:11]
	v_cmp_gt_u32_e64 s[10:11], 8, v15
	s_and_saveexec_b64 s[12:13], s[10:11]
	s_cbranch_execnz .LBB122_999
	s_branch .LBB122_1000
.LBB122_1220:
	ds_read_b64 v[22:23], v21 offset:2560
	ds_read_b64 v[24:25], v20 offset:2088
	s_waitcnt lgkmcnt(0)
	v_fma_f64 v[10:11], v[22:23], v[24:25], v[10:11]
	s_or_b64 exec, exec, s[10:11]
	v_cmp_gt_u32_e64 s[8:9], 8, v15
	s_and_saveexec_b64 s[10:11], s[8:9]
	s_cbranch_execz .LBB122_1056
.LBB122_1221:
	ds_read_b64 v[21:22], v21 offset:3072
	ds_read_b64 v[23:24], v20 offset:2096
	s_waitcnt lgkmcnt(0)
	v_fma_f64 v[10:11], v[21:22], v[23:24], v[10:11]
	s_or_b64 exec, exec, s[10:11]
	v_cmp_gt_u32_e64 s[8:9], 4, v15
	s_and_saveexec_b64 s[10:11], s[8:9]
	s_cbranch_execnz .LBB122_1057
	s_branch .LBB122_1058
	.section	.rodata,"a",@progbits
	.p2align	6, 0x0
	.amdhsa_kernel _ZL19rocblas_trsv_deviceILi64ELi16ELb0ELb1ELb0ELb1EdPKdPKS1_PKPdEviT7_lllT6_T8_lllPii
		.amdhsa_group_segment_fixed_size 41480
		.amdhsa_private_segment_fixed_size 0
		.amdhsa_kernarg_size 352
		.amdhsa_user_sgpr_count 6
		.amdhsa_user_sgpr_private_segment_buffer 1
		.amdhsa_user_sgpr_dispatch_ptr 0
		.amdhsa_user_sgpr_queue_ptr 0
		.amdhsa_user_sgpr_kernarg_segment_ptr 1
		.amdhsa_user_sgpr_dispatch_id 0
		.amdhsa_user_sgpr_flat_scratch_init 0
		.amdhsa_user_sgpr_private_segment_size 0
		.amdhsa_uses_dynamic_stack 0
		.amdhsa_system_sgpr_private_segment_wavefront_offset 0
		.amdhsa_system_sgpr_workgroup_id_x 1
		.amdhsa_system_sgpr_workgroup_id_y 0
		.amdhsa_system_sgpr_workgroup_id_z 1
		.amdhsa_system_sgpr_workgroup_info 0
		.amdhsa_system_vgpr_workitem_id 1
		.amdhsa_next_free_vgpr 49
		.amdhsa_next_free_sgpr 98
		.amdhsa_reserve_vcc 1
		.amdhsa_reserve_flat_scratch 0
		.amdhsa_float_round_mode_32 0
		.amdhsa_float_round_mode_16_64 0
		.amdhsa_float_denorm_mode_32 3
		.amdhsa_float_denorm_mode_16_64 3
		.amdhsa_dx10_clamp 1
		.amdhsa_ieee_mode 1
		.amdhsa_fp16_overflow 0
		.amdhsa_exception_fp_ieee_invalid_op 0
		.amdhsa_exception_fp_denorm_src 0
		.amdhsa_exception_fp_ieee_div_zero 0
		.amdhsa_exception_fp_ieee_overflow 0
		.amdhsa_exception_fp_ieee_underflow 0
		.amdhsa_exception_fp_ieee_inexact 0
		.amdhsa_exception_int_div_zero 0
	.end_amdhsa_kernel
	.section	.text._ZL19rocblas_trsv_deviceILi64ELi16ELb0ELb1ELb0ELb1EdPKdPKS1_PKPdEviT7_lllT6_T8_lllPii,"axG",@progbits,_ZL19rocblas_trsv_deviceILi64ELi16ELb0ELb1ELb0ELb1EdPKdPKS1_PKPdEviT7_lllT6_T8_lllPii,comdat
.Lfunc_end122:
	.size	_ZL19rocblas_trsv_deviceILi64ELi16ELb0ELb1ELb0ELb1EdPKdPKS1_PKPdEviT7_lllT6_T8_lllPii, .Lfunc_end122-_ZL19rocblas_trsv_deviceILi64ELi16ELb0ELb1ELb0ELb1EdPKdPKS1_PKPdEviT7_lllT6_T8_lllPii
                                        ; -- End function
	.set _ZL19rocblas_trsv_deviceILi64ELi16ELb0ELb1ELb0ELb1EdPKdPKS1_PKPdEviT7_lllT6_T8_lllPii.num_vgpr, 36
	.set _ZL19rocblas_trsv_deviceILi64ELi16ELb0ELb1ELb0ELb1EdPKdPKS1_PKPdEviT7_lllT6_T8_lllPii.num_agpr, 0
	.set _ZL19rocblas_trsv_deviceILi64ELi16ELb0ELb1ELb0ELb1EdPKdPKS1_PKPdEviT7_lllT6_T8_lllPii.numbered_sgpr, 96
	.set _ZL19rocblas_trsv_deviceILi64ELi16ELb0ELb1ELb0ELb1EdPKdPKS1_PKPdEviT7_lllT6_T8_lllPii.num_named_barrier, 0
	.set _ZL19rocblas_trsv_deviceILi64ELi16ELb0ELb1ELb0ELb1EdPKdPKS1_PKPdEviT7_lllT6_T8_lllPii.private_seg_size, 0
	.set _ZL19rocblas_trsv_deviceILi64ELi16ELb0ELb1ELb0ELb1EdPKdPKS1_PKPdEviT7_lllT6_T8_lllPii.uses_vcc, 1
	.set _ZL19rocblas_trsv_deviceILi64ELi16ELb0ELb1ELb0ELb1EdPKdPKS1_PKPdEviT7_lllT6_T8_lllPii.uses_flat_scratch, 0
	.set _ZL19rocblas_trsv_deviceILi64ELi16ELb0ELb1ELb0ELb1EdPKdPKS1_PKPdEviT7_lllT6_T8_lllPii.has_dyn_sized_stack, 0
	.set _ZL19rocblas_trsv_deviceILi64ELi16ELb0ELb1ELb0ELb1EdPKdPKS1_PKPdEviT7_lllT6_T8_lllPii.has_recursion, 0
	.set _ZL19rocblas_trsv_deviceILi64ELi16ELb0ELb1ELb0ELb1EdPKdPKS1_PKPdEviT7_lllT6_T8_lllPii.has_indirect_call, 0
	.section	.AMDGPU.csdata,"",@progbits
; Kernel info:
; codeLenInByte = 36492
; TotalNumSgprs: 100
; NumVgprs: 36
; ScratchSize: 0
; MemoryBound: 0
; FloatMode: 240
; IeeeMode: 1
; LDSByteSize: 41480 bytes/workgroup (compile time only)
; SGPRBlocks: 12
; VGPRBlocks: 12
; NumSGPRsForWavesPerEU: 102
; NumVGPRsForWavesPerEU: 49
; Occupancy: 4
; WaveLimiterHint : 1
; COMPUTE_PGM_RSRC2:SCRATCH_EN: 0
; COMPUTE_PGM_RSRC2:USER_SGPR: 6
; COMPUTE_PGM_RSRC2:TRAP_HANDLER: 0
; COMPUTE_PGM_RSRC2:TGID_X_EN: 1
; COMPUTE_PGM_RSRC2:TGID_Y_EN: 0
; COMPUTE_PGM_RSRC2:TGID_Z_EN: 1
; COMPUTE_PGM_RSRC2:TIDIG_COMP_CNT: 1
	.section	.text._ZL19rocblas_trsv_deviceILi64ELi16ELb0ELb1ELb1ELb1EdPKdPKS1_PKPdEviT7_lllT6_T8_lllPii,"axG",@progbits,_ZL19rocblas_trsv_deviceILi64ELi16ELb0ELb1ELb1ELb1EdPKdPKS1_PKPdEviT7_lllT6_T8_lllPii,comdat
	.globl	_ZL19rocblas_trsv_deviceILi64ELi16ELb0ELb1ELb1ELb1EdPKdPKS1_PKPdEviT7_lllT6_T8_lllPii ; -- Begin function _ZL19rocblas_trsv_deviceILi64ELi16ELb0ELb1ELb1ELb1EdPKdPKS1_PKPdEviT7_lllT6_T8_lllPii
	.p2align	8
	.type	_ZL19rocblas_trsv_deviceILi64ELi16ELb0ELb1ELb1ELb1EdPKdPKS1_PKPdEviT7_lllT6_T8_lllPii,@function
_ZL19rocblas_trsv_deviceILi64ELi16ELb0ELb1ELb1ELb1EdPKdPKS1_PKPdEviT7_lllT6_T8_lllPii: ; @_ZL19rocblas_trsv_deviceILi64ELi16ELb0ELb1ELb1ELb1EdPKdPKS1_PKPdEviT7_lllT6_T8_lllPii
; %bb.0:
	s_load_dwordx4 s[0:3], s[4:5], 0x8
	s_mov_b32 s28, s7
	s_mov_b32 s29, 0
	s_lshl_b64 s[8:9], s[28:29], 3
	s_waitcnt lgkmcnt(0)
	s_add_u32 s0, s0, s8
	s_addc_u32 s1, s1, s9
	s_load_dwordx2 s[10:11], s[0:1], 0x0
	s_load_dword s33, s[4:5], 0x0
	s_load_dwordx8 s[20:27], s[4:5], 0x28
	s_load_dwordx2 s[30:31], s[4:5], 0x18
	s_lshl_b64 s[0:1], s[2:3], 3
	s_waitcnt lgkmcnt(0)
	s_add_u32 s88, s10, s0
	s_addc_u32 s89, s11, s1
	s_add_u32 s0, s22, s8
	s_addc_u32 s1, s23, s9
	s_load_dwordx2 s[36:37], s[0:1], 0x0
	s_load_dwordx2 s[34:35], s[20:21], 0x0
	s_load_dword s16, s[4:5], 0x6c
	s_cmp_eq_u32 s6, 0
	s_cbranch_scc1 .LBB123_10
; %bb.1:
	s_lshl_b32 s2, s6, 6
	v_add_u32_e32 v4, s2, v0
	v_ashrrev_i32_e32 v2, 31, v4
	v_mul_lo_u32 v5, s30, v2
	v_mul_lo_u32 v6, s31, v4
	v_mad_u64_u32 v[2:3], s[0:1], s30, v4, 0
	v_add_u32_e32 v7, s2, v1
	v_subrev_u32_e32 v10, 64, v7
	v_add3_u32 v3, v3, v5, v6
	v_lshlrev_b64 v[2:3], 3, v[2:3]
	v_ashrrev_i32_e32 v11, 31, v10
	v_cmp_gt_i32_e32 vcc, s33, v4
	v_mov_b32_e32 v4, s89
	v_add_co_u32_e64 v5, s[0:1], s88, v2
	v_addc_co_u32_e64 v4, s[0:1], v4, v3, s[0:1]
	v_lshlrev_b64 v[2:3], 3, v[10:11]
	s_waitcnt lgkmcnt(0)
	v_add_co_u32_e64 v11, s[0:1], v5, v2
	v_addc_co_u32_e64 v12, s[0:1], v4, v3, s[0:1]
	v_cmp_gt_i32_e64 s[0:1], s33, v10
	v_mov_b32_e32 v2, 0
	v_mov_b32_e32 v4, 0
	;; [unrolled: 1-line block ×4, first 2 shown]
	s_and_b64 s[2:3], s[0:1], vcc
	s_barrier
	s_and_saveexec_b64 s[0:1], s[2:3]
	s_cbranch_execz .LBB123_3
; %bb.2:
	flat_load_dwordx2 v[4:5], v[11:12]
.LBB123_3:
	s_or_b64 exec, exec, s[0:1]
	v_add_u32_e32 v6, 16, v10
	v_cmp_gt_i32_e64 s[0:1], s33, v6
	s_and_b64 s[2:3], s[0:1], vcc
	s_waitcnt vmcnt(0) lgkmcnt(0)
	s_barrier
	s_and_saveexec_b64 s[0:1], s[2:3]
	s_cbranch_execz .LBB123_5
; %bb.4:
	flat_load_dwordx2 v[2:3], v[11:12] offset:128
.LBB123_5:
	s_or_b64 exec, exec, s[0:1]
	v_add_u32_e32 v6, 32, v10
	v_cmp_gt_i32_e64 s[0:1], s33, v6
	v_mov_b32_e32 v6, 0
	v_mov_b32_e32 v8, 0
	;; [unrolled: 1-line block ×4, first 2 shown]
	s_and_b64 s[2:3], s[0:1], vcc
	s_waitcnt vmcnt(0) lgkmcnt(0)
	s_barrier
	s_and_saveexec_b64 s[0:1], s[2:3]
	s_cbranch_execz .LBB123_7
; %bb.6:
	flat_load_dwordx2 v[8:9], v[11:12] offset:256
.LBB123_7:
	s_or_b64 exec, exec, s[0:1]
	v_add_u32_e32 v10, 48, v10
	v_cmp_gt_i32_e64 s[0:1], s33, v10
	s_and_b64 s[2:3], s[0:1], vcc
	s_waitcnt vmcnt(0) lgkmcnt(0)
	s_barrier
	s_and_saveexec_b64 s[0:1], s[2:3]
	s_cbranch_execz .LBB123_9
; %bb.8:
	flat_load_dwordx2 v[6:7], v[11:12] offset:384
.LBB123_9:
	s_or_b64 exec, exec, s[0:1]
	s_branch .LBB123_11
.LBB123_10:
                                        ; implicit-def: $vgpr6_vgpr7
                                        ; implicit-def: $vgpr8_vgpr9
                                        ; implicit-def: $vgpr2_vgpr3
                                        ; implicit-def: $vgpr4_vgpr5
.LBB123_11:
	s_ashr_i32 s0, s33, 31
	s_lshr_b32 s0, s0, 26
	s_add_i32 s0, s33, s0
	s_andn2_b32 s0, s0, 63
	s_sub_i32 s7, s33, s0
	s_add_i32 s0, s33, -1
	s_ashr_i32 s1, s0, 31
	s_lshr_b32 s1, s1, 26
	s_add_i32 s0, s0, s1
	s_ashr_i32 s0, s0, 6
	s_cmp_eq_u32 s0, s6
	s_cselect_b64 s[0:1], -1, 0
	s_cmp_lg_u32 s7, 0
	s_cselect_b64 s[2:3], -1, 0
	s_and_b64 s[22:23], s[2:3], s[0:1]
	s_cmp_lt_i32 s6, 5
	s_cselect_b64 s[2:3], -1, 0
	s_mov_b64 s[12:13], -1
	s_or_b64 s[0:1], s[2:3], s[22:23]
	v_lshlrev_b32_e32 v14, 6, v0
	s_and_b64 vcc, exec, s[22:23]
	v_cmp_le_u32_e64 s[8:9], v1, v0
	v_lshlrev_b32_e32 v18, 3, v0
	s_cbranch_vccnz .LBB123_33
; %bb.12:
	s_add_u32 s10, s30, 1
	s_addc_u32 s11, s31, 0
	s_lshl_b32 s12, s6, 6
	s_ashr_i32 s13, s12, 31
	s_mul_hi_u32 s14, s10, s12
	s_mul_i32 s13, s10, s13
	s_add_i32 s13, s14, s13
	s_mul_i32 s11, s11, s12
	s_add_i32 s11, s13, s11
	s_mul_i32 s10, s10, s12
	s_lshl_b64 s[10:11], s[10:11], 3
	s_add_u32 s10, s88, s10
	s_addc_u32 s11, s89, s11
	v_lshlrev_b32_e32 v10, 3, v0
	v_mov_b32_e32 v11, s11
	v_add_co_u32_e32 v10, vcc, s10, v10
	v_addc_co_u32_e32 v11, vcc, 0, v11, vcc
	s_mov_b64 s[10:11], 0
	s_and_saveexec_b64 s[12:13], s[8:9]
	s_xor_b64 s[8:9], exec, s[12:13]
; %bb.13:
	v_or_b32_e32 v12, v1, v0
	v_cmp_gt_u32_e32 vcc, 64, v12
	s_and_b64 s[10:11], vcc, exec
; %bb.14:
	s_or_saveexec_b64 s[8:9], s[8:9]
	v_mov_b32_e32 v12, 0
	v_mov_b32_e32 v13, 0
	s_xor_b64 exec, exec, s[8:9]
	s_cbranch_execz .LBB123_16
; %bb.15:
	v_mad_u64_u32 v[12:13], s[12:13], s30, v1, 0
	s_or_b64 s[10:11], s[10:11], exec
	v_mad_u64_u32 v[15:16], s[12:13], s31, v1, v[13:14]
	v_mov_b32_e32 v13, v15
	v_lshlrev_b64 v[12:13], 3, v[12:13]
	v_add_co_u32_e32 v12, vcc, v10, v12
	v_addc_co_u32_e32 v13, vcc, v11, v13, vcc
	flat_load_dwordx2 v[12:13], v[12:13]
	s_waitcnt vmcnt(0) lgkmcnt(0)
	v_xor_b32_e32 v13, 0x80000000, v13
.LBB123_16:
	s_or_b64 exec, exec, s[8:9]
	s_and_saveexec_b64 s[8:9], s[10:11]
; %bb.17:
	v_add_u32_e32 v15, v1, v14
	v_lshl_add_u32 v16, v1, 6, v0
	v_cndmask_b32_e64 v15, v16, v15, s[2:3]
	v_lshlrev_b32_e32 v15, 3, v15
	ds_write_b64 v15, v[12:13]
; %bb.18:
	s_or_b64 exec, exec, s[8:9]
	v_add_u32_e32 v15, 16, v1
	v_cmp_le_u32_e32 vcc, v15, v0
	s_mov_b64 s[2:3], 0
	s_and_saveexec_b64 s[8:9], vcc
	s_xor_b64 s[8:9], exec, s[8:9]
; %bb.19:
	v_or_b32_e32 v12, v15, v0
	v_cmp_gt_u32_e32 vcc, 64, v12
	s_and_b64 s[2:3], vcc, exec
; %bb.20:
	s_or_saveexec_b64 s[8:9], s[8:9]
	v_mov_b32_e32 v12, 0
	v_mov_b32_e32 v13, 0
	s_xor_b64 exec, exec, s[8:9]
	s_cbranch_execz .LBB123_22
; %bb.21:
	v_mad_u64_u32 v[12:13], s[10:11], s30, v15, 0
	s_or_b64 s[2:3], s[2:3], exec
	v_mad_u64_u32 v[16:17], s[10:11], s31, v15, v[13:14]
	v_mov_b32_e32 v13, v16
	v_lshlrev_b64 v[12:13], 3, v[12:13]
	v_add_co_u32_e32 v12, vcc, v10, v12
	v_addc_co_u32_e32 v13, vcc, v11, v13, vcc
	flat_load_dwordx2 v[12:13], v[12:13]
	s_waitcnt vmcnt(0) lgkmcnt(0)
	v_xor_b32_e32 v13, 0x80000000, v13
.LBB123_22:
	s_or_b64 exec, exec, s[8:9]
	s_and_saveexec_b64 s[8:9], s[2:3]
; %bb.23:
	v_add_u32_e32 v16, v15, v14
	v_lshl_add_u32 v15, v15, 6, v0
	v_cndmask_b32_e64 v15, v15, v16, s[0:1]
	v_lshlrev_b32_e32 v15, 3, v15
	ds_write_b64 v15, v[12:13]
; %bb.24:
	s_or_b64 exec, exec, s[8:9]
	v_add_u32_e32 v15, 32, v1
	v_cmp_le_u32_e32 vcc, v15, v0
	s_mov_b64 s[2:3], 0
	s_and_saveexec_b64 s[8:9], vcc
	s_xor_b64 s[8:9], exec, s[8:9]
; %bb.25:
	v_or_b32_e32 v12, v15, v0
	v_cmp_gt_u32_e32 vcc, 64, v12
	s_and_b64 s[2:3], vcc, exec
; %bb.26:
	s_or_saveexec_b64 s[8:9], s[8:9]
	v_mov_b32_e32 v12, 0
	v_mov_b32_e32 v13, 0
	s_xor_b64 exec, exec, s[8:9]
	s_cbranch_execz .LBB123_28
; %bb.27:
	v_mad_u64_u32 v[12:13], s[10:11], s30, v15, 0
	s_or_b64 s[2:3], s[2:3], exec
	v_mad_u64_u32 v[16:17], s[10:11], s31, v15, v[13:14]
	v_mov_b32_e32 v13, v16
	v_lshlrev_b64 v[12:13], 3, v[12:13]
	v_add_co_u32_e32 v12, vcc, v10, v12
	v_addc_co_u32_e32 v13, vcc, v11, v13, vcc
	flat_load_dwordx2 v[12:13], v[12:13]
	s_waitcnt vmcnt(0) lgkmcnt(0)
	v_xor_b32_e32 v13, 0x80000000, v13
.LBB123_28:
	s_or_b64 exec, exec, s[8:9]
	s_and_saveexec_b64 s[8:9], s[2:3]
; %bb.29:
	v_add_u32_e32 v16, v15, v14
	v_lshl_add_u32 v15, v15, 6, v0
	v_cndmask_b32_e64 v15, v15, v16, s[0:1]
	v_lshlrev_b32_e32 v15, 3, v15
	ds_write_b64 v15, v[12:13]
; %bb.30:
	s_or_b64 exec, exec, s[8:9]
	v_add_u32_e32 v15, 48, v1
	v_add_u32_e32 v12, v15, v14
	v_lshl_add_u32 v13, v15, 6, v0
	v_cmp_le_u32_e32 vcc, v15, v0
	s_mov_b64 s[2:3], -1
	s_mov_b64 s[12:13], 0
	s_mov_b64 s[10:11], 0
	s_and_saveexec_b64 s[8:9], vcc
	s_xor_b64 s[8:9], exec, s[8:9]
; %bb.31:
	v_or_b32_e32 v16, v15, v0
	v_cmp_gt_u32_e32 vcc, 64, v16
	s_and_b64 s[10:11], vcc, exec
	s_xor_b64 s[2:3], exec, -1
; %bb.32:
	s_or_b64 exec, exec, s[8:9]
	v_cndmask_b32_e64 v16, v13, v12, s[0:1]
	s_and_b64 vcc, exec, s[12:13]
	s_cbranch_vccnz .LBB123_34
	s_branch .LBB123_55
.LBB123_33:
	s_mov_b64 s[2:3], 0
	s_mov_b64 s[10:11], 0
                                        ; implicit-def: $vgpr16
                                        ; implicit-def: $vgpr10_vgpr11
                                        ; implicit-def: $vgpr15
	s_and_b64 vcc, exec, s[12:13]
	s_cbranch_vccz .LBB123_55
.LBB123_34:
	s_add_u32 s2, s30, 1
	s_addc_u32 s3, s31, 0
	s_lshl_b32 s8, s6, 6
	s_ashr_i32 s9, s8, 31
	s_mul_hi_u32 s12, s2, s8
	s_mul_i32 s9, s2, s9
	s_add_i32 s9, s12, s9
	s_mul_i32 s3, s3, s8
	s_add_i32 s3, s9, s3
	s_mul_i32 s2, s2, s8
	s_lshl_b64 s[2:3], s[2:3], 3
	s_add_u32 s2, s88, s2
	s_addc_u32 s3, s89, s3
	v_lshlrev_b32_e32 v10, 3, v0
	v_mov_b32_e32 v11, s3
	v_add_co_u32_e64 v10, s[2:3], s2, v10
	v_addc_co_u32_e64 v11, s[2:3], 0, v11, s[2:3]
	v_max_i32_e32 v12, v1, v0
	v_cmp_le_u32_e64 s[2:3], v1, v0
	v_cmp_le_i32_e64 s[8:9], s7, v12
	v_cmp_gt_i32_e32 vcc, s7, v0
	s_or_b64 s[2:3], s[8:9], s[2:3]
	s_mov_b64 s[8:9], 0
	s_and_saveexec_b64 s[12:13], s[2:3]
	s_xor_b64 s[12:13], exec, s[12:13]
; %bb.35:
	v_or_b32_e32 v12, v1, v0
	v_cmp_gt_u32_e64 s[2:3], 64, v12
	s_and_b64 s[8:9], s[2:3], exec
; %bb.36:
	s_or_saveexec_b64 s[12:13], s[12:13]
	v_mov_b32_e32 v12, 0
	v_mov_b32_e32 v13, 0
	s_xor_b64 exec, exec, s[12:13]
	s_cbranch_execz .LBB123_38
; %bb.37:
	v_mad_u64_u32 v[12:13], s[2:3], s30, v1, 0
	s_or_b64 s[8:9], s[8:9], exec
	v_mad_u64_u32 v[15:16], s[2:3], s31, v1, v[13:14]
	v_mov_b32_e32 v13, v15
	v_lshlrev_b64 v[12:13], 3, v[12:13]
	v_add_co_u32_e64 v12, s[2:3], v10, v12
	v_addc_co_u32_e64 v13, s[2:3], v11, v13, s[2:3]
	flat_load_dwordx2 v[12:13], v[12:13]
	s_waitcnt vmcnt(0) lgkmcnt(0)
	v_xor_b32_e32 v13, 0x80000000, v13
.LBB123_38:
	s_or_b64 exec, exec, s[12:13]
	s_and_saveexec_b64 s[2:3], s[8:9]
; %bb.39:
	v_lshlrev_b32_e32 v15, 3, v14
	v_lshl_add_u32 v15, v1, 3, v15
	ds_write_b64 v15, v[12:13]
; %bb.40:
	s_or_b64 exec, exec, s[2:3]
	v_add_u32_e32 v15, 16, v1
	v_cmp_gt_u32_e64 s[2:3], v15, v0
	v_cmp_gt_i32_e64 s[8:9], s7, v15
	s_and_b64 s[2:3], s[2:3], s[8:9]
	s_and_b64 s[2:3], s[2:3], vcc
	s_xor_b64 s[2:3], s[2:3], -1
	s_mov_b64 s[8:9], 0
	s_and_saveexec_b64 s[12:13], s[2:3]
	s_xor_b64 s[12:13], exec, s[12:13]
; %bb.41:
	v_or_b32_e32 v12, v15, v0
	v_cmp_gt_u32_e64 s[2:3], 64, v12
	s_and_b64 s[8:9], s[2:3], exec
; %bb.42:
	s_or_saveexec_b64 s[12:13], s[12:13]
	v_mov_b32_e32 v12, 0
	v_mov_b32_e32 v13, 0
	s_xor_b64 exec, exec, s[12:13]
	s_cbranch_execz .LBB123_44
; %bb.43:
	v_mad_u64_u32 v[12:13], s[2:3], s30, v15, 0
	s_or_b64 s[8:9], s[8:9], exec
	v_mad_u64_u32 v[16:17], s[2:3], s31, v15, v[13:14]
	v_mov_b32_e32 v13, v16
	v_lshlrev_b64 v[12:13], 3, v[12:13]
	v_add_co_u32_e64 v12, s[2:3], v10, v12
	v_addc_co_u32_e64 v13, s[2:3], v11, v13, s[2:3]
	flat_load_dwordx2 v[12:13], v[12:13]
	s_waitcnt vmcnt(0) lgkmcnt(0)
	v_xor_b32_e32 v13, 0x80000000, v13
.LBB123_44:
	s_or_b64 exec, exec, s[12:13]
	s_and_saveexec_b64 s[2:3], s[8:9]
; %bb.45:
	v_add_u32_e32 v16, v15, v14
	v_lshl_add_u32 v15, v15, 6, v0
	v_cndmask_b32_e64 v15, v15, v16, s[0:1]
	v_lshlrev_b32_e32 v15, 3, v15
	ds_write_b64 v15, v[12:13]
; %bb.46:
	s_or_b64 exec, exec, s[2:3]
	v_add_u32_e32 v15, 32, v1
	v_cmp_gt_u32_e64 s[2:3], v15, v0
	v_cmp_gt_i32_e64 s[8:9], s7, v15
	s_and_b64 s[2:3], s[2:3], s[8:9]
	s_and_b64 s[2:3], s[2:3], vcc
	s_xor_b64 s[2:3], s[2:3], -1
	s_mov_b64 s[8:9], 0
	s_and_saveexec_b64 s[12:13], s[2:3]
	s_xor_b64 s[12:13], exec, s[12:13]
; %bb.47:
	v_or_b32_e32 v12, v15, v0
	v_cmp_gt_u32_e64 s[2:3], 64, v12
	s_and_b64 s[8:9], s[2:3], exec
; %bb.48:
	s_or_saveexec_b64 s[12:13], s[12:13]
	v_mov_b32_e32 v12, 0
	v_mov_b32_e32 v13, 0
	s_xor_b64 exec, exec, s[12:13]
	s_cbranch_execz .LBB123_50
; %bb.49:
	v_mad_u64_u32 v[12:13], s[2:3], s30, v15, 0
	s_or_b64 s[8:9], s[8:9], exec
	v_mad_u64_u32 v[16:17], s[2:3], s31, v15, v[13:14]
	v_mov_b32_e32 v13, v16
	v_lshlrev_b64 v[12:13], 3, v[12:13]
	v_add_co_u32_e64 v12, s[2:3], v10, v12
	v_addc_co_u32_e64 v13, s[2:3], v11, v13, s[2:3]
	flat_load_dwordx2 v[12:13], v[12:13]
	s_waitcnt vmcnt(0) lgkmcnt(0)
	v_xor_b32_e32 v13, 0x80000000, v13
.LBB123_50:
	s_or_b64 exec, exec, s[12:13]
	s_and_saveexec_b64 s[2:3], s[8:9]
; %bb.51:
	v_add_u32_e32 v16, v15, v14
	v_lshl_add_u32 v15, v15, 6, v0
	v_cndmask_b32_e64 v15, v15, v16, s[0:1]
	v_lshlrev_b32_e32 v15, 3, v15
	ds_write_b64 v15, v[12:13]
; %bb.52:
	s_or_b64 exec, exec, s[2:3]
	v_add_u32_e32 v15, 48, v1
	v_cmp_gt_u32_e64 s[2:3], v15, v0
	v_cmp_gt_i32_e64 s[8:9], s7, v15
	s_and_b64 s[2:3], s[2:3], s[8:9]
	s_and_b64 s[8:9], s[2:3], vcc
	v_add_u32_e32 v12, v15, v14
	v_lshl_add_u32 v13, v15, 6, v0
	s_mov_b64 s[2:3], -1
	s_xor_b64 s[12:13], s[8:9], -1
	s_and_saveexec_b64 s[8:9], s[12:13]
; %bb.53:
	v_or_b32_e32 v14, v15, v0
	v_cmp_gt_u32_e32 vcc, 64, v14
	s_andn2_b64 s[2:3], s[10:11], exec
	s_and_b64 s[10:11], vcc, exec
	s_or_b64 s[10:11], s[2:3], s[10:11]
	s_xor_b64 s[2:3], exec, -1
; %bb.54:
	s_or_b64 exec, exec, s[8:9]
	v_cndmask_b32_e64 v16, v13, v12, s[0:1]
.LBB123_55:
	v_mov_b32_e32 v12, 0
	v_mov_b32_e32 v13, 0
	s_and_saveexec_b64 s[8:9], s[2:3]
	s_cbranch_execnz .LBB123_1139
; %bb.56:
	s_or_b64 exec, exec, s[8:9]
	s_xor_b64 s[0:1], s[0:1], -1
	s_and_saveexec_b64 s[2:3], s[10:11]
.LBB123_57:
	v_lshlrev_b32_e32 v10, 3, v16
	ds_write_b64 v10, v[12:13]
.LBB123_58:
	s_or_b64 exec, exec, s[2:3]
	v_cndmask_b32_e64 v10, 0, 1, s[0:1]
	v_cmp_ne_u32_e64 s[46:47], 1, v10
	s_andn2_b64 vcc, exec, s[0:1]
	s_waitcnt vmcnt(0) lgkmcnt(0)
	s_barrier
	s_cbranch_vccnz .LBB123_1096
; %bb.59:
	v_or_b32_e32 v10, v0, v1
	v_cmp_eq_u32_e32 vcc, 0, v10
	s_and_saveexec_b64 s[0:1], vcc
	s_cbranch_execz .LBB123_61
; %bb.60:
	v_mov_b32_e32 v10, 0
	ds_read_b64 v[12:13], v10 offset:32752
	v_mov_b32_e32 v11, 0x3ff00000
	ds_write_b64 v10, v[10:11] offset:32760
	s_waitcnt lgkmcnt(1)
	ds_write_b128 v10, v[10:13] offset:32240
.LBB123_61:
	s_or_b64 exec, exec, s[0:1]
	v_lshlrev_b32_e32 v10, 6, v1
	v_add_u32_e32 v15, v10, v0
	v_and_b32_e32 v11, v10, v0
	v_xor_b32_e32 v10, v10, v0
	v_lshrrev_b16_e32 v10, 1, v10
	v_add_u16_e32 v14, v11, v10
	v_mov_b32_e32 v10, 0
	v_and_b32_e32 v12, 1, v0
	v_sub_u32_e32 v13, 1, v14
	v_cmp_lt_u32_e64 s[8:9], 3, v15
	v_mov_b32_e32 v11, 0
	v_cmp_gt_u32_e64 s[2:3], 4, v15
	s_waitcnt lgkmcnt(0)
	s_barrier
	buffer_wbinvl1_vol
	s_and_saveexec_b64 s[0:1], s[2:3]
	s_cbranch_execz .LBB123_65
; %bb.62:
	v_lshlrev_b32_e32 v16, 9, v13
	v_lshlrev_b32_e32 v10, 3, v12
	ds_read_b64 v[10:11], v10 offset:32224
	ds_read_b64 v[16:17], v16 offset:32240
	v_cmp_gt_u32_e64 s[10:11], 2, v15
	s_waitcnt lgkmcnt(0)
	v_fma_f64 v[10:11], v[10:11], v[16:17], 0
	s_and_saveexec_b64 s[12:13], s[10:11]
	s_cbranch_execz .LBB123_64
; %bb.63:
	v_lshlrev_b32_e32 v16, 3, v0
	v_mov_b32_e32 v19, 0
	ds_read_b64 v[16:17], v16 offset:32736
	ds_read_b64 v[19:20], v19 offset:32760
	s_waitcnt lgkmcnt(0)
	v_fma_f64 v[10:11], v[16:17], v[19:20], v[10:11]
.LBB123_64:
	s_or_b64 exec, exec, s[12:13]
.LBB123_65:
	s_or_b64 exec, exec, s[0:1]
	v_mov_b32_e32 v16, 0x8000
	v_cmp_ne_u32_e64 s[10:11], 0, v12
	s_xor_b64 s[0:1], s[8:9], -1
	v_lshl_add_u32 v14, v14, 3, v16
	s_and_b64 s[40:41], s[10:11], s[0:1]
	s_and_saveexec_b64 s[8:9], s[40:41]
; %bb.66:
	v_xor_b32_e32 v17, 0x80000000, v11
	v_mov_b32_e32 v16, v10
	ds_write_b64 v14, v[16:17]
; %bb.67:
	s_or_b64 exec, exec, s[8:9]
	v_cmp_eq_u32_e64 s[8:9], 0, v12
	s_and_b64 s[38:39], s[8:9], s[0:1]
	s_waitcnt lgkmcnt(0)
	s_barrier
	s_and_saveexec_b64 s[0:1], s[38:39]
	s_cbranch_execz .LBB123_69
; %bb.68:
	v_mov_b32_e32 v16, 0
	ds_read_b64 v[16:17], v16 offset:31712
	ds_read_b64 v[19:20], v14
	s_waitcnt lgkmcnt(0)
	v_fma_f64 v[10:11], -v[16:17], v[19:20], v[10:11]
.LBB123_69:
	s_or_b64 exec, exec, s[0:1]
	s_barrier
	s_and_saveexec_b64 s[0:1], s[38:39]
; %bb.70:
	v_xor_b32_e32 v17, 0x80000000, v11
	v_mov_b32_e32 v16, v10
	ds_write_b64 v14, v[16:17]
; %bb.71:
	s_or_b64 exec, exec, s[0:1]
	s_waitcnt lgkmcnt(0)
	s_barrier
	s_barrier
	s_and_saveexec_b64 s[0:1], s[2:3]
; %bb.72:
	v_lshlrev_b32_e32 v16, 3, v12
	v_lshl_or_b32 v16, v13, 9, v16
	ds_write_b64 v16, v[10:11] offset:32224
; %bb.73:
	s_or_b64 exec, exec, s[0:1]
	v_cmp_eq_u32_e64 s[12:13], 0, v1
	v_cmp_gt_u32_e64 s[8:9], 2, v0
	s_and_b64 s[42:43], s[12:13], s[8:9]
	s_waitcnt lgkmcnt(0)
	s_barrier
	s_barrier
	s_and_saveexec_b64 s[0:1], s[42:43]
	s_cbranch_execz .LBB123_75
; %bb.74:
	v_lshlrev_b32_e32 v16, 3, v0
	s_movk_i32 s8, 0x1f8
	v_mad_u32_u24 v17, v0, s8, v16
	ds_read_b64 v[10:11], v17 offset:32224
	s_waitcnt lgkmcnt(0)
	ds_write_b64 v16, v[10:11] offset:31216
	ds_read_b64 v[10:11], v17 offset:32232
	s_waitcnt lgkmcnt(0)
	ds_write_b64 v16, v[10:11] offset:31728
.LBB123_75:
	s_or_b64 exec, exec, s[0:1]
	s_waitcnt lgkmcnt(0)
	s_barrier
	s_and_saveexec_b64 s[0:1], vcc
	s_cbranch_execz .LBB123_77
; %bb.76:
	v_mov_b32_e32 v19, 0
	ds_read_b64 v[21:22], v19 offset:31712
	v_mov_b32_e32 v20, 0x3ff00000
	ds_write_b64 v19, v[19:20] offset:31720
	s_waitcnt lgkmcnt(1)
	ds_write_b128 v19, v[19:22] offset:31200
.LBB123_77:
	s_or_b64 exec, exec, s[0:1]
	v_lshrrev_b32_e32 v19, 2, v15
	v_mov_b32_e32 v10, 0
	v_and_b32_e32 v16, 3, v0
	v_sub_u32_e32 v17, 3, v19
	v_cmp_lt_u32_e64 s[8:9], 15, v15
	v_mov_b32_e32 v11, 0
	v_cmp_gt_u32_e64 s[18:19], 16, v15
	s_waitcnt lgkmcnt(0)
	s_barrier
	buffer_wbinvl1_vol
	s_and_saveexec_b64 s[0:1], s[18:19]
	s_cbranch_execz .LBB123_83
; %bb.78:
	v_lshlrev_b32_e32 v21, 3, v16
	v_lshlrev_b32_e32 v20, 9, v17
	ds_read_b64 v[10:11], v21 offset:31168
	ds_read_b64 v[22:23], v20 offset:31200
	v_cmp_gt_u32_e64 s[10:11], 12, v15
	s_waitcnt lgkmcnt(0)
	v_fma_f64 v[10:11], v[10:11], v[22:23], 0
	s_and_saveexec_b64 s[14:15], s[10:11]
	s_cbranch_execnz .LBB123_1172
; %bb.79:
	s_or_b64 exec, exec, s[14:15]
	v_cmp_gt_u32_e64 s[10:11], 8, v15
	s_and_saveexec_b64 s[14:15], s[10:11]
	s_cbranch_execnz .LBB123_1173
.LBB123_80:
	s_or_b64 exec, exec, s[14:15]
	v_cmp_gt_u32_e64 s[10:11], 4, v15
	s_and_saveexec_b64 s[14:15], s[10:11]
	s_cbranch_execz .LBB123_82
.LBB123_81:
	v_lshlrev_b32_e32 v20, 3, v0
	v_mov_b32_e32 v22, 0
	ds_read_b64 v[20:21], v20 offset:32704
	ds_read_b64 v[22:23], v22 offset:32760
	s_waitcnt lgkmcnt(0)
	v_fma_f64 v[10:11], v[20:21], v[22:23], v[10:11]
.LBB123_82:
	s_or_b64 exec, exec, s[14:15]
.LBB123_83:
                                        ; implicit-def: $vgpr35 : SGPR spill to VGPR lane
	v_writelane_b32 v35, s46, 0
	v_writelane_b32 v35, s47, 1
	;; [unrolled: 1-line block ×4, first 2 shown]
	s_or_b64 exec, exec, s[0:1]
	v_mov_b32_e32 v20, 0x8000
	v_cmp_eq_u32_e64 s[10:11], 3, v16
	s_xor_b64 s[0:1], s[8:9], -1
	v_lshl_add_u32 v19, v19, 3, v20
	s_and_b64 s[46:47], s[10:11], s[0:1]
	s_and_saveexec_b64 s[8:9], s[46:47]
; %bb.84:
	v_xor_b32_e32 v21, 0x80000000, v11
	v_mov_b32_e32 v20, v10
	ds_write_b64 v19, v[20:21]
; %bb.85:
	s_or_b64 exec, exec, s[8:9]
	v_cmp_ne_u32_e64 s[8:9], 3, v16
	s_and_b64 s[48:49], s[8:9], s[0:1]
	s_waitcnt lgkmcnt(0)
	s_barrier
	s_and_saveexec_b64 s[8:9], s[48:49]
	s_cbranch_execz .LBB123_87
; %bb.86:
	v_lshlrev_b32_e32 v20, 3, v16
	ds_read_b64 v[20:21], v20 offset:30656
	ds_read_b64 v[22:23], v19
	s_waitcnt lgkmcnt(0)
	v_fma_f64 v[10:11], -v[20:21], v[22:23], v[10:11]
.LBB123_87:
	s_or_b64 exec, exec, s[8:9]
	v_cmp_eq_u32_e64 s[8:9], 2, v16
	s_and_b64 s[50:51], s[8:9], s[0:1]
	s_barrier
	s_and_saveexec_b64 s[8:9], s[50:51]
; %bb.88:
	v_xor_b32_e32 v21, 0x80000000, v11
	v_mov_b32_e32 v20, v10
	ds_write_b64 v19, v[20:21]
; %bb.89:
	s_or_b64 exec, exec, s[8:9]
	v_cmp_gt_u32_e64 s[8:9], 2, v16
	s_and_b64 s[52:53], s[8:9], s[0:1]
	s_waitcnt lgkmcnt(0)
	s_barrier
	s_and_saveexec_b64 s[8:9], s[52:53]
	s_cbranch_execz .LBB123_91
; %bb.90:
	v_lshlrev_b32_e32 v20, 3, v16
	ds_read_b64 v[20:21], v20 offset:30144
	ds_read_b64 v[22:23], v19
	s_waitcnt lgkmcnt(0)
	v_fma_f64 v[10:11], -v[20:21], v[22:23], v[10:11]
.LBB123_91:
	s_or_b64 exec, exec, s[8:9]
	v_cmp_eq_u32_e64 s[8:9], 1, v16
	s_and_b64 s[54:55], s[8:9], s[0:1]
	s_barrier
	s_and_saveexec_b64 s[8:9], s[54:55]
; %bb.92:
	v_xor_b32_e32 v21, 0x80000000, v11
	v_mov_b32_e32 v20, v10
	ds_write_b64 v19, v[20:21]
; %bb.93:
	s_or_b64 exec, exec, s[8:9]
	v_cmp_eq_u32_e64 s[8:9], 0, v16
	s_and_b64 s[44:45], s[8:9], s[0:1]
	s_waitcnt lgkmcnt(0)
	s_barrier
	s_and_saveexec_b64 s[0:1], s[44:45]
	s_cbranch_execz .LBB123_95
; %bb.94:
	v_mov_b32_e32 v20, 0
	ds_read_b64 v[20:21], v20 offset:29632
	ds_read_b64 v[22:23], v19
	s_waitcnt lgkmcnt(0)
	v_fma_f64 v[10:11], -v[20:21], v[22:23], v[10:11]
.LBB123_95:
	s_or_b64 exec, exec, s[0:1]
	s_barrier
	s_and_saveexec_b64 s[0:1], s[44:45]
; %bb.96:
	v_xor_b32_e32 v21, 0x80000000, v11
	v_mov_b32_e32 v20, v10
	ds_write_b64 v19, v[20:21]
; %bb.97:
	s_or_b64 exec, exec, s[0:1]
	s_waitcnt lgkmcnt(0)
	s_barrier
	s_barrier
	s_and_saveexec_b64 s[0:1], s[18:19]
; %bb.98:
	v_lshlrev_b32_e32 v20, 3, v16
	v_lshl_or_b32 v20, v17, 9, v20
	ds_write_b64 v20, v[10:11] offset:31168
; %bb.99:
	s_or_b64 exec, exec, s[0:1]
	v_cmp_gt_u32_e64 s[8:9], 4, v0
	s_and_b64 s[56:57], s[12:13], s[8:9]
	s_waitcnt lgkmcnt(0)
	s_barrier
	s_barrier
	s_and_saveexec_b64 s[0:1], s[56:57]
	s_cbranch_execz .LBB123_101
; %bb.100:
	v_lshlrev_b32_e32 v20, 9, v0
	ds_read_b64 v[10:11], v20 offset:31168
	s_movk_i32 s8, 0xfe08
	v_mad_i32_i24 v21, v0, s8, v20
	s_waitcnt lgkmcnt(0)
	ds_write_b64 v21, v[10:11] offset:29152
	ds_read_b64 v[10:11], v20 offset:31176
	s_waitcnt lgkmcnt(0)
	ds_write_b64 v21, v[10:11] offset:29664
	ds_read_b64 v[10:11], v20 offset:31184
	;; [unrolled: 3-line block ×3, first 2 shown]
	s_waitcnt lgkmcnt(0)
	ds_write_b64 v21, v[10:11] offset:30688
.LBB123_101:
	s_or_b64 exec, exec, s[0:1]
	s_waitcnt lgkmcnt(0)
	s_barrier
	s_and_saveexec_b64 s[0:1], vcc
	s_cbranch_execz .LBB123_103
; %bb.102:
	v_mov_b32_e32 v20, 0
	ds_read_b64 v[22:23], v20 offset:30672
	v_mov_b32_e32 v21, 0x3ff00000
	ds_write_b64 v20, v[20:21] offset:30680
	s_waitcnt lgkmcnt(1)
	ds_write_b128 v20, v[20:23] offset:30160
.LBB123_103:
	s_or_b64 exec, exec, s[0:1]
	v_mov_b32_e32 v10, 0
	v_mov_b32_e32 v11, 0
	s_waitcnt lgkmcnt(0)
	s_barrier
	buffer_wbinvl1_vol
	s_and_saveexec_b64 s[0:1], s[2:3]
	s_cbranch_execz .LBB123_107
; %bb.104:
	v_lshlrev_b32_e32 v20, 9, v13
	v_lshlrev_b32_e32 v10, 3, v12
	ds_read_b64 v[10:11], v10 offset:30144
	ds_read_b64 v[20:21], v20 offset:30160
	v_cmp_gt_u32_e64 s[8:9], 2, v15
	s_waitcnt lgkmcnt(0)
	v_fma_f64 v[10:11], v[10:11], v[20:21], 0
	s_and_saveexec_b64 s[10:11], s[8:9]
	s_cbranch_execz .LBB123_106
; %bb.105:
	v_lshlrev_b32_e32 v20, 3, v0
	v_mov_b32_e32 v22, 0
	ds_read_b64 v[20:21], v20 offset:30656
	ds_read_b64 v[22:23], v22 offset:30680
	s_waitcnt lgkmcnt(0)
	v_fma_f64 v[10:11], v[20:21], v[22:23], v[10:11]
.LBB123_106:
	s_or_b64 exec, exec, s[10:11]
.LBB123_107:
	s_or_b64 exec, exec, s[0:1]
	s_and_saveexec_b64 s[0:1], s[40:41]
; %bb.108:
	v_xor_b32_e32 v21, 0x80000000, v11
	v_mov_b32_e32 v20, v10
	ds_write_b64 v14, v[20:21]
; %bb.109:
	s_or_b64 exec, exec, s[0:1]
	s_waitcnt lgkmcnt(0)
	s_barrier
	s_and_saveexec_b64 s[0:1], s[38:39]
	s_cbranch_execz .LBB123_111
; %bb.110:
	v_mov_b32_e32 v20, 0
	ds_read_b64 v[20:21], v20 offset:29632
	ds_read_b64 v[22:23], v14
	s_waitcnt lgkmcnt(0)
	v_fma_f64 v[10:11], -v[20:21], v[22:23], v[10:11]
.LBB123_111:
	s_or_b64 exec, exec, s[0:1]
	s_barrier
	s_and_saveexec_b64 s[0:1], s[38:39]
; %bb.112:
	v_xor_b32_e32 v21, 0x80000000, v11
	v_mov_b32_e32 v20, v10
	ds_write_b64 v14, v[20:21]
; %bb.113:
	s_or_b64 exec, exec, s[0:1]
	s_waitcnt lgkmcnt(0)
	s_barrier
	s_barrier
	s_and_saveexec_b64 s[0:1], s[2:3]
; %bb.114:
	v_lshlrev_b32_e32 v20, 3, v12
	v_lshl_or_b32 v20, v13, 9, v20
	ds_write_b64 v20, v[10:11] offset:30144
; %bb.115:
	s_or_b64 exec, exec, s[0:1]
	s_waitcnt lgkmcnt(0)
	s_barrier
	s_barrier
	s_and_saveexec_b64 s[0:1], s[42:43]
	s_cbranch_execz .LBB123_117
; %bb.116:
	v_lshlrev_b32_e32 v20, 3, v0
	s_movk_i32 s8, 0x1f8
	v_mad_u32_u24 v21, v0, s8, v20
	ds_read_b64 v[10:11], v21 offset:30144
	s_waitcnt lgkmcnt(0)
	ds_write_b64 v20, v[10:11] offset:29136
	ds_read_b64 v[10:11], v21 offset:30152
	s_waitcnt lgkmcnt(0)
	ds_write_b64 v20, v[10:11] offset:29648
.LBB123_117:
	s_or_b64 exec, exec, s[0:1]
	s_waitcnt lgkmcnt(0)
	s_barrier
	s_and_saveexec_b64 s[0:1], vcc
	s_cbranch_execz .LBB123_119
; %bb.118:
	v_mov_b32_e32 v20, 0
	ds_read_b64 v[22:23], v20 offset:29632
	v_mov_b32_e32 v21, 0x3ff00000
	ds_write_b64 v20, v[20:21] offset:29640
	s_waitcnt lgkmcnt(1)
	ds_write_b128 v20, v[20:23] offset:29120
.LBB123_119:
	s_or_b64 exec, exec, s[0:1]
	v_lshrrev_b32_e32 v22, 3, v15
	v_mov_b32_e32 v10, 0
	v_and_b32_e32 v20, 7, v0
	v_sub_u32_e32 v21, 7, v22
	v_cmp_lt_u32_e64 s[10:11], 63, v15
	v_mov_b32_e32 v11, 0
	v_cmp_gt_u32_e64 s[8:9], 64, v15
	s_waitcnt lgkmcnt(0)
	s_barrier
	buffer_wbinvl1_vol
	s_and_saveexec_b64 s[0:1], s[8:9]
	s_cbranch_execz .LBB123_129
; %bb.120:
	v_lshlrev_b32_e32 v24, 3, v20
	v_lshlrev_b32_e32 v23, 9, v21
	ds_read_b64 v[10:11], v24 offset:29056
	ds_read_b64 v[25:26], v23 offset:29120
	v_cmp_gt_u32_e64 s[14:15], 56, v15
	s_waitcnt lgkmcnt(0)
	v_fma_f64 v[10:11], v[10:11], v[25:26], 0
	s_and_saveexec_b64 s[16:17], s[14:15]
	s_cbranch_execnz .LBB123_1174
; %bb.121:
	s_or_b64 exec, exec, s[16:17]
	v_cmp_gt_u32_e64 s[14:15], 48, v15
	s_and_saveexec_b64 s[16:17], s[14:15]
	s_cbranch_execnz .LBB123_1175
.LBB123_122:
	s_or_b64 exec, exec, s[16:17]
	v_cmp_gt_u32_e64 s[14:15], 40, v15
	s_and_saveexec_b64 s[16:17], s[14:15]
	s_cbranch_execnz .LBB123_1176
.LBB123_123:
	s_or_b64 exec, exec, s[16:17]
	v_cmp_gt_u32_e64 s[14:15], 32, v15
	s_and_saveexec_b64 s[16:17], s[14:15]
	s_cbranch_execnz .LBB123_1177
.LBB123_124:
	s_or_b64 exec, exec, s[16:17]
	v_cmp_gt_u32_e64 s[14:15], 24, v15
	s_and_saveexec_b64 s[16:17], s[14:15]
	s_cbranch_execnz .LBB123_1178
.LBB123_125:
	s_or_b64 exec, exec, s[16:17]
	s_and_saveexec_b64 s[14:15], s[18:19]
	s_cbranch_execnz .LBB123_1179
.LBB123_126:
	s_or_b64 exec, exec, s[14:15]
	v_cmp_gt_u32_e64 s[14:15], 8, v15
	s_and_saveexec_b64 s[16:17], s[14:15]
	s_cbranch_execz .LBB123_128
.LBB123_127:
	v_lshlrev_b32_e32 v23, 3, v0
	v_mov_b32_e32 v25, 0
	ds_read_b64 v[23:24], v23 offset:32640
	ds_read_b64 v[25:26], v25 offset:32760
	s_waitcnt lgkmcnt(0)
	v_fma_f64 v[10:11], v[23:24], v[25:26], v[10:11]
.LBB123_128:
	s_or_b64 exec, exec, s[16:17]
.LBB123_129:
	s_or_b64 exec, exec, s[0:1]
	v_mov_b32_e32 v23, 0x8000
	v_cmp_eq_u32_e64 s[14:15], 7, v20
	s_xor_b64 s[0:1], s[10:11], -1
	v_lshl_add_u32 v22, v22, 3, v23
	s_and_b64 s[58:59], s[14:15], s[0:1]
	s_and_saveexec_b64 s[10:11], s[58:59]
; %bb.130:
	v_xor_b32_e32 v24, 0x80000000, v11
	v_mov_b32_e32 v23, v10
	ds_write_b64 v22, v[23:24]
; %bb.131:
	s_or_b64 exec, exec, s[10:11]
	v_cmp_ne_u32_e64 s[10:11], 7, v20
	s_and_b64 s[60:61], s[10:11], s[0:1]
	s_waitcnt lgkmcnt(0)
	s_barrier
	s_and_saveexec_b64 s[10:11], s[60:61]
	s_cbranch_execz .LBB123_133
; %bb.132:
	v_lshlrev_b32_e32 v23, 3, v20
	ds_read_b64 v[23:24], v23 offset:28544
	ds_read_b64 v[25:26], v22
	s_waitcnt lgkmcnt(0)
	v_fma_f64 v[10:11], -v[23:24], v[25:26], v[10:11]
.LBB123_133:
	s_or_b64 exec, exec, s[10:11]
	v_cmp_eq_u32_e64 s[10:11], 6, v20
	s_and_b64 s[62:63], s[10:11], s[0:1]
	s_barrier
	s_and_saveexec_b64 s[10:11], s[62:63]
; %bb.134:
	v_xor_b32_e32 v24, 0x80000000, v11
	v_mov_b32_e32 v23, v10
	ds_write_b64 v22, v[23:24]
; %bb.135:
	s_or_b64 exec, exec, s[10:11]
	v_cmp_gt_u32_e64 s[10:11], 6, v20
	s_and_b64 s[64:65], s[10:11], s[0:1]
	s_waitcnt lgkmcnt(0)
	s_barrier
	s_and_saveexec_b64 s[10:11], s[64:65]
	s_cbranch_execz .LBB123_137
; %bb.136:
	v_lshlrev_b32_e32 v23, 3, v20
	ds_read_b64 v[23:24], v23 offset:28032
	ds_read_b64 v[25:26], v22
	s_waitcnt lgkmcnt(0)
	v_fma_f64 v[10:11], -v[23:24], v[25:26], v[10:11]
.LBB123_137:
	s_or_b64 exec, exec, s[10:11]
	v_cmp_eq_u32_e64 s[10:11], 5, v20
	s_and_b64 s[66:67], s[10:11], s[0:1]
	s_barrier
	s_and_saveexec_b64 s[10:11], s[66:67]
; %bb.138:
	v_xor_b32_e32 v24, 0x80000000, v11
	v_mov_b32_e32 v23, v10
	ds_write_b64 v22, v[23:24]
; %bb.139:
	s_or_b64 exec, exec, s[10:11]
	v_cmp_gt_u32_e64 s[10:11], 5, v20
	;; [unrolled: 24-line block ×5, first 2 shown]
	s_and_b64 s[82:83], s[10:11], s[0:1]
	s_waitcnt lgkmcnt(0)
	s_barrier
	s_and_saveexec_b64 s[10:11], s[82:83]
	s_cbranch_execz .LBB123_153
; %bb.152:
	v_lshlrev_b32_e32 v23, 3, v20
	ds_read_b64 v[23:24], v23 offset:25984
	ds_read_b64 v[25:26], v22
	s_waitcnt lgkmcnt(0)
	v_fma_f64 v[10:11], -v[23:24], v[25:26], v[10:11]
.LBB123_153:
	s_or_b64 exec, exec, s[10:11]
	v_cmp_eq_u32_e64 s[10:11], 1, v20
	s_and_b64 s[84:85], s[10:11], s[0:1]
	s_barrier
	s_and_saveexec_b64 s[10:11], s[84:85]
; %bb.154:
	v_xor_b32_e32 v24, 0x80000000, v11
	v_mov_b32_e32 v23, v10
	ds_write_b64 v22, v[23:24]
; %bb.155:
	s_or_b64 exec, exec, s[10:11]
	v_cmp_eq_u32_e64 s[10:11], 0, v20
	s_and_b64 s[68:69], s[10:11], s[0:1]
	s_waitcnt lgkmcnt(0)
	s_barrier
	s_and_saveexec_b64 s[0:1], s[68:69]
	s_cbranch_execz .LBB123_157
; %bb.156:
	v_mov_b32_e32 v23, 0
	ds_read_b64 v[23:24], v23 offset:25472
	ds_read_b64 v[25:26], v22
	s_waitcnt lgkmcnt(0)
	v_fma_f64 v[10:11], -v[23:24], v[25:26], v[10:11]
.LBB123_157:
	s_or_b64 exec, exec, s[0:1]
	s_barrier
	s_and_saveexec_b64 s[0:1], s[68:69]
; %bb.158:
	v_xor_b32_e32 v24, 0x80000000, v11
	v_mov_b32_e32 v23, v10
	ds_write_b64 v22, v[23:24]
; %bb.159:
	s_or_b64 exec, exec, s[0:1]
	s_waitcnt lgkmcnt(0)
	s_barrier
	s_barrier
	s_and_saveexec_b64 s[0:1], s[8:9]
; %bb.160:
	v_lshlrev_b32_e32 v23, 3, v20
	v_lshl_or_b32 v23, v21, 9, v23
	ds_write_b64 v23, v[10:11] offset:29056
; %bb.161:
	s_or_b64 exec, exec, s[0:1]
	v_cmp_gt_u32_e64 s[10:11], 8, v0
	s_and_b64 s[86:87], s[12:13], s[10:11]
	s_waitcnt lgkmcnt(0)
	s_barrier
	s_barrier
	s_and_saveexec_b64 s[0:1], s[86:87]
	s_cbranch_execz .LBB123_163
; %bb.162:
	v_lshlrev_b32_e32 v23, 9, v0
	ds_read_b64 v[10:11], v23 offset:29056
	s_movk_i32 s10, 0xfe08
	v_mad_i32_i24 v24, v0, s10, v23
	s_waitcnt lgkmcnt(0)
	ds_write_b64 v24, v[10:11] offset:25024
	ds_read_b64 v[10:11], v23 offset:29064
	s_waitcnt lgkmcnt(0)
	ds_write_b64 v24, v[10:11] offset:25536
	ds_read_b64 v[10:11], v23 offset:29072
	;; [unrolled: 3-line block ×7, first 2 shown]
	s_waitcnt lgkmcnt(0)
	ds_write_b64 v24, v[10:11] offset:28608
.LBB123_163:
	s_or_b64 exec, exec, s[0:1]
	s_waitcnt lgkmcnt(0)
	s_barrier
	s_and_saveexec_b64 s[0:1], vcc
	s_cbranch_execz .LBB123_165
; %bb.164:
	v_mov_b32_e32 v23, 0
	ds_read_b64 v[25:26], v23 offset:28592
	v_mov_b32_e32 v24, 0x3ff00000
	ds_write_b64 v23, v[23:24] offset:28600
	s_waitcnt lgkmcnt(1)
	ds_write_b128 v23, v[23:26] offset:28080
.LBB123_165:
	s_or_b64 exec, exec, s[0:1]
	v_mov_b32_e32 v10, 0
	v_mov_b32_e32 v11, 0
	s_waitcnt lgkmcnt(0)
	s_barrier
	buffer_wbinvl1_vol
	s_and_saveexec_b64 s[0:1], s[2:3]
	s_cbranch_execz .LBB123_169
; %bb.166:
	v_lshlrev_b32_e32 v23, 9, v13
	v_lshlrev_b32_e32 v10, 3, v12
	ds_read_b64 v[10:11], v10 offset:28064
	ds_read_b64 v[23:24], v23 offset:28080
	v_cmp_gt_u32_e64 s[10:11], 2, v15
	s_waitcnt lgkmcnt(0)
	v_fma_f64 v[10:11], v[10:11], v[23:24], 0
	s_and_saveexec_b64 s[14:15], s[10:11]
	s_cbranch_execz .LBB123_168
; %bb.167:
	v_lshlrev_b32_e32 v23, 3, v0
	v_mov_b32_e32 v25, 0
	ds_read_b64 v[23:24], v23 offset:28576
	ds_read_b64 v[25:26], v25 offset:28600
	s_waitcnt lgkmcnt(0)
	v_fma_f64 v[10:11], v[23:24], v[25:26], v[10:11]
.LBB123_168:
	s_or_b64 exec, exec, s[14:15]
.LBB123_169:
	s_or_b64 exec, exec, s[0:1]
	s_and_saveexec_b64 s[0:1], s[40:41]
; %bb.170:
	v_xor_b32_e32 v24, 0x80000000, v11
	v_mov_b32_e32 v23, v10
	ds_write_b64 v14, v[23:24]
; %bb.171:
	s_or_b64 exec, exec, s[0:1]
	s_waitcnt lgkmcnt(0)
	s_barrier
	s_and_saveexec_b64 s[0:1], s[38:39]
	s_cbranch_execz .LBB123_173
; %bb.172:
	v_mov_b32_e32 v23, 0
	ds_read_b64 v[23:24], v23 offset:27552
	ds_read_b64 v[25:26], v14
	s_waitcnt lgkmcnt(0)
	v_fma_f64 v[10:11], -v[23:24], v[25:26], v[10:11]
.LBB123_173:
	s_or_b64 exec, exec, s[0:1]
	s_barrier
	s_and_saveexec_b64 s[0:1], s[38:39]
; %bb.174:
	v_xor_b32_e32 v24, 0x80000000, v11
	v_mov_b32_e32 v23, v10
	ds_write_b64 v14, v[23:24]
; %bb.175:
	s_or_b64 exec, exec, s[0:1]
	s_waitcnt lgkmcnt(0)
	s_barrier
	s_barrier
	s_and_saveexec_b64 s[0:1], s[2:3]
; %bb.176:
	v_lshlrev_b32_e32 v23, 3, v12
	v_lshl_or_b32 v23, v13, 9, v23
	ds_write_b64 v23, v[10:11] offset:28064
; %bb.177:
	s_or_b64 exec, exec, s[0:1]
	s_waitcnt lgkmcnt(0)
	s_barrier
	s_barrier
	s_and_saveexec_b64 s[0:1], s[42:43]
	s_cbranch_execz .LBB123_179
; %bb.178:
	v_lshlrev_b32_e32 v23, 3, v0
	s_movk_i32 s10, 0x1f8
	v_mad_u32_u24 v24, v0, s10, v23
	ds_read_b64 v[10:11], v24 offset:28064
	s_waitcnt lgkmcnt(0)
	ds_write_b64 v23, v[10:11] offset:27056
	ds_read_b64 v[10:11], v24 offset:28072
	s_waitcnt lgkmcnt(0)
	ds_write_b64 v23, v[10:11] offset:27568
.LBB123_179:
	s_or_b64 exec, exec, s[0:1]
	s_waitcnt lgkmcnt(0)
	s_barrier
	s_and_saveexec_b64 s[0:1], vcc
	s_cbranch_execz .LBB123_181
; %bb.180:
	v_mov_b32_e32 v23, 0
	ds_read_b64 v[25:26], v23 offset:27552
	v_mov_b32_e32 v24, 0x3ff00000
	ds_write_b64 v23, v[23:24] offset:27560
	s_waitcnt lgkmcnt(1)
	ds_write_b128 v23, v[23:26] offset:27040
.LBB123_181:
	s_or_b64 exec, exec, s[0:1]
	v_mov_b32_e32 v10, 0
	v_mov_b32_e32 v11, 0
	s_waitcnt lgkmcnt(0)
	s_barrier
	buffer_wbinvl1_vol
	s_and_saveexec_b64 s[0:1], s[18:19]
	s_cbranch_execz .LBB123_187
; %bb.182:
	v_lshlrev_b32_e32 v24, 3, v16
	v_lshlrev_b32_e32 v23, 9, v17
	ds_read_b64 v[10:11], v24 offset:27008
	ds_read_b64 v[25:26], v23 offset:27040
	v_cmp_gt_u32_e64 s[10:11], 12, v15
	s_waitcnt lgkmcnt(0)
	v_fma_f64 v[10:11], v[10:11], v[25:26], 0
	s_and_saveexec_b64 s[14:15], s[10:11]
	s_cbranch_execnz .LBB123_1180
; %bb.183:
	s_or_b64 exec, exec, s[14:15]
	v_cmp_gt_u32_e64 s[10:11], 8, v15
	s_and_saveexec_b64 s[14:15], s[10:11]
	s_cbranch_execnz .LBB123_1181
.LBB123_184:
	s_or_b64 exec, exec, s[14:15]
	v_cmp_gt_u32_e64 s[10:11], 4, v15
	s_and_saveexec_b64 s[14:15], s[10:11]
	s_cbranch_execz .LBB123_186
.LBB123_185:
	v_lshlrev_b32_e32 v23, 3, v0
	v_mov_b32_e32 v25, 0
	ds_read_b64 v[23:24], v23 offset:28544
	ds_read_b64 v[25:26], v25 offset:28600
	s_waitcnt lgkmcnt(0)
	v_fma_f64 v[10:11], v[23:24], v[25:26], v[10:11]
.LBB123_186:
	s_or_b64 exec, exec, s[14:15]
.LBB123_187:
	s_or_b64 exec, exec, s[0:1]
	s_and_saveexec_b64 s[0:1], s[46:47]
; %bb.188:
	v_xor_b32_e32 v24, 0x80000000, v11
	v_mov_b32_e32 v23, v10
	ds_write_b64 v19, v[23:24]
; %bb.189:
	s_or_b64 exec, exec, s[0:1]
	s_waitcnt lgkmcnt(0)
	s_barrier
	s_and_saveexec_b64 s[0:1], s[48:49]
	s_cbranch_execz .LBB123_191
; %bb.190:
	v_lshlrev_b32_e32 v23, 3, v16
	ds_read_b64 v[23:24], v23 offset:26496
	ds_read_b64 v[25:26], v19
	s_waitcnt lgkmcnt(0)
	v_fma_f64 v[10:11], -v[23:24], v[25:26], v[10:11]
.LBB123_191:
	s_or_b64 exec, exec, s[0:1]
	s_barrier
	s_and_saveexec_b64 s[0:1], s[50:51]
; %bb.192:
	v_xor_b32_e32 v24, 0x80000000, v11
	v_mov_b32_e32 v23, v10
	ds_write_b64 v19, v[23:24]
; %bb.193:
	s_or_b64 exec, exec, s[0:1]
	s_waitcnt lgkmcnt(0)
	s_barrier
	s_and_saveexec_b64 s[0:1], s[52:53]
	s_cbranch_execz .LBB123_195
; %bb.194:
	v_lshlrev_b32_e32 v23, 3, v16
	ds_read_b64 v[23:24], v23 offset:25984
	ds_read_b64 v[25:26], v19
	s_waitcnt lgkmcnt(0)
	v_fma_f64 v[10:11], -v[23:24], v[25:26], v[10:11]
.LBB123_195:
	s_or_b64 exec, exec, s[0:1]
	s_barrier
	s_and_saveexec_b64 s[0:1], s[54:55]
; %bb.196:
	v_xor_b32_e32 v24, 0x80000000, v11
	v_mov_b32_e32 v23, v10
	ds_write_b64 v19, v[23:24]
; %bb.197:
	s_or_b64 exec, exec, s[0:1]
	s_waitcnt lgkmcnt(0)
	s_barrier
	s_and_saveexec_b64 s[0:1], s[44:45]
	s_cbranch_execz .LBB123_199
; %bb.198:
	v_mov_b32_e32 v23, 0
	ds_read_b64 v[23:24], v23 offset:25472
	ds_read_b64 v[25:26], v19
	s_waitcnt lgkmcnt(0)
	v_fma_f64 v[10:11], -v[23:24], v[25:26], v[10:11]
.LBB123_199:
	s_or_b64 exec, exec, s[0:1]
	s_barrier
	s_and_saveexec_b64 s[0:1], s[44:45]
; %bb.200:
	v_xor_b32_e32 v24, 0x80000000, v11
	v_mov_b32_e32 v23, v10
	ds_write_b64 v19, v[23:24]
; %bb.201:
	s_or_b64 exec, exec, s[0:1]
	s_waitcnt lgkmcnt(0)
	s_barrier
	s_barrier
	s_and_saveexec_b64 s[0:1], s[18:19]
; %bb.202:
	v_lshlrev_b32_e32 v23, 3, v16
	v_lshl_or_b32 v23, v17, 9, v23
	ds_write_b64 v23, v[10:11] offset:27008
; %bb.203:
	s_or_b64 exec, exec, s[0:1]
	s_waitcnt lgkmcnt(0)
	s_barrier
	s_barrier
	s_and_saveexec_b64 s[0:1], s[56:57]
	s_cbranch_execz .LBB123_205
; %bb.204:
	v_lshlrev_b32_e32 v23, 9, v0
	ds_read_b64 v[10:11], v23 offset:27008
	s_movk_i32 s10, 0xfe08
	v_mad_i32_i24 v24, v0, s10, v23
	s_waitcnt lgkmcnt(0)
	ds_write_b64 v24, v[10:11] offset:24992
	ds_read_b64 v[10:11], v23 offset:27016
	s_waitcnt lgkmcnt(0)
	ds_write_b64 v24, v[10:11] offset:25504
	ds_read_b64 v[10:11], v23 offset:27024
	;; [unrolled: 3-line block ×3, first 2 shown]
	s_waitcnt lgkmcnt(0)
	ds_write_b64 v24, v[10:11] offset:26528
.LBB123_205:
	s_or_b64 exec, exec, s[0:1]
	s_waitcnt lgkmcnt(0)
	s_barrier
	s_and_saveexec_b64 s[0:1], vcc
	s_cbranch_execz .LBB123_207
; %bb.206:
	v_mov_b32_e32 v23, 0
	ds_read_b64 v[25:26], v23 offset:26512
	v_mov_b32_e32 v24, 0x3ff00000
	ds_write_b64 v23, v[23:24] offset:26520
	s_waitcnt lgkmcnt(1)
	ds_write_b128 v23, v[23:26] offset:26000
.LBB123_207:
	s_or_b64 exec, exec, s[0:1]
	v_mov_b32_e32 v10, 0
	v_mov_b32_e32 v11, 0
	s_waitcnt lgkmcnt(0)
	s_barrier
	buffer_wbinvl1_vol
	s_and_saveexec_b64 s[0:1], s[2:3]
	s_cbranch_execz .LBB123_211
; %bb.208:
	v_lshlrev_b32_e32 v23, 9, v13
	v_lshlrev_b32_e32 v10, 3, v12
	ds_read_b64 v[10:11], v10 offset:25984
	ds_read_b64 v[23:24], v23 offset:26000
	v_cmp_gt_u32_e64 s[10:11], 2, v15
	s_waitcnt lgkmcnt(0)
	v_fma_f64 v[10:11], v[10:11], v[23:24], 0
	s_and_saveexec_b64 s[14:15], s[10:11]
	s_cbranch_execz .LBB123_210
; %bb.209:
	v_lshlrev_b32_e32 v23, 3, v0
	v_mov_b32_e32 v25, 0
	ds_read_b64 v[23:24], v23 offset:26496
	ds_read_b64 v[25:26], v25 offset:26520
	s_waitcnt lgkmcnt(0)
	v_fma_f64 v[10:11], v[23:24], v[25:26], v[10:11]
.LBB123_210:
	s_or_b64 exec, exec, s[14:15]
.LBB123_211:
	s_or_b64 exec, exec, s[0:1]
	s_and_saveexec_b64 s[0:1], s[40:41]
; %bb.212:
	v_xor_b32_e32 v24, 0x80000000, v11
	v_mov_b32_e32 v23, v10
	ds_write_b64 v14, v[23:24]
; %bb.213:
	s_or_b64 exec, exec, s[0:1]
	s_waitcnt lgkmcnt(0)
	s_barrier
	s_and_saveexec_b64 s[0:1], s[38:39]
	s_cbranch_execz .LBB123_215
; %bb.214:
	v_mov_b32_e32 v23, 0
	ds_read_b64 v[23:24], v23 offset:25472
	ds_read_b64 v[25:26], v14
	s_waitcnt lgkmcnt(0)
	v_fma_f64 v[10:11], -v[23:24], v[25:26], v[10:11]
.LBB123_215:
	s_or_b64 exec, exec, s[0:1]
	s_barrier
	s_and_saveexec_b64 s[0:1], s[38:39]
; %bb.216:
	v_xor_b32_e32 v24, 0x80000000, v11
	v_mov_b32_e32 v23, v10
	ds_write_b64 v14, v[23:24]
; %bb.217:
	s_or_b64 exec, exec, s[0:1]
	s_waitcnt lgkmcnt(0)
	s_barrier
	s_barrier
	s_and_saveexec_b64 s[0:1], s[2:3]
; %bb.218:
	v_lshlrev_b32_e32 v23, 3, v12
	v_lshl_or_b32 v23, v13, 9, v23
	ds_write_b64 v23, v[10:11] offset:25984
; %bb.219:
	s_or_b64 exec, exec, s[0:1]
	s_waitcnt lgkmcnt(0)
	s_barrier
	s_barrier
	s_and_saveexec_b64 s[0:1], s[42:43]
	s_cbranch_execz .LBB123_221
; %bb.220:
	v_lshlrev_b32_e32 v23, 3, v0
	s_movk_i32 s10, 0x1f8
	v_mad_u32_u24 v24, v0, s10, v23
	ds_read_b64 v[10:11], v24 offset:25984
	s_waitcnt lgkmcnt(0)
	ds_write_b64 v23, v[10:11] offset:24976
	ds_read_b64 v[10:11], v24 offset:25992
	s_waitcnt lgkmcnt(0)
	ds_write_b64 v23, v[10:11] offset:25488
.LBB123_221:
	s_or_b64 exec, exec, s[0:1]
	s_waitcnt lgkmcnt(0)
	s_barrier
	s_and_saveexec_b64 s[0:1], vcc
	s_cbranch_execz .LBB123_223
; %bb.222:
	v_mov_b32_e32 v23, 0
	ds_read_b64 v[25:26], v23 offset:25472
	v_mov_b32_e32 v24, 0x3ff00000
	ds_write_b64 v23, v[23:24] offset:25480
	s_waitcnt lgkmcnt(1)
	ds_write_b128 v23, v[23:26] offset:24960
.LBB123_223:
	s_or_b64 exec, exec, s[0:1]
	s_movk_i32 s0, 0xff
	v_lshrrev_b32_e32 v25, 4, v15
	v_cmp_lt_u32_e64 s[14:15], s0, v15
	s_movk_i32 s0, 0x100
	v_mov_b32_e32 v10, 0
	v_and_b32_e32 v23, 15, v0
	v_sub_u32_e32 v24, 15, v25
	v_mov_b32_e32 v11, 0
	v_cmp_gt_u32_e64 s[10:11], s0, v15
	s_waitcnt lgkmcnt(0)
	s_barrier
	buffer_wbinvl1_vol
	s_and_saveexec_b64 s[0:1], s[10:11]
	s_cbranch_execz .LBB123_251
; %bb.224:
	v_lshlrev_b32_e32 v27, 3, v23
	v_lshlrev_b32_e32 v26, 9, v24
	ds_read_b64 v[10:11], v27 offset:24832
	ds_read_b64 v[28:29], v26 offset:24960
	s_movk_i32 s16, 0xf0
	v_cmp_gt_u32_e64 s[16:17], s16, v15
	s_waitcnt lgkmcnt(0)
	v_fma_f64 v[10:11], v[10:11], v[28:29], 0
	s_and_saveexec_b64 s[20:21], s[16:17]
	s_cbranch_execz .LBB123_226
; %bb.225:
	ds_read_b64 v[28:29], v27 offset:25344
	ds_read_b64 v[30:31], v26 offset:24968
	s_waitcnt lgkmcnt(0)
	v_fma_f64 v[10:11], v[28:29], v[30:31], v[10:11]
.LBB123_226:
	s_or_b64 exec, exec, s[20:21]
	s_movk_i32 s16, 0xe0
	v_cmp_gt_u32_e64 s[16:17], s16, v15
	s_and_saveexec_b64 s[20:21], s[16:17]
	s_cbranch_execz .LBB123_228
; %bb.227:
	ds_read_b64 v[28:29], v27 offset:25856
	ds_read_b64 v[30:31], v26 offset:24976
	s_waitcnt lgkmcnt(0)
	v_fma_f64 v[10:11], v[28:29], v[30:31], v[10:11]
.LBB123_228:
	s_or_b64 exec, exec, s[20:21]
	s_movk_i32 s16, 0xd0
	v_cmp_gt_u32_e64 s[16:17], s16, v15
	;; [unrolled: 11-line block ×10, first 2 shown]
	s_and_saveexec_b64 s[20:21], s[16:17]
	s_cbranch_execnz .LBB123_1182
; %bb.245:
	s_or_b64 exec, exec, s[20:21]
	s_and_saveexec_b64 s[16:17], s[8:9]
	s_cbranch_execnz .LBB123_1183
.LBB123_246:
	s_or_b64 exec, exec, s[16:17]
	v_cmp_gt_u32_e64 s[16:17], 48, v15
	s_and_saveexec_b64 s[20:21], s[16:17]
	s_cbranch_execnz .LBB123_1184
.LBB123_247:
	s_or_b64 exec, exec, s[20:21]
	v_cmp_gt_u32_e64 s[16:17], 32, v15
	s_and_saveexec_b64 s[20:21], s[16:17]
	s_cbranch_execnz .LBB123_1185
.LBB123_248:
	s_or_b64 exec, exec, s[20:21]
	v_cmp_gt_u32_e64 s[16:17], 16, v15
	s_and_saveexec_b64 s[20:21], s[16:17]
	s_cbranch_execz .LBB123_250
.LBB123_249:
	v_lshlrev_b32_e32 v26, 3, v0
	v_mov_b32_e32 v28, 0
	ds_read_b64 v[26:27], v26 offset:32512
	ds_read_b64 v[28:29], v28 offset:32760
	s_waitcnt lgkmcnt(0)
	v_fma_f64 v[10:11], v[26:27], v[28:29], v[10:11]
.LBB123_250:
	s_or_b64 exec, exec, s[20:21]
.LBB123_251:
	s_or_b64 exec, exec, s[0:1]
	v_mov_b32_e32 v26, 0x8000
	v_lshl_add_u32 v25, v25, 3, v26
	v_cmp_eq_u32_e64 s[16:17], 15, v23
	s_xor_b64 s[20:21], s[14:15], -1
	s_and_b64 s[14:15], s[16:17], s[20:21]
	s_mov_b64 s[0:1], exec
	v_writelane_b32 v35, s14, 4
	v_writelane_b32 v35, s15, 5
	s_and_b64 s[14:15], s[0:1], s[14:15]
	s_mov_b64 exec, s[14:15]
; %bb.252:
	v_xor_b32_e32 v27, 0x80000000, v11
	v_mov_b32_e32 v26, v10
	ds_write_b64 v25, v[26:27]
; %bb.253:
	s_or_b64 exec, exec, s[0:1]
	v_cmp_ne_u32_e64 s[14:15], 15, v23
	s_waitcnt lgkmcnt(0)
	s_barrier
	s_and_b64 s[14:15], s[14:15], s[20:21]
	s_mov_b64 s[0:1], exec
	v_writelane_b32 v35, s14, 6
	v_writelane_b32 v35, s15, 7
	s_and_b64 s[14:15], s[0:1], s[14:15]
	s_mov_b64 exec, s[14:15]
	s_cbranch_execz .LBB123_255
; %bb.254:
	v_lshlrev_b32_e32 v26, 3, v23
	ds_read_b64 v[26:27], v26 offset:24320
	ds_read_b64 v[28:29], v25
	s_waitcnt lgkmcnt(0)
	v_fma_f64 v[10:11], -v[26:27], v[28:29], v[10:11]
.LBB123_255:
	s_or_b64 exec, exec, s[0:1]
	v_cmp_eq_u32_e64 s[14:15], 14, v23
	s_barrier
	s_and_b64 s[14:15], s[14:15], s[20:21]
	s_mov_b64 s[0:1], exec
	v_writelane_b32 v35, s14, 8
	v_writelane_b32 v35, s15, 9
	s_and_b64 s[14:15], s[0:1], s[14:15]
	s_mov_b64 exec, s[14:15]
; %bb.256:
	v_xor_b32_e32 v27, 0x80000000, v11
	v_mov_b32_e32 v26, v10
	ds_write_b64 v25, v[26:27]
; %bb.257:
	s_or_b64 exec, exec, s[0:1]
	v_cmp_gt_u32_e64 s[14:15], 14, v23
	s_waitcnt lgkmcnt(0)
	s_barrier
	s_and_b64 s[14:15], s[14:15], s[20:21]
	s_mov_b64 s[0:1], exec
	v_writelane_b32 v35, s14, 10
	v_writelane_b32 v35, s15, 11
	s_and_b64 s[14:15], s[0:1], s[14:15]
	s_mov_b64 exec, s[14:15]
	s_cbranch_execz .LBB123_259
; %bb.258:
	v_lshlrev_b32_e32 v26, 3, v23
	ds_read_b64 v[26:27], v26 offset:23808
	ds_read_b64 v[28:29], v25
	s_waitcnt lgkmcnt(0)
	v_fma_f64 v[10:11], -v[26:27], v[28:29], v[10:11]
.LBB123_259:
	s_or_b64 exec, exec, s[0:1]
	v_cmp_eq_u32_e64 s[14:15], 13, v23
	s_barrier
	s_and_b64 s[14:15], s[14:15], s[20:21]
	s_mov_b64 s[0:1], exec
	v_writelane_b32 v35, s14, 12
	v_writelane_b32 v35, s15, 13
	s_and_b64 s[14:15], s[0:1], s[14:15]
	s_mov_b64 exec, s[14:15]
; %bb.260:
	v_xor_b32_e32 v27, 0x80000000, v11
	v_mov_b32_e32 v26, v10
	ds_write_b64 v25, v[26:27]
; %bb.261:
	s_or_b64 exec, exec, s[0:1]
	v_cmp_gt_u32_e64 s[14:15], 13, v23
	;; [unrolled: 32-line block ×13, first 2 shown]
	s_and_b64 s[0:1], s[14:15], s[20:21]
	s_waitcnt lgkmcnt(0)
	s_barrier
	s_and_saveexec_b64 s[14:15], s[0:1]
	s_cbranch_execz .LBB123_307
; %bb.306:
	v_lshlrev_b32_e32 v26, 3, v23
	ds_read_b64 v[26:27], v26 offset:17664
	ds_read_b64 v[28:29], v25
	s_waitcnt lgkmcnt(0)
	v_fma_f64 v[10:11], -v[26:27], v[28:29], v[10:11]
.LBB123_307:
	s_or_b64 exec, exec, s[14:15]
	v_cmp_eq_u32_e64 s[14:15], 1, v23
	s_barrier
	s_and_b64 s[16:17], s[14:15], s[20:21]
	s_mov_b64 s[14:15], exec
	v_writelane_b32 v35, s16, 58
	v_writelane_b32 v35, s17, 59
	s_and_b64 s[16:17], s[14:15], s[16:17]
	s_mov_b64 exec, s[16:17]
; %bb.308:
	v_xor_b32_e32 v27, 0x80000000, v11
	v_mov_b32_e32 v26, v10
	ds_write_b64 v25, v[26:27]
; %bb.309:
	s_or_b64 exec, exec, s[14:15]
	v_cmp_eq_u32_e64 s[14:15], 0, v23
	s_and_b64 s[94:95], s[14:15], s[20:21]
	s_waitcnt lgkmcnt(0)
	s_barrier
	s_and_saveexec_b64 s[14:15], s[94:95]
	s_cbranch_execz .LBB123_311
; %bb.310:
	v_mov_b32_e32 v26, 0
	ds_read_b64 v[26:27], v26 offset:17152
	ds_read_b64 v[28:29], v25
	s_waitcnt lgkmcnt(0)
	v_fma_f64 v[10:11], -v[26:27], v[28:29], v[10:11]
.LBB123_311:
	s_or_b64 exec, exec, s[14:15]
	s_barrier
	s_and_saveexec_b64 s[14:15], s[94:95]
; %bb.312:
	v_xor_b32_e32 v27, 0x80000000, v11
	v_mov_b32_e32 v26, v10
	ds_write_b64 v25, v[26:27]
; %bb.313:
	s_or_b64 exec, exec, s[14:15]
	s_waitcnt lgkmcnt(0)
	s_barrier
	s_barrier
	s_and_saveexec_b64 s[14:15], s[10:11]
; %bb.314:
	v_lshlrev_b32_e32 v26, 3, v23
	v_lshl_or_b32 v26, v24, 9, v26
	ds_write_b64 v26, v[10:11] offset:24832
; %bb.315:
	s_or_b64 exec, exec, s[14:15]
	v_cmp_gt_u32_e64 s[14:15], 16, v0
	s_and_b64 s[90:91], s[12:13], s[14:15]
	s_waitcnt lgkmcnt(0)
	s_barrier
	s_barrier
	s_and_saveexec_b64 s[14:15], s[90:91]
	s_cbranch_execz .LBB123_317
; %bb.316:
	v_lshlrev_b32_e32 v26, 9, v0
	ds_read_b64 v[10:11], v26 offset:24832
	s_movk_i32 s16, 0xfe08
	v_mad_i32_i24 v27, v0, s16, v26
	s_waitcnt lgkmcnt(0)
	ds_write_b64 v27, v[10:11] offset:16768
	ds_read_b64 v[10:11], v26 offset:24840
	s_waitcnt lgkmcnt(0)
	ds_write_b64 v27, v[10:11] offset:17280
	ds_read_b64 v[10:11], v26 offset:24848
	s_waitcnt lgkmcnt(0)
	ds_write_b64 v27, v[10:11] offset:17792
	ds_read_b64 v[10:11], v26 offset:24856
	s_waitcnt lgkmcnt(0)
	ds_write_b64 v27, v[10:11] offset:18304
	ds_read_b64 v[10:11], v26 offset:24864
	s_waitcnt lgkmcnt(0)
	ds_write_b64 v27, v[10:11] offset:18816
	ds_read_b64 v[10:11], v26 offset:24872
	s_waitcnt lgkmcnt(0)
	ds_write_b64 v27, v[10:11] offset:19328
	ds_read_b64 v[10:11], v26 offset:24880
	s_waitcnt lgkmcnt(0)
	ds_write_b64 v27, v[10:11] offset:19840
	ds_read_b64 v[10:11], v26 offset:24888
	s_waitcnt lgkmcnt(0)
	ds_write_b64 v27, v[10:11] offset:20352
	ds_read_b64 v[10:11], v26 offset:24896
	s_waitcnt lgkmcnt(0)
	ds_write_b64 v27, v[10:11] offset:20864
	ds_read_b64 v[10:11], v26 offset:24904
	s_waitcnt lgkmcnt(0)
	ds_write_b64 v27, v[10:11] offset:21376
	ds_read_b64 v[10:11], v26 offset:24912
	s_waitcnt lgkmcnt(0)
	ds_write_b64 v27, v[10:11] offset:21888
	ds_read_b64 v[10:11], v26 offset:24920
	s_waitcnt lgkmcnt(0)
	ds_write_b64 v27, v[10:11] offset:22400
	ds_read_b64 v[10:11], v26 offset:24928
	s_waitcnt lgkmcnt(0)
	ds_write_b64 v27, v[10:11] offset:22912
	ds_read_b64 v[10:11], v26 offset:24936
	s_waitcnt lgkmcnt(0)
	ds_write_b64 v27, v[10:11] offset:23424
	ds_read_b64 v[10:11], v26 offset:24944
	s_waitcnt lgkmcnt(0)
	ds_write_b64 v27, v[10:11] offset:23936
	ds_read_b64 v[10:11], v26 offset:24952
	s_waitcnt lgkmcnt(0)
	ds_write_b64 v27, v[10:11] offset:24448
.LBB123_317:
	s_or_b64 exec, exec, s[14:15]
	s_waitcnt lgkmcnt(0)
	s_barrier
	s_and_saveexec_b64 s[14:15], vcc
	s_cbranch_execz .LBB123_319
; %bb.318:
	v_mov_b32_e32 v26, 0
	ds_read_b64 v[28:29], v26 offset:24432
	v_mov_b32_e32 v27, 0x3ff00000
	ds_write_b64 v26, v[26:27] offset:24440
	s_waitcnt lgkmcnt(1)
	ds_write_b128 v26, v[26:29] offset:23920
.LBB123_319:
	s_or_b64 exec, exec, s[14:15]
	v_mov_b32_e32 v10, 0
	v_mov_b32_e32 v11, 0
	s_waitcnt lgkmcnt(0)
	s_barrier
	buffer_wbinvl1_vol
	s_and_saveexec_b64 s[16:17], s[2:3]
	s_cbranch_execz .LBB123_323
; %bb.320:
	v_lshlrev_b32_e32 v26, 9, v13
	v_lshlrev_b32_e32 v10, 3, v12
	ds_read_b64 v[10:11], v10 offset:23904
	ds_read_b64 v[26:27], v26 offset:23920
	v_cmp_gt_u32_e64 s[14:15], 2, v15
	s_waitcnt lgkmcnt(0)
	v_fma_f64 v[10:11], v[10:11], v[26:27], 0
	s_and_saveexec_b64 s[20:21], s[14:15]
	s_cbranch_execz .LBB123_322
; %bb.321:
	v_lshlrev_b32_e32 v26, 3, v0
	v_mov_b32_e32 v28, 0
	ds_read_b64 v[26:27], v26 offset:24416
	ds_read_b64 v[28:29], v28 offset:24440
	s_waitcnt lgkmcnt(0)
	v_fma_f64 v[10:11], v[26:27], v[28:29], v[10:11]
.LBB123_322:
	s_or_b64 exec, exec, s[20:21]
.LBB123_323:
	s_or_b64 exec, exec, s[16:17]
	s_and_saveexec_b64 s[14:15], s[40:41]
; %bb.324:
	v_xor_b32_e32 v27, 0x80000000, v11
	v_mov_b32_e32 v26, v10
	ds_write_b64 v14, v[26:27]
; %bb.325:
	s_or_b64 exec, exec, s[14:15]
	s_waitcnt lgkmcnt(0)
	s_barrier
	s_and_saveexec_b64 s[14:15], s[38:39]
	s_cbranch_execz .LBB123_327
; %bb.326:
	v_mov_b32_e32 v26, 0
	ds_read_b64 v[26:27], v26 offset:23392
	ds_read_b64 v[28:29], v14
	s_waitcnt lgkmcnt(0)
	v_fma_f64 v[10:11], -v[26:27], v[28:29], v[10:11]
.LBB123_327:
	s_or_b64 exec, exec, s[14:15]
	s_barrier
	s_and_saveexec_b64 s[14:15], s[38:39]
; %bb.328:
	v_xor_b32_e32 v27, 0x80000000, v11
	v_mov_b32_e32 v26, v10
	ds_write_b64 v14, v[26:27]
; %bb.329:
	s_or_b64 exec, exec, s[14:15]
	s_waitcnt lgkmcnt(0)
	s_barrier
	s_barrier
	s_and_saveexec_b64 s[14:15], s[2:3]
; %bb.330:
	v_lshlrev_b32_e32 v26, 3, v12
	v_lshl_or_b32 v26, v13, 9, v26
	ds_write_b64 v26, v[10:11] offset:23904
; %bb.331:
	s_or_b64 exec, exec, s[14:15]
	s_waitcnt lgkmcnt(0)
	s_barrier
	s_barrier
	s_and_saveexec_b64 s[14:15], s[42:43]
	s_cbranch_execz .LBB123_333
; %bb.332:
	v_lshlrev_b32_e32 v26, 3, v0
	s_movk_i32 s16, 0x1f8
	v_mad_u32_u24 v27, v0, s16, v26
	ds_read_b64 v[10:11], v27 offset:23904
	s_waitcnt lgkmcnt(0)
	ds_write_b64 v26, v[10:11] offset:22896
	ds_read_b64 v[10:11], v27 offset:23912
	s_waitcnt lgkmcnt(0)
	ds_write_b64 v26, v[10:11] offset:23408
.LBB123_333:
	s_or_b64 exec, exec, s[14:15]
	s_waitcnt lgkmcnt(0)
	s_barrier
	s_and_saveexec_b64 s[14:15], vcc
	s_cbranch_execz .LBB123_335
; %bb.334:
	v_mov_b32_e32 v26, 0
	ds_read_b64 v[28:29], v26 offset:23392
	v_mov_b32_e32 v27, 0x3ff00000
	ds_write_b64 v26, v[26:27] offset:23400
	s_waitcnt lgkmcnt(1)
	ds_write_b128 v26, v[26:29] offset:22880
.LBB123_335:
	s_or_b64 exec, exec, s[14:15]
	v_mov_b32_e32 v10, 0
	v_mov_b32_e32 v11, 0
	s_waitcnt lgkmcnt(0)
	s_barrier
	buffer_wbinvl1_vol
	s_and_saveexec_b64 s[16:17], s[18:19]
	s_cbranch_execz .LBB123_341
; %bb.336:
	v_lshlrev_b32_e32 v27, 3, v16
	v_lshlrev_b32_e32 v26, 9, v17
	ds_read_b64 v[10:11], v27 offset:22848
	ds_read_b64 v[28:29], v26 offset:22880
	v_cmp_gt_u32_e64 s[14:15], 12, v15
	s_waitcnt lgkmcnt(0)
	v_fma_f64 v[10:11], v[10:11], v[28:29], 0
	s_and_saveexec_b64 s[20:21], s[14:15]
	s_cbranch_execnz .LBB123_1186
; %bb.337:
	s_or_b64 exec, exec, s[20:21]
	v_cmp_gt_u32_e64 s[14:15], 8, v15
	s_and_saveexec_b64 s[20:21], s[14:15]
	s_cbranch_execnz .LBB123_1187
.LBB123_338:
	s_or_b64 exec, exec, s[20:21]
	v_cmp_gt_u32_e64 s[14:15], 4, v15
	s_and_saveexec_b64 s[20:21], s[14:15]
	s_cbranch_execz .LBB123_340
.LBB123_339:
	v_lshlrev_b32_e32 v26, 3, v0
	v_mov_b32_e32 v28, 0
	ds_read_b64 v[26:27], v26 offset:24384
	ds_read_b64 v[28:29], v28 offset:24440
	s_waitcnt lgkmcnt(0)
	v_fma_f64 v[10:11], v[26:27], v[28:29], v[10:11]
.LBB123_340:
	s_or_b64 exec, exec, s[20:21]
.LBB123_341:
	s_or_b64 exec, exec, s[16:17]
	s_and_saveexec_b64 s[14:15], s[46:47]
; %bb.342:
	v_xor_b32_e32 v27, 0x80000000, v11
	v_mov_b32_e32 v26, v10
	ds_write_b64 v19, v[26:27]
; %bb.343:
	s_or_b64 exec, exec, s[14:15]
	s_waitcnt lgkmcnt(0)
	s_barrier
	s_and_saveexec_b64 s[14:15], s[48:49]
	s_cbranch_execz .LBB123_345
; %bb.344:
	v_lshlrev_b32_e32 v26, 3, v16
	ds_read_b64 v[26:27], v26 offset:22336
	ds_read_b64 v[28:29], v19
	s_waitcnt lgkmcnt(0)
	v_fma_f64 v[10:11], -v[26:27], v[28:29], v[10:11]
.LBB123_345:
	s_or_b64 exec, exec, s[14:15]
	s_barrier
	s_and_saveexec_b64 s[14:15], s[50:51]
; %bb.346:
	v_xor_b32_e32 v27, 0x80000000, v11
	v_mov_b32_e32 v26, v10
	ds_write_b64 v19, v[26:27]
; %bb.347:
	s_or_b64 exec, exec, s[14:15]
	s_waitcnt lgkmcnt(0)
	s_barrier
	s_and_saveexec_b64 s[14:15], s[52:53]
	s_cbranch_execz .LBB123_349
; %bb.348:
	v_lshlrev_b32_e32 v26, 3, v16
	ds_read_b64 v[26:27], v26 offset:21824
	ds_read_b64 v[28:29], v19
	s_waitcnt lgkmcnt(0)
	v_fma_f64 v[10:11], -v[26:27], v[28:29], v[10:11]
.LBB123_349:
	s_or_b64 exec, exec, s[14:15]
	s_barrier
	s_and_saveexec_b64 s[14:15], s[54:55]
; %bb.350:
	v_xor_b32_e32 v27, 0x80000000, v11
	v_mov_b32_e32 v26, v10
	ds_write_b64 v19, v[26:27]
; %bb.351:
	s_or_b64 exec, exec, s[14:15]
	s_waitcnt lgkmcnt(0)
	s_barrier
	s_and_saveexec_b64 s[14:15], s[44:45]
	s_cbranch_execz .LBB123_353
; %bb.352:
	v_mov_b32_e32 v26, 0
	ds_read_b64 v[26:27], v26 offset:21312
	ds_read_b64 v[28:29], v19
	s_waitcnt lgkmcnt(0)
	v_fma_f64 v[10:11], -v[26:27], v[28:29], v[10:11]
.LBB123_353:
	s_or_b64 exec, exec, s[14:15]
	s_barrier
	s_and_saveexec_b64 s[14:15], s[44:45]
; %bb.354:
	v_xor_b32_e32 v27, 0x80000000, v11
	v_mov_b32_e32 v26, v10
	ds_write_b64 v19, v[26:27]
; %bb.355:
	s_or_b64 exec, exec, s[14:15]
	s_waitcnt lgkmcnt(0)
	s_barrier
	s_barrier
	s_and_saveexec_b64 s[14:15], s[18:19]
; %bb.356:
	v_lshlrev_b32_e32 v26, 3, v16
	v_lshl_or_b32 v26, v17, 9, v26
	ds_write_b64 v26, v[10:11] offset:22848
; %bb.357:
	s_or_b64 exec, exec, s[14:15]
	s_waitcnt lgkmcnt(0)
	s_barrier
	s_barrier
	s_and_saveexec_b64 s[14:15], s[56:57]
	s_cbranch_execz .LBB123_359
; %bb.358:
	v_lshlrev_b32_e32 v26, 9, v0
	ds_read_b64 v[10:11], v26 offset:22848
	s_movk_i32 s16, 0xfe08
	v_mad_i32_i24 v27, v0, s16, v26
	s_waitcnt lgkmcnt(0)
	ds_write_b64 v27, v[10:11] offset:20832
	ds_read_b64 v[10:11], v26 offset:22856
	s_waitcnt lgkmcnt(0)
	ds_write_b64 v27, v[10:11] offset:21344
	ds_read_b64 v[10:11], v26 offset:22864
	;; [unrolled: 3-line block ×3, first 2 shown]
	s_waitcnt lgkmcnt(0)
	ds_write_b64 v27, v[10:11] offset:22368
.LBB123_359:
	s_or_b64 exec, exec, s[14:15]
	s_waitcnt lgkmcnt(0)
	s_barrier
	s_and_saveexec_b64 s[14:15], vcc
	s_cbranch_execz .LBB123_361
; %bb.360:
	v_mov_b32_e32 v26, 0
	ds_read_b64 v[28:29], v26 offset:22352
	v_mov_b32_e32 v27, 0x3ff00000
	ds_write_b64 v26, v[26:27] offset:22360
	s_waitcnt lgkmcnt(1)
	ds_write_b128 v26, v[26:29] offset:21840
.LBB123_361:
	s_or_b64 exec, exec, s[14:15]
	v_mov_b32_e32 v10, 0
	v_mov_b32_e32 v11, 0
	s_waitcnt lgkmcnt(0)
	s_barrier
	buffer_wbinvl1_vol
	s_and_saveexec_b64 s[16:17], s[2:3]
	s_cbranch_execz .LBB123_365
; %bb.362:
	v_lshlrev_b32_e32 v26, 9, v13
	v_lshlrev_b32_e32 v10, 3, v12
	ds_read_b64 v[10:11], v10 offset:21824
	ds_read_b64 v[26:27], v26 offset:21840
	v_cmp_gt_u32_e64 s[14:15], 2, v15
	s_waitcnt lgkmcnt(0)
	v_fma_f64 v[10:11], v[10:11], v[26:27], 0
	s_and_saveexec_b64 s[20:21], s[14:15]
	s_cbranch_execz .LBB123_364
; %bb.363:
	v_lshlrev_b32_e32 v26, 3, v0
	v_mov_b32_e32 v28, 0
	ds_read_b64 v[26:27], v26 offset:22336
	ds_read_b64 v[28:29], v28 offset:22360
	s_waitcnt lgkmcnt(0)
	v_fma_f64 v[10:11], v[26:27], v[28:29], v[10:11]
.LBB123_364:
	s_or_b64 exec, exec, s[20:21]
.LBB123_365:
	s_or_b64 exec, exec, s[16:17]
	s_and_saveexec_b64 s[14:15], s[40:41]
; %bb.366:
	v_xor_b32_e32 v27, 0x80000000, v11
	v_mov_b32_e32 v26, v10
	ds_write_b64 v14, v[26:27]
; %bb.367:
	s_or_b64 exec, exec, s[14:15]
	s_waitcnt lgkmcnt(0)
	s_barrier
	s_and_saveexec_b64 s[14:15], s[38:39]
	s_cbranch_execz .LBB123_369
; %bb.368:
	v_mov_b32_e32 v26, 0
	ds_read_b64 v[26:27], v26 offset:21312
	ds_read_b64 v[28:29], v14
	s_waitcnt lgkmcnt(0)
	v_fma_f64 v[10:11], -v[26:27], v[28:29], v[10:11]
.LBB123_369:
	s_or_b64 exec, exec, s[14:15]
	s_barrier
	s_and_saveexec_b64 s[14:15], s[38:39]
; %bb.370:
	v_xor_b32_e32 v27, 0x80000000, v11
	v_mov_b32_e32 v26, v10
	ds_write_b64 v14, v[26:27]
; %bb.371:
	s_or_b64 exec, exec, s[14:15]
	s_waitcnt lgkmcnt(0)
	s_barrier
	s_barrier
	s_and_saveexec_b64 s[14:15], s[2:3]
; %bb.372:
	v_lshlrev_b32_e32 v26, 3, v12
	v_lshl_or_b32 v26, v13, 9, v26
	ds_write_b64 v26, v[10:11] offset:21824
; %bb.373:
	s_or_b64 exec, exec, s[14:15]
	s_waitcnt lgkmcnt(0)
	s_barrier
	s_barrier
	s_and_saveexec_b64 s[14:15], s[42:43]
	s_cbranch_execz .LBB123_375
; %bb.374:
	v_lshlrev_b32_e32 v26, 3, v0
	s_movk_i32 s16, 0x1f8
	v_mad_u32_u24 v27, v0, s16, v26
	ds_read_b64 v[10:11], v27 offset:21824
	s_waitcnt lgkmcnt(0)
	ds_write_b64 v26, v[10:11] offset:20816
	ds_read_b64 v[10:11], v27 offset:21832
	s_waitcnt lgkmcnt(0)
	ds_write_b64 v26, v[10:11] offset:21328
.LBB123_375:
	s_or_b64 exec, exec, s[14:15]
	s_waitcnt lgkmcnt(0)
	s_barrier
	s_and_saveexec_b64 s[14:15], vcc
	s_cbranch_execz .LBB123_377
; %bb.376:
	v_mov_b32_e32 v26, 0
	ds_read_b64 v[28:29], v26 offset:21312
	v_mov_b32_e32 v27, 0x3ff00000
	ds_write_b64 v26, v[26:27] offset:21320
	s_waitcnt lgkmcnt(1)
	ds_write_b128 v26, v[26:29] offset:20800
.LBB123_377:
	s_or_b64 exec, exec, s[14:15]
	v_mov_b32_e32 v10, 0
	v_mov_b32_e32 v11, 0
	s_waitcnt lgkmcnt(0)
	s_barrier
	buffer_wbinvl1_vol
	s_and_saveexec_b64 s[16:17], s[8:9]
	s_cbranch_execz .LBB123_387
; %bb.378:
	v_lshlrev_b32_e32 v27, 3, v20
	v_lshlrev_b32_e32 v26, 9, v21
	ds_read_b64 v[10:11], v27 offset:20736
	ds_read_b64 v[28:29], v26 offset:20800
	v_cmp_gt_u32_e64 s[14:15], 56, v15
	s_waitcnt lgkmcnt(0)
	v_fma_f64 v[10:11], v[10:11], v[28:29], 0
	s_and_saveexec_b64 s[20:21], s[14:15]
	s_cbranch_execnz .LBB123_1188
; %bb.379:
	s_or_b64 exec, exec, s[20:21]
	v_cmp_gt_u32_e64 s[14:15], 48, v15
	s_and_saveexec_b64 s[20:21], s[14:15]
	s_cbranch_execnz .LBB123_1189
.LBB123_380:
	s_or_b64 exec, exec, s[20:21]
	v_cmp_gt_u32_e64 s[14:15], 40, v15
	s_and_saveexec_b64 s[20:21], s[14:15]
	s_cbranch_execnz .LBB123_1190
.LBB123_381:
	s_or_b64 exec, exec, s[20:21]
	v_cmp_gt_u32_e64 s[14:15], 32, v15
	s_and_saveexec_b64 s[20:21], s[14:15]
	s_cbranch_execnz .LBB123_1191
.LBB123_382:
	s_or_b64 exec, exec, s[20:21]
	v_cmp_gt_u32_e64 s[14:15], 24, v15
	s_and_saveexec_b64 s[20:21], s[14:15]
	s_cbranch_execnz .LBB123_1192
.LBB123_383:
	s_or_b64 exec, exec, s[20:21]
	s_and_saveexec_b64 s[14:15], s[18:19]
	s_cbranch_execnz .LBB123_1193
.LBB123_384:
	s_or_b64 exec, exec, s[14:15]
	v_cmp_gt_u32_e64 s[14:15], 8, v15
	s_and_saveexec_b64 s[20:21], s[14:15]
	s_cbranch_execz .LBB123_386
.LBB123_385:
	v_lshlrev_b32_e32 v26, 3, v0
	v_mov_b32_e32 v28, 0
	ds_read_b64 v[26:27], v26 offset:24320
	ds_read_b64 v[28:29], v28 offset:24440
	s_waitcnt lgkmcnt(0)
	v_fma_f64 v[10:11], v[26:27], v[28:29], v[10:11]
.LBB123_386:
	s_or_b64 exec, exec, s[20:21]
.LBB123_387:
	s_or_b64 exec, exec, s[16:17]
	s_and_saveexec_b64 s[14:15], s[58:59]
; %bb.388:
	v_xor_b32_e32 v27, 0x80000000, v11
	v_mov_b32_e32 v26, v10
	ds_write_b64 v22, v[26:27]
; %bb.389:
	s_or_b64 exec, exec, s[14:15]
	s_waitcnt lgkmcnt(0)
	s_barrier
	s_and_saveexec_b64 s[14:15], s[60:61]
	s_cbranch_execz .LBB123_391
; %bb.390:
	v_lshlrev_b32_e32 v26, 3, v20
	ds_read_b64 v[26:27], v26 offset:20224
	ds_read_b64 v[28:29], v22
	s_waitcnt lgkmcnt(0)
	v_fma_f64 v[10:11], -v[26:27], v[28:29], v[10:11]
.LBB123_391:
	s_or_b64 exec, exec, s[14:15]
	s_barrier
	s_and_saveexec_b64 s[14:15], s[62:63]
; %bb.392:
	v_xor_b32_e32 v27, 0x80000000, v11
	v_mov_b32_e32 v26, v10
	ds_write_b64 v22, v[26:27]
; %bb.393:
	s_or_b64 exec, exec, s[14:15]
	s_waitcnt lgkmcnt(0)
	s_barrier
	s_and_saveexec_b64 s[14:15], s[64:65]
	s_cbranch_execz .LBB123_395
; %bb.394:
	v_lshlrev_b32_e32 v26, 3, v20
	ds_read_b64 v[26:27], v26 offset:19712
	ds_read_b64 v[28:29], v22
	s_waitcnt lgkmcnt(0)
	v_fma_f64 v[10:11], -v[26:27], v[28:29], v[10:11]
.LBB123_395:
	s_or_b64 exec, exec, s[14:15]
	s_barrier
	;; [unrolled: 20-line block ×6, first 2 shown]
	s_and_saveexec_b64 s[14:15], s[84:85]
; %bb.412:
	v_xor_b32_e32 v27, 0x80000000, v11
	v_mov_b32_e32 v26, v10
	ds_write_b64 v22, v[26:27]
; %bb.413:
	s_or_b64 exec, exec, s[14:15]
	s_waitcnt lgkmcnt(0)
	s_barrier
	s_and_saveexec_b64 s[14:15], s[68:69]
	s_cbranch_execz .LBB123_415
; %bb.414:
	v_mov_b32_e32 v26, 0
	ds_read_b64 v[26:27], v26 offset:17152
	ds_read_b64 v[28:29], v22
	s_waitcnt lgkmcnt(0)
	v_fma_f64 v[10:11], -v[26:27], v[28:29], v[10:11]
.LBB123_415:
	s_or_b64 exec, exec, s[14:15]
	s_barrier
	s_and_saveexec_b64 s[14:15], s[68:69]
; %bb.416:
	v_xor_b32_e32 v27, 0x80000000, v11
	v_mov_b32_e32 v26, v10
	ds_write_b64 v22, v[26:27]
; %bb.417:
	s_or_b64 exec, exec, s[14:15]
	s_waitcnt lgkmcnt(0)
	s_barrier
	s_barrier
	s_and_saveexec_b64 s[14:15], s[8:9]
; %bb.418:
	v_lshlrev_b32_e32 v26, 3, v20
	v_lshl_or_b32 v26, v21, 9, v26
	ds_write_b64 v26, v[10:11] offset:20736
; %bb.419:
	s_or_b64 exec, exec, s[14:15]
	s_waitcnt lgkmcnt(0)
	s_barrier
	s_barrier
	s_and_saveexec_b64 s[14:15], s[86:87]
	s_cbranch_execz .LBB123_421
; %bb.420:
	v_lshlrev_b32_e32 v26, 9, v0
	ds_read_b64 v[10:11], v26 offset:20736
	s_movk_i32 s16, 0xfe08
	v_mad_i32_i24 v27, v0, s16, v26
	s_waitcnt lgkmcnt(0)
	ds_write_b64 v27, v[10:11] offset:16704
	ds_read_b64 v[10:11], v26 offset:20744
	s_waitcnt lgkmcnt(0)
	ds_write_b64 v27, v[10:11] offset:17216
	ds_read_b64 v[10:11], v26 offset:20752
	;; [unrolled: 3-line block ×7, first 2 shown]
	s_waitcnt lgkmcnt(0)
	ds_write_b64 v27, v[10:11] offset:20288
.LBB123_421:
	s_or_b64 exec, exec, s[14:15]
	s_waitcnt lgkmcnt(0)
	s_barrier
	s_and_saveexec_b64 s[14:15], vcc
	s_cbranch_execz .LBB123_423
; %bb.422:
	v_mov_b32_e32 v26, 0
	ds_read_b64 v[28:29], v26 offset:20272
	v_mov_b32_e32 v27, 0x3ff00000
	ds_write_b64 v26, v[26:27] offset:20280
	s_waitcnt lgkmcnt(1)
	ds_write_b128 v26, v[26:29] offset:19760
.LBB123_423:
	s_or_b64 exec, exec, s[14:15]
	v_mov_b32_e32 v10, 0
	v_mov_b32_e32 v11, 0
	s_waitcnt lgkmcnt(0)
	s_barrier
	buffer_wbinvl1_vol
	s_and_saveexec_b64 s[16:17], s[2:3]
	s_cbranch_execz .LBB123_427
; %bb.424:
	v_lshlrev_b32_e32 v26, 9, v13
	v_lshlrev_b32_e32 v10, 3, v12
	ds_read_b64 v[10:11], v10 offset:19744
	ds_read_b64 v[26:27], v26 offset:19760
	v_cmp_gt_u32_e64 s[14:15], 2, v15
	s_waitcnt lgkmcnt(0)
	v_fma_f64 v[10:11], v[10:11], v[26:27], 0
	s_and_saveexec_b64 s[20:21], s[14:15]
	s_cbranch_execz .LBB123_426
; %bb.425:
	v_lshlrev_b32_e32 v26, 3, v0
	v_mov_b32_e32 v28, 0
	ds_read_b64 v[26:27], v26 offset:20256
	ds_read_b64 v[28:29], v28 offset:20280
	s_waitcnt lgkmcnt(0)
	v_fma_f64 v[10:11], v[26:27], v[28:29], v[10:11]
.LBB123_426:
	s_or_b64 exec, exec, s[20:21]
.LBB123_427:
	s_or_b64 exec, exec, s[16:17]
	s_and_saveexec_b64 s[14:15], s[40:41]
; %bb.428:
	v_xor_b32_e32 v27, 0x80000000, v11
	v_mov_b32_e32 v26, v10
	ds_write_b64 v14, v[26:27]
; %bb.429:
	s_or_b64 exec, exec, s[14:15]
	s_waitcnt lgkmcnt(0)
	s_barrier
	s_and_saveexec_b64 s[14:15], s[38:39]
	s_cbranch_execz .LBB123_431
; %bb.430:
	v_mov_b32_e32 v26, 0
	ds_read_b64 v[26:27], v26 offset:19232
	ds_read_b64 v[28:29], v14
	s_waitcnt lgkmcnt(0)
	v_fma_f64 v[10:11], -v[26:27], v[28:29], v[10:11]
.LBB123_431:
	s_or_b64 exec, exec, s[14:15]
	s_barrier
	s_and_saveexec_b64 s[14:15], s[38:39]
; %bb.432:
	v_xor_b32_e32 v27, 0x80000000, v11
	v_mov_b32_e32 v26, v10
	ds_write_b64 v14, v[26:27]
; %bb.433:
	s_or_b64 exec, exec, s[14:15]
	s_waitcnt lgkmcnt(0)
	s_barrier
	s_barrier
	s_and_saveexec_b64 s[14:15], s[2:3]
; %bb.434:
	v_lshlrev_b32_e32 v26, 3, v12
	v_lshl_or_b32 v26, v13, 9, v26
	ds_write_b64 v26, v[10:11] offset:19744
; %bb.435:
	s_or_b64 exec, exec, s[14:15]
	s_waitcnt lgkmcnt(0)
	s_barrier
	s_barrier
	s_and_saveexec_b64 s[14:15], s[42:43]
	s_cbranch_execz .LBB123_437
; %bb.436:
	v_lshlrev_b32_e32 v26, 3, v0
	s_movk_i32 s16, 0x1f8
	v_mad_u32_u24 v27, v0, s16, v26
	ds_read_b64 v[10:11], v27 offset:19744
	s_waitcnt lgkmcnt(0)
	ds_write_b64 v26, v[10:11] offset:18736
	ds_read_b64 v[10:11], v27 offset:19752
	s_waitcnt lgkmcnt(0)
	ds_write_b64 v26, v[10:11] offset:19248
.LBB123_437:
	s_or_b64 exec, exec, s[14:15]
	s_waitcnt lgkmcnt(0)
	s_barrier
	s_and_saveexec_b64 s[14:15], vcc
	s_cbranch_execz .LBB123_439
; %bb.438:
	v_mov_b32_e32 v26, 0
	ds_read_b64 v[28:29], v26 offset:19232
	v_mov_b32_e32 v27, 0x3ff00000
	ds_write_b64 v26, v[26:27] offset:19240
	s_waitcnt lgkmcnt(1)
	ds_write_b128 v26, v[26:29] offset:18720
.LBB123_439:
	s_or_b64 exec, exec, s[14:15]
	v_mov_b32_e32 v10, 0
	v_mov_b32_e32 v11, 0
	s_waitcnt lgkmcnt(0)
	s_barrier
	buffer_wbinvl1_vol
	s_and_saveexec_b64 s[16:17], s[18:19]
	s_cbranch_execz .LBB123_445
; %bb.440:
	v_lshlrev_b32_e32 v27, 3, v16
	v_lshlrev_b32_e32 v26, 9, v17
	ds_read_b64 v[10:11], v27 offset:18688
	ds_read_b64 v[28:29], v26 offset:18720
	v_cmp_gt_u32_e64 s[14:15], 12, v15
	s_waitcnt lgkmcnt(0)
	v_fma_f64 v[10:11], v[10:11], v[28:29], 0
	s_and_saveexec_b64 s[20:21], s[14:15]
	s_cbranch_execnz .LBB123_1194
; %bb.441:
	s_or_b64 exec, exec, s[20:21]
	v_cmp_gt_u32_e64 s[14:15], 8, v15
	s_and_saveexec_b64 s[20:21], s[14:15]
	s_cbranch_execnz .LBB123_1195
.LBB123_442:
	s_or_b64 exec, exec, s[20:21]
	v_cmp_gt_u32_e64 s[14:15], 4, v15
	s_and_saveexec_b64 s[20:21], s[14:15]
	s_cbranch_execz .LBB123_444
.LBB123_443:
	v_lshlrev_b32_e32 v26, 3, v0
	v_mov_b32_e32 v28, 0
	ds_read_b64 v[26:27], v26 offset:20224
	ds_read_b64 v[28:29], v28 offset:20280
	s_waitcnt lgkmcnt(0)
	v_fma_f64 v[10:11], v[26:27], v[28:29], v[10:11]
.LBB123_444:
	s_or_b64 exec, exec, s[20:21]
.LBB123_445:
	s_or_b64 exec, exec, s[16:17]
	s_and_saveexec_b64 s[14:15], s[46:47]
; %bb.446:
	v_xor_b32_e32 v27, 0x80000000, v11
	v_mov_b32_e32 v26, v10
	ds_write_b64 v19, v[26:27]
; %bb.447:
	s_or_b64 exec, exec, s[14:15]
	s_waitcnt lgkmcnt(0)
	s_barrier
	s_and_saveexec_b64 s[14:15], s[48:49]
	s_cbranch_execz .LBB123_449
; %bb.448:
	v_lshlrev_b32_e32 v26, 3, v16
	ds_read_b64 v[26:27], v26 offset:18176
	ds_read_b64 v[28:29], v19
	s_waitcnt lgkmcnt(0)
	v_fma_f64 v[10:11], -v[26:27], v[28:29], v[10:11]
.LBB123_449:
	s_or_b64 exec, exec, s[14:15]
	s_barrier
	s_and_saveexec_b64 s[14:15], s[50:51]
; %bb.450:
	v_xor_b32_e32 v27, 0x80000000, v11
	v_mov_b32_e32 v26, v10
	ds_write_b64 v19, v[26:27]
; %bb.451:
	s_or_b64 exec, exec, s[14:15]
	s_waitcnt lgkmcnt(0)
	s_barrier
	s_and_saveexec_b64 s[14:15], s[52:53]
	s_cbranch_execz .LBB123_453
; %bb.452:
	v_lshlrev_b32_e32 v26, 3, v16
	ds_read_b64 v[26:27], v26 offset:17664
	ds_read_b64 v[28:29], v19
	s_waitcnt lgkmcnt(0)
	v_fma_f64 v[10:11], -v[26:27], v[28:29], v[10:11]
.LBB123_453:
	s_or_b64 exec, exec, s[14:15]
	s_barrier
	s_and_saveexec_b64 s[14:15], s[54:55]
; %bb.454:
	v_xor_b32_e32 v27, 0x80000000, v11
	v_mov_b32_e32 v26, v10
	ds_write_b64 v19, v[26:27]
; %bb.455:
	s_or_b64 exec, exec, s[14:15]
	s_waitcnt lgkmcnt(0)
	s_barrier
	s_and_saveexec_b64 s[14:15], s[44:45]
	s_cbranch_execz .LBB123_457
; %bb.456:
	v_mov_b32_e32 v26, 0
	ds_read_b64 v[26:27], v26 offset:17152
	ds_read_b64 v[28:29], v19
	s_waitcnt lgkmcnt(0)
	v_fma_f64 v[10:11], -v[26:27], v[28:29], v[10:11]
.LBB123_457:
	s_or_b64 exec, exec, s[14:15]
	s_barrier
	s_and_saveexec_b64 s[14:15], s[44:45]
; %bb.458:
	v_xor_b32_e32 v27, 0x80000000, v11
	v_mov_b32_e32 v26, v10
	ds_write_b64 v19, v[26:27]
; %bb.459:
	s_or_b64 exec, exec, s[14:15]
	s_waitcnt lgkmcnt(0)
	s_barrier
	s_barrier
	s_and_saveexec_b64 s[14:15], s[18:19]
; %bb.460:
	v_lshlrev_b32_e32 v26, 3, v16
	v_lshl_or_b32 v26, v17, 9, v26
	ds_write_b64 v26, v[10:11] offset:18688
; %bb.461:
	s_or_b64 exec, exec, s[14:15]
	s_waitcnt lgkmcnt(0)
	s_barrier
	s_barrier
	s_and_saveexec_b64 s[14:15], s[56:57]
	s_cbranch_execz .LBB123_463
; %bb.462:
	v_lshlrev_b32_e32 v26, 9, v0
	ds_read_b64 v[10:11], v26 offset:18688
	s_movk_i32 s16, 0xfe08
	v_mad_i32_i24 v27, v0, s16, v26
	s_waitcnt lgkmcnt(0)
	ds_write_b64 v27, v[10:11] offset:16672
	ds_read_b64 v[10:11], v26 offset:18696
	s_waitcnt lgkmcnt(0)
	ds_write_b64 v27, v[10:11] offset:17184
	ds_read_b64 v[10:11], v26 offset:18704
	;; [unrolled: 3-line block ×3, first 2 shown]
	s_waitcnt lgkmcnt(0)
	ds_write_b64 v27, v[10:11] offset:18208
.LBB123_463:
	s_or_b64 exec, exec, s[14:15]
	s_waitcnt lgkmcnt(0)
	s_barrier
	s_and_saveexec_b64 s[14:15], vcc
	s_cbranch_execz .LBB123_465
; %bb.464:
	v_mov_b32_e32 v26, 0
	ds_read_b64 v[28:29], v26 offset:18192
	v_mov_b32_e32 v27, 0x3ff00000
	ds_write_b64 v26, v[26:27] offset:18200
	s_waitcnt lgkmcnt(1)
	ds_write_b128 v26, v[26:29] offset:17680
.LBB123_465:
	s_or_b64 exec, exec, s[14:15]
	v_mov_b32_e32 v10, 0
	v_mov_b32_e32 v11, 0
	s_waitcnt lgkmcnt(0)
	s_barrier
	buffer_wbinvl1_vol
	s_and_saveexec_b64 s[16:17], s[2:3]
	s_cbranch_execz .LBB123_469
; %bb.466:
	v_lshlrev_b32_e32 v26, 9, v13
	v_lshlrev_b32_e32 v10, 3, v12
	ds_read_b64 v[10:11], v10 offset:17664
	ds_read_b64 v[26:27], v26 offset:17680
	v_cmp_gt_u32_e64 s[14:15], 2, v15
	s_waitcnt lgkmcnt(0)
	v_fma_f64 v[10:11], v[10:11], v[26:27], 0
	s_and_saveexec_b64 s[20:21], s[14:15]
	s_cbranch_execz .LBB123_468
; %bb.467:
	v_lshlrev_b32_e32 v26, 3, v0
	v_mov_b32_e32 v28, 0
	ds_read_b64 v[26:27], v26 offset:18176
	ds_read_b64 v[28:29], v28 offset:18200
	s_waitcnt lgkmcnt(0)
	v_fma_f64 v[10:11], v[26:27], v[28:29], v[10:11]
.LBB123_468:
	s_or_b64 exec, exec, s[20:21]
.LBB123_469:
	s_or_b64 exec, exec, s[16:17]
	s_and_saveexec_b64 s[14:15], s[40:41]
; %bb.470:
	v_xor_b32_e32 v27, 0x80000000, v11
	v_mov_b32_e32 v26, v10
	ds_write_b64 v14, v[26:27]
; %bb.471:
	s_or_b64 exec, exec, s[14:15]
	s_waitcnt lgkmcnt(0)
	s_barrier
	s_and_saveexec_b64 s[14:15], s[38:39]
	s_cbranch_execz .LBB123_473
; %bb.472:
	v_mov_b32_e32 v26, 0
	ds_read_b64 v[26:27], v26 offset:17152
	ds_read_b64 v[28:29], v14
	s_waitcnt lgkmcnt(0)
	v_fma_f64 v[10:11], -v[26:27], v[28:29], v[10:11]
.LBB123_473:
	s_or_b64 exec, exec, s[14:15]
	s_barrier
	s_and_saveexec_b64 s[14:15], s[38:39]
; %bb.474:
	v_xor_b32_e32 v27, 0x80000000, v11
	v_mov_b32_e32 v26, v10
	ds_write_b64 v14, v[26:27]
; %bb.475:
	s_or_b64 exec, exec, s[14:15]
	s_waitcnt lgkmcnt(0)
	s_barrier
	s_barrier
	s_and_saveexec_b64 s[14:15], s[2:3]
; %bb.476:
	v_lshlrev_b32_e32 v26, 3, v12
	v_lshl_or_b32 v26, v13, 9, v26
	ds_write_b64 v26, v[10:11] offset:17664
; %bb.477:
	s_or_b64 exec, exec, s[14:15]
	s_waitcnt lgkmcnt(0)
	s_barrier
	s_barrier
	s_and_saveexec_b64 s[14:15], s[42:43]
	s_cbranch_execz .LBB123_479
; %bb.478:
	v_lshlrev_b32_e32 v26, 3, v0
	s_movk_i32 s16, 0x1f8
	v_mad_u32_u24 v27, v0, s16, v26
	ds_read_b64 v[10:11], v27 offset:17664
	s_waitcnt lgkmcnt(0)
	ds_write_b64 v26, v[10:11] offset:16656
	ds_read_b64 v[10:11], v27 offset:17672
	s_waitcnt lgkmcnt(0)
	ds_write_b64 v26, v[10:11] offset:17168
.LBB123_479:
	s_or_b64 exec, exec, s[14:15]
	s_waitcnt lgkmcnt(0)
	s_barrier
	s_and_saveexec_b64 s[14:15], vcc
	s_cbranch_execz .LBB123_481
; %bb.480:
	v_mov_b32_e32 v26, 0
	ds_read_b64 v[28:29], v26 offset:17152
	v_mov_b32_e32 v27, 0x3ff00000
	ds_write_b64 v26, v[26:27] offset:17160
	s_waitcnt lgkmcnt(1)
	ds_write_b128 v26, v[26:29] offset:16640
.LBB123_481:
	s_or_b64 exec, exec, s[14:15]
	s_movk_i32 s14, 0x3ff
	v_and_b32_e32 v28, 31, v0
	v_lshrrev_b32_e32 v29, 5, v15
	v_cmp_lt_u32_e64 s[16:17], s14, v15
	s_movk_i32 s14, 0x400
	v_mov_b32_e32 v10, 0
	v_sub_u32_e32 v26, 31, v29
	v_cmp_gt_u32_e64 s[14:15], s14, v15
	v_mov_b32_e32 v11, 0
	v_lshlrev_b32_e32 v27, 3, v28
	s_waitcnt lgkmcnt(0)
	s_barrier
	buffer_wbinvl1_vol
	s_and_saveexec_b64 s[92:93], s[14:15]
	s_cbranch_execz .LBB123_543
; %bb.482:
	v_lshlrev_b32_e32 v30, 9, v26
	ds_read_b64 v[10:11], v27 offset:16384
	ds_read_b64 v[31:32], v30 offset:16640
	s_movk_i32 s20, 0x3e0
	v_cmp_gt_u32_e64 s[20:21], s20, v15
	s_waitcnt lgkmcnt(0)
	v_fma_f64 v[10:11], v[10:11], v[31:32], 0
	s_and_saveexec_b64 s[34:35], s[20:21]
	s_cbranch_execz .LBB123_484
; %bb.483:
	ds_read_b64 v[31:32], v27 offset:16896
	ds_read_b64 v[33:34], v30 offset:16648
	s_waitcnt lgkmcnt(0)
	v_fma_f64 v[10:11], v[31:32], v[33:34], v[10:11]
.LBB123_484:
	s_or_b64 exec, exec, s[34:35]
	s_movk_i32 s20, 0x3c0
	v_cmp_gt_u32_e64 s[20:21], s20, v15
	s_and_saveexec_b64 s[34:35], s[20:21]
	s_cbranch_execz .LBB123_486
; %bb.485:
	ds_read_b64 v[31:32], v27 offset:17408
	ds_read_b64 v[33:34], v30 offset:16656
	s_waitcnt lgkmcnt(0)
	v_fma_f64 v[10:11], v[31:32], v[33:34], v[10:11]
.LBB123_486:
	s_or_b64 exec, exec, s[34:35]
	s_movk_i32 s20, 0x3a0
	v_cmp_gt_u32_e64 s[20:21], s20, v15
	s_and_saveexec_b64 s[34:35], s[20:21]
	s_cbranch_execz .LBB123_488
; %bb.487:
	ds_read_b64 v[31:32], v27 offset:17920
	ds_read_b64 v[33:34], v30 offset:16664
	s_waitcnt lgkmcnt(0)
	v_fma_f64 v[10:11], v[31:32], v[33:34], v[10:11]
.LBB123_488:
	s_or_b64 exec, exec, s[34:35]
	s_movk_i32 s20, 0x380
	v_cmp_gt_u32_e64 s[20:21], s20, v15
	s_and_saveexec_b64 s[34:35], s[20:21]
	s_cbranch_execz .LBB123_490
; %bb.489:
	ds_read_b64 v[31:32], v27 offset:18432
	ds_read_b64 v[33:34], v30 offset:16672
	s_waitcnt lgkmcnt(0)
	v_fma_f64 v[10:11], v[31:32], v[33:34], v[10:11]
.LBB123_490:
	s_or_b64 exec, exec, s[34:35]
	s_movk_i32 s20, 0x360
	v_cmp_gt_u32_e64 s[20:21], s20, v15
	s_and_saveexec_b64 s[34:35], s[20:21]
	s_cbranch_execz .LBB123_492
; %bb.491:
	ds_read_b64 v[31:32], v27 offset:18944
	ds_read_b64 v[33:34], v30 offset:16680
	s_waitcnt lgkmcnt(0)
	v_fma_f64 v[10:11], v[31:32], v[33:34], v[10:11]
.LBB123_492:
	s_or_b64 exec, exec, s[34:35]
	s_movk_i32 s20, 0x340
	v_cmp_gt_u32_e64 s[20:21], s20, v15
	s_and_saveexec_b64 s[34:35], s[20:21]
	s_cbranch_execz .LBB123_494
; %bb.493:
	ds_read_b64 v[31:32], v27 offset:19456
	ds_read_b64 v[33:34], v30 offset:16688
	s_waitcnt lgkmcnt(0)
	v_fma_f64 v[10:11], v[31:32], v[33:34], v[10:11]
.LBB123_494:
	s_or_b64 exec, exec, s[34:35]
	s_movk_i32 s20, 0x320
	v_cmp_gt_u32_e64 s[20:21], s20, v15
	s_and_saveexec_b64 s[34:35], s[20:21]
	s_cbranch_execz .LBB123_496
; %bb.495:
	ds_read_b64 v[31:32], v27 offset:19968
	ds_read_b64 v[33:34], v30 offset:16696
	s_waitcnt lgkmcnt(0)
	v_fma_f64 v[10:11], v[31:32], v[33:34], v[10:11]
.LBB123_496:
	s_or_b64 exec, exec, s[34:35]
	s_movk_i32 s20, 0x300
	v_cmp_gt_u32_e64 s[20:21], s20, v15
	s_and_saveexec_b64 s[34:35], s[20:21]
	s_cbranch_execz .LBB123_498
; %bb.497:
	ds_read_b64 v[31:32], v27 offset:20480
	ds_read_b64 v[33:34], v30 offset:16704
	s_waitcnt lgkmcnt(0)
	v_fma_f64 v[10:11], v[31:32], v[33:34], v[10:11]
.LBB123_498:
	s_or_b64 exec, exec, s[34:35]
	s_movk_i32 s20, 0x2e0
	v_cmp_gt_u32_e64 s[20:21], s20, v15
	s_and_saveexec_b64 s[34:35], s[20:21]
	s_cbranch_execz .LBB123_500
; %bb.499:
	ds_read_b64 v[31:32], v27 offset:20992
	ds_read_b64 v[33:34], v30 offset:16712
	s_waitcnt lgkmcnt(0)
	v_fma_f64 v[10:11], v[31:32], v[33:34], v[10:11]
.LBB123_500:
	s_or_b64 exec, exec, s[34:35]
	s_movk_i32 s20, 0x2c0
	v_cmp_gt_u32_e64 s[20:21], s20, v15
	s_and_saveexec_b64 s[34:35], s[20:21]
	s_cbranch_execz .LBB123_502
; %bb.501:
	ds_read_b64 v[31:32], v27 offset:21504
	ds_read_b64 v[33:34], v30 offset:16720
	s_waitcnt lgkmcnt(0)
	v_fma_f64 v[10:11], v[31:32], v[33:34], v[10:11]
.LBB123_502:
	s_or_b64 exec, exec, s[34:35]
	s_movk_i32 s20, 0x2a0
	v_cmp_gt_u32_e64 s[20:21], s20, v15
	s_and_saveexec_b64 s[34:35], s[20:21]
	s_cbranch_execz .LBB123_504
; %bb.503:
	ds_read_b64 v[31:32], v27 offset:22016
	ds_read_b64 v[33:34], v30 offset:16728
	s_waitcnt lgkmcnt(0)
	v_fma_f64 v[10:11], v[31:32], v[33:34], v[10:11]
.LBB123_504:
	s_or_b64 exec, exec, s[34:35]
	s_movk_i32 s20, 0x280
	v_cmp_gt_u32_e64 s[20:21], s20, v15
	s_and_saveexec_b64 s[34:35], s[20:21]
	s_cbranch_execz .LBB123_506
; %bb.505:
	ds_read_b64 v[31:32], v27 offset:22528
	ds_read_b64 v[33:34], v30 offset:16736
	s_waitcnt lgkmcnt(0)
	v_fma_f64 v[10:11], v[31:32], v[33:34], v[10:11]
.LBB123_506:
	s_or_b64 exec, exec, s[34:35]
	s_movk_i32 s20, 0x260
	v_cmp_gt_u32_e64 s[20:21], s20, v15
	s_and_saveexec_b64 s[34:35], s[20:21]
	s_cbranch_execz .LBB123_508
; %bb.507:
	ds_read_b64 v[31:32], v27 offset:23040
	ds_read_b64 v[33:34], v30 offset:16744
	s_waitcnt lgkmcnt(0)
	v_fma_f64 v[10:11], v[31:32], v[33:34], v[10:11]
.LBB123_508:
	s_or_b64 exec, exec, s[34:35]
	s_movk_i32 s20, 0x240
	v_cmp_gt_u32_e64 s[20:21], s20, v15
	s_and_saveexec_b64 s[34:35], s[20:21]
	s_cbranch_execz .LBB123_510
; %bb.509:
	ds_read_b64 v[31:32], v27 offset:23552
	ds_read_b64 v[33:34], v30 offset:16752
	s_waitcnt lgkmcnt(0)
	v_fma_f64 v[10:11], v[31:32], v[33:34], v[10:11]
.LBB123_510:
	s_or_b64 exec, exec, s[34:35]
	s_movk_i32 s20, 0x220
	v_cmp_gt_u32_e64 s[20:21], s20, v15
	s_and_saveexec_b64 s[34:35], s[20:21]
	s_cbranch_execz .LBB123_512
; %bb.511:
	ds_read_b64 v[31:32], v27 offset:24064
	ds_read_b64 v[33:34], v30 offset:16760
	s_waitcnt lgkmcnt(0)
	v_fma_f64 v[10:11], v[31:32], v[33:34], v[10:11]
.LBB123_512:
	s_or_b64 exec, exec, s[34:35]
	s_movk_i32 s20, 0x200
	v_cmp_gt_u32_e64 s[20:21], s20, v15
	s_and_saveexec_b64 s[34:35], s[20:21]
	s_cbranch_execz .LBB123_514
; %bb.513:
	ds_read_b64 v[31:32], v27 offset:24576
	ds_read_b64 v[33:34], v30 offset:16768
	s_waitcnt lgkmcnt(0)
	v_fma_f64 v[10:11], v[31:32], v[33:34], v[10:11]
.LBB123_514:
	s_or_b64 exec, exec, s[34:35]
	s_movk_i32 s20, 0x1e0
	v_cmp_gt_u32_e64 s[20:21], s20, v15
	s_and_saveexec_b64 s[34:35], s[20:21]
	s_cbranch_execz .LBB123_516
; %bb.515:
	ds_read_b64 v[31:32], v27 offset:25088
	ds_read_b64 v[33:34], v30 offset:16776
	s_waitcnt lgkmcnt(0)
	v_fma_f64 v[10:11], v[31:32], v[33:34], v[10:11]
.LBB123_516:
	s_or_b64 exec, exec, s[34:35]
	s_movk_i32 s20, 0x1c0
	v_cmp_gt_u32_e64 s[20:21], s20, v15
	s_and_saveexec_b64 s[34:35], s[20:21]
	s_cbranch_execz .LBB123_518
; %bb.517:
	ds_read_b64 v[31:32], v27 offset:25600
	ds_read_b64 v[33:34], v30 offset:16784
	s_waitcnt lgkmcnt(0)
	v_fma_f64 v[10:11], v[31:32], v[33:34], v[10:11]
.LBB123_518:
	s_or_b64 exec, exec, s[34:35]
	s_movk_i32 s20, 0x1a0
	v_cmp_gt_u32_e64 s[20:21], s20, v15
	s_and_saveexec_b64 s[34:35], s[20:21]
	s_cbranch_execz .LBB123_520
; %bb.519:
	ds_read_b64 v[31:32], v27 offset:26112
	ds_read_b64 v[33:34], v30 offset:16792
	s_waitcnt lgkmcnt(0)
	v_fma_f64 v[10:11], v[31:32], v[33:34], v[10:11]
.LBB123_520:
	s_or_b64 exec, exec, s[34:35]
	s_movk_i32 s20, 0x180
	v_cmp_gt_u32_e64 s[20:21], s20, v15
	s_and_saveexec_b64 s[34:35], s[20:21]
	s_cbranch_execz .LBB123_522
; %bb.521:
	ds_read_b64 v[31:32], v27 offset:26624
	ds_read_b64 v[33:34], v30 offset:16800
	s_waitcnt lgkmcnt(0)
	v_fma_f64 v[10:11], v[31:32], v[33:34], v[10:11]
.LBB123_522:
	s_or_b64 exec, exec, s[34:35]
	s_movk_i32 s20, 0x160
	v_cmp_gt_u32_e64 s[20:21], s20, v15
	s_and_saveexec_b64 s[34:35], s[20:21]
	s_cbranch_execz .LBB123_524
; %bb.523:
	ds_read_b64 v[31:32], v27 offset:27136
	ds_read_b64 v[33:34], v30 offset:16808
	s_waitcnt lgkmcnt(0)
	v_fma_f64 v[10:11], v[31:32], v[33:34], v[10:11]
.LBB123_524:
	s_or_b64 exec, exec, s[34:35]
	s_movk_i32 s20, 0x140
	v_cmp_gt_u32_e64 s[20:21], s20, v15
	s_and_saveexec_b64 s[34:35], s[20:21]
	s_cbranch_execz .LBB123_526
; %bb.525:
	ds_read_b64 v[31:32], v27 offset:27648
	ds_read_b64 v[33:34], v30 offset:16816
	s_waitcnt lgkmcnt(0)
	v_fma_f64 v[10:11], v[31:32], v[33:34], v[10:11]
.LBB123_526:
	s_or_b64 exec, exec, s[34:35]
	s_movk_i32 s20, 0x120
	v_cmp_gt_u32_e64 s[20:21], s20, v15
	s_and_saveexec_b64 s[34:35], s[20:21]
	s_cbranch_execz .LBB123_528
; %bb.527:
	ds_read_b64 v[31:32], v27 offset:28160
	ds_read_b64 v[33:34], v30 offset:16824
	s_waitcnt lgkmcnt(0)
	v_fma_f64 v[10:11], v[31:32], v[33:34], v[10:11]
.LBB123_528:
	s_or_b64 exec, exec, s[34:35]
	s_and_saveexec_b64 s[20:21], s[10:11]
	s_cbranch_execz .LBB123_530
; %bb.529:
	ds_read_b64 v[31:32], v27 offset:28672
	ds_read_b64 v[33:34], v30 offset:16832
	s_waitcnt lgkmcnt(0)
	v_fma_f64 v[10:11], v[31:32], v[33:34], v[10:11]
.LBB123_530:
	s_or_b64 exec, exec, s[20:21]
	s_movk_i32 s20, 0xe0
	v_cmp_gt_u32_e64 s[20:21], s20, v15
	s_and_saveexec_b64 s[34:35], s[20:21]
	s_cbranch_execz .LBB123_532
; %bb.531:
	ds_read_b64 v[31:32], v27 offset:29184
	ds_read_b64 v[33:34], v30 offset:16840
	s_waitcnt lgkmcnt(0)
	v_fma_f64 v[10:11], v[31:32], v[33:34], v[10:11]
.LBB123_532:
	s_or_b64 exec, exec, s[34:35]
	s_movk_i32 s20, 0xc0
	v_cmp_gt_u32_e64 s[20:21], s20, v15
	;; [unrolled: 11-line block ×5, first 2 shown]
	s_and_saveexec_b64 s[34:35], s[20:21]
	s_cbranch_execnz .LBB123_1196
; %bb.539:
	s_or_b64 exec, exec, s[34:35]
	s_and_saveexec_b64 s[20:21], s[8:9]
	s_cbranch_execnz .LBB123_1197
.LBB123_540:
	s_or_b64 exec, exec, s[20:21]
	v_cmp_gt_u32_e64 s[20:21], 32, v15
	s_and_saveexec_b64 s[34:35], s[20:21]
	s_cbranch_execz .LBB123_542
.LBB123_541:
	v_lshlrev_b32_e32 v30, 3, v0
	v_mov_b32_e32 v32, 0
	ds_read_b64 v[30:31], v30 offset:32256
	ds_read_b64 v[32:33], v32 offset:32760
	s_waitcnt lgkmcnt(0)
	v_fma_f64 v[10:11], v[30:31], v[32:33], v[10:11]
.LBB123_542:
	s_or_b64 exec, exec, s[34:35]
.LBB123_543:
	s_or_b64 exec, exec, s[92:93]
	v_mov_b32_e32 v30, 0x8000
	v_cmp_eq_u32_e64 s[20:21], 31, v28
	s_xor_b64 s[92:93], s[16:17], -1
	v_lshl_add_u32 v29, v29, 3, v30
	s_and_b64 s[20:21], s[92:93], s[20:21]
	s_and_saveexec_b64 s[16:17], s[20:21]
; %bb.544:
	v_xor_b32_e32 v31, 0x80000000, v11
	v_mov_b32_e32 v30, v10
	ds_write_b64 v29, v[30:31]
; %bb.545:
	s_or_b64 exec, exec, s[16:17]
	v_cmp_ne_u32_e64 s[16:17], 31, v28
	s_and_b64 s[20:21], s[92:93], s[16:17]
	s_waitcnt lgkmcnt(0)
	s_barrier
	s_and_saveexec_b64 s[16:17], s[20:21]
	s_cbranch_execz .LBB123_547
; %bb.546:
	ds_read_b64 v[30:31], v27 offset:15872
	ds_read_b64 v[32:33], v29
	s_waitcnt lgkmcnt(0)
	v_fma_f64 v[10:11], -v[30:31], v[32:33], v[10:11]
.LBB123_547:
	s_or_b64 exec, exec, s[16:17]
	v_cmp_eq_u32_e64 s[16:17], 30, v28
	s_and_b64 s[20:21], s[92:93], s[16:17]
	s_barrier
	s_and_saveexec_b64 s[16:17], s[20:21]
; %bb.548:
	v_xor_b32_e32 v31, 0x80000000, v11
	v_mov_b32_e32 v30, v10
	ds_write_b64 v29, v[30:31]
; %bb.549:
	s_or_b64 exec, exec, s[16:17]
	v_cmp_gt_u32_e64 s[16:17], 30, v28
	s_and_b64 s[20:21], s[92:93], s[16:17]
	s_waitcnt lgkmcnt(0)
	s_barrier
	s_and_saveexec_b64 s[16:17], s[20:21]
	s_cbranch_execz .LBB123_551
; %bb.550:
	ds_read_b64 v[30:31], v27 offset:15360
	ds_read_b64 v[32:33], v29
	s_waitcnt lgkmcnt(0)
	v_fma_f64 v[10:11], -v[30:31], v[32:33], v[10:11]
.LBB123_551:
	s_or_b64 exec, exec, s[16:17]
	v_cmp_eq_u32_e64 s[16:17], 29, v28
	s_and_b64 s[20:21], s[92:93], s[16:17]
	s_barrier
	s_and_saveexec_b64 s[16:17], s[20:21]
; %bb.552:
	v_xor_b32_e32 v31, 0x80000000, v11
	v_mov_b32_e32 v30, v10
	ds_write_b64 v29, v[30:31]
; %bb.553:
	s_or_b64 exec, exec, s[16:17]
	v_cmp_gt_u32_e64 s[16:17], 29, v28
	s_and_b64 s[20:21], s[92:93], s[16:17]
	s_waitcnt lgkmcnt(0)
	s_barrier
	s_and_saveexec_b64 s[16:17], s[20:21]
	s_cbranch_execz .LBB123_555
; %bb.554:
	ds_read_b64 v[30:31], v27 offset:14848
	ds_read_b64 v[32:33], v29
	s_waitcnt lgkmcnt(0)
	v_fma_f64 v[10:11], -v[30:31], v[32:33], v[10:11]
.LBB123_555:
	s_or_b64 exec, exec, s[16:17]
	v_cmp_eq_u32_e64 s[16:17], 28, v28
	s_and_b64 s[20:21], s[92:93], s[16:17]
	s_barrier
	s_and_saveexec_b64 s[16:17], s[20:21]
; %bb.556:
	v_xor_b32_e32 v31, 0x80000000, v11
	v_mov_b32_e32 v30, v10
	ds_write_b64 v29, v[30:31]
; %bb.557:
	s_or_b64 exec, exec, s[16:17]
	v_cmp_gt_u32_e64 s[16:17], 28, v28
	s_and_b64 s[20:21], s[92:93], s[16:17]
	s_waitcnt lgkmcnt(0)
	s_barrier
	s_and_saveexec_b64 s[16:17], s[20:21]
	s_cbranch_execz .LBB123_559
; %bb.558:
	ds_read_b64 v[30:31], v27 offset:14336
	ds_read_b64 v[32:33], v29
	s_waitcnt lgkmcnt(0)
	v_fma_f64 v[10:11], -v[30:31], v[32:33], v[10:11]
.LBB123_559:
	s_or_b64 exec, exec, s[16:17]
	v_cmp_eq_u32_e64 s[16:17], 27, v28
	s_and_b64 s[20:21], s[92:93], s[16:17]
	s_barrier
	s_and_saveexec_b64 s[16:17], s[20:21]
; %bb.560:
	v_xor_b32_e32 v31, 0x80000000, v11
	v_mov_b32_e32 v30, v10
	ds_write_b64 v29, v[30:31]
; %bb.561:
	s_or_b64 exec, exec, s[16:17]
	v_cmp_gt_u32_e64 s[16:17], 27, v28
	s_and_b64 s[20:21], s[92:93], s[16:17]
	s_waitcnt lgkmcnt(0)
	s_barrier
	s_and_saveexec_b64 s[16:17], s[20:21]
	s_cbranch_execz .LBB123_563
; %bb.562:
	ds_read_b64 v[30:31], v27 offset:13824
	ds_read_b64 v[32:33], v29
	s_waitcnt lgkmcnt(0)
	v_fma_f64 v[10:11], -v[30:31], v[32:33], v[10:11]
.LBB123_563:
	s_or_b64 exec, exec, s[16:17]
	v_cmp_eq_u32_e64 s[16:17], 26, v28
	s_and_b64 s[20:21], s[92:93], s[16:17]
	s_barrier
	s_and_saveexec_b64 s[16:17], s[20:21]
; %bb.564:
	v_xor_b32_e32 v31, 0x80000000, v11
	v_mov_b32_e32 v30, v10
	ds_write_b64 v29, v[30:31]
; %bb.565:
	s_or_b64 exec, exec, s[16:17]
	v_cmp_gt_u32_e64 s[16:17], 26, v28
	s_and_b64 s[20:21], s[92:93], s[16:17]
	s_waitcnt lgkmcnt(0)
	s_barrier
	s_and_saveexec_b64 s[16:17], s[20:21]
	s_cbranch_execz .LBB123_567
; %bb.566:
	ds_read_b64 v[30:31], v27 offset:13312
	ds_read_b64 v[32:33], v29
	s_waitcnt lgkmcnt(0)
	v_fma_f64 v[10:11], -v[30:31], v[32:33], v[10:11]
.LBB123_567:
	s_or_b64 exec, exec, s[16:17]
	v_cmp_eq_u32_e64 s[16:17], 25, v28
	s_and_b64 s[20:21], s[92:93], s[16:17]
	s_barrier
	s_and_saveexec_b64 s[16:17], s[20:21]
; %bb.568:
	v_xor_b32_e32 v31, 0x80000000, v11
	v_mov_b32_e32 v30, v10
	ds_write_b64 v29, v[30:31]
; %bb.569:
	s_or_b64 exec, exec, s[16:17]
	v_cmp_gt_u32_e64 s[16:17], 25, v28
	s_and_b64 s[20:21], s[92:93], s[16:17]
	s_waitcnt lgkmcnt(0)
	s_barrier
	s_and_saveexec_b64 s[16:17], s[20:21]
	s_cbranch_execz .LBB123_571
; %bb.570:
	ds_read_b64 v[30:31], v27 offset:12800
	ds_read_b64 v[32:33], v29
	s_waitcnt lgkmcnt(0)
	v_fma_f64 v[10:11], -v[30:31], v[32:33], v[10:11]
.LBB123_571:
	s_or_b64 exec, exec, s[16:17]
	v_cmp_eq_u32_e64 s[16:17], 24, v28
	s_and_b64 s[20:21], s[92:93], s[16:17]
	s_barrier
	s_and_saveexec_b64 s[16:17], s[20:21]
; %bb.572:
	v_xor_b32_e32 v31, 0x80000000, v11
	v_mov_b32_e32 v30, v10
	ds_write_b64 v29, v[30:31]
; %bb.573:
	s_or_b64 exec, exec, s[16:17]
	v_cmp_gt_u32_e64 s[16:17], 24, v28
	s_and_b64 s[20:21], s[92:93], s[16:17]
	s_waitcnt lgkmcnt(0)
	s_barrier
	s_and_saveexec_b64 s[16:17], s[20:21]
	s_cbranch_execz .LBB123_575
; %bb.574:
	ds_read_b64 v[30:31], v27 offset:12288
	ds_read_b64 v[32:33], v29
	s_waitcnt lgkmcnt(0)
	v_fma_f64 v[10:11], -v[30:31], v[32:33], v[10:11]
.LBB123_575:
	s_or_b64 exec, exec, s[16:17]
	v_cmp_eq_u32_e64 s[16:17], 23, v28
	s_and_b64 s[20:21], s[92:93], s[16:17]
	s_barrier
	s_and_saveexec_b64 s[16:17], s[20:21]
; %bb.576:
	v_xor_b32_e32 v31, 0x80000000, v11
	v_mov_b32_e32 v30, v10
	ds_write_b64 v29, v[30:31]
; %bb.577:
	s_or_b64 exec, exec, s[16:17]
	v_cmp_gt_u32_e64 s[16:17], 23, v28
	s_and_b64 s[20:21], s[92:93], s[16:17]
	s_waitcnt lgkmcnt(0)
	s_barrier
	s_and_saveexec_b64 s[16:17], s[20:21]
	s_cbranch_execz .LBB123_579
; %bb.578:
	ds_read_b64 v[30:31], v27 offset:11776
	ds_read_b64 v[32:33], v29
	s_waitcnt lgkmcnt(0)
	v_fma_f64 v[10:11], -v[30:31], v[32:33], v[10:11]
.LBB123_579:
	s_or_b64 exec, exec, s[16:17]
	v_cmp_eq_u32_e64 s[16:17], 22, v28
	s_and_b64 s[20:21], s[92:93], s[16:17]
	s_barrier
	s_and_saveexec_b64 s[16:17], s[20:21]
; %bb.580:
	v_xor_b32_e32 v31, 0x80000000, v11
	v_mov_b32_e32 v30, v10
	ds_write_b64 v29, v[30:31]
; %bb.581:
	s_or_b64 exec, exec, s[16:17]
	v_cmp_gt_u32_e64 s[16:17], 22, v28
	s_and_b64 s[20:21], s[92:93], s[16:17]
	s_waitcnt lgkmcnt(0)
	s_barrier
	s_and_saveexec_b64 s[16:17], s[20:21]
	s_cbranch_execz .LBB123_583
; %bb.582:
	ds_read_b64 v[30:31], v27 offset:11264
	ds_read_b64 v[32:33], v29
	s_waitcnt lgkmcnt(0)
	v_fma_f64 v[10:11], -v[30:31], v[32:33], v[10:11]
.LBB123_583:
	s_or_b64 exec, exec, s[16:17]
	v_cmp_eq_u32_e64 s[16:17], 21, v28
	s_and_b64 s[20:21], s[92:93], s[16:17]
	s_barrier
	s_and_saveexec_b64 s[16:17], s[20:21]
; %bb.584:
	v_xor_b32_e32 v31, 0x80000000, v11
	v_mov_b32_e32 v30, v10
	ds_write_b64 v29, v[30:31]
; %bb.585:
	s_or_b64 exec, exec, s[16:17]
	v_cmp_gt_u32_e64 s[16:17], 21, v28
	s_and_b64 s[20:21], s[92:93], s[16:17]
	s_waitcnt lgkmcnt(0)
	s_barrier
	s_and_saveexec_b64 s[16:17], s[20:21]
	s_cbranch_execz .LBB123_587
; %bb.586:
	ds_read_b64 v[30:31], v27 offset:10752
	ds_read_b64 v[32:33], v29
	s_waitcnt lgkmcnt(0)
	v_fma_f64 v[10:11], -v[30:31], v[32:33], v[10:11]
.LBB123_587:
	s_or_b64 exec, exec, s[16:17]
	v_cmp_eq_u32_e64 s[16:17], 20, v28
	s_and_b64 s[20:21], s[92:93], s[16:17]
	s_barrier
	s_and_saveexec_b64 s[16:17], s[20:21]
; %bb.588:
	v_xor_b32_e32 v31, 0x80000000, v11
	v_mov_b32_e32 v30, v10
	ds_write_b64 v29, v[30:31]
; %bb.589:
	s_or_b64 exec, exec, s[16:17]
	v_cmp_gt_u32_e64 s[16:17], 20, v28
	s_and_b64 s[20:21], s[92:93], s[16:17]
	s_waitcnt lgkmcnt(0)
	s_barrier
	s_and_saveexec_b64 s[16:17], s[20:21]
	s_cbranch_execz .LBB123_591
; %bb.590:
	ds_read_b64 v[30:31], v27 offset:10240
	ds_read_b64 v[32:33], v29
	s_waitcnt lgkmcnt(0)
	v_fma_f64 v[10:11], -v[30:31], v[32:33], v[10:11]
.LBB123_591:
	s_or_b64 exec, exec, s[16:17]
	v_cmp_eq_u32_e64 s[16:17], 19, v28
	s_and_b64 s[20:21], s[92:93], s[16:17]
	s_barrier
	s_and_saveexec_b64 s[16:17], s[20:21]
; %bb.592:
	v_xor_b32_e32 v31, 0x80000000, v11
	v_mov_b32_e32 v30, v10
	ds_write_b64 v29, v[30:31]
; %bb.593:
	s_or_b64 exec, exec, s[16:17]
	v_cmp_gt_u32_e64 s[16:17], 19, v28
	s_and_b64 s[20:21], s[92:93], s[16:17]
	s_waitcnt lgkmcnt(0)
	s_barrier
	s_and_saveexec_b64 s[16:17], s[20:21]
	s_cbranch_execz .LBB123_595
; %bb.594:
	ds_read_b64 v[30:31], v27 offset:9728
	ds_read_b64 v[32:33], v29
	s_waitcnt lgkmcnt(0)
	v_fma_f64 v[10:11], -v[30:31], v[32:33], v[10:11]
.LBB123_595:
	s_or_b64 exec, exec, s[16:17]
	v_cmp_eq_u32_e64 s[16:17], 18, v28
	s_and_b64 s[20:21], s[92:93], s[16:17]
	s_barrier
	s_and_saveexec_b64 s[16:17], s[20:21]
; %bb.596:
	v_xor_b32_e32 v31, 0x80000000, v11
	v_mov_b32_e32 v30, v10
	ds_write_b64 v29, v[30:31]
; %bb.597:
	s_or_b64 exec, exec, s[16:17]
	v_cmp_gt_u32_e64 s[16:17], 18, v28
	s_and_b64 s[20:21], s[92:93], s[16:17]
	s_waitcnt lgkmcnt(0)
	s_barrier
	s_and_saveexec_b64 s[16:17], s[20:21]
	s_cbranch_execz .LBB123_599
; %bb.598:
	ds_read_b64 v[30:31], v27 offset:9216
	ds_read_b64 v[32:33], v29
	s_waitcnt lgkmcnt(0)
	v_fma_f64 v[10:11], -v[30:31], v[32:33], v[10:11]
.LBB123_599:
	s_or_b64 exec, exec, s[16:17]
	v_cmp_eq_u32_e64 s[16:17], 17, v28
	s_and_b64 s[20:21], s[92:93], s[16:17]
	s_barrier
	s_and_saveexec_b64 s[16:17], s[20:21]
; %bb.600:
	v_xor_b32_e32 v31, 0x80000000, v11
	v_mov_b32_e32 v30, v10
	ds_write_b64 v29, v[30:31]
; %bb.601:
	s_or_b64 exec, exec, s[16:17]
	v_cmp_gt_u32_e64 s[16:17], 17, v28
	s_and_b64 s[20:21], s[92:93], s[16:17]
	s_waitcnt lgkmcnt(0)
	s_barrier
	s_and_saveexec_b64 s[16:17], s[20:21]
	s_cbranch_execz .LBB123_603
; %bb.602:
	ds_read_b64 v[30:31], v27 offset:8704
	ds_read_b64 v[32:33], v29
	s_waitcnt lgkmcnt(0)
	v_fma_f64 v[10:11], -v[30:31], v[32:33], v[10:11]
.LBB123_603:
	s_or_b64 exec, exec, s[16:17]
	v_cmp_eq_u32_e64 s[16:17], 16, v28
	s_and_b64 s[20:21], s[92:93], s[16:17]
	s_barrier
	s_and_saveexec_b64 s[16:17], s[20:21]
; %bb.604:
	v_xor_b32_e32 v31, 0x80000000, v11
	v_mov_b32_e32 v30, v10
	ds_write_b64 v29, v[30:31]
; %bb.605:
	s_or_b64 exec, exec, s[16:17]
	v_cmp_gt_u32_e64 s[16:17], 16, v28
	s_and_b64 s[20:21], s[92:93], s[16:17]
	s_waitcnt lgkmcnt(0)
	s_barrier
	s_and_saveexec_b64 s[16:17], s[20:21]
	s_cbranch_execz .LBB123_607
; %bb.606:
	ds_read_b64 v[30:31], v27 offset:8192
	ds_read_b64 v[32:33], v29
	s_waitcnt lgkmcnt(0)
	v_fma_f64 v[10:11], -v[30:31], v[32:33], v[10:11]
.LBB123_607:
	s_or_b64 exec, exec, s[16:17]
	v_cmp_eq_u32_e64 s[16:17], 15, v28
	s_and_b64 s[20:21], s[92:93], s[16:17]
	s_barrier
	s_and_saveexec_b64 s[16:17], s[20:21]
; %bb.608:
	v_xor_b32_e32 v31, 0x80000000, v11
	v_mov_b32_e32 v30, v10
	ds_write_b64 v29, v[30:31]
; %bb.609:
	s_or_b64 exec, exec, s[16:17]
	v_cmp_gt_u32_e64 s[16:17], 15, v28
	s_and_b64 s[20:21], s[92:93], s[16:17]
	s_waitcnt lgkmcnt(0)
	s_barrier
	s_and_saveexec_b64 s[16:17], s[20:21]
	s_cbranch_execz .LBB123_611
; %bb.610:
	ds_read_b64 v[30:31], v27 offset:7680
	ds_read_b64 v[32:33], v29
	s_waitcnt lgkmcnt(0)
	v_fma_f64 v[10:11], -v[30:31], v[32:33], v[10:11]
.LBB123_611:
	s_or_b64 exec, exec, s[16:17]
	v_cmp_eq_u32_e64 s[16:17], 14, v28
	s_and_b64 s[20:21], s[92:93], s[16:17]
	s_barrier
	s_and_saveexec_b64 s[16:17], s[20:21]
; %bb.612:
	v_xor_b32_e32 v31, 0x80000000, v11
	v_mov_b32_e32 v30, v10
	ds_write_b64 v29, v[30:31]
; %bb.613:
	s_or_b64 exec, exec, s[16:17]
	v_cmp_gt_u32_e64 s[16:17], 14, v28
	s_and_b64 s[20:21], s[92:93], s[16:17]
	s_waitcnt lgkmcnt(0)
	s_barrier
	s_and_saveexec_b64 s[16:17], s[20:21]
	s_cbranch_execz .LBB123_615
; %bb.614:
	ds_read_b64 v[30:31], v27 offset:7168
	ds_read_b64 v[32:33], v29
	s_waitcnt lgkmcnt(0)
	v_fma_f64 v[10:11], -v[30:31], v[32:33], v[10:11]
.LBB123_615:
	s_or_b64 exec, exec, s[16:17]
	v_cmp_eq_u32_e64 s[16:17], 13, v28
	s_and_b64 s[20:21], s[92:93], s[16:17]
	s_barrier
	s_and_saveexec_b64 s[16:17], s[20:21]
; %bb.616:
	v_xor_b32_e32 v31, 0x80000000, v11
	v_mov_b32_e32 v30, v10
	ds_write_b64 v29, v[30:31]
; %bb.617:
	s_or_b64 exec, exec, s[16:17]
	v_cmp_gt_u32_e64 s[16:17], 13, v28
	s_and_b64 s[20:21], s[92:93], s[16:17]
	s_waitcnt lgkmcnt(0)
	s_barrier
	s_and_saveexec_b64 s[16:17], s[20:21]
	s_cbranch_execz .LBB123_619
; %bb.618:
	ds_read_b64 v[30:31], v27 offset:6656
	ds_read_b64 v[32:33], v29
	s_waitcnt lgkmcnt(0)
	v_fma_f64 v[10:11], -v[30:31], v[32:33], v[10:11]
.LBB123_619:
	s_or_b64 exec, exec, s[16:17]
	v_cmp_eq_u32_e64 s[16:17], 12, v28
	s_and_b64 s[20:21], s[92:93], s[16:17]
	s_barrier
	s_and_saveexec_b64 s[16:17], s[20:21]
; %bb.620:
	v_xor_b32_e32 v31, 0x80000000, v11
	v_mov_b32_e32 v30, v10
	ds_write_b64 v29, v[30:31]
; %bb.621:
	s_or_b64 exec, exec, s[16:17]
	v_cmp_gt_u32_e64 s[16:17], 12, v28
	s_and_b64 s[20:21], s[92:93], s[16:17]
	s_waitcnt lgkmcnt(0)
	s_barrier
	s_and_saveexec_b64 s[16:17], s[20:21]
	s_cbranch_execz .LBB123_623
; %bb.622:
	ds_read_b64 v[30:31], v27 offset:6144
	ds_read_b64 v[32:33], v29
	s_waitcnt lgkmcnt(0)
	v_fma_f64 v[10:11], -v[30:31], v[32:33], v[10:11]
.LBB123_623:
	s_or_b64 exec, exec, s[16:17]
	v_cmp_eq_u32_e64 s[16:17], 11, v28
	s_and_b64 s[20:21], s[92:93], s[16:17]
	s_barrier
	s_and_saveexec_b64 s[16:17], s[20:21]
; %bb.624:
	v_xor_b32_e32 v31, 0x80000000, v11
	v_mov_b32_e32 v30, v10
	ds_write_b64 v29, v[30:31]
; %bb.625:
	s_or_b64 exec, exec, s[16:17]
	v_cmp_gt_u32_e64 s[16:17], 11, v28
	s_and_b64 s[20:21], s[92:93], s[16:17]
	s_waitcnt lgkmcnt(0)
	s_barrier
	s_and_saveexec_b64 s[16:17], s[20:21]
	s_cbranch_execz .LBB123_627
; %bb.626:
	ds_read_b64 v[30:31], v27 offset:5632
	ds_read_b64 v[32:33], v29
	s_waitcnt lgkmcnt(0)
	v_fma_f64 v[10:11], -v[30:31], v[32:33], v[10:11]
.LBB123_627:
	s_or_b64 exec, exec, s[16:17]
	v_cmp_eq_u32_e64 s[16:17], 10, v28
	s_and_b64 s[20:21], s[92:93], s[16:17]
	s_barrier
	s_and_saveexec_b64 s[16:17], s[20:21]
; %bb.628:
	v_xor_b32_e32 v31, 0x80000000, v11
	v_mov_b32_e32 v30, v10
	ds_write_b64 v29, v[30:31]
; %bb.629:
	s_or_b64 exec, exec, s[16:17]
	v_cmp_gt_u32_e64 s[16:17], 10, v28
	s_and_b64 s[20:21], s[92:93], s[16:17]
	s_waitcnt lgkmcnt(0)
	s_barrier
	s_and_saveexec_b64 s[16:17], s[20:21]
	s_cbranch_execz .LBB123_631
; %bb.630:
	ds_read_b64 v[30:31], v27 offset:5120
	ds_read_b64 v[32:33], v29
	s_waitcnt lgkmcnt(0)
	v_fma_f64 v[10:11], -v[30:31], v[32:33], v[10:11]
.LBB123_631:
	s_or_b64 exec, exec, s[16:17]
	v_cmp_eq_u32_e64 s[16:17], 9, v28
	s_and_b64 s[20:21], s[92:93], s[16:17]
	s_barrier
	s_and_saveexec_b64 s[16:17], s[20:21]
; %bb.632:
	v_xor_b32_e32 v31, 0x80000000, v11
	v_mov_b32_e32 v30, v10
	ds_write_b64 v29, v[30:31]
; %bb.633:
	s_or_b64 exec, exec, s[16:17]
	v_cmp_gt_u32_e64 s[16:17], 9, v28
	s_and_b64 s[20:21], s[92:93], s[16:17]
	s_waitcnt lgkmcnt(0)
	s_barrier
	s_and_saveexec_b64 s[16:17], s[20:21]
	s_cbranch_execz .LBB123_635
; %bb.634:
	ds_read_b64 v[30:31], v27 offset:4608
	ds_read_b64 v[32:33], v29
	s_waitcnt lgkmcnt(0)
	v_fma_f64 v[10:11], -v[30:31], v[32:33], v[10:11]
.LBB123_635:
	s_or_b64 exec, exec, s[16:17]
	v_cmp_eq_u32_e64 s[16:17], 8, v28
	s_and_b64 s[20:21], s[92:93], s[16:17]
	s_barrier
	s_and_saveexec_b64 s[16:17], s[20:21]
; %bb.636:
	v_xor_b32_e32 v31, 0x80000000, v11
	v_mov_b32_e32 v30, v10
	ds_write_b64 v29, v[30:31]
; %bb.637:
	s_or_b64 exec, exec, s[16:17]
	v_cmp_gt_u32_e64 s[16:17], 8, v28
	s_and_b64 s[20:21], s[92:93], s[16:17]
	s_waitcnt lgkmcnt(0)
	s_barrier
	s_and_saveexec_b64 s[16:17], s[20:21]
	s_cbranch_execz .LBB123_639
; %bb.638:
	ds_read_b64 v[30:31], v27 offset:4096
	ds_read_b64 v[32:33], v29
	s_waitcnt lgkmcnt(0)
	v_fma_f64 v[10:11], -v[30:31], v[32:33], v[10:11]
.LBB123_639:
	s_or_b64 exec, exec, s[16:17]
	v_cmp_eq_u32_e64 s[16:17], 7, v28
	s_and_b64 s[20:21], s[92:93], s[16:17]
	s_barrier
	s_and_saveexec_b64 s[16:17], s[20:21]
; %bb.640:
	v_xor_b32_e32 v31, 0x80000000, v11
	v_mov_b32_e32 v30, v10
	ds_write_b64 v29, v[30:31]
; %bb.641:
	s_or_b64 exec, exec, s[16:17]
	v_cmp_gt_u32_e64 s[16:17], 7, v28
	s_and_b64 s[20:21], s[92:93], s[16:17]
	s_waitcnt lgkmcnt(0)
	s_barrier
	s_and_saveexec_b64 s[16:17], s[20:21]
	s_cbranch_execz .LBB123_643
; %bb.642:
	ds_read_b64 v[30:31], v27 offset:3584
	ds_read_b64 v[32:33], v29
	s_waitcnt lgkmcnt(0)
	v_fma_f64 v[10:11], -v[30:31], v[32:33], v[10:11]
.LBB123_643:
	s_or_b64 exec, exec, s[16:17]
	v_cmp_eq_u32_e64 s[16:17], 6, v28
	s_and_b64 s[20:21], s[92:93], s[16:17]
	s_barrier
	s_and_saveexec_b64 s[16:17], s[20:21]
; %bb.644:
	v_xor_b32_e32 v31, 0x80000000, v11
	v_mov_b32_e32 v30, v10
	ds_write_b64 v29, v[30:31]
; %bb.645:
	s_or_b64 exec, exec, s[16:17]
	v_cmp_gt_u32_e64 s[16:17], 6, v28
	s_and_b64 s[20:21], s[92:93], s[16:17]
	s_waitcnt lgkmcnt(0)
	s_barrier
	s_and_saveexec_b64 s[16:17], s[20:21]
	s_cbranch_execz .LBB123_647
; %bb.646:
	ds_read_b64 v[30:31], v27 offset:3072
	ds_read_b64 v[32:33], v29
	s_waitcnt lgkmcnt(0)
	v_fma_f64 v[10:11], -v[30:31], v[32:33], v[10:11]
.LBB123_647:
	s_or_b64 exec, exec, s[16:17]
	v_cmp_eq_u32_e64 s[16:17], 5, v28
	s_and_b64 s[20:21], s[92:93], s[16:17]
	s_barrier
	s_and_saveexec_b64 s[16:17], s[20:21]
; %bb.648:
	v_xor_b32_e32 v31, 0x80000000, v11
	v_mov_b32_e32 v30, v10
	ds_write_b64 v29, v[30:31]
; %bb.649:
	s_or_b64 exec, exec, s[16:17]
	v_cmp_gt_u32_e64 s[16:17], 5, v28
	s_and_b64 s[20:21], s[92:93], s[16:17]
	s_waitcnt lgkmcnt(0)
	s_barrier
	s_and_saveexec_b64 s[16:17], s[20:21]
	s_cbranch_execz .LBB123_651
; %bb.650:
	ds_read_b64 v[30:31], v27 offset:2560
	ds_read_b64 v[32:33], v29
	s_waitcnt lgkmcnt(0)
	v_fma_f64 v[10:11], -v[30:31], v[32:33], v[10:11]
.LBB123_651:
	s_or_b64 exec, exec, s[16:17]
	v_cmp_eq_u32_e64 s[16:17], 4, v28
	s_and_b64 s[20:21], s[92:93], s[16:17]
	s_barrier
	s_and_saveexec_b64 s[16:17], s[20:21]
; %bb.652:
	v_xor_b32_e32 v31, 0x80000000, v11
	v_mov_b32_e32 v30, v10
	ds_write_b64 v29, v[30:31]
; %bb.653:
	s_or_b64 exec, exec, s[16:17]
	v_cmp_gt_u32_e64 s[16:17], 4, v28
	s_and_b64 s[20:21], s[92:93], s[16:17]
	s_waitcnt lgkmcnt(0)
	s_barrier
	s_and_saveexec_b64 s[16:17], s[20:21]
	s_cbranch_execz .LBB123_655
; %bb.654:
	ds_read_b64 v[30:31], v27 offset:2048
	ds_read_b64 v[32:33], v29
	s_waitcnt lgkmcnt(0)
	v_fma_f64 v[10:11], -v[30:31], v[32:33], v[10:11]
.LBB123_655:
	s_or_b64 exec, exec, s[16:17]
	v_cmp_eq_u32_e64 s[16:17], 3, v28
	s_and_b64 s[20:21], s[92:93], s[16:17]
	s_barrier
	s_and_saveexec_b64 s[16:17], s[20:21]
; %bb.656:
	v_xor_b32_e32 v31, 0x80000000, v11
	v_mov_b32_e32 v30, v10
	ds_write_b64 v29, v[30:31]
; %bb.657:
	s_or_b64 exec, exec, s[16:17]
	v_cmp_gt_u32_e64 s[16:17], 3, v28
	s_and_b64 s[20:21], s[92:93], s[16:17]
	s_waitcnt lgkmcnt(0)
	s_barrier
	s_and_saveexec_b64 s[16:17], s[20:21]
	s_cbranch_execz .LBB123_659
; %bb.658:
	ds_read_b64 v[30:31], v27 offset:1536
	ds_read_b64 v[32:33], v29
	s_waitcnt lgkmcnt(0)
	v_fma_f64 v[10:11], -v[30:31], v[32:33], v[10:11]
.LBB123_659:
	s_or_b64 exec, exec, s[16:17]
	v_cmp_eq_u32_e64 s[16:17], 2, v28
	s_and_b64 s[20:21], s[92:93], s[16:17]
	s_barrier
	s_and_saveexec_b64 s[16:17], s[20:21]
; %bb.660:
	v_xor_b32_e32 v31, 0x80000000, v11
	v_mov_b32_e32 v30, v10
	ds_write_b64 v29, v[30:31]
; %bb.661:
	s_or_b64 exec, exec, s[16:17]
	v_cmp_gt_u32_e64 s[16:17], 2, v28
	s_and_b64 s[20:21], s[92:93], s[16:17]
	s_waitcnt lgkmcnt(0)
	s_barrier
	s_and_saveexec_b64 s[16:17], s[20:21]
	s_cbranch_execz .LBB123_663
; %bb.662:
	ds_read_b64 v[30:31], v27 offset:1024
	ds_read_b64 v[32:33], v29
	s_waitcnt lgkmcnt(0)
	v_fma_f64 v[10:11], -v[30:31], v[32:33], v[10:11]
.LBB123_663:
	s_or_b64 exec, exec, s[16:17]
	v_cmp_eq_u32_e64 s[16:17], 1, v28
	s_and_b64 s[20:21], s[92:93], s[16:17]
	s_barrier
	s_and_saveexec_b64 s[16:17], s[20:21]
; %bb.664:
	v_xor_b32_e32 v31, 0x80000000, v11
	v_mov_b32_e32 v30, v10
	ds_write_b64 v29, v[30:31]
; %bb.665:
	s_or_b64 exec, exec, s[16:17]
	v_cmp_eq_u32_e64 s[16:17], 0, v28
	s_and_b64 s[16:17], s[92:93], s[16:17]
	s_waitcnt lgkmcnt(0)
	s_barrier
	s_and_saveexec_b64 s[20:21], s[16:17]
	s_cbranch_execz .LBB123_667
; %bb.666:
	ds_read_b64 v[30:31], v27 offset:512
	ds_read_b64 v[32:33], v29
	s_waitcnt lgkmcnt(0)
	v_fma_f64 v[10:11], -v[30:31], v[32:33], v[10:11]
.LBB123_667:
	s_or_b64 exec, exec, s[20:21]
	s_barrier
	s_and_saveexec_b64 s[20:21], s[16:17]
; %bb.668:
	v_xor_b32_e32 v31, 0x80000000, v11
	v_mov_b32_e32 v30, v10
	ds_write_b64 v29, v[30:31]
; %bb.669:
	s_or_b64 exec, exec, s[20:21]
	s_waitcnt lgkmcnt(0)
	s_barrier
	s_barrier
	s_and_saveexec_b64 s[16:17], s[14:15]
; %bb.670:
	v_lshl_or_b32 v26, v26, 9, v27
	ds_write_b64 v26, v[10:11] offset:16384
; %bb.671:
	s_or_b64 exec, exec, s[16:17]
	v_cmp_gt_u32_e64 s[14:15], 32, v0
	s_and_b64 s[14:15], s[12:13], s[14:15]
	s_waitcnt lgkmcnt(0)
	s_barrier
	s_barrier
	s_and_saveexec_b64 s[12:13], s[14:15]
	s_cbranch_execz .LBB123_673
; %bb.672:
	v_lshlrev_b32_e32 v26, 9, v0
	ds_read_b64 v[10:11], v26 offset:16384
	s_movk_i32 s14, 0xfe08
	v_mad_i32_i24 v27, v0, s14, v26
	s_waitcnt lgkmcnt(0)
	ds_write_b64 v27, v[10:11] offset:256
	ds_read_b64 v[10:11], v26 offset:16392
	s_waitcnt lgkmcnt(0)
	ds_write_b64 v27, v[10:11] offset:768
	ds_read_b64 v[10:11], v26 offset:16400
	;; [unrolled: 3-line block ×31, first 2 shown]
	s_waitcnt lgkmcnt(0)
	ds_write_b64 v27, v[10:11] offset:16128
.LBB123_673:
	s_or_b64 exec, exec, s[12:13]
	s_waitcnt lgkmcnt(0)
	s_barrier
	s_and_saveexec_b64 s[12:13], vcc
	s_cbranch_execz .LBB123_675
; %bb.674:
	v_mov_b32_e32 v26, 0
	ds_read_b64 v[28:29], v26 offset:16112
	v_mov_b32_e32 v27, 0x3ff00000
	ds_write_b64 v26, v[26:27] offset:16120
	s_waitcnt lgkmcnt(1)
	ds_write_b128 v26, v[26:29] offset:15600
.LBB123_675:
	s_or_b64 exec, exec, s[12:13]
	v_mov_b32_e32 v10, 0
	v_mov_b32_e32 v11, 0
	s_waitcnt lgkmcnt(0)
	s_barrier
	buffer_wbinvl1_vol
	s_and_saveexec_b64 s[14:15], s[2:3]
	s_cbranch_execz .LBB123_679
; %bb.676:
	v_lshlrev_b32_e32 v26, 9, v13
	v_lshlrev_b32_e32 v10, 3, v12
	ds_read_b64 v[10:11], v10 offset:15584
	ds_read_b64 v[26:27], v26 offset:15600
	v_cmp_gt_u32_e64 s[12:13], 2, v15
	s_waitcnt lgkmcnt(0)
	v_fma_f64 v[10:11], v[10:11], v[26:27], 0
	s_and_saveexec_b64 s[16:17], s[12:13]
	s_cbranch_execz .LBB123_678
; %bb.677:
	v_lshlrev_b32_e32 v26, 3, v0
	v_mov_b32_e32 v28, 0
	ds_read_b64 v[26:27], v26 offset:16096
	ds_read_b64 v[28:29], v28 offset:16120
	s_waitcnt lgkmcnt(0)
	v_fma_f64 v[10:11], v[26:27], v[28:29], v[10:11]
.LBB123_678:
	s_or_b64 exec, exec, s[16:17]
.LBB123_679:
	s_or_b64 exec, exec, s[14:15]
	s_and_saveexec_b64 s[12:13], s[40:41]
; %bb.680:
	v_xor_b32_e32 v27, 0x80000000, v11
	v_mov_b32_e32 v26, v10
	ds_write_b64 v14, v[26:27]
; %bb.681:
	s_or_b64 exec, exec, s[12:13]
	s_waitcnt lgkmcnt(0)
	s_barrier
	s_and_saveexec_b64 s[12:13], s[38:39]
	s_cbranch_execz .LBB123_683
; %bb.682:
	v_mov_b32_e32 v26, 0
	ds_read_b64 v[26:27], v26 offset:15072
	ds_read_b64 v[28:29], v14
	s_waitcnt lgkmcnt(0)
	v_fma_f64 v[10:11], -v[26:27], v[28:29], v[10:11]
.LBB123_683:
	s_or_b64 exec, exec, s[12:13]
	s_barrier
	s_and_saveexec_b64 s[12:13], s[38:39]
; %bb.684:
	v_xor_b32_e32 v27, 0x80000000, v11
	v_mov_b32_e32 v26, v10
	ds_write_b64 v14, v[26:27]
; %bb.685:
	s_or_b64 exec, exec, s[12:13]
	s_waitcnt lgkmcnt(0)
	s_barrier
	s_barrier
	s_and_saveexec_b64 s[12:13], s[2:3]
; %bb.686:
	v_lshlrev_b32_e32 v26, 3, v12
	v_lshl_or_b32 v26, v13, 9, v26
	ds_write_b64 v26, v[10:11] offset:15584
; %bb.687:
	s_or_b64 exec, exec, s[12:13]
	s_waitcnt lgkmcnt(0)
	s_barrier
	s_barrier
	s_and_saveexec_b64 s[12:13], s[42:43]
	s_cbranch_execz .LBB123_689
; %bb.688:
	v_lshlrev_b32_e32 v26, 3, v0
	s_movk_i32 s14, 0x1f8
	v_mad_u32_u24 v27, v0, s14, v26
	ds_read_b64 v[10:11], v27 offset:15584
	s_waitcnt lgkmcnt(0)
	ds_write_b64 v26, v[10:11] offset:14576
	ds_read_b64 v[10:11], v27 offset:15592
	s_waitcnt lgkmcnt(0)
	ds_write_b64 v26, v[10:11] offset:15088
.LBB123_689:
	s_or_b64 exec, exec, s[12:13]
	s_waitcnt lgkmcnt(0)
	s_barrier
	s_and_saveexec_b64 s[12:13], vcc
	s_cbranch_execz .LBB123_691
; %bb.690:
	v_mov_b32_e32 v26, 0
	ds_read_b64 v[28:29], v26 offset:15072
	v_mov_b32_e32 v27, 0x3ff00000
	ds_write_b64 v26, v[26:27] offset:15080
	s_waitcnt lgkmcnt(1)
	ds_write_b128 v26, v[26:29] offset:14560
.LBB123_691:
	s_or_b64 exec, exec, s[12:13]
	v_mov_b32_e32 v10, 0
	v_mov_b32_e32 v11, 0
	s_waitcnt lgkmcnt(0)
	s_barrier
	buffer_wbinvl1_vol
	s_and_saveexec_b64 s[14:15], s[18:19]
	s_cbranch_execz .LBB123_697
; %bb.692:
	v_lshlrev_b32_e32 v27, 3, v16
	v_lshlrev_b32_e32 v26, 9, v17
	ds_read_b64 v[10:11], v27 offset:14528
	ds_read_b64 v[28:29], v26 offset:14560
	v_cmp_gt_u32_e64 s[12:13], 12, v15
	s_waitcnt lgkmcnt(0)
	v_fma_f64 v[10:11], v[10:11], v[28:29], 0
	s_and_saveexec_b64 s[16:17], s[12:13]
	s_cbranch_execnz .LBB123_1198
; %bb.693:
	s_or_b64 exec, exec, s[16:17]
	v_cmp_gt_u32_e64 s[12:13], 8, v15
	s_and_saveexec_b64 s[16:17], s[12:13]
	s_cbranch_execnz .LBB123_1199
.LBB123_694:
	s_or_b64 exec, exec, s[16:17]
	v_cmp_gt_u32_e64 s[12:13], 4, v15
	s_and_saveexec_b64 s[16:17], s[12:13]
	s_cbranch_execz .LBB123_696
.LBB123_695:
	v_lshlrev_b32_e32 v26, 3, v0
	v_mov_b32_e32 v28, 0
	ds_read_b64 v[26:27], v26 offset:16064
	ds_read_b64 v[28:29], v28 offset:16120
	s_waitcnt lgkmcnt(0)
	v_fma_f64 v[10:11], v[26:27], v[28:29], v[10:11]
.LBB123_696:
	s_or_b64 exec, exec, s[16:17]
.LBB123_697:
	s_or_b64 exec, exec, s[14:15]
	s_and_saveexec_b64 s[12:13], s[46:47]
; %bb.698:
	v_xor_b32_e32 v27, 0x80000000, v11
	v_mov_b32_e32 v26, v10
	ds_write_b64 v19, v[26:27]
; %bb.699:
	s_or_b64 exec, exec, s[12:13]
	s_waitcnt lgkmcnt(0)
	s_barrier
	s_and_saveexec_b64 s[12:13], s[48:49]
	s_cbranch_execz .LBB123_701
; %bb.700:
	v_lshlrev_b32_e32 v26, 3, v16
	ds_read_b64 v[26:27], v26 offset:14016
	ds_read_b64 v[28:29], v19
	s_waitcnt lgkmcnt(0)
	v_fma_f64 v[10:11], -v[26:27], v[28:29], v[10:11]
.LBB123_701:
	s_or_b64 exec, exec, s[12:13]
	s_barrier
	s_and_saveexec_b64 s[12:13], s[50:51]
; %bb.702:
	v_xor_b32_e32 v27, 0x80000000, v11
	v_mov_b32_e32 v26, v10
	ds_write_b64 v19, v[26:27]
; %bb.703:
	s_or_b64 exec, exec, s[12:13]
	s_waitcnt lgkmcnt(0)
	s_barrier
	s_and_saveexec_b64 s[12:13], s[52:53]
	s_cbranch_execz .LBB123_705
; %bb.704:
	v_lshlrev_b32_e32 v26, 3, v16
	ds_read_b64 v[26:27], v26 offset:13504
	ds_read_b64 v[28:29], v19
	s_waitcnt lgkmcnt(0)
	v_fma_f64 v[10:11], -v[26:27], v[28:29], v[10:11]
.LBB123_705:
	s_or_b64 exec, exec, s[12:13]
	s_barrier
	s_and_saveexec_b64 s[12:13], s[54:55]
; %bb.706:
	v_xor_b32_e32 v27, 0x80000000, v11
	v_mov_b32_e32 v26, v10
	ds_write_b64 v19, v[26:27]
; %bb.707:
	s_or_b64 exec, exec, s[12:13]
	s_waitcnt lgkmcnt(0)
	s_barrier
	s_and_saveexec_b64 s[12:13], s[44:45]
	s_cbranch_execz .LBB123_709
; %bb.708:
	v_mov_b32_e32 v26, 0
	ds_read_b64 v[26:27], v26 offset:12992
	ds_read_b64 v[28:29], v19
	s_waitcnt lgkmcnt(0)
	v_fma_f64 v[10:11], -v[26:27], v[28:29], v[10:11]
.LBB123_709:
	s_or_b64 exec, exec, s[12:13]
	s_barrier
	s_and_saveexec_b64 s[12:13], s[44:45]
; %bb.710:
	v_xor_b32_e32 v27, 0x80000000, v11
	v_mov_b32_e32 v26, v10
	ds_write_b64 v19, v[26:27]
; %bb.711:
	s_or_b64 exec, exec, s[12:13]
	s_waitcnt lgkmcnt(0)
	s_barrier
	s_barrier
	s_and_saveexec_b64 s[12:13], s[18:19]
; %bb.712:
	v_lshlrev_b32_e32 v26, 3, v16
	v_lshl_or_b32 v26, v17, 9, v26
	ds_write_b64 v26, v[10:11] offset:14528
; %bb.713:
	s_or_b64 exec, exec, s[12:13]
	s_waitcnt lgkmcnt(0)
	s_barrier
	s_barrier
	s_and_saveexec_b64 s[12:13], s[56:57]
	s_cbranch_execz .LBB123_715
; %bb.714:
	v_lshlrev_b32_e32 v26, 9, v0
	ds_read_b64 v[10:11], v26 offset:14528
	s_movk_i32 s14, 0xfe08
	v_mad_i32_i24 v27, v0, s14, v26
	s_waitcnt lgkmcnt(0)
	ds_write_b64 v27, v[10:11] offset:12512
	ds_read_b64 v[10:11], v26 offset:14536
	s_waitcnt lgkmcnt(0)
	ds_write_b64 v27, v[10:11] offset:13024
	ds_read_b64 v[10:11], v26 offset:14544
	;; [unrolled: 3-line block ×3, first 2 shown]
	s_waitcnt lgkmcnt(0)
	ds_write_b64 v27, v[10:11] offset:14048
.LBB123_715:
	s_or_b64 exec, exec, s[12:13]
	s_waitcnt lgkmcnt(0)
	s_barrier
	s_and_saveexec_b64 s[12:13], vcc
	s_cbranch_execz .LBB123_717
; %bb.716:
	v_mov_b32_e32 v26, 0
	ds_read_b64 v[28:29], v26 offset:14032
	v_mov_b32_e32 v27, 0x3ff00000
	ds_write_b64 v26, v[26:27] offset:14040
	s_waitcnt lgkmcnt(1)
	ds_write_b128 v26, v[26:29] offset:13520
.LBB123_717:
	s_or_b64 exec, exec, s[12:13]
	v_mov_b32_e32 v10, 0
	v_mov_b32_e32 v11, 0
	s_waitcnt lgkmcnt(0)
	s_barrier
	buffer_wbinvl1_vol
	s_and_saveexec_b64 s[14:15], s[2:3]
	s_cbranch_execz .LBB123_721
; %bb.718:
	v_lshlrev_b32_e32 v26, 9, v13
	v_lshlrev_b32_e32 v10, 3, v12
	ds_read_b64 v[10:11], v10 offset:13504
	ds_read_b64 v[26:27], v26 offset:13520
	v_cmp_gt_u32_e64 s[12:13], 2, v15
	s_waitcnt lgkmcnt(0)
	v_fma_f64 v[10:11], v[10:11], v[26:27], 0
	s_and_saveexec_b64 s[16:17], s[12:13]
	s_cbranch_execz .LBB123_720
; %bb.719:
	v_lshlrev_b32_e32 v26, 3, v0
	v_mov_b32_e32 v28, 0
	ds_read_b64 v[26:27], v26 offset:14016
	ds_read_b64 v[28:29], v28 offset:14040
	s_waitcnt lgkmcnt(0)
	v_fma_f64 v[10:11], v[26:27], v[28:29], v[10:11]
.LBB123_720:
	s_or_b64 exec, exec, s[16:17]
.LBB123_721:
	s_or_b64 exec, exec, s[14:15]
	s_and_saveexec_b64 s[12:13], s[40:41]
; %bb.722:
	v_xor_b32_e32 v27, 0x80000000, v11
	v_mov_b32_e32 v26, v10
	ds_write_b64 v14, v[26:27]
; %bb.723:
	s_or_b64 exec, exec, s[12:13]
	s_waitcnt lgkmcnt(0)
	s_barrier
	s_and_saveexec_b64 s[12:13], s[38:39]
	s_cbranch_execz .LBB123_725
; %bb.724:
	v_mov_b32_e32 v26, 0
	ds_read_b64 v[26:27], v26 offset:12992
	ds_read_b64 v[28:29], v14
	s_waitcnt lgkmcnt(0)
	v_fma_f64 v[10:11], -v[26:27], v[28:29], v[10:11]
.LBB123_725:
	s_or_b64 exec, exec, s[12:13]
	s_barrier
	s_and_saveexec_b64 s[12:13], s[38:39]
; %bb.726:
	v_xor_b32_e32 v27, 0x80000000, v11
	v_mov_b32_e32 v26, v10
	ds_write_b64 v14, v[26:27]
; %bb.727:
	s_or_b64 exec, exec, s[12:13]
	s_waitcnt lgkmcnt(0)
	s_barrier
	s_barrier
	s_and_saveexec_b64 s[12:13], s[2:3]
; %bb.728:
	v_lshlrev_b32_e32 v26, 3, v12
	v_lshl_or_b32 v26, v13, 9, v26
	ds_write_b64 v26, v[10:11] offset:13504
; %bb.729:
	s_or_b64 exec, exec, s[12:13]
	s_waitcnt lgkmcnt(0)
	s_barrier
	s_barrier
	s_and_saveexec_b64 s[12:13], s[42:43]
	s_cbranch_execz .LBB123_731
; %bb.730:
	v_lshlrev_b32_e32 v26, 3, v0
	s_movk_i32 s14, 0x1f8
	v_mad_u32_u24 v27, v0, s14, v26
	ds_read_b64 v[10:11], v27 offset:13504
	s_waitcnt lgkmcnt(0)
	ds_write_b64 v26, v[10:11] offset:12496
	ds_read_b64 v[10:11], v27 offset:13512
	s_waitcnt lgkmcnt(0)
	ds_write_b64 v26, v[10:11] offset:13008
.LBB123_731:
	s_or_b64 exec, exec, s[12:13]
	s_waitcnt lgkmcnt(0)
	s_barrier
	s_and_saveexec_b64 s[12:13], vcc
	s_cbranch_execz .LBB123_733
; %bb.732:
	v_mov_b32_e32 v26, 0
	ds_read_b64 v[28:29], v26 offset:12992
	v_mov_b32_e32 v27, 0x3ff00000
	ds_write_b64 v26, v[26:27] offset:13000
	s_waitcnt lgkmcnt(1)
	ds_write_b128 v26, v[26:29] offset:12480
.LBB123_733:
	s_or_b64 exec, exec, s[12:13]
	v_mov_b32_e32 v10, 0
	v_mov_b32_e32 v11, 0
	s_waitcnt lgkmcnt(0)
	s_barrier
	buffer_wbinvl1_vol
	s_and_saveexec_b64 s[14:15], s[8:9]
	s_cbranch_execz .LBB123_743
; %bb.734:
	v_lshlrev_b32_e32 v27, 3, v20
	v_lshlrev_b32_e32 v26, 9, v21
	ds_read_b64 v[10:11], v27 offset:12416
	ds_read_b64 v[28:29], v26 offset:12480
	v_cmp_gt_u32_e64 s[12:13], 56, v15
	s_waitcnt lgkmcnt(0)
	v_fma_f64 v[10:11], v[10:11], v[28:29], 0
	s_and_saveexec_b64 s[16:17], s[12:13]
	s_cbranch_execnz .LBB123_1200
; %bb.735:
	s_or_b64 exec, exec, s[16:17]
	v_cmp_gt_u32_e64 s[12:13], 48, v15
	s_and_saveexec_b64 s[16:17], s[12:13]
	s_cbranch_execnz .LBB123_1201
.LBB123_736:
	s_or_b64 exec, exec, s[16:17]
	v_cmp_gt_u32_e64 s[12:13], 40, v15
	s_and_saveexec_b64 s[16:17], s[12:13]
	s_cbranch_execnz .LBB123_1202
.LBB123_737:
	s_or_b64 exec, exec, s[16:17]
	v_cmp_gt_u32_e64 s[12:13], 32, v15
	s_and_saveexec_b64 s[16:17], s[12:13]
	s_cbranch_execnz .LBB123_1203
.LBB123_738:
	s_or_b64 exec, exec, s[16:17]
	v_cmp_gt_u32_e64 s[12:13], 24, v15
	s_and_saveexec_b64 s[16:17], s[12:13]
	s_cbranch_execnz .LBB123_1204
.LBB123_739:
	s_or_b64 exec, exec, s[16:17]
	s_and_saveexec_b64 s[12:13], s[18:19]
	s_cbranch_execnz .LBB123_1205
.LBB123_740:
	s_or_b64 exec, exec, s[12:13]
	v_cmp_gt_u32_e64 s[12:13], 8, v15
	s_and_saveexec_b64 s[16:17], s[12:13]
	s_cbranch_execz .LBB123_742
.LBB123_741:
	v_lshlrev_b32_e32 v26, 3, v0
	v_mov_b32_e32 v28, 0
	ds_read_b64 v[26:27], v26 offset:16000
	ds_read_b64 v[28:29], v28 offset:16120
	s_waitcnt lgkmcnt(0)
	v_fma_f64 v[10:11], v[26:27], v[28:29], v[10:11]
.LBB123_742:
	s_or_b64 exec, exec, s[16:17]
.LBB123_743:
	s_or_b64 exec, exec, s[14:15]
	s_and_saveexec_b64 s[12:13], s[58:59]
; %bb.744:
	v_xor_b32_e32 v27, 0x80000000, v11
	v_mov_b32_e32 v26, v10
	ds_write_b64 v22, v[26:27]
; %bb.745:
	s_or_b64 exec, exec, s[12:13]
	s_waitcnt lgkmcnt(0)
	s_barrier
	s_and_saveexec_b64 s[12:13], s[60:61]
	s_cbranch_execz .LBB123_747
; %bb.746:
	v_lshlrev_b32_e32 v26, 3, v20
	ds_read_b64 v[26:27], v26 offset:11904
	ds_read_b64 v[28:29], v22
	s_waitcnt lgkmcnt(0)
	v_fma_f64 v[10:11], -v[26:27], v[28:29], v[10:11]
.LBB123_747:
	s_or_b64 exec, exec, s[12:13]
	s_barrier
	s_and_saveexec_b64 s[12:13], s[62:63]
; %bb.748:
	v_xor_b32_e32 v27, 0x80000000, v11
	v_mov_b32_e32 v26, v10
	ds_write_b64 v22, v[26:27]
; %bb.749:
	s_or_b64 exec, exec, s[12:13]
	s_waitcnt lgkmcnt(0)
	s_barrier
	s_and_saveexec_b64 s[12:13], s[64:65]
	s_cbranch_execz .LBB123_751
; %bb.750:
	v_lshlrev_b32_e32 v26, 3, v20
	ds_read_b64 v[26:27], v26 offset:11392
	ds_read_b64 v[28:29], v22
	s_waitcnt lgkmcnt(0)
	v_fma_f64 v[10:11], -v[26:27], v[28:29], v[10:11]
.LBB123_751:
	s_or_b64 exec, exec, s[12:13]
	s_barrier
	s_and_saveexec_b64 s[12:13], s[66:67]
; %bb.752:
	v_xor_b32_e32 v27, 0x80000000, v11
	v_mov_b32_e32 v26, v10
	ds_write_b64 v22, v[26:27]
; %bb.753:
	s_or_b64 exec, exec, s[12:13]
	s_waitcnt lgkmcnt(0)
	s_barrier
	s_and_saveexec_b64 s[12:13], s[70:71]
	s_cbranch_execz .LBB123_755
; %bb.754:
	v_lshlrev_b32_e32 v26, 3, v20
	ds_read_b64 v[26:27], v26 offset:10880
	ds_read_b64 v[28:29], v22
	s_waitcnt lgkmcnt(0)
	v_fma_f64 v[10:11], -v[26:27], v[28:29], v[10:11]
.LBB123_755:
	s_or_b64 exec, exec, s[12:13]
	s_barrier
	s_and_saveexec_b64 s[12:13], s[72:73]
; %bb.756:
	v_xor_b32_e32 v27, 0x80000000, v11
	v_mov_b32_e32 v26, v10
	ds_write_b64 v22, v[26:27]
; %bb.757:
	s_or_b64 exec, exec, s[12:13]
	s_waitcnt lgkmcnt(0)
	s_barrier
	s_and_saveexec_b64 s[12:13], s[74:75]
	s_cbranch_execz .LBB123_759
; %bb.758:
	v_lshlrev_b32_e32 v26, 3, v20
	ds_read_b64 v[26:27], v26 offset:10368
	ds_read_b64 v[28:29], v22
	s_waitcnt lgkmcnt(0)
	v_fma_f64 v[10:11], -v[26:27], v[28:29], v[10:11]
.LBB123_759:
	s_or_b64 exec, exec, s[12:13]
	s_barrier
	s_and_saveexec_b64 s[12:13], s[76:77]
; %bb.760:
	v_xor_b32_e32 v27, 0x80000000, v11
	v_mov_b32_e32 v26, v10
	ds_write_b64 v22, v[26:27]
; %bb.761:
	s_or_b64 exec, exec, s[12:13]
	s_waitcnt lgkmcnt(0)
	s_barrier
	s_and_saveexec_b64 s[12:13], s[78:79]
	s_cbranch_execz .LBB123_763
; %bb.762:
	v_lshlrev_b32_e32 v26, 3, v20
	ds_read_b64 v[26:27], v26 offset:9856
	ds_read_b64 v[28:29], v22
	s_waitcnt lgkmcnt(0)
	v_fma_f64 v[10:11], -v[26:27], v[28:29], v[10:11]
.LBB123_763:
	s_or_b64 exec, exec, s[12:13]
	s_barrier
	s_and_saveexec_b64 s[12:13], s[80:81]
; %bb.764:
	v_xor_b32_e32 v27, 0x80000000, v11
	v_mov_b32_e32 v26, v10
	ds_write_b64 v22, v[26:27]
; %bb.765:
	s_or_b64 exec, exec, s[12:13]
	s_waitcnt lgkmcnt(0)
	s_barrier
	s_and_saveexec_b64 s[12:13], s[82:83]
	s_cbranch_execz .LBB123_767
; %bb.766:
	v_lshlrev_b32_e32 v26, 3, v20
	ds_read_b64 v[26:27], v26 offset:9344
	ds_read_b64 v[28:29], v22
	s_waitcnt lgkmcnt(0)
	v_fma_f64 v[10:11], -v[26:27], v[28:29], v[10:11]
.LBB123_767:
	s_or_b64 exec, exec, s[12:13]
	s_barrier
	s_and_saveexec_b64 s[12:13], s[84:85]
; %bb.768:
	v_xor_b32_e32 v27, 0x80000000, v11
	v_mov_b32_e32 v26, v10
	ds_write_b64 v22, v[26:27]
; %bb.769:
	s_or_b64 exec, exec, s[12:13]
	s_waitcnt lgkmcnt(0)
	s_barrier
	s_and_saveexec_b64 s[12:13], s[68:69]
	s_cbranch_execz .LBB123_771
; %bb.770:
	v_mov_b32_e32 v26, 0
	ds_read_b64 v[26:27], v26 offset:8832
	ds_read_b64 v[28:29], v22
	s_waitcnt lgkmcnt(0)
	v_fma_f64 v[10:11], -v[26:27], v[28:29], v[10:11]
.LBB123_771:
	s_or_b64 exec, exec, s[12:13]
	s_barrier
	s_and_saveexec_b64 s[12:13], s[68:69]
; %bb.772:
	v_xor_b32_e32 v27, 0x80000000, v11
	v_mov_b32_e32 v26, v10
	ds_write_b64 v22, v[26:27]
; %bb.773:
	s_or_b64 exec, exec, s[12:13]
	s_waitcnt lgkmcnt(0)
	s_barrier
	s_barrier
	s_and_saveexec_b64 s[12:13], s[8:9]
; %bb.774:
	v_lshlrev_b32_e32 v26, 3, v20
	v_lshl_or_b32 v26, v21, 9, v26
	ds_write_b64 v26, v[10:11] offset:12416
; %bb.775:
	s_or_b64 exec, exec, s[12:13]
	s_waitcnt lgkmcnt(0)
	s_barrier
	s_barrier
	s_and_saveexec_b64 s[12:13], s[86:87]
	s_cbranch_execz .LBB123_777
; %bb.776:
	v_lshlrev_b32_e32 v26, 9, v0
	ds_read_b64 v[10:11], v26 offset:12416
	s_movk_i32 s14, 0xfe08
	v_mad_i32_i24 v27, v0, s14, v26
	s_waitcnt lgkmcnt(0)
	ds_write_b64 v27, v[10:11] offset:8384
	ds_read_b64 v[10:11], v26 offset:12424
	s_waitcnt lgkmcnt(0)
	ds_write_b64 v27, v[10:11] offset:8896
	ds_read_b64 v[10:11], v26 offset:12432
	;; [unrolled: 3-line block ×7, first 2 shown]
	s_waitcnt lgkmcnt(0)
	ds_write_b64 v27, v[10:11] offset:11968
.LBB123_777:
	s_or_b64 exec, exec, s[12:13]
	s_waitcnt lgkmcnt(0)
	s_barrier
	s_and_saveexec_b64 s[12:13], vcc
	s_cbranch_execz .LBB123_779
; %bb.778:
	v_mov_b32_e32 v26, 0
	ds_read_b64 v[28:29], v26 offset:11952
	v_mov_b32_e32 v27, 0x3ff00000
	ds_write_b64 v26, v[26:27] offset:11960
	s_waitcnt lgkmcnt(1)
	ds_write_b128 v26, v[26:29] offset:11440
.LBB123_779:
	s_or_b64 exec, exec, s[12:13]
	v_mov_b32_e32 v10, 0
	v_mov_b32_e32 v11, 0
	s_waitcnt lgkmcnt(0)
	s_barrier
	buffer_wbinvl1_vol
	s_and_saveexec_b64 s[14:15], s[2:3]
	s_cbranch_execz .LBB123_783
; %bb.780:
	v_lshlrev_b32_e32 v26, 9, v13
	v_lshlrev_b32_e32 v10, 3, v12
	ds_read_b64 v[10:11], v10 offset:11424
	ds_read_b64 v[26:27], v26 offset:11440
	v_cmp_gt_u32_e64 s[12:13], 2, v15
	s_waitcnt lgkmcnt(0)
	v_fma_f64 v[10:11], v[10:11], v[26:27], 0
	s_and_saveexec_b64 s[16:17], s[12:13]
	s_cbranch_execz .LBB123_782
; %bb.781:
	v_lshlrev_b32_e32 v26, 3, v0
	v_mov_b32_e32 v28, 0
	ds_read_b64 v[26:27], v26 offset:11936
	ds_read_b64 v[28:29], v28 offset:11960
	s_waitcnt lgkmcnt(0)
	v_fma_f64 v[10:11], v[26:27], v[28:29], v[10:11]
.LBB123_782:
	s_or_b64 exec, exec, s[16:17]
.LBB123_783:
	s_or_b64 exec, exec, s[14:15]
	s_and_saveexec_b64 s[12:13], s[40:41]
; %bb.784:
	v_xor_b32_e32 v27, 0x80000000, v11
	v_mov_b32_e32 v26, v10
	ds_write_b64 v14, v[26:27]
; %bb.785:
	s_or_b64 exec, exec, s[12:13]
	s_waitcnt lgkmcnt(0)
	s_barrier
	s_and_saveexec_b64 s[12:13], s[38:39]
	s_cbranch_execz .LBB123_787
; %bb.786:
	v_mov_b32_e32 v26, 0
	ds_read_b64 v[26:27], v26 offset:10912
	ds_read_b64 v[28:29], v14
	s_waitcnt lgkmcnt(0)
	v_fma_f64 v[10:11], -v[26:27], v[28:29], v[10:11]
.LBB123_787:
	s_or_b64 exec, exec, s[12:13]
	s_barrier
	s_and_saveexec_b64 s[12:13], s[38:39]
; %bb.788:
	v_xor_b32_e32 v27, 0x80000000, v11
	v_mov_b32_e32 v26, v10
	ds_write_b64 v14, v[26:27]
; %bb.789:
	s_or_b64 exec, exec, s[12:13]
	s_waitcnt lgkmcnt(0)
	s_barrier
	s_barrier
	s_and_saveexec_b64 s[12:13], s[2:3]
; %bb.790:
	v_lshlrev_b32_e32 v26, 3, v12
	v_lshl_or_b32 v26, v13, 9, v26
	ds_write_b64 v26, v[10:11] offset:11424
; %bb.791:
	s_or_b64 exec, exec, s[12:13]
	s_waitcnt lgkmcnt(0)
	s_barrier
	s_barrier
	s_and_saveexec_b64 s[12:13], s[42:43]
	s_cbranch_execz .LBB123_793
; %bb.792:
	v_lshlrev_b32_e32 v26, 3, v0
	s_movk_i32 s14, 0x1f8
	v_mad_u32_u24 v27, v0, s14, v26
	ds_read_b64 v[10:11], v27 offset:11424
	s_waitcnt lgkmcnt(0)
	ds_write_b64 v26, v[10:11] offset:10416
	ds_read_b64 v[10:11], v27 offset:11432
	s_waitcnt lgkmcnt(0)
	ds_write_b64 v26, v[10:11] offset:10928
.LBB123_793:
	s_or_b64 exec, exec, s[12:13]
	s_waitcnt lgkmcnt(0)
	s_barrier
	s_and_saveexec_b64 s[12:13], vcc
	s_cbranch_execz .LBB123_795
; %bb.794:
	v_mov_b32_e32 v26, 0
	ds_read_b64 v[28:29], v26 offset:10912
	v_mov_b32_e32 v27, 0x3ff00000
	ds_write_b64 v26, v[26:27] offset:10920
	s_waitcnt lgkmcnt(1)
	ds_write_b128 v26, v[26:29] offset:10400
.LBB123_795:
	s_or_b64 exec, exec, s[12:13]
	v_mov_b32_e32 v10, 0
	v_mov_b32_e32 v11, 0
	s_waitcnt lgkmcnt(0)
	s_barrier
	buffer_wbinvl1_vol
	s_and_saveexec_b64 s[14:15], s[18:19]
	s_cbranch_execz .LBB123_801
; %bb.796:
	v_lshlrev_b32_e32 v27, 3, v16
	v_lshlrev_b32_e32 v26, 9, v17
	ds_read_b64 v[10:11], v27 offset:10368
	ds_read_b64 v[28:29], v26 offset:10400
	v_cmp_gt_u32_e64 s[12:13], 12, v15
	s_waitcnt lgkmcnt(0)
	v_fma_f64 v[10:11], v[10:11], v[28:29], 0
	s_and_saveexec_b64 s[16:17], s[12:13]
	s_cbranch_execnz .LBB123_1206
; %bb.797:
	s_or_b64 exec, exec, s[16:17]
	v_cmp_gt_u32_e64 s[12:13], 8, v15
	s_and_saveexec_b64 s[16:17], s[12:13]
	s_cbranch_execnz .LBB123_1207
.LBB123_798:
	s_or_b64 exec, exec, s[16:17]
	v_cmp_gt_u32_e64 s[12:13], 4, v15
	s_and_saveexec_b64 s[16:17], s[12:13]
	s_cbranch_execz .LBB123_800
.LBB123_799:
	v_lshlrev_b32_e32 v26, 3, v0
	v_mov_b32_e32 v28, 0
	ds_read_b64 v[26:27], v26 offset:11904
	ds_read_b64 v[28:29], v28 offset:11960
	s_waitcnt lgkmcnt(0)
	v_fma_f64 v[10:11], v[26:27], v[28:29], v[10:11]
.LBB123_800:
	s_or_b64 exec, exec, s[16:17]
.LBB123_801:
	s_or_b64 exec, exec, s[14:15]
	s_and_saveexec_b64 s[12:13], s[46:47]
; %bb.802:
	v_xor_b32_e32 v27, 0x80000000, v11
	v_mov_b32_e32 v26, v10
	ds_write_b64 v19, v[26:27]
; %bb.803:
	s_or_b64 exec, exec, s[12:13]
	s_waitcnt lgkmcnt(0)
	s_barrier
	s_and_saveexec_b64 s[12:13], s[48:49]
	s_cbranch_execz .LBB123_805
; %bb.804:
	v_lshlrev_b32_e32 v26, 3, v16
	ds_read_b64 v[26:27], v26 offset:9856
	ds_read_b64 v[28:29], v19
	s_waitcnt lgkmcnt(0)
	v_fma_f64 v[10:11], -v[26:27], v[28:29], v[10:11]
.LBB123_805:
	s_or_b64 exec, exec, s[12:13]
	s_barrier
	s_and_saveexec_b64 s[12:13], s[50:51]
; %bb.806:
	v_xor_b32_e32 v27, 0x80000000, v11
	v_mov_b32_e32 v26, v10
	ds_write_b64 v19, v[26:27]
; %bb.807:
	s_or_b64 exec, exec, s[12:13]
	s_waitcnt lgkmcnt(0)
	s_barrier
	s_and_saveexec_b64 s[12:13], s[52:53]
	s_cbranch_execz .LBB123_809
; %bb.808:
	v_lshlrev_b32_e32 v26, 3, v16
	ds_read_b64 v[26:27], v26 offset:9344
	ds_read_b64 v[28:29], v19
	s_waitcnt lgkmcnt(0)
	v_fma_f64 v[10:11], -v[26:27], v[28:29], v[10:11]
.LBB123_809:
	s_or_b64 exec, exec, s[12:13]
	s_barrier
	s_and_saveexec_b64 s[12:13], s[54:55]
; %bb.810:
	v_xor_b32_e32 v27, 0x80000000, v11
	v_mov_b32_e32 v26, v10
	ds_write_b64 v19, v[26:27]
; %bb.811:
	s_or_b64 exec, exec, s[12:13]
	s_waitcnt lgkmcnt(0)
	s_barrier
	s_and_saveexec_b64 s[12:13], s[44:45]
	s_cbranch_execz .LBB123_813
; %bb.812:
	v_mov_b32_e32 v26, 0
	ds_read_b64 v[26:27], v26 offset:8832
	ds_read_b64 v[28:29], v19
	s_waitcnt lgkmcnt(0)
	v_fma_f64 v[10:11], -v[26:27], v[28:29], v[10:11]
.LBB123_813:
	s_or_b64 exec, exec, s[12:13]
	s_barrier
	s_and_saveexec_b64 s[12:13], s[44:45]
; %bb.814:
	v_xor_b32_e32 v27, 0x80000000, v11
	v_mov_b32_e32 v26, v10
	ds_write_b64 v19, v[26:27]
; %bb.815:
	s_or_b64 exec, exec, s[12:13]
	s_waitcnt lgkmcnt(0)
	s_barrier
	s_barrier
	s_and_saveexec_b64 s[12:13], s[18:19]
; %bb.816:
	v_lshlrev_b32_e32 v26, 3, v16
	v_lshl_or_b32 v26, v17, 9, v26
	ds_write_b64 v26, v[10:11] offset:10368
; %bb.817:
	s_or_b64 exec, exec, s[12:13]
	s_waitcnt lgkmcnt(0)
	s_barrier
	s_barrier
	s_and_saveexec_b64 s[12:13], s[56:57]
	s_cbranch_execz .LBB123_819
; %bb.818:
	v_lshlrev_b32_e32 v26, 9, v0
	ds_read_b64 v[10:11], v26 offset:10368
	s_movk_i32 s14, 0xfe08
	v_mad_i32_i24 v27, v0, s14, v26
	s_waitcnt lgkmcnt(0)
	ds_write_b64 v27, v[10:11] offset:8352
	ds_read_b64 v[10:11], v26 offset:10376
	s_waitcnt lgkmcnt(0)
	ds_write_b64 v27, v[10:11] offset:8864
	ds_read_b64 v[10:11], v26 offset:10384
	s_waitcnt lgkmcnt(0)
	ds_write_b64 v27, v[10:11] offset:9376
	ds_read_b64 v[10:11], v26 offset:10392
	s_waitcnt lgkmcnt(0)
	ds_write_b64 v27, v[10:11] offset:9888
.LBB123_819:
	s_or_b64 exec, exec, s[12:13]
	s_waitcnt lgkmcnt(0)
	s_barrier
	s_and_saveexec_b64 s[12:13], vcc
	s_cbranch_execz .LBB123_821
; %bb.820:
	v_mov_b32_e32 v26, 0
	ds_read_b64 v[28:29], v26 offset:9872
	v_mov_b32_e32 v27, 0x3ff00000
	ds_write_b64 v26, v[26:27] offset:9880
	s_waitcnt lgkmcnt(1)
	ds_write_b128 v26, v[26:29] offset:9360
.LBB123_821:
	s_or_b64 exec, exec, s[12:13]
	v_mov_b32_e32 v10, 0
	v_mov_b32_e32 v11, 0
	s_waitcnt lgkmcnt(0)
	s_barrier
	buffer_wbinvl1_vol
	s_and_saveexec_b64 s[14:15], s[2:3]
	s_cbranch_execz .LBB123_825
; %bb.822:
	v_lshlrev_b32_e32 v26, 9, v13
	v_lshlrev_b32_e32 v10, 3, v12
	ds_read_b64 v[10:11], v10 offset:9344
	ds_read_b64 v[26:27], v26 offset:9360
	v_cmp_gt_u32_e64 s[12:13], 2, v15
	s_waitcnt lgkmcnt(0)
	v_fma_f64 v[10:11], v[10:11], v[26:27], 0
	s_and_saveexec_b64 s[16:17], s[12:13]
	s_cbranch_execz .LBB123_824
; %bb.823:
	v_lshlrev_b32_e32 v26, 3, v0
	v_mov_b32_e32 v28, 0
	ds_read_b64 v[26:27], v26 offset:9856
	ds_read_b64 v[28:29], v28 offset:9880
	s_waitcnt lgkmcnt(0)
	v_fma_f64 v[10:11], v[26:27], v[28:29], v[10:11]
.LBB123_824:
	s_or_b64 exec, exec, s[16:17]
.LBB123_825:
	s_or_b64 exec, exec, s[14:15]
	s_and_saveexec_b64 s[12:13], s[40:41]
; %bb.826:
	v_xor_b32_e32 v27, 0x80000000, v11
	v_mov_b32_e32 v26, v10
	ds_write_b64 v14, v[26:27]
; %bb.827:
	s_or_b64 exec, exec, s[12:13]
	s_waitcnt lgkmcnt(0)
	s_barrier
	s_and_saveexec_b64 s[12:13], s[38:39]
	s_cbranch_execz .LBB123_829
; %bb.828:
	v_mov_b32_e32 v26, 0
	ds_read_b64 v[26:27], v26 offset:8832
	ds_read_b64 v[28:29], v14
	s_waitcnt lgkmcnt(0)
	v_fma_f64 v[10:11], -v[26:27], v[28:29], v[10:11]
.LBB123_829:
	s_or_b64 exec, exec, s[12:13]
	s_barrier
	s_and_saveexec_b64 s[12:13], s[38:39]
; %bb.830:
	v_xor_b32_e32 v27, 0x80000000, v11
	v_mov_b32_e32 v26, v10
	ds_write_b64 v14, v[26:27]
; %bb.831:
	s_or_b64 exec, exec, s[12:13]
	s_waitcnt lgkmcnt(0)
	s_barrier
	s_barrier
	s_and_saveexec_b64 s[12:13], s[2:3]
; %bb.832:
	v_lshlrev_b32_e32 v26, 3, v12
	v_lshl_or_b32 v26, v13, 9, v26
	ds_write_b64 v26, v[10:11] offset:9344
; %bb.833:
	s_or_b64 exec, exec, s[12:13]
	s_waitcnt lgkmcnt(0)
	s_barrier
	s_barrier
	s_and_saveexec_b64 s[12:13], s[42:43]
	s_cbranch_execz .LBB123_835
; %bb.834:
	v_lshlrev_b32_e32 v26, 3, v0
	s_movk_i32 s14, 0x1f8
	v_mad_u32_u24 v27, v0, s14, v26
	ds_read_b64 v[10:11], v27 offset:9344
	s_waitcnt lgkmcnt(0)
	ds_write_b64 v26, v[10:11] offset:8336
	ds_read_b64 v[10:11], v27 offset:9352
	s_waitcnt lgkmcnt(0)
	ds_write_b64 v26, v[10:11] offset:8848
.LBB123_835:
	s_or_b64 exec, exec, s[12:13]
	s_waitcnt lgkmcnt(0)
	s_barrier
	s_and_saveexec_b64 s[12:13], vcc
	s_cbranch_execz .LBB123_837
; %bb.836:
	v_mov_b32_e32 v26, 0
	ds_read_b64 v[28:29], v26 offset:8832
	v_mov_b32_e32 v27, 0x3ff00000
	ds_write_b64 v26, v[26:27] offset:8840
	s_waitcnt lgkmcnt(1)
	ds_write_b128 v26, v[26:29] offset:8320
.LBB123_837:
	s_or_b64 exec, exec, s[12:13]
	v_mov_b32_e32 v10, 0
	v_mov_b32_e32 v11, 0
	s_waitcnt lgkmcnt(0)
	s_barrier
	buffer_wbinvl1_vol
	s_and_saveexec_b64 s[14:15], s[10:11]
	s_cbranch_execz .LBB123_865
; %bb.838:
	v_lshlrev_b32_e32 v27, 3, v23
	v_lshlrev_b32_e32 v26, 9, v24
	ds_read_b64 v[10:11], v27 offset:8192
	ds_read_b64 v[28:29], v26 offset:8320
	s_movk_i32 s12, 0xf0
	v_cmp_gt_u32_e64 s[12:13], s12, v15
	s_waitcnt lgkmcnt(0)
	v_fma_f64 v[10:11], v[10:11], v[28:29], 0
	s_and_saveexec_b64 s[16:17], s[12:13]
	s_cbranch_execz .LBB123_840
; %bb.839:
	ds_read_b64 v[28:29], v27 offset:8704
	ds_read_b64 v[30:31], v26 offset:8328
	s_waitcnt lgkmcnt(0)
	v_fma_f64 v[10:11], v[28:29], v[30:31], v[10:11]
.LBB123_840:
	s_or_b64 exec, exec, s[16:17]
	s_movk_i32 s12, 0xe0
	v_cmp_gt_u32_e64 s[12:13], s12, v15
	s_and_saveexec_b64 s[16:17], s[12:13]
	s_cbranch_execz .LBB123_842
; %bb.841:
	ds_read_b64 v[28:29], v27 offset:9216
	ds_read_b64 v[30:31], v26 offset:8336
	s_waitcnt lgkmcnt(0)
	v_fma_f64 v[10:11], v[28:29], v[30:31], v[10:11]
.LBB123_842:
	s_or_b64 exec, exec, s[16:17]
	s_movk_i32 s12, 0xd0
	v_cmp_gt_u32_e64 s[12:13], s12, v15
	s_and_saveexec_b64 s[16:17], s[12:13]
	s_cbranch_execz .LBB123_844
; %bb.843:
	ds_read_b64 v[28:29], v27 offset:9728
	ds_read_b64 v[30:31], v26 offset:8344
	s_waitcnt lgkmcnt(0)
	v_fma_f64 v[10:11], v[28:29], v[30:31], v[10:11]
.LBB123_844:
	s_or_b64 exec, exec, s[16:17]
	s_movk_i32 s12, 0xc0
	v_cmp_gt_u32_e64 s[12:13], s12, v15
	s_and_saveexec_b64 s[16:17], s[12:13]
	s_cbranch_execz .LBB123_846
; %bb.845:
	ds_read_b64 v[28:29], v27 offset:10240
	ds_read_b64 v[30:31], v26 offset:8352
	s_waitcnt lgkmcnt(0)
	v_fma_f64 v[10:11], v[28:29], v[30:31], v[10:11]
.LBB123_846:
	s_or_b64 exec, exec, s[16:17]
	s_movk_i32 s12, 0xb0
	v_cmp_gt_u32_e64 s[12:13], s12, v15
	s_and_saveexec_b64 s[16:17], s[12:13]
	s_cbranch_execz .LBB123_848
; %bb.847:
	ds_read_b64 v[28:29], v27 offset:10752
	ds_read_b64 v[30:31], v26 offset:8360
	s_waitcnt lgkmcnt(0)
	v_fma_f64 v[10:11], v[28:29], v[30:31], v[10:11]
.LBB123_848:
	s_or_b64 exec, exec, s[16:17]
	s_movk_i32 s12, 0xa0
	v_cmp_gt_u32_e64 s[12:13], s12, v15
	s_and_saveexec_b64 s[16:17], s[12:13]
	s_cbranch_execz .LBB123_850
; %bb.849:
	ds_read_b64 v[28:29], v27 offset:11264
	ds_read_b64 v[30:31], v26 offset:8368
	s_waitcnt lgkmcnt(0)
	v_fma_f64 v[10:11], v[28:29], v[30:31], v[10:11]
.LBB123_850:
	s_or_b64 exec, exec, s[16:17]
	s_movk_i32 s12, 0x90
	v_cmp_gt_u32_e64 s[12:13], s12, v15
	s_and_saveexec_b64 s[16:17], s[12:13]
	s_cbranch_execz .LBB123_852
; %bb.851:
	ds_read_b64 v[28:29], v27 offset:11776
	ds_read_b64 v[30:31], v26 offset:8376
	s_waitcnt lgkmcnt(0)
	v_fma_f64 v[10:11], v[28:29], v[30:31], v[10:11]
.LBB123_852:
	s_or_b64 exec, exec, s[16:17]
	s_movk_i32 s12, 0x80
	v_cmp_gt_u32_e64 s[12:13], s12, v15
	s_and_saveexec_b64 s[16:17], s[12:13]
	s_cbranch_execz .LBB123_854
; %bb.853:
	ds_read_b64 v[28:29], v27 offset:12288
	ds_read_b64 v[30:31], v26 offset:8384
	s_waitcnt lgkmcnt(0)
	v_fma_f64 v[10:11], v[28:29], v[30:31], v[10:11]
.LBB123_854:
	s_or_b64 exec, exec, s[16:17]
	s_movk_i32 s12, 0x70
	v_cmp_gt_u32_e64 s[12:13], s12, v15
	s_and_saveexec_b64 s[16:17], s[12:13]
	s_cbranch_execz .LBB123_856
; %bb.855:
	ds_read_b64 v[28:29], v27 offset:12800
	ds_read_b64 v[30:31], v26 offset:8392
	s_waitcnt lgkmcnt(0)
	v_fma_f64 v[10:11], v[28:29], v[30:31], v[10:11]
.LBB123_856:
	s_or_b64 exec, exec, s[16:17]
	s_movk_i32 s12, 0x60
	v_cmp_gt_u32_e64 s[12:13], s12, v15
	s_and_saveexec_b64 s[16:17], s[12:13]
	s_cbranch_execz .LBB123_858
; %bb.857:
	ds_read_b64 v[28:29], v27 offset:13312
	ds_read_b64 v[30:31], v26 offset:8400
	s_waitcnt lgkmcnt(0)
	v_fma_f64 v[10:11], v[28:29], v[30:31], v[10:11]
.LBB123_858:
	s_or_b64 exec, exec, s[16:17]
	s_movk_i32 s12, 0x50
	v_cmp_gt_u32_e64 s[12:13], s12, v15
	s_and_saveexec_b64 s[16:17], s[12:13]
	s_cbranch_execnz .LBB123_1208
; %bb.859:
	s_or_b64 exec, exec, s[16:17]
	s_and_saveexec_b64 s[12:13], s[8:9]
	s_cbranch_execnz .LBB123_1209
.LBB123_860:
	s_or_b64 exec, exec, s[12:13]
	v_cmp_gt_u32_e64 s[12:13], 48, v15
	s_and_saveexec_b64 s[16:17], s[12:13]
	s_cbranch_execnz .LBB123_1210
.LBB123_861:
	s_or_b64 exec, exec, s[16:17]
	v_cmp_gt_u32_e64 s[12:13], 32, v15
	s_and_saveexec_b64 s[16:17], s[12:13]
	s_cbranch_execnz .LBB123_1211
.LBB123_862:
	s_or_b64 exec, exec, s[16:17]
	v_cmp_gt_u32_e64 s[12:13], 16, v15
	s_and_saveexec_b64 s[16:17], s[12:13]
	s_cbranch_execz .LBB123_864
.LBB123_863:
	v_lshlrev_b32_e32 v26, 3, v0
	v_mov_b32_e32 v28, 0
	ds_read_b64 v[26:27], v26 offset:15872
	ds_read_b64 v[28:29], v28 offset:16120
	s_waitcnt lgkmcnt(0)
	v_fma_f64 v[10:11], v[26:27], v[28:29], v[10:11]
.LBB123_864:
	s_or_b64 exec, exec, s[16:17]
.LBB123_865:
	s_or_b64 exec, exec, s[14:15]
	s_mov_b64 s[12:13], exec
	v_readlane_b32 s14, v35, 4
	v_readlane_b32 s15, v35, 5
	s_and_b64 s[14:15], s[12:13], s[14:15]
	s_mov_b64 exec, s[14:15]
; %bb.866:
	v_xor_b32_e32 v27, 0x80000000, v11
	v_mov_b32_e32 v26, v10
	ds_write_b64 v25, v[26:27]
; %bb.867:
	s_or_b64 exec, exec, s[12:13]
	s_waitcnt lgkmcnt(0)
	s_barrier
	s_mov_b64 s[12:13], exec
	v_readlane_b32 s14, v35, 6
	v_readlane_b32 s15, v35, 7
	s_and_b64 s[14:15], s[12:13], s[14:15]
	s_mov_b64 exec, s[14:15]
	s_cbranch_execz .LBB123_869
; %bb.868:
	v_lshlrev_b32_e32 v26, 3, v23
	ds_read_b64 v[26:27], v26 offset:7680
	ds_read_b64 v[28:29], v25
	s_waitcnt lgkmcnt(0)
	v_fma_f64 v[10:11], -v[26:27], v[28:29], v[10:11]
.LBB123_869:
	s_or_b64 exec, exec, s[12:13]
	s_barrier
	s_mov_b64 s[12:13], exec
	v_readlane_b32 s14, v35, 8
	v_readlane_b32 s15, v35, 9
	s_and_b64 s[14:15], s[12:13], s[14:15]
	s_mov_b64 exec, s[14:15]
; %bb.870:
	v_xor_b32_e32 v27, 0x80000000, v11
	v_mov_b32_e32 v26, v10
	ds_write_b64 v25, v[26:27]
; %bb.871:
	s_or_b64 exec, exec, s[12:13]
	s_waitcnt lgkmcnt(0)
	s_barrier
	s_mov_b64 s[12:13], exec
	v_readlane_b32 s14, v35, 10
	v_readlane_b32 s15, v35, 11
	s_and_b64 s[14:15], s[12:13], s[14:15]
	s_mov_b64 exec, s[14:15]
	s_cbranch_execz .LBB123_873
; %bb.872:
	v_lshlrev_b32_e32 v26, 3, v23
	ds_read_b64 v[26:27], v26 offset:7168
	ds_read_b64 v[28:29], v25
	s_waitcnt lgkmcnt(0)
	v_fma_f64 v[10:11], -v[26:27], v[28:29], v[10:11]
.LBB123_873:
	s_or_b64 exec, exec, s[12:13]
	s_barrier
	s_mov_b64 s[12:13], exec
	v_readlane_b32 s14, v35, 12
	v_readlane_b32 s15, v35, 13
	s_and_b64 s[14:15], s[12:13], s[14:15]
	s_mov_b64 exec, s[14:15]
; %bb.874:
	v_xor_b32_e32 v27, 0x80000000, v11
	v_mov_b32_e32 v26, v10
	ds_write_b64 v25, v[26:27]
; %bb.875:
	s_or_b64 exec, exec, s[12:13]
	s_waitcnt lgkmcnt(0)
	s_barrier
	s_mov_b64 s[12:13], exec
	v_readlane_b32 s14, v35, 14
	v_readlane_b32 s15, v35, 15
	s_and_b64 s[14:15], s[12:13], s[14:15]
	s_mov_b64 exec, s[14:15]
	s_cbranch_execz .LBB123_877
; %bb.876:
	v_lshlrev_b32_e32 v26, 3, v23
	ds_read_b64 v[26:27], v26 offset:6656
	ds_read_b64 v[28:29], v25
	s_waitcnt lgkmcnt(0)
	v_fma_f64 v[10:11], -v[26:27], v[28:29], v[10:11]
.LBB123_877:
	s_or_b64 exec, exec, s[12:13]
	s_barrier
	s_mov_b64 s[12:13], exec
	v_readlane_b32 s14, v35, 16
	v_readlane_b32 s15, v35, 17
	s_and_b64 s[14:15], s[12:13], s[14:15]
	s_mov_b64 exec, s[14:15]
; %bb.878:
	v_xor_b32_e32 v27, 0x80000000, v11
	v_mov_b32_e32 v26, v10
	ds_write_b64 v25, v[26:27]
; %bb.879:
	s_or_b64 exec, exec, s[12:13]
	s_waitcnt lgkmcnt(0)
	s_barrier
	s_mov_b64 s[12:13], exec
	v_readlane_b32 s14, v35, 18
	v_readlane_b32 s15, v35, 19
	s_and_b64 s[14:15], s[12:13], s[14:15]
	s_mov_b64 exec, s[14:15]
	s_cbranch_execz .LBB123_881
; %bb.880:
	v_lshlrev_b32_e32 v26, 3, v23
	ds_read_b64 v[26:27], v26 offset:6144
	ds_read_b64 v[28:29], v25
	s_waitcnt lgkmcnt(0)
	v_fma_f64 v[10:11], -v[26:27], v[28:29], v[10:11]
.LBB123_881:
	s_or_b64 exec, exec, s[12:13]
	s_barrier
	s_mov_b64 s[12:13], exec
	v_readlane_b32 s14, v35, 20
	v_readlane_b32 s15, v35, 21
	s_and_b64 s[14:15], s[12:13], s[14:15]
	s_mov_b64 exec, s[14:15]
; %bb.882:
	v_xor_b32_e32 v27, 0x80000000, v11
	v_mov_b32_e32 v26, v10
	ds_write_b64 v25, v[26:27]
; %bb.883:
	s_or_b64 exec, exec, s[12:13]
	s_waitcnt lgkmcnt(0)
	s_barrier
	s_mov_b64 s[12:13], exec
	v_readlane_b32 s14, v35, 22
	v_readlane_b32 s15, v35, 23
	s_and_b64 s[14:15], s[12:13], s[14:15]
	s_mov_b64 exec, s[14:15]
	s_cbranch_execz .LBB123_885
; %bb.884:
	v_lshlrev_b32_e32 v26, 3, v23
	ds_read_b64 v[26:27], v26 offset:5632
	ds_read_b64 v[28:29], v25
	s_waitcnt lgkmcnt(0)
	v_fma_f64 v[10:11], -v[26:27], v[28:29], v[10:11]
.LBB123_885:
	s_or_b64 exec, exec, s[12:13]
	s_barrier
	s_mov_b64 s[12:13], exec
	v_readlane_b32 s14, v35, 24
	v_readlane_b32 s15, v35, 25
	s_and_b64 s[14:15], s[12:13], s[14:15]
	s_mov_b64 exec, s[14:15]
; %bb.886:
	v_xor_b32_e32 v27, 0x80000000, v11
	v_mov_b32_e32 v26, v10
	ds_write_b64 v25, v[26:27]
; %bb.887:
	s_or_b64 exec, exec, s[12:13]
	s_waitcnt lgkmcnt(0)
	s_barrier
	s_mov_b64 s[12:13], exec
	v_readlane_b32 s14, v35, 26
	v_readlane_b32 s15, v35, 27
	s_and_b64 s[14:15], s[12:13], s[14:15]
	s_mov_b64 exec, s[14:15]
	s_cbranch_execz .LBB123_889
; %bb.888:
	v_lshlrev_b32_e32 v26, 3, v23
	ds_read_b64 v[26:27], v26 offset:5120
	ds_read_b64 v[28:29], v25
	s_waitcnt lgkmcnt(0)
	v_fma_f64 v[10:11], -v[26:27], v[28:29], v[10:11]
.LBB123_889:
	s_or_b64 exec, exec, s[12:13]
	s_barrier
	s_mov_b64 s[12:13], exec
	v_readlane_b32 s14, v35, 28
	v_readlane_b32 s15, v35, 29
	s_and_b64 s[14:15], s[12:13], s[14:15]
	s_mov_b64 exec, s[14:15]
; %bb.890:
	v_xor_b32_e32 v27, 0x80000000, v11
	v_mov_b32_e32 v26, v10
	ds_write_b64 v25, v[26:27]
; %bb.891:
	s_or_b64 exec, exec, s[12:13]
	s_waitcnt lgkmcnt(0)
	s_barrier
	s_mov_b64 s[12:13], exec
	v_readlane_b32 s14, v35, 30
	v_readlane_b32 s15, v35, 31
	s_and_b64 s[14:15], s[12:13], s[14:15]
	s_mov_b64 exec, s[14:15]
	s_cbranch_execz .LBB123_893
; %bb.892:
	v_lshlrev_b32_e32 v26, 3, v23
	ds_read_b64 v[26:27], v26 offset:4608
	ds_read_b64 v[28:29], v25
	s_waitcnt lgkmcnt(0)
	v_fma_f64 v[10:11], -v[26:27], v[28:29], v[10:11]
.LBB123_893:
	s_or_b64 exec, exec, s[12:13]
	s_barrier
	s_mov_b64 s[12:13], exec
	v_readlane_b32 s14, v35, 32
	v_readlane_b32 s15, v35, 33
	s_and_b64 s[14:15], s[12:13], s[14:15]
	s_mov_b64 exec, s[14:15]
; %bb.894:
	v_xor_b32_e32 v27, 0x80000000, v11
	v_mov_b32_e32 v26, v10
	ds_write_b64 v25, v[26:27]
; %bb.895:
	s_or_b64 exec, exec, s[12:13]
	s_waitcnt lgkmcnt(0)
	s_barrier
	s_mov_b64 s[12:13], exec
	v_readlane_b32 s14, v35, 34
	v_readlane_b32 s15, v35, 35
	s_and_b64 s[14:15], s[12:13], s[14:15]
	s_mov_b64 exec, s[14:15]
	s_cbranch_execz .LBB123_897
; %bb.896:
	v_lshlrev_b32_e32 v26, 3, v23
	ds_read_b64 v[26:27], v26 offset:4096
	ds_read_b64 v[28:29], v25
	s_waitcnt lgkmcnt(0)
	v_fma_f64 v[10:11], -v[26:27], v[28:29], v[10:11]
.LBB123_897:
	s_or_b64 exec, exec, s[12:13]
	s_barrier
	s_mov_b64 s[12:13], exec
	v_readlane_b32 s14, v35, 36
	v_readlane_b32 s15, v35, 37
	s_and_b64 s[14:15], s[12:13], s[14:15]
	s_mov_b64 exec, s[14:15]
; %bb.898:
	v_xor_b32_e32 v27, 0x80000000, v11
	v_mov_b32_e32 v26, v10
	ds_write_b64 v25, v[26:27]
; %bb.899:
	s_or_b64 exec, exec, s[12:13]
	s_waitcnt lgkmcnt(0)
	s_barrier
	s_mov_b64 s[12:13], exec
	v_readlane_b32 s14, v35, 38
	v_readlane_b32 s15, v35, 39
	s_and_b64 s[14:15], s[12:13], s[14:15]
	s_mov_b64 exec, s[14:15]
	s_cbranch_execz .LBB123_901
; %bb.900:
	v_lshlrev_b32_e32 v26, 3, v23
	ds_read_b64 v[26:27], v26 offset:3584
	ds_read_b64 v[28:29], v25
	s_waitcnt lgkmcnt(0)
	v_fma_f64 v[10:11], -v[26:27], v[28:29], v[10:11]
.LBB123_901:
	s_or_b64 exec, exec, s[12:13]
	s_barrier
	s_mov_b64 s[12:13], exec
	v_readlane_b32 s14, v35, 40
	v_readlane_b32 s15, v35, 41
	s_and_b64 s[14:15], s[12:13], s[14:15]
	s_mov_b64 exec, s[14:15]
; %bb.902:
	v_xor_b32_e32 v27, 0x80000000, v11
	v_mov_b32_e32 v26, v10
	ds_write_b64 v25, v[26:27]
; %bb.903:
	s_or_b64 exec, exec, s[12:13]
	s_waitcnt lgkmcnt(0)
	s_barrier
	s_mov_b64 s[12:13], exec
	v_readlane_b32 s14, v35, 42
	v_readlane_b32 s15, v35, 43
	s_and_b64 s[14:15], s[12:13], s[14:15]
	s_mov_b64 exec, s[14:15]
	s_cbranch_execz .LBB123_905
; %bb.904:
	v_lshlrev_b32_e32 v26, 3, v23
	ds_read_b64 v[26:27], v26 offset:3072
	ds_read_b64 v[28:29], v25
	s_waitcnt lgkmcnt(0)
	v_fma_f64 v[10:11], -v[26:27], v[28:29], v[10:11]
.LBB123_905:
	s_or_b64 exec, exec, s[12:13]
	s_barrier
	s_mov_b64 s[12:13], exec
	v_readlane_b32 s14, v35, 44
	v_readlane_b32 s15, v35, 45
	s_and_b64 s[14:15], s[12:13], s[14:15]
	s_mov_b64 exec, s[14:15]
; %bb.906:
	v_xor_b32_e32 v27, 0x80000000, v11
	v_mov_b32_e32 v26, v10
	ds_write_b64 v25, v[26:27]
; %bb.907:
	s_or_b64 exec, exec, s[12:13]
	s_waitcnt lgkmcnt(0)
	s_barrier
	s_mov_b64 s[12:13], exec
	v_readlane_b32 s14, v35, 46
	v_readlane_b32 s15, v35, 47
	s_and_b64 s[14:15], s[12:13], s[14:15]
	s_mov_b64 exec, s[14:15]
	s_cbranch_execz .LBB123_909
; %bb.908:
	v_lshlrev_b32_e32 v26, 3, v23
	ds_read_b64 v[26:27], v26 offset:2560
	ds_read_b64 v[28:29], v25
	s_waitcnt lgkmcnt(0)
	v_fma_f64 v[10:11], -v[26:27], v[28:29], v[10:11]
.LBB123_909:
	s_or_b64 exec, exec, s[12:13]
	s_barrier
	s_mov_b64 s[12:13], exec
	v_readlane_b32 s14, v35, 48
	v_readlane_b32 s15, v35, 49
	s_and_b64 s[14:15], s[12:13], s[14:15]
	s_mov_b64 exec, s[14:15]
; %bb.910:
	v_xor_b32_e32 v27, 0x80000000, v11
	v_mov_b32_e32 v26, v10
	ds_write_b64 v25, v[26:27]
; %bb.911:
	s_or_b64 exec, exec, s[12:13]
	s_waitcnt lgkmcnt(0)
	s_barrier
	s_mov_b64 s[12:13], exec
	v_readlane_b32 s14, v35, 50
	v_readlane_b32 s15, v35, 51
	s_and_b64 s[14:15], s[12:13], s[14:15]
	s_mov_b64 exec, s[14:15]
	s_cbranch_execz .LBB123_913
; %bb.912:
	v_lshlrev_b32_e32 v26, 3, v23
	ds_read_b64 v[26:27], v26 offset:2048
	ds_read_b64 v[28:29], v25
	s_waitcnt lgkmcnt(0)
	v_fma_f64 v[10:11], -v[26:27], v[28:29], v[10:11]
.LBB123_913:
	s_or_b64 exec, exec, s[12:13]
	s_barrier
	s_mov_b64 s[12:13], exec
	v_readlane_b32 s14, v35, 52
	v_readlane_b32 s15, v35, 53
	s_and_b64 s[14:15], s[12:13], s[14:15]
	s_mov_b64 exec, s[14:15]
; %bb.914:
	v_xor_b32_e32 v27, 0x80000000, v11
	v_mov_b32_e32 v26, v10
	ds_write_b64 v25, v[26:27]
; %bb.915:
	s_or_b64 exec, exec, s[12:13]
	s_waitcnt lgkmcnt(0)
	s_barrier
	s_mov_b64 s[12:13], exec
	v_readlane_b32 s14, v35, 54
	v_readlane_b32 s15, v35, 55
	s_and_b64 s[14:15], s[12:13], s[14:15]
	s_mov_b64 exec, s[14:15]
	s_cbranch_execz .LBB123_917
; %bb.916:
	v_lshlrev_b32_e32 v26, 3, v23
	ds_read_b64 v[26:27], v26 offset:1536
	ds_read_b64 v[28:29], v25
	s_waitcnt lgkmcnt(0)
	v_fma_f64 v[10:11], -v[26:27], v[28:29], v[10:11]
.LBB123_917:
	s_or_b64 exec, exec, s[12:13]
	s_barrier
	s_mov_b64 s[12:13], exec
	v_readlane_b32 s14, v35, 56
	v_readlane_b32 s15, v35, 57
	s_and_b64 s[14:15], s[12:13], s[14:15]
	s_mov_b64 exec, s[14:15]
; %bb.918:
	v_xor_b32_e32 v27, 0x80000000, v11
	v_mov_b32_e32 v26, v10
	ds_write_b64 v25, v[26:27]
; %bb.919:
	s_or_b64 exec, exec, s[12:13]
	s_waitcnt lgkmcnt(0)
	s_barrier
	s_and_saveexec_b64 s[12:13], s[0:1]
	s_cbranch_execz .LBB123_921
; %bb.920:
	v_lshlrev_b32_e32 v26, 3, v23
	ds_read_b64 v[26:27], v26 offset:1024
	ds_read_b64 v[28:29], v25
	s_waitcnt lgkmcnt(0)
	v_fma_f64 v[10:11], -v[26:27], v[28:29], v[10:11]
.LBB123_921:
	s_or_b64 exec, exec, s[12:13]
	s_barrier
	s_mov_b64 s[0:1], exec
	v_readlane_b32 s12, v35, 58
	v_readlane_b32 s13, v35, 59
	s_and_b64 s[12:13], s[0:1], s[12:13]
	s_mov_b64 exec, s[12:13]
; %bb.922:
	v_xor_b32_e32 v27, 0x80000000, v11
	v_mov_b32_e32 v26, v10
	ds_write_b64 v25, v[26:27]
; %bb.923:
	s_or_b64 exec, exec, s[0:1]
	s_waitcnt lgkmcnt(0)
	s_barrier
	s_and_saveexec_b64 s[0:1], s[94:95]
	s_cbranch_execz .LBB123_925
; %bb.924:
	v_mov_b32_e32 v26, 0
	ds_read_b64 v[26:27], v26 offset:512
	ds_read_b64 v[28:29], v25
	s_waitcnt lgkmcnt(0)
	v_fma_f64 v[10:11], -v[26:27], v[28:29], v[10:11]
.LBB123_925:
	s_or_b64 exec, exec, s[0:1]
	s_barrier
	s_and_saveexec_b64 s[0:1], s[94:95]
; %bb.926:
	v_xor_b32_e32 v27, 0x80000000, v11
	v_mov_b32_e32 v26, v10
	ds_write_b64 v25, v[26:27]
; %bb.927:
	s_or_b64 exec, exec, s[0:1]
	s_waitcnt lgkmcnt(0)
	s_barrier
	s_barrier
	s_and_saveexec_b64 s[0:1], s[10:11]
; %bb.928:
	v_lshlrev_b32_e32 v23, 3, v23
	v_lshl_or_b32 v23, v24, 9, v23
	ds_write_b64 v23, v[10:11] offset:8192
; %bb.929:
	s_or_b64 exec, exec, s[0:1]
	s_waitcnt lgkmcnt(0)
	s_barrier
	s_barrier
	s_and_saveexec_b64 s[0:1], s[90:91]
	s_cbranch_execz .LBB123_931
; %bb.930:
	v_lshlrev_b32_e32 v23, 9, v0
	ds_read_b64 v[10:11], v23 offset:8192
	s_movk_i32 s10, 0xfe08
	v_mad_i32_i24 v24, v0, s10, v23
	s_waitcnt lgkmcnt(0)
	ds_write_b64 v24, v[10:11] offset:128
	ds_read_b64 v[10:11], v23 offset:8200
	s_waitcnt lgkmcnt(0)
	ds_write_b64 v24, v[10:11] offset:640
	ds_read_b64 v[10:11], v23 offset:8208
	;; [unrolled: 3-line block ×15, first 2 shown]
	s_waitcnt lgkmcnt(0)
	ds_write_b64 v24, v[10:11] offset:7808
.LBB123_931:
	s_or_b64 exec, exec, s[0:1]
	s_waitcnt lgkmcnt(0)
	s_barrier
	s_and_saveexec_b64 s[0:1], vcc
	s_cbranch_execz .LBB123_933
; %bb.932:
	v_mov_b32_e32 v23, 0
	ds_read_b64 v[25:26], v23 offset:7792
	v_mov_b32_e32 v24, 0x3ff00000
	ds_write_b64 v23, v[23:24] offset:7800
	s_waitcnt lgkmcnt(1)
	ds_write_b128 v23, v[23:26] offset:7280
.LBB123_933:
	s_or_b64 exec, exec, s[0:1]
	v_mov_b32_e32 v10, 0
	v_mov_b32_e32 v11, 0
	s_waitcnt lgkmcnt(0)
	s_barrier
	buffer_wbinvl1_vol
	s_and_saveexec_b64 s[0:1], s[2:3]
	s_cbranch_execz .LBB123_937
; %bb.934:
	v_lshlrev_b32_e32 v23, 9, v13
	v_lshlrev_b32_e32 v10, 3, v12
	ds_read_b64 v[10:11], v10 offset:7264
	ds_read_b64 v[23:24], v23 offset:7280
	v_cmp_gt_u32_e64 s[10:11], 2, v15
	s_waitcnt lgkmcnt(0)
	v_fma_f64 v[10:11], v[10:11], v[23:24], 0
	s_and_saveexec_b64 s[12:13], s[10:11]
	s_cbranch_execz .LBB123_936
; %bb.935:
	v_lshlrev_b32_e32 v23, 3, v0
	v_mov_b32_e32 v25, 0
	ds_read_b64 v[23:24], v23 offset:7776
	ds_read_b64 v[25:26], v25 offset:7800
	s_waitcnt lgkmcnt(0)
	v_fma_f64 v[10:11], v[23:24], v[25:26], v[10:11]
.LBB123_936:
	s_or_b64 exec, exec, s[12:13]
.LBB123_937:
	s_or_b64 exec, exec, s[0:1]
	s_and_saveexec_b64 s[0:1], s[40:41]
; %bb.938:
	v_xor_b32_e32 v24, 0x80000000, v11
	v_mov_b32_e32 v23, v10
	ds_write_b64 v14, v[23:24]
; %bb.939:
	s_or_b64 exec, exec, s[0:1]
	s_waitcnt lgkmcnt(0)
	s_barrier
	s_and_saveexec_b64 s[0:1], s[38:39]
	s_cbranch_execz .LBB123_941
; %bb.940:
	v_mov_b32_e32 v23, 0
	ds_read_b64 v[23:24], v23 offset:6752
	ds_read_b64 v[25:26], v14
	s_waitcnt lgkmcnt(0)
	v_fma_f64 v[10:11], -v[23:24], v[25:26], v[10:11]
.LBB123_941:
	s_or_b64 exec, exec, s[0:1]
	s_barrier
	s_and_saveexec_b64 s[0:1], s[38:39]
; %bb.942:
	v_xor_b32_e32 v24, 0x80000000, v11
	v_mov_b32_e32 v23, v10
	ds_write_b64 v14, v[23:24]
; %bb.943:
	s_or_b64 exec, exec, s[0:1]
	s_waitcnt lgkmcnt(0)
	s_barrier
	s_barrier
	s_and_saveexec_b64 s[0:1], s[2:3]
; %bb.944:
	v_lshlrev_b32_e32 v23, 3, v12
	v_lshl_or_b32 v23, v13, 9, v23
	ds_write_b64 v23, v[10:11] offset:7264
; %bb.945:
	s_or_b64 exec, exec, s[0:1]
	s_waitcnt lgkmcnt(0)
	s_barrier
	s_barrier
	s_and_saveexec_b64 s[0:1], s[42:43]
	s_cbranch_execz .LBB123_947
; %bb.946:
	v_lshlrev_b32_e32 v23, 3, v0
	s_movk_i32 s10, 0x1f8
	v_mad_u32_u24 v24, v0, s10, v23
	ds_read_b64 v[10:11], v24 offset:7264
	s_waitcnt lgkmcnt(0)
	ds_write_b64 v23, v[10:11] offset:6256
	ds_read_b64 v[10:11], v24 offset:7272
	s_waitcnt lgkmcnt(0)
	ds_write_b64 v23, v[10:11] offset:6768
.LBB123_947:
	s_or_b64 exec, exec, s[0:1]
	s_waitcnt lgkmcnt(0)
	s_barrier
	s_and_saveexec_b64 s[0:1], vcc
	s_cbranch_execz .LBB123_949
; %bb.948:
	v_mov_b32_e32 v23, 0
	ds_read_b64 v[25:26], v23 offset:6752
	v_mov_b32_e32 v24, 0x3ff00000
	ds_write_b64 v23, v[23:24] offset:6760
	s_waitcnt lgkmcnt(1)
	ds_write_b128 v23, v[23:26] offset:6240
.LBB123_949:
	s_or_b64 exec, exec, s[0:1]
	v_mov_b32_e32 v10, 0
	v_mov_b32_e32 v11, 0
	s_waitcnt lgkmcnt(0)
	s_barrier
	buffer_wbinvl1_vol
	s_and_saveexec_b64 s[0:1], s[18:19]
	s_cbranch_execz .LBB123_955
; %bb.950:
	v_lshlrev_b32_e32 v24, 3, v16
	v_lshlrev_b32_e32 v23, 9, v17
	ds_read_b64 v[10:11], v24 offset:6208
	ds_read_b64 v[25:26], v23 offset:6240
	v_cmp_gt_u32_e64 s[10:11], 12, v15
	s_waitcnt lgkmcnt(0)
	v_fma_f64 v[10:11], v[10:11], v[25:26], 0
	s_and_saveexec_b64 s[12:13], s[10:11]
	s_cbranch_execnz .LBB123_1212
; %bb.951:
	s_or_b64 exec, exec, s[12:13]
	v_cmp_gt_u32_e64 s[10:11], 8, v15
	s_and_saveexec_b64 s[12:13], s[10:11]
	s_cbranch_execnz .LBB123_1213
.LBB123_952:
	s_or_b64 exec, exec, s[12:13]
	v_cmp_gt_u32_e64 s[10:11], 4, v15
	s_and_saveexec_b64 s[12:13], s[10:11]
	s_cbranch_execz .LBB123_954
.LBB123_953:
	v_lshlrev_b32_e32 v23, 3, v0
	v_mov_b32_e32 v25, 0
	ds_read_b64 v[23:24], v23 offset:7744
	ds_read_b64 v[25:26], v25 offset:7800
	s_waitcnt lgkmcnt(0)
	v_fma_f64 v[10:11], v[23:24], v[25:26], v[10:11]
.LBB123_954:
	s_or_b64 exec, exec, s[12:13]
.LBB123_955:
	s_or_b64 exec, exec, s[0:1]
	s_and_saveexec_b64 s[0:1], s[46:47]
; %bb.956:
	v_xor_b32_e32 v24, 0x80000000, v11
	v_mov_b32_e32 v23, v10
	ds_write_b64 v19, v[23:24]
; %bb.957:
	s_or_b64 exec, exec, s[0:1]
	s_waitcnt lgkmcnt(0)
	s_barrier
	s_and_saveexec_b64 s[0:1], s[48:49]
	s_cbranch_execz .LBB123_959
; %bb.958:
	v_lshlrev_b32_e32 v23, 3, v16
	ds_read_b64 v[23:24], v23 offset:5696
	ds_read_b64 v[25:26], v19
	s_waitcnt lgkmcnt(0)
	v_fma_f64 v[10:11], -v[23:24], v[25:26], v[10:11]
.LBB123_959:
	s_or_b64 exec, exec, s[0:1]
	s_barrier
	s_and_saveexec_b64 s[0:1], s[50:51]
; %bb.960:
	v_xor_b32_e32 v24, 0x80000000, v11
	v_mov_b32_e32 v23, v10
	ds_write_b64 v19, v[23:24]
; %bb.961:
	s_or_b64 exec, exec, s[0:1]
	s_waitcnt lgkmcnt(0)
	s_barrier
	s_and_saveexec_b64 s[0:1], s[52:53]
	s_cbranch_execz .LBB123_963
; %bb.962:
	v_lshlrev_b32_e32 v23, 3, v16
	ds_read_b64 v[23:24], v23 offset:5184
	ds_read_b64 v[25:26], v19
	s_waitcnt lgkmcnt(0)
	v_fma_f64 v[10:11], -v[23:24], v[25:26], v[10:11]
.LBB123_963:
	s_or_b64 exec, exec, s[0:1]
	s_barrier
	s_and_saveexec_b64 s[0:1], s[54:55]
; %bb.964:
	v_xor_b32_e32 v24, 0x80000000, v11
	v_mov_b32_e32 v23, v10
	ds_write_b64 v19, v[23:24]
; %bb.965:
	s_or_b64 exec, exec, s[0:1]
	s_waitcnt lgkmcnt(0)
	s_barrier
	s_and_saveexec_b64 s[0:1], s[44:45]
	s_cbranch_execz .LBB123_967
; %bb.966:
	v_mov_b32_e32 v23, 0
	ds_read_b64 v[23:24], v23 offset:4672
	ds_read_b64 v[25:26], v19
	s_waitcnt lgkmcnt(0)
	v_fma_f64 v[10:11], -v[23:24], v[25:26], v[10:11]
.LBB123_967:
	s_or_b64 exec, exec, s[0:1]
	s_barrier
	s_and_saveexec_b64 s[0:1], s[44:45]
; %bb.968:
	v_xor_b32_e32 v24, 0x80000000, v11
	v_mov_b32_e32 v23, v10
	ds_write_b64 v19, v[23:24]
; %bb.969:
	s_or_b64 exec, exec, s[0:1]
	s_waitcnt lgkmcnt(0)
	s_barrier
	s_barrier
	s_and_saveexec_b64 s[0:1], s[18:19]
; %bb.970:
	v_lshlrev_b32_e32 v23, 3, v16
	v_lshl_or_b32 v23, v17, 9, v23
	ds_write_b64 v23, v[10:11] offset:6208
; %bb.971:
	s_or_b64 exec, exec, s[0:1]
	s_waitcnt lgkmcnt(0)
	s_barrier
	s_barrier
	s_and_saveexec_b64 s[0:1], s[56:57]
	s_cbranch_execz .LBB123_973
; %bb.972:
	v_lshlrev_b32_e32 v23, 9, v0
	ds_read_b64 v[10:11], v23 offset:6208
	s_movk_i32 s10, 0xfe08
	v_mad_i32_i24 v24, v0, s10, v23
	s_waitcnt lgkmcnt(0)
	ds_write_b64 v24, v[10:11] offset:4192
	ds_read_b64 v[10:11], v23 offset:6216
	s_waitcnt lgkmcnt(0)
	ds_write_b64 v24, v[10:11] offset:4704
	ds_read_b64 v[10:11], v23 offset:6224
	;; [unrolled: 3-line block ×3, first 2 shown]
	s_waitcnt lgkmcnt(0)
	ds_write_b64 v24, v[10:11] offset:5728
.LBB123_973:
	s_or_b64 exec, exec, s[0:1]
	s_waitcnt lgkmcnt(0)
	s_barrier
	s_and_saveexec_b64 s[0:1], vcc
	s_cbranch_execz .LBB123_975
; %bb.974:
	v_mov_b32_e32 v23, 0
	ds_read_b64 v[25:26], v23 offset:5712
	v_mov_b32_e32 v24, 0x3ff00000
	ds_write_b64 v23, v[23:24] offset:5720
	s_waitcnt lgkmcnt(1)
	ds_write_b128 v23, v[23:26] offset:5200
.LBB123_975:
	s_or_b64 exec, exec, s[0:1]
	v_mov_b32_e32 v10, 0
	v_mov_b32_e32 v11, 0
	s_waitcnt lgkmcnt(0)
	s_barrier
	buffer_wbinvl1_vol
	s_and_saveexec_b64 s[0:1], s[2:3]
	s_cbranch_execz .LBB123_979
; %bb.976:
	v_lshlrev_b32_e32 v23, 9, v13
	v_lshlrev_b32_e32 v10, 3, v12
	ds_read_b64 v[10:11], v10 offset:5184
	ds_read_b64 v[23:24], v23 offset:5200
	v_cmp_gt_u32_e64 s[10:11], 2, v15
	s_waitcnt lgkmcnt(0)
	v_fma_f64 v[10:11], v[10:11], v[23:24], 0
	s_and_saveexec_b64 s[12:13], s[10:11]
	s_cbranch_execz .LBB123_978
; %bb.977:
	v_lshlrev_b32_e32 v23, 3, v0
	v_mov_b32_e32 v25, 0
	ds_read_b64 v[23:24], v23 offset:5696
	ds_read_b64 v[25:26], v25 offset:5720
	s_waitcnt lgkmcnt(0)
	v_fma_f64 v[10:11], v[23:24], v[25:26], v[10:11]
.LBB123_978:
	s_or_b64 exec, exec, s[12:13]
.LBB123_979:
	s_or_b64 exec, exec, s[0:1]
	s_and_saveexec_b64 s[0:1], s[40:41]
; %bb.980:
	v_xor_b32_e32 v24, 0x80000000, v11
	v_mov_b32_e32 v23, v10
	ds_write_b64 v14, v[23:24]
; %bb.981:
	s_or_b64 exec, exec, s[0:1]
	s_waitcnt lgkmcnt(0)
	s_barrier
	s_and_saveexec_b64 s[0:1], s[38:39]
	s_cbranch_execz .LBB123_983
; %bb.982:
	v_mov_b32_e32 v23, 0
	ds_read_b64 v[23:24], v23 offset:4672
	ds_read_b64 v[25:26], v14
	s_waitcnt lgkmcnt(0)
	v_fma_f64 v[10:11], -v[23:24], v[25:26], v[10:11]
.LBB123_983:
	s_or_b64 exec, exec, s[0:1]
	s_barrier
	s_and_saveexec_b64 s[0:1], s[38:39]
; %bb.984:
	v_xor_b32_e32 v24, 0x80000000, v11
	v_mov_b32_e32 v23, v10
	ds_write_b64 v14, v[23:24]
; %bb.985:
	s_or_b64 exec, exec, s[0:1]
	s_waitcnt lgkmcnt(0)
	s_barrier
	s_barrier
	s_and_saveexec_b64 s[0:1], s[2:3]
; %bb.986:
	v_lshlrev_b32_e32 v23, 3, v12
	v_lshl_or_b32 v23, v13, 9, v23
	ds_write_b64 v23, v[10:11] offset:5184
; %bb.987:
	s_or_b64 exec, exec, s[0:1]
	s_waitcnt lgkmcnt(0)
	s_barrier
	s_barrier
	s_and_saveexec_b64 s[0:1], s[42:43]
	s_cbranch_execz .LBB123_989
; %bb.988:
	v_lshlrev_b32_e32 v23, 3, v0
	s_movk_i32 s10, 0x1f8
	v_mad_u32_u24 v24, v0, s10, v23
	ds_read_b64 v[10:11], v24 offset:5184
	s_waitcnt lgkmcnt(0)
	ds_write_b64 v23, v[10:11] offset:4176
	ds_read_b64 v[10:11], v24 offset:5192
	s_waitcnt lgkmcnt(0)
	ds_write_b64 v23, v[10:11] offset:4688
.LBB123_989:
	s_or_b64 exec, exec, s[0:1]
	s_waitcnt lgkmcnt(0)
	s_barrier
	s_and_saveexec_b64 s[0:1], vcc
	s_cbranch_execz .LBB123_991
; %bb.990:
	v_mov_b32_e32 v23, 0
	ds_read_b64 v[25:26], v23 offset:4672
	v_mov_b32_e32 v24, 0x3ff00000
	ds_write_b64 v23, v[23:24] offset:4680
	s_waitcnt lgkmcnt(1)
	ds_write_b128 v23, v[23:26] offset:4160
.LBB123_991:
	s_or_b64 exec, exec, s[0:1]
	v_mov_b32_e32 v10, 0
	v_mov_b32_e32 v11, 0
	s_waitcnt lgkmcnt(0)
	s_barrier
	buffer_wbinvl1_vol
	s_and_saveexec_b64 s[0:1], s[8:9]
	s_cbranch_execz .LBB123_1001
; %bb.992:
	v_lshlrev_b32_e32 v24, 3, v20
	v_lshlrev_b32_e32 v23, 9, v21
	ds_read_b64 v[10:11], v24 offset:4096
	ds_read_b64 v[25:26], v23 offset:4160
	v_cmp_gt_u32_e64 s[10:11], 56, v15
	s_waitcnt lgkmcnt(0)
	v_fma_f64 v[10:11], v[10:11], v[25:26], 0
	s_and_saveexec_b64 s[12:13], s[10:11]
	s_cbranch_execnz .LBB123_1214
; %bb.993:
	s_or_b64 exec, exec, s[12:13]
	v_cmp_gt_u32_e64 s[10:11], 48, v15
	s_and_saveexec_b64 s[12:13], s[10:11]
	s_cbranch_execnz .LBB123_1215
.LBB123_994:
	s_or_b64 exec, exec, s[12:13]
	v_cmp_gt_u32_e64 s[10:11], 40, v15
	s_and_saveexec_b64 s[12:13], s[10:11]
	s_cbranch_execnz .LBB123_1216
.LBB123_995:
	s_or_b64 exec, exec, s[12:13]
	v_cmp_gt_u32_e64 s[10:11], 32, v15
	s_and_saveexec_b64 s[12:13], s[10:11]
	s_cbranch_execnz .LBB123_1217
.LBB123_996:
	s_or_b64 exec, exec, s[12:13]
	v_cmp_gt_u32_e64 s[10:11], 24, v15
	s_and_saveexec_b64 s[12:13], s[10:11]
	s_cbranch_execnz .LBB123_1218
.LBB123_997:
	s_or_b64 exec, exec, s[12:13]
	s_and_saveexec_b64 s[10:11], s[18:19]
	s_cbranch_execnz .LBB123_1219
.LBB123_998:
	s_or_b64 exec, exec, s[10:11]
	v_cmp_gt_u32_e64 s[10:11], 8, v15
	s_and_saveexec_b64 s[12:13], s[10:11]
	s_cbranch_execz .LBB123_1000
.LBB123_999:
	v_lshlrev_b32_e32 v23, 3, v0
	v_mov_b32_e32 v25, 0
	ds_read_b64 v[23:24], v23 offset:7680
	ds_read_b64 v[25:26], v25 offset:7800
	s_waitcnt lgkmcnt(0)
	v_fma_f64 v[10:11], v[23:24], v[25:26], v[10:11]
.LBB123_1000:
	s_or_b64 exec, exec, s[12:13]
.LBB123_1001:
	s_or_b64 exec, exec, s[0:1]
	s_and_saveexec_b64 s[0:1], s[58:59]
; %bb.1002:
	v_xor_b32_e32 v24, 0x80000000, v11
	v_mov_b32_e32 v23, v10
	ds_write_b64 v22, v[23:24]
; %bb.1003:
	s_or_b64 exec, exec, s[0:1]
	s_waitcnt lgkmcnt(0)
	s_barrier
	s_and_saveexec_b64 s[0:1], s[60:61]
	s_cbranch_execz .LBB123_1005
; %bb.1004:
	v_lshlrev_b32_e32 v23, 3, v20
	ds_read_b64 v[23:24], v23 offset:3584
	ds_read_b64 v[25:26], v22
	s_waitcnt lgkmcnt(0)
	v_fma_f64 v[10:11], -v[23:24], v[25:26], v[10:11]
.LBB123_1005:
	s_or_b64 exec, exec, s[0:1]
	s_barrier
	s_and_saveexec_b64 s[0:1], s[62:63]
; %bb.1006:
	v_xor_b32_e32 v24, 0x80000000, v11
	v_mov_b32_e32 v23, v10
	ds_write_b64 v22, v[23:24]
; %bb.1007:
	s_or_b64 exec, exec, s[0:1]
	s_waitcnt lgkmcnt(0)
	s_barrier
	s_and_saveexec_b64 s[0:1], s[64:65]
	s_cbranch_execz .LBB123_1009
; %bb.1008:
	v_lshlrev_b32_e32 v23, 3, v20
	ds_read_b64 v[23:24], v23 offset:3072
	ds_read_b64 v[25:26], v22
	s_waitcnt lgkmcnt(0)
	v_fma_f64 v[10:11], -v[23:24], v[25:26], v[10:11]
.LBB123_1009:
	s_or_b64 exec, exec, s[0:1]
	s_barrier
	;; [unrolled: 20-line block ×6, first 2 shown]
	s_and_saveexec_b64 s[0:1], s[84:85]
; %bb.1026:
	v_xor_b32_e32 v24, 0x80000000, v11
	v_mov_b32_e32 v23, v10
	ds_write_b64 v22, v[23:24]
; %bb.1027:
	s_or_b64 exec, exec, s[0:1]
	s_waitcnt lgkmcnt(0)
	s_barrier
	s_and_saveexec_b64 s[0:1], s[68:69]
	s_cbranch_execz .LBB123_1029
; %bb.1028:
	v_mov_b32_e32 v23, 0
	ds_read_b64 v[23:24], v23 offset:512
	ds_read_b64 v[25:26], v22
	s_waitcnt lgkmcnt(0)
	v_fma_f64 v[10:11], -v[23:24], v[25:26], v[10:11]
.LBB123_1029:
	s_or_b64 exec, exec, s[0:1]
	s_barrier
	s_and_saveexec_b64 s[0:1], s[68:69]
; %bb.1030:
	v_xor_b32_e32 v24, 0x80000000, v11
	v_mov_b32_e32 v23, v10
	ds_write_b64 v22, v[23:24]
; %bb.1031:
	s_or_b64 exec, exec, s[0:1]
	s_waitcnt lgkmcnt(0)
	s_barrier
	s_barrier
	s_and_saveexec_b64 s[0:1], s[8:9]
; %bb.1032:
	v_lshlrev_b32_e32 v20, 3, v20
	v_lshl_or_b32 v20, v21, 9, v20
	ds_write_b64 v20, v[10:11] offset:4096
; %bb.1033:
	s_or_b64 exec, exec, s[0:1]
	s_waitcnt lgkmcnt(0)
	s_barrier
	s_barrier
	s_and_saveexec_b64 s[0:1], s[86:87]
	s_cbranch_execz .LBB123_1035
; %bb.1034:
	v_lshlrev_b32_e32 v20, 9, v0
	ds_read_b64 v[10:11], v20 offset:4096
	s_movk_i32 s8, 0xfe08
	v_mad_i32_i24 v21, v0, s8, v20
	s_waitcnt lgkmcnt(0)
	ds_write_b64 v21, v[10:11] offset:64
	ds_read_b64 v[10:11], v20 offset:4104
	s_waitcnt lgkmcnt(0)
	ds_write_b64 v21, v[10:11] offset:576
	ds_read_b64 v[10:11], v20 offset:4112
	;; [unrolled: 3-line block ×7, first 2 shown]
	s_waitcnt lgkmcnt(0)
	ds_write_b64 v21, v[10:11] offset:3648
.LBB123_1035:
	s_or_b64 exec, exec, s[0:1]
	s_waitcnt lgkmcnt(0)
	s_barrier
	s_and_saveexec_b64 s[0:1], vcc
	s_cbranch_execz .LBB123_1037
; %bb.1036:
	v_mov_b32_e32 v20, 0
	ds_read_b64 v[22:23], v20 offset:3632
	v_mov_b32_e32 v21, 0x3ff00000
	ds_write_b64 v20, v[20:21] offset:3640
	s_waitcnt lgkmcnt(1)
	ds_write_b128 v20, v[20:23] offset:3120
.LBB123_1037:
	s_or_b64 exec, exec, s[0:1]
	v_mov_b32_e32 v10, 0
	v_mov_b32_e32 v11, 0
	s_waitcnt lgkmcnt(0)
	s_barrier
	buffer_wbinvl1_vol
	s_and_saveexec_b64 s[0:1], s[2:3]
	s_cbranch_execz .LBB123_1041
; %bb.1038:
	v_lshlrev_b32_e32 v20, 9, v13
	v_lshlrev_b32_e32 v10, 3, v12
	ds_read_b64 v[10:11], v10 offset:3104
	ds_read_b64 v[20:21], v20 offset:3120
	v_cmp_gt_u32_e64 s[8:9], 2, v15
	s_waitcnt lgkmcnt(0)
	v_fma_f64 v[10:11], v[10:11], v[20:21], 0
	s_and_saveexec_b64 s[10:11], s[8:9]
	s_cbranch_execz .LBB123_1040
; %bb.1039:
	v_lshlrev_b32_e32 v20, 3, v0
	v_mov_b32_e32 v22, 0
	ds_read_b64 v[20:21], v20 offset:3616
	ds_read_b64 v[22:23], v22 offset:3640
	s_waitcnt lgkmcnt(0)
	v_fma_f64 v[10:11], v[20:21], v[22:23], v[10:11]
.LBB123_1040:
	s_or_b64 exec, exec, s[10:11]
.LBB123_1041:
	s_or_b64 exec, exec, s[0:1]
	s_and_saveexec_b64 s[0:1], s[40:41]
; %bb.1042:
	v_xor_b32_e32 v21, 0x80000000, v11
	v_mov_b32_e32 v20, v10
	ds_write_b64 v14, v[20:21]
; %bb.1043:
	s_or_b64 exec, exec, s[0:1]
	s_waitcnt lgkmcnt(0)
	s_barrier
	s_and_saveexec_b64 s[0:1], s[38:39]
	s_cbranch_execz .LBB123_1045
; %bb.1044:
	v_mov_b32_e32 v20, 0
	ds_read_b64 v[20:21], v20 offset:2592
	ds_read_b64 v[22:23], v14
	s_waitcnt lgkmcnt(0)
	v_fma_f64 v[10:11], -v[20:21], v[22:23], v[10:11]
.LBB123_1045:
	s_or_b64 exec, exec, s[0:1]
	s_barrier
	s_and_saveexec_b64 s[0:1], s[38:39]
; %bb.1046:
	v_xor_b32_e32 v21, 0x80000000, v11
	v_mov_b32_e32 v20, v10
	ds_write_b64 v14, v[20:21]
; %bb.1047:
	s_or_b64 exec, exec, s[0:1]
	s_waitcnt lgkmcnt(0)
	s_barrier
	s_barrier
	s_and_saveexec_b64 s[0:1], s[2:3]
; %bb.1048:
	v_lshlrev_b32_e32 v20, 3, v12
	v_lshl_or_b32 v20, v13, 9, v20
	ds_write_b64 v20, v[10:11] offset:3104
; %bb.1049:
	s_or_b64 exec, exec, s[0:1]
	s_waitcnt lgkmcnt(0)
	s_barrier
	s_barrier
	s_and_saveexec_b64 s[0:1], s[42:43]
	s_cbranch_execz .LBB123_1051
; %bb.1050:
	v_lshlrev_b32_e32 v20, 3, v0
	s_movk_i32 s8, 0x1f8
	v_mad_u32_u24 v21, v0, s8, v20
	ds_read_b64 v[10:11], v21 offset:3104
	s_waitcnt lgkmcnt(0)
	ds_write_b64 v20, v[10:11] offset:2096
	ds_read_b64 v[10:11], v21 offset:3112
	s_waitcnt lgkmcnt(0)
	ds_write_b64 v20, v[10:11] offset:2608
.LBB123_1051:
	s_or_b64 exec, exec, s[0:1]
	s_waitcnt lgkmcnt(0)
	s_barrier
	s_and_saveexec_b64 s[0:1], vcc
	s_cbranch_execz .LBB123_1053
; %bb.1052:
	v_mov_b32_e32 v20, 0
	ds_read_b64 v[22:23], v20 offset:2592
	v_mov_b32_e32 v21, 0x3ff00000
	ds_write_b64 v20, v[20:21] offset:2600
	s_waitcnt lgkmcnt(1)
	ds_write_b128 v20, v[20:23] offset:2080
.LBB123_1053:
	s_or_b64 exec, exec, s[0:1]
	v_mov_b32_e32 v10, 0
	v_mov_b32_e32 v11, 0
	s_waitcnt lgkmcnt(0)
	s_barrier
	buffer_wbinvl1_vol
	s_and_saveexec_b64 s[0:1], s[18:19]
	s_cbranch_execz .LBB123_1059
; %bb.1054:
	v_lshlrev_b32_e32 v21, 3, v16
	v_lshlrev_b32_e32 v20, 9, v17
	ds_read_b64 v[10:11], v21 offset:2048
	ds_read_b64 v[22:23], v20 offset:2080
	v_cmp_gt_u32_e64 s[8:9], 12, v15
	s_waitcnt lgkmcnt(0)
	v_fma_f64 v[10:11], v[10:11], v[22:23], 0
	s_and_saveexec_b64 s[10:11], s[8:9]
	s_cbranch_execnz .LBB123_1220
; %bb.1055:
	s_or_b64 exec, exec, s[10:11]
	v_cmp_gt_u32_e64 s[8:9], 8, v15
	s_and_saveexec_b64 s[10:11], s[8:9]
	s_cbranch_execnz .LBB123_1221
.LBB123_1056:
	s_or_b64 exec, exec, s[10:11]
	v_cmp_gt_u32_e64 s[8:9], 4, v15
	s_and_saveexec_b64 s[10:11], s[8:9]
	s_cbranch_execz .LBB123_1058
.LBB123_1057:
	v_lshlrev_b32_e32 v20, 3, v0
	v_mov_b32_e32 v22, 0
	ds_read_b64 v[20:21], v20 offset:3584
	ds_read_b64 v[22:23], v22 offset:3640
	s_waitcnt lgkmcnt(0)
	v_fma_f64 v[10:11], v[20:21], v[22:23], v[10:11]
.LBB123_1058:
	s_or_b64 exec, exec, s[10:11]
.LBB123_1059:
	s_or_b64 exec, exec, s[0:1]
	s_and_saveexec_b64 s[0:1], s[46:47]
; %bb.1060:
	v_xor_b32_e32 v21, 0x80000000, v11
	v_mov_b32_e32 v20, v10
	ds_write_b64 v19, v[20:21]
; %bb.1061:
	s_or_b64 exec, exec, s[0:1]
	s_waitcnt lgkmcnt(0)
	s_barrier
	s_and_saveexec_b64 s[0:1], s[48:49]
	s_load_dword s16, s[4:5], 0x6c
	v_readlane_b32 s34, v35, 2
	v_readlane_b32 s46, v35, 0
	;; [unrolled: 1-line block ×4, first 2 shown]
	s_cbranch_execz .LBB123_1063
; %bb.1062:
	v_lshlrev_b32_e32 v20, 3, v16
	ds_read_b64 v[20:21], v20 offset:1536
	ds_read_b64 v[22:23], v19
	s_waitcnt lgkmcnt(0)
	v_fma_f64 v[10:11], -v[20:21], v[22:23], v[10:11]
.LBB123_1063:
	s_or_b64 exec, exec, s[0:1]
	s_waitcnt lgkmcnt(0)
	s_barrier
	s_and_saveexec_b64 s[0:1], s[50:51]
; %bb.1064:
	v_xor_b32_e32 v21, 0x80000000, v11
	v_mov_b32_e32 v20, v10
	ds_write_b64 v19, v[20:21]
; %bb.1065:
	s_or_b64 exec, exec, s[0:1]
	s_waitcnt lgkmcnt(0)
	s_barrier
	s_and_saveexec_b64 s[0:1], s[52:53]
	s_cbranch_execz .LBB123_1067
; %bb.1066:
	v_lshlrev_b32_e32 v20, 3, v16
	ds_read_b64 v[20:21], v20 offset:1024
	ds_read_b64 v[22:23], v19
	s_waitcnt lgkmcnt(0)
	v_fma_f64 v[10:11], -v[20:21], v[22:23], v[10:11]
.LBB123_1067:
	s_or_b64 exec, exec, s[0:1]
	s_barrier
	s_and_saveexec_b64 s[0:1], s[54:55]
; %bb.1068:
	v_xor_b32_e32 v21, 0x80000000, v11
	v_mov_b32_e32 v20, v10
	ds_write_b64 v19, v[20:21]
; %bb.1069:
	s_or_b64 exec, exec, s[0:1]
	s_waitcnt lgkmcnt(0)
	s_barrier
	s_and_saveexec_b64 s[0:1], s[44:45]
	s_cbranch_execz .LBB123_1071
; %bb.1070:
	v_mov_b32_e32 v20, 0
	ds_read_b64 v[20:21], v20 offset:512
	ds_read_b64 v[22:23], v19
	s_waitcnt lgkmcnt(0)
	v_fma_f64 v[10:11], -v[20:21], v[22:23], v[10:11]
.LBB123_1071:
	s_or_b64 exec, exec, s[0:1]
	s_barrier
	s_and_saveexec_b64 s[0:1], s[44:45]
; %bb.1072:
	v_xor_b32_e32 v21, 0x80000000, v11
	v_mov_b32_e32 v20, v10
	ds_write_b64 v19, v[20:21]
; %bb.1073:
	s_or_b64 exec, exec, s[0:1]
	s_waitcnt lgkmcnt(0)
	s_barrier
	s_barrier
	s_and_saveexec_b64 s[0:1], s[18:19]
; %bb.1074:
	v_lshlrev_b32_e32 v16, 3, v16
	v_lshl_or_b32 v16, v17, 9, v16
	ds_write_b64 v16, v[10:11] offset:2048
; %bb.1075:
	s_or_b64 exec, exec, s[0:1]
	s_waitcnt lgkmcnt(0)
	s_barrier
	s_barrier
	s_and_saveexec_b64 s[0:1], s[56:57]
	s_cbranch_execz .LBB123_1077
; %bb.1076:
	v_lshlrev_b32_e32 v16, 9, v0
	ds_read_b64 v[10:11], v16 offset:2048
	s_movk_i32 s8, 0xfe08
	v_mad_i32_i24 v17, v0, s8, v16
	s_waitcnt lgkmcnt(0)
	ds_write_b64 v17, v[10:11] offset:32
	ds_read_b64 v[10:11], v16 offset:2056
	s_waitcnt lgkmcnt(0)
	ds_write_b64 v17, v[10:11] offset:544
	ds_read_b64 v[10:11], v16 offset:2064
	;; [unrolled: 3-line block ×3, first 2 shown]
	s_waitcnt lgkmcnt(0)
	ds_write_b64 v17, v[10:11] offset:1568
.LBB123_1077:
	s_or_b64 exec, exec, s[0:1]
	s_waitcnt lgkmcnt(0)
	s_barrier
	s_and_saveexec_b64 s[0:1], vcc
	s_cbranch_execz .LBB123_1079
; %bb.1078:
	v_mov_b32_e32 v19, 0
	ds_read_b64 v[21:22], v19 offset:1552
	v_mov_b32_e32 v20, 0x3ff00000
	ds_write_b64 v19, v[19:20] offset:1560
	s_waitcnt lgkmcnt(1)
	ds_write_b128 v19, v[19:22] offset:1040
.LBB123_1079:
	s_or_b64 exec, exec, s[0:1]
	v_mov_b32_e32 v10, 0
	v_mov_b32_e32 v11, 0
	s_waitcnt lgkmcnt(0)
	s_barrier
	buffer_wbinvl1_vol
	s_and_saveexec_b64 s[0:1], s[2:3]
	s_cbranch_execz .LBB123_1083
; %bb.1080:
	v_lshlrev_b32_e32 v16, 9, v13
	v_lshlrev_b32_e32 v10, 3, v12
	ds_read_b64 v[10:11], v10 offset:1024
	ds_read_b64 v[16:17], v16 offset:1040
	v_cmp_gt_u32_e64 s[8:9], 2, v15
	s_waitcnt lgkmcnt(0)
	v_fma_f64 v[10:11], v[10:11], v[16:17], 0
	s_and_saveexec_b64 s[10:11], s[8:9]
	s_cbranch_execz .LBB123_1082
; %bb.1081:
	v_lshlrev_b32_e32 v15, 3, v0
	v_mov_b32_e32 v17, 0
	ds_read_b64 v[15:16], v15 offset:1536
	ds_read_b64 v[19:20], v17 offset:1560
	s_waitcnt lgkmcnt(0)
	v_fma_f64 v[10:11], v[15:16], v[19:20], v[10:11]
.LBB123_1082:
	s_or_b64 exec, exec, s[10:11]
.LBB123_1083:
	s_or_b64 exec, exec, s[0:1]
	s_and_saveexec_b64 s[0:1], s[40:41]
; %bb.1084:
	v_xor_b32_e32 v16, 0x80000000, v11
	v_mov_b32_e32 v15, v10
	ds_write_b64 v14, v[15:16]
; %bb.1085:
	s_or_b64 exec, exec, s[0:1]
	s_waitcnt lgkmcnt(0)
	s_barrier
	s_and_saveexec_b64 s[0:1], s[38:39]
	s_cbranch_execz .LBB123_1087
; %bb.1086:
	v_mov_b32_e32 v15, 0
	ds_read_b64 v[15:16], v15 offset:512
	ds_read_b64 v[19:20], v14
	s_waitcnt lgkmcnt(0)
	v_fma_f64 v[10:11], -v[15:16], v[19:20], v[10:11]
.LBB123_1087:
	s_or_b64 exec, exec, s[0:1]
	s_barrier
	s_and_saveexec_b64 s[0:1], s[38:39]
; %bb.1088:
	v_xor_b32_e32 v16, 0x80000000, v11
	v_mov_b32_e32 v15, v10
	ds_write_b64 v14, v[15:16]
; %bb.1089:
	s_or_b64 exec, exec, s[0:1]
	s_waitcnt lgkmcnt(0)
	s_barrier
	s_barrier
	s_and_saveexec_b64 s[0:1], s[2:3]
; %bb.1090:
	v_lshlrev_b32_e32 v12, 3, v12
	v_lshl_or_b32 v12, v13, 9, v12
	ds_write_b64 v12, v[10:11] offset:1024
; %bb.1091:
	s_or_b64 exec, exec, s[0:1]
	s_waitcnt lgkmcnt(0)
	s_barrier
	s_barrier
	s_and_saveexec_b64 s[0:1], s[42:43]
	s_cbranch_execz .LBB123_1093
; %bb.1092:
	v_lshlrev_b32_e32 v12, 3, v0
	s_movk_i32 s2, 0x1f8
	v_mad_u32_u24 v13, v0, s2, v12
	ds_read_b64 v[10:11], v13 offset:1024
	s_waitcnt lgkmcnt(0)
	ds_write_b64 v12, v[10:11] offset:16
	ds_read_b64 v[10:11], v13 offset:1032
	s_waitcnt lgkmcnt(0)
	ds_write_b64 v12, v[10:11] offset:528
.LBB123_1093:
	s_or_b64 exec, exec, s[0:1]
	s_waitcnt lgkmcnt(0)
	s_barrier
	s_and_saveexec_b64 s[0:1], vcc
	s_cbranch_execz .LBB123_1095
; %bb.1094:
	v_mov_b32_e32 v10, 0
	ds_read_b64 v[12:13], v10 offset:512
	v_mov_b32_e32 v11, 0x3ff00000
	ds_write_b64 v10, v[10:11] offset:520
	s_waitcnt lgkmcnt(1)
	ds_write_b128 v10, v[10:13]
.LBB123_1095:
	s_or_b64 exec, exec, s[0:1]
.LBB123_1096:
	s_lshl_b64 s[0:1], s[24:25], 3
	s_add_u32 s20, s36, s0
	v_cmp_le_i32_e32 vcc, s7, v0
	s_addc_u32 s21, s37, s1
	s_and_b64 s[14:15], vcc, s[22:23]
	v_cmp_eq_u32_e64 s[2:3], 0, v1
	s_xor_b64 s[0:1], s[14:15], -1
	v_mov_b32_e32 v10, 0
	s_and_b64 s[8:9], s[2:3], s[0:1]
	v_mov_b32_e32 v11, 0
	v_lshl_add_u32 v12, s6, 6, v0
	s_waitcnt lgkmcnt(0)
	s_barrier
	s_and_saveexec_b64 s[0:1], s[8:9]
	s_cbranch_execz .LBB123_1098
; %bb.1097:
	v_ashrrev_i32_e32 v13, 31, v12
	v_mul_lo_u32 v14, s27, v12
	v_mad_u64_u32 v[10:11], s[8:9], s26, v12, 0
	v_mul_lo_u32 v13, s26, v13
	v_add3_u32 v11, v11, v13, v14
	v_lshlrev_b64 v[10:11], 3, v[10:11]
	v_mov_b32_e32 v13, s21
	v_add_co_u32_e32 v10, vcc, s20, v10
	v_addc_co_u32_e32 v11, vcc, v13, v11, vcc
	flat_load_dwordx2 v[10:11], v[10:11]
	s_waitcnt vmcnt(0) lgkmcnt(0)
	v_mul_f64 v[10:11], v[10:11], -s[34:35]
.LBB123_1098:
	s_or_b64 exec, exec, s[0:1]
	s_load_dwordx2 s[0:1], s[4:5], 0x50
	s_and_b32 s4, 0xffff, s16
	v_mad_u32_u24 v19, v1, s4, v0
	v_mov_b32_e32 v13, 0
	s_cmp_lt_i32 s6, 1
	v_cmp_eq_u32_e64 s[4:5], 0, v19
	s_cbranch_scc1 .LBB123_1124
; %bb.1099:
	v_mad_u64_u32 v[14:15], s[8:9], s30, v12, 0
	s_mov_b32 s24, 0
	v_cmp_gt_u32_e64 s[12:13], 64, v19
	v_mad_u64_u32 v[15:16], s[8:9], s31, v12, v[15:16]
	s_lshl_b64 s[8:9], s[28:29], 2
	s_waitcnt lgkmcnt(0)
	s_add_u32 s16, s0, s8
	v_lshlrev_b64 v[14:15], 3, v[14:15]
	s_addc_u32 s17, s1, s9
	v_mov_b32_e32 v16, 0xa000
	v_cmp_gt_i32_e64 s[8:9], s33, v12
	v_mov_b32_e32 v12, s89
	v_add_co_u32_e32 v22, vcc, s88, v14
	v_lshl_add_u32 v20, v19, 3, v16
	v_lshl_or_b32 v21, v1, 3, v16
	s_add_i32 s25, s6, -1
	v_addc_co_u32_e32 v23, vcc, v12, v15, vcc
	v_mov_b32_e32 v24, -1
	s_branch .LBB123_1102
.LBB123_1100:                           ;   in Loop: Header=BB123_1102 Depth=1
	ds_read_b64 v[14:15], v21 offset:384
	s_waitcnt vmcnt(0) lgkmcnt(0)
	v_fma_f64 v[10:11], v[16:17], v[14:15], v[10:11]
.LBB123_1101:                           ;   in Loop: Header=BB123_1102 Depth=1
	s_or_b64 exec, exec, s[18:19]
	s_add_i32 s24, s24, 1
	s_cmp_eq_u32 s24, s6
	s_cbranch_scc1 .LBB123_1124
.LBB123_1102:                           ; =>This Loop Header: Depth=1
                                        ;     Child Loop BB123_1104 Depth 2
	v_cmp_gt_i32_e32 vcc, s24, v24
	s_and_b64 s[18:19], s[4:5], vcc
	s_and_saveexec_b64 s[10:11], s[18:19]
	s_cbranch_execz .LBB123_1105
; %bb.1103:                             ;   in Loop: Header=BB123_1102 Depth=1
	global_load_dword v24, v13, s[16:17]
	s_waitcnt vmcnt(0)
	v_cmp_le_i32_e32 vcc, s24, v24
	s_cbranch_vccnz .LBB123_1105
.LBB123_1104:                           ;   Parent Loop BB123_1102 Depth=1
                                        ; =>  This Inner Loop Header: Depth=2
	buffer_wbinvl1_vol
	global_load_dword v24, v13, s[16:17]
	s_waitcnt vmcnt(0)
	v_cmp_gt_i32_e32 vcc, s24, v24
	s_cbranch_vccnz .LBB123_1104
.LBB123_1105:                           ;   in Loop: Header=BB123_1102 Depth=1
	s_or_b64 exec, exec, s[10:11]
	s_lshl_b32 s30, s24, 6
	buffer_wbinvl1_vol
	s_barrier
	s_and_saveexec_b64 s[10:11], s[12:13]
	s_cbranch_execz .LBB123_1109
; %bb.1106:                             ;   in Loop: Header=BB123_1102 Depth=1
	v_or_b32_e32 v12, s30, v19
	v_mov_b32_e32 v14, 0
	v_mov_b32_e32 v15, 0
	v_cmp_gt_i32_e32 vcc, s33, v12
	s_and_saveexec_b64 s[18:19], vcc
	s_cbranch_execz .LBB123_1108
; %bb.1107:                             ;   in Loop: Header=BB123_1102 Depth=1
	v_mad_u64_u32 v[14:15], s[34:35], s26, v12, 0
	v_mad_u64_u32 v[15:16], s[34:35], s27, v12, v[15:16]
	v_mov_b32_e32 v12, s21
	v_lshlrev_b64 v[14:15], 3, v[14:15]
	v_add_co_u32_e32 v14, vcc, s20, v14
	v_addc_co_u32_e32 v15, vcc, v12, v15, vcc
	flat_load_dwordx2 v[14:15], v[14:15]
.LBB123_1108:                           ;   in Loop: Header=BB123_1102 Depth=1
	s_or_b64 exec, exec, s[18:19]
	s_waitcnt vmcnt(0) lgkmcnt(0)
	ds_write_b64 v20, v[14:15]
.LBB123_1109:                           ;   in Loop: Header=BB123_1102 Depth=1
	s_or_b64 exec, exec, s[10:11]
	v_add_u32_e32 v12, s30, v1
	v_lshlrev_b64 v[14:15], 3, v[12:13]
	s_cmp_lg_u32 s24, s25
	v_add_co_u32_e32 v14, vcc, v22, v14
	s_cselect_b64 s[10:11], -1, 0
	v_addc_co_u32_e32 v15, vcc, v23, v15, vcc
	v_cmp_gt_i32_e32 vcc, s33, v12
	v_cndmask_b32_e64 v16, 0, 1, s[10:11]
	s_and_b64 s[30:31], vcc, s[8:9]
	v_cmp_ne_u32_e64 s[10:11], 1, v16
	s_waitcnt lgkmcnt(0)
	s_barrier
	s_and_saveexec_b64 s[18:19], s[30:31]
	s_cbranch_execz .LBB123_1113
; %bb.1110:                             ;   in Loop: Header=BB123_1102 Depth=1
	v_mov_b32_e32 v17, v5
	s_and_b64 vcc, exec, s[10:11]
	v_mov_b32_e32 v16, v4
	s_cbranch_vccnz .LBB123_1112
; %bb.1111:                             ;   in Loop: Header=BB123_1102 Depth=1
	flat_load_dwordx2 v[16:17], v[14:15]
.LBB123_1112:                           ;   in Loop: Header=BB123_1102 Depth=1
	ds_read_b64 v[25:26], v21
	s_waitcnt vmcnt(0) lgkmcnt(0)
	v_fma_f64 v[10:11], v[16:17], v[25:26], v[10:11]
.LBB123_1113:                           ;   in Loop: Header=BB123_1102 Depth=1
	s_or_b64 exec, exec, s[18:19]
	v_add_u32_e32 v16, 16, v12
	v_cmp_gt_i32_e32 vcc, s33, v16
	s_and_b64 s[30:31], vcc, s[8:9]
	s_and_saveexec_b64 s[18:19], s[30:31]
	s_cbranch_execz .LBB123_1117
; %bb.1114:                             ;   in Loop: Header=BB123_1102 Depth=1
	v_mov_b32_e32 v17, v3
	s_and_b64 vcc, exec, s[10:11]
	v_mov_b32_e32 v16, v2
	s_cbranch_vccnz .LBB123_1116
; %bb.1115:                             ;   in Loop: Header=BB123_1102 Depth=1
	flat_load_dwordx2 v[16:17], v[14:15] offset:128
.LBB123_1116:                           ;   in Loop: Header=BB123_1102 Depth=1
	ds_read_b64 v[25:26], v21 offset:128
	s_waitcnt vmcnt(0) lgkmcnt(0)
	v_fma_f64 v[10:11], v[16:17], v[25:26], v[10:11]
.LBB123_1117:                           ;   in Loop: Header=BB123_1102 Depth=1
	s_or_b64 exec, exec, s[18:19]
	v_add_u32_e32 v16, 32, v12
	v_cmp_gt_i32_e32 vcc, s33, v16
	s_and_b64 s[30:31], vcc, s[8:9]
	s_and_saveexec_b64 s[18:19], s[30:31]
	s_cbranch_execz .LBB123_1121
; %bb.1118:                             ;   in Loop: Header=BB123_1102 Depth=1
	v_mov_b32_e32 v17, v9
	s_and_b64 vcc, exec, s[10:11]
	v_mov_b32_e32 v16, v8
	s_cbranch_vccnz .LBB123_1120
; %bb.1119:                             ;   in Loop: Header=BB123_1102 Depth=1
	flat_load_dwordx2 v[16:17], v[14:15] offset:256
.LBB123_1120:                           ;   in Loop: Header=BB123_1102 Depth=1
	ds_read_b64 v[25:26], v21 offset:256
	s_waitcnt vmcnt(0) lgkmcnt(0)
	v_fma_f64 v[10:11], v[16:17], v[25:26], v[10:11]
.LBB123_1121:                           ;   in Loop: Header=BB123_1102 Depth=1
	s_or_b64 exec, exec, s[18:19]
	v_add_u32_e32 v12, 48, v12
	v_cmp_gt_i32_e32 vcc, s33, v12
	s_and_b64 s[30:31], vcc, s[8:9]
	s_and_saveexec_b64 s[18:19], s[30:31]
	s_cbranch_execz .LBB123_1101
; %bb.1122:                             ;   in Loop: Header=BB123_1102 Depth=1
	v_mov_b32_e32 v17, v7
	s_and_b64 vcc, exec, s[10:11]
	v_mov_b32_e32 v16, v6
	s_cbranch_vccnz .LBB123_1100
; %bb.1123:                             ;   in Loop: Header=BB123_1102 Depth=1
	flat_load_dwordx2 v[16:17], v[14:15] offset:384
	s_branch .LBB123_1100
.LBB123_1124:
	v_lshl_add_u32 v2, v1, 6, v0
	s_xor_b64 s[4:5], s[22:23], -1
	v_lshlrev_b32_e32 v4, 3, v2
	ds_write_b64 v4, v[10:11] offset:32768
	s_waitcnt lgkmcnt(0)
	s_barrier
	s_and_saveexec_b64 s[8:9], s[2:3]
	s_cbranch_execz .LBB123_1126
; %bb.1125:
	v_lshlrev_b32_e32 v15, 3, v0
	ds_read2st64_b64 v[5:8], v15 offset0:65 offset1:66
	ds_read_b64 v[2:3], v15 offset:40448
	s_waitcnt lgkmcnt(1)
	v_add_f64 v[5:6], v[10:11], v[5:6]
	v_add_f64 v[13:14], v[5:6], v[7:8]
	ds_read2st64_b64 v[5:8], v15 offset0:67 offset1:68
	ds_read2st64_b64 v[9:12], v15 offset0:69 offset1:70
	s_waitcnt lgkmcnt(1)
	v_add_f64 v[5:6], v[13:14], v[5:6]
	v_add_f64 v[5:6], v[5:6], v[7:8]
	s_waitcnt lgkmcnt(0)
	v_add_f64 v[5:6], v[5:6], v[9:10]
	v_add_f64 v[13:14], v[5:6], v[11:12]
	ds_read2st64_b64 v[5:8], v15 offset0:71 offset1:72
	ds_read2st64_b64 v[9:12], v15 offset0:73 offset1:74
	s_waitcnt lgkmcnt(1)
	v_add_f64 v[5:6], v[13:14], v[5:6]
	v_add_f64 v[5:6], v[5:6], v[7:8]
	;; [unrolled: 8-line block ×3, first 2 shown]
	s_waitcnt lgkmcnt(0)
	v_add_f64 v[5:6], v[5:6], v[9:10]
	v_add_f64 v[5:6], v[5:6], v[11:12]
	;; [unrolled: 1-line block ×3, first 2 shown]
	v_xor_b32_e32 v3, 0x80000000, v3
	v_cndmask_b32_e64 v11, v3, 0, s[14:15]
	v_cndmask_b32_e64 v10, v2, 0, s[14:15]
.LBB123_1126:
	s_or_b64 exec, exec, s[8:9]
	s_and_b64 vcc, exec, s[46:47]
	s_cbranch_vccnz .LBB123_1140
; %bb.1127:
	v_mov_b32_e32 v2, 0xa000
	v_lshl_or_b32 v5, v1, 3, v2
	s_and_saveexec_b64 s[8:9], s[2:3]
; %bb.1128:
	v_lshl_add_u32 v2, v0, 3, v5
	ds_write_b64 v2, v[10:11]
; %bb.1129:
	s_or_b64 exec, exec, s[8:9]
	v_mov_b32_e32 v2, 0
	v_mov_b32_e32 v3, 0
	v_cmp_le_u32_e32 vcc, v1, v0
	s_waitcnt lgkmcnt(0)
	s_barrier
	s_and_saveexec_b64 s[8:9], vcc
	s_cbranch_execz .LBB123_1131
; %bb.1130:
	ds_read_b64 v[2:3], v4
	ds_read_b64 v[6:7], v5
	s_waitcnt lgkmcnt(0)
	v_fma_f64 v[2:3], v[2:3], v[6:7], 0
.LBB123_1131:
	s_or_b64 exec, exec, s[8:9]
	v_add_u32_e32 v6, 16, v1
	v_cmp_ge_u32_e32 vcc, v0, v6
	s_and_saveexec_b64 s[8:9], vcc
	s_cbranch_execz .LBB123_1133
; %bb.1132:
	ds_read_b64 v[6:7], v4 offset:8192
	ds_read_b64 v[8:9], v5 offset:128
	s_waitcnt lgkmcnt(0)
	v_fma_f64 v[2:3], v[6:7], v[8:9], v[2:3]
.LBB123_1133:
	s_or_b64 exec, exec, s[8:9]
	v_add_u32_e32 v6, 32, v1
	v_cmp_ge_u32_e32 vcc, v0, v6
	s_and_saveexec_b64 s[8:9], vcc
	s_cbranch_execz .LBB123_1135
; %bb.1134:
	ds_read_b64 v[6:7], v4 offset:16384
	ds_read_b64 v[8:9], v5 offset:256
	s_waitcnt lgkmcnt(0)
	v_fma_f64 v[2:3], v[6:7], v[8:9], v[2:3]
.LBB123_1135:
	s_or_b64 exec, exec, s[8:9]
	v_add_u32_e32 v1, 48, v1
	v_add_u32_e32 v6, 0x8000, v4
	v_cmp_ge_u32_e32 vcc, v0, v1
	s_and_saveexec_b64 s[8:9], vcc
	s_cbranch_execz .LBB123_1137
; %bb.1136:
	ds_read_b64 v[7:8], v4 offset:24576
	ds_read_b64 v[4:5], v5 offset:384
	s_waitcnt lgkmcnt(0)
	v_fma_f64 v[2:3], v[7:8], v[4:5], v[2:3]
.LBB123_1137:
	s_or_b64 exec, exec, s[8:9]
	s_mov_b64 s[10:11], 0
	s_mov_b64 s[8:9], 0
	ds_write_b64 v6, v[2:3]
	s_waitcnt lgkmcnt(0)
	s_barrier
                                        ; implicit-def: $vgpr6_vgpr7
                                        ; implicit-def: $vgpr4_vgpr5
	s_and_saveexec_b64 s[12:13], s[2:3]
	s_cbranch_execz .LBB123_1161
; %bb.1138:
	v_lshlrev_b32_e32 v9, 3, v0
	ds_read2st64_b64 v[4:7], v9 offset0:65 offset1:66
	ds_read_b64 v[12:13], v9 offset:40448
	s_mov_b64 s[8:9], exec
	s_waitcnt lgkmcnt(1)
	v_add_f64 v[1:2], v[2:3], v[4:5]
	v_add_f64 v[14:15], v[6:7], v[1:2]
	ds_read2st64_b64 v[1:4], v9 offset0:67 offset1:68
	ds_read2st64_b64 v[5:8], v9 offset0:69 offset1:70
	s_waitcnt lgkmcnt(1)
	v_add_f64 v[1:2], v[1:2], v[14:15]
	v_add_f64 v[1:2], v[3:4], v[1:2]
	s_waitcnt lgkmcnt(0)
	v_add_f64 v[1:2], v[5:6], v[1:2]
	v_add_f64 v[14:15], v[7:8], v[1:2]
	ds_read2st64_b64 v[1:4], v9 offset0:71 offset1:72
	ds_read2st64_b64 v[5:8], v9 offset0:73 offset1:74
	s_waitcnt lgkmcnt(1)
	v_add_f64 v[1:2], v[1:2], v[14:15]
	v_add_f64 v[1:2], v[3:4], v[1:2]
	;; [unrolled: 8-line block ×3, first 2 shown]
	v_lshl_add_u32 v3, s6, 6, v19
	s_waitcnt lgkmcnt(0)
	v_add_f64 v[1:2], v[5:6], v[1:2]
	v_mad_u64_u32 v[4:5], s[14:15], s26, v3, 0
	v_add_f64 v[1:2], v[7:8], v[1:2]
	v_add_f64 v[6:7], v[12:13], v[1:2]
	v_mov_b32_e32 v1, v5
	v_mad_u64_u32 v[1:2], s[14:15], s27, v3, v[1:2]
	v_mov_b32_e32 v5, v1
	s_or_b64 exec, exec, s[12:13]
	s_and_b64 vcc, exec, s[10:11]
	s_cbranch_vccnz .LBB123_1141
	s_branch .LBB123_1162
.LBB123_1139:
	v_mad_u64_u32 v[12:13], s[2:3], s30, v15, 0
	s_or_b64 s[10:11], s[10:11], exec
	v_mad_u64_u32 v[13:14], s[2:3], s31, v15, v[13:14]
	v_lshlrev_b64 v[12:13], 3, v[12:13]
	v_add_co_u32_e32 v10, vcc, v10, v12
	v_addc_co_u32_e32 v11, vcc, v11, v13, vcc
	flat_load_dwordx2 v[12:13], v[10:11]
	s_waitcnt vmcnt(0) lgkmcnt(0)
	v_xor_b32_e32 v13, 0x80000000, v13
	s_or_b64 exec, exec, s[8:9]
	s_xor_b64 s[0:1], s[0:1], -1
	s_and_saveexec_b64 s[2:3], s[10:11]
	s_cbranch_execnz .LBB123_57
	s_branch .LBB123_58
.LBB123_1140:
	s_mov_b64 s[8:9], 0
                                        ; implicit-def: $vgpr6_vgpr7
                                        ; implicit-def: $vgpr4_vgpr5
	s_cbranch_execz .LBB123_1162
.LBB123_1141:
	s_mov_b32 s12, 0
	v_mov_b32_e32 v1, 0
	v_mov_b32_e32 v2, v0
	s_branch .LBB123_1143
.LBB123_1142:                           ;   in Loop: Header=BB123_1143 Depth=1
	s_or_b64 exec, exec, s[10:11]
	s_add_i32 s12, s12, 4
	v_add_u32_e32 v18, 0x800, v18
	s_cmp_lg_u32 s12, 64
	v_add_u32_e32 v2, -4, v2
	s_barrier
	s_cbranch_scc0 .LBB123_1159
.LBB123_1143:                           ; =>This Inner Loop Header: Depth=1
	v_cmp_eq_u32_e32 vcc, 0, v2
	s_and_b64 s[14:15], s[2:3], vcc
	s_and_saveexec_b64 s[10:11], s[14:15]
; %bb.1144:                             ;   in Loop: Header=BB123_1143 Depth=1
	ds_write_b64 v1, v[10:11] offset:41472
; %bb.1145:                             ;   in Loop: Header=BB123_1143 Depth=1
	s_or_b64 exec, exec, s[10:11]
	v_cmp_lt_u32_e32 vcc, s12, v0
	s_and_b64 s[14:15], s[2:3], vcc
	s_waitcnt lgkmcnt(0)
	s_barrier
	s_and_saveexec_b64 s[10:11], s[14:15]
	s_cbranch_execz .LBB123_1147
; %bb.1146:                             ;   in Loop: Header=BB123_1143 Depth=1
	ds_read_b64 v[3:4], v18
	ds_read_b64 v[5:6], v1 offset:41472
	s_waitcnt lgkmcnt(0)
	v_fma_f64 v[10:11], v[3:4], v[5:6], v[10:11]
.LBB123_1147:                           ;   in Loop: Header=BB123_1143 Depth=1
	s_or_b64 exec, exec, s[10:11]
	s_or_b32 s13, s12, 1
	v_cmp_eq_u32_e32 vcc, s13, v0
	s_and_b64 s[14:15], s[2:3], vcc
	s_barrier
	s_and_saveexec_b64 s[10:11], s[14:15]
; %bb.1148:                             ;   in Loop: Header=BB123_1143 Depth=1
	ds_write_b64 v1, v[10:11] offset:41472
; %bb.1149:                             ;   in Loop: Header=BB123_1143 Depth=1
	s_or_b64 exec, exec, s[10:11]
	v_cmp_lt_u32_e32 vcc, s13, v0
	s_and_b64 s[14:15], s[2:3], vcc
	s_waitcnt lgkmcnt(0)
	s_barrier
	s_and_saveexec_b64 s[10:11], s[14:15]
	s_cbranch_execz .LBB123_1151
; %bb.1150:                             ;   in Loop: Header=BB123_1143 Depth=1
	ds_read_b64 v[3:4], v18 offset:512
	ds_read_b64 v[5:6], v1 offset:41472
	s_waitcnt lgkmcnt(0)
	v_fma_f64 v[10:11], v[3:4], v[5:6], v[10:11]
.LBB123_1151:                           ;   in Loop: Header=BB123_1143 Depth=1
	s_or_b64 exec, exec, s[10:11]
	s_or_b32 s13, s12, 2
	v_cmp_eq_u32_e32 vcc, s13, v0
	s_and_b64 s[14:15], s[2:3], vcc
	s_barrier
	s_and_saveexec_b64 s[10:11], s[14:15]
; %bb.1152:                             ;   in Loop: Header=BB123_1143 Depth=1
	ds_write_b64 v1, v[10:11] offset:41472
; %bb.1153:                             ;   in Loop: Header=BB123_1143 Depth=1
	s_or_b64 exec, exec, s[10:11]
	v_cmp_lt_u32_e32 vcc, s13, v0
	s_and_b64 s[14:15], s[2:3], vcc
	s_waitcnt lgkmcnt(0)
	s_barrier
	s_and_saveexec_b64 s[10:11], s[14:15]
	s_cbranch_execz .LBB123_1155
; %bb.1154:                             ;   in Loop: Header=BB123_1143 Depth=1
	ds_read_b64 v[3:4], v18 offset:1024
	ds_read_b64 v[5:6], v1 offset:41472
	s_waitcnt lgkmcnt(0)
	v_fma_f64 v[10:11], v[3:4], v[5:6], v[10:11]
.LBB123_1155:                           ;   in Loop: Header=BB123_1143 Depth=1
	s_or_b64 exec, exec, s[10:11]
	s_or_b32 s13, s12, 3
	v_cmp_eq_u32_e32 vcc, s13, v0
	s_and_b64 s[14:15], s[2:3], vcc
	s_barrier
	s_and_saveexec_b64 s[10:11], s[14:15]
; %bb.1156:                             ;   in Loop: Header=BB123_1143 Depth=1
	ds_write_b64 v1, v[10:11] offset:41472
; %bb.1157:                             ;   in Loop: Header=BB123_1143 Depth=1
	s_or_b64 exec, exec, s[10:11]
	v_cmp_lt_u32_e32 vcc, s13, v0
	s_and_b64 s[14:15], s[2:3], vcc
	s_waitcnt lgkmcnt(0)
	s_barrier
	s_and_saveexec_b64 s[10:11], s[14:15]
	s_cbranch_execz .LBB123_1142
; %bb.1158:                             ;   in Loop: Header=BB123_1143 Depth=1
	ds_read_b64 v[3:4], v18 offset:1536
	ds_read_b64 v[5:6], v1 offset:41472
	s_waitcnt lgkmcnt(0)
	v_fma_f64 v[10:11], v[3:4], v[5:6], v[10:11]
	s_branch .LBB123_1142
.LBB123_1159:
	s_and_b64 vcc, exec, s[4:5]
	s_cbranch_vccz .LBB123_1163
; %bb.1160:
	s_and_b64 s[4:5], s[2:3], exec
	s_cbranch_execz .LBB123_1164
	s_branch .LBB123_1165
.LBB123_1161:
	s_or_b64 exec, exec, s[12:13]
	s_and_b64 vcc, exec, s[10:11]
	s_cbranch_vccnz .LBB123_1141
.LBB123_1162:
	v_mov_b32_e32 v11, v7
	v_mov_b32_e32 v10, v6
	s_and_saveexec_b64 s[2:3], s[8:9]
	s_cbranch_execnz .LBB123_1168
	s_branch .LBB123_1169
.LBB123_1163:
	s_mov_b64 s[4:5], 0
.LBB123_1164:
	v_cmp_gt_i32_e32 vcc, s7, v0
	s_and_b64 s[2:3], s[2:3], vcc
	s_andn2_b64 s[4:5], s[4:5], exec
	s_and_b64 s[2:3], s[2:3], exec
	s_or_b64 s[4:5], s[4:5], s[2:3]
.LBB123_1165:
                                        ; implicit-def: $vgpr4_vgpr5
	s_and_saveexec_b64 s[2:3], s[4:5]
	s_cbranch_execz .LBB123_1167
; %bb.1166:
	s_lshl_b32 s4, s6, 6
	s_ashr_i32 s5, s4, 31
	v_mov_b32_e32 v0, s5
	v_add_co_u32_e32 v1, vcc, s4, v19
	v_addc_co_u32_e32 v0, vcc, 0, v0, vcc
	v_mul_lo_u32 v0, v0, s26
	v_mul_lo_u32 v2, v1, s27
	v_mad_u64_u32 v[4:5], s[4:5], v1, s26, 0
	s_or_b64 s[8:9], s[8:9], exec
	v_add3_u32 v5, v5, v2, v0
.LBB123_1167:
	s_or_b64 exec, exec, s[2:3]
	s_and_saveexec_b64 s[2:3], s[8:9]
	s_cbranch_execz .LBB123_1169
.LBB123_1168:
	v_lshlrev_b64 v[0:1], 3, v[4:5]
	v_mov_b32_e32 v2, s21
	v_add_co_u32_e32 v0, vcc, s20, v0
	v_addc_co_u32_e32 v1, vcc, v2, v1, vcc
	flat_store_dwordx2 v[0:1], v[10:11]
.LBB123_1169:
	s_or_b64 exec, exec, s[2:3]
	v_cmp_eq_u32_e32 vcc, 0, v19
	s_waitcnt vmcnt(0) lgkmcnt(0)
	buffer_wbinvl1_vol
	s_barrier
	s_and_saveexec_b64 s[2:3], vcc
	s_cbranch_execz .LBB123_1171
; %bb.1170:
	s_lshl_b64 s[4:5], s[28:29], 2
	s_add_u32 s0, s0, s4
	s_addc_u32 s1, s1, s5
	v_mov_b32_e32 v0, 0
	global_load_dword v1, v0, s[0:1]
	s_waitcnt vmcnt(0)
	v_add_u32_e32 v1, 1, v1
	global_store_dword v0, v1, s[0:1]
.LBB123_1171:
	s_or_b64 exec, exec, s[2:3]
	s_waitcnt vmcnt(0)
	buffer_wbinvl1_vol
	s_endpgm
.LBB123_1172:
	ds_read_b64 v[22:23], v21 offset:31680
	ds_read_b64 v[24:25], v20 offset:31208
	s_waitcnt lgkmcnt(0)
	v_fma_f64 v[10:11], v[22:23], v[24:25], v[10:11]
	s_or_b64 exec, exec, s[14:15]
	v_cmp_gt_u32_e64 s[10:11], 8, v15
	s_and_saveexec_b64 s[14:15], s[10:11]
	s_cbranch_execz .LBB123_80
.LBB123_1173:
	ds_read_b64 v[21:22], v21 offset:32192
	ds_read_b64 v[23:24], v20 offset:31216
	s_waitcnt lgkmcnt(0)
	v_fma_f64 v[10:11], v[21:22], v[23:24], v[10:11]
	s_or_b64 exec, exec, s[14:15]
	v_cmp_gt_u32_e64 s[10:11], 4, v15
	s_and_saveexec_b64 s[14:15], s[10:11]
	s_cbranch_execnz .LBB123_81
	s_branch .LBB123_82
.LBB123_1174:
	ds_read_b64 v[25:26], v24 offset:29568
	ds_read_b64 v[27:28], v23 offset:29128
	s_waitcnt lgkmcnt(0)
	v_fma_f64 v[10:11], v[25:26], v[27:28], v[10:11]
	s_or_b64 exec, exec, s[16:17]
	v_cmp_gt_u32_e64 s[14:15], 48, v15
	s_and_saveexec_b64 s[16:17], s[14:15]
	s_cbranch_execz .LBB123_122
.LBB123_1175:
	ds_read_b64 v[25:26], v24 offset:30080
	ds_read_b64 v[27:28], v23 offset:29136
	s_waitcnt lgkmcnt(0)
	v_fma_f64 v[10:11], v[25:26], v[27:28], v[10:11]
	s_or_b64 exec, exec, s[16:17]
	v_cmp_gt_u32_e64 s[14:15], 40, v15
	s_and_saveexec_b64 s[16:17], s[14:15]
	s_cbranch_execz .LBB123_123
.LBB123_1176:
	ds_read_b64 v[25:26], v24 offset:30592
	ds_read_b64 v[27:28], v23 offset:29144
	s_waitcnt lgkmcnt(0)
	v_fma_f64 v[10:11], v[25:26], v[27:28], v[10:11]
	s_or_b64 exec, exec, s[16:17]
	v_cmp_gt_u32_e64 s[14:15], 32, v15
	s_and_saveexec_b64 s[16:17], s[14:15]
	s_cbranch_execz .LBB123_124
.LBB123_1177:
	ds_read_b64 v[25:26], v24 offset:31104
	ds_read_b64 v[27:28], v23 offset:29152
	s_waitcnt lgkmcnt(0)
	v_fma_f64 v[10:11], v[25:26], v[27:28], v[10:11]
	s_or_b64 exec, exec, s[16:17]
	v_cmp_gt_u32_e64 s[14:15], 24, v15
	s_and_saveexec_b64 s[16:17], s[14:15]
	s_cbranch_execz .LBB123_125
.LBB123_1178:
	ds_read_b64 v[25:26], v24 offset:31616
	ds_read_b64 v[27:28], v23 offset:29160
	s_waitcnt lgkmcnt(0)
	v_fma_f64 v[10:11], v[25:26], v[27:28], v[10:11]
	s_or_b64 exec, exec, s[16:17]
	s_and_saveexec_b64 s[14:15], s[18:19]
	s_cbranch_execz .LBB123_126
.LBB123_1179:
	ds_read_b64 v[24:25], v24 offset:32128
	ds_read_b64 v[26:27], v23 offset:29168
	s_waitcnt lgkmcnt(0)
	v_fma_f64 v[10:11], v[24:25], v[26:27], v[10:11]
	s_or_b64 exec, exec, s[14:15]
	v_cmp_gt_u32_e64 s[14:15], 8, v15
	s_and_saveexec_b64 s[16:17], s[14:15]
	s_cbranch_execnz .LBB123_127
	s_branch .LBB123_128
.LBB123_1180:
	ds_read_b64 v[25:26], v24 offset:27520
	ds_read_b64 v[27:28], v23 offset:27048
	s_waitcnt lgkmcnt(0)
	v_fma_f64 v[10:11], v[25:26], v[27:28], v[10:11]
	s_or_b64 exec, exec, s[14:15]
	v_cmp_gt_u32_e64 s[10:11], 8, v15
	s_and_saveexec_b64 s[14:15], s[10:11]
	s_cbranch_execz .LBB123_184
.LBB123_1181:
	ds_read_b64 v[24:25], v24 offset:28032
	ds_read_b64 v[26:27], v23 offset:27056
	s_waitcnt lgkmcnt(0)
	v_fma_f64 v[10:11], v[24:25], v[26:27], v[10:11]
	s_or_b64 exec, exec, s[14:15]
	v_cmp_gt_u32_e64 s[10:11], 4, v15
	s_and_saveexec_b64 s[14:15], s[10:11]
	s_cbranch_execnz .LBB123_185
	s_branch .LBB123_186
.LBB123_1182:
	ds_read_b64 v[28:29], v27 offset:30464
	ds_read_b64 v[30:31], v26 offset:25048
	s_waitcnt lgkmcnt(0)
	v_fma_f64 v[10:11], v[28:29], v[30:31], v[10:11]
	s_or_b64 exec, exec, s[20:21]
	s_and_saveexec_b64 s[16:17], s[8:9]
	s_cbranch_execz .LBB123_246
.LBB123_1183:
	ds_read_b64 v[28:29], v27 offset:30976
	ds_read_b64 v[30:31], v26 offset:25056
	s_waitcnt lgkmcnt(0)
	v_fma_f64 v[10:11], v[28:29], v[30:31], v[10:11]
	s_or_b64 exec, exec, s[16:17]
	v_cmp_gt_u32_e64 s[16:17], 48, v15
	s_and_saveexec_b64 s[20:21], s[16:17]
	s_cbranch_execz .LBB123_247
.LBB123_1184:
	ds_read_b64 v[28:29], v27 offset:31488
	ds_read_b64 v[30:31], v26 offset:25064
	s_waitcnt lgkmcnt(0)
	v_fma_f64 v[10:11], v[28:29], v[30:31], v[10:11]
	s_or_b64 exec, exec, s[20:21]
	v_cmp_gt_u32_e64 s[16:17], 32, v15
	s_and_saveexec_b64 s[20:21], s[16:17]
	s_cbranch_execz .LBB123_248
.LBB123_1185:
	ds_read_b64 v[27:28], v27 offset:32000
	ds_read_b64 v[29:30], v26 offset:25072
	s_waitcnt lgkmcnt(0)
	v_fma_f64 v[10:11], v[27:28], v[29:30], v[10:11]
	s_or_b64 exec, exec, s[20:21]
	v_cmp_gt_u32_e64 s[16:17], 16, v15
	s_and_saveexec_b64 s[20:21], s[16:17]
	s_cbranch_execnz .LBB123_249
	s_branch .LBB123_250
.LBB123_1186:
	ds_read_b64 v[28:29], v27 offset:23360
	ds_read_b64 v[30:31], v26 offset:22888
	s_waitcnt lgkmcnt(0)
	v_fma_f64 v[10:11], v[28:29], v[30:31], v[10:11]
	s_or_b64 exec, exec, s[20:21]
	v_cmp_gt_u32_e64 s[14:15], 8, v15
	s_and_saveexec_b64 s[20:21], s[14:15]
	s_cbranch_execz .LBB123_338
.LBB123_1187:
	ds_read_b64 v[27:28], v27 offset:23872
	ds_read_b64 v[29:30], v26 offset:22896
	s_waitcnt lgkmcnt(0)
	v_fma_f64 v[10:11], v[27:28], v[29:30], v[10:11]
	s_or_b64 exec, exec, s[20:21]
	v_cmp_gt_u32_e64 s[14:15], 4, v15
	s_and_saveexec_b64 s[20:21], s[14:15]
	s_cbranch_execnz .LBB123_339
	s_branch .LBB123_340
.LBB123_1188:
	ds_read_b64 v[28:29], v27 offset:21248
	ds_read_b64 v[30:31], v26 offset:20808
	s_waitcnt lgkmcnt(0)
	v_fma_f64 v[10:11], v[28:29], v[30:31], v[10:11]
	s_or_b64 exec, exec, s[20:21]
	v_cmp_gt_u32_e64 s[14:15], 48, v15
	s_and_saveexec_b64 s[20:21], s[14:15]
	s_cbranch_execz .LBB123_380
.LBB123_1189:
	ds_read_b64 v[28:29], v27 offset:21760
	ds_read_b64 v[30:31], v26 offset:20816
	s_waitcnt lgkmcnt(0)
	v_fma_f64 v[10:11], v[28:29], v[30:31], v[10:11]
	s_or_b64 exec, exec, s[20:21]
	v_cmp_gt_u32_e64 s[14:15], 40, v15
	s_and_saveexec_b64 s[20:21], s[14:15]
	s_cbranch_execz .LBB123_381
.LBB123_1190:
	ds_read_b64 v[28:29], v27 offset:22272
	ds_read_b64 v[30:31], v26 offset:20824
	s_waitcnt lgkmcnt(0)
	v_fma_f64 v[10:11], v[28:29], v[30:31], v[10:11]
	s_or_b64 exec, exec, s[20:21]
	v_cmp_gt_u32_e64 s[14:15], 32, v15
	s_and_saveexec_b64 s[20:21], s[14:15]
	s_cbranch_execz .LBB123_382
.LBB123_1191:
	ds_read_b64 v[28:29], v27 offset:22784
	ds_read_b64 v[30:31], v26 offset:20832
	s_waitcnt lgkmcnt(0)
	v_fma_f64 v[10:11], v[28:29], v[30:31], v[10:11]
	s_or_b64 exec, exec, s[20:21]
	v_cmp_gt_u32_e64 s[14:15], 24, v15
	s_and_saveexec_b64 s[20:21], s[14:15]
	s_cbranch_execz .LBB123_383
.LBB123_1192:
	ds_read_b64 v[28:29], v27 offset:23296
	ds_read_b64 v[30:31], v26 offset:20840
	s_waitcnt lgkmcnt(0)
	v_fma_f64 v[10:11], v[28:29], v[30:31], v[10:11]
	s_or_b64 exec, exec, s[20:21]
	s_and_saveexec_b64 s[14:15], s[18:19]
	s_cbranch_execz .LBB123_384
.LBB123_1193:
	ds_read_b64 v[27:28], v27 offset:23808
	ds_read_b64 v[29:30], v26 offset:20848
	s_waitcnt lgkmcnt(0)
	v_fma_f64 v[10:11], v[27:28], v[29:30], v[10:11]
	s_or_b64 exec, exec, s[14:15]
	v_cmp_gt_u32_e64 s[14:15], 8, v15
	s_and_saveexec_b64 s[20:21], s[14:15]
	s_cbranch_execnz .LBB123_385
	s_branch .LBB123_386
.LBB123_1194:
	ds_read_b64 v[28:29], v27 offset:19200
	ds_read_b64 v[30:31], v26 offset:18728
	s_waitcnt lgkmcnt(0)
	v_fma_f64 v[10:11], v[28:29], v[30:31], v[10:11]
	s_or_b64 exec, exec, s[20:21]
	v_cmp_gt_u32_e64 s[14:15], 8, v15
	s_and_saveexec_b64 s[20:21], s[14:15]
	s_cbranch_execz .LBB123_442
.LBB123_1195:
	ds_read_b64 v[27:28], v27 offset:19712
	ds_read_b64 v[29:30], v26 offset:18736
	s_waitcnt lgkmcnt(0)
	v_fma_f64 v[10:11], v[27:28], v[29:30], v[10:11]
	s_or_b64 exec, exec, s[20:21]
	v_cmp_gt_u32_e64 s[14:15], 4, v15
	s_and_saveexec_b64 s[20:21], s[14:15]
	s_cbranch_execnz .LBB123_443
	s_branch .LBB123_444
.LBB123_1196:
	ds_read_b64 v[31:32], v27 offset:31232
	ds_read_b64 v[33:34], v30 offset:16872
	s_waitcnt lgkmcnt(0)
	v_fma_f64 v[10:11], v[31:32], v[33:34], v[10:11]
	s_or_b64 exec, exec, s[34:35]
	s_and_saveexec_b64 s[20:21], s[8:9]
	s_cbranch_execz .LBB123_540
.LBB123_1197:
	ds_read_b64 v[31:32], v27 offset:31744
	ds_read_b64 v[33:34], v30 offset:16880
	s_waitcnt lgkmcnt(0)
	v_fma_f64 v[10:11], v[31:32], v[33:34], v[10:11]
	s_or_b64 exec, exec, s[20:21]
	v_cmp_gt_u32_e64 s[20:21], 32, v15
	s_and_saveexec_b64 s[34:35], s[20:21]
	s_cbranch_execnz .LBB123_541
	s_branch .LBB123_542
.LBB123_1198:
	ds_read_b64 v[28:29], v27 offset:15040
	ds_read_b64 v[30:31], v26 offset:14568
	s_waitcnt lgkmcnt(0)
	v_fma_f64 v[10:11], v[28:29], v[30:31], v[10:11]
	s_or_b64 exec, exec, s[16:17]
	v_cmp_gt_u32_e64 s[12:13], 8, v15
	s_and_saveexec_b64 s[16:17], s[12:13]
	s_cbranch_execz .LBB123_694
.LBB123_1199:
	ds_read_b64 v[27:28], v27 offset:15552
	ds_read_b64 v[29:30], v26 offset:14576
	s_waitcnt lgkmcnt(0)
	v_fma_f64 v[10:11], v[27:28], v[29:30], v[10:11]
	s_or_b64 exec, exec, s[16:17]
	v_cmp_gt_u32_e64 s[12:13], 4, v15
	s_and_saveexec_b64 s[16:17], s[12:13]
	s_cbranch_execnz .LBB123_695
	s_branch .LBB123_696
.LBB123_1200:
	ds_read_b64 v[28:29], v27 offset:12928
	ds_read_b64 v[30:31], v26 offset:12488
	s_waitcnt lgkmcnt(0)
	v_fma_f64 v[10:11], v[28:29], v[30:31], v[10:11]
	s_or_b64 exec, exec, s[16:17]
	v_cmp_gt_u32_e64 s[12:13], 48, v15
	s_and_saveexec_b64 s[16:17], s[12:13]
	s_cbranch_execz .LBB123_736
.LBB123_1201:
	ds_read_b64 v[28:29], v27 offset:13440
	ds_read_b64 v[30:31], v26 offset:12496
	s_waitcnt lgkmcnt(0)
	v_fma_f64 v[10:11], v[28:29], v[30:31], v[10:11]
	s_or_b64 exec, exec, s[16:17]
	v_cmp_gt_u32_e64 s[12:13], 40, v15
	s_and_saveexec_b64 s[16:17], s[12:13]
	s_cbranch_execz .LBB123_737
.LBB123_1202:
	ds_read_b64 v[28:29], v27 offset:13952
	ds_read_b64 v[30:31], v26 offset:12504
	s_waitcnt lgkmcnt(0)
	v_fma_f64 v[10:11], v[28:29], v[30:31], v[10:11]
	s_or_b64 exec, exec, s[16:17]
	v_cmp_gt_u32_e64 s[12:13], 32, v15
	s_and_saveexec_b64 s[16:17], s[12:13]
	s_cbranch_execz .LBB123_738
.LBB123_1203:
	ds_read_b64 v[28:29], v27 offset:14464
	ds_read_b64 v[30:31], v26 offset:12512
	s_waitcnt lgkmcnt(0)
	v_fma_f64 v[10:11], v[28:29], v[30:31], v[10:11]
	s_or_b64 exec, exec, s[16:17]
	v_cmp_gt_u32_e64 s[12:13], 24, v15
	s_and_saveexec_b64 s[16:17], s[12:13]
	s_cbranch_execz .LBB123_739
.LBB123_1204:
	ds_read_b64 v[28:29], v27 offset:14976
	ds_read_b64 v[30:31], v26 offset:12520
	s_waitcnt lgkmcnt(0)
	v_fma_f64 v[10:11], v[28:29], v[30:31], v[10:11]
	s_or_b64 exec, exec, s[16:17]
	s_and_saveexec_b64 s[12:13], s[18:19]
	s_cbranch_execz .LBB123_740
.LBB123_1205:
	ds_read_b64 v[27:28], v27 offset:15488
	ds_read_b64 v[29:30], v26 offset:12528
	s_waitcnt lgkmcnt(0)
	v_fma_f64 v[10:11], v[27:28], v[29:30], v[10:11]
	s_or_b64 exec, exec, s[12:13]
	v_cmp_gt_u32_e64 s[12:13], 8, v15
	s_and_saveexec_b64 s[16:17], s[12:13]
	s_cbranch_execnz .LBB123_741
	s_branch .LBB123_742
.LBB123_1206:
	ds_read_b64 v[28:29], v27 offset:10880
	ds_read_b64 v[30:31], v26 offset:10408
	s_waitcnt lgkmcnt(0)
	v_fma_f64 v[10:11], v[28:29], v[30:31], v[10:11]
	s_or_b64 exec, exec, s[16:17]
	v_cmp_gt_u32_e64 s[12:13], 8, v15
	s_and_saveexec_b64 s[16:17], s[12:13]
	s_cbranch_execz .LBB123_798
.LBB123_1207:
	ds_read_b64 v[27:28], v27 offset:11392
	ds_read_b64 v[29:30], v26 offset:10416
	s_waitcnt lgkmcnt(0)
	v_fma_f64 v[10:11], v[27:28], v[29:30], v[10:11]
	s_or_b64 exec, exec, s[16:17]
	v_cmp_gt_u32_e64 s[12:13], 4, v15
	s_and_saveexec_b64 s[16:17], s[12:13]
	s_cbranch_execnz .LBB123_799
	s_branch .LBB123_800
.LBB123_1208:
	ds_read_b64 v[28:29], v27 offset:13824
	ds_read_b64 v[30:31], v26 offset:8408
	s_waitcnt lgkmcnt(0)
	v_fma_f64 v[10:11], v[28:29], v[30:31], v[10:11]
	s_or_b64 exec, exec, s[16:17]
	s_and_saveexec_b64 s[12:13], s[8:9]
	s_cbranch_execz .LBB123_860
.LBB123_1209:
	ds_read_b64 v[28:29], v27 offset:14336
	ds_read_b64 v[30:31], v26 offset:8416
	s_waitcnt lgkmcnt(0)
	v_fma_f64 v[10:11], v[28:29], v[30:31], v[10:11]
	s_or_b64 exec, exec, s[12:13]
	v_cmp_gt_u32_e64 s[12:13], 48, v15
	s_and_saveexec_b64 s[16:17], s[12:13]
	s_cbranch_execz .LBB123_861
.LBB123_1210:
	ds_read_b64 v[28:29], v27 offset:14848
	ds_read_b64 v[30:31], v26 offset:8424
	s_waitcnt lgkmcnt(0)
	v_fma_f64 v[10:11], v[28:29], v[30:31], v[10:11]
	s_or_b64 exec, exec, s[16:17]
	v_cmp_gt_u32_e64 s[12:13], 32, v15
	s_and_saveexec_b64 s[16:17], s[12:13]
	s_cbranch_execz .LBB123_862
.LBB123_1211:
	ds_read_b64 v[27:28], v27 offset:15360
	ds_read_b64 v[29:30], v26 offset:8432
	s_waitcnt lgkmcnt(0)
	v_fma_f64 v[10:11], v[27:28], v[29:30], v[10:11]
	s_or_b64 exec, exec, s[16:17]
	v_cmp_gt_u32_e64 s[12:13], 16, v15
	s_and_saveexec_b64 s[16:17], s[12:13]
	s_cbranch_execnz .LBB123_863
	s_branch .LBB123_864
.LBB123_1212:
	ds_read_b64 v[25:26], v24 offset:6720
	ds_read_b64 v[27:28], v23 offset:6248
	s_waitcnt lgkmcnt(0)
	v_fma_f64 v[10:11], v[25:26], v[27:28], v[10:11]
	s_or_b64 exec, exec, s[12:13]
	v_cmp_gt_u32_e64 s[10:11], 8, v15
	s_and_saveexec_b64 s[12:13], s[10:11]
	s_cbranch_execz .LBB123_952
.LBB123_1213:
	ds_read_b64 v[24:25], v24 offset:7232
	ds_read_b64 v[26:27], v23 offset:6256
	s_waitcnt lgkmcnt(0)
	v_fma_f64 v[10:11], v[24:25], v[26:27], v[10:11]
	s_or_b64 exec, exec, s[12:13]
	v_cmp_gt_u32_e64 s[10:11], 4, v15
	s_and_saveexec_b64 s[12:13], s[10:11]
	s_cbranch_execnz .LBB123_953
	s_branch .LBB123_954
.LBB123_1214:
	ds_read_b64 v[25:26], v24 offset:4608
	ds_read_b64 v[27:28], v23 offset:4168
	s_waitcnt lgkmcnt(0)
	v_fma_f64 v[10:11], v[25:26], v[27:28], v[10:11]
	s_or_b64 exec, exec, s[12:13]
	v_cmp_gt_u32_e64 s[10:11], 48, v15
	s_and_saveexec_b64 s[12:13], s[10:11]
	s_cbranch_execz .LBB123_994
.LBB123_1215:
	ds_read_b64 v[25:26], v24 offset:5120
	ds_read_b64 v[27:28], v23 offset:4176
	s_waitcnt lgkmcnt(0)
	v_fma_f64 v[10:11], v[25:26], v[27:28], v[10:11]
	s_or_b64 exec, exec, s[12:13]
	v_cmp_gt_u32_e64 s[10:11], 40, v15
	s_and_saveexec_b64 s[12:13], s[10:11]
	s_cbranch_execz .LBB123_995
.LBB123_1216:
	ds_read_b64 v[25:26], v24 offset:5632
	ds_read_b64 v[27:28], v23 offset:4184
	s_waitcnt lgkmcnt(0)
	v_fma_f64 v[10:11], v[25:26], v[27:28], v[10:11]
	s_or_b64 exec, exec, s[12:13]
	v_cmp_gt_u32_e64 s[10:11], 32, v15
	s_and_saveexec_b64 s[12:13], s[10:11]
	s_cbranch_execz .LBB123_996
.LBB123_1217:
	ds_read_b64 v[25:26], v24 offset:6144
	ds_read_b64 v[27:28], v23 offset:4192
	s_waitcnt lgkmcnt(0)
	v_fma_f64 v[10:11], v[25:26], v[27:28], v[10:11]
	s_or_b64 exec, exec, s[12:13]
	v_cmp_gt_u32_e64 s[10:11], 24, v15
	s_and_saveexec_b64 s[12:13], s[10:11]
	s_cbranch_execz .LBB123_997
.LBB123_1218:
	ds_read_b64 v[25:26], v24 offset:6656
	ds_read_b64 v[27:28], v23 offset:4200
	s_waitcnt lgkmcnt(0)
	v_fma_f64 v[10:11], v[25:26], v[27:28], v[10:11]
	s_or_b64 exec, exec, s[12:13]
	s_and_saveexec_b64 s[10:11], s[18:19]
	s_cbranch_execz .LBB123_998
.LBB123_1219:
	ds_read_b64 v[24:25], v24 offset:7168
	ds_read_b64 v[26:27], v23 offset:4208
	s_waitcnt lgkmcnt(0)
	v_fma_f64 v[10:11], v[24:25], v[26:27], v[10:11]
	s_or_b64 exec, exec, s[10:11]
	v_cmp_gt_u32_e64 s[10:11], 8, v15
	s_and_saveexec_b64 s[12:13], s[10:11]
	s_cbranch_execnz .LBB123_999
	s_branch .LBB123_1000
.LBB123_1220:
	ds_read_b64 v[22:23], v21 offset:2560
	ds_read_b64 v[24:25], v20 offset:2088
	s_waitcnt lgkmcnt(0)
	v_fma_f64 v[10:11], v[22:23], v[24:25], v[10:11]
	s_or_b64 exec, exec, s[10:11]
	v_cmp_gt_u32_e64 s[8:9], 8, v15
	s_and_saveexec_b64 s[10:11], s[8:9]
	s_cbranch_execz .LBB123_1056
.LBB123_1221:
	ds_read_b64 v[21:22], v21 offset:3072
	ds_read_b64 v[23:24], v20 offset:2096
	s_waitcnt lgkmcnt(0)
	v_fma_f64 v[10:11], v[21:22], v[23:24], v[10:11]
	s_or_b64 exec, exec, s[10:11]
	v_cmp_gt_u32_e64 s[8:9], 4, v15
	s_and_saveexec_b64 s[10:11], s[8:9]
	s_cbranch_execnz .LBB123_1057
	s_branch .LBB123_1058
	.section	.rodata,"a",@progbits
	.p2align	6, 0x0
	.amdhsa_kernel _ZL19rocblas_trsv_deviceILi64ELi16ELb0ELb1ELb1ELb1EdPKdPKS1_PKPdEviT7_lllT6_T8_lllPii
		.amdhsa_group_segment_fixed_size 41480
		.amdhsa_private_segment_fixed_size 0
		.amdhsa_kernarg_size 352
		.amdhsa_user_sgpr_count 6
		.amdhsa_user_sgpr_private_segment_buffer 1
		.amdhsa_user_sgpr_dispatch_ptr 0
		.amdhsa_user_sgpr_queue_ptr 0
		.amdhsa_user_sgpr_kernarg_segment_ptr 1
		.amdhsa_user_sgpr_dispatch_id 0
		.amdhsa_user_sgpr_flat_scratch_init 0
		.amdhsa_user_sgpr_private_segment_size 0
		.amdhsa_uses_dynamic_stack 0
		.amdhsa_system_sgpr_private_segment_wavefront_offset 0
		.amdhsa_system_sgpr_workgroup_id_x 1
		.amdhsa_system_sgpr_workgroup_id_y 0
		.amdhsa_system_sgpr_workgroup_id_z 1
		.amdhsa_system_sgpr_workgroup_info 0
		.amdhsa_system_vgpr_workitem_id 1
		.amdhsa_next_free_vgpr 49
		.amdhsa_next_free_sgpr 98
		.amdhsa_reserve_vcc 1
		.amdhsa_reserve_flat_scratch 0
		.amdhsa_float_round_mode_32 0
		.amdhsa_float_round_mode_16_64 0
		.amdhsa_float_denorm_mode_32 3
		.amdhsa_float_denorm_mode_16_64 3
		.amdhsa_dx10_clamp 1
		.amdhsa_ieee_mode 1
		.amdhsa_fp16_overflow 0
		.amdhsa_exception_fp_ieee_invalid_op 0
		.amdhsa_exception_fp_denorm_src 0
		.amdhsa_exception_fp_ieee_div_zero 0
		.amdhsa_exception_fp_ieee_overflow 0
		.amdhsa_exception_fp_ieee_underflow 0
		.amdhsa_exception_fp_ieee_inexact 0
		.amdhsa_exception_int_div_zero 0
	.end_amdhsa_kernel
	.section	.text._ZL19rocblas_trsv_deviceILi64ELi16ELb0ELb1ELb1ELb1EdPKdPKS1_PKPdEviT7_lllT6_T8_lllPii,"axG",@progbits,_ZL19rocblas_trsv_deviceILi64ELi16ELb0ELb1ELb1ELb1EdPKdPKS1_PKPdEviT7_lllT6_T8_lllPii,comdat
.Lfunc_end123:
	.size	_ZL19rocblas_trsv_deviceILi64ELi16ELb0ELb1ELb1ELb1EdPKdPKS1_PKPdEviT7_lllT6_T8_lllPii, .Lfunc_end123-_ZL19rocblas_trsv_deviceILi64ELi16ELb0ELb1ELb1ELb1EdPKdPKS1_PKPdEviT7_lllT6_T8_lllPii
                                        ; -- End function
	.set _ZL19rocblas_trsv_deviceILi64ELi16ELb0ELb1ELb1ELb1EdPKdPKS1_PKPdEviT7_lllT6_T8_lllPii.num_vgpr, 36
	.set _ZL19rocblas_trsv_deviceILi64ELi16ELb0ELb1ELb1ELb1EdPKdPKS1_PKPdEviT7_lllT6_T8_lllPii.num_agpr, 0
	.set _ZL19rocblas_trsv_deviceILi64ELi16ELb0ELb1ELb1ELb1EdPKdPKS1_PKPdEviT7_lllT6_T8_lllPii.numbered_sgpr, 96
	.set _ZL19rocblas_trsv_deviceILi64ELi16ELb0ELb1ELb1ELb1EdPKdPKS1_PKPdEviT7_lllT6_T8_lllPii.num_named_barrier, 0
	.set _ZL19rocblas_trsv_deviceILi64ELi16ELb0ELb1ELb1ELb1EdPKdPKS1_PKPdEviT7_lllT6_T8_lllPii.private_seg_size, 0
	.set _ZL19rocblas_trsv_deviceILi64ELi16ELb0ELb1ELb1ELb1EdPKdPKS1_PKPdEviT7_lllT6_T8_lllPii.uses_vcc, 1
	.set _ZL19rocblas_trsv_deviceILi64ELi16ELb0ELb1ELb1ELb1EdPKdPKS1_PKPdEviT7_lllT6_T8_lllPii.uses_flat_scratch, 0
	.set _ZL19rocblas_trsv_deviceILi64ELi16ELb0ELb1ELb1ELb1EdPKdPKS1_PKPdEviT7_lllT6_T8_lllPii.has_dyn_sized_stack, 0
	.set _ZL19rocblas_trsv_deviceILi64ELi16ELb0ELb1ELb1ELb1EdPKdPKS1_PKPdEviT7_lllT6_T8_lllPii.has_recursion, 0
	.set _ZL19rocblas_trsv_deviceILi64ELi16ELb0ELb1ELb1ELb1EdPKdPKS1_PKPdEviT7_lllT6_T8_lllPii.has_indirect_call, 0
	.section	.AMDGPU.csdata,"",@progbits
; Kernel info:
; codeLenInByte = 36492
; TotalNumSgprs: 100
; NumVgprs: 36
; ScratchSize: 0
; MemoryBound: 0
; FloatMode: 240
; IeeeMode: 1
; LDSByteSize: 41480 bytes/workgroup (compile time only)
; SGPRBlocks: 12
; VGPRBlocks: 12
; NumSGPRsForWavesPerEU: 102
; NumVGPRsForWavesPerEU: 49
; Occupancy: 4
; WaveLimiterHint : 1
; COMPUTE_PGM_RSRC2:SCRATCH_EN: 0
; COMPUTE_PGM_RSRC2:USER_SGPR: 6
; COMPUTE_PGM_RSRC2:TRAP_HANDLER: 0
; COMPUTE_PGM_RSRC2:TGID_X_EN: 1
; COMPUTE_PGM_RSRC2:TGID_Y_EN: 0
; COMPUTE_PGM_RSRC2:TGID_Z_EN: 1
; COMPUTE_PGM_RSRC2:TIDIG_COMP_CNT: 1
	.section	.text._ZL19rocblas_trsv_deviceILi64ELi16ELb0ELb0ELb0ELb0EdPKdPKS1_PKPdEviT7_lllT6_T8_lllPii,"axG",@progbits,_ZL19rocblas_trsv_deviceILi64ELi16ELb0ELb0ELb0ELb0EdPKdPKS1_PKPdEviT7_lllT6_T8_lllPii,comdat
	.globl	_ZL19rocblas_trsv_deviceILi64ELi16ELb0ELb0ELb0ELb0EdPKdPKS1_PKPdEviT7_lllT6_T8_lllPii ; -- Begin function _ZL19rocblas_trsv_deviceILi64ELi16ELb0ELb0ELb0ELb0EdPKdPKS1_PKPdEviT7_lllT6_T8_lllPii
	.p2align	8
	.type	_ZL19rocblas_trsv_deviceILi64ELi16ELb0ELb0ELb0ELb0EdPKdPKS1_PKPdEviT7_lllT6_T8_lllPii,@function
_ZL19rocblas_trsv_deviceILi64ELi16ELb0ELb0ELb0ELb0EdPKdPKS1_PKPdEviT7_lllT6_T8_lllPii: ; @_ZL19rocblas_trsv_deviceILi64ELi16ELb0ELb0ELb0ELb0EdPKdPKS1_PKPdEviT7_lllT6_T8_lllPii
; %bb.0:
	s_load_dwordx4 s[0:3], s[4:5], 0x8
	s_mov_b32 s24, s7
	s_mov_b32 s25, 0
	s_lshl_b64 s[8:9], s[24:25], 3
                                        ; implicit-def: $vgpr36 : SGPR spill to VGPR lane
	v_mov_b32_e32 v2, v1
	s_waitcnt lgkmcnt(0)
	s_add_u32 s0, s0, s8
	s_addc_u32 s1, s1, s9
	s_load_dwordx2 s[10:11], s[0:1], 0x0
	s_load_dword s26, s[4:5], 0x0
	s_load_dwordx8 s[16:23], s[4:5], 0x28
	s_load_dwordx2 s[28:29], s[4:5], 0x18
	s_lshl_b64 s[0:1], s[2:3], 3
	s_waitcnt lgkmcnt(0)
	s_add_u32 s95, s10, s0
	s_addc_u32 s34, s11, s1
	s_add_u32 s0, s18, s8
	s_load_dword s7, s[4:5], 0x60
	s_addc_u32 s1, s19, s9
	s_load_dwordx2 s[2:3], s[0:1], 0x0
	s_load_dwordx2 s[44:45], s[16:17], 0x0
	s_load_dword s30, s[4:5], 0x6c
                                        ; kill: killed $sgpr0 killed $sgpr1
	s_waitcnt lgkmcnt(0)
	s_add_i32 s7, s7, -1
	s_sub_i32 s35, s7, s6
	v_writelane_b32 v36, s2, 0
	s_cmp_lg_u32 s6, 0
	v_writelane_b32 v36, s3, 1
	s_cbranch_scc0 .LBB124_994
; %bb.1:
	s_lshl_b32 s33, s35, 6
	v_add3_u32 v1, v2, s33, 64
	v_ashrrev_i32_e32 v3, 31, v1
	v_mul_lo_u32 v7, s28, v3
	v_mul_lo_u32 v8, s29, v1
	v_mad_u64_u32 v[3:4], s[0:1], s28, v1, 0
	v_add_u32_e32 v5, s33, v0
	v_ashrrev_i32_e32 v6, 31, v5
	v_add3_u32 v4, v4, v7, v8
	v_lshlrev_b64 v[3:4], 3, v[3:4]
	v_mov_b32_e32 v7, s34
	v_add_co_u32_e64 v8, s[0:1], s95, v3
	v_addc_co_u32_e64 v7, s[0:1], v7, v4, s[0:1]
	v_lshlrev_b64 v[3:4], 3, v[5:6]
	v_cmp_gt_i32_e32 vcc, s26, v5
	v_add_co_u32_e64 v11, s[0:1], v8, v3
	v_addc_co_u32_e64 v12, s[0:1], v7, v4, s[0:1]
	v_cmp_gt_i32_e64 s[0:1], s26, v1
	v_mov_b32_e32 v5, 0
	v_mov_b32_e32 v3, 0
	;; [unrolled: 1-line block ×4, first 2 shown]
	s_and_b64 s[2:3], vcc, s[0:1]
	s_barrier
	s_and_saveexec_b64 s[0:1], s[2:3]
	s_cbranch_execz .LBB124_3
; %bb.2:
	flat_load_dwordx2 v[3:4], v[11:12]
.LBB124_3:
	s_or_b64 exec, exec, s[0:1]
	v_add_u32_e32 v7, 16, v1
	v_cmp_gt_i32_e64 s[0:1], s26, v7
	s_and_b64 s[0:1], vcc, s[0:1]
	s_waitcnt vmcnt(0) lgkmcnt(0)
	s_barrier
	s_and_saveexec_b64 s[2:3], s[0:1]
	s_cbranch_execz .LBB124_5
; %bb.4:
	s_lshl_b64 s[0:1], s[28:29], 7
	v_mov_b32_e32 v6, s1
	v_add_co_u32_e64 v5, s[0:1], s0, v11
	v_addc_co_u32_e64 v6, s[0:1], v12, v6, s[0:1]
	flat_load_dwordx2 v[5:6], v[5:6]
.LBB124_5:
	s_or_b64 exec, exec, s[2:3]
	v_add_u32_e32 v7, 32, v1
	v_cmp_gt_i32_e64 s[0:1], s26, v7
	v_mov_b32_e32 v7, 0
	v_mov_b32_e32 v9, 0
	;; [unrolled: 1-line block ×4, first 2 shown]
	s_and_b64 s[0:1], vcc, s[0:1]
	s_waitcnt vmcnt(0) lgkmcnt(0)
	s_barrier
	s_and_saveexec_b64 s[2:3], s[0:1]
	s_cbranch_execz .LBB124_7
; %bb.6:
	s_lshl_b64 s[0:1], s[28:29], 8
	v_mov_b32_e32 v10, s1
	v_add_co_u32_e64 v9, s[0:1], s0, v11
	v_addc_co_u32_e64 v10, s[0:1], v12, v10, s[0:1]
	flat_load_dwordx2 v[9:10], v[9:10]
.LBB124_7:
	s_or_b64 exec, exec, s[2:3]
	v_add_u32_e32 v1, 48, v1
	v_cmp_gt_i32_e64 s[0:1], s26, v1
	s_and_b64 s[2:3], vcc, s[0:1]
	s_waitcnt vmcnt(0) lgkmcnt(0)
	s_barrier
	s_and_saveexec_b64 s[0:1], s[2:3]
	s_cbranch_execz .LBB124_9
; %bb.8:
	v_mov_b32_e32 v1, 0x180
	v_mad_u64_u32 v[7:8], s[2:3], s28, v1, v[11:12]
	s_mul_i32 s2, s29, 0x180
	v_add_u32_e32 v8, s2, v8
	flat_load_dwordx2 v[7:8], v[7:8]
.LBB124_9:
	s_or_b64 exec, exec, s[0:1]
	s_branch .LBB124_11
.LBB124_10:
	s_lshl_b32 s33, s35, 6
                                        ; implicit-def: $vgpr3_vgpr4
                                        ; implicit-def: $vgpr5_vgpr6
                                        ; implicit-def: $vgpr9_vgpr10
                                        ; implicit-def: $vgpr7_vgpr8
.LBB124_11:
	s_ashr_i32 s27, s26, 31
	s_lshr_b32 s0, s27, 26
	s_add_i32 s0, s26, s0
	s_andn2_b32 s0, s0, 63
	s_sub_i32 s94, s26, s0
	s_add_i32 s0, s26, -1
	s_ashr_i32 s1, s0, 31
	s_lshr_b32 s1, s1, 26
	s_add_i32 s0, s0, s1
	s_ashr_i32 s0, s0, 6
	s_cmp_eq_u32 s0, s35
	s_cselect_b64 s[0:1], -1, 0
	s_cmp_lg_u32 s94, 0
	s_cselect_b64 s[2:3], -1, 0
	s_and_b64 s[18:19], s[2:3], s[0:1]
	s_ashr_i32 s54, s33, 31
	s_add_u32 s8, s28, 1
	v_mov_b32_e32 v1, 0
	v_mov_b32_e32 v11, s33
	v_mad_u64_u32 v[11:12], s[0:1], s8, v11, v[0:1]
	s_addc_u32 s9, s29, 0
	s_mul_i32 s0, s8, s54
	s_mul_i32 s9, s9, s33
	s_add_i32 s0, s0, s9
	s_mov_b64 s[2:3], -1
	v_add_u32_e32 v12, s0, v12
	s_and_b64 vcc, exec, s[18:19]
	v_cmp_le_u32_e64 s[0:1], v2, v0
	s_cbranch_vccnz .LBB124_33
; %bb.12:
	v_mad_u64_u32 v[15:16], s[2:3], s28, v2, v[11:12]
	v_mov_b32_e32 v1, v16
	v_mad_u64_u32 v[13:14], s[2:3], s29, v2, v[1:2]
	s_mov_b64 s[2:3], 0
	v_mov_b32_e32 v16, v13
                                        ; implicit-def: $vgpr13_vgpr14
	s_and_saveexec_b64 s[8:9], s[0:1]
	s_xor_b64 s[0:1], exec, s[8:9]
	s_cbranch_execnz .LBB124_995
; %bb.13:
	s_andn2_saveexec_b64 s[0:1], s[0:1]
	s_cbranch_execnz .LBB124_1000
.LBB124_14:
	s_or_b64 exec, exec, s[0:1]
	s_and_saveexec_b64 s[0:1], s[2:3]
.LBB124_15:
	v_lshlrev_b32_e32 v1, 3, v0
	v_lshl_add_u32 v1, v2, 9, v1
	ds_write_b64 v1, v[13:14]
.LBB124_16:
	s_or_b64 exec, exec, s[0:1]
	v_add_u32_e32 v1, 16, v2
	v_mad_u64_u32 v[15:16], s[0:1], s28, v1, v[11:12]
	v_cmp_le_u32_e32 vcc, v1, v0
	s_mov_b64 s[2:3], 0
	v_mov_b32_e32 v13, v16
	v_mad_u64_u32 v[13:14], s[0:1], s29, v1, v[13:14]
	v_mov_b32_e32 v16, v13
                                        ; implicit-def: $vgpr13_vgpr14
	s_and_saveexec_b64 s[0:1], vcc
	s_xor_b64 s[0:1], exec, s[0:1]
	s_cbranch_execnz .LBB124_1001
; %bb.17:
	s_andn2_saveexec_b64 s[0:1], s[0:1]
	s_cbranch_execnz .LBB124_1006
.LBB124_18:
	s_or_b64 exec, exec, s[0:1]
	s_and_saveexec_b64 s[0:1], s[2:3]
.LBB124_19:
	v_lshlrev_b32_e32 v15, 3, v0
	v_lshl_add_u32 v1, v1, 9, v15
	ds_write_b64 v1, v[13:14]
.LBB124_20:
	s_or_b64 exec, exec, s[0:1]
	v_add_u32_e32 v1, 32, v2
	v_mad_u64_u32 v[15:16], s[0:1], s28, v1, v[11:12]
	v_cmp_le_u32_e32 vcc, v1, v0
	s_mov_b64 s[2:3], 0
	v_mov_b32_e32 v13, v16
	v_mad_u64_u32 v[13:14], s[0:1], s29, v1, v[13:14]
	v_mov_b32_e32 v16, v13
                                        ; implicit-def: $vgpr13_vgpr14
	s_and_saveexec_b64 s[0:1], vcc
	s_xor_b64 s[0:1], exec, s[0:1]
	s_cbranch_execnz .LBB124_1007
; %bb.21:
	s_andn2_saveexec_b64 s[0:1], s[0:1]
	s_cbranch_execnz .LBB124_1012
.LBB124_22:
	s_or_b64 exec, exec, s[0:1]
	s_and_saveexec_b64 s[0:1], s[2:3]
.LBB124_23:
	v_lshlrev_b32_e32 v15, 3, v0
	v_lshl_add_u32 v1, v1, 9, v15
	ds_write_b64 v1, v[13:14]
.LBB124_24:
	s_or_b64 exec, exec, s[0:1]
	v_add_u32_e32 v1, 48, v2
	v_mad_u64_u32 v[15:16], s[0:1], s28, v1, v[11:12]
	v_cmp_le_u32_e32 vcc, v1, v0
	s_mov_b64 s[8:9], 0
	v_mov_b32_e32 v13, v16
	v_mad_u64_u32 v[13:14], s[0:1], s29, v1, v[13:14]
	v_mov_b32_e32 v16, v13
                                        ; implicit-def: $vgpr13_vgpr14
	s_and_saveexec_b64 s[0:1], vcc
	s_xor_b64 s[0:1], exec, s[0:1]
	s_cbranch_execz .LBB124_30
; %bb.25:
	v_cmp_ne_u32_e32 vcc, v0, v1
	s_mov_b64 s[2:3], 0
	s_and_saveexec_b64 s[8:9], vcc
	s_xor_b64 s[8:9], exec, s[8:9]
; %bb.26:
	v_or_b32_e32 v13, v1, v0
	v_cmp_gt_u32_e32 vcc, 64, v13
	s_and_b64 s[2:3], vcc, exec
                                        ; implicit-def: $vgpr15_vgpr16
; %bb.27:
	s_or_saveexec_b64 s[8:9], s[8:9]
	v_mov_b32_e32 v13, 0
	v_mov_b32_e32 v14, 0
	s_xor_b64 exec, exec, s[8:9]
	s_cbranch_execz .LBB124_29
; %bb.28:
	v_lshlrev_b64 v[13:14], 3, v[15:16]
	v_mov_b32_e32 v1, s34
	v_add_co_u32_e32 v13, vcc, s95, v13
	v_addc_co_u32_e32 v14, vcc, v1, v14, vcc
	flat_load_dwordx2 v[13:14], v[13:14]
	s_or_b64 s[2:3], s[2:3], exec
	v_mov_b32_e32 v1, v0
	s_waitcnt vmcnt(0) lgkmcnt(0)
	v_div_scale_f64 v[15:16], s[10:11], v[13:14], v[13:14], 1.0
	v_div_scale_f64 v[21:22], vcc, 1.0, v[13:14], 1.0
	v_rcp_f64_e32 v[17:18], v[15:16]
	v_fma_f64 v[19:20], -v[15:16], v[17:18], 1.0
	v_fma_f64 v[17:18], v[17:18], v[19:20], v[17:18]
	v_fma_f64 v[19:20], -v[15:16], v[17:18], 1.0
	v_fma_f64 v[17:18], v[17:18], v[19:20], v[17:18]
	v_mul_f64 v[19:20], v[21:22], v[17:18]
	v_fma_f64 v[15:16], -v[15:16], v[19:20], v[21:22]
	v_div_fmas_f64 v[15:16], v[15:16], v[17:18], v[19:20]
	v_div_fixup_f64 v[13:14], v[15:16], v[13:14], 1.0
.LBB124_29:
	s_or_b64 exec, exec, s[8:9]
	s_and_b64 s[8:9], s[2:3], exec
                                        ; implicit-def: $vgpr15_vgpr16
.LBB124_30:
	s_andn2_saveexec_b64 s[0:1], s[0:1]
	s_cbranch_execz .LBB124_32
; %bb.31:
	v_lshlrev_b64 v[13:14], 3, v[15:16]
	v_mov_b32_e32 v15, s34
	v_add_co_u32_e32 v13, vcc, s95, v13
	v_addc_co_u32_e32 v14, vcc, v15, v14, vcc
	flat_load_dwordx2 v[13:14], v[13:14]
	s_or_b64 s[8:9], s[8:9], exec
	s_waitcnt vmcnt(0) lgkmcnt(0)
	v_xor_b32_e32 v14, 0x80000000, v14
.LBB124_32:
	s_or_b64 exec, exec, s[0:1]
	s_branch .LBB124_55
.LBB124_33:
	s_mov_b64 s[8:9], 0
                                        ; implicit-def: $vgpr13_vgpr14
                                        ; implicit-def: $vgpr1
	s_and_b64 vcc, exec, s[2:3]
	s_cbranch_vccz .LBB124_55
; %bb.34:
	v_mad_u64_u32 v[13:14], s[0:1], s28, v2, v[11:12]
	v_cmp_le_u32_e32 vcc, v2, v0
	v_cmp_gt_i32_e64 s[0:1], s94, v0
	v_mov_b32_e32 v1, v14
	v_mad_u64_u32 v[14:15], s[2:3], s29, v2, v[1:2]
	v_max_i32_e32 v1, v2, v0
	v_cmp_le_i32_e64 s[2:3], s94, v1
	s_or_b64 s[2:3], s[2:3], vcc
	s_mov_b64 s[10:11], 0
                                        ; implicit-def: $vgpr15_vgpr16
	s_and_saveexec_b64 s[12:13], s[2:3]
	s_xor_b64 s[2:3], exec, s[12:13]
	s_cbranch_execnz .LBB124_1013
; %bb.35:
	s_andn2_saveexec_b64 s[2:3], s[2:3]
	s_cbranch_execnz .LBB124_1018
.LBB124_36:
	s_or_b64 exec, exec, s[2:3]
	s_and_saveexec_b64 s[2:3], s[10:11]
.LBB124_37:
	v_lshlrev_b32_e32 v1, 3, v0
	v_lshl_add_u32 v1, v2, 9, v1
	ds_write_b64 v1, v[15:16]
.LBB124_38:
	s_or_b64 exec, exec, s[2:3]
	v_add_u32_e32 v1, 16, v2
	v_mad_u64_u32 v[13:14], s[2:3], s28, v1, v[11:12]
	v_cmp_gt_u32_e32 vcc, v1, v0
	s_mov_b64 s[10:11], 0
	v_mad_u64_u32 v[14:15], s[2:3], s29, v1, v[14:15]
	v_cmp_gt_i32_e64 s[2:3], s94, v1
	s_and_b64 s[2:3], vcc, s[2:3]
	s_and_b64 s[2:3], s[0:1], s[2:3]
	s_xor_b64 s[2:3], s[2:3], -1
                                        ; implicit-def: $vgpr15_vgpr16
	s_and_saveexec_b64 s[12:13], s[2:3]
	s_xor_b64 s[2:3], exec, s[12:13]
	s_cbranch_execnz .LBB124_1019
; %bb.39:
	s_andn2_saveexec_b64 s[2:3], s[2:3]
	s_cbranch_execnz .LBB124_1024
.LBB124_40:
	s_or_b64 exec, exec, s[2:3]
	s_and_saveexec_b64 s[2:3], s[10:11]
.LBB124_41:
	v_lshlrev_b32_e32 v13, 3, v0
	v_lshl_add_u32 v1, v1, 9, v13
	ds_write_b64 v1, v[15:16]
.LBB124_42:
	s_or_b64 exec, exec, s[2:3]
	v_add_u32_e32 v1, 32, v2
	v_mad_u64_u32 v[13:14], s[2:3], s28, v1, v[11:12]
	v_cmp_gt_u32_e32 vcc, v1, v0
	s_mov_b64 s[10:11], 0
	v_mad_u64_u32 v[14:15], s[2:3], s29, v1, v[14:15]
	v_cmp_gt_i32_e64 s[2:3], s94, v1
	s_and_b64 s[2:3], vcc, s[2:3]
	s_and_b64 s[2:3], s[0:1], s[2:3]
	s_xor_b64 s[2:3], s[2:3], -1
                                        ; implicit-def: $vgpr15_vgpr16
	s_and_saveexec_b64 s[12:13], s[2:3]
	s_xor_b64 s[2:3], exec, s[12:13]
	s_cbranch_execnz .LBB124_1025
; %bb.43:
	s_andn2_saveexec_b64 s[2:3], s[2:3]
	s_cbranch_execnz .LBB124_1030
.LBB124_44:
	s_or_b64 exec, exec, s[2:3]
	s_and_saveexec_b64 s[2:3], s[10:11]
.LBB124_45:
	v_lshlrev_b32_e32 v13, 3, v0
	v_lshl_add_u32 v1, v1, 9, v13
	ds_write_b64 v1, v[15:16]
.LBB124_46:
	s_or_b64 exec, exec, s[2:3]
	v_add_u32_e32 v1, 48, v2
	v_mad_u64_u32 v[11:12], s[2:3], s28, v1, v[11:12]
	v_cmp_gt_u32_e32 vcc, v1, v0
	v_mad_u64_u32 v[12:13], s[2:3], s29, v1, v[12:13]
	v_cmp_gt_i32_e64 s[2:3], s94, v1
	s_and_b64 s[2:3], vcc, s[2:3]
	s_and_b64 s[2:3], s[0:1], s[2:3]
	s_xor_b64 s[2:3], s[2:3], -1
                                        ; implicit-def: $vgpr13_vgpr14
	s_and_saveexec_b64 s[10:11], s[2:3]
	s_xor_b64 s[2:3], exec, s[10:11]
	s_cbranch_execz .LBB124_52
; %bb.47:
	v_cmp_ne_u32_e32 vcc, v0, v1
	s_xor_b64 s[0:1], s[0:1], -1
	s_or_b64 s[10:11], s[0:1], vcc
	s_mov_b64 s[0:1], s[8:9]
	s_and_saveexec_b64 s[12:13], s[10:11]
	s_xor_b64 s[10:11], exec, s[12:13]
; %bb.48:
	v_or_b32_e32 v11, v1, v0
	v_cmp_gt_u32_e32 vcc, 64, v11
	s_andn2_b64 s[0:1], s[8:9], exec
	s_and_b64 s[12:13], vcc, exec
	s_or_b64 s[0:1], s[0:1], s[12:13]
                                        ; implicit-def: $vgpr11_vgpr12
; %bb.49:
	s_or_saveexec_b64 s[10:11], s[10:11]
	v_mov_b32_e32 v13, 0
	v_mov_b32_e32 v14, 0
	s_xor_b64 exec, exec, s[10:11]
	s_cbranch_execz .LBB124_51
; %bb.50:
	v_lshlrev_b64 v[11:12], 3, v[11:12]
	v_mov_b32_e32 v1, s34
	v_add_co_u32_e32 v11, vcc, s95, v11
	v_addc_co_u32_e32 v12, vcc, v1, v12, vcc
	flat_load_dwordx2 v[11:12], v[11:12]
	s_or_b64 s[0:1], s[0:1], exec
	v_mov_b32_e32 v1, v0
	s_waitcnt vmcnt(0) lgkmcnt(0)
	v_div_scale_f64 v[13:14], s[12:13], v[11:12], v[11:12], 1.0
	v_div_scale_f64 v[19:20], vcc, 1.0, v[11:12], 1.0
	v_rcp_f64_e32 v[15:16], v[13:14]
	v_fma_f64 v[17:18], -v[13:14], v[15:16], 1.0
	v_fma_f64 v[15:16], v[15:16], v[17:18], v[15:16]
	v_fma_f64 v[17:18], -v[13:14], v[15:16], 1.0
	v_fma_f64 v[15:16], v[15:16], v[17:18], v[15:16]
	v_mul_f64 v[17:18], v[19:20], v[15:16]
	v_fma_f64 v[13:14], -v[13:14], v[17:18], v[19:20]
	v_div_fmas_f64 v[13:14], v[13:14], v[15:16], v[17:18]
	v_div_fixup_f64 v[13:14], v[13:14], v[11:12], 1.0
.LBB124_51:
	s_or_b64 exec, exec, s[10:11]
	s_andn2_b64 s[8:9], s[8:9], exec
	s_and_b64 s[0:1], s[0:1], exec
	s_or_b64 s[8:9], s[8:9], s[0:1]
                                        ; implicit-def: $vgpr11_vgpr12
.LBB124_52:
	s_andn2_saveexec_b64 s[0:1], s[2:3]
	s_cbranch_execz .LBB124_54
; %bb.53:
	v_lshlrev_b64 v[11:12], 3, v[11:12]
	v_mov_b32_e32 v13, s34
	v_add_co_u32_e32 v11, vcc, s95, v11
	v_addc_co_u32_e32 v12, vcc, v13, v12, vcc
	flat_load_dwordx2 v[13:14], v[11:12]
	s_or_b64 s[8:9], s[8:9], exec
	s_waitcnt vmcnt(0) lgkmcnt(0)
	v_xor_b32_e32 v14, 0x80000000, v14
.LBB124_54:
	s_or_b64 exec, exec, s[0:1]
.LBB124_55:
	s_and_saveexec_b64 s[0:1], s[8:9]
; %bb.56:
	v_lshlrev_b32_e32 v11, 3, v0
	v_lshl_add_u32 v1, v1, 9, v11
	ds_write_b64 v1, v[13:14]
; %bb.57:
	s_or_b64 exec, exec, s[0:1]
	s_cmp_lt_i32 s6, 5
	s_cselect_b64 s[0:1], -1, 0
	s_or_b64 s[36:37], s[0:1], s[18:19]
	s_and_b64 vcc, exec, s[36:37]
	s_waitcnt vmcnt(0) lgkmcnt(0)
	s_barrier
	s_cbranch_vccnz .LBB124_925
; %bb.58:
	v_or_b32_e32 v1, v0, v2
	v_cmp_eq_u32_e32 vcc, 0, v1
	s_and_saveexec_b64 s[0:1], vcc
	s_cbranch_execz .LBB124_60
; %bb.59:
	v_mov_b32_e32 v1, 0
	ds_read_b128 v[11:14], v1 offset:32752
	ds_read_b64 v[15:16], v1 offset:32240
	s_waitcnt lgkmcnt(0)
	v_mul_f64 v[13:14], v[15:16], v[13:14]
	v_mul_f64 v[11:12], v[11:12], v[13:14]
	ds_write_b64 v1, v[11:12] offset:32752
.LBB124_60:
	s_or_b64 exec, exec, s[0:1]
	v_lshlrev_b32_e32 v11, 6, v2
	v_add_u32_e32 v15, v11, v0
	v_and_b32_e32 v12, v11, v0
	v_xor_b32_e32 v11, v11, v0
	v_lshrrev_b16_e32 v11, 1, v11
	v_add_u16_e32 v14, v12, v11
	v_mov_b32_e32 v11, 0
	v_and_b32_e32 v1, 1, v0
	v_sub_u32_e32 v13, 1, v14
	v_cmp_lt_u32_e64 s[2:3], 3, v15
	v_mov_b32_e32 v12, 0
	v_cmp_gt_u32_e64 s[0:1], 4, v15
	s_waitcnt lgkmcnt(0)
	s_barrier
	buffer_wbinvl1_vol
	s_and_saveexec_b64 s[10:11], s[0:1]
	s_cbranch_execz .LBB124_64
; %bb.61:
	v_lshlrev_b32_e32 v16, 9, v13
	v_lshlrev_b32_e32 v11, 3, v1
	ds_read_b64 v[11:12], v11 offset:32224
	ds_read_b64 v[16:17], v16 offset:32240
	v_cmp_gt_u32_e64 s[8:9], 2, v15
	s_waitcnt lgkmcnt(0)
	v_fma_f64 v[11:12], v[11:12], v[16:17], 0
	s_and_saveexec_b64 s[12:13], s[8:9]
	s_cbranch_execz .LBB124_63
; %bb.62:
	v_lshlrev_b32_e32 v16, 3, v0
	v_mov_b32_e32 v18, 0
	ds_read_b64 v[16:17], v16 offset:32736
	ds_read_b64 v[18:19], v18 offset:32760
	s_waitcnt lgkmcnt(0)
	v_fma_f64 v[11:12], v[16:17], v[18:19], v[11:12]
.LBB124_63:
	s_or_b64 exec, exec, s[12:13]
.LBB124_64:
	s_or_b64 exec, exec, s[10:11]
	v_mov_b32_e32 v16, 0x8000
	v_cmp_ne_u32_e64 s[8:9], 0, v1
	s_xor_b64 s[10:11], s[2:3], -1
	v_lshl_add_u32 v14, v14, 3, v16
	s_and_b64 s[40:41], s[8:9], s[10:11]
	s_and_saveexec_b64 s[2:3], s[40:41]
	s_cbranch_execz .LBB124_66
; %bb.65:
	v_mov_b32_e32 v16, 0
	ds_read_b64 v[16:17], v16 offset:31720
	s_waitcnt lgkmcnt(0)
	v_mul_f64 v[11:12], v[11:12], v[16:17]
	v_xor_b32_e32 v17, 0x80000000, v12
	v_mov_b32_e32 v16, v11
	ds_write_b64 v14, v[16:17]
.LBB124_66:
	s_or_b64 exec, exec, s[2:3]
	v_cmp_eq_u32_e64 s[2:3], 0, v1
	s_and_b64 s[38:39], s[2:3], s[10:11]
	s_waitcnt lgkmcnt(0)
	s_barrier
	s_and_saveexec_b64 s[2:3], s[38:39]
	s_cbranch_execz .LBB124_68
; %bb.67:
	v_mov_b32_e32 v16, 0
	ds_read_b64 v[16:17], v16 offset:31712
	ds_read_b64 v[18:19], v14
	s_waitcnt lgkmcnt(0)
	v_fma_f64 v[11:12], -v[16:17], v[18:19], v[11:12]
.LBB124_68:
	s_or_b64 exec, exec, s[2:3]
	s_barrier
	s_and_saveexec_b64 s[2:3], s[38:39]
	s_cbranch_execz .LBB124_70
; %bb.69:
	v_mov_b32_e32 v16, 0
	ds_read_b64 v[16:17], v16 offset:31200
	s_waitcnt lgkmcnt(0)
	v_mul_f64 v[11:12], v[11:12], v[16:17]
	v_xor_b32_e32 v17, 0x80000000, v12
	v_mov_b32_e32 v16, v11
	ds_write_b64 v14, v[16:17]
.LBB124_70:
	s_or_b64 exec, exec, s[2:3]
	s_waitcnt lgkmcnt(0)
	s_barrier
	s_barrier
	s_and_saveexec_b64 s[2:3], s[0:1]
; %bb.71:
	v_lshlrev_b32_e32 v16, 3, v1
	v_lshl_or_b32 v16, v13, 9, v16
	ds_write_b64 v16, v[11:12] offset:32224
; %bb.72:
	s_or_b64 exec, exec, s[2:3]
	s_waitcnt lgkmcnt(0)
	s_barrier
	s_barrier
	s_and_saveexec_b64 s[2:3], vcc
	s_cbranch_execz .LBB124_74
; %bb.73:
	v_mov_b32_e32 v20, 0
	ds_read_b128 v[16:19], v20 offset:31712
	ds_read_b64 v[11:12], v20 offset:31200
	s_waitcnt lgkmcnt(0)
	v_mul_f64 v[11:12], v[11:12], v[18:19]
	v_mul_f64 v[11:12], v[16:17], v[11:12]
	ds_write_b64 v20, v[11:12] offset:31712
.LBB124_74:
	s_or_b64 exec, exec, s[2:3]
	v_lshrrev_b32_e32 v18, 2, v15
	v_mov_b32_e32 v11, 0
	v_and_b32_e32 v16, 3, v0
	v_sub_u32_e32 v17, 3, v18
	v_cmp_lt_u32_e64 s[8:9], 15, v15
	v_mov_b32_e32 v12, 0
	v_cmp_gt_u32_e64 s[2:3], 16, v15
	s_waitcnt lgkmcnt(0)
	s_barrier
	buffer_wbinvl1_vol
	s_and_saveexec_b64 s[12:13], s[2:3]
	s_cbranch_execz .LBB124_80
; %bb.75:
	v_lshlrev_b32_e32 v20, 3, v16
	v_lshlrev_b32_e32 v19, 9, v17
	ds_read_b64 v[11:12], v20 offset:31168
	ds_read_b64 v[21:22], v19 offset:31200
	v_cmp_gt_u32_e64 s[10:11], 12, v15
	s_waitcnt lgkmcnt(0)
	v_fma_f64 v[11:12], v[11:12], v[21:22], 0
	s_and_saveexec_b64 s[14:15], s[10:11]
	s_cbranch_execnz .LBB124_1035
; %bb.76:
	s_or_b64 exec, exec, s[14:15]
	v_cmp_gt_u32_e64 s[10:11], 8, v15
	s_and_saveexec_b64 s[14:15], s[10:11]
	s_cbranch_execnz .LBB124_1036
.LBB124_77:
	s_or_b64 exec, exec, s[14:15]
	v_cmp_gt_u32_e64 s[10:11], 4, v15
	s_and_saveexec_b64 s[14:15], s[10:11]
	s_cbranch_execz .LBB124_79
.LBB124_78:
	v_lshlrev_b32_e32 v19, 3, v0
	v_mov_b32_e32 v21, 0
	ds_read_b64 v[19:20], v19 offset:32704
	ds_read_b64 v[21:22], v21 offset:32760
	s_waitcnt lgkmcnt(0)
	v_fma_f64 v[11:12], v[19:20], v[21:22], v[11:12]
.LBB124_79:
	s_or_b64 exec, exec, s[14:15]
.LBB124_80:
	v_writelane_b32 v36, s44, 2
	v_writelane_b32 v36, s45, 3
	s_or_b64 exec, exec, s[12:13]
	v_mov_b32_e32 v19, 0x8000
	v_cmp_eq_u32_e64 s[10:11], 3, v16
	s_xor_b64 s[12:13], s[8:9], -1
	v_lshl_add_u32 v18, v18, 3, v19
	s_and_b64 s[44:45], s[10:11], s[12:13]
	s_and_saveexec_b64 s[8:9], s[44:45]
	s_cbranch_execz .LBB124_82
; %bb.81:
	v_mov_b32_e32 v19, 0
	ds_read_b64 v[19:20], v19 offset:30680
	s_waitcnt lgkmcnt(0)
	v_mul_f64 v[11:12], v[11:12], v[19:20]
	v_xor_b32_e32 v20, 0x80000000, v12
	v_mov_b32_e32 v19, v11
	ds_write_b64 v18, v[19:20]
.LBB124_82:
	s_or_b64 exec, exec, s[8:9]
	v_cmp_ne_u32_e64 s[8:9], 3, v16
	s_and_b64 s[46:47], s[8:9], s[12:13]
	s_waitcnt lgkmcnt(0)
	s_barrier
	s_and_saveexec_b64 s[8:9], s[46:47]
	s_cbranch_execz .LBB124_84
; %bb.83:
	v_lshlrev_b32_e32 v19, 3, v16
	ds_read_b64 v[19:20], v19 offset:30656
	ds_read_b64 v[21:22], v18
	s_waitcnt lgkmcnt(0)
	v_fma_f64 v[11:12], -v[19:20], v[21:22], v[11:12]
.LBB124_84:
	s_or_b64 exec, exec, s[8:9]
	v_cmp_eq_u32_e64 s[8:9], 2, v16
	s_and_b64 s[48:49], s[8:9], s[12:13]
	s_barrier
	s_and_saveexec_b64 s[8:9], s[48:49]
	s_cbranch_execz .LBB124_86
; %bb.85:
	v_mov_b32_e32 v19, 0
	ds_read_b64 v[19:20], v19 offset:30160
	s_waitcnt lgkmcnt(0)
	v_mul_f64 v[11:12], v[11:12], v[19:20]
	v_xor_b32_e32 v20, 0x80000000, v12
	v_mov_b32_e32 v19, v11
	ds_write_b64 v18, v[19:20]
.LBB124_86:
	s_or_b64 exec, exec, s[8:9]
	v_cmp_gt_u32_e64 s[8:9], 2, v16
	s_and_b64 s[50:51], s[8:9], s[12:13]
	s_waitcnt lgkmcnt(0)
	s_barrier
	s_and_saveexec_b64 s[8:9], s[50:51]
	s_cbranch_execz .LBB124_88
; %bb.87:
	v_lshlrev_b32_e32 v19, 3, v16
	ds_read_b64 v[19:20], v19 offset:30144
	ds_read_b64 v[21:22], v18
	s_waitcnt lgkmcnt(0)
	v_fma_f64 v[11:12], -v[19:20], v[21:22], v[11:12]
.LBB124_88:
	s_or_b64 exec, exec, s[8:9]
	v_cmp_eq_u32_e64 s[8:9], 1, v16
	s_and_b64 s[52:53], s[8:9], s[12:13]
	s_barrier
	s_and_saveexec_b64 s[8:9], s[52:53]
	s_cbranch_execz .LBB124_90
; %bb.89:
	v_mov_b32_e32 v19, 0
	ds_read_b64 v[19:20], v19 offset:29640
	s_waitcnt lgkmcnt(0)
	v_mul_f64 v[11:12], v[11:12], v[19:20]
	v_xor_b32_e32 v20, 0x80000000, v12
	v_mov_b32_e32 v19, v11
	ds_write_b64 v18, v[19:20]
.LBB124_90:
	s_or_b64 exec, exec, s[8:9]
	v_cmp_eq_u32_e64 s[8:9], 0, v16
	s_and_b64 s[42:43], s[8:9], s[12:13]
	s_waitcnt lgkmcnt(0)
	s_barrier
	s_and_saveexec_b64 s[8:9], s[42:43]
	s_cbranch_execz .LBB124_92
; %bb.91:
	v_mov_b32_e32 v19, 0
	ds_read_b64 v[19:20], v19 offset:29632
	ds_read_b64 v[21:22], v18
	s_waitcnt lgkmcnt(0)
	v_fma_f64 v[11:12], -v[19:20], v[21:22], v[11:12]
.LBB124_92:
	s_or_b64 exec, exec, s[8:9]
	s_barrier
	s_and_saveexec_b64 s[8:9], s[42:43]
	s_cbranch_execz .LBB124_94
; %bb.93:
	v_mov_b32_e32 v19, 0
	ds_read_b64 v[19:20], v19 offset:29120
	s_waitcnt lgkmcnt(0)
	v_mul_f64 v[11:12], v[11:12], v[19:20]
	v_xor_b32_e32 v20, 0x80000000, v12
	v_mov_b32_e32 v19, v11
	ds_write_b64 v18, v[19:20]
.LBB124_94:
	s_or_b64 exec, exec, s[8:9]
	s_waitcnt lgkmcnt(0)
	s_barrier
	s_barrier
	s_and_saveexec_b64 s[8:9], s[2:3]
; %bb.95:
	v_lshlrev_b32_e32 v19, 3, v16
	v_lshl_or_b32 v19, v17, 9, v19
	ds_write_b64 v19, v[11:12] offset:31168
; %bb.96:
	s_or_b64 exec, exec, s[8:9]
	s_waitcnt lgkmcnt(0)
	s_barrier
	s_barrier
	s_and_saveexec_b64 s[8:9], vcc
	s_cbranch_execz .LBB124_98
; %bb.97:
	v_mov_b32_e32 v23, 0
	ds_read_b128 v[19:22], v23 offset:30672
	ds_read_b64 v[11:12], v23 offset:30160
	s_waitcnt lgkmcnt(0)
	v_mul_f64 v[11:12], v[11:12], v[21:22]
	v_mul_f64 v[11:12], v[19:20], v[11:12]
	ds_write_b64 v23, v[11:12] offset:30672
.LBB124_98:
	s_or_b64 exec, exec, s[8:9]
	v_mov_b32_e32 v11, 0
	v_mov_b32_e32 v12, 0
	s_waitcnt lgkmcnt(0)
	s_barrier
	buffer_wbinvl1_vol
	s_and_saveexec_b64 s[10:11], s[0:1]
	s_cbranch_execz .LBB124_102
; %bb.99:
	v_lshlrev_b32_e32 v19, 9, v13
	v_lshlrev_b32_e32 v11, 3, v1
	ds_read_b64 v[11:12], v11 offset:30144
	ds_read_b64 v[19:20], v19 offset:30160
	v_cmp_gt_u32_e64 s[8:9], 2, v15
	s_waitcnt lgkmcnt(0)
	v_fma_f64 v[11:12], v[11:12], v[19:20], 0
	s_and_saveexec_b64 s[12:13], s[8:9]
	s_cbranch_execz .LBB124_101
; %bb.100:
	v_lshlrev_b32_e32 v19, 3, v0
	v_mov_b32_e32 v21, 0
	ds_read_b64 v[19:20], v19 offset:30656
	ds_read_b64 v[21:22], v21 offset:30680
	s_waitcnt lgkmcnt(0)
	v_fma_f64 v[11:12], v[19:20], v[21:22], v[11:12]
.LBB124_101:
	s_or_b64 exec, exec, s[12:13]
.LBB124_102:
	s_or_b64 exec, exec, s[10:11]
	s_and_saveexec_b64 s[8:9], s[40:41]
	s_cbranch_execz .LBB124_104
; %bb.103:
	v_mov_b32_e32 v19, 0
	ds_read_b64 v[19:20], v19 offset:29640
	s_waitcnt lgkmcnt(0)
	v_mul_f64 v[11:12], v[11:12], v[19:20]
	v_xor_b32_e32 v20, 0x80000000, v12
	v_mov_b32_e32 v19, v11
	ds_write_b64 v14, v[19:20]
.LBB124_104:
	s_or_b64 exec, exec, s[8:9]
	s_waitcnt lgkmcnt(0)
	s_barrier
	s_and_saveexec_b64 s[8:9], s[38:39]
	s_cbranch_execz .LBB124_106
; %bb.105:
	v_mov_b32_e32 v19, 0
	ds_read_b64 v[19:20], v19 offset:29632
	ds_read_b64 v[21:22], v14
	s_waitcnt lgkmcnt(0)
	v_fma_f64 v[11:12], -v[19:20], v[21:22], v[11:12]
.LBB124_106:
	s_or_b64 exec, exec, s[8:9]
	s_barrier
	s_and_saveexec_b64 s[8:9], s[38:39]
	s_cbranch_execz .LBB124_108
; %bb.107:
	v_mov_b32_e32 v19, 0
	ds_read_b64 v[19:20], v19 offset:29120
	s_waitcnt lgkmcnt(0)
	v_mul_f64 v[11:12], v[11:12], v[19:20]
	v_xor_b32_e32 v20, 0x80000000, v12
	v_mov_b32_e32 v19, v11
	ds_write_b64 v14, v[19:20]
.LBB124_108:
	s_or_b64 exec, exec, s[8:9]
	s_waitcnt lgkmcnt(0)
	s_barrier
	s_barrier
	s_and_saveexec_b64 s[8:9], s[0:1]
; %bb.109:
	v_lshlrev_b32_e32 v19, 3, v1
	v_lshl_or_b32 v19, v13, 9, v19
	ds_write_b64 v19, v[11:12] offset:30144
; %bb.110:
	s_or_b64 exec, exec, s[8:9]
	s_waitcnt lgkmcnt(0)
	s_barrier
	s_barrier
	s_and_saveexec_b64 s[8:9], vcc
	s_cbranch_execz .LBB124_112
; %bb.111:
	v_mov_b32_e32 v23, 0
	ds_read_b128 v[19:22], v23 offset:29632
	ds_read_b64 v[11:12], v23 offset:29120
	s_waitcnt lgkmcnt(0)
	v_mul_f64 v[11:12], v[11:12], v[21:22]
	v_mul_f64 v[11:12], v[19:20], v[11:12]
	ds_write_b64 v23, v[11:12] offset:29632
.LBB124_112:
	s_or_b64 exec, exec, s[8:9]
	v_lshrrev_b32_e32 v21, 3, v15
	v_mov_b32_e32 v11, 0
	v_and_b32_e32 v19, 7, v0
	v_sub_u32_e32 v20, 7, v21
	v_cmp_lt_u32_e64 s[8:9], 63, v15
	v_mov_b32_e32 v12, 0
	v_cmp_gt_u32_e64 s[14:15], 64, v15
	s_waitcnt lgkmcnt(0)
	s_barrier
	buffer_wbinvl1_vol
	s_and_saveexec_b64 s[12:13], s[14:15]
	s_cbranch_execz .LBB124_122
; %bb.113:
	v_lshlrev_b32_e32 v23, 3, v19
	v_lshlrev_b32_e32 v22, 9, v20
	ds_read_b64 v[11:12], v23 offset:29056
	ds_read_b64 v[24:25], v22 offset:29120
	v_cmp_gt_u32_e64 s[10:11], 56, v15
	s_waitcnt lgkmcnt(0)
	v_fma_f64 v[11:12], v[11:12], v[24:25], 0
	s_and_saveexec_b64 s[16:17], s[10:11]
	s_cbranch_execnz .LBB124_1037
; %bb.114:
	s_or_b64 exec, exec, s[16:17]
	v_cmp_gt_u32_e64 s[10:11], 48, v15
	s_and_saveexec_b64 s[16:17], s[10:11]
	s_cbranch_execnz .LBB124_1038
.LBB124_115:
	s_or_b64 exec, exec, s[16:17]
	v_cmp_gt_u32_e64 s[10:11], 40, v15
	s_and_saveexec_b64 s[16:17], s[10:11]
	s_cbranch_execnz .LBB124_1039
.LBB124_116:
	s_or_b64 exec, exec, s[16:17]
	v_cmp_gt_u32_e64 s[10:11], 32, v15
	s_and_saveexec_b64 s[16:17], s[10:11]
	s_cbranch_execnz .LBB124_1040
.LBB124_117:
	s_or_b64 exec, exec, s[16:17]
	v_cmp_gt_u32_e64 s[10:11], 24, v15
	s_and_saveexec_b64 s[16:17], s[10:11]
	s_cbranch_execnz .LBB124_1041
.LBB124_118:
	s_or_b64 exec, exec, s[16:17]
	s_and_saveexec_b64 s[10:11], s[2:3]
	s_cbranch_execnz .LBB124_1042
.LBB124_119:
	s_or_b64 exec, exec, s[10:11]
	v_cmp_gt_u32_e64 s[10:11], 8, v15
	s_and_saveexec_b64 s[16:17], s[10:11]
	s_cbranch_execz .LBB124_121
.LBB124_120:
	v_lshlrev_b32_e32 v22, 3, v0
	v_mov_b32_e32 v24, 0
	ds_read_b64 v[22:23], v22 offset:32640
	ds_read_b64 v[24:25], v24 offset:32760
	s_waitcnt lgkmcnt(0)
	v_fma_f64 v[11:12], v[22:23], v[24:25], v[11:12]
.LBB124_121:
	s_or_b64 exec, exec, s[16:17]
.LBB124_122:
	v_writelane_b32 v36, s54, 4
	s_or_b64 exec, exec, s[12:13]
	v_mov_b32_e32 v22, 0x8000
	v_cmp_eq_u32_e64 s[10:11], 7, v19
	s_xor_b64 s[12:13], s[8:9], -1
	v_lshl_add_u32 v21, v21, 3, v22
	s_and_b64 s[54:55], s[10:11], s[12:13]
	s_and_saveexec_b64 s[8:9], s[54:55]
	s_cbranch_execz .LBB124_124
; %bb.123:
	v_mov_b32_e32 v22, 0
	ds_read_b64 v[22:23], v22 offset:28600
	s_waitcnt lgkmcnt(0)
	v_mul_f64 v[11:12], v[11:12], v[22:23]
	v_xor_b32_e32 v23, 0x80000000, v12
	v_mov_b32_e32 v22, v11
	ds_write_b64 v21, v[22:23]
.LBB124_124:
	s_or_b64 exec, exec, s[8:9]
	v_cmp_ne_u32_e64 s[8:9], 7, v19
	s_and_b64 s[56:57], s[8:9], s[12:13]
	s_waitcnt lgkmcnt(0)
	s_barrier
	s_and_saveexec_b64 s[8:9], s[56:57]
	s_cbranch_execz .LBB124_126
; %bb.125:
	v_lshlrev_b32_e32 v22, 3, v19
	ds_read_b64 v[22:23], v22 offset:28544
	ds_read_b64 v[24:25], v21
	s_waitcnt lgkmcnt(0)
	v_fma_f64 v[11:12], -v[22:23], v[24:25], v[11:12]
.LBB124_126:
	s_or_b64 exec, exec, s[8:9]
	v_cmp_eq_u32_e64 s[8:9], 6, v19
	s_and_b64 s[58:59], s[8:9], s[12:13]
	s_barrier
	s_and_saveexec_b64 s[8:9], s[58:59]
	s_cbranch_execz .LBB124_128
; %bb.127:
	v_mov_b32_e32 v22, 0
	ds_read_b64 v[22:23], v22 offset:28080
	s_waitcnt lgkmcnt(0)
	v_mul_f64 v[11:12], v[11:12], v[22:23]
	v_xor_b32_e32 v23, 0x80000000, v12
	v_mov_b32_e32 v22, v11
	ds_write_b64 v21, v[22:23]
.LBB124_128:
	s_or_b64 exec, exec, s[8:9]
	v_cmp_gt_u32_e64 s[8:9], 6, v19
	s_and_b64 s[60:61], s[8:9], s[12:13]
	s_waitcnt lgkmcnt(0)
	s_barrier
	s_and_saveexec_b64 s[8:9], s[60:61]
	s_cbranch_execz .LBB124_130
; %bb.129:
	v_lshlrev_b32_e32 v22, 3, v19
	ds_read_b64 v[22:23], v22 offset:28032
	ds_read_b64 v[24:25], v21
	s_waitcnt lgkmcnt(0)
	v_fma_f64 v[11:12], -v[22:23], v[24:25], v[11:12]
.LBB124_130:
	s_or_b64 exec, exec, s[8:9]
	v_cmp_eq_u32_e64 s[8:9], 5, v19
	s_and_b64 s[62:63], s[8:9], s[12:13]
	s_barrier
	s_and_saveexec_b64 s[8:9], s[62:63]
	s_cbranch_execz .LBB124_132
; %bb.131:
	v_mov_b32_e32 v22, 0
	ds_read_b64 v[22:23], v22 offset:27560
	s_waitcnt lgkmcnt(0)
	v_mul_f64 v[11:12], v[11:12], v[22:23]
	v_xor_b32_e32 v23, 0x80000000, v12
	v_mov_b32_e32 v22, v11
	ds_write_b64 v21, v[22:23]
.LBB124_132:
	s_or_b64 exec, exec, s[8:9]
	v_cmp_gt_u32_e64 s[8:9], 5, v19
	;; [unrolled: 29-line block ×5, first 2 shown]
	s_and_b64 s[78:79], s[8:9], s[12:13]
	s_waitcnt lgkmcnt(0)
	s_barrier
	s_and_saveexec_b64 s[8:9], s[78:79]
	s_cbranch_execz .LBB124_146
; %bb.145:
	v_lshlrev_b32_e32 v22, 3, v19
	ds_read_b64 v[22:23], v22 offset:25984
	ds_read_b64 v[24:25], v21
	s_waitcnt lgkmcnt(0)
	v_fma_f64 v[11:12], -v[22:23], v[24:25], v[11:12]
.LBB124_146:
	s_or_b64 exec, exec, s[8:9]
	v_cmp_eq_u32_e64 s[8:9], 1, v19
	s_and_b64 s[80:81], s[8:9], s[12:13]
	s_barrier
	s_and_saveexec_b64 s[8:9], s[80:81]
	s_cbranch_execz .LBB124_148
; %bb.147:
	v_mov_b32_e32 v22, 0
	ds_read_b64 v[22:23], v22 offset:25480
	s_waitcnt lgkmcnt(0)
	v_mul_f64 v[11:12], v[11:12], v[22:23]
	v_xor_b32_e32 v23, 0x80000000, v12
	v_mov_b32_e32 v22, v11
	ds_write_b64 v21, v[22:23]
.LBB124_148:
	s_or_b64 exec, exec, s[8:9]
	v_cmp_eq_u32_e64 s[8:9], 0, v19
	s_and_b64 s[64:65], s[8:9], s[12:13]
	s_waitcnt lgkmcnt(0)
	s_barrier
	s_and_saveexec_b64 s[8:9], s[64:65]
	s_cbranch_execz .LBB124_150
; %bb.149:
	v_mov_b32_e32 v22, 0
	ds_read_b64 v[22:23], v22 offset:25472
	ds_read_b64 v[24:25], v21
	s_waitcnt lgkmcnt(0)
	v_fma_f64 v[11:12], -v[22:23], v[24:25], v[11:12]
.LBB124_150:
	s_or_b64 exec, exec, s[8:9]
	s_barrier
	s_and_saveexec_b64 s[8:9], s[64:65]
	s_cbranch_execz .LBB124_152
; %bb.151:
	v_mov_b32_e32 v22, 0
	ds_read_b64 v[22:23], v22 offset:24960
	s_waitcnt lgkmcnt(0)
	v_mul_f64 v[11:12], v[11:12], v[22:23]
	v_xor_b32_e32 v23, 0x80000000, v12
	v_mov_b32_e32 v22, v11
	ds_write_b64 v21, v[22:23]
.LBB124_152:
	s_or_b64 exec, exec, s[8:9]
	s_waitcnt lgkmcnt(0)
	s_barrier
	s_barrier
	s_and_saveexec_b64 s[8:9], s[14:15]
; %bb.153:
	v_lshlrev_b32_e32 v22, 3, v19
	v_lshl_or_b32 v22, v20, 9, v22
	ds_write_b64 v22, v[11:12] offset:29056
; %bb.154:
	s_or_b64 exec, exec, s[8:9]
	s_waitcnt lgkmcnt(0)
	s_barrier
	s_barrier
	s_and_saveexec_b64 s[8:9], vcc
	s_cbranch_execz .LBB124_156
; %bb.155:
	v_mov_b32_e32 v26, 0
	ds_read_b128 v[22:25], v26 offset:28592
	ds_read_b64 v[11:12], v26 offset:28080
	s_waitcnt lgkmcnt(0)
	v_mul_f64 v[11:12], v[11:12], v[24:25]
	v_mul_f64 v[11:12], v[22:23], v[11:12]
	ds_write_b64 v26, v[11:12] offset:28592
.LBB124_156:
	s_or_b64 exec, exec, s[8:9]
	v_mov_b32_e32 v11, 0
	v_mov_b32_e32 v12, 0
	s_waitcnt lgkmcnt(0)
	s_barrier
	buffer_wbinvl1_vol
	s_and_saveexec_b64 s[10:11], s[0:1]
	s_cbranch_execz .LBB124_160
; %bb.157:
	v_lshlrev_b32_e32 v22, 9, v13
	v_lshlrev_b32_e32 v11, 3, v1
	ds_read_b64 v[11:12], v11 offset:28064
	ds_read_b64 v[22:23], v22 offset:28080
	v_cmp_gt_u32_e64 s[8:9], 2, v15
	s_waitcnt lgkmcnt(0)
	v_fma_f64 v[11:12], v[11:12], v[22:23], 0
	s_and_saveexec_b64 s[12:13], s[8:9]
	s_cbranch_execz .LBB124_159
; %bb.158:
	v_lshlrev_b32_e32 v22, 3, v0
	v_mov_b32_e32 v24, 0
	ds_read_b64 v[22:23], v22 offset:28576
	ds_read_b64 v[24:25], v24 offset:28600
	s_waitcnt lgkmcnt(0)
	v_fma_f64 v[11:12], v[22:23], v[24:25], v[11:12]
.LBB124_159:
	s_or_b64 exec, exec, s[12:13]
.LBB124_160:
	s_or_b64 exec, exec, s[10:11]
	s_and_saveexec_b64 s[8:9], s[40:41]
	s_cbranch_execz .LBB124_162
; %bb.161:
	v_mov_b32_e32 v22, 0
	ds_read_b64 v[22:23], v22 offset:27560
	s_waitcnt lgkmcnt(0)
	v_mul_f64 v[11:12], v[11:12], v[22:23]
	v_xor_b32_e32 v23, 0x80000000, v12
	v_mov_b32_e32 v22, v11
	ds_write_b64 v14, v[22:23]
.LBB124_162:
	s_or_b64 exec, exec, s[8:9]
	s_waitcnt lgkmcnt(0)
	s_barrier
	s_and_saveexec_b64 s[8:9], s[38:39]
	s_cbranch_execz .LBB124_164
; %bb.163:
	v_mov_b32_e32 v22, 0
	ds_read_b64 v[22:23], v22 offset:27552
	ds_read_b64 v[24:25], v14
	s_waitcnt lgkmcnt(0)
	v_fma_f64 v[11:12], -v[22:23], v[24:25], v[11:12]
.LBB124_164:
	s_or_b64 exec, exec, s[8:9]
	s_barrier
	s_and_saveexec_b64 s[8:9], s[38:39]
	s_cbranch_execz .LBB124_166
; %bb.165:
	v_mov_b32_e32 v22, 0
	ds_read_b64 v[22:23], v22 offset:27040
	s_waitcnt lgkmcnt(0)
	v_mul_f64 v[11:12], v[11:12], v[22:23]
	v_xor_b32_e32 v23, 0x80000000, v12
	v_mov_b32_e32 v22, v11
	ds_write_b64 v14, v[22:23]
.LBB124_166:
	s_or_b64 exec, exec, s[8:9]
	s_waitcnt lgkmcnt(0)
	s_barrier
	s_barrier
	s_and_saveexec_b64 s[8:9], s[0:1]
; %bb.167:
	v_lshlrev_b32_e32 v22, 3, v1
	v_lshl_or_b32 v22, v13, 9, v22
	ds_write_b64 v22, v[11:12] offset:28064
; %bb.168:
	s_or_b64 exec, exec, s[8:9]
	s_waitcnt lgkmcnt(0)
	s_barrier
	s_barrier
	s_and_saveexec_b64 s[8:9], vcc
	s_cbranch_execz .LBB124_170
; %bb.169:
	v_mov_b32_e32 v26, 0
	ds_read_b128 v[22:25], v26 offset:27552
	ds_read_b64 v[11:12], v26 offset:27040
	s_waitcnt lgkmcnt(0)
	v_mul_f64 v[11:12], v[11:12], v[24:25]
	v_mul_f64 v[11:12], v[22:23], v[11:12]
	ds_write_b64 v26, v[11:12] offset:27552
.LBB124_170:
	s_or_b64 exec, exec, s[8:9]
	v_mov_b32_e32 v11, 0
	v_mov_b32_e32 v12, 0
	s_waitcnt lgkmcnt(0)
	s_barrier
	buffer_wbinvl1_vol
	s_and_saveexec_b64 s[10:11], s[2:3]
	s_cbranch_execz .LBB124_176
; %bb.171:
	v_lshlrev_b32_e32 v23, 3, v16
	v_lshlrev_b32_e32 v22, 9, v17
	ds_read_b64 v[11:12], v23 offset:27008
	ds_read_b64 v[24:25], v22 offset:27040
	v_cmp_gt_u32_e64 s[8:9], 12, v15
	s_waitcnt lgkmcnt(0)
	v_fma_f64 v[11:12], v[11:12], v[24:25], 0
	s_and_saveexec_b64 s[12:13], s[8:9]
	s_cbranch_execnz .LBB124_1043
; %bb.172:
	s_or_b64 exec, exec, s[12:13]
	v_cmp_gt_u32_e64 s[8:9], 8, v15
	s_and_saveexec_b64 s[12:13], s[8:9]
	s_cbranch_execnz .LBB124_1044
.LBB124_173:
	s_or_b64 exec, exec, s[12:13]
	v_cmp_gt_u32_e64 s[8:9], 4, v15
	s_and_saveexec_b64 s[12:13], s[8:9]
	s_cbranch_execz .LBB124_175
.LBB124_174:
	v_lshlrev_b32_e32 v22, 3, v0
	v_mov_b32_e32 v24, 0
	ds_read_b64 v[22:23], v22 offset:28544
	ds_read_b64 v[24:25], v24 offset:28600
	s_waitcnt lgkmcnt(0)
	v_fma_f64 v[11:12], v[22:23], v[24:25], v[11:12]
.LBB124_175:
	s_or_b64 exec, exec, s[12:13]
.LBB124_176:
	s_or_b64 exec, exec, s[10:11]
	s_and_saveexec_b64 s[8:9], s[44:45]
	s_cbranch_execz .LBB124_178
; %bb.177:
	v_mov_b32_e32 v22, 0
	ds_read_b64 v[22:23], v22 offset:26520
	s_waitcnt lgkmcnt(0)
	v_mul_f64 v[11:12], v[11:12], v[22:23]
	v_xor_b32_e32 v23, 0x80000000, v12
	v_mov_b32_e32 v22, v11
	ds_write_b64 v18, v[22:23]
.LBB124_178:
	s_or_b64 exec, exec, s[8:9]
	s_waitcnt lgkmcnt(0)
	s_barrier
	s_and_saveexec_b64 s[8:9], s[46:47]
	s_cbranch_execz .LBB124_180
; %bb.179:
	v_lshlrev_b32_e32 v22, 3, v16
	ds_read_b64 v[22:23], v22 offset:26496
	ds_read_b64 v[24:25], v18
	s_waitcnt lgkmcnt(0)
	v_fma_f64 v[11:12], -v[22:23], v[24:25], v[11:12]
.LBB124_180:
	s_or_b64 exec, exec, s[8:9]
	s_barrier
	s_and_saveexec_b64 s[8:9], s[48:49]
	s_cbranch_execz .LBB124_182
; %bb.181:
	v_mov_b32_e32 v22, 0
	ds_read_b64 v[22:23], v22 offset:26000
	s_waitcnt lgkmcnt(0)
	v_mul_f64 v[11:12], v[11:12], v[22:23]
	v_xor_b32_e32 v23, 0x80000000, v12
	v_mov_b32_e32 v22, v11
	ds_write_b64 v18, v[22:23]
.LBB124_182:
	s_or_b64 exec, exec, s[8:9]
	s_waitcnt lgkmcnt(0)
	s_barrier
	s_and_saveexec_b64 s[8:9], s[50:51]
	s_cbranch_execz .LBB124_184
; %bb.183:
	v_lshlrev_b32_e32 v22, 3, v16
	ds_read_b64 v[22:23], v22 offset:25984
	ds_read_b64 v[24:25], v18
	s_waitcnt lgkmcnt(0)
	v_fma_f64 v[11:12], -v[22:23], v[24:25], v[11:12]
.LBB124_184:
	s_or_b64 exec, exec, s[8:9]
	s_barrier
	s_and_saveexec_b64 s[8:9], s[52:53]
	s_cbranch_execz .LBB124_186
; %bb.185:
	v_mov_b32_e32 v22, 0
	ds_read_b64 v[22:23], v22 offset:25480
	s_waitcnt lgkmcnt(0)
	v_mul_f64 v[11:12], v[11:12], v[22:23]
	v_xor_b32_e32 v23, 0x80000000, v12
	v_mov_b32_e32 v22, v11
	ds_write_b64 v18, v[22:23]
.LBB124_186:
	s_or_b64 exec, exec, s[8:9]
	s_waitcnt lgkmcnt(0)
	s_barrier
	s_and_saveexec_b64 s[8:9], s[42:43]
	s_cbranch_execz .LBB124_188
; %bb.187:
	v_mov_b32_e32 v22, 0
	ds_read_b64 v[22:23], v22 offset:25472
	ds_read_b64 v[24:25], v18
	s_waitcnt lgkmcnt(0)
	v_fma_f64 v[11:12], -v[22:23], v[24:25], v[11:12]
.LBB124_188:
	s_or_b64 exec, exec, s[8:9]
	s_barrier
	s_and_saveexec_b64 s[8:9], s[42:43]
	s_cbranch_execz .LBB124_190
; %bb.189:
	v_mov_b32_e32 v22, 0
	ds_read_b64 v[22:23], v22 offset:24960
	s_waitcnt lgkmcnt(0)
	v_mul_f64 v[11:12], v[11:12], v[22:23]
	v_xor_b32_e32 v23, 0x80000000, v12
	v_mov_b32_e32 v22, v11
	ds_write_b64 v18, v[22:23]
.LBB124_190:
	s_or_b64 exec, exec, s[8:9]
	s_waitcnt lgkmcnt(0)
	s_barrier
	s_barrier
	s_and_saveexec_b64 s[8:9], s[2:3]
; %bb.191:
	v_lshlrev_b32_e32 v22, 3, v16
	v_lshl_or_b32 v22, v17, 9, v22
	ds_write_b64 v22, v[11:12] offset:27008
; %bb.192:
	s_or_b64 exec, exec, s[8:9]
	s_waitcnt lgkmcnt(0)
	s_barrier
	s_barrier
	s_and_saveexec_b64 s[8:9], vcc
	s_cbranch_execz .LBB124_194
; %bb.193:
	v_mov_b32_e32 v26, 0
	ds_read_b128 v[22:25], v26 offset:26512
	ds_read_b64 v[11:12], v26 offset:26000
	s_waitcnt lgkmcnt(0)
	v_mul_f64 v[11:12], v[11:12], v[24:25]
	v_mul_f64 v[11:12], v[22:23], v[11:12]
	ds_write_b64 v26, v[11:12] offset:26512
.LBB124_194:
	s_or_b64 exec, exec, s[8:9]
	v_mov_b32_e32 v11, 0
	v_mov_b32_e32 v12, 0
	s_waitcnt lgkmcnt(0)
	s_barrier
	buffer_wbinvl1_vol
	s_and_saveexec_b64 s[10:11], s[0:1]
	s_cbranch_execz .LBB124_198
; %bb.195:
	v_lshlrev_b32_e32 v22, 9, v13
	v_lshlrev_b32_e32 v11, 3, v1
	ds_read_b64 v[11:12], v11 offset:25984
	ds_read_b64 v[22:23], v22 offset:26000
	v_cmp_gt_u32_e64 s[8:9], 2, v15
	s_waitcnt lgkmcnt(0)
	v_fma_f64 v[11:12], v[11:12], v[22:23], 0
	s_and_saveexec_b64 s[12:13], s[8:9]
	s_cbranch_execz .LBB124_197
; %bb.196:
	v_lshlrev_b32_e32 v22, 3, v0
	v_mov_b32_e32 v24, 0
	ds_read_b64 v[22:23], v22 offset:26496
	ds_read_b64 v[24:25], v24 offset:26520
	s_waitcnt lgkmcnt(0)
	v_fma_f64 v[11:12], v[22:23], v[24:25], v[11:12]
.LBB124_197:
	s_or_b64 exec, exec, s[12:13]
.LBB124_198:
	s_or_b64 exec, exec, s[10:11]
	s_and_saveexec_b64 s[8:9], s[40:41]
	s_cbranch_execz .LBB124_200
; %bb.199:
	v_mov_b32_e32 v22, 0
	ds_read_b64 v[22:23], v22 offset:25480
	s_waitcnt lgkmcnt(0)
	v_mul_f64 v[11:12], v[11:12], v[22:23]
	v_xor_b32_e32 v23, 0x80000000, v12
	v_mov_b32_e32 v22, v11
	ds_write_b64 v14, v[22:23]
.LBB124_200:
	s_or_b64 exec, exec, s[8:9]
	s_waitcnt lgkmcnt(0)
	s_barrier
	s_and_saveexec_b64 s[8:9], s[38:39]
	s_cbranch_execz .LBB124_202
; %bb.201:
	v_mov_b32_e32 v22, 0
	ds_read_b64 v[22:23], v22 offset:25472
	ds_read_b64 v[24:25], v14
	s_waitcnt lgkmcnt(0)
	v_fma_f64 v[11:12], -v[22:23], v[24:25], v[11:12]
.LBB124_202:
	s_or_b64 exec, exec, s[8:9]
	s_barrier
	s_and_saveexec_b64 s[8:9], s[38:39]
	s_cbranch_execz .LBB124_204
; %bb.203:
	v_mov_b32_e32 v22, 0
	ds_read_b64 v[22:23], v22 offset:24960
	s_waitcnt lgkmcnt(0)
	v_mul_f64 v[11:12], v[11:12], v[22:23]
	v_xor_b32_e32 v23, 0x80000000, v12
	v_mov_b32_e32 v22, v11
	ds_write_b64 v14, v[22:23]
.LBB124_204:
	s_or_b64 exec, exec, s[8:9]
	s_waitcnt lgkmcnt(0)
	s_barrier
	s_barrier
	s_and_saveexec_b64 s[8:9], s[0:1]
; %bb.205:
	v_lshlrev_b32_e32 v22, 3, v1
	v_lshl_or_b32 v22, v13, 9, v22
	ds_write_b64 v22, v[11:12] offset:25984
; %bb.206:
	s_or_b64 exec, exec, s[8:9]
	s_waitcnt lgkmcnt(0)
	s_barrier
	s_barrier
	s_and_saveexec_b64 s[8:9], vcc
	s_cbranch_execz .LBB124_208
; %bb.207:
	v_mov_b32_e32 v26, 0
	ds_read_b128 v[22:25], v26 offset:25472
	ds_read_b64 v[11:12], v26 offset:24960
	s_waitcnt lgkmcnt(0)
	v_mul_f64 v[11:12], v[11:12], v[24:25]
	v_mul_f64 v[11:12], v[22:23], v[11:12]
	ds_write_b64 v26, v[11:12] offset:25472
.LBB124_208:
	s_or_b64 exec, exec, s[8:9]
	s_movk_i32 s8, 0xff
	v_lshrrev_b32_e32 v24, 4, v15
	v_cmp_lt_u32_e64 s[10:11], s8, v15
	s_movk_i32 s8, 0x100
	v_mov_b32_e32 v11, 0
	v_and_b32_e32 v22, 15, v0
	v_sub_u32_e32 v23, 15, v24
	v_mov_b32_e32 v12, 0
	v_cmp_gt_u32_e64 s[8:9], s8, v15
	s_waitcnt lgkmcnt(0)
	s_barrier
	buffer_wbinvl1_vol
	s_and_saveexec_b64 s[16:17], s[8:9]
	s_cbranch_execz .LBB124_236
; %bb.209:
	v_lshlrev_b32_e32 v26, 3, v22
	v_lshlrev_b32_e32 v25, 9, v23
	ds_read_b64 v[11:12], v26 offset:24832
	ds_read_b64 v[27:28], v25 offset:24960
	s_movk_i32 s12, 0xf0
	v_cmp_gt_u32_e64 s[12:13], s12, v15
	s_waitcnt lgkmcnt(0)
	v_fma_f64 v[11:12], v[11:12], v[27:28], 0
	s_and_saveexec_b64 s[30:31], s[12:13]
	s_cbranch_execz .LBB124_211
; %bb.210:
	ds_read_b64 v[27:28], v26 offset:25344
	ds_read_b64 v[29:30], v25 offset:24968
	s_waitcnt lgkmcnt(0)
	v_fma_f64 v[11:12], v[27:28], v[29:30], v[11:12]
.LBB124_211:
	s_or_b64 exec, exec, s[30:31]
	s_movk_i32 s12, 0xe0
	v_cmp_gt_u32_e64 s[12:13], s12, v15
	s_and_saveexec_b64 s[30:31], s[12:13]
	s_cbranch_execz .LBB124_213
; %bb.212:
	ds_read_b64 v[27:28], v26 offset:25856
	ds_read_b64 v[29:30], v25 offset:24976
	s_waitcnt lgkmcnt(0)
	v_fma_f64 v[11:12], v[27:28], v[29:30], v[11:12]
.LBB124_213:
	s_or_b64 exec, exec, s[30:31]
	s_movk_i32 s12, 0xd0
	v_cmp_gt_u32_e64 s[12:13], s12, v15
	;; [unrolled: 11-line block ×10, first 2 shown]
	s_and_saveexec_b64 s[30:31], s[12:13]
	s_cbranch_execnz .LBB124_1045
; %bb.230:
	s_or_b64 exec, exec, s[30:31]
	s_and_saveexec_b64 s[12:13], s[14:15]
	s_cbranch_execnz .LBB124_1046
.LBB124_231:
	s_or_b64 exec, exec, s[12:13]
	v_cmp_gt_u32_e64 s[12:13], 48, v15
	s_and_saveexec_b64 s[30:31], s[12:13]
	s_cbranch_execnz .LBB124_1047
.LBB124_232:
	s_or_b64 exec, exec, s[30:31]
	v_cmp_gt_u32_e64 s[12:13], 32, v15
	s_and_saveexec_b64 s[30:31], s[12:13]
	s_cbranch_execnz .LBB124_1048
.LBB124_233:
	s_or_b64 exec, exec, s[30:31]
	v_cmp_gt_u32_e64 s[12:13], 16, v15
	s_and_saveexec_b64 s[30:31], s[12:13]
	s_cbranch_execz .LBB124_235
.LBB124_234:
	v_lshlrev_b32_e32 v25, 3, v0
	v_mov_b32_e32 v27, 0
	ds_read_b64 v[25:26], v25 offset:32512
	ds_read_b64 v[27:28], v27 offset:32760
	s_waitcnt lgkmcnt(0)
	v_fma_f64 v[11:12], v[25:26], v[27:28], v[11:12]
.LBB124_235:
	s_or_b64 exec, exec, s[30:31]
.LBB124_236:
	s_or_b64 exec, exec, s[16:17]
	v_mov_b32_e32 v25, 0x8000
	v_lshl_add_u32 v24, v24, 3, v25
	v_cmp_eq_u32_e64 s[12:13], 15, v22
	s_xor_b64 s[16:17], s[10:11], -1
	s_and_b64 s[12:13], s[12:13], s[16:17]
	s_mov_b64 s[10:11], exec
	v_writelane_b32 v36, s12, 5
	v_writelane_b32 v36, s13, 6
	s_and_b64 s[12:13], s[10:11], s[12:13]
	s_mov_b64 exec, s[12:13]
	s_cbranch_execz .LBB124_238
; %bb.237:
	v_mov_b32_e32 v25, 0
	ds_read_b64 v[25:26], v25 offset:24440
	s_waitcnt lgkmcnt(0)
	v_mul_f64 v[11:12], v[11:12], v[25:26]
	v_xor_b32_e32 v26, 0x80000000, v12
	v_mov_b32_e32 v25, v11
	ds_write_b64 v24, v[25:26]
.LBB124_238:
	s_or_b64 exec, exec, s[10:11]
	v_cmp_ne_u32_e64 s[10:11], 15, v22
	s_waitcnt lgkmcnt(0)
	s_barrier
	s_and_b64 s[12:13], s[10:11], s[16:17]
	s_mov_b64 s[10:11], exec
	v_writelane_b32 v36, s12, 7
	v_writelane_b32 v36, s13, 8
	s_and_b64 s[12:13], s[10:11], s[12:13]
	s_mov_b64 exec, s[12:13]
	s_cbranch_execz .LBB124_240
; %bb.239:
	v_lshlrev_b32_e32 v25, 3, v22
	ds_read_b64 v[25:26], v25 offset:24320
	ds_read_b64 v[27:28], v24
	s_waitcnt lgkmcnt(0)
	v_fma_f64 v[11:12], -v[25:26], v[27:28], v[11:12]
.LBB124_240:
	s_or_b64 exec, exec, s[10:11]
	v_cmp_eq_u32_e64 s[10:11], 14, v22
	s_barrier
	s_and_b64 s[12:13], s[10:11], s[16:17]
	s_mov_b64 s[10:11], exec
	v_writelane_b32 v36, s12, 9
	v_writelane_b32 v36, s13, 10
	s_and_b64 s[12:13], s[10:11], s[12:13]
	s_mov_b64 exec, s[12:13]
	s_cbranch_execz .LBB124_242
; %bb.241:
	v_mov_b32_e32 v25, 0
	ds_read_b64 v[25:26], v25 offset:23920
	s_waitcnt lgkmcnt(0)
	v_mul_f64 v[11:12], v[11:12], v[25:26]
	v_xor_b32_e32 v26, 0x80000000, v12
	v_mov_b32_e32 v25, v11
	ds_write_b64 v24, v[25:26]
.LBB124_242:
	s_or_b64 exec, exec, s[10:11]
	v_cmp_gt_u32_e64 s[10:11], 14, v22
	s_waitcnt lgkmcnt(0)
	s_barrier
	s_and_b64 s[12:13], s[10:11], s[16:17]
	s_mov_b64 s[10:11], exec
	v_writelane_b32 v36, s12, 11
	v_writelane_b32 v36, s13, 12
	s_and_b64 s[12:13], s[10:11], s[12:13]
	s_mov_b64 exec, s[12:13]
	s_cbranch_execz .LBB124_244
; %bb.243:
	v_lshlrev_b32_e32 v25, 3, v22
	ds_read_b64 v[25:26], v25 offset:23808
	ds_read_b64 v[27:28], v24
	s_waitcnt lgkmcnt(0)
	v_fma_f64 v[11:12], -v[25:26], v[27:28], v[11:12]
.LBB124_244:
	s_or_b64 exec, exec, s[10:11]
	v_cmp_eq_u32_e64 s[10:11], 13, v22
	s_barrier
	s_and_b64 s[12:13], s[10:11], s[16:17]
	s_mov_b64 s[10:11], exec
	v_writelane_b32 v36, s12, 13
	v_writelane_b32 v36, s13, 14
	s_and_b64 s[12:13], s[10:11], s[12:13]
	s_mov_b64 exec, s[12:13]
	s_cbranch_execz .LBB124_246
; %bb.245:
	v_mov_b32_e32 v25, 0
	ds_read_b64 v[25:26], v25 offset:23400
	s_waitcnt lgkmcnt(0)
	v_mul_f64 v[11:12], v[11:12], v[25:26]
	v_xor_b32_e32 v26, 0x80000000, v12
	v_mov_b32_e32 v25, v11
	ds_write_b64 v24, v[25:26]
.LBB124_246:
	s_or_b64 exec, exec, s[10:11]
	v_cmp_gt_u32_e64 s[10:11], 13, v22
	;; [unrolled: 37-line block ×12, first 2 shown]
	s_and_b64 s[30:31], s[10:11], s[16:17]
	s_waitcnt lgkmcnt(0)
	s_barrier
	s_and_saveexec_b64 s[10:11], s[30:31]
	s_cbranch_execz .LBB124_288
; %bb.287:
	v_lshlrev_b32_e32 v25, 3, v22
	ds_read_b64 v[25:26], v25 offset:18176
	ds_read_b64 v[27:28], v24
	s_waitcnt lgkmcnt(0)
	v_fma_f64 v[11:12], -v[25:26], v[27:28], v[11:12]
.LBB124_288:
	s_or_b64 exec, exec, s[10:11]
	v_cmp_eq_u32_e64 s[10:11], 2, v22
	s_and_b64 s[82:83], s[10:11], s[16:17]
	s_barrier
	s_and_saveexec_b64 s[10:11], s[82:83]
	s_cbranch_execz .LBB124_290
; %bb.289:
	v_mov_b32_e32 v25, 0
	ds_read_b64 v[25:26], v25 offset:17680
	s_waitcnt lgkmcnt(0)
	v_mul_f64 v[11:12], v[11:12], v[25:26]
	v_xor_b32_e32 v26, 0x80000000, v12
	v_mov_b32_e32 v25, v11
	ds_write_b64 v24, v[25:26]
.LBB124_290:
	s_or_b64 exec, exec, s[10:11]
	v_cmp_gt_u32_e64 s[10:11], 2, v22
	s_and_b64 s[84:85], s[10:11], s[16:17]
	s_waitcnt lgkmcnt(0)
	s_barrier
	s_and_saveexec_b64 s[10:11], s[84:85]
	s_cbranch_execz .LBB124_292
; %bb.291:
	v_lshlrev_b32_e32 v25, 3, v22
	ds_read_b64 v[25:26], v25 offset:17664
	ds_read_b64 v[27:28], v24
	s_waitcnt lgkmcnt(0)
	v_fma_f64 v[11:12], -v[25:26], v[27:28], v[11:12]
.LBB124_292:
	s_or_b64 exec, exec, s[10:11]
	v_cmp_eq_u32_e64 s[10:11], 1, v22
	s_and_b64 s[86:87], s[10:11], s[16:17]
	s_barrier
	s_and_saveexec_b64 s[10:11], s[86:87]
	s_cbranch_execz .LBB124_294
; %bb.293:
	v_mov_b32_e32 v25, 0
	ds_read_b64 v[25:26], v25 offset:17160
	s_waitcnt lgkmcnt(0)
	v_mul_f64 v[11:12], v[11:12], v[25:26]
	v_xor_b32_e32 v26, 0x80000000, v12
	v_mov_b32_e32 v25, v11
	ds_write_b64 v24, v[25:26]
.LBB124_294:
	s_or_b64 exec, exec, s[10:11]
	v_cmp_eq_u32_e64 s[10:11], 0, v22
	s_and_b64 s[88:89], s[10:11], s[16:17]
	s_waitcnt lgkmcnt(0)
	s_barrier
	s_and_saveexec_b64 s[10:11], s[88:89]
	s_cbranch_execz .LBB124_296
; %bb.295:
	v_mov_b32_e32 v25, 0
	ds_read_b64 v[25:26], v25 offset:17152
	ds_read_b64 v[27:28], v24
	s_waitcnt lgkmcnt(0)
	v_fma_f64 v[11:12], -v[25:26], v[27:28], v[11:12]
.LBB124_296:
	s_or_b64 exec, exec, s[10:11]
	s_barrier
	s_and_saveexec_b64 s[10:11], s[88:89]
	s_cbranch_execz .LBB124_298
; %bb.297:
	v_mov_b32_e32 v25, 0
	ds_read_b64 v[25:26], v25 offset:16640
	s_waitcnt lgkmcnt(0)
	v_mul_f64 v[11:12], v[11:12], v[25:26]
	v_xor_b32_e32 v26, 0x80000000, v12
	v_mov_b32_e32 v25, v11
	ds_write_b64 v24, v[25:26]
.LBB124_298:
	s_or_b64 exec, exec, s[10:11]
	s_waitcnt lgkmcnt(0)
	s_barrier
	s_barrier
	s_and_saveexec_b64 s[10:11], s[8:9]
; %bb.299:
	v_lshlrev_b32_e32 v25, 3, v22
	v_lshl_or_b32 v25, v23, 9, v25
	ds_write_b64 v25, v[11:12] offset:24832
; %bb.300:
	s_or_b64 exec, exec, s[10:11]
	s_waitcnt lgkmcnt(0)
	s_barrier
	s_barrier
	s_and_saveexec_b64 s[10:11], vcc
	s_cbranch_execz .LBB124_302
; %bb.301:
	v_mov_b32_e32 v29, 0
	ds_read_b128 v[25:28], v29 offset:24432
	ds_read_b64 v[11:12], v29 offset:23920
	s_waitcnt lgkmcnt(0)
	v_mul_f64 v[11:12], v[11:12], v[27:28]
	v_mul_f64 v[11:12], v[25:26], v[11:12]
	ds_write_b64 v29, v[11:12] offset:24432
.LBB124_302:
	s_or_b64 exec, exec, s[10:11]
	v_mov_b32_e32 v11, 0
	v_mov_b32_e32 v12, 0
	s_waitcnt lgkmcnt(0)
	s_barrier
	buffer_wbinvl1_vol
	s_and_saveexec_b64 s[12:13], s[0:1]
	s_cbranch_execz .LBB124_306
; %bb.303:
	v_lshlrev_b32_e32 v25, 9, v13
	v_lshlrev_b32_e32 v11, 3, v1
	ds_read_b64 v[11:12], v11 offset:23904
	ds_read_b64 v[25:26], v25 offset:23920
	v_cmp_gt_u32_e64 s[10:11], 2, v15
	s_waitcnt lgkmcnt(0)
	v_fma_f64 v[11:12], v[11:12], v[25:26], 0
	s_and_saveexec_b64 s[16:17], s[10:11]
	s_cbranch_execz .LBB124_305
; %bb.304:
	v_lshlrev_b32_e32 v25, 3, v0
	v_mov_b32_e32 v27, 0
	ds_read_b64 v[25:26], v25 offset:24416
	ds_read_b64 v[27:28], v27 offset:24440
	s_waitcnt lgkmcnt(0)
	v_fma_f64 v[11:12], v[25:26], v[27:28], v[11:12]
.LBB124_305:
	s_or_b64 exec, exec, s[16:17]
.LBB124_306:
	s_or_b64 exec, exec, s[12:13]
	s_and_saveexec_b64 s[10:11], s[40:41]
	s_cbranch_execz .LBB124_308
; %bb.307:
	v_mov_b32_e32 v25, 0
	ds_read_b64 v[25:26], v25 offset:23400
	s_waitcnt lgkmcnt(0)
	v_mul_f64 v[11:12], v[11:12], v[25:26]
	v_xor_b32_e32 v26, 0x80000000, v12
	v_mov_b32_e32 v25, v11
	ds_write_b64 v14, v[25:26]
.LBB124_308:
	s_or_b64 exec, exec, s[10:11]
	s_waitcnt lgkmcnt(0)
	s_barrier
	s_and_saveexec_b64 s[10:11], s[38:39]
	s_cbranch_execz .LBB124_310
; %bb.309:
	v_mov_b32_e32 v25, 0
	ds_read_b64 v[25:26], v25 offset:23392
	ds_read_b64 v[27:28], v14
	s_waitcnt lgkmcnt(0)
	v_fma_f64 v[11:12], -v[25:26], v[27:28], v[11:12]
.LBB124_310:
	s_or_b64 exec, exec, s[10:11]
	s_barrier
	s_and_saveexec_b64 s[10:11], s[38:39]
	s_cbranch_execz .LBB124_312
; %bb.311:
	v_mov_b32_e32 v25, 0
	ds_read_b64 v[25:26], v25 offset:22880
	s_waitcnt lgkmcnt(0)
	v_mul_f64 v[11:12], v[11:12], v[25:26]
	v_xor_b32_e32 v26, 0x80000000, v12
	v_mov_b32_e32 v25, v11
	ds_write_b64 v14, v[25:26]
.LBB124_312:
	s_or_b64 exec, exec, s[10:11]
	s_waitcnt lgkmcnt(0)
	s_barrier
	s_barrier
	s_and_saveexec_b64 s[10:11], s[0:1]
; %bb.313:
	v_lshlrev_b32_e32 v25, 3, v1
	v_lshl_or_b32 v25, v13, 9, v25
	ds_write_b64 v25, v[11:12] offset:23904
; %bb.314:
	s_or_b64 exec, exec, s[10:11]
	s_waitcnt lgkmcnt(0)
	s_barrier
	s_barrier
	s_and_saveexec_b64 s[10:11], vcc
	s_cbranch_execz .LBB124_316
; %bb.315:
	v_mov_b32_e32 v29, 0
	ds_read_b128 v[25:28], v29 offset:23392
	ds_read_b64 v[11:12], v29 offset:22880
	s_waitcnt lgkmcnt(0)
	v_mul_f64 v[11:12], v[11:12], v[27:28]
	v_mul_f64 v[11:12], v[25:26], v[11:12]
	ds_write_b64 v29, v[11:12] offset:23392
.LBB124_316:
	s_or_b64 exec, exec, s[10:11]
	v_mov_b32_e32 v11, 0
	v_mov_b32_e32 v12, 0
	s_waitcnt lgkmcnt(0)
	s_barrier
	buffer_wbinvl1_vol
	s_and_saveexec_b64 s[12:13], s[2:3]
	s_cbranch_execz .LBB124_322
; %bb.317:
	v_lshlrev_b32_e32 v26, 3, v16
	v_lshlrev_b32_e32 v25, 9, v17
	ds_read_b64 v[11:12], v26 offset:22848
	ds_read_b64 v[27:28], v25 offset:22880
	v_cmp_gt_u32_e64 s[10:11], 12, v15
	s_waitcnt lgkmcnt(0)
	v_fma_f64 v[11:12], v[11:12], v[27:28], 0
	s_and_saveexec_b64 s[16:17], s[10:11]
	s_cbranch_execnz .LBB124_1049
; %bb.318:
	s_or_b64 exec, exec, s[16:17]
	v_cmp_gt_u32_e64 s[10:11], 8, v15
	s_and_saveexec_b64 s[16:17], s[10:11]
	s_cbranch_execnz .LBB124_1050
.LBB124_319:
	s_or_b64 exec, exec, s[16:17]
	v_cmp_gt_u32_e64 s[10:11], 4, v15
	s_and_saveexec_b64 s[16:17], s[10:11]
	s_cbranch_execz .LBB124_321
.LBB124_320:
	v_lshlrev_b32_e32 v25, 3, v0
	v_mov_b32_e32 v27, 0
	ds_read_b64 v[25:26], v25 offset:24384
	ds_read_b64 v[27:28], v27 offset:24440
	s_waitcnt lgkmcnt(0)
	v_fma_f64 v[11:12], v[25:26], v[27:28], v[11:12]
.LBB124_321:
	s_or_b64 exec, exec, s[16:17]
.LBB124_322:
	s_or_b64 exec, exec, s[12:13]
	s_and_saveexec_b64 s[10:11], s[44:45]
	s_cbranch_execz .LBB124_324
; %bb.323:
	v_mov_b32_e32 v25, 0
	ds_read_b64 v[25:26], v25 offset:22360
	s_waitcnt lgkmcnt(0)
	v_mul_f64 v[11:12], v[11:12], v[25:26]
	v_xor_b32_e32 v26, 0x80000000, v12
	v_mov_b32_e32 v25, v11
	ds_write_b64 v18, v[25:26]
.LBB124_324:
	s_or_b64 exec, exec, s[10:11]
	s_waitcnt lgkmcnt(0)
	s_barrier
	s_and_saveexec_b64 s[10:11], s[46:47]
	s_cbranch_execz .LBB124_326
; %bb.325:
	v_lshlrev_b32_e32 v25, 3, v16
	ds_read_b64 v[25:26], v25 offset:22336
	ds_read_b64 v[27:28], v18
	s_waitcnt lgkmcnt(0)
	v_fma_f64 v[11:12], -v[25:26], v[27:28], v[11:12]
.LBB124_326:
	s_or_b64 exec, exec, s[10:11]
	s_barrier
	s_and_saveexec_b64 s[10:11], s[48:49]
	s_cbranch_execz .LBB124_328
; %bb.327:
	v_mov_b32_e32 v25, 0
	ds_read_b64 v[25:26], v25 offset:21840
	s_waitcnt lgkmcnt(0)
	v_mul_f64 v[11:12], v[11:12], v[25:26]
	v_xor_b32_e32 v26, 0x80000000, v12
	v_mov_b32_e32 v25, v11
	ds_write_b64 v18, v[25:26]
.LBB124_328:
	s_or_b64 exec, exec, s[10:11]
	s_waitcnt lgkmcnt(0)
	s_barrier
	s_and_saveexec_b64 s[10:11], s[50:51]
	s_cbranch_execz .LBB124_330
; %bb.329:
	v_lshlrev_b32_e32 v25, 3, v16
	ds_read_b64 v[25:26], v25 offset:21824
	ds_read_b64 v[27:28], v18
	s_waitcnt lgkmcnt(0)
	v_fma_f64 v[11:12], -v[25:26], v[27:28], v[11:12]
.LBB124_330:
	s_or_b64 exec, exec, s[10:11]
	s_barrier
	s_and_saveexec_b64 s[10:11], s[52:53]
	s_cbranch_execz .LBB124_332
; %bb.331:
	v_mov_b32_e32 v25, 0
	ds_read_b64 v[25:26], v25 offset:21320
	s_waitcnt lgkmcnt(0)
	v_mul_f64 v[11:12], v[11:12], v[25:26]
	v_xor_b32_e32 v26, 0x80000000, v12
	v_mov_b32_e32 v25, v11
	ds_write_b64 v18, v[25:26]
.LBB124_332:
	s_or_b64 exec, exec, s[10:11]
	s_waitcnt lgkmcnt(0)
	s_barrier
	s_and_saveexec_b64 s[10:11], s[42:43]
	s_cbranch_execz .LBB124_334
; %bb.333:
	v_mov_b32_e32 v25, 0
	ds_read_b64 v[25:26], v25 offset:21312
	ds_read_b64 v[27:28], v18
	s_waitcnt lgkmcnt(0)
	v_fma_f64 v[11:12], -v[25:26], v[27:28], v[11:12]
.LBB124_334:
	s_or_b64 exec, exec, s[10:11]
	s_barrier
	s_and_saveexec_b64 s[10:11], s[42:43]
	s_cbranch_execz .LBB124_336
; %bb.335:
	v_mov_b32_e32 v25, 0
	ds_read_b64 v[25:26], v25 offset:20800
	s_waitcnt lgkmcnt(0)
	v_mul_f64 v[11:12], v[11:12], v[25:26]
	v_xor_b32_e32 v26, 0x80000000, v12
	v_mov_b32_e32 v25, v11
	ds_write_b64 v18, v[25:26]
.LBB124_336:
	s_or_b64 exec, exec, s[10:11]
	s_waitcnt lgkmcnt(0)
	s_barrier
	s_barrier
	s_and_saveexec_b64 s[10:11], s[2:3]
; %bb.337:
	v_lshlrev_b32_e32 v25, 3, v16
	v_lshl_or_b32 v25, v17, 9, v25
	ds_write_b64 v25, v[11:12] offset:22848
; %bb.338:
	s_or_b64 exec, exec, s[10:11]
	s_waitcnt lgkmcnt(0)
	s_barrier
	s_barrier
	s_and_saveexec_b64 s[10:11], vcc
	s_cbranch_execz .LBB124_340
; %bb.339:
	v_mov_b32_e32 v29, 0
	ds_read_b128 v[25:28], v29 offset:22352
	ds_read_b64 v[11:12], v29 offset:21840
	s_waitcnt lgkmcnt(0)
	v_mul_f64 v[11:12], v[11:12], v[27:28]
	v_mul_f64 v[11:12], v[25:26], v[11:12]
	ds_write_b64 v29, v[11:12] offset:22352
.LBB124_340:
	s_or_b64 exec, exec, s[10:11]
	v_mov_b32_e32 v11, 0
	v_mov_b32_e32 v12, 0
	s_waitcnt lgkmcnt(0)
	s_barrier
	buffer_wbinvl1_vol
	s_and_saveexec_b64 s[12:13], s[0:1]
	s_cbranch_execz .LBB124_344
; %bb.341:
	v_lshlrev_b32_e32 v25, 9, v13
	v_lshlrev_b32_e32 v11, 3, v1
	ds_read_b64 v[11:12], v11 offset:21824
	ds_read_b64 v[25:26], v25 offset:21840
	v_cmp_gt_u32_e64 s[10:11], 2, v15
	s_waitcnt lgkmcnt(0)
	v_fma_f64 v[11:12], v[11:12], v[25:26], 0
	s_and_saveexec_b64 s[16:17], s[10:11]
	s_cbranch_execz .LBB124_343
; %bb.342:
	v_lshlrev_b32_e32 v25, 3, v0
	v_mov_b32_e32 v27, 0
	ds_read_b64 v[25:26], v25 offset:22336
	ds_read_b64 v[27:28], v27 offset:22360
	s_waitcnt lgkmcnt(0)
	v_fma_f64 v[11:12], v[25:26], v[27:28], v[11:12]
.LBB124_343:
	s_or_b64 exec, exec, s[16:17]
.LBB124_344:
	s_or_b64 exec, exec, s[12:13]
	s_and_saveexec_b64 s[10:11], s[40:41]
	s_cbranch_execz .LBB124_346
; %bb.345:
	v_mov_b32_e32 v25, 0
	ds_read_b64 v[25:26], v25 offset:21320
	s_waitcnt lgkmcnt(0)
	v_mul_f64 v[11:12], v[11:12], v[25:26]
	v_xor_b32_e32 v26, 0x80000000, v12
	v_mov_b32_e32 v25, v11
	ds_write_b64 v14, v[25:26]
.LBB124_346:
	s_or_b64 exec, exec, s[10:11]
	s_waitcnt lgkmcnt(0)
	s_barrier
	s_and_saveexec_b64 s[10:11], s[38:39]
	s_cbranch_execz .LBB124_348
; %bb.347:
	v_mov_b32_e32 v25, 0
	ds_read_b64 v[25:26], v25 offset:21312
	ds_read_b64 v[27:28], v14
	s_waitcnt lgkmcnt(0)
	v_fma_f64 v[11:12], -v[25:26], v[27:28], v[11:12]
.LBB124_348:
	s_or_b64 exec, exec, s[10:11]
	s_barrier
	s_and_saveexec_b64 s[10:11], s[38:39]
	s_cbranch_execz .LBB124_350
; %bb.349:
	v_mov_b32_e32 v25, 0
	ds_read_b64 v[25:26], v25 offset:20800
	s_waitcnt lgkmcnt(0)
	v_mul_f64 v[11:12], v[11:12], v[25:26]
	v_xor_b32_e32 v26, 0x80000000, v12
	v_mov_b32_e32 v25, v11
	ds_write_b64 v14, v[25:26]
.LBB124_350:
	s_or_b64 exec, exec, s[10:11]
	s_waitcnt lgkmcnt(0)
	s_barrier
	s_barrier
	s_and_saveexec_b64 s[10:11], s[0:1]
; %bb.351:
	v_lshlrev_b32_e32 v25, 3, v1
	v_lshl_or_b32 v25, v13, 9, v25
	ds_write_b64 v25, v[11:12] offset:21824
; %bb.352:
	s_or_b64 exec, exec, s[10:11]
	s_waitcnt lgkmcnt(0)
	s_barrier
	s_barrier
	s_and_saveexec_b64 s[10:11], vcc
	s_cbranch_execz .LBB124_354
; %bb.353:
	v_mov_b32_e32 v29, 0
	ds_read_b128 v[25:28], v29 offset:21312
	ds_read_b64 v[11:12], v29 offset:20800
	s_waitcnt lgkmcnt(0)
	v_mul_f64 v[11:12], v[11:12], v[27:28]
	v_mul_f64 v[11:12], v[25:26], v[11:12]
	ds_write_b64 v29, v[11:12] offset:21312
.LBB124_354:
	s_or_b64 exec, exec, s[10:11]
	v_mov_b32_e32 v11, 0
	v_mov_b32_e32 v12, 0
	s_waitcnt lgkmcnt(0)
	s_barrier
	buffer_wbinvl1_vol
	s_and_saveexec_b64 s[12:13], s[14:15]
	s_cbranch_execz .LBB124_364
; %bb.355:
	v_lshlrev_b32_e32 v26, 3, v19
	v_lshlrev_b32_e32 v25, 9, v20
	ds_read_b64 v[11:12], v26 offset:20736
	ds_read_b64 v[27:28], v25 offset:20800
	v_cmp_gt_u32_e64 s[10:11], 56, v15
	s_waitcnt lgkmcnt(0)
	v_fma_f64 v[11:12], v[11:12], v[27:28], 0
	s_and_saveexec_b64 s[16:17], s[10:11]
	s_cbranch_execnz .LBB124_1051
; %bb.356:
	s_or_b64 exec, exec, s[16:17]
	v_cmp_gt_u32_e64 s[10:11], 48, v15
	s_and_saveexec_b64 s[16:17], s[10:11]
	s_cbranch_execnz .LBB124_1052
.LBB124_357:
	s_or_b64 exec, exec, s[16:17]
	v_cmp_gt_u32_e64 s[10:11], 40, v15
	s_and_saveexec_b64 s[16:17], s[10:11]
	s_cbranch_execnz .LBB124_1053
.LBB124_358:
	s_or_b64 exec, exec, s[16:17]
	v_cmp_gt_u32_e64 s[10:11], 32, v15
	s_and_saveexec_b64 s[16:17], s[10:11]
	s_cbranch_execnz .LBB124_1054
.LBB124_359:
	s_or_b64 exec, exec, s[16:17]
	v_cmp_gt_u32_e64 s[10:11], 24, v15
	s_and_saveexec_b64 s[16:17], s[10:11]
	s_cbranch_execnz .LBB124_1055
.LBB124_360:
	s_or_b64 exec, exec, s[16:17]
	s_and_saveexec_b64 s[10:11], s[2:3]
	s_cbranch_execnz .LBB124_1056
.LBB124_361:
	s_or_b64 exec, exec, s[10:11]
	v_cmp_gt_u32_e64 s[10:11], 8, v15
	s_and_saveexec_b64 s[16:17], s[10:11]
	s_cbranch_execz .LBB124_363
.LBB124_362:
	v_lshlrev_b32_e32 v25, 3, v0
	v_mov_b32_e32 v27, 0
	ds_read_b64 v[25:26], v25 offset:24320
	ds_read_b64 v[27:28], v27 offset:24440
	s_waitcnt lgkmcnt(0)
	v_fma_f64 v[11:12], v[25:26], v[27:28], v[11:12]
.LBB124_363:
	s_or_b64 exec, exec, s[16:17]
.LBB124_364:
	s_or_b64 exec, exec, s[12:13]
	s_and_saveexec_b64 s[10:11], s[54:55]
	s_cbranch_execz .LBB124_366
; %bb.365:
	v_mov_b32_e32 v25, 0
	ds_read_b64 v[25:26], v25 offset:20280
	s_waitcnt lgkmcnt(0)
	v_mul_f64 v[11:12], v[11:12], v[25:26]
	v_xor_b32_e32 v26, 0x80000000, v12
	v_mov_b32_e32 v25, v11
	ds_write_b64 v21, v[25:26]
.LBB124_366:
	s_or_b64 exec, exec, s[10:11]
	s_waitcnt lgkmcnt(0)
	s_barrier
	s_and_saveexec_b64 s[10:11], s[56:57]
	s_cbranch_execz .LBB124_368
; %bb.367:
	v_lshlrev_b32_e32 v25, 3, v19
	ds_read_b64 v[25:26], v25 offset:20224
	ds_read_b64 v[27:28], v21
	s_waitcnt lgkmcnt(0)
	v_fma_f64 v[11:12], -v[25:26], v[27:28], v[11:12]
.LBB124_368:
	s_or_b64 exec, exec, s[10:11]
	s_barrier
	s_and_saveexec_b64 s[10:11], s[58:59]
	s_cbranch_execz .LBB124_370
; %bb.369:
	v_mov_b32_e32 v25, 0
	ds_read_b64 v[25:26], v25 offset:19760
	s_waitcnt lgkmcnt(0)
	v_mul_f64 v[11:12], v[11:12], v[25:26]
	v_xor_b32_e32 v26, 0x80000000, v12
	v_mov_b32_e32 v25, v11
	ds_write_b64 v21, v[25:26]
.LBB124_370:
	s_or_b64 exec, exec, s[10:11]
	s_waitcnt lgkmcnt(0)
	s_barrier
	s_and_saveexec_b64 s[10:11], s[60:61]
	s_cbranch_execz .LBB124_372
; %bb.371:
	v_lshlrev_b32_e32 v25, 3, v19
	ds_read_b64 v[25:26], v25 offset:19712
	ds_read_b64 v[27:28], v21
	s_waitcnt lgkmcnt(0)
	v_fma_f64 v[11:12], -v[25:26], v[27:28], v[11:12]
.LBB124_372:
	s_or_b64 exec, exec, s[10:11]
	s_barrier
	;; [unrolled: 25-line block ×6, first 2 shown]
	s_and_saveexec_b64 s[10:11], s[80:81]
	s_cbranch_execz .LBB124_390
; %bb.389:
	v_mov_b32_e32 v25, 0
	ds_read_b64 v[25:26], v25 offset:17160
	s_waitcnt lgkmcnt(0)
	v_mul_f64 v[11:12], v[11:12], v[25:26]
	v_xor_b32_e32 v26, 0x80000000, v12
	v_mov_b32_e32 v25, v11
	ds_write_b64 v21, v[25:26]
.LBB124_390:
	s_or_b64 exec, exec, s[10:11]
	s_waitcnt lgkmcnt(0)
	s_barrier
	s_and_saveexec_b64 s[10:11], s[64:65]
	s_cbranch_execz .LBB124_392
; %bb.391:
	v_mov_b32_e32 v25, 0
	ds_read_b64 v[25:26], v25 offset:17152
	ds_read_b64 v[27:28], v21
	s_waitcnt lgkmcnt(0)
	v_fma_f64 v[11:12], -v[25:26], v[27:28], v[11:12]
.LBB124_392:
	s_or_b64 exec, exec, s[10:11]
	s_barrier
	s_and_saveexec_b64 s[10:11], s[64:65]
	s_cbranch_execz .LBB124_394
; %bb.393:
	v_mov_b32_e32 v25, 0
	ds_read_b64 v[25:26], v25 offset:16640
	s_waitcnt lgkmcnt(0)
	v_mul_f64 v[11:12], v[11:12], v[25:26]
	v_xor_b32_e32 v26, 0x80000000, v12
	v_mov_b32_e32 v25, v11
	ds_write_b64 v21, v[25:26]
.LBB124_394:
	s_or_b64 exec, exec, s[10:11]
	s_waitcnt lgkmcnt(0)
	s_barrier
	s_barrier
	s_and_saveexec_b64 s[10:11], s[14:15]
; %bb.395:
	v_lshlrev_b32_e32 v25, 3, v19
	v_lshl_or_b32 v25, v20, 9, v25
	ds_write_b64 v25, v[11:12] offset:20736
; %bb.396:
	s_or_b64 exec, exec, s[10:11]
	s_waitcnt lgkmcnt(0)
	s_barrier
	s_barrier
	s_and_saveexec_b64 s[10:11], vcc
	s_cbranch_execz .LBB124_398
; %bb.397:
	v_mov_b32_e32 v29, 0
	ds_read_b128 v[25:28], v29 offset:20272
	ds_read_b64 v[11:12], v29 offset:19760
	s_waitcnt lgkmcnt(0)
	v_mul_f64 v[11:12], v[11:12], v[27:28]
	v_mul_f64 v[11:12], v[25:26], v[11:12]
	ds_write_b64 v29, v[11:12] offset:20272
.LBB124_398:
	s_or_b64 exec, exec, s[10:11]
	v_mov_b32_e32 v11, 0
	v_mov_b32_e32 v12, 0
	s_waitcnt lgkmcnt(0)
	s_barrier
	buffer_wbinvl1_vol
	s_and_saveexec_b64 s[12:13], s[0:1]
	s_cbranch_execz .LBB124_402
; %bb.399:
	v_lshlrev_b32_e32 v25, 9, v13
	v_lshlrev_b32_e32 v11, 3, v1
	ds_read_b64 v[11:12], v11 offset:19744
	ds_read_b64 v[25:26], v25 offset:19760
	v_cmp_gt_u32_e64 s[10:11], 2, v15
	s_waitcnt lgkmcnt(0)
	v_fma_f64 v[11:12], v[11:12], v[25:26], 0
	s_and_saveexec_b64 s[16:17], s[10:11]
	s_cbranch_execz .LBB124_401
; %bb.400:
	v_lshlrev_b32_e32 v25, 3, v0
	v_mov_b32_e32 v27, 0
	ds_read_b64 v[25:26], v25 offset:20256
	ds_read_b64 v[27:28], v27 offset:20280
	s_waitcnt lgkmcnt(0)
	v_fma_f64 v[11:12], v[25:26], v[27:28], v[11:12]
.LBB124_401:
	s_or_b64 exec, exec, s[16:17]
.LBB124_402:
	s_or_b64 exec, exec, s[12:13]
	s_and_saveexec_b64 s[10:11], s[40:41]
	s_cbranch_execz .LBB124_404
; %bb.403:
	v_mov_b32_e32 v25, 0
	ds_read_b64 v[25:26], v25 offset:19240
	s_waitcnt lgkmcnt(0)
	v_mul_f64 v[11:12], v[11:12], v[25:26]
	v_xor_b32_e32 v26, 0x80000000, v12
	v_mov_b32_e32 v25, v11
	ds_write_b64 v14, v[25:26]
.LBB124_404:
	s_or_b64 exec, exec, s[10:11]
	s_waitcnt lgkmcnt(0)
	s_barrier
	s_and_saveexec_b64 s[10:11], s[38:39]
	s_cbranch_execz .LBB124_406
; %bb.405:
	v_mov_b32_e32 v25, 0
	ds_read_b64 v[25:26], v25 offset:19232
	ds_read_b64 v[27:28], v14
	s_waitcnt lgkmcnt(0)
	v_fma_f64 v[11:12], -v[25:26], v[27:28], v[11:12]
.LBB124_406:
	s_or_b64 exec, exec, s[10:11]
	s_barrier
	s_and_saveexec_b64 s[10:11], s[38:39]
	s_cbranch_execz .LBB124_408
; %bb.407:
	v_mov_b32_e32 v25, 0
	ds_read_b64 v[25:26], v25 offset:18720
	s_waitcnt lgkmcnt(0)
	v_mul_f64 v[11:12], v[11:12], v[25:26]
	v_xor_b32_e32 v26, 0x80000000, v12
	v_mov_b32_e32 v25, v11
	ds_write_b64 v14, v[25:26]
.LBB124_408:
	s_or_b64 exec, exec, s[10:11]
	s_waitcnt lgkmcnt(0)
	s_barrier
	s_barrier
	s_and_saveexec_b64 s[10:11], s[0:1]
; %bb.409:
	v_lshlrev_b32_e32 v25, 3, v1
	v_lshl_or_b32 v25, v13, 9, v25
	ds_write_b64 v25, v[11:12] offset:19744
; %bb.410:
	s_or_b64 exec, exec, s[10:11]
	s_waitcnt lgkmcnt(0)
	s_barrier
	s_barrier
	s_and_saveexec_b64 s[10:11], vcc
	s_cbranch_execz .LBB124_412
; %bb.411:
	v_mov_b32_e32 v29, 0
	ds_read_b128 v[25:28], v29 offset:19232
	ds_read_b64 v[11:12], v29 offset:18720
	s_waitcnt lgkmcnt(0)
	v_mul_f64 v[11:12], v[11:12], v[27:28]
	v_mul_f64 v[11:12], v[25:26], v[11:12]
	ds_write_b64 v29, v[11:12] offset:19232
.LBB124_412:
	s_or_b64 exec, exec, s[10:11]
	v_mov_b32_e32 v11, 0
	v_mov_b32_e32 v12, 0
	s_waitcnt lgkmcnt(0)
	s_barrier
	buffer_wbinvl1_vol
	s_and_saveexec_b64 s[12:13], s[2:3]
	s_cbranch_execz .LBB124_418
; %bb.413:
	v_lshlrev_b32_e32 v26, 3, v16
	v_lshlrev_b32_e32 v25, 9, v17
	ds_read_b64 v[11:12], v26 offset:18688
	ds_read_b64 v[27:28], v25 offset:18720
	v_cmp_gt_u32_e64 s[10:11], 12, v15
	s_waitcnt lgkmcnt(0)
	v_fma_f64 v[11:12], v[11:12], v[27:28], 0
	s_and_saveexec_b64 s[16:17], s[10:11]
	s_cbranch_execnz .LBB124_1057
; %bb.414:
	s_or_b64 exec, exec, s[16:17]
	v_cmp_gt_u32_e64 s[10:11], 8, v15
	s_and_saveexec_b64 s[16:17], s[10:11]
	s_cbranch_execnz .LBB124_1058
.LBB124_415:
	s_or_b64 exec, exec, s[16:17]
	v_cmp_gt_u32_e64 s[10:11], 4, v15
	s_and_saveexec_b64 s[16:17], s[10:11]
	s_cbranch_execz .LBB124_417
.LBB124_416:
	v_lshlrev_b32_e32 v25, 3, v0
	v_mov_b32_e32 v27, 0
	ds_read_b64 v[25:26], v25 offset:20224
	ds_read_b64 v[27:28], v27 offset:20280
	s_waitcnt lgkmcnt(0)
	v_fma_f64 v[11:12], v[25:26], v[27:28], v[11:12]
.LBB124_417:
	s_or_b64 exec, exec, s[16:17]
.LBB124_418:
	s_or_b64 exec, exec, s[12:13]
	s_and_saveexec_b64 s[10:11], s[44:45]
	s_cbranch_execz .LBB124_420
; %bb.419:
	v_mov_b32_e32 v25, 0
	ds_read_b64 v[25:26], v25 offset:18200
	s_waitcnt lgkmcnt(0)
	v_mul_f64 v[11:12], v[11:12], v[25:26]
	v_xor_b32_e32 v26, 0x80000000, v12
	v_mov_b32_e32 v25, v11
	ds_write_b64 v18, v[25:26]
.LBB124_420:
	s_or_b64 exec, exec, s[10:11]
	s_waitcnt lgkmcnt(0)
	s_barrier
	s_and_saveexec_b64 s[10:11], s[46:47]
	s_cbranch_execz .LBB124_422
; %bb.421:
	v_lshlrev_b32_e32 v25, 3, v16
	ds_read_b64 v[25:26], v25 offset:18176
	ds_read_b64 v[27:28], v18
	s_waitcnt lgkmcnt(0)
	v_fma_f64 v[11:12], -v[25:26], v[27:28], v[11:12]
.LBB124_422:
	s_or_b64 exec, exec, s[10:11]
	s_barrier
	s_and_saveexec_b64 s[10:11], s[48:49]
	s_cbranch_execz .LBB124_424
; %bb.423:
	v_mov_b32_e32 v25, 0
	ds_read_b64 v[25:26], v25 offset:17680
	s_waitcnt lgkmcnt(0)
	v_mul_f64 v[11:12], v[11:12], v[25:26]
	v_xor_b32_e32 v26, 0x80000000, v12
	v_mov_b32_e32 v25, v11
	ds_write_b64 v18, v[25:26]
.LBB124_424:
	s_or_b64 exec, exec, s[10:11]
	s_waitcnt lgkmcnt(0)
	s_barrier
	s_and_saveexec_b64 s[10:11], s[50:51]
	s_cbranch_execz .LBB124_426
; %bb.425:
	v_lshlrev_b32_e32 v25, 3, v16
	ds_read_b64 v[25:26], v25 offset:17664
	ds_read_b64 v[27:28], v18
	s_waitcnt lgkmcnt(0)
	v_fma_f64 v[11:12], -v[25:26], v[27:28], v[11:12]
.LBB124_426:
	s_or_b64 exec, exec, s[10:11]
	s_barrier
	s_and_saveexec_b64 s[10:11], s[52:53]
	s_cbranch_execz .LBB124_428
; %bb.427:
	v_mov_b32_e32 v25, 0
	ds_read_b64 v[25:26], v25 offset:17160
	s_waitcnt lgkmcnt(0)
	v_mul_f64 v[11:12], v[11:12], v[25:26]
	v_xor_b32_e32 v26, 0x80000000, v12
	v_mov_b32_e32 v25, v11
	ds_write_b64 v18, v[25:26]
.LBB124_428:
	s_or_b64 exec, exec, s[10:11]
	s_waitcnt lgkmcnt(0)
	s_barrier
	s_and_saveexec_b64 s[10:11], s[42:43]
	s_cbranch_execz .LBB124_430
; %bb.429:
	v_mov_b32_e32 v25, 0
	ds_read_b64 v[25:26], v25 offset:17152
	ds_read_b64 v[27:28], v18
	s_waitcnt lgkmcnt(0)
	v_fma_f64 v[11:12], -v[25:26], v[27:28], v[11:12]
.LBB124_430:
	s_or_b64 exec, exec, s[10:11]
	s_barrier
	s_and_saveexec_b64 s[10:11], s[42:43]
	s_cbranch_execz .LBB124_432
; %bb.431:
	v_mov_b32_e32 v25, 0
	ds_read_b64 v[25:26], v25 offset:16640
	s_waitcnt lgkmcnt(0)
	v_mul_f64 v[11:12], v[11:12], v[25:26]
	v_xor_b32_e32 v26, 0x80000000, v12
	v_mov_b32_e32 v25, v11
	ds_write_b64 v18, v[25:26]
.LBB124_432:
	s_or_b64 exec, exec, s[10:11]
	s_waitcnt lgkmcnt(0)
	s_barrier
	s_barrier
	s_and_saveexec_b64 s[10:11], s[2:3]
; %bb.433:
	v_lshlrev_b32_e32 v25, 3, v16
	v_lshl_or_b32 v25, v17, 9, v25
	ds_write_b64 v25, v[11:12] offset:18688
; %bb.434:
	s_or_b64 exec, exec, s[10:11]
	s_waitcnt lgkmcnt(0)
	s_barrier
	s_barrier
	s_and_saveexec_b64 s[10:11], vcc
	s_cbranch_execz .LBB124_436
; %bb.435:
	v_mov_b32_e32 v29, 0
	ds_read_b128 v[25:28], v29 offset:18192
	ds_read_b64 v[11:12], v29 offset:17680
	s_waitcnt lgkmcnt(0)
	v_mul_f64 v[11:12], v[11:12], v[27:28]
	v_mul_f64 v[11:12], v[25:26], v[11:12]
	ds_write_b64 v29, v[11:12] offset:18192
.LBB124_436:
	s_or_b64 exec, exec, s[10:11]
	v_mov_b32_e32 v11, 0
	v_mov_b32_e32 v12, 0
	s_waitcnt lgkmcnt(0)
	s_barrier
	buffer_wbinvl1_vol
	s_and_saveexec_b64 s[12:13], s[0:1]
	s_cbranch_execz .LBB124_440
; %bb.437:
	v_lshlrev_b32_e32 v25, 9, v13
	v_lshlrev_b32_e32 v11, 3, v1
	ds_read_b64 v[11:12], v11 offset:17664
	ds_read_b64 v[25:26], v25 offset:17680
	v_cmp_gt_u32_e64 s[10:11], 2, v15
	s_waitcnt lgkmcnt(0)
	v_fma_f64 v[11:12], v[11:12], v[25:26], 0
	s_and_saveexec_b64 s[16:17], s[10:11]
	s_cbranch_execz .LBB124_439
; %bb.438:
	v_lshlrev_b32_e32 v25, 3, v0
	v_mov_b32_e32 v27, 0
	ds_read_b64 v[25:26], v25 offset:18176
	ds_read_b64 v[27:28], v27 offset:18200
	s_waitcnt lgkmcnt(0)
	v_fma_f64 v[11:12], v[25:26], v[27:28], v[11:12]
.LBB124_439:
	s_or_b64 exec, exec, s[16:17]
.LBB124_440:
	s_or_b64 exec, exec, s[12:13]
	s_and_saveexec_b64 s[10:11], s[40:41]
	s_cbranch_execz .LBB124_442
; %bb.441:
	v_mov_b32_e32 v25, 0
	ds_read_b64 v[25:26], v25 offset:17160
	s_waitcnt lgkmcnt(0)
	v_mul_f64 v[11:12], v[11:12], v[25:26]
	v_xor_b32_e32 v26, 0x80000000, v12
	v_mov_b32_e32 v25, v11
	ds_write_b64 v14, v[25:26]
.LBB124_442:
	s_or_b64 exec, exec, s[10:11]
	s_waitcnt lgkmcnt(0)
	s_barrier
	s_and_saveexec_b64 s[10:11], s[38:39]
	s_cbranch_execz .LBB124_444
; %bb.443:
	v_mov_b32_e32 v25, 0
	ds_read_b64 v[25:26], v25 offset:17152
	ds_read_b64 v[27:28], v14
	s_waitcnt lgkmcnt(0)
	v_fma_f64 v[11:12], -v[25:26], v[27:28], v[11:12]
.LBB124_444:
	s_or_b64 exec, exec, s[10:11]
	s_barrier
	s_and_saveexec_b64 s[10:11], s[38:39]
	s_cbranch_execz .LBB124_446
; %bb.445:
	v_mov_b32_e32 v25, 0
	ds_read_b64 v[25:26], v25 offset:16640
	s_waitcnt lgkmcnt(0)
	v_mul_f64 v[11:12], v[11:12], v[25:26]
	v_xor_b32_e32 v26, 0x80000000, v12
	v_mov_b32_e32 v25, v11
	ds_write_b64 v14, v[25:26]
.LBB124_446:
	s_or_b64 exec, exec, s[10:11]
	s_waitcnt lgkmcnt(0)
	s_barrier
	s_barrier
	s_and_saveexec_b64 s[10:11], s[0:1]
; %bb.447:
	v_lshlrev_b32_e32 v25, 3, v1
	v_lshl_or_b32 v25, v13, 9, v25
	ds_write_b64 v25, v[11:12] offset:17664
; %bb.448:
	s_or_b64 exec, exec, s[10:11]
	s_waitcnt lgkmcnt(0)
	s_barrier
	s_barrier
	s_and_saveexec_b64 s[10:11], vcc
	s_cbranch_execz .LBB124_450
; %bb.449:
	v_mov_b32_e32 v29, 0
	ds_read_b128 v[25:28], v29 offset:17152
	ds_read_b64 v[11:12], v29 offset:16640
	s_waitcnt lgkmcnt(0)
	v_mul_f64 v[11:12], v[11:12], v[27:28]
	v_mul_f64 v[11:12], v[25:26], v[11:12]
	ds_write_b64 v29, v[11:12] offset:17152
.LBB124_450:
	s_or_b64 exec, exec, s[10:11]
	s_movk_i32 s10, 0x3ff
	v_lshrrev_b32_e32 v27, 5, v15
	v_cmp_lt_u32_e64 s[12:13], s10, v15
	s_movk_i32 s10, 0x400
	v_mov_b32_e32 v11, 0
	v_and_b32_e32 v25, 31, v0
	v_sub_u32_e32 v26, 31, v27
	v_mov_b32_e32 v12, 0
	v_cmp_gt_u32_e64 s[10:11], s10, v15
	s_waitcnt lgkmcnt(0)
	s_barrier
	buffer_wbinvl1_vol
	s_and_saveexec_b64 s[90:91], s[10:11]
	s_cbranch_execz .LBB124_512
; %bb.451:
	v_lshlrev_b32_e32 v29, 3, v25
	v_lshlrev_b32_e32 v28, 9, v26
	ds_read_b64 v[11:12], v29 offset:16384
	ds_read_b64 v[30:31], v28 offset:16640
	s_movk_i32 s16, 0x3e0
	v_cmp_gt_u32_e64 s[16:17], s16, v15
	s_waitcnt lgkmcnt(0)
	v_fma_f64 v[11:12], v[11:12], v[30:31], 0
	s_and_saveexec_b64 s[92:93], s[16:17]
	s_cbranch_execz .LBB124_453
; %bb.452:
	ds_read_b64 v[30:31], v29 offset:16896
	ds_read_b64 v[32:33], v28 offset:16648
	s_waitcnt lgkmcnt(0)
	v_fma_f64 v[11:12], v[30:31], v[32:33], v[11:12]
.LBB124_453:
	s_or_b64 exec, exec, s[92:93]
	s_movk_i32 s16, 0x3c0
	v_cmp_gt_u32_e64 s[16:17], s16, v15
	s_and_saveexec_b64 s[92:93], s[16:17]
	s_cbranch_execz .LBB124_455
; %bb.454:
	ds_read_b64 v[30:31], v29 offset:17408
	ds_read_b64 v[32:33], v28 offset:16656
	s_waitcnt lgkmcnt(0)
	v_fma_f64 v[11:12], v[30:31], v[32:33], v[11:12]
.LBB124_455:
	s_or_b64 exec, exec, s[92:93]
	s_movk_i32 s16, 0x3a0
	v_cmp_gt_u32_e64 s[16:17], s16, v15
	;; [unrolled: 11-line block ×22, first 2 shown]
	s_and_saveexec_b64 s[92:93], s[16:17]
	s_cbranch_execz .LBB124_497
; %bb.496:
	ds_read_b64 v[30:31], v29 offset:28160
	ds_read_b64 v[32:33], v28 offset:16824
	s_waitcnt lgkmcnt(0)
	v_fma_f64 v[11:12], v[30:31], v[32:33], v[11:12]
.LBB124_497:
	s_or_b64 exec, exec, s[92:93]
	s_and_saveexec_b64 s[16:17], s[8:9]
	s_cbranch_execz .LBB124_499
; %bb.498:
	ds_read_b64 v[30:31], v29 offset:28672
	ds_read_b64 v[32:33], v28 offset:16832
	s_waitcnt lgkmcnt(0)
	v_fma_f64 v[11:12], v[30:31], v[32:33], v[11:12]
.LBB124_499:
	s_or_b64 exec, exec, s[16:17]
	s_movk_i32 s16, 0xe0
	v_cmp_gt_u32_e64 s[16:17], s16, v15
	s_and_saveexec_b64 s[92:93], s[16:17]
	s_cbranch_execz .LBB124_501
; %bb.500:
	ds_read_b64 v[30:31], v29 offset:29184
	ds_read_b64 v[32:33], v28 offset:16840
	s_waitcnt lgkmcnt(0)
	v_fma_f64 v[11:12], v[30:31], v[32:33], v[11:12]
.LBB124_501:
	s_or_b64 exec, exec, s[92:93]
	s_movk_i32 s16, 0xc0
	v_cmp_gt_u32_e64 s[16:17], s16, v15
	;; [unrolled: 11-line block ×5, first 2 shown]
	s_and_saveexec_b64 s[92:93], s[16:17]
	s_cbranch_execnz .LBB124_1059
; %bb.508:
	s_or_b64 exec, exec, s[92:93]
	s_and_saveexec_b64 s[16:17], s[14:15]
	s_cbranch_execnz .LBB124_1060
.LBB124_509:
	s_or_b64 exec, exec, s[16:17]
	v_cmp_gt_u32_e64 s[16:17], 32, v15
	s_and_saveexec_b64 s[92:93], s[16:17]
	s_cbranch_execz .LBB124_511
.LBB124_510:
	v_lshlrev_b32_e32 v28, 3, v0
	v_mov_b32_e32 v30, 0
	ds_read_b64 v[28:29], v28 offset:32256
	ds_read_b64 v[30:31], v30 offset:32760
	s_waitcnt lgkmcnt(0)
	v_fma_f64 v[11:12], v[28:29], v[30:31], v[11:12]
.LBB124_511:
	s_or_b64 exec, exec, s[92:93]
.LBB124_512:
	s_or_b64 exec, exec, s[90:91]
	v_mov_b32_e32 v28, 0x8000
	s_movk_i32 s16, 0x208
	v_lshlrev_b32_e32 v29, 9, v25
	v_mov_b32_e32 v30, 0x3800
	v_lshl_add_u32 v27, v27, 3, v28
	v_mul_u32_u24_e32 v28, 0x208, v25
	v_sub_u32_e32 v29, 0, v29
	v_mad_u32_u24 v30, v25, s16, v30
	s_mov_b32 s90, 31
	s_xor_b64 s[16:17], s[12:13], -1
	s_branch .LBB124_514
.LBB124_513:                            ;   in Loop: Header=BB124_514 Depth=1
	s_or_b64 exec, exec, s[12:13]
	s_add_i32 s90, s90, -4
	s_cmp_eq_u32 s91, 0
	v_add_u32_e32 v29, 0xfffff800, v29
	s_barrier
	s_cbranch_scc1 .LBB124_530
.LBB124_514:                            ; =>This Inner Loop Header: Depth=1
	s_movk_i32 s12, 0xc200
	v_cmp_eq_u32_e64 s[12:13], s12, v29
	s_and_b64 s[92:93], s[16:17], s[12:13]
	s_and_saveexec_b64 s[12:13], s[92:93]
	s_cbranch_execz .LBB124_516
; %bb.515:                              ;   in Loop: Header=BB124_514 Depth=1
	ds_read_b64 v[31:32], v28
	s_waitcnt lgkmcnt(0)
	v_mul_f64 v[11:12], v[11:12], v[31:32]
	v_xor_b32_e32 v32, 0x80000000, v12
	v_mov_b32_e32 v31, v11
	ds_write_b64 v27, v[31:32]
.LBB124_516:                            ;   in Loop: Header=BB124_514 Depth=1
	s_or_b64 exec, exec, s[12:13]
	v_cmp_gt_u32_e64 s[12:13], s90, v25
	s_and_b64 s[92:93], s[16:17], s[12:13]
	v_add_u32_e32 v31, v30, v29
	s_waitcnt lgkmcnt(0)
	s_barrier
	s_and_saveexec_b64 s[12:13], s[92:93]
	s_cbranch_execz .LBB124_518
; %bb.517:                              ;   in Loop: Header=BB124_514 Depth=1
	ds_read_b64 v[32:33], v31 offset:1536
	ds_read_b64 v[34:35], v27
	s_waitcnt lgkmcnt(0)
	v_fma_f64 v[11:12], -v[32:33], v[34:35], v[11:12]
.LBB124_518:                            ;   in Loop: Header=BB124_514 Depth=1
	s_or_b64 exec, exec, s[12:13]
	s_add_i32 s91, s90, -1
	v_cmp_eq_u32_e64 s[12:13], s91, v25
	s_and_b64 s[92:93], s[16:17], s[12:13]
	s_barrier
	s_and_saveexec_b64 s[12:13], s[92:93]
	s_cbranch_execz .LBB124_520
; %bb.519:                              ;   in Loop: Header=BB124_514 Depth=1
	ds_read_b64 v[32:33], v28
	s_waitcnt lgkmcnt(0)
	v_mul_f64 v[11:12], v[11:12], v[32:33]
	v_xor_b32_e32 v33, 0x80000000, v12
	v_mov_b32_e32 v32, v11
	ds_write_b64 v27, v[32:33]
.LBB124_520:                            ;   in Loop: Header=BB124_514 Depth=1
	s_or_b64 exec, exec, s[12:13]
	v_cmp_gt_u32_e64 s[12:13], s91, v25
	s_and_b64 s[92:93], s[16:17], s[12:13]
	s_waitcnt lgkmcnt(0)
	s_barrier
	s_and_saveexec_b64 s[12:13], s[92:93]
	s_cbranch_execz .LBB124_522
; %bb.521:                              ;   in Loop: Header=BB124_514 Depth=1
	ds_read_b64 v[32:33], v31 offset:1024
	ds_read_b64 v[34:35], v27
	s_waitcnt lgkmcnt(0)
	v_fma_f64 v[11:12], -v[32:33], v[34:35], v[11:12]
.LBB124_522:                            ;   in Loop: Header=BB124_514 Depth=1
	s_or_b64 exec, exec, s[12:13]
	s_add_i32 s91, s90, -2
	v_cmp_eq_u32_e64 s[12:13], s91, v25
	s_and_b64 s[92:93], s[16:17], s[12:13]
	s_barrier
	s_and_saveexec_b64 s[12:13], s[92:93]
	s_cbranch_execz .LBB124_524
; %bb.523:                              ;   in Loop: Header=BB124_514 Depth=1
	ds_read_b64 v[32:33], v28
	s_waitcnt lgkmcnt(0)
	v_mul_f64 v[11:12], v[11:12], v[32:33]
	v_xor_b32_e32 v33, 0x80000000, v12
	v_mov_b32_e32 v32, v11
	ds_write_b64 v27, v[32:33]
.LBB124_524:                            ;   in Loop: Header=BB124_514 Depth=1
	s_or_b64 exec, exec, s[12:13]
	v_cmp_gt_u32_e64 s[12:13], s91, v25
	s_and_b64 s[92:93], s[16:17], s[12:13]
	;; [unrolled: 28-line block ×3, first 2 shown]
	s_waitcnt lgkmcnt(0)
	s_barrier
	s_and_saveexec_b64 s[12:13], s[92:93]
	s_cbranch_execz .LBB124_513
; %bb.529:                              ;   in Loop: Header=BB124_514 Depth=1
	ds_read_b64 v[31:32], v31
	ds_read_b64 v[33:34], v27
	s_waitcnt lgkmcnt(0)
	v_fma_f64 v[11:12], -v[31:32], v[33:34], v[11:12]
	s_branch .LBB124_513
.LBB124_530:
	s_and_saveexec_b64 s[12:13], s[10:11]
; %bb.531:
	v_lshlrev_b32_e32 v25, 3, v25
	v_lshl_or_b32 v25, v26, 9, v25
	ds_write_b64 v25, v[11:12] offset:16384
; %bb.532:
	s_or_b64 exec, exec, s[12:13]
	s_waitcnt lgkmcnt(0)
	s_barrier
	s_barrier
	s_and_saveexec_b64 s[10:11], vcc
	s_cbranch_execz .LBB124_534
; %bb.533:
	v_mov_b32_e32 v29, 0
	ds_read_b128 v[25:28], v29 offset:16112
	ds_read_b64 v[11:12], v29 offset:15600
	s_waitcnt lgkmcnt(0)
	v_mul_f64 v[11:12], v[11:12], v[27:28]
	v_mul_f64 v[11:12], v[25:26], v[11:12]
	ds_write_b64 v29, v[11:12] offset:16112
.LBB124_534:
	s_or_b64 exec, exec, s[10:11]
	v_mov_b32_e32 v11, 0
	v_mov_b32_e32 v12, 0
	s_waitcnt lgkmcnt(0)
	s_barrier
	buffer_wbinvl1_vol
	s_and_saveexec_b64 s[12:13], s[0:1]
	s_cbranch_execz .LBB124_538
; %bb.535:
	v_lshlrev_b32_e32 v25, 9, v13
	v_lshlrev_b32_e32 v11, 3, v1
	ds_read_b64 v[11:12], v11 offset:15584
	ds_read_b64 v[25:26], v25 offset:15600
	v_cmp_gt_u32_e64 s[10:11], 2, v15
	s_waitcnt lgkmcnt(0)
	v_fma_f64 v[11:12], v[11:12], v[25:26], 0
	s_and_saveexec_b64 s[16:17], s[10:11]
	s_cbranch_execz .LBB124_537
; %bb.536:
	v_lshlrev_b32_e32 v25, 3, v0
	v_mov_b32_e32 v27, 0
	ds_read_b64 v[25:26], v25 offset:16096
	ds_read_b64 v[27:28], v27 offset:16120
	s_waitcnt lgkmcnt(0)
	v_fma_f64 v[11:12], v[25:26], v[27:28], v[11:12]
.LBB124_537:
	s_or_b64 exec, exec, s[16:17]
.LBB124_538:
	s_or_b64 exec, exec, s[12:13]
	s_and_saveexec_b64 s[10:11], s[40:41]
	s_cbranch_execz .LBB124_540
; %bb.539:
	v_mov_b32_e32 v25, 0
	ds_read_b64 v[25:26], v25 offset:15080
	s_waitcnt lgkmcnt(0)
	v_mul_f64 v[11:12], v[11:12], v[25:26]
	v_xor_b32_e32 v26, 0x80000000, v12
	v_mov_b32_e32 v25, v11
	ds_write_b64 v14, v[25:26]
.LBB124_540:
	s_or_b64 exec, exec, s[10:11]
	s_waitcnt lgkmcnt(0)
	s_barrier
	s_and_saveexec_b64 s[10:11], s[38:39]
	s_cbranch_execz .LBB124_542
; %bb.541:
	v_mov_b32_e32 v25, 0
	ds_read_b64 v[25:26], v25 offset:15072
	ds_read_b64 v[27:28], v14
	s_waitcnt lgkmcnt(0)
	v_fma_f64 v[11:12], -v[25:26], v[27:28], v[11:12]
.LBB124_542:
	s_or_b64 exec, exec, s[10:11]
	s_barrier
	s_and_saveexec_b64 s[10:11], s[38:39]
	s_cbranch_execz .LBB124_544
; %bb.543:
	v_mov_b32_e32 v25, 0
	ds_read_b64 v[25:26], v25 offset:14560
	s_waitcnt lgkmcnt(0)
	v_mul_f64 v[11:12], v[11:12], v[25:26]
	v_xor_b32_e32 v26, 0x80000000, v12
	v_mov_b32_e32 v25, v11
	ds_write_b64 v14, v[25:26]
.LBB124_544:
	s_or_b64 exec, exec, s[10:11]
	s_waitcnt lgkmcnt(0)
	s_barrier
	s_barrier
	s_and_saveexec_b64 s[10:11], s[0:1]
; %bb.545:
	v_lshlrev_b32_e32 v25, 3, v1
	v_lshl_or_b32 v25, v13, 9, v25
	ds_write_b64 v25, v[11:12] offset:15584
; %bb.546:
	s_or_b64 exec, exec, s[10:11]
	s_waitcnt lgkmcnt(0)
	s_barrier
	s_barrier
	s_and_saveexec_b64 s[10:11], vcc
	s_cbranch_execz .LBB124_548
; %bb.547:
	v_mov_b32_e32 v29, 0
	ds_read_b128 v[25:28], v29 offset:15072
	ds_read_b64 v[11:12], v29 offset:14560
	s_waitcnt lgkmcnt(0)
	v_mul_f64 v[11:12], v[11:12], v[27:28]
	v_mul_f64 v[11:12], v[25:26], v[11:12]
	ds_write_b64 v29, v[11:12] offset:15072
.LBB124_548:
	s_or_b64 exec, exec, s[10:11]
	v_mov_b32_e32 v11, 0
	v_mov_b32_e32 v12, 0
	s_waitcnt lgkmcnt(0)
	s_barrier
	buffer_wbinvl1_vol
	s_and_saveexec_b64 s[12:13], s[2:3]
	s_cbranch_execz .LBB124_554
; %bb.549:
	v_lshlrev_b32_e32 v26, 3, v16
	v_lshlrev_b32_e32 v25, 9, v17
	ds_read_b64 v[11:12], v26 offset:14528
	ds_read_b64 v[27:28], v25 offset:14560
	v_cmp_gt_u32_e64 s[10:11], 12, v15
	s_waitcnt lgkmcnt(0)
	v_fma_f64 v[11:12], v[11:12], v[27:28], 0
	s_and_saveexec_b64 s[16:17], s[10:11]
	s_cbranch_execnz .LBB124_1061
; %bb.550:
	s_or_b64 exec, exec, s[16:17]
	v_cmp_gt_u32_e64 s[10:11], 8, v15
	s_and_saveexec_b64 s[16:17], s[10:11]
	s_cbranch_execnz .LBB124_1062
.LBB124_551:
	s_or_b64 exec, exec, s[16:17]
	v_cmp_gt_u32_e64 s[10:11], 4, v15
	s_and_saveexec_b64 s[16:17], s[10:11]
	s_cbranch_execz .LBB124_553
.LBB124_552:
	v_lshlrev_b32_e32 v25, 3, v0
	v_mov_b32_e32 v27, 0
	ds_read_b64 v[25:26], v25 offset:16064
	ds_read_b64 v[27:28], v27 offset:16120
	s_waitcnt lgkmcnt(0)
	v_fma_f64 v[11:12], v[25:26], v[27:28], v[11:12]
.LBB124_553:
	s_or_b64 exec, exec, s[16:17]
.LBB124_554:
	s_or_b64 exec, exec, s[12:13]
	s_and_saveexec_b64 s[10:11], s[44:45]
	s_cbranch_execz .LBB124_556
; %bb.555:
	v_mov_b32_e32 v25, 0
	ds_read_b64 v[25:26], v25 offset:14040
	s_waitcnt lgkmcnt(0)
	v_mul_f64 v[11:12], v[11:12], v[25:26]
	v_xor_b32_e32 v26, 0x80000000, v12
	v_mov_b32_e32 v25, v11
	ds_write_b64 v18, v[25:26]
.LBB124_556:
	s_or_b64 exec, exec, s[10:11]
	s_waitcnt lgkmcnt(0)
	s_barrier
	s_and_saveexec_b64 s[10:11], s[46:47]
	s_cbranch_execz .LBB124_558
; %bb.557:
	v_lshlrev_b32_e32 v25, 3, v16
	ds_read_b64 v[25:26], v25 offset:14016
	ds_read_b64 v[27:28], v18
	s_waitcnt lgkmcnt(0)
	v_fma_f64 v[11:12], -v[25:26], v[27:28], v[11:12]
.LBB124_558:
	s_or_b64 exec, exec, s[10:11]
	s_barrier
	s_and_saveexec_b64 s[10:11], s[48:49]
	s_cbranch_execz .LBB124_560
; %bb.559:
	v_mov_b32_e32 v25, 0
	ds_read_b64 v[25:26], v25 offset:13520
	s_waitcnt lgkmcnt(0)
	v_mul_f64 v[11:12], v[11:12], v[25:26]
	v_xor_b32_e32 v26, 0x80000000, v12
	v_mov_b32_e32 v25, v11
	ds_write_b64 v18, v[25:26]
.LBB124_560:
	s_or_b64 exec, exec, s[10:11]
	s_waitcnt lgkmcnt(0)
	s_barrier
	s_and_saveexec_b64 s[10:11], s[50:51]
	s_cbranch_execz .LBB124_562
; %bb.561:
	v_lshlrev_b32_e32 v25, 3, v16
	ds_read_b64 v[25:26], v25 offset:13504
	ds_read_b64 v[27:28], v18
	s_waitcnt lgkmcnt(0)
	v_fma_f64 v[11:12], -v[25:26], v[27:28], v[11:12]
.LBB124_562:
	s_or_b64 exec, exec, s[10:11]
	s_barrier
	s_and_saveexec_b64 s[10:11], s[52:53]
	s_cbranch_execz .LBB124_564
; %bb.563:
	v_mov_b32_e32 v25, 0
	ds_read_b64 v[25:26], v25 offset:13000
	s_waitcnt lgkmcnt(0)
	v_mul_f64 v[11:12], v[11:12], v[25:26]
	v_xor_b32_e32 v26, 0x80000000, v12
	v_mov_b32_e32 v25, v11
	ds_write_b64 v18, v[25:26]
.LBB124_564:
	s_or_b64 exec, exec, s[10:11]
	s_waitcnt lgkmcnt(0)
	s_barrier
	s_and_saveexec_b64 s[10:11], s[42:43]
	s_cbranch_execz .LBB124_566
; %bb.565:
	v_mov_b32_e32 v25, 0
	ds_read_b64 v[25:26], v25 offset:12992
	ds_read_b64 v[27:28], v18
	s_waitcnt lgkmcnt(0)
	v_fma_f64 v[11:12], -v[25:26], v[27:28], v[11:12]
.LBB124_566:
	s_or_b64 exec, exec, s[10:11]
	s_barrier
	s_and_saveexec_b64 s[10:11], s[42:43]
	s_cbranch_execz .LBB124_568
; %bb.567:
	v_mov_b32_e32 v25, 0
	ds_read_b64 v[25:26], v25 offset:12480
	s_waitcnt lgkmcnt(0)
	v_mul_f64 v[11:12], v[11:12], v[25:26]
	v_xor_b32_e32 v26, 0x80000000, v12
	v_mov_b32_e32 v25, v11
	ds_write_b64 v18, v[25:26]
.LBB124_568:
	s_or_b64 exec, exec, s[10:11]
	s_waitcnt lgkmcnt(0)
	s_barrier
	s_barrier
	s_and_saveexec_b64 s[10:11], s[2:3]
; %bb.569:
	v_lshlrev_b32_e32 v25, 3, v16
	v_lshl_or_b32 v25, v17, 9, v25
	ds_write_b64 v25, v[11:12] offset:14528
; %bb.570:
	s_or_b64 exec, exec, s[10:11]
	s_waitcnt lgkmcnt(0)
	s_barrier
	s_barrier
	s_and_saveexec_b64 s[10:11], vcc
	s_cbranch_execz .LBB124_572
; %bb.571:
	v_mov_b32_e32 v29, 0
	ds_read_b128 v[25:28], v29 offset:14032
	ds_read_b64 v[11:12], v29 offset:13520
	s_waitcnt lgkmcnt(0)
	v_mul_f64 v[11:12], v[11:12], v[27:28]
	v_mul_f64 v[11:12], v[25:26], v[11:12]
	ds_write_b64 v29, v[11:12] offset:14032
.LBB124_572:
	s_or_b64 exec, exec, s[10:11]
	v_mov_b32_e32 v11, 0
	v_mov_b32_e32 v12, 0
	s_waitcnt lgkmcnt(0)
	s_barrier
	buffer_wbinvl1_vol
	s_and_saveexec_b64 s[12:13], s[0:1]
	s_cbranch_execz .LBB124_576
; %bb.573:
	v_lshlrev_b32_e32 v25, 9, v13
	v_lshlrev_b32_e32 v11, 3, v1
	ds_read_b64 v[11:12], v11 offset:13504
	ds_read_b64 v[25:26], v25 offset:13520
	v_cmp_gt_u32_e64 s[10:11], 2, v15
	s_waitcnt lgkmcnt(0)
	v_fma_f64 v[11:12], v[11:12], v[25:26], 0
	s_and_saveexec_b64 s[16:17], s[10:11]
	s_cbranch_execz .LBB124_575
; %bb.574:
	v_lshlrev_b32_e32 v25, 3, v0
	v_mov_b32_e32 v27, 0
	ds_read_b64 v[25:26], v25 offset:14016
	ds_read_b64 v[27:28], v27 offset:14040
	s_waitcnt lgkmcnt(0)
	v_fma_f64 v[11:12], v[25:26], v[27:28], v[11:12]
.LBB124_575:
	s_or_b64 exec, exec, s[16:17]
.LBB124_576:
	s_or_b64 exec, exec, s[12:13]
	s_and_saveexec_b64 s[10:11], s[40:41]
	s_cbranch_execz .LBB124_578
; %bb.577:
	v_mov_b32_e32 v25, 0
	ds_read_b64 v[25:26], v25 offset:13000
	s_waitcnt lgkmcnt(0)
	v_mul_f64 v[11:12], v[11:12], v[25:26]
	v_xor_b32_e32 v26, 0x80000000, v12
	v_mov_b32_e32 v25, v11
	ds_write_b64 v14, v[25:26]
.LBB124_578:
	s_or_b64 exec, exec, s[10:11]
	s_waitcnt lgkmcnt(0)
	s_barrier
	s_and_saveexec_b64 s[10:11], s[38:39]
	s_cbranch_execz .LBB124_580
; %bb.579:
	v_mov_b32_e32 v25, 0
	ds_read_b64 v[25:26], v25 offset:12992
	ds_read_b64 v[27:28], v14
	s_waitcnt lgkmcnt(0)
	v_fma_f64 v[11:12], -v[25:26], v[27:28], v[11:12]
.LBB124_580:
	s_or_b64 exec, exec, s[10:11]
	s_barrier
	s_and_saveexec_b64 s[10:11], s[38:39]
	s_cbranch_execz .LBB124_582
; %bb.581:
	v_mov_b32_e32 v25, 0
	ds_read_b64 v[25:26], v25 offset:12480
	s_waitcnt lgkmcnt(0)
	v_mul_f64 v[11:12], v[11:12], v[25:26]
	v_xor_b32_e32 v26, 0x80000000, v12
	v_mov_b32_e32 v25, v11
	ds_write_b64 v14, v[25:26]
.LBB124_582:
	s_or_b64 exec, exec, s[10:11]
	s_waitcnt lgkmcnt(0)
	s_barrier
	s_barrier
	s_and_saveexec_b64 s[10:11], s[0:1]
; %bb.583:
	v_lshlrev_b32_e32 v25, 3, v1
	v_lshl_or_b32 v25, v13, 9, v25
	ds_write_b64 v25, v[11:12] offset:13504
; %bb.584:
	s_or_b64 exec, exec, s[10:11]
	s_waitcnt lgkmcnt(0)
	s_barrier
	s_barrier
	s_and_saveexec_b64 s[10:11], vcc
	s_cbranch_execz .LBB124_586
; %bb.585:
	v_mov_b32_e32 v29, 0
	ds_read_b128 v[25:28], v29 offset:12992
	ds_read_b64 v[11:12], v29 offset:12480
	s_waitcnt lgkmcnt(0)
	v_mul_f64 v[11:12], v[11:12], v[27:28]
	v_mul_f64 v[11:12], v[25:26], v[11:12]
	ds_write_b64 v29, v[11:12] offset:12992
.LBB124_586:
	s_or_b64 exec, exec, s[10:11]
	v_mov_b32_e32 v11, 0
	v_mov_b32_e32 v12, 0
	s_waitcnt lgkmcnt(0)
	s_barrier
	buffer_wbinvl1_vol
	s_and_saveexec_b64 s[12:13], s[14:15]
	s_cbranch_execz .LBB124_596
; %bb.587:
	v_lshlrev_b32_e32 v26, 3, v19
	v_lshlrev_b32_e32 v25, 9, v20
	ds_read_b64 v[11:12], v26 offset:12416
	ds_read_b64 v[27:28], v25 offset:12480
	v_cmp_gt_u32_e64 s[10:11], 56, v15
	s_waitcnt lgkmcnt(0)
	v_fma_f64 v[11:12], v[11:12], v[27:28], 0
	s_and_saveexec_b64 s[16:17], s[10:11]
	s_cbranch_execnz .LBB124_1063
; %bb.588:
	s_or_b64 exec, exec, s[16:17]
	v_cmp_gt_u32_e64 s[10:11], 48, v15
	s_and_saveexec_b64 s[16:17], s[10:11]
	s_cbranch_execnz .LBB124_1064
.LBB124_589:
	s_or_b64 exec, exec, s[16:17]
	v_cmp_gt_u32_e64 s[10:11], 40, v15
	s_and_saveexec_b64 s[16:17], s[10:11]
	s_cbranch_execnz .LBB124_1065
.LBB124_590:
	s_or_b64 exec, exec, s[16:17]
	v_cmp_gt_u32_e64 s[10:11], 32, v15
	s_and_saveexec_b64 s[16:17], s[10:11]
	s_cbranch_execnz .LBB124_1066
.LBB124_591:
	s_or_b64 exec, exec, s[16:17]
	v_cmp_gt_u32_e64 s[10:11], 24, v15
	s_and_saveexec_b64 s[16:17], s[10:11]
	s_cbranch_execnz .LBB124_1067
.LBB124_592:
	s_or_b64 exec, exec, s[16:17]
	s_and_saveexec_b64 s[10:11], s[2:3]
	s_cbranch_execnz .LBB124_1068
.LBB124_593:
	s_or_b64 exec, exec, s[10:11]
	v_cmp_gt_u32_e64 s[10:11], 8, v15
	s_and_saveexec_b64 s[16:17], s[10:11]
	s_cbranch_execz .LBB124_595
.LBB124_594:
	v_lshlrev_b32_e32 v25, 3, v0
	v_mov_b32_e32 v27, 0
	ds_read_b64 v[25:26], v25 offset:16000
	ds_read_b64 v[27:28], v27 offset:16120
	s_waitcnt lgkmcnt(0)
	v_fma_f64 v[11:12], v[25:26], v[27:28], v[11:12]
.LBB124_595:
	s_or_b64 exec, exec, s[16:17]
.LBB124_596:
	s_or_b64 exec, exec, s[12:13]
	s_and_saveexec_b64 s[10:11], s[54:55]
	s_cbranch_execz .LBB124_598
; %bb.597:
	v_mov_b32_e32 v25, 0
	ds_read_b64 v[25:26], v25 offset:11960
	s_waitcnt lgkmcnt(0)
	v_mul_f64 v[11:12], v[11:12], v[25:26]
	v_xor_b32_e32 v26, 0x80000000, v12
	v_mov_b32_e32 v25, v11
	ds_write_b64 v21, v[25:26]
.LBB124_598:
	s_or_b64 exec, exec, s[10:11]
	s_waitcnt lgkmcnt(0)
	s_barrier
	s_and_saveexec_b64 s[10:11], s[56:57]
	s_cbranch_execz .LBB124_600
; %bb.599:
	v_lshlrev_b32_e32 v25, 3, v19
	ds_read_b64 v[25:26], v25 offset:11904
	ds_read_b64 v[27:28], v21
	s_waitcnt lgkmcnt(0)
	v_fma_f64 v[11:12], -v[25:26], v[27:28], v[11:12]
.LBB124_600:
	s_or_b64 exec, exec, s[10:11]
	s_barrier
	s_and_saveexec_b64 s[10:11], s[58:59]
	s_cbranch_execz .LBB124_602
; %bb.601:
	v_mov_b32_e32 v25, 0
	ds_read_b64 v[25:26], v25 offset:11440
	s_waitcnt lgkmcnt(0)
	v_mul_f64 v[11:12], v[11:12], v[25:26]
	v_xor_b32_e32 v26, 0x80000000, v12
	v_mov_b32_e32 v25, v11
	ds_write_b64 v21, v[25:26]
.LBB124_602:
	s_or_b64 exec, exec, s[10:11]
	s_waitcnt lgkmcnt(0)
	s_barrier
	s_and_saveexec_b64 s[10:11], s[60:61]
	s_cbranch_execz .LBB124_604
; %bb.603:
	v_lshlrev_b32_e32 v25, 3, v19
	ds_read_b64 v[25:26], v25 offset:11392
	ds_read_b64 v[27:28], v21
	s_waitcnt lgkmcnt(0)
	v_fma_f64 v[11:12], -v[25:26], v[27:28], v[11:12]
.LBB124_604:
	s_or_b64 exec, exec, s[10:11]
	s_barrier
	;; [unrolled: 25-line block ×6, first 2 shown]
	s_and_saveexec_b64 s[10:11], s[80:81]
	s_cbranch_execz .LBB124_622
; %bb.621:
	v_mov_b32_e32 v25, 0
	ds_read_b64 v[25:26], v25 offset:8840
	s_waitcnt lgkmcnt(0)
	v_mul_f64 v[11:12], v[11:12], v[25:26]
	v_xor_b32_e32 v26, 0x80000000, v12
	v_mov_b32_e32 v25, v11
	ds_write_b64 v21, v[25:26]
.LBB124_622:
	s_or_b64 exec, exec, s[10:11]
	s_waitcnt lgkmcnt(0)
	s_barrier
	s_and_saveexec_b64 s[10:11], s[64:65]
	s_cbranch_execz .LBB124_624
; %bb.623:
	v_mov_b32_e32 v25, 0
	ds_read_b64 v[25:26], v25 offset:8832
	ds_read_b64 v[27:28], v21
	s_waitcnt lgkmcnt(0)
	v_fma_f64 v[11:12], -v[25:26], v[27:28], v[11:12]
.LBB124_624:
	s_or_b64 exec, exec, s[10:11]
	s_barrier
	s_and_saveexec_b64 s[10:11], s[64:65]
	s_cbranch_execz .LBB124_626
; %bb.625:
	v_mov_b32_e32 v25, 0
	ds_read_b64 v[25:26], v25 offset:8320
	s_waitcnt lgkmcnt(0)
	v_mul_f64 v[11:12], v[11:12], v[25:26]
	v_xor_b32_e32 v26, 0x80000000, v12
	v_mov_b32_e32 v25, v11
	ds_write_b64 v21, v[25:26]
.LBB124_626:
	s_or_b64 exec, exec, s[10:11]
	s_waitcnt lgkmcnt(0)
	s_barrier
	s_barrier
	s_and_saveexec_b64 s[10:11], s[14:15]
; %bb.627:
	v_lshlrev_b32_e32 v25, 3, v19
	v_lshl_or_b32 v25, v20, 9, v25
	ds_write_b64 v25, v[11:12] offset:12416
; %bb.628:
	s_or_b64 exec, exec, s[10:11]
	s_waitcnt lgkmcnt(0)
	s_barrier
	s_barrier
	s_and_saveexec_b64 s[10:11], vcc
	s_cbranch_execz .LBB124_630
; %bb.629:
	v_mov_b32_e32 v29, 0
	ds_read_b128 v[25:28], v29 offset:11952
	ds_read_b64 v[11:12], v29 offset:11440
	s_waitcnt lgkmcnt(0)
	v_mul_f64 v[11:12], v[11:12], v[27:28]
	v_mul_f64 v[11:12], v[25:26], v[11:12]
	ds_write_b64 v29, v[11:12] offset:11952
.LBB124_630:
	s_or_b64 exec, exec, s[10:11]
	v_mov_b32_e32 v11, 0
	v_mov_b32_e32 v12, 0
	s_waitcnt lgkmcnt(0)
	s_barrier
	buffer_wbinvl1_vol
	s_and_saveexec_b64 s[12:13], s[0:1]
	s_cbranch_execz .LBB124_634
; %bb.631:
	v_lshlrev_b32_e32 v25, 9, v13
	v_lshlrev_b32_e32 v11, 3, v1
	ds_read_b64 v[11:12], v11 offset:11424
	ds_read_b64 v[25:26], v25 offset:11440
	v_cmp_gt_u32_e64 s[10:11], 2, v15
	s_waitcnt lgkmcnt(0)
	v_fma_f64 v[11:12], v[11:12], v[25:26], 0
	s_and_saveexec_b64 s[16:17], s[10:11]
	s_cbranch_execz .LBB124_633
; %bb.632:
	v_lshlrev_b32_e32 v25, 3, v0
	v_mov_b32_e32 v27, 0
	ds_read_b64 v[25:26], v25 offset:11936
	ds_read_b64 v[27:28], v27 offset:11960
	s_waitcnt lgkmcnt(0)
	v_fma_f64 v[11:12], v[25:26], v[27:28], v[11:12]
.LBB124_633:
	s_or_b64 exec, exec, s[16:17]
.LBB124_634:
	s_or_b64 exec, exec, s[12:13]
	s_and_saveexec_b64 s[10:11], s[40:41]
	s_cbranch_execz .LBB124_636
; %bb.635:
	v_mov_b32_e32 v25, 0
	ds_read_b64 v[25:26], v25 offset:10920
	s_waitcnt lgkmcnt(0)
	v_mul_f64 v[11:12], v[11:12], v[25:26]
	v_xor_b32_e32 v26, 0x80000000, v12
	v_mov_b32_e32 v25, v11
	ds_write_b64 v14, v[25:26]
.LBB124_636:
	s_or_b64 exec, exec, s[10:11]
	s_waitcnt lgkmcnt(0)
	s_barrier
	s_and_saveexec_b64 s[10:11], s[38:39]
	s_cbranch_execz .LBB124_638
; %bb.637:
	v_mov_b32_e32 v25, 0
	ds_read_b64 v[25:26], v25 offset:10912
	ds_read_b64 v[27:28], v14
	s_waitcnt lgkmcnt(0)
	v_fma_f64 v[11:12], -v[25:26], v[27:28], v[11:12]
.LBB124_638:
	s_or_b64 exec, exec, s[10:11]
	s_barrier
	s_and_saveexec_b64 s[10:11], s[38:39]
	s_cbranch_execz .LBB124_640
; %bb.639:
	v_mov_b32_e32 v25, 0
	ds_read_b64 v[25:26], v25 offset:10400
	s_waitcnt lgkmcnt(0)
	v_mul_f64 v[11:12], v[11:12], v[25:26]
	v_xor_b32_e32 v26, 0x80000000, v12
	v_mov_b32_e32 v25, v11
	ds_write_b64 v14, v[25:26]
.LBB124_640:
	s_or_b64 exec, exec, s[10:11]
	s_waitcnt lgkmcnt(0)
	s_barrier
	s_barrier
	s_and_saveexec_b64 s[10:11], s[0:1]
; %bb.641:
	v_lshlrev_b32_e32 v25, 3, v1
	v_lshl_or_b32 v25, v13, 9, v25
	ds_write_b64 v25, v[11:12] offset:11424
; %bb.642:
	s_or_b64 exec, exec, s[10:11]
	s_waitcnt lgkmcnt(0)
	s_barrier
	s_barrier
	s_and_saveexec_b64 s[10:11], vcc
	s_cbranch_execz .LBB124_644
; %bb.643:
	v_mov_b32_e32 v29, 0
	ds_read_b128 v[25:28], v29 offset:10912
	ds_read_b64 v[11:12], v29 offset:10400
	s_waitcnt lgkmcnt(0)
	v_mul_f64 v[11:12], v[11:12], v[27:28]
	v_mul_f64 v[11:12], v[25:26], v[11:12]
	ds_write_b64 v29, v[11:12] offset:10912
.LBB124_644:
	s_or_b64 exec, exec, s[10:11]
	v_mov_b32_e32 v11, 0
	v_mov_b32_e32 v12, 0
	s_waitcnt lgkmcnt(0)
	s_barrier
	buffer_wbinvl1_vol
	s_and_saveexec_b64 s[12:13], s[2:3]
	s_cbranch_execz .LBB124_650
; %bb.645:
	v_lshlrev_b32_e32 v26, 3, v16
	v_lshlrev_b32_e32 v25, 9, v17
	ds_read_b64 v[11:12], v26 offset:10368
	ds_read_b64 v[27:28], v25 offset:10400
	v_cmp_gt_u32_e64 s[10:11], 12, v15
	s_waitcnt lgkmcnt(0)
	v_fma_f64 v[11:12], v[11:12], v[27:28], 0
	s_and_saveexec_b64 s[16:17], s[10:11]
	s_cbranch_execnz .LBB124_1069
; %bb.646:
	s_or_b64 exec, exec, s[16:17]
	v_cmp_gt_u32_e64 s[10:11], 8, v15
	s_and_saveexec_b64 s[16:17], s[10:11]
	s_cbranch_execnz .LBB124_1070
.LBB124_647:
	s_or_b64 exec, exec, s[16:17]
	v_cmp_gt_u32_e64 s[10:11], 4, v15
	s_and_saveexec_b64 s[16:17], s[10:11]
	s_cbranch_execz .LBB124_649
.LBB124_648:
	v_lshlrev_b32_e32 v25, 3, v0
	v_mov_b32_e32 v27, 0
	ds_read_b64 v[25:26], v25 offset:11904
	ds_read_b64 v[27:28], v27 offset:11960
	s_waitcnt lgkmcnt(0)
	v_fma_f64 v[11:12], v[25:26], v[27:28], v[11:12]
.LBB124_649:
	s_or_b64 exec, exec, s[16:17]
.LBB124_650:
	s_or_b64 exec, exec, s[12:13]
	s_and_saveexec_b64 s[10:11], s[44:45]
	s_cbranch_execz .LBB124_652
; %bb.651:
	v_mov_b32_e32 v25, 0
	ds_read_b64 v[25:26], v25 offset:9880
	s_waitcnt lgkmcnt(0)
	v_mul_f64 v[11:12], v[11:12], v[25:26]
	v_xor_b32_e32 v26, 0x80000000, v12
	v_mov_b32_e32 v25, v11
	ds_write_b64 v18, v[25:26]
.LBB124_652:
	s_or_b64 exec, exec, s[10:11]
	s_waitcnt lgkmcnt(0)
	s_barrier
	s_and_saveexec_b64 s[10:11], s[46:47]
	s_cbranch_execz .LBB124_654
; %bb.653:
	v_lshlrev_b32_e32 v25, 3, v16
	ds_read_b64 v[25:26], v25 offset:9856
	ds_read_b64 v[27:28], v18
	s_waitcnt lgkmcnt(0)
	v_fma_f64 v[11:12], -v[25:26], v[27:28], v[11:12]
.LBB124_654:
	s_or_b64 exec, exec, s[10:11]
	s_barrier
	s_and_saveexec_b64 s[10:11], s[48:49]
	s_cbranch_execz .LBB124_656
; %bb.655:
	v_mov_b32_e32 v25, 0
	ds_read_b64 v[25:26], v25 offset:9360
	s_waitcnt lgkmcnt(0)
	v_mul_f64 v[11:12], v[11:12], v[25:26]
	v_xor_b32_e32 v26, 0x80000000, v12
	v_mov_b32_e32 v25, v11
	ds_write_b64 v18, v[25:26]
.LBB124_656:
	s_or_b64 exec, exec, s[10:11]
	s_waitcnt lgkmcnt(0)
	s_barrier
	s_and_saveexec_b64 s[10:11], s[50:51]
	s_cbranch_execz .LBB124_658
; %bb.657:
	v_lshlrev_b32_e32 v25, 3, v16
	ds_read_b64 v[25:26], v25 offset:9344
	ds_read_b64 v[27:28], v18
	s_waitcnt lgkmcnt(0)
	v_fma_f64 v[11:12], -v[25:26], v[27:28], v[11:12]
.LBB124_658:
	s_or_b64 exec, exec, s[10:11]
	s_barrier
	s_and_saveexec_b64 s[10:11], s[52:53]
	s_cbranch_execz .LBB124_660
; %bb.659:
	v_mov_b32_e32 v25, 0
	ds_read_b64 v[25:26], v25 offset:8840
	s_waitcnt lgkmcnt(0)
	v_mul_f64 v[11:12], v[11:12], v[25:26]
	v_xor_b32_e32 v26, 0x80000000, v12
	v_mov_b32_e32 v25, v11
	ds_write_b64 v18, v[25:26]
.LBB124_660:
	s_or_b64 exec, exec, s[10:11]
	s_waitcnt lgkmcnt(0)
	s_barrier
	s_and_saveexec_b64 s[10:11], s[42:43]
	s_cbranch_execz .LBB124_662
; %bb.661:
	v_mov_b32_e32 v25, 0
	ds_read_b64 v[25:26], v25 offset:8832
	ds_read_b64 v[27:28], v18
	s_waitcnt lgkmcnt(0)
	v_fma_f64 v[11:12], -v[25:26], v[27:28], v[11:12]
.LBB124_662:
	s_or_b64 exec, exec, s[10:11]
	s_barrier
	s_and_saveexec_b64 s[10:11], s[42:43]
	s_cbranch_execz .LBB124_664
; %bb.663:
	v_mov_b32_e32 v25, 0
	ds_read_b64 v[25:26], v25 offset:8320
	s_waitcnt lgkmcnt(0)
	v_mul_f64 v[11:12], v[11:12], v[25:26]
	v_xor_b32_e32 v26, 0x80000000, v12
	v_mov_b32_e32 v25, v11
	ds_write_b64 v18, v[25:26]
.LBB124_664:
	s_or_b64 exec, exec, s[10:11]
	s_waitcnt lgkmcnt(0)
	s_barrier
	s_barrier
	s_and_saveexec_b64 s[10:11], s[2:3]
; %bb.665:
	v_lshlrev_b32_e32 v25, 3, v16
	v_lshl_or_b32 v25, v17, 9, v25
	ds_write_b64 v25, v[11:12] offset:10368
; %bb.666:
	s_or_b64 exec, exec, s[10:11]
	s_waitcnt lgkmcnt(0)
	s_barrier
	s_barrier
	s_and_saveexec_b64 s[10:11], vcc
	s_cbranch_execz .LBB124_668
; %bb.667:
	v_mov_b32_e32 v29, 0
	ds_read_b128 v[25:28], v29 offset:9872
	ds_read_b64 v[11:12], v29 offset:9360
	s_waitcnt lgkmcnt(0)
	v_mul_f64 v[11:12], v[11:12], v[27:28]
	v_mul_f64 v[11:12], v[25:26], v[11:12]
	ds_write_b64 v29, v[11:12] offset:9872
.LBB124_668:
	s_or_b64 exec, exec, s[10:11]
	v_mov_b32_e32 v11, 0
	v_mov_b32_e32 v12, 0
	s_waitcnt lgkmcnt(0)
	s_barrier
	buffer_wbinvl1_vol
	s_and_saveexec_b64 s[12:13], s[0:1]
	s_cbranch_execz .LBB124_672
; %bb.669:
	v_lshlrev_b32_e32 v25, 9, v13
	v_lshlrev_b32_e32 v11, 3, v1
	ds_read_b64 v[11:12], v11 offset:9344
	ds_read_b64 v[25:26], v25 offset:9360
	v_cmp_gt_u32_e64 s[10:11], 2, v15
	s_waitcnt lgkmcnt(0)
	v_fma_f64 v[11:12], v[11:12], v[25:26], 0
	s_and_saveexec_b64 s[16:17], s[10:11]
	s_cbranch_execz .LBB124_671
; %bb.670:
	v_lshlrev_b32_e32 v25, 3, v0
	v_mov_b32_e32 v27, 0
	ds_read_b64 v[25:26], v25 offset:9856
	ds_read_b64 v[27:28], v27 offset:9880
	s_waitcnt lgkmcnt(0)
	v_fma_f64 v[11:12], v[25:26], v[27:28], v[11:12]
.LBB124_671:
	s_or_b64 exec, exec, s[16:17]
.LBB124_672:
	s_or_b64 exec, exec, s[12:13]
	s_and_saveexec_b64 s[10:11], s[40:41]
	s_cbranch_execz .LBB124_674
; %bb.673:
	v_mov_b32_e32 v25, 0
	ds_read_b64 v[25:26], v25 offset:8840
	s_waitcnt lgkmcnt(0)
	v_mul_f64 v[11:12], v[11:12], v[25:26]
	v_xor_b32_e32 v26, 0x80000000, v12
	v_mov_b32_e32 v25, v11
	ds_write_b64 v14, v[25:26]
.LBB124_674:
	s_or_b64 exec, exec, s[10:11]
	s_waitcnt lgkmcnt(0)
	s_barrier
	s_and_saveexec_b64 s[10:11], s[38:39]
	s_cbranch_execz .LBB124_676
; %bb.675:
	v_mov_b32_e32 v25, 0
	ds_read_b64 v[25:26], v25 offset:8832
	ds_read_b64 v[27:28], v14
	s_waitcnt lgkmcnt(0)
	v_fma_f64 v[11:12], -v[25:26], v[27:28], v[11:12]
.LBB124_676:
	s_or_b64 exec, exec, s[10:11]
	s_barrier
	s_and_saveexec_b64 s[10:11], s[38:39]
	s_cbranch_execz .LBB124_678
; %bb.677:
	v_mov_b32_e32 v25, 0
	ds_read_b64 v[25:26], v25 offset:8320
	s_waitcnt lgkmcnt(0)
	v_mul_f64 v[11:12], v[11:12], v[25:26]
	v_xor_b32_e32 v26, 0x80000000, v12
	v_mov_b32_e32 v25, v11
	ds_write_b64 v14, v[25:26]
.LBB124_678:
	s_or_b64 exec, exec, s[10:11]
	s_waitcnt lgkmcnt(0)
	s_barrier
	s_barrier
	s_and_saveexec_b64 s[10:11], s[0:1]
; %bb.679:
	v_lshlrev_b32_e32 v25, 3, v1
	v_lshl_or_b32 v25, v13, 9, v25
	ds_write_b64 v25, v[11:12] offset:9344
; %bb.680:
	s_or_b64 exec, exec, s[10:11]
	s_waitcnt lgkmcnt(0)
	s_barrier
	s_barrier
	s_and_saveexec_b64 s[10:11], vcc
	s_cbranch_execz .LBB124_682
; %bb.681:
	v_mov_b32_e32 v29, 0
	ds_read_b128 v[25:28], v29 offset:8832
	ds_read_b64 v[11:12], v29 offset:8320
	s_waitcnt lgkmcnt(0)
	v_mul_f64 v[11:12], v[11:12], v[27:28]
	v_mul_f64 v[11:12], v[25:26], v[11:12]
	ds_write_b64 v29, v[11:12] offset:8832
.LBB124_682:
	s_or_b64 exec, exec, s[10:11]
	v_mov_b32_e32 v11, 0
	v_mov_b32_e32 v12, 0
	s_waitcnt lgkmcnt(0)
	s_barrier
	buffer_wbinvl1_vol
	s_and_saveexec_b64 s[12:13], s[8:9]
	s_cbranch_execz .LBB124_710
; %bb.683:
	v_lshlrev_b32_e32 v26, 3, v22
	v_lshlrev_b32_e32 v25, 9, v23
	ds_read_b64 v[11:12], v26 offset:8192
	ds_read_b64 v[27:28], v25 offset:8320
	s_movk_i32 s10, 0xf0
	v_cmp_gt_u32_e64 s[10:11], s10, v15
	s_waitcnt lgkmcnt(0)
	v_fma_f64 v[11:12], v[11:12], v[27:28], 0
	s_and_saveexec_b64 s[16:17], s[10:11]
	s_cbranch_execz .LBB124_685
; %bb.684:
	ds_read_b64 v[27:28], v26 offset:8704
	ds_read_b64 v[29:30], v25 offset:8328
	s_waitcnt lgkmcnt(0)
	v_fma_f64 v[11:12], v[27:28], v[29:30], v[11:12]
.LBB124_685:
	s_or_b64 exec, exec, s[16:17]
	s_movk_i32 s10, 0xe0
	v_cmp_gt_u32_e64 s[10:11], s10, v15
	s_and_saveexec_b64 s[16:17], s[10:11]
	s_cbranch_execz .LBB124_687
; %bb.686:
	ds_read_b64 v[27:28], v26 offset:9216
	ds_read_b64 v[29:30], v25 offset:8336
	s_waitcnt lgkmcnt(0)
	v_fma_f64 v[11:12], v[27:28], v[29:30], v[11:12]
.LBB124_687:
	s_or_b64 exec, exec, s[16:17]
	s_movk_i32 s10, 0xd0
	v_cmp_gt_u32_e64 s[10:11], s10, v15
	s_and_saveexec_b64 s[16:17], s[10:11]
	s_cbranch_execz .LBB124_689
; %bb.688:
	ds_read_b64 v[27:28], v26 offset:9728
	ds_read_b64 v[29:30], v25 offset:8344
	s_waitcnt lgkmcnt(0)
	v_fma_f64 v[11:12], v[27:28], v[29:30], v[11:12]
.LBB124_689:
	s_or_b64 exec, exec, s[16:17]
	s_movk_i32 s10, 0xc0
	v_cmp_gt_u32_e64 s[10:11], s10, v15
	s_and_saveexec_b64 s[16:17], s[10:11]
	s_cbranch_execz .LBB124_691
; %bb.690:
	ds_read_b64 v[27:28], v26 offset:10240
	ds_read_b64 v[29:30], v25 offset:8352
	s_waitcnt lgkmcnt(0)
	v_fma_f64 v[11:12], v[27:28], v[29:30], v[11:12]
.LBB124_691:
	s_or_b64 exec, exec, s[16:17]
	s_movk_i32 s10, 0xb0
	v_cmp_gt_u32_e64 s[10:11], s10, v15
	s_and_saveexec_b64 s[16:17], s[10:11]
	s_cbranch_execz .LBB124_693
; %bb.692:
	ds_read_b64 v[27:28], v26 offset:10752
	ds_read_b64 v[29:30], v25 offset:8360
	s_waitcnt lgkmcnt(0)
	v_fma_f64 v[11:12], v[27:28], v[29:30], v[11:12]
.LBB124_693:
	s_or_b64 exec, exec, s[16:17]
	s_movk_i32 s10, 0xa0
	v_cmp_gt_u32_e64 s[10:11], s10, v15
	s_and_saveexec_b64 s[16:17], s[10:11]
	s_cbranch_execz .LBB124_695
; %bb.694:
	ds_read_b64 v[27:28], v26 offset:11264
	ds_read_b64 v[29:30], v25 offset:8368
	s_waitcnt lgkmcnt(0)
	v_fma_f64 v[11:12], v[27:28], v[29:30], v[11:12]
.LBB124_695:
	s_or_b64 exec, exec, s[16:17]
	s_movk_i32 s10, 0x90
	v_cmp_gt_u32_e64 s[10:11], s10, v15
	s_and_saveexec_b64 s[16:17], s[10:11]
	s_cbranch_execz .LBB124_697
; %bb.696:
	ds_read_b64 v[27:28], v26 offset:11776
	ds_read_b64 v[29:30], v25 offset:8376
	s_waitcnt lgkmcnt(0)
	v_fma_f64 v[11:12], v[27:28], v[29:30], v[11:12]
.LBB124_697:
	s_or_b64 exec, exec, s[16:17]
	s_movk_i32 s10, 0x80
	v_cmp_gt_u32_e64 s[10:11], s10, v15
	s_and_saveexec_b64 s[16:17], s[10:11]
	s_cbranch_execz .LBB124_699
; %bb.698:
	ds_read_b64 v[27:28], v26 offset:12288
	ds_read_b64 v[29:30], v25 offset:8384
	s_waitcnt lgkmcnt(0)
	v_fma_f64 v[11:12], v[27:28], v[29:30], v[11:12]
.LBB124_699:
	s_or_b64 exec, exec, s[16:17]
	s_movk_i32 s10, 0x70
	v_cmp_gt_u32_e64 s[10:11], s10, v15
	s_and_saveexec_b64 s[16:17], s[10:11]
	s_cbranch_execz .LBB124_701
; %bb.700:
	ds_read_b64 v[27:28], v26 offset:12800
	ds_read_b64 v[29:30], v25 offset:8392
	s_waitcnt lgkmcnt(0)
	v_fma_f64 v[11:12], v[27:28], v[29:30], v[11:12]
.LBB124_701:
	s_or_b64 exec, exec, s[16:17]
	s_movk_i32 s10, 0x60
	v_cmp_gt_u32_e64 s[10:11], s10, v15
	s_and_saveexec_b64 s[16:17], s[10:11]
	s_cbranch_execz .LBB124_703
; %bb.702:
	ds_read_b64 v[27:28], v26 offset:13312
	ds_read_b64 v[29:30], v25 offset:8400
	s_waitcnt lgkmcnt(0)
	v_fma_f64 v[11:12], v[27:28], v[29:30], v[11:12]
.LBB124_703:
	s_or_b64 exec, exec, s[16:17]
	s_movk_i32 s10, 0x50
	v_cmp_gt_u32_e64 s[10:11], s10, v15
	s_and_saveexec_b64 s[16:17], s[10:11]
	s_cbranch_execnz .LBB124_1071
; %bb.704:
	s_or_b64 exec, exec, s[16:17]
	s_and_saveexec_b64 s[10:11], s[14:15]
	s_cbranch_execnz .LBB124_1072
.LBB124_705:
	s_or_b64 exec, exec, s[10:11]
	v_cmp_gt_u32_e64 s[10:11], 48, v15
	s_and_saveexec_b64 s[16:17], s[10:11]
	s_cbranch_execnz .LBB124_1073
.LBB124_706:
	s_or_b64 exec, exec, s[16:17]
	v_cmp_gt_u32_e64 s[10:11], 32, v15
	s_and_saveexec_b64 s[16:17], s[10:11]
	s_cbranch_execnz .LBB124_1074
.LBB124_707:
	s_or_b64 exec, exec, s[16:17]
	v_cmp_gt_u32_e64 s[10:11], 16, v15
	s_and_saveexec_b64 s[16:17], s[10:11]
	s_cbranch_execz .LBB124_709
.LBB124_708:
	v_lshlrev_b32_e32 v25, 3, v0
	v_mov_b32_e32 v27, 0
	ds_read_b64 v[25:26], v25 offset:15872
	ds_read_b64 v[27:28], v27 offset:16120
	s_waitcnt lgkmcnt(0)
	v_fma_f64 v[11:12], v[25:26], v[27:28], v[11:12]
.LBB124_709:
	s_or_b64 exec, exec, s[16:17]
.LBB124_710:
	s_or_b64 exec, exec, s[12:13]
	s_mov_b64 s[10:11], exec
	v_readlane_b32 s12, v36, 5
	v_readlane_b32 s13, v36, 6
	s_and_b64 s[12:13], s[10:11], s[12:13]
	s_mov_b64 exec, s[12:13]
	s_cbranch_execz .LBB124_712
; %bb.711:
	v_mov_b32_e32 v25, 0
	ds_read_b64 v[25:26], v25 offset:7800
	s_waitcnt lgkmcnt(0)
	v_mul_f64 v[11:12], v[11:12], v[25:26]
	v_xor_b32_e32 v26, 0x80000000, v12
	v_mov_b32_e32 v25, v11
	ds_write_b64 v24, v[25:26]
.LBB124_712:
	s_or_b64 exec, exec, s[10:11]
	s_waitcnt lgkmcnt(0)
	s_barrier
	s_mov_b64 s[10:11], exec
	v_readlane_b32 s12, v36, 7
	v_readlane_b32 s13, v36, 8
	s_and_b64 s[12:13], s[10:11], s[12:13]
	s_mov_b64 exec, s[12:13]
	s_cbranch_execz .LBB124_714
; %bb.713:
	v_lshlrev_b32_e32 v25, 3, v22
	ds_read_b64 v[25:26], v25 offset:7680
	ds_read_b64 v[27:28], v24
	s_waitcnt lgkmcnt(0)
	v_fma_f64 v[11:12], -v[25:26], v[27:28], v[11:12]
.LBB124_714:
	s_or_b64 exec, exec, s[10:11]
	s_barrier
	s_mov_b64 s[10:11], exec
	v_readlane_b32 s12, v36, 9
	v_readlane_b32 s13, v36, 10
	s_and_b64 s[12:13], s[10:11], s[12:13]
	s_mov_b64 exec, s[12:13]
	s_cbranch_execz .LBB124_716
; %bb.715:
	v_mov_b32_e32 v25, 0
	ds_read_b64 v[25:26], v25 offset:7280
	s_waitcnt lgkmcnt(0)
	v_mul_f64 v[11:12], v[11:12], v[25:26]
	v_xor_b32_e32 v26, 0x80000000, v12
	v_mov_b32_e32 v25, v11
	ds_write_b64 v24, v[25:26]
.LBB124_716:
	s_or_b64 exec, exec, s[10:11]
	s_waitcnt lgkmcnt(0)
	s_barrier
	s_mov_b64 s[10:11], exec
	v_readlane_b32 s12, v36, 11
	v_readlane_b32 s13, v36, 12
	s_and_b64 s[12:13], s[10:11], s[12:13]
	s_mov_b64 exec, s[12:13]
	s_cbranch_execz .LBB124_718
; %bb.717:
	v_lshlrev_b32_e32 v25, 3, v22
	ds_read_b64 v[25:26], v25 offset:7168
	ds_read_b64 v[27:28], v24
	s_waitcnt lgkmcnt(0)
	v_fma_f64 v[11:12], -v[25:26], v[27:28], v[11:12]
.LBB124_718:
	s_or_b64 exec, exec, s[10:11]
	s_barrier
	;; [unrolled: 33-line block ×12, first 2 shown]
	s_mov_b64 s[10:11], exec
	v_readlane_b32 s12, v36, 53
	v_readlane_b32 s13, v36, 54
	s_and_b64 s[12:13], s[10:11], s[12:13]
	s_mov_b64 exec, s[12:13]
	s_cbranch_execz .LBB124_760
; %bb.759:
	v_mov_b32_e32 v25, 0
	ds_read_b64 v[25:26], v25 offset:1560
	s_waitcnt lgkmcnt(0)
	v_mul_f64 v[11:12], v[11:12], v[25:26]
	v_xor_b32_e32 v26, 0x80000000, v12
	v_mov_b32_e32 v25, v11
	ds_write_b64 v24, v[25:26]
.LBB124_760:
	s_or_b64 exec, exec, s[10:11]
	s_waitcnt lgkmcnt(0)
	s_barrier
	s_and_saveexec_b64 s[10:11], s[30:31]
	s_cbranch_execz .LBB124_762
; %bb.761:
	v_lshlrev_b32_e32 v25, 3, v22
	ds_read_b64 v[25:26], v25 offset:1536
	ds_read_b64 v[27:28], v24
	s_waitcnt lgkmcnt(0)
	v_fma_f64 v[11:12], -v[25:26], v[27:28], v[11:12]
.LBB124_762:
	s_or_b64 exec, exec, s[10:11]
	s_barrier
	s_and_saveexec_b64 s[10:11], s[82:83]
	s_cbranch_execz .LBB124_764
; %bb.763:
	v_mov_b32_e32 v25, 0
	ds_read_b64 v[25:26], v25 offset:1040
	s_waitcnt lgkmcnt(0)
	v_mul_f64 v[11:12], v[11:12], v[25:26]
	v_xor_b32_e32 v26, 0x80000000, v12
	v_mov_b32_e32 v25, v11
	ds_write_b64 v24, v[25:26]
.LBB124_764:
	s_or_b64 exec, exec, s[10:11]
	s_waitcnt lgkmcnt(0)
	s_barrier
	s_and_saveexec_b64 s[10:11], s[84:85]
	s_cbranch_execz .LBB124_766
; %bb.765:
	v_lshlrev_b32_e32 v25, 3, v22
	ds_read_b64 v[25:26], v25 offset:1024
	ds_read_b64 v[27:28], v24
	s_waitcnt lgkmcnt(0)
	v_fma_f64 v[11:12], -v[25:26], v[27:28], v[11:12]
.LBB124_766:
	s_or_b64 exec, exec, s[10:11]
	s_barrier
	s_and_saveexec_b64 s[10:11], s[86:87]
	s_cbranch_execz .LBB124_768
; %bb.767:
	v_mov_b32_e32 v25, 0
	ds_read_b64 v[25:26], v25 offset:520
	s_waitcnt lgkmcnt(0)
	v_mul_f64 v[11:12], v[11:12], v[25:26]
	v_xor_b32_e32 v26, 0x80000000, v12
	v_mov_b32_e32 v25, v11
	ds_write_b64 v24, v[25:26]
.LBB124_768:
	s_or_b64 exec, exec, s[10:11]
	s_waitcnt lgkmcnt(0)
	s_barrier
	s_and_saveexec_b64 s[10:11], s[88:89]
	s_cbranch_execz .LBB124_770
; %bb.769:
	v_mov_b32_e32 v25, 0
	ds_read_b64 v[25:26], v25 offset:512
	ds_read_b64 v[27:28], v24
	s_waitcnt lgkmcnt(0)
	v_fma_f64 v[11:12], -v[25:26], v[27:28], v[11:12]
.LBB124_770:
	s_or_b64 exec, exec, s[10:11]
	s_barrier
	s_and_saveexec_b64 s[10:11], s[88:89]
	s_cbranch_execz .LBB124_772
; %bb.771:
	v_mov_b32_e32 v25, 0
	ds_read_b64 v[25:26], v25
	s_waitcnt lgkmcnt(0)
	v_mul_f64 v[11:12], v[11:12], v[25:26]
	v_xor_b32_e32 v26, 0x80000000, v12
	v_mov_b32_e32 v25, v11
	ds_write_b64 v24, v[25:26]
.LBB124_772:
	s_or_b64 exec, exec, s[10:11]
	s_waitcnt lgkmcnt(0)
	s_barrier
	s_barrier
	s_and_saveexec_b64 s[10:11], s[8:9]
; %bb.773:
	v_lshlrev_b32_e32 v22, 3, v22
	v_lshl_or_b32 v22, v23, 9, v22
	ds_write_b64 v22, v[11:12] offset:8192
; %bb.774:
	s_or_b64 exec, exec, s[10:11]
	s_waitcnt lgkmcnt(0)
	s_barrier
	s_barrier
	s_and_saveexec_b64 s[8:9], vcc
	s_cbranch_execz .LBB124_776
; %bb.775:
	v_mov_b32_e32 v26, 0
	ds_read_b128 v[22:25], v26 offset:7792
	ds_read_b64 v[11:12], v26 offset:7280
	s_waitcnt lgkmcnt(0)
	v_mul_f64 v[11:12], v[11:12], v[24:25]
	v_mul_f64 v[11:12], v[22:23], v[11:12]
	ds_write_b64 v26, v[11:12] offset:7792
.LBB124_776:
	s_or_b64 exec, exec, s[8:9]
	v_mov_b32_e32 v11, 0
	v_mov_b32_e32 v12, 0
	s_waitcnt lgkmcnt(0)
	s_barrier
	buffer_wbinvl1_vol
	s_and_saveexec_b64 s[10:11], s[0:1]
	s_cbranch_execz .LBB124_780
; %bb.777:
	v_lshlrev_b32_e32 v22, 9, v13
	v_lshlrev_b32_e32 v11, 3, v1
	ds_read_b64 v[11:12], v11 offset:7264
	ds_read_b64 v[22:23], v22 offset:7280
	v_cmp_gt_u32_e64 s[8:9], 2, v15
	s_waitcnt lgkmcnt(0)
	v_fma_f64 v[11:12], v[11:12], v[22:23], 0
	s_and_saveexec_b64 s[12:13], s[8:9]
	s_cbranch_execz .LBB124_779
; %bb.778:
	v_lshlrev_b32_e32 v22, 3, v0
	v_mov_b32_e32 v24, 0
	ds_read_b64 v[22:23], v22 offset:7776
	ds_read_b64 v[24:25], v24 offset:7800
	s_waitcnt lgkmcnt(0)
	v_fma_f64 v[11:12], v[22:23], v[24:25], v[11:12]
.LBB124_779:
	s_or_b64 exec, exec, s[12:13]
.LBB124_780:
	s_or_b64 exec, exec, s[10:11]
	s_and_saveexec_b64 s[8:9], s[40:41]
	s_cbranch_execz .LBB124_782
; %bb.781:
	v_mov_b32_e32 v22, 0
	ds_read_b64 v[22:23], v22 offset:6760
	s_waitcnt lgkmcnt(0)
	v_mul_f64 v[11:12], v[11:12], v[22:23]
	v_xor_b32_e32 v23, 0x80000000, v12
	v_mov_b32_e32 v22, v11
	ds_write_b64 v14, v[22:23]
.LBB124_782:
	s_or_b64 exec, exec, s[8:9]
	s_waitcnt lgkmcnt(0)
	s_barrier
	s_and_saveexec_b64 s[8:9], s[38:39]
	s_cbranch_execz .LBB124_784
; %bb.783:
	v_mov_b32_e32 v22, 0
	ds_read_b64 v[22:23], v22 offset:6752
	ds_read_b64 v[24:25], v14
	s_waitcnt lgkmcnt(0)
	v_fma_f64 v[11:12], -v[22:23], v[24:25], v[11:12]
.LBB124_784:
	s_or_b64 exec, exec, s[8:9]
	s_barrier
	s_and_saveexec_b64 s[8:9], s[38:39]
	s_cbranch_execz .LBB124_786
; %bb.785:
	v_mov_b32_e32 v22, 0
	ds_read_b64 v[22:23], v22 offset:6240
	s_waitcnt lgkmcnt(0)
	v_mul_f64 v[11:12], v[11:12], v[22:23]
	v_xor_b32_e32 v23, 0x80000000, v12
	v_mov_b32_e32 v22, v11
	ds_write_b64 v14, v[22:23]
.LBB124_786:
	s_or_b64 exec, exec, s[8:9]
	s_waitcnt lgkmcnt(0)
	s_barrier
	s_barrier
	s_and_saveexec_b64 s[8:9], s[0:1]
; %bb.787:
	v_lshlrev_b32_e32 v22, 3, v1
	v_lshl_or_b32 v22, v13, 9, v22
	ds_write_b64 v22, v[11:12] offset:7264
; %bb.788:
	s_or_b64 exec, exec, s[8:9]
	s_waitcnt lgkmcnt(0)
	s_barrier
	s_barrier
	s_and_saveexec_b64 s[8:9], vcc
	s_cbranch_execz .LBB124_790
; %bb.789:
	v_mov_b32_e32 v26, 0
	ds_read_b128 v[22:25], v26 offset:6752
	ds_read_b64 v[11:12], v26 offset:6240
	s_waitcnt lgkmcnt(0)
	v_mul_f64 v[11:12], v[11:12], v[24:25]
	v_mul_f64 v[11:12], v[22:23], v[11:12]
	ds_write_b64 v26, v[11:12] offset:6752
.LBB124_790:
	s_or_b64 exec, exec, s[8:9]
	v_mov_b32_e32 v11, 0
	v_mov_b32_e32 v12, 0
	s_waitcnt lgkmcnt(0)
	s_barrier
	buffer_wbinvl1_vol
	s_and_saveexec_b64 s[10:11], s[2:3]
	s_cbranch_execz .LBB124_796
; %bb.791:
	v_lshlrev_b32_e32 v23, 3, v16
	v_lshlrev_b32_e32 v22, 9, v17
	ds_read_b64 v[11:12], v23 offset:6208
	ds_read_b64 v[24:25], v22 offset:6240
	v_cmp_gt_u32_e64 s[8:9], 12, v15
	s_waitcnt lgkmcnt(0)
	v_fma_f64 v[11:12], v[11:12], v[24:25], 0
	s_and_saveexec_b64 s[12:13], s[8:9]
	s_cbranch_execnz .LBB124_1075
; %bb.792:
	s_or_b64 exec, exec, s[12:13]
	v_cmp_gt_u32_e64 s[8:9], 8, v15
	s_and_saveexec_b64 s[12:13], s[8:9]
	s_cbranch_execnz .LBB124_1076
.LBB124_793:
	s_or_b64 exec, exec, s[12:13]
	v_cmp_gt_u32_e64 s[8:9], 4, v15
	s_and_saveexec_b64 s[12:13], s[8:9]
	s_cbranch_execz .LBB124_795
.LBB124_794:
	v_lshlrev_b32_e32 v22, 3, v0
	v_mov_b32_e32 v24, 0
	ds_read_b64 v[22:23], v22 offset:7744
	ds_read_b64 v[24:25], v24 offset:7800
	s_waitcnt lgkmcnt(0)
	v_fma_f64 v[11:12], v[22:23], v[24:25], v[11:12]
.LBB124_795:
	s_or_b64 exec, exec, s[12:13]
.LBB124_796:
	s_or_b64 exec, exec, s[10:11]
	s_and_saveexec_b64 s[8:9], s[44:45]
	s_cbranch_execz .LBB124_798
; %bb.797:
	v_mov_b32_e32 v22, 0
	ds_read_b64 v[22:23], v22 offset:5720
	s_waitcnt lgkmcnt(0)
	v_mul_f64 v[11:12], v[11:12], v[22:23]
	v_xor_b32_e32 v23, 0x80000000, v12
	v_mov_b32_e32 v22, v11
	ds_write_b64 v18, v[22:23]
.LBB124_798:
	s_or_b64 exec, exec, s[8:9]
	s_waitcnt lgkmcnt(0)
	s_barrier
	s_and_saveexec_b64 s[8:9], s[46:47]
	s_cbranch_execz .LBB124_800
; %bb.799:
	v_lshlrev_b32_e32 v22, 3, v16
	ds_read_b64 v[22:23], v22 offset:5696
	ds_read_b64 v[24:25], v18
	s_waitcnt lgkmcnt(0)
	v_fma_f64 v[11:12], -v[22:23], v[24:25], v[11:12]
.LBB124_800:
	s_or_b64 exec, exec, s[8:9]
	s_barrier
	s_and_saveexec_b64 s[8:9], s[48:49]
	s_cbranch_execz .LBB124_802
; %bb.801:
	v_mov_b32_e32 v22, 0
	ds_read_b64 v[22:23], v22 offset:5200
	s_waitcnt lgkmcnt(0)
	v_mul_f64 v[11:12], v[11:12], v[22:23]
	v_xor_b32_e32 v23, 0x80000000, v12
	v_mov_b32_e32 v22, v11
	ds_write_b64 v18, v[22:23]
.LBB124_802:
	s_or_b64 exec, exec, s[8:9]
	s_waitcnt lgkmcnt(0)
	s_barrier
	s_and_saveexec_b64 s[8:9], s[50:51]
	s_cbranch_execz .LBB124_804
; %bb.803:
	v_lshlrev_b32_e32 v22, 3, v16
	ds_read_b64 v[22:23], v22 offset:5184
	ds_read_b64 v[24:25], v18
	s_waitcnt lgkmcnt(0)
	v_fma_f64 v[11:12], -v[22:23], v[24:25], v[11:12]
.LBB124_804:
	s_or_b64 exec, exec, s[8:9]
	s_barrier
	s_and_saveexec_b64 s[8:9], s[52:53]
	s_cbranch_execz .LBB124_806
; %bb.805:
	v_mov_b32_e32 v22, 0
	ds_read_b64 v[22:23], v22 offset:4680
	s_waitcnt lgkmcnt(0)
	v_mul_f64 v[11:12], v[11:12], v[22:23]
	v_xor_b32_e32 v23, 0x80000000, v12
	v_mov_b32_e32 v22, v11
	ds_write_b64 v18, v[22:23]
.LBB124_806:
	s_or_b64 exec, exec, s[8:9]
	s_waitcnt lgkmcnt(0)
	s_barrier
	s_and_saveexec_b64 s[8:9], s[42:43]
	s_cbranch_execz .LBB124_808
; %bb.807:
	v_mov_b32_e32 v22, 0
	ds_read_b64 v[22:23], v22 offset:4672
	ds_read_b64 v[24:25], v18
	s_waitcnt lgkmcnt(0)
	v_fma_f64 v[11:12], -v[22:23], v[24:25], v[11:12]
.LBB124_808:
	s_or_b64 exec, exec, s[8:9]
	s_barrier
	s_and_saveexec_b64 s[8:9], s[42:43]
	s_cbranch_execz .LBB124_810
; %bb.809:
	v_mov_b32_e32 v22, 0
	ds_read_b64 v[22:23], v22 offset:4160
	s_waitcnt lgkmcnt(0)
	v_mul_f64 v[11:12], v[11:12], v[22:23]
	v_xor_b32_e32 v23, 0x80000000, v12
	v_mov_b32_e32 v22, v11
	ds_write_b64 v18, v[22:23]
.LBB124_810:
	s_or_b64 exec, exec, s[8:9]
	s_waitcnt lgkmcnt(0)
	s_barrier
	s_barrier
	s_and_saveexec_b64 s[8:9], s[2:3]
; %bb.811:
	v_lshlrev_b32_e32 v22, 3, v16
	v_lshl_or_b32 v22, v17, 9, v22
	ds_write_b64 v22, v[11:12] offset:6208
; %bb.812:
	s_or_b64 exec, exec, s[8:9]
	s_waitcnt lgkmcnt(0)
	s_barrier
	s_barrier
	s_and_saveexec_b64 s[8:9], vcc
	s_cbranch_execz .LBB124_814
; %bb.813:
	v_mov_b32_e32 v26, 0
	ds_read_b128 v[22:25], v26 offset:5712
	ds_read_b64 v[11:12], v26 offset:5200
	s_waitcnt lgkmcnt(0)
	v_mul_f64 v[11:12], v[11:12], v[24:25]
	v_mul_f64 v[11:12], v[22:23], v[11:12]
	ds_write_b64 v26, v[11:12] offset:5712
.LBB124_814:
	s_or_b64 exec, exec, s[8:9]
	v_mov_b32_e32 v11, 0
	v_mov_b32_e32 v12, 0
	s_waitcnt lgkmcnt(0)
	s_barrier
	buffer_wbinvl1_vol
	s_and_saveexec_b64 s[10:11], s[0:1]
	s_cbranch_execz .LBB124_818
; %bb.815:
	v_lshlrev_b32_e32 v22, 9, v13
	v_lshlrev_b32_e32 v11, 3, v1
	ds_read_b64 v[11:12], v11 offset:5184
	ds_read_b64 v[22:23], v22 offset:5200
	v_cmp_gt_u32_e64 s[8:9], 2, v15
	s_waitcnt lgkmcnt(0)
	v_fma_f64 v[11:12], v[11:12], v[22:23], 0
	s_and_saveexec_b64 s[12:13], s[8:9]
	s_cbranch_execz .LBB124_817
; %bb.816:
	v_lshlrev_b32_e32 v22, 3, v0
	v_mov_b32_e32 v24, 0
	ds_read_b64 v[22:23], v22 offset:5696
	ds_read_b64 v[24:25], v24 offset:5720
	s_waitcnt lgkmcnt(0)
	v_fma_f64 v[11:12], v[22:23], v[24:25], v[11:12]
.LBB124_817:
	s_or_b64 exec, exec, s[12:13]
.LBB124_818:
	s_or_b64 exec, exec, s[10:11]
	s_and_saveexec_b64 s[8:9], s[40:41]
	s_cbranch_execz .LBB124_820
; %bb.819:
	v_mov_b32_e32 v22, 0
	ds_read_b64 v[22:23], v22 offset:4680
	s_waitcnt lgkmcnt(0)
	v_mul_f64 v[11:12], v[11:12], v[22:23]
	v_xor_b32_e32 v23, 0x80000000, v12
	v_mov_b32_e32 v22, v11
	ds_write_b64 v14, v[22:23]
.LBB124_820:
	s_or_b64 exec, exec, s[8:9]
	s_waitcnt lgkmcnt(0)
	s_barrier
	s_and_saveexec_b64 s[8:9], s[38:39]
	s_cbranch_execz .LBB124_822
; %bb.821:
	v_mov_b32_e32 v22, 0
	ds_read_b64 v[22:23], v22 offset:4672
	ds_read_b64 v[24:25], v14
	s_waitcnt lgkmcnt(0)
	v_fma_f64 v[11:12], -v[22:23], v[24:25], v[11:12]
.LBB124_822:
	s_or_b64 exec, exec, s[8:9]
	s_barrier
	s_and_saveexec_b64 s[8:9], s[38:39]
	s_cbranch_execz .LBB124_824
; %bb.823:
	v_mov_b32_e32 v22, 0
	ds_read_b64 v[22:23], v22 offset:4160
	s_waitcnt lgkmcnt(0)
	v_mul_f64 v[11:12], v[11:12], v[22:23]
	v_xor_b32_e32 v23, 0x80000000, v12
	v_mov_b32_e32 v22, v11
	ds_write_b64 v14, v[22:23]
.LBB124_824:
	s_or_b64 exec, exec, s[8:9]
	s_waitcnt lgkmcnt(0)
	s_barrier
	s_barrier
	s_and_saveexec_b64 s[8:9], s[0:1]
; %bb.825:
	v_lshlrev_b32_e32 v22, 3, v1
	v_lshl_or_b32 v22, v13, 9, v22
	ds_write_b64 v22, v[11:12] offset:5184
; %bb.826:
	s_or_b64 exec, exec, s[8:9]
	s_waitcnt lgkmcnt(0)
	s_barrier
	s_barrier
	s_and_saveexec_b64 s[8:9], vcc
	s_cbranch_execz .LBB124_828
; %bb.827:
	v_mov_b32_e32 v26, 0
	ds_read_b128 v[22:25], v26 offset:4672
	ds_read_b64 v[11:12], v26 offset:4160
	s_waitcnt lgkmcnt(0)
	v_mul_f64 v[11:12], v[11:12], v[24:25]
	v_mul_f64 v[11:12], v[22:23], v[11:12]
	ds_write_b64 v26, v[11:12] offset:4672
.LBB124_828:
	s_or_b64 exec, exec, s[8:9]
	v_mov_b32_e32 v11, 0
	v_mov_b32_e32 v12, 0
	s_waitcnt lgkmcnt(0)
	s_barrier
	buffer_wbinvl1_vol
	s_and_saveexec_b64 s[10:11], s[14:15]
	s_cbranch_execz .LBB124_838
; %bb.829:
	v_lshlrev_b32_e32 v23, 3, v19
	v_lshlrev_b32_e32 v22, 9, v20
	ds_read_b64 v[11:12], v23 offset:4096
	ds_read_b64 v[24:25], v22 offset:4160
	v_cmp_gt_u32_e64 s[8:9], 56, v15
	s_waitcnt lgkmcnt(0)
	v_fma_f64 v[11:12], v[11:12], v[24:25], 0
	s_and_saveexec_b64 s[12:13], s[8:9]
	s_cbranch_execnz .LBB124_1077
; %bb.830:
	s_or_b64 exec, exec, s[12:13]
	v_cmp_gt_u32_e64 s[8:9], 48, v15
	s_and_saveexec_b64 s[12:13], s[8:9]
	s_cbranch_execnz .LBB124_1078
.LBB124_831:
	s_or_b64 exec, exec, s[12:13]
	v_cmp_gt_u32_e64 s[8:9], 40, v15
	s_and_saveexec_b64 s[12:13], s[8:9]
	s_cbranch_execnz .LBB124_1079
.LBB124_832:
	s_or_b64 exec, exec, s[12:13]
	v_cmp_gt_u32_e64 s[8:9], 32, v15
	s_and_saveexec_b64 s[12:13], s[8:9]
	s_cbranch_execnz .LBB124_1080
.LBB124_833:
	s_or_b64 exec, exec, s[12:13]
	v_cmp_gt_u32_e64 s[8:9], 24, v15
	s_and_saveexec_b64 s[12:13], s[8:9]
	s_cbranch_execnz .LBB124_1081
.LBB124_834:
	s_or_b64 exec, exec, s[12:13]
	s_and_saveexec_b64 s[8:9], s[2:3]
	s_cbranch_execnz .LBB124_1082
.LBB124_835:
	s_or_b64 exec, exec, s[8:9]
	v_cmp_gt_u32_e64 s[8:9], 8, v15
	s_and_saveexec_b64 s[12:13], s[8:9]
	s_cbranch_execz .LBB124_837
.LBB124_836:
	v_lshlrev_b32_e32 v22, 3, v0
	v_mov_b32_e32 v24, 0
	ds_read_b64 v[22:23], v22 offset:7680
	ds_read_b64 v[24:25], v24 offset:7800
	s_waitcnt lgkmcnt(0)
	v_fma_f64 v[11:12], v[22:23], v[24:25], v[11:12]
.LBB124_837:
	s_or_b64 exec, exec, s[12:13]
.LBB124_838:
	s_or_b64 exec, exec, s[10:11]
	s_and_saveexec_b64 s[8:9], s[54:55]
	s_cbranch_execz .LBB124_840
; %bb.839:
	v_mov_b32_e32 v22, 0
	ds_read_b64 v[22:23], v22 offset:3640
	s_waitcnt lgkmcnt(0)
	v_mul_f64 v[11:12], v[11:12], v[22:23]
	v_xor_b32_e32 v23, 0x80000000, v12
	v_mov_b32_e32 v22, v11
	ds_write_b64 v21, v[22:23]
.LBB124_840:
	s_or_b64 exec, exec, s[8:9]
	s_waitcnt lgkmcnt(0)
	s_barrier
	s_and_saveexec_b64 s[8:9], s[56:57]
	v_readlane_b32 s54, v36, 4
	s_cbranch_execz .LBB124_842
; %bb.841:
	v_lshlrev_b32_e32 v22, 3, v19
	ds_read_b64 v[22:23], v22 offset:3584
	ds_read_b64 v[24:25], v21
	s_waitcnt lgkmcnt(0)
	v_fma_f64 v[11:12], -v[22:23], v[24:25], v[11:12]
.LBB124_842:
	s_or_b64 exec, exec, s[8:9]
	s_barrier
	s_and_saveexec_b64 s[8:9], s[58:59]
	s_cbranch_execz .LBB124_844
; %bb.843:
	v_mov_b32_e32 v22, 0
	ds_read_b64 v[22:23], v22 offset:3120
	s_waitcnt lgkmcnt(0)
	v_mul_f64 v[11:12], v[11:12], v[22:23]
	v_xor_b32_e32 v23, 0x80000000, v12
	v_mov_b32_e32 v22, v11
	ds_write_b64 v21, v[22:23]
.LBB124_844:
	s_or_b64 exec, exec, s[8:9]
	s_waitcnt lgkmcnt(0)
	s_barrier
	s_and_saveexec_b64 s[8:9], s[60:61]
	s_cbranch_execz .LBB124_846
; %bb.845:
	v_lshlrev_b32_e32 v22, 3, v19
	ds_read_b64 v[22:23], v22 offset:3072
	ds_read_b64 v[24:25], v21
	s_waitcnt lgkmcnt(0)
	v_fma_f64 v[11:12], -v[22:23], v[24:25], v[11:12]
.LBB124_846:
	s_or_b64 exec, exec, s[8:9]
	s_barrier
	s_and_saveexec_b64 s[8:9], s[62:63]
	s_cbranch_execz .LBB124_848
; %bb.847:
	v_mov_b32_e32 v22, 0
	ds_read_b64 v[22:23], v22 offset:2600
	s_waitcnt lgkmcnt(0)
	v_mul_f64 v[11:12], v[11:12], v[22:23]
	v_xor_b32_e32 v23, 0x80000000, v12
	v_mov_b32_e32 v22, v11
	ds_write_b64 v21, v[22:23]
.LBB124_848:
	s_or_b64 exec, exec, s[8:9]
	s_waitcnt lgkmcnt(0)
	s_barrier
	s_and_saveexec_b64 s[8:9], s[66:67]
	s_cbranch_execz .LBB124_850
; %bb.849:
	v_lshlrev_b32_e32 v22, 3, v19
	ds_read_b64 v[22:23], v22 offset:2560
	ds_read_b64 v[24:25], v21
	s_waitcnt lgkmcnt(0)
	v_fma_f64 v[11:12], -v[22:23], v[24:25], v[11:12]
.LBB124_850:
	s_or_b64 exec, exec, s[8:9]
	s_barrier
	s_and_saveexec_b64 s[8:9], s[68:69]
	s_cbranch_execz .LBB124_852
; %bb.851:
	v_mov_b32_e32 v22, 0
	ds_read_b64 v[22:23], v22 offset:2080
	s_waitcnt lgkmcnt(0)
	v_mul_f64 v[11:12], v[11:12], v[22:23]
	v_xor_b32_e32 v23, 0x80000000, v12
	v_mov_b32_e32 v22, v11
	ds_write_b64 v21, v[22:23]
.LBB124_852:
	s_or_b64 exec, exec, s[8:9]
	s_waitcnt lgkmcnt(0)
	s_barrier
	s_and_saveexec_b64 s[8:9], s[70:71]
	s_cbranch_execz .LBB124_854
; %bb.853:
	v_lshlrev_b32_e32 v22, 3, v19
	ds_read_b64 v[22:23], v22 offset:2048
	ds_read_b64 v[24:25], v21
	s_waitcnt lgkmcnt(0)
	v_fma_f64 v[11:12], -v[22:23], v[24:25], v[11:12]
.LBB124_854:
	s_or_b64 exec, exec, s[8:9]
	s_barrier
	s_and_saveexec_b64 s[8:9], s[72:73]
	s_cbranch_execz .LBB124_856
; %bb.855:
	v_mov_b32_e32 v22, 0
	ds_read_b64 v[22:23], v22 offset:1560
	s_waitcnt lgkmcnt(0)
	v_mul_f64 v[11:12], v[11:12], v[22:23]
	v_xor_b32_e32 v23, 0x80000000, v12
	v_mov_b32_e32 v22, v11
	ds_write_b64 v21, v[22:23]
.LBB124_856:
	s_or_b64 exec, exec, s[8:9]
	s_waitcnt lgkmcnt(0)
	s_barrier
	s_and_saveexec_b64 s[8:9], s[74:75]
	s_cbranch_execz .LBB124_858
; %bb.857:
	v_lshlrev_b32_e32 v22, 3, v19
	ds_read_b64 v[22:23], v22 offset:1536
	ds_read_b64 v[24:25], v21
	s_waitcnt lgkmcnt(0)
	v_fma_f64 v[11:12], -v[22:23], v[24:25], v[11:12]
.LBB124_858:
	s_or_b64 exec, exec, s[8:9]
	s_barrier
	s_and_saveexec_b64 s[8:9], s[76:77]
	s_cbranch_execz .LBB124_860
; %bb.859:
	v_mov_b32_e32 v22, 0
	ds_read_b64 v[22:23], v22 offset:1040
	s_waitcnt lgkmcnt(0)
	v_mul_f64 v[11:12], v[11:12], v[22:23]
	v_xor_b32_e32 v23, 0x80000000, v12
	v_mov_b32_e32 v22, v11
	ds_write_b64 v21, v[22:23]
.LBB124_860:
	s_or_b64 exec, exec, s[8:9]
	s_waitcnt lgkmcnt(0)
	s_barrier
	s_and_saveexec_b64 s[8:9], s[78:79]
	s_cbranch_execz .LBB124_862
; %bb.861:
	v_lshlrev_b32_e32 v22, 3, v19
	ds_read_b64 v[22:23], v22 offset:1024
	ds_read_b64 v[24:25], v21
	s_waitcnt lgkmcnt(0)
	v_fma_f64 v[11:12], -v[22:23], v[24:25], v[11:12]
.LBB124_862:
	s_or_b64 exec, exec, s[8:9]
	s_barrier
	s_and_saveexec_b64 s[8:9], s[80:81]
	s_cbranch_execz .LBB124_864
; %bb.863:
	v_mov_b32_e32 v22, 0
	ds_read_b64 v[22:23], v22 offset:520
	s_waitcnt lgkmcnt(0)
	v_mul_f64 v[11:12], v[11:12], v[22:23]
	v_xor_b32_e32 v23, 0x80000000, v12
	v_mov_b32_e32 v22, v11
	ds_write_b64 v21, v[22:23]
.LBB124_864:
	s_or_b64 exec, exec, s[8:9]
	s_waitcnt lgkmcnt(0)
	s_barrier
	s_and_saveexec_b64 s[8:9], s[64:65]
	s_cbranch_execz .LBB124_866
; %bb.865:
	v_mov_b32_e32 v22, 0
	ds_read_b64 v[22:23], v22 offset:512
	ds_read_b64 v[24:25], v21
	s_waitcnt lgkmcnt(0)
	v_fma_f64 v[11:12], -v[22:23], v[24:25], v[11:12]
.LBB124_866:
	s_or_b64 exec, exec, s[8:9]
	s_barrier
	s_and_saveexec_b64 s[8:9], s[64:65]
	s_cbranch_execz .LBB124_868
; %bb.867:
	v_mov_b32_e32 v22, 0
	ds_read_b64 v[22:23], v22
	s_waitcnt lgkmcnt(0)
	v_mul_f64 v[11:12], v[11:12], v[22:23]
	v_xor_b32_e32 v23, 0x80000000, v12
	v_mov_b32_e32 v22, v11
	ds_write_b64 v21, v[22:23]
.LBB124_868:
	s_or_b64 exec, exec, s[8:9]
	s_waitcnt lgkmcnt(0)
	s_barrier
	s_barrier
	s_and_saveexec_b64 s[8:9], s[14:15]
; %bb.869:
	v_lshlrev_b32_e32 v19, 3, v19
	v_lshl_or_b32 v19, v20, 9, v19
	ds_write_b64 v19, v[11:12] offset:4096
; %bb.870:
	s_or_b64 exec, exec, s[8:9]
	s_waitcnt lgkmcnt(0)
	s_barrier
	s_barrier
	s_and_saveexec_b64 s[8:9], vcc
	s_cbranch_execz .LBB124_872
; %bb.871:
	v_mov_b32_e32 v23, 0
	ds_read_b128 v[19:22], v23 offset:3632
	ds_read_b64 v[11:12], v23 offset:3120
	s_waitcnt lgkmcnt(0)
	v_mul_f64 v[11:12], v[11:12], v[21:22]
	v_mul_f64 v[11:12], v[19:20], v[11:12]
	ds_write_b64 v23, v[11:12] offset:3632
.LBB124_872:
	s_or_b64 exec, exec, s[8:9]
	v_mov_b32_e32 v11, 0
	v_mov_b32_e32 v12, 0
	s_waitcnt lgkmcnt(0)
	s_barrier
	buffer_wbinvl1_vol
	s_and_saveexec_b64 s[10:11], s[0:1]
	s_cbranch_execz .LBB124_876
; %bb.873:
	v_lshlrev_b32_e32 v19, 9, v13
	v_lshlrev_b32_e32 v11, 3, v1
	ds_read_b64 v[11:12], v11 offset:3104
	ds_read_b64 v[19:20], v19 offset:3120
	v_cmp_gt_u32_e64 s[8:9], 2, v15
	s_waitcnt lgkmcnt(0)
	v_fma_f64 v[11:12], v[11:12], v[19:20], 0
	s_and_saveexec_b64 s[12:13], s[8:9]
	s_cbranch_execz .LBB124_875
; %bb.874:
	v_lshlrev_b32_e32 v19, 3, v0
	v_mov_b32_e32 v21, 0
	ds_read_b64 v[19:20], v19 offset:3616
	ds_read_b64 v[21:22], v21 offset:3640
	s_waitcnt lgkmcnt(0)
	v_fma_f64 v[11:12], v[19:20], v[21:22], v[11:12]
.LBB124_875:
	s_or_b64 exec, exec, s[12:13]
.LBB124_876:
	s_or_b64 exec, exec, s[10:11]
	s_and_saveexec_b64 s[8:9], s[40:41]
	s_cbranch_execz .LBB124_878
; %bb.877:
	v_mov_b32_e32 v19, 0
	ds_read_b64 v[19:20], v19 offset:2600
	s_waitcnt lgkmcnt(0)
	v_mul_f64 v[11:12], v[11:12], v[19:20]
	v_xor_b32_e32 v20, 0x80000000, v12
	v_mov_b32_e32 v19, v11
	ds_write_b64 v14, v[19:20]
.LBB124_878:
	s_or_b64 exec, exec, s[8:9]
	s_waitcnt lgkmcnt(0)
	s_barrier
	s_and_saveexec_b64 s[8:9], s[38:39]
	s_cbranch_execz .LBB124_880
; %bb.879:
	v_mov_b32_e32 v19, 0
	ds_read_b64 v[19:20], v19 offset:2592
	ds_read_b64 v[21:22], v14
	s_waitcnt lgkmcnt(0)
	v_fma_f64 v[11:12], -v[19:20], v[21:22], v[11:12]
.LBB124_880:
	s_or_b64 exec, exec, s[8:9]
	s_barrier
	s_and_saveexec_b64 s[8:9], s[38:39]
	s_cbranch_execz .LBB124_882
; %bb.881:
	v_mov_b32_e32 v19, 0
	ds_read_b64 v[19:20], v19 offset:2080
	s_waitcnt lgkmcnt(0)
	v_mul_f64 v[11:12], v[11:12], v[19:20]
	v_xor_b32_e32 v20, 0x80000000, v12
	v_mov_b32_e32 v19, v11
	ds_write_b64 v14, v[19:20]
.LBB124_882:
	s_or_b64 exec, exec, s[8:9]
	s_waitcnt lgkmcnt(0)
	s_barrier
	s_barrier
	s_and_saveexec_b64 s[8:9], s[0:1]
; %bb.883:
	v_lshlrev_b32_e32 v19, 3, v1
	v_lshl_or_b32 v19, v13, 9, v19
	ds_write_b64 v19, v[11:12] offset:3104
; %bb.884:
	s_or_b64 exec, exec, s[8:9]
	s_waitcnt lgkmcnt(0)
	s_barrier
	s_barrier
	s_and_saveexec_b64 s[8:9], vcc
	s_cbranch_execz .LBB124_886
; %bb.885:
	v_mov_b32_e32 v23, 0
	ds_read_b128 v[19:22], v23 offset:2592
	ds_read_b64 v[11:12], v23 offset:2080
	s_waitcnt lgkmcnt(0)
	v_mul_f64 v[11:12], v[11:12], v[21:22]
	v_mul_f64 v[11:12], v[19:20], v[11:12]
	ds_write_b64 v23, v[11:12] offset:2592
.LBB124_886:
	s_or_b64 exec, exec, s[8:9]
	v_mov_b32_e32 v11, 0
	v_mov_b32_e32 v12, 0
	s_waitcnt lgkmcnt(0)
	s_barrier
	buffer_wbinvl1_vol
	s_and_saveexec_b64 s[10:11], s[2:3]
	s_cbranch_execz .LBB124_892
; %bb.887:
	v_lshlrev_b32_e32 v20, 3, v16
	v_lshlrev_b32_e32 v19, 9, v17
	ds_read_b64 v[11:12], v20 offset:2048
	ds_read_b64 v[21:22], v19 offset:2080
	v_cmp_gt_u32_e64 s[8:9], 12, v15
	s_waitcnt lgkmcnt(0)
	v_fma_f64 v[11:12], v[11:12], v[21:22], 0
	s_and_saveexec_b64 s[12:13], s[8:9]
	s_cbranch_execnz .LBB124_1083
; %bb.888:
	s_or_b64 exec, exec, s[12:13]
	v_cmp_gt_u32_e64 s[8:9], 8, v15
	s_and_saveexec_b64 s[12:13], s[8:9]
	s_cbranch_execnz .LBB124_1084
.LBB124_889:
	s_or_b64 exec, exec, s[12:13]
	v_cmp_gt_u32_e64 s[8:9], 4, v15
	s_and_saveexec_b64 s[12:13], s[8:9]
	s_cbranch_execz .LBB124_891
.LBB124_890:
	v_lshlrev_b32_e32 v19, 3, v0
	v_mov_b32_e32 v21, 0
	ds_read_b64 v[19:20], v19 offset:3584
	ds_read_b64 v[21:22], v21 offset:3640
	s_waitcnt lgkmcnt(0)
	v_fma_f64 v[11:12], v[19:20], v[21:22], v[11:12]
.LBB124_891:
	s_or_b64 exec, exec, s[12:13]
.LBB124_892:
	s_or_b64 exec, exec, s[10:11]
	s_and_saveexec_b64 s[8:9], s[44:45]
	s_cbranch_execz .LBB124_894
; %bb.893:
	v_mov_b32_e32 v19, 0
	ds_read_b64 v[19:20], v19 offset:1560
	s_waitcnt lgkmcnt(0)
	v_mul_f64 v[11:12], v[11:12], v[19:20]
	v_xor_b32_e32 v20, 0x80000000, v12
	v_mov_b32_e32 v19, v11
	ds_write_b64 v18, v[19:20]
.LBB124_894:
	s_or_b64 exec, exec, s[8:9]
	s_waitcnt lgkmcnt(0)
	s_barrier
	s_and_saveexec_b64 s[8:9], s[46:47]
	s_load_dword s30, s[4:5], 0x6c
	v_readlane_b32 s44, v36, 2
	v_readlane_b32 s45, v36, 3
	s_cbranch_execz .LBB124_896
; %bb.895:
	v_lshlrev_b32_e32 v19, 3, v16
	ds_read_b64 v[19:20], v19 offset:1536
	ds_read_b64 v[21:22], v18
	s_waitcnt lgkmcnt(0)
	v_fma_f64 v[11:12], -v[19:20], v[21:22], v[11:12]
.LBB124_896:
	s_or_b64 exec, exec, s[8:9]
	s_waitcnt lgkmcnt(0)
	s_barrier
	s_and_saveexec_b64 s[8:9], s[48:49]
	s_cbranch_execz .LBB124_898
; %bb.897:
	v_mov_b32_e32 v19, 0
	ds_read_b64 v[19:20], v19 offset:1040
	s_waitcnt lgkmcnt(0)
	v_mul_f64 v[11:12], v[11:12], v[19:20]
	v_xor_b32_e32 v20, 0x80000000, v12
	v_mov_b32_e32 v19, v11
	ds_write_b64 v18, v[19:20]
.LBB124_898:
	s_or_b64 exec, exec, s[8:9]
	s_waitcnt lgkmcnt(0)
	s_barrier
	s_and_saveexec_b64 s[8:9], s[50:51]
	s_cbranch_execz .LBB124_900
; %bb.899:
	v_lshlrev_b32_e32 v19, 3, v16
	ds_read_b64 v[19:20], v19 offset:1024
	ds_read_b64 v[21:22], v18
	s_waitcnt lgkmcnt(0)
	v_fma_f64 v[11:12], -v[19:20], v[21:22], v[11:12]
.LBB124_900:
	s_or_b64 exec, exec, s[8:9]
	s_barrier
	s_and_saveexec_b64 s[8:9], s[52:53]
	s_cbranch_execz .LBB124_902
; %bb.901:
	v_mov_b32_e32 v19, 0
	ds_read_b64 v[19:20], v19 offset:520
	s_waitcnt lgkmcnt(0)
	v_mul_f64 v[11:12], v[11:12], v[19:20]
	v_xor_b32_e32 v20, 0x80000000, v12
	v_mov_b32_e32 v19, v11
	ds_write_b64 v18, v[19:20]
.LBB124_902:
	s_or_b64 exec, exec, s[8:9]
	s_waitcnt lgkmcnt(0)
	s_barrier
	s_and_saveexec_b64 s[8:9], s[42:43]
	s_cbranch_execz .LBB124_904
; %bb.903:
	v_mov_b32_e32 v19, 0
	ds_read_b64 v[19:20], v19 offset:512
	ds_read_b64 v[21:22], v18
	s_waitcnt lgkmcnt(0)
	v_fma_f64 v[11:12], -v[19:20], v[21:22], v[11:12]
.LBB124_904:
	s_or_b64 exec, exec, s[8:9]
	s_barrier
	s_and_saveexec_b64 s[8:9], s[42:43]
	s_cbranch_execz .LBB124_906
; %bb.905:
	v_mov_b32_e32 v19, 0
	ds_read_b64 v[19:20], v19
	s_waitcnt lgkmcnt(0)
	v_mul_f64 v[11:12], v[11:12], v[19:20]
	v_xor_b32_e32 v20, 0x80000000, v12
	v_mov_b32_e32 v19, v11
	ds_write_b64 v18, v[19:20]
.LBB124_906:
	s_or_b64 exec, exec, s[8:9]
	s_waitcnt lgkmcnt(0)
	s_barrier
	s_barrier
	s_and_saveexec_b64 s[8:9], s[2:3]
; %bb.907:
	v_lshlrev_b32_e32 v16, 3, v16
	v_lshl_or_b32 v16, v17, 9, v16
	ds_write_b64 v16, v[11:12] offset:2048
; %bb.908:
	s_or_b64 exec, exec, s[8:9]
	s_waitcnt lgkmcnt(0)
	s_barrier
	s_barrier
	s_and_saveexec_b64 s[2:3], vcc
	s_cbranch_execz .LBB124_910
; %bb.909:
	v_mov_b32_e32 v20, 0
	ds_read_b128 v[16:19], v20 offset:1552
	ds_read_b64 v[11:12], v20 offset:1040
	s_waitcnt lgkmcnt(0)
	v_mul_f64 v[11:12], v[11:12], v[18:19]
	v_mul_f64 v[11:12], v[16:17], v[11:12]
	ds_write_b64 v20, v[11:12] offset:1552
.LBB124_910:
	s_or_b64 exec, exec, s[2:3]
	v_mov_b32_e32 v11, 0
	v_mov_b32_e32 v12, 0
	s_waitcnt lgkmcnt(0)
	s_barrier
	buffer_wbinvl1_vol
	s_and_saveexec_b64 s[8:9], s[0:1]
	s_cbranch_execz .LBB124_914
; %bb.911:
	v_lshlrev_b32_e32 v16, 9, v13
	v_lshlrev_b32_e32 v11, 3, v1
	ds_read_b64 v[11:12], v11 offset:1024
	ds_read_b64 v[16:17], v16 offset:1040
	v_cmp_gt_u32_e64 s[2:3], 2, v15
	s_waitcnt lgkmcnt(0)
	v_fma_f64 v[11:12], v[11:12], v[16:17], 0
	s_and_saveexec_b64 s[10:11], s[2:3]
	s_cbranch_execz .LBB124_913
; %bb.912:
	v_lshlrev_b32_e32 v15, 3, v0
	v_mov_b32_e32 v17, 0
	ds_read_b64 v[15:16], v15 offset:1536
	ds_read_b64 v[17:18], v17 offset:1560
	s_waitcnt lgkmcnt(0)
	v_fma_f64 v[11:12], v[15:16], v[17:18], v[11:12]
.LBB124_913:
	s_or_b64 exec, exec, s[10:11]
.LBB124_914:
	s_or_b64 exec, exec, s[8:9]
	s_and_saveexec_b64 s[2:3], s[40:41]
	s_cbranch_execz .LBB124_916
; %bb.915:
	v_mov_b32_e32 v15, 0
	ds_read_b64 v[15:16], v15 offset:520
	s_waitcnt lgkmcnt(0)
	v_mul_f64 v[11:12], v[11:12], v[15:16]
	v_xor_b32_e32 v16, 0x80000000, v12
	v_mov_b32_e32 v15, v11
	ds_write_b64 v14, v[15:16]
.LBB124_916:
	s_or_b64 exec, exec, s[2:3]
	s_waitcnt lgkmcnt(0)
	s_barrier
	s_and_saveexec_b64 s[2:3], s[38:39]
	s_cbranch_execz .LBB124_918
; %bb.917:
	v_mov_b32_e32 v15, 0
	ds_read_b64 v[15:16], v15 offset:512
	ds_read_b64 v[17:18], v14
	s_waitcnt lgkmcnt(0)
	v_fma_f64 v[11:12], -v[15:16], v[17:18], v[11:12]
.LBB124_918:
	s_or_b64 exec, exec, s[2:3]
	s_barrier
	s_and_saveexec_b64 s[2:3], s[38:39]
	s_cbranch_execz .LBB124_920
; %bb.919:
	v_mov_b32_e32 v15, 0
	ds_read_b64 v[15:16], v15
	s_waitcnt lgkmcnt(0)
	v_mul_f64 v[11:12], v[11:12], v[15:16]
	v_xor_b32_e32 v16, 0x80000000, v12
	v_mov_b32_e32 v15, v11
	ds_write_b64 v14, v[15:16]
.LBB124_920:
	s_or_b64 exec, exec, s[2:3]
	s_waitcnt lgkmcnt(0)
	s_barrier
	s_barrier
	s_and_saveexec_b64 s[2:3], s[0:1]
; %bb.921:
	v_lshlrev_b32_e32 v1, 3, v1
	v_lshl_or_b32 v1, v13, 9, v1
	ds_write_b64 v1, v[11:12] offset:1024
; %bb.922:
	s_or_b64 exec, exec, s[2:3]
	s_waitcnt lgkmcnt(0)
	s_barrier
	s_barrier
	s_and_saveexec_b64 s[0:1], vcc
	s_cbranch_execz .LBB124_924
; %bb.923:
	v_mov_b32_e32 v1, 0
	ds_read_b128 v[11:14], v1 offset:512
	ds_read_b64 v[15:16], v1
	s_waitcnt lgkmcnt(0)
	v_mul_f64 v[13:14], v[15:16], v[13:14]
	v_mul_f64 v[11:12], v[11:12], v[13:14]
	ds_write_b64 v1, v[11:12] offset:512
.LBB124_924:
	s_or_b64 exec, exec, s[0:1]
.LBB124_925:
	s_lshl_b64 s[0:1], s[20:21], 3
	v_readlane_b32 s2, v36, 0
	v_readlane_b32 s3, v36, 1
	s_add_u32 s38, s2, s0
	v_cmp_le_i32_e32 vcc, s94, v0
	s_addc_u32 s39, s3, s1
	s_and_b64 s[14:15], vcc, s[18:19]
	v_cmp_eq_u32_e64 s[0:1], 0, v2
	s_xor_b64 s[2:3], s[14:15], -1
	v_mov_b32_e32 v11, 0
	s_and_b64 s[8:9], s[0:1], s[2:3]
	v_mov_b32_e32 v12, 0
	v_add_u32_e32 v13, s33, v0
	s_waitcnt lgkmcnt(0)
	s_barrier
	s_and_saveexec_b64 s[2:3], s[8:9]
	s_cbranch_execz .LBB124_927
; %bb.926:
	v_ashrrev_i32_e32 v1, 31, v13
	v_mul_lo_u32 v14, s23, v13
	v_mad_u64_u32 v[11:12], s[8:9], s22, v13, 0
	v_mul_lo_u32 v1, s22, v1
	v_add3_u32 v12, v12, v1, v14
	v_lshlrev_b64 v[11:12], 3, v[11:12]
	v_mov_b32_e32 v1, s39
	v_add_co_u32_e32 v11, vcc, s38, v11
	v_addc_co_u32_e32 v12, vcc, v1, v12, vcc
	flat_load_dwordx2 v[11:12], v[11:12]
	s_waitcnt vmcnt(0) lgkmcnt(0)
	v_mul_f64 v[11:12], v[11:12], -s[44:45]
.LBB124_927:
	s_or_b64 exec, exec, s[2:3]
	s_load_dwordx2 s[12:13], s[4:5], 0x50
	s_and_b32 s2, 0xffff, s30
	v_mad_u32_u24 v17, v2, s2, v0
	v_mov_b32_e32 v1, 0
	s_cmp_lt_i32 s6, 1
	v_cmp_eq_u32_e64 s[2:3], 0, v17
	s_cbranch_scc1 .LBB124_953
; %bb.928:
	v_ashrrev_i32_e32 v14, 31, v13
	v_cmp_gt_i32_e64 s[10:11], s26, v13
	v_lshlrev_b64 v[13:14], 3, v[13:14]
	s_lshl_b64 s[4:5], s[24:25], 2
	v_mov_b32_e32 v15, 0xa000
	s_waitcnt lgkmcnt(0)
	s_add_u32 s16, s12, s4
	v_lshl_add_u32 v18, v17, 3, v15
	v_lshl_or_b32 v19, v2, 3, v15
	v_mov_b32_e32 v15, s34
	v_add_co_u32_e32 v20, vcc, s95, v13
	s_mul_i32 s8, s29, 0x180
	s_mul_hi_u32 s9, s28, 0x180
	s_mov_b32 s40, 0
	s_addc_u32 s17, s13, s5
	v_cmp_gt_u32_e64 s[4:5], 64, v17
	s_add_i32 s41, s35, 1
	v_addc_co_u32_e32 v21, vcc, v15, v14, vcc
	s_lshl_b64 s[20:21], s[28:29], 7
	s_lshl_b64 s[30:31], s[28:29], 8
	s_add_i32 s42, s9, s8
	s_mul_i32 s43, s28, 0x180
	v_mov_b32_e32 v22, -1
	s_branch .LBB124_931
.LBB124_929:                            ;   in Loop: Header=BB124_931 Depth=1
	ds_read_b64 v[13:14], v19 offset:384
	s_waitcnt vmcnt(0) lgkmcnt(0)
	v_fma_f64 v[11:12], v[15:16], v[13:14], v[11:12]
.LBB124_930:                            ;   in Loop: Header=BB124_931 Depth=1
	s_or_b64 exec, exec, s[34:35]
	s_add_i32 s40, s40, 1
	s_cmp_eq_u32 s40, s6
	s_cbranch_scc1 .LBB124_953
.LBB124_931:                            ; =>This Loop Header: Depth=1
                                        ;     Child Loop BB124_933 Depth 2
	v_cmp_gt_i32_e32 vcc, s40, v22
	s_and_b64 s[34:35], s[2:3], vcc
	s_and_saveexec_b64 s[8:9], s[34:35]
	s_cbranch_execz .LBB124_934
; %bb.932:                              ;   in Loop: Header=BB124_931 Depth=1
	global_load_dword v22, v1, s[16:17]
	s_waitcnt vmcnt(0)
	v_cmp_le_i32_e32 vcc, s40, v22
	s_cbranch_vccnz .LBB124_934
.LBB124_933:                            ;   Parent Loop BB124_931 Depth=1
                                        ; =>  This Inner Loop Header: Depth=2
	buffer_wbinvl1_vol
	global_load_dword v22, v1, s[16:17]
	s_waitcnt vmcnt(0)
	v_cmp_gt_i32_e32 vcc, s40, v22
	s_cbranch_vccnz .LBB124_933
.LBB124_934:                            ;   in Loop: Header=BB124_931 Depth=1
	s_or_b64 exec, exec, s[8:9]
	s_sub_i32 s44, s7, s40
	s_lshl_b32 s45, s44, 6
	buffer_wbinvl1_vol
	s_barrier
	s_and_saveexec_b64 s[8:9], s[4:5]
	s_cbranch_execz .LBB124_938
; %bb.935:                              ;   in Loop: Header=BB124_931 Depth=1
	s_ashr_i32 s34, s45, 31
	v_mov_b32_e32 v14, s34
	v_or_b32_e32 v13, s45, v17
	v_cmp_gt_i64_e32 vcc, s[26:27], v[13:14]
	v_mov_b32_e32 v15, 0
	v_mov_b32_e32 v16, 0
	s_and_saveexec_b64 s[34:35], vcc
	s_cbranch_execz .LBB124_937
; %bb.936:                              ;   in Loop: Header=BB124_931 Depth=1
	v_mul_lo_u32 v15, v14, s22
	v_mul_lo_u32 v16, v13, s23
	v_mad_u64_u32 v[13:14], s[46:47], v13, s22, 0
	v_add3_u32 v14, v14, v16, v15
	v_lshlrev_b64 v[13:14], 3, v[13:14]
	v_mov_b32_e32 v15, s39
	v_add_co_u32_e32 v13, vcc, s38, v13
	v_addc_co_u32_e32 v14, vcc, v15, v14, vcc
	flat_load_dwordx2 v[15:16], v[13:14]
.LBB124_937:                            ;   in Loop: Header=BB124_931 Depth=1
	s_or_b64 exec, exec, s[34:35]
	s_waitcnt vmcnt(0) lgkmcnt(0)
	ds_write_b64 v18, v[15:16]
.LBB124_938:                            ;   in Loop: Header=BB124_931 Depth=1
	s_or_b64 exec, exec, s[8:9]
	v_add_u32_e32 v23, s45, v2
	v_ashrrev_i32_e32 v15, 31, v23
	v_mul_lo_u32 v16, s29, v23
	v_mad_u64_u32 v[13:14], s[8:9], s28, v23, 0
	v_mul_lo_u32 v15, s28, v15
	s_cmp_lg_u32 s44, s41
	s_cselect_b64 s[8:9], -1, 0
	s_waitcnt lgkmcnt(0)
	v_add3_u32 v14, v14, v15, v16
	v_lshlrev_b64 v[13:14], 3, v[13:14]
	v_cndmask_b32_e64 v15, 0, 1, s[8:9]
	v_add_co_u32_e32 v13, vcc, v20, v13
	v_addc_co_u32_e32 v14, vcc, v21, v14, vcc
	v_cmp_gt_i32_e32 vcc, s26, v23
	s_and_b64 s[44:45], s[10:11], vcc
	v_cmp_ne_u32_e64 s[8:9], 1, v15
	s_barrier
	s_and_saveexec_b64 s[34:35], s[44:45]
	s_cbranch_execz .LBB124_942
; %bb.939:                              ;   in Loop: Header=BB124_931 Depth=1
	v_mov_b32_e32 v16, v4
	s_and_b64 vcc, exec, s[8:9]
	v_mov_b32_e32 v15, v3
	s_cbranch_vccnz .LBB124_941
; %bb.940:                              ;   in Loop: Header=BB124_931 Depth=1
	flat_load_dwordx2 v[15:16], v[13:14]
.LBB124_941:                            ;   in Loop: Header=BB124_931 Depth=1
	ds_read_b64 v[24:25], v19
	s_waitcnt vmcnt(0) lgkmcnt(0)
	v_fma_f64 v[11:12], v[15:16], v[24:25], v[11:12]
.LBB124_942:                            ;   in Loop: Header=BB124_931 Depth=1
	s_or_b64 exec, exec, s[34:35]
	v_add_u32_e32 v15, 16, v23
	v_cmp_gt_i32_e32 vcc, s26, v15
	s_and_b64 s[44:45], s[10:11], vcc
	s_and_saveexec_b64 s[34:35], s[44:45]
	s_cbranch_execz .LBB124_946
; %bb.943:                              ;   in Loop: Header=BB124_931 Depth=1
	v_mov_b32_e32 v16, v6
	s_and_b64 vcc, exec, s[8:9]
	v_mov_b32_e32 v15, v5
	s_cbranch_vccnz .LBB124_945
; %bb.944:                              ;   in Loop: Header=BB124_931 Depth=1
	v_mov_b32_e32 v16, s21
	v_add_co_u32_e32 v15, vcc, s20, v13
	v_addc_co_u32_e32 v16, vcc, v14, v16, vcc
	flat_load_dwordx2 v[15:16], v[15:16]
.LBB124_945:                            ;   in Loop: Header=BB124_931 Depth=1
	ds_read_b64 v[24:25], v19 offset:128
	s_waitcnt vmcnt(0) lgkmcnt(0)
	v_fma_f64 v[11:12], v[15:16], v[24:25], v[11:12]
.LBB124_946:                            ;   in Loop: Header=BB124_931 Depth=1
	s_or_b64 exec, exec, s[34:35]
	v_add_u32_e32 v15, 32, v23
	v_cmp_gt_i32_e32 vcc, s26, v15
	s_and_b64 s[44:45], s[10:11], vcc
	s_and_saveexec_b64 s[34:35], s[44:45]
	s_cbranch_execz .LBB124_950
; %bb.947:                              ;   in Loop: Header=BB124_931 Depth=1
	v_mov_b32_e32 v16, v10
	s_and_b64 vcc, exec, s[8:9]
	v_mov_b32_e32 v15, v9
	s_cbranch_vccnz .LBB124_949
; %bb.948:                              ;   in Loop: Header=BB124_931 Depth=1
	v_mov_b32_e32 v16, s31
	v_add_co_u32_e32 v15, vcc, s30, v13
	v_addc_co_u32_e32 v16, vcc, v14, v16, vcc
	flat_load_dwordx2 v[15:16], v[15:16]
.LBB124_949:                            ;   in Loop: Header=BB124_931 Depth=1
	ds_read_b64 v[24:25], v19 offset:256
	s_waitcnt vmcnt(0) lgkmcnt(0)
	v_fma_f64 v[11:12], v[15:16], v[24:25], v[11:12]
.LBB124_950:                            ;   in Loop: Header=BB124_931 Depth=1
	s_or_b64 exec, exec, s[34:35]
	v_add_u32_e32 v15, 48, v23
	v_cmp_gt_i32_e32 vcc, s26, v15
	s_and_b64 s[44:45], s[10:11], vcc
	s_and_saveexec_b64 s[34:35], s[44:45]
	s_cbranch_execz .LBB124_930
; %bb.951:                              ;   in Loop: Header=BB124_931 Depth=1
	v_mov_b32_e32 v16, v8
	s_and_b64 vcc, exec, s[8:9]
	v_mov_b32_e32 v15, v7
	s_cbranch_vccnz .LBB124_929
; %bb.952:                              ;   in Loop: Header=BB124_931 Depth=1
	v_mov_b32_e32 v15, s42
	v_add_co_u32_e32 v13, vcc, s43, v13
	v_addc_co_u32_e32 v14, vcc, v14, v15, vcc
	flat_load_dwordx2 v[15:16], v[13:14]
	s_branch .LBB124_929
.LBB124_953:
	v_lshl_add_u32 v1, v2, 6, v0
	s_xor_b64 s[2:3], s[18:19], -1
	s_xor_b64 s[4:5], s[36:37], -1
	v_lshlrev_b32_e32 v1, 3, v1
	ds_write_b64 v1, v[11:12] offset:32768
	s_waitcnt lgkmcnt(0)
	s_barrier
	s_and_saveexec_b64 s[6:7], s[0:1]
	s_cbranch_execz .LBB124_955
; %bb.954:
	v_lshlrev_b32_e32 v15, 3, v0
	ds_read2st64_b64 v[3:6], v15 offset0:65 offset1:66
	ds_read_b64 v[13:14], v15 offset:40448
	s_waitcnt lgkmcnt(1)
	v_add_f64 v[3:4], v[11:12], v[3:4]
	v_add_f64 v[11:12], v[3:4], v[5:6]
	ds_read2st64_b64 v[3:6], v15 offset0:67 offset1:68
	ds_read2st64_b64 v[7:10], v15 offset0:69 offset1:70
	s_waitcnt lgkmcnt(1)
	v_add_f64 v[3:4], v[11:12], v[3:4]
	v_add_f64 v[3:4], v[3:4], v[5:6]
	s_waitcnt lgkmcnt(0)
	v_add_f64 v[3:4], v[3:4], v[7:8]
	v_add_f64 v[11:12], v[3:4], v[9:10]
	ds_read2st64_b64 v[3:6], v15 offset0:71 offset1:72
	ds_read2st64_b64 v[7:10], v15 offset0:73 offset1:74
	s_waitcnt lgkmcnt(1)
	v_add_f64 v[3:4], v[11:12], v[3:4]
	v_add_f64 v[3:4], v[3:4], v[5:6]
	;; [unrolled: 8-line block ×3, first 2 shown]
	s_waitcnt lgkmcnt(0)
	v_add_f64 v[3:4], v[3:4], v[7:8]
	v_add_f64 v[3:4], v[3:4], v[9:10]
	v_add_f64 v[3:4], v[3:4], v[13:14]
	v_xor_b32_e32 v4, 0x80000000, v4
	v_cndmask_b32_e64 v12, v4, 0, s[14:15]
	v_cndmask_b32_e64 v11, v3, 0, s[14:15]
.LBB124_955:
	s_or_b64 exec, exec, s[6:7]
	s_andn2_b64 vcc, exec, s[4:5]
	s_cbranch_vccnz .LBB124_968
; %bb.956:
	v_mov_b32_e32 v3, 0xa000
	v_lshl_or_b32 v5, v2, 3, v3
	s_and_saveexec_b64 s[4:5], s[0:1]
; %bb.957:
	v_lshl_add_u32 v3, v0, 3, v5
	ds_write_b64 v3, v[11:12]
; %bb.958:
	s_or_b64 exec, exec, s[4:5]
	v_mov_b32_e32 v3, 0
	v_mov_b32_e32 v4, 0
	v_cmp_le_u32_e32 vcc, v0, v2
	s_waitcnt lgkmcnt(0)
	s_barrier
	s_and_saveexec_b64 s[4:5], vcc
	s_cbranch_execz .LBB124_960
; %bb.959:
	ds_read_b64 v[3:4], v1
	ds_read_b64 v[6:7], v5
	s_waitcnt lgkmcnt(0)
	v_fma_f64 v[3:4], v[3:4], v[6:7], 0
.LBB124_960:
	s_or_b64 exec, exec, s[4:5]
	v_add_u32_e32 v6, 16, v2
	v_cmp_le_u32_e32 vcc, v0, v6
	s_and_saveexec_b64 s[4:5], vcc
	s_cbranch_execz .LBB124_962
; %bb.961:
	ds_read_b64 v[6:7], v1 offset:8192
	ds_read_b64 v[8:9], v5 offset:128
	s_waitcnt lgkmcnt(0)
	v_fma_f64 v[3:4], v[6:7], v[8:9], v[3:4]
.LBB124_962:
	s_or_b64 exec, exec, s[4:5]
	v_add_u32_e32 v6, 32, v2
	v_cmp_le_u32_e32 vcc, v0, v6
	s_and_saveexec_b64 s[4:5], vcc
	s_cbranch_execz .LBB124_964
; %bb.963:
	ds_read_b64 v[6:7], v1 offset:16384
	ds_read_b64 v[8:9], v5 offset:256
	s_waitcnt lgkmcnt(0)
	v_fma_f64 v[3:4], v[6:7], v[8:9], v[3:4]
.LBB124_964:
	s_or_b64 exec, exec, s[4:5]
	v_add_u32_e32 v2, 48, v2
	v_add_u32_e32 v6, 0x8000, v1
	v_cmp_le_u32_e32 vcc, v0, v2
	s_and_saveexec_b64 s[4:5], vcc
	s_cbranch_execz .LBB124_966
; %bb.965:
	ds_read_b64 v[1:2], v1 offset:24576
	ds_read_b64 v[7:8], v5 offset:384
	s_waitcnt lgkmcnt(0)
	v_fma_f64 v[3:4], v[1:2], v[7:8], v[3:4]
.LBB124_966:
	s_or_b64 exec, exec, s[4:5]
	s_mov_b64 s[6:7], 0
	s_mov_b64 s[4:5], 0
	ds_write_b64 v6, v[3:4]
	s_waitcnt lgkmcnt(0)
	s_barrier
                                        ; implicit-def: $vgpr1_vgpr2
	s_and_saveexec_b64 s[8:9], s[0:1]
	s_cbranch_execz .LBB124_1031
; %bb.967:
	v_lshlrev_b32_e32 v15, 3, v0
	ds_read2st64_b64 v[5:8], v15 offset0:65 offset1:66
	ds_read_b64 v[9:10], v15 offset:40448
	s_mov_b64 s[4:5], exec
	s_waitcnt lgkmcnt(1)
	v_add_f64 v[1:2], v[3:4], v[5:6]
	v_add_f64 v[13:14], v[7:8], v[1:2]
	ds_read2st64_b64 v[1:4], v15 offset0:67 offset1:68
	ds_read2st64_b64 v[5:8], v15 offset0:69 offset1:70
	s_waitcnt lgkmcnt(1)
	v_add_f64 v[1:2], v[1:2], v[13:14]
	v_add_f64 v[1:2], v[3:4], v[1:2]
	s_waitcnt lgkmcnt(0)
	v_add_f64 v[1:2], v[5:6], v[1:2]
	v_add_f64 v[13:14], v[7:8], v[1:2]
	ds_read2st64_b64 v[1:4], v15 offset0:71 offset1:72
	ds_read2st64_b64 v[5:8], v15 offset0:73 offset1:74
	s_waitcnt lgkmcnt(1)
	v_add_f64 v[1:2], v[1:2], v[13:14]
	v_add_f64 v[1:2], v[3:4], v[1:2]
	;; [unrolled: 8-line block ×3, first 2 shown]
	s_waitcnt lgkmcnt(0)
	v_add_f64 v[1:2], v[5:6], v[1:2]
	v_add_f64 v[1:2], v[7:8], v[1:2]
	;; [unrolled: 1-line block ×3, first 2 shown]
	s_or_b64 exec, exec, s[8:9]
	s_and_b64 vcc, exec, s[6:7]
	s_cbranch_vccnz .LBB124_969
	s_branch .LBB124_1032
.LBB124_968:
	s_mov_b64 s[4:5], 0
                                        ; implicit-def: $vgpr1_vgpr2
	s_cbranch_execz .LBB124_1032
.LBB124_969:
	s_movk_i32 s6, 0x208
	v_lshlrev_b32_e32 v2, 9, v0
	v_mov_b32_e32 v3, 0x7800
	v_mul_u32_u24_e32 v1, 0x208, v0
	v_sub_u32_e32 v2, 0, v2
	v_mad_u32_u24 v3, v0, s6, v3
	s_mov_b32 s8, 63
	s_movk_i32 s9, 0x8200
	v_mov_b32_e32 v4, 0
	s_branch .LBB124_971
.LBB124_970:                            ;   in Loop: Header=BB124_971 Depth=1
	s_or_b64 exec, exec, s[6:7]
	s_add_i32 s8, s8, -4
	s_cmp_lg_u32 s10, 0
	v_add_u32_e32 v2, 0xfffff800, v2
	s_barrier
	s_cbranch_scc0 .LBB124_987
.LBB124_971:                            ; =>This Inner Loop Header: Depth=1
	v_cmp_eq_u32_e32 vcc, s9, v2
	s_and_b64 s[10:11], s[0:1], vcc
	s_and_saveexec_b64 s[6:7], s[10:11]
	s_cbranch_execz .LBB124_973
; %bb.972:                              ;   in Loop: Header=BB124_971 Depth=1
	ds_read_b64 v[5:6], v1
	s_waitcnt lgkmcnt(0)
	v_mul_f64 v[11:12], v[11:12], v[5:6]
	ds_write_b64 v4, v[11:12] offset:41472
.LBB124_973:                            ;   in Loop: Header=BB124_971 Depth=1
	s_or_b64 exec, exec, s[6:7]
	v_cmp_gt_u32_e32 vcc, s8, v0
	s_and_b64 s[10:11], s[0:1], vcc
	v_add_u32_e32 v5, v3, v2
	s_waitcnt lgkmcnt(0)
	s_barrier
	s_and_saveexec_b64 s[6:7], s[10:11]
	s_cbranch_execz .LBB124_975
; %bb.974:                              ;   in Loop: Header=BB124_971 Depth=1
	ds_read_b64 v[6:7], v5 offset:1536
	ds_read_b64 v[8:9], v4 offset:41472
	s_waitcnt lgkmcnt(0)
	v_fma_f64 v[11:12], v[6:7], v[8:9], v[11:12]
.LBB124_975:                            ;   in Loop: Header=BB124_971 Depth=1
	s_or_b64 exec, exec, s[6:7]
	s_add_i32 s10, s8, -1
	v_cmp_eq_u32_e32 vcc, s10, v0
	s_and_b64 s[14:15], s[0:1], vcc
	s_barrier
	s_and_saveexec_b64 s[6:7], s[14:15]
	s_cbranch_execz .LBB124_977
; %bb.976:                              ;   in Loop: Header=BB124_971 Depth=1
	ds_read_b64 v[6:7], v1
	s_waitcnt lgkmcnt(0)
	v_mul_f64 v[11:12], v[11:12], v[6:7]
	ds_write_b64 v4, v[11:12] offset:41472
.LBB124_977:                            ;   in Loop: Header=BB124_971 Depth=1
	s_or_b64 exec, exec, s[6:7]
	v_cmp_gt_u32_e32 vcc, s10, v0
	s_and_b64 s[10:11], s[0:1], vcc
	s_waitcnt lgkmcnt(0)
	s_barrier
	s_and_saveexec_b64 s[6:7], s[10:11]
	s_cbranch_execz .LBB124_979
; %bb.978:                              ;   in Loop: Header=BB124_971 Depth=1
	ds_read_b64 v[6:7], v5 offset:1024
	ds_read_b64 v[8:9], v4 offset:41472
	s_waitcnt lgkmcnt(0)
	v_fma_f64 v[11:12], v[6:7], v[8:9], v[11:12]
.LBB124_979:                            ;   in Loop: Header=BB124_971 Depth=1
	s_or_b64 exec, exec, s[6:7]
	s_add_i32 s10, s8, -2
	v_cmp_eq_u32_e32 vcc, s10, v0
	s_and_b64 s[14:15], s[0:1], vcc
	s_barrier
	s_and_saveexec_b64 s[6:7], s[14:15]
	s_cbranch_execz .LBB124_981
; %bb.980:                              ;   in Loop: Header=BB124_971 Depth=1
	ds_read_b64 v[6:7], v1
	s_waitcnt lgkmcnt(0)
	v_mul_f64 v[11:12], v[11:12], v[6:7]
	ds_write_b64 v4, v[11:12] offset:41472
.LBB124_981:                            ;   in Loop: Header=BB124_971 Depth=1
	s_or_b64 exec, exec, s[6:7]
	v_cmp_gt_u32_e32 vcc, s10, v0
	s_and_b64 s[10:11], s[0:1], vcc
	;; [unrolled: 26-line block ×3, first 2 shown]
	s_waitcnt lgkmcnt(0)
	s_barrier
	s_and_saveexec_b64 s[6:7], s[14:15]
	s_cbranch_execz .LBB124_970
; %bb.986:                              ;   in Loop: Header=BB124_971 Depth=1
	ds_read_b64 v[5:6], v5
	ds_read_b64 v[7:8], v4 offset:41472
	s_waitcnt lgkmcnt(0)
	v_fma_f64 v[11:12], v[5:6], v[7:8], v[11:12]
	s_branch .LBB124_970
.LBB124_987:
	s_mov_b64 s[6:7], -1
	s_and_b64 vcc, exec, s[2:3]
	s_cbranch_vccnz .LBB124_1033
; %bb.988:
	s_andn2_b64 vcc, exec, s[6:7]
	s_cbranch_vccz .LBB124_1034
.LBB124_989:
	s_and_saveexec_b64 s[0:1], s[4:5]
	s_cbranch_execz .LBB124_991
.LBB124_990:
	v_mov_b32_e32 v0, s54
	v_add_co_u32_e32 v1, vcc, s33, v17
	v_addc_co_u32_e32 v0, vcc, 0, v0, vcc
	v_mul_lo_u32 v2, v0, s22
	v_mul_lo_u32 v3, v1, s23
	v_mad_u64_u32 v[0:1], s[2:3], v1, s22, 0
	v_add3_u32 v1, v1, v3, v2
	v_lshlrev_b64 v[0:1], 3, v[0:1]
	v_mov_b32_e32 v2, s39
	v_add_co_u32_e32 v0, vcc, s38, v0
	v_addc_co_u32_e32 v1, vcc, v2, v1, vcc
	flat_store_dwordx2 v[0:1], v[11:12]
.LBB124_991:
	s_or_b64 exec, exec, s[0:1]
	v_cmp_eq_u32_e32 vcc, 0, v17
	s_waitcnt vmcnt(0) lgkmcnt(0)
	buffer_wbinvl1_vol
	s_barrier
	s_and_saveexec_b64 s[0:1], vcc
	s_cbranch_execz .LBB124_993
; %bb.992:
	s_lshl_b64 s[2:3], s[24:25], 2
	s_add_u32 s2, s12, s2
	s_addc_u32 s3, s13, s3
	v_mov_b32_e32 v0, 0
	global_load_dword v1, v0, s[2:3]
	s_waitcnt vmcnt(0)
	v_add_u32_e32 v1, 1, v1
	global_store_dword v0, v1, s[2:3]
.LBB124_993:
	s_or_b64 exec, exec, s[0:1]
	s_waitcnt vmcnt(0)
	buffer_wbinvl1_vol
	s_endpgm
.LBB124_994:
                                        ; implicit-def: $vgpr7_vgpr8
                                        ; implicit-def: $vgpr9_vgpr10
                                        ; implicit-def: $vgpr5_vgpr6
                                        ; implicit-def: $vgpr3_vgpr4
                                        ; implicit-def: $sgpr33
	s_cbranch_execnz .LBB124_10
	s_branch .LBB124_11
.LBB124_995:
	v_cmp_ne_u32_e32 vcc, v0, v2
	s_and_saveexec_b64 s[8:9], vcc
	s_xor_b64 s[8:9], exec, s[8:9]
; %bb.996:
	v_or_b32_e32 v1, v2, v0
	v_cmp_gt_u32_e32 vcc, 64, v1
	s_and_b64 s[2:3], vcc, exec
                                        ; implicit-def: $vgpr15_vgpr16
; %bb.997:
	s_or_saveexec_b64 s[8:9], s[8:9]
	v_mov_b32_e32 v13, 0
	v_mov_b32_e32 v14, 0
	s_xor_b64 exec, exec, s[8:9]
	s_cbranch_execz .LBB124_999
; %bb.998:
	v_lshlrev_b64 v[13:14], 3, v[15:16]
	v_mov_b32_e32 v1, s34
	v_add_co_u32_e32 v13, vcc, s95, v13
	v_addc_co_u32_e32 v14, vcc, v1, v14, vcc
	flat_load_dwordx2 v[13:14], v[13:14]
	s_or_b64 s[2:3], s[2:3], exec
	s_waitcnt vmcnt(0) lgkmcnt(0)
	v_div_scale_f64 v[15:16], s[10:11], v[13:14], v[13:14], 1.0
	v_div_scale_f64 v[21:22], vcc, 1.0, v[13:14], 1.0
	v_rcp_f64_e32 v[17:18], v[15:16]
	v_fma_f64 v[19:20], -v[15:16], v[17:18], 1.0
	v_fma_f64 v[17:18], v[17:18], v[19:20], v[17:18]
	v_fma_f64 v[19:20], -v[15:16], v[17:18], 1.0
	v_fma_f64 v[17:18], v[17:18], v[19:20], v[17:18]
	v_mul_f64 v[19:20], v[21:22], v[17:18]
	v_fma_f64 v[15:16], -v[15:16], v[19:20], v[21:22]
	v_div_fmas_f64 v[15:16], v[15:16], v[17:18], v[19:20]
	v_div_fixup_f64 v[13:14], v[15:16], v[13:14], 1.0
.LBB124_999:
	s_or_b64 exec, exec, s[8:9]
	s_and_b64 s[2:3], s[2:3], exec
                                        ; implicit-def: $vgpr15_vgpr16
	s_andn2_saveexec_b64 s[0:1], s[0:1]
	s_cbranch_execz .LBB124_14
.LBB124_1000:
	v_lshlrev_b64 v[13:14], 3, v[15:16]
	v_mov_b32_e32 v1, s34
	v_add_co_u32_e32 v13, vcc, s95, v13
	v_addc_co_u32_e32 v14, vcc, v1, v14, vcc
	flat_load_dwordx2 v[13:14], v[13:14]
	s_or_b64 s[2:3], s[2:3], exec
	s_waitcnt vmcnt(0) lgkmcnt(0)
	v_xor_b32_e32 v14, 0x80000000, v14
	s_or_b64 exec, exec, s[0:1]
	s_and_saveexec_b64 s[0:1], s[2:3]
	s_cbranch_execnz .LBB124_15
	s_branch .LBB124_16
.LBB124_1001:
	v_cmp_ne_u32_e32 vcc, v0, v1
	s_and_saveexec_b64 s[8:9], vcc
	s_xor_b64 s[8:9], exec, s[8:9]
; %bb.1002:
	v_or_b32_e32 v13, v1, v0
	v_cmp_gt_u32_e32 vcc, 64, v13
	s_and_b64 s[2:3], vcc, exec
                                        ; implicit-def: $vgpr15_vgpr16
; %bb.1003:
	s_or_saveexec_b64 s[8:9], s[8:9]
	v_mov_b32_e32 v13, 0
	v_mov_b32_e32 v14, 0
	s_xor_b64 exec, exec, s[8:9]
	s_cbranch_execz .LBB124_1005
; %bb.1004:
	v_lshlrev_b64 v[13:14], 3, v[15:16]
	v_mov_b32_e32 v15, s34
	v_add_co_u32_e32 v13, vcc, s95, v13
	v_addc_co_u32_e32 v14, vcc, v15, v14, vcc
	flat_load_dwordx2 v[13:14], v[13:14]
	s_or_b64 s[2:3], s[2:3], exec
	s_waitcnt vmcnt(0) lgkmcnt(0)
	v_div_scale_f64 v[15:16], s[10:11], v[13:14], v[13:14], 1.0
	v_div_scale_f64 v[21:22], vcc, 1.0, v[13:14], 1.0
	v_rcp_f64_e32 v[17:18], v[15:16]
	v_fma_f64 v[19:20], -v[15:16], v[17:18], 1.0
	v_fma_f64 v[17:18], v[17:18], v[19:20], v[17:18]
	v_fma_f64 v[19:20], -v[15:16], v[17:18], 1.0
	v_fma_f64 v[17:18], v[17:18], v[19:20], v[17:18]
	v_mul_f64 v[19:20], v[21:22], v[17:18]
	v_fma_f64 v[15:16], -v[15:16], v[19:20], v[21:22]
	v_div_fmas_f64 v[15:16], v[15:16], v[17:18], v[19:20]
	v_div_fixup_f64 v[13:14], v[15:16], v[13:14], 1.0
.LBB124_1005:
	s_or_b64 exec, exec, s[8:9]
	s_and_b64 s[2:3], s[2:3], exec
                                        ; implicit-def: $vgpr15_vgpr16
	s_andn2_saveexec_b64 s[0:1], s[0:1]
	s_cbranch_execz .LBB124_18
.LBB124_1006:
	v_lshlrev_b64 v[13:14], 3, v[15:16]
	v_mov_b32_e32 v15, s34
	v_add_co_u32_e32 v13, vcc, s95, v13
	v_addc_co_u32_e32 v14, vcc, v15, v14, vcc
	flat_load_dwordx2 v[13:14], v[13:14]
	s_or_b64 s[2:3], s[2:3], exec
	s_waitcnt vmcnt(0) lgkmcnt(0)
	v_xor_b32_e32 v14, 0x80000000, v14
	s_or_b64 exec, exec, s[0:1]
	s_and_saveexec_b64 s[0:1], s[2:3]
	s_cbranch_execnz .LBB124_19
	s_branch .LBB124_20
.LBB124_1007:
	v_cmp_ne_u32_e32 vcc, v0, v1
	s_and_saveexec_b64 s[8:9], vcc
	s_xor_b64 s[8:9], exec, s[8:9]
; %bb.1008:
	v_or_b32_e32 v13, v1, v0
	v_cmp_gt_u32_e32 vcc, 64, v13
	s_and_b64 s[2:3], vcc, exec
                                        ; implicit-def: $vgpr15_vgpr16
; %bb.1009:
	s_or_saveexec_b64 s[8:9], s[8:9]
	v_mov_b32_e32 v13, 0
	v_mov_b32_e32 v14, 0
	s_xor_b64 exec, exec, s[8:9]
	s_cbranch_execz .LBB124_1011
; %bb.1010:
	v_lshlrev_b64 v[13:14], 3, v[15:16]
	v_mov_b32_e32 v15, s34
	v_add_co_u32_e32 v13, vcc, s95, v13
	v_addc_co_u32_e32 v14, vcc, v15, v14, vcc
	flat_load_dwordx2 v[13:14], v[13:14]
	s_or_b64 s[2:3], s[2:3], exec
	s_waitcnt vmcnt(0) lgkmcnt(0)
	v_div_scale_f64 v[15:16], s[10:11], v[13:14], v[13:14], 1.0
	v_div_scale_f64 v[21:22], vcc, 1.0, v[13:14], 1.0
	v_rcp_f64_e32 v[17:18], v[15:16]
	v_fma_f64 v[19:20], -v[15:16], v[17:18], 1.0
	v_fma_f64 v[17:18], v[17:18], v[19:20], v[17:18]
	v_fma_f64 v[19:20], -v[15:16], v[17:18], 1.0
	v_fma_f64 v[17:18], v[17:18], v[19:20], v[17:18]
	v_mul_f64 v[19:20], v[21:22], v[17:18]
	v_fma_f64 v[15:16], -v[15:16], v[19:20], v[21:22]
	v_div_fmas_f64 v[15:16], v[15:16], v[17:18], v[19:20]
	v_div_fixup_f64 v[13:14], v[15:16], v[13:14], 1.0
.LBB124_1011:
	s_or_b64 exec, exec, s[8:9]
	s_and_b64 s[2:3], s[2:3], exec
                                        ; implicit-def: $vgpr15_vgpr16
	s_andn2_saveexec_b64 s[0:1], s[0:1]
	s_cbranch_execz .LBB124_22
.LBB124_1012:
	v_lshlrev_b64 v[13:14], 3, v[15:16]
	v_mov_b32_e32 v15, s34
	v_add_co_u32_e32 v13, vcc, s95, v13
	v_addc_co_u32_e32 v14, vcc, v15, v14, vcc
	flat_load_dwordx2 v[13:14], v[13:14]
	s_or_b64 s[2:3], s[2:3], exec
	s_waitcnt vmcnt(0) lgkmcnt(0)
	v_xor_b32_e32 v14, 0x80000000, v14
	s_or_b64 exec, exec, s[0:1]
	s_and_saveexec_b64 s[0:1], s[2:3]
	s_cbranch_execnz .LBB124_23
	s_branch .LBB124_24
.LBB124_1013:
	v_cmp_ne_u32_e32 vcc, v0, v2
	s_xor_b64 s[10:11], s[0:1], -1
	s_or_b64 s[12:13], s[10:11], vcc
	s_mov_b64 s[10:11], 0
	s_and_saveexec_b64 s[14:15], s[12:13]
	s_xor_b64 s[12:13], exec, s[14:15]
; %bb.1014:
	v_or_b32_e32 v1, v2, v0
	v_cmp_gt_u32_e32 vcc, 64, v1
	s_and_b64 s[10:11], vcc, exec
                                        ; implicit-def: $vgpr13_vgpr14
; %bb.1015:
	s_or_saveexec_b64 s[12:13], s[12:13]
	v_mov_b32_e32 v15, 0
	v_mov_b32_e32 v16, 0
	s_xor_b64 exec, exec, s[12:13]
	s_cbranch_execz .LBB124_1017
; %bb.1016:
	v_lshlrev_b64 v[13:14], 3, v[13:14]
	v_mov_b32_e32 v1, s34
	v_add_co_u32_e32 v13, vcc, s95, v13
	v_addc_co_u32_e32 v14, vcc, v1, v14, vcc
	flat_load_dwordx2 v[13:14], v[13:14]
	s_or_b64 s[10:11], s[10:11], exec
	s_waitcnt vmcnt(0) lgkmcnt(0)
	v_div_scale_f64 v[15:16], s[14:15], v[13:14], v[13:14], 1.0
	v_div_scale_f64 v[21:22], vcc, 1.0, v[13:14], 1.0
	v_rcp_f64_e32 v[17:18], v[15:16]
	v_fma_f64 v[19:20], -v[15:16], v[17:18], 1.0
	v_fma_f64 v[17:18], v[17:18], v[19:20], v[17:18]
	v_fma_f64 v[19:20], -v[15:16], v[17:18], 1.0
	v_fma_f64 v[17:18], v[17:18], v[19:20], v[17:18]
	v_mul_f64 v[19:20], v[21:22], v[17:18]
	v_fma_f64 v[15:16], -v[15:16], v[19:20], v[21:22]
	v_div_fmas_f64 v[15:16], v[15:16], v[17:18], v[19:20]
	v_div_fixup_f64 v[15:16], v[15:16], v[13:14], 1.0
.LBB124_1017:
	s_or_b64 exec, exec, s[12:13]
	s_and_b64 s[10:11], s[10:11], exec
                                        ; implicit-def: $vgpr13_vgpr14
	s_andn2_saveexec_b64 s[2:3], s[2:3]
	s_cbranch_execz .LBB124_36
.LBB124_1018:
	v_lshlrev_b64 v[13:14], 3, v[13:14]
	v_mov_b32_e32 v1, s34
	v_add_co_u32_e32 v13, vcc, s95, v13
	v_addc_co_u32_e32 v14, vcc, v1, v14, vcc
	flat_load_dwordx2 v[15:16], v[13:14]
	s_or_b64 s[10:11], s[10:11], exec
	s_waitcnt vmcnt(0) lgkmcnt(0)
	v_xor_b32_e32 v16, 0x80000000, v16
	s_or_b64 exec, exec, s[2:3]
	s_and_saveexec_b64 s[2:3], s[10:11]
	s_cbranch_execnz .LBB124_37
	s_branch .LBB124_38
.LBB124_1019:
	v_cmp_ne_u32_e32 vcc, v0, v1
	s_xor_b64 s[10:11], s[0:1], -1
	s_or_b64 s[12:13], s[10:11], vcc
	s_mov_b64 s[10:11], 0
	s_and_saveexec_b64 s[14:15], s[12:13]
	s_xor_b64 s[12:13], exec, s[14:15]
; %bb.1020:
	v_or_b32_e32 v13, v1, v0
	v_cmp_gt_u32_e32 vcc, 64, v13
	s_and_b64 s[10:11], vcc, exec
                                        ; implicit-def: $vgpr13_vgpr14
; %bb.1021:
	s_or_saveexec_b64 s[12:13], s[12:13]
	v_mov_b32_e32 v15, 0
	v_mov_b32_e32 v16, 0
	s_xor_b64 exec, exec, s[12:13]
	s_cbranch_execz .LBB124_1023
; %bb.1022:
	v_lshlrev_b64 v[13:14], 3, v[13:14]
	v_mov_b32_e32 v15, s34
	v_add_co_u32_e32 v13, vcc, s95, v13
	v_addc_co_u32_e32 v14, vcc, v15, v14, vcc
	flat_load_dwordx2 v[13:14], v[13:14]
	s_or_b64 s[10:11], s[10:11], exec
	s_waitcnt vmcnt(0) lgkmcnt(0)
	v_div_scale_f64 v[15:16], s[14:15], v[13:14], v[13:14], 1.0
	v_div_scale_f64 v[21:22], vcc, 1.0, v[13:14], 1.0
	v_rcp_f64_e32 v[17:18], v[15:16]
	v_fma_f64 v[19:20], -v[15:16], v[17:18], 1.0
	v_fma_f64 v[17:18], v[17:18], v[19:20], v[17:18]
	v_fma_f64 v[19:20], -v[15:16], v[17:18], 1.0
	v_fma_f64 v[17:18], v[17:18], v[19:20], v[17:18]
	v_mul_f64 v[19:20], v[21:22], v[17:18]
	v_fma_f64 v[15:16], -v[15:16], v[19:20], v[21:22]
	v_div_fmas_f64 v[15:16], v[15:16], v[17:18], v[19:20]
	v_div_fixup_f64 v[15:16], v[15:16], v[13:14], 1.0
.LBB124_1023:
	s_or_b64 exec, exec, s[12:13]
	s_and_b64 s[10:11], s[10:11], exec
                                        ; implicit-def: $vgpr13_vgpr14
	s_andn2_saveexec_b64 s[2:3], s[2:3]
	s_cbranch_execz .LBB124_40
.LBB124_1024:
	v_lshlrev_b64 v[13:14], 3, v[13:14]
	v_mov_b32_e32 v15, s34
	v_add_co_u32_e32 v13, vcc, s95, v13
	v_addc_co_u32_e32 v14, vcc, v15, v14, vcc
	flat_load_dwordx2 v[15:16], v[13:14]
	s_or_b64 s[10:11], s[10:11], exec
	s_waitcnt vmcnt(0) lgkmcnt(0)
	v_xor_b32_e32 v16, 0x80000000, v16
	s_or_b64 exec, exec, s[2:3]
	s_and_saveexec_b64 s[2:3], s[10:11]
	s_cbranch_execnz .LBB124_41
	s_branch .LBB124_42
.LBB124_1025:
	v_cmp_ne_u32_e32 vcc, v0, v1
	s_xor_b64 s[10:11], s[0:1], -1
	s_or_b64 s[12:13], s[10:11], vcc
	s_mov_b64 s[10:11], 0
	s_and_saveexec_b64 s[14:15], s[12:13]
	s_xor_b64 s[12:13], exec, s[14:15]
; %bb.1026:
	v_or_b32_e32 v13, v1, v0
	v_cmp_gt_u32_e32 vcc, 64, v13
	s_and_b64 s[10:11], vcc, exec
                                        ; implicit-def: $vgpr13_vgpr14
; %bb.1027:
	s_or_saveexec_b64 s[12:13], s[12:13]
	v_mov_b32_e32 v15, 0
	v_mov_b32_e32 v16, 0
	s_xor_b64 exec, exec, s[12:13]
	s_cbranch_execz .LBB124_1029
; %bb.1028:
	v_lshlrev_b64 v[13:14], 3, v[13:14]
	v_mov_b32_e32 v15, s34
	v_add_co_u32_e32 v13, vcc, s95, v13
	v_addc_co_u32_e32 v14, vcc, v15, v14, vcc
	flat_load_dwordx2 v[13:14], v[13:14]
	s_or_b64 s[10:11], s[10:11], exec
	s_waitcnt vmcnt(0) lgkmcnt(0)
	v_div_scale_f64 v[15:16], s[14:15], v[13:14], v[13:14], 1.0
	v_div_scale_f64 v[21:22], vcc, 1.0, v[13:14], 1.0
	v_rcp_f64_e32 v[17:18], v[15:16]
	v_fma_f64 v[19:20], -v[15:16], v[17:18], 1.0
	v_fma_f64 v[17:18], v[17:18], v[19:20], v[17:18]
	v_fma_f64 v[19:20], -v[15:16], v[17:18], 1.0
	v_fma_f64 v[17:18], v[17:18], v[19:20], v[17:18]
	v_mul_f64 v[19:20], v[21:22], v[17:18]
	v_fma_f64 v[15:16], -v[15:16], v[19:20], v[21:22]
	v_div_fmas_f64 v[15:16], v[15:16], v[17:18], v[19:20]
	v_div_fixup_f64 v[15:16], v[15:16], v[13:14], 1.0
.LBB124_1029:
	s_or_b64 exec, exec, s[12:13]
	s_and_b64 s[10:11], s[10:11], exec
                                        ; implicit-def: $vgpr13_vgpr14
	s_andn2_saveexec_b64 s[2:3], s[2:3]
	s_cbranch_execz .LBB124_44
.LBB124_1030:
	v_lshlrev_b64 v[13:14], 3, v[13:14]
	v_mov_b32_e32 v15, s34
	v_add_co_u32_e32 v13, vcc, s95, v13
	v_addc_co_u32_e32 v14, vcc, v15, v14, vcc
	flat_load_dwordx2 v[15:16], v[13:14]
	s_or_b64 s[10:11], s[10:11], exec
	s_waitcnt vmcnt(0) lgkmcnt(0)
	v_xor_b32_e32 v16, 0x80000000, v16
	s_or_b64 exec, exec, s[2:3]
	s_and_saveexec_b64 s[2:3], s[10:11]
	s_cbranch_execnz .LBB124_45
	s_branch .LBB124_46
.LBB124_1031:
	s_or_b64 exec, exec, s[8:9]
	s_and_b64 vcc, exec, s[6:7]
	s_cbranch_vccnz .LBB124_969
.LBB124_1032:
	v_mov_b32_e32 v12, v2
	v_mov_b32_e32 v11, v1
	s_and_saveexec_b64 s[0:1], s[4:5]
	s_cbranch_execnz .LBB124_990
	s_branch .LBB124_991
.LBB124_1033:
	s_andn2_b64 s[2:3], s[4:5], exec
	s_and_b64 s[4:5], s[0:1], exec
	s_or_b64 s[4:5], s[2:3], s[4:5]
	s_cbranch_execnz .LBB124_989
.LBB124_1034:
	v_cmp_gt_i32_e32 vcc, s94, v0
	s_and_b64 s[0:1], s[0:1], vcc
	s_andn2_b64 s[2:3], s[4:5], exec
	s_and_b64 s[0:1], s[0:1], exec
	s_or_b64 s[4:5], s[2:3], s[0:1]
	s_and_saveexec_b64 s[0:1], s[4:5]
	s_cbranch_execnz .LBB124_990
	s_branch .LBB124_991
.LBB124_1035:
	ds_read_b64 v[21:22], v20 offset:31680
	ds_read_b64 v[23:24], v19 offset:31208
	s_waitcnt lgkmcnt(0)
	v_fma_f64 v[11:12], v[21:22], v[23:24], v[11:12]
	s_or_b64 exec, exec, s[14:15]
	v_cmp_gt_u32_e64 s[10:11], 8, v15
	s_and_saveexec_b64 s[14:15], s[10:11]
	s_cbranch_execz .LBB124_77
.LBB124_1036:
	ds_read_b64 v[20:21], v20 offset:32192
	ds_read_b64 v[22:23], v19 offset:31216
	s_waitcnt lgkmcnt(0)
	v_fma_f64 v[11:12], v[20:21], v[22:23], v[11:12]
	s_or_b64 exec, exec, s[14:15]
	v_cmp_gt_u32_e64 s[10:11], 4, v15
	s_and_saveexec_b64 s[14:15], s[10:11]
	s_cbranch_execnz .LBB124_78
	s_branch .LBB124_79
.LBB124_1037:
	ds_read_b64 v[24:25], v23 offset:29568
	ds_read_b64 v[26:27], v22 offset:29128
	s_waitcnt lgkmcnt(0)
	v_fma_f64 v[11:12], v[24:25], v[26:27], v[11:12]
	s_or_b64 exec, exec, s[16:17]
	v_cmp_gt_u32_e64 s[10:11], 48, v15
	s_and_saveexec_b64 s[16:17], s[10:11]
	s_cbranch_execz .LBB124_115
.LBB124_1038:
	ds_read_b64 v[24:25], v23 offset:30080
	ds_read_b64 v[26:27], v22 offset:29136
	s_waitcnt lgkmcnt(0)
	v_fma_f64 v[11:12], v[24:25], v[26:27], v[11:12]
	s_or_b64 exec, exec, s[16:17]
	v_cmp_gt_u32_e64 s[10:11], 40, v15
	s_and_saveexec_b64 s[16:17], s[10:11]
	s_cbranch_execz .LBB124_116
.LBB124_1039:
	ds_read_b64 v[24:25], v23 offset:30592
	ds_read_b64 v[26:27], v22 offset:29144
	s_waitcnt lgkmcnt(0)
	v_fma_f64 v[11:12], v[24:25], v[26:27], v[11:12]
	s_or_b64 exec, exec, s[16:17]
	v_cmp_gt_u32_e64 s[10:11], 32, v15
	s_and_saveexec_b64 s[16:17], s[10:11]
	s_cbranch_execz .LBB124_117
.LBB124_1040:
	ds_read_b64 v[24:25], v23 offset:31104
	ds_read_b64 v[26:27], v22 offset:29152
	s_waitcnt lgkmcnt(0)
	v_fma_f64 v[11:12], v[24:25], v[26:27], v[11:12]
	s_or_b64 exec, exec, s[16:17]
	v_cmp_gt_u32_e64 s[10:11], 24, v15
	s_and_saveexec_b64 s[16:17], s[10:11]
	s_cbranch_execz .LBB124_118
.LBB124_1041:
	ds_read_b64 v[24:25], v23 offset:31616
	ds_read_b64 v[26:27], v22 offset:29160
	s_waitcnt lgkmcnt(0)
	v_fma_f64 v[11:12], v[24:25], v[26:27], v[11:12]
	s_or_b64 exec, exec, s[16:17]
	s_and_saveexec_b64 s[10:11], s[2:3]
	s_cbranch_execz .LBB124_119
.LBB124_1042:
	ds_read_b64 v[23:24], v23 offset:32128
	ds_read_b64 v[25:26], v22 offset:29168
	s_waitcnt lgkmcnt(0)
	v_fma_f64 v[11:12], v[23:24], v[25:26], v[11:12]
	s_or_b64 exec, exec, s[10:11]
	v_cmp_gt_u32_e64 s[10:11], 8, v15
	s_and_saveexec_b64 s[16:17], s[10:11]
	s_cbranch_execnz .LBB124_120
	s_branch .LBB124_121
.LBB124_1043:
	ds_read_b64 v[24:25], v23 offset:27520
	ds_read_b64 v[26:27], v22 offset:27048
	s_waitcnt lgkmcnt(0)
	v_fma_f64 v[11:12], v[24:25], v[26:27], v[11:12]
	s_or_b64 exec, exec, s[12:13]
	v_cmp_gt_u32_e64 s[8:9], 8, v15
	s_and_saveexec_b64 s[12:13], s[8:9]
	s_cbranch_execz .LBB124_173
.LBB124_1044:
	ds_read_b64 v[23:24], v23 offset:28032
	ds_read_b64 v[25:26], v22 offset:27056
	s_waitcnt lgkmcnt(0)
	v_fma_f64 v[11:12], v[23:24], v[25:26], v[11:12]
	s_or_b64 exec, exec, s[12:13]
	v_cmp_gt_u32_e64 s[8:9], 4, v15
	s_and_saveexec_b64 s[12:13], s[8:9]
	s_cbranch_execnz .LBB124_174
	s_branch .LBB124_175
.LBB124_1045:
	ds_read_b64 v[27:28], v26 offset:30464
	ds_read_b64 v[29:30], v25 offset:25048
	s_waitcnt lgkmcnt(0)
	v_fma_f64 v[11:12], v[27:28], v[29:30], v[11:12]
	s_or_b64 exec, exec, s[30:31]
	s_and_saveexec_b64 s[12:13], s[14:15]
	s_cbranch_execz .LBB124_231
.LBB124_1046:
	ds_read_b64 v[27:28], v26 offset:30976
	ds_read_b64 v[29:30], v25 offset:25056
	s_waitcnt lgkmcnt(0)
	v_fma_f64 v[11:12], v[27:28], v[29:30], v[11:12]
	s_or_b64 exec, exec, s[12:13]
	v_cmp_gt_u32_e64 s[12:13], 48, v15
	s_and_saveexec_b64 s[30:31], s[12:13]
	s_cbranch_execz .LBB124_232
.LBB124_1047:
	ds_read_b64 v[27:28], v26 offset:31488
	ds_read_b64 v[29:30], v25 offset:25064
	s_waitcnt lgkmcnt(0)
	v_fma_f64 v[11:12], v[27:28], v[29:30], v[11:12]
	s_or_b64 exec, exec, s[30:31]
	v_cmp_gt_u32_e64 s[12:13], 32, v15
	s_and_saveexec_b64 s[30:31], s[12:13]
	s_cbranch_execz .LBB124_233
.LBB124_1048:
	ds_read_b64 v[26:27], v26 offset:32000
	ds_read_b64 v[28:29], v25 offset:25072
	s_waitcnt lgkmcnt(0)
	v_fma_f64 v[11:12], v[26:27], v[28:29], v[11:12]
	s_or_b64 exec, exec, s[30:31]
	v_cmp_gt_u32_e64 s[12:13], 16, v15
	s_and_saveexec_b64 s[30:31], s[12:13]
	s_cbranch_execnz .LBB124_234
	s_branch .LBB124_235
.LBB124_1049:
	ds_read_b64 v[27:28], v26 offset:23360
	ds_read_b64 v[29:30], v25 offset:22888
	s_waitcnt lgkmcnt(0)
	v_fma_f64 v[11:12], v[27:28], v[29:30], v[11:12]
	s_or_b64 exec, exec, s[16:17]
	v_cmp_gt_u32_e64 s[10:11], 8, v15
	s_and_saveexec_b64 s[16:17], s[10:11]
	s_cbranch_execz .LBB124_319
.LBB124_1050:
	ds_read_b64 v[26:27], v26 offset:23872
	ds_read_b64 v[28:29], v25 offset:22896
	s_waitcnt lgkmcnt(0)
	v_fma_f64 v[11:12], v[26:27], v[28:29], v[11:12]
	s_or_b64 exec, exec, s[16:17]
	v_cmp_gt_u32_e64 s[10:11], 4, v15
	s_and_saveexec_b64 s[16:17], s[10:11]
	s_cbranch_execnz .LBB124_320
	s_branch .LBB124_321
.LBB124_1051:
	ds_read_b64 v[27:28], v26 offset:21248
	ds_read_b64 v[29:30], v25 offset:20808
	s_waitcnt lgkmcnt(0)
	v_fma_f64 v[11:12], v[27:28], v[29:30], v[11:12]
	s_or_b64 exec, exec, s[16:17]
	v_cmp_gt_u32_e64 s[10:11], 48, v15
	s_and_saveexec_b64 s[16:17], s[10:11]
	s_cbranch_execz .LBB124_357
.LBB124_1052:
	ds_read_b64 v[27:28], v26 offset:21760
	ds_read_b64 v[29:30], v25 offset:20816
	s_waitcnt lgkmcnt(0)
	v_fma_f64 v[11:12], v[27:28], v[29:30], v[11:12]
	s_or_b64 exec, exec, s[16:17]
	v_cmp_gt_u32_e64 s[10:11], 40, v15
	s_and_saveexec_b64 s[16:17], s[10:11]
	s_cbranch_execz .LBB124_358
.LBB124_1053:
	ds_read_b64 v[27:28], v26 offset:22272
	ds_read_b64 v[29:30], v25 offset:20824
	s_waitcnt lgkmcnt(0)
	v_fma_f64 v[11:12], v[27:28], v[29:30], v[11:12]
	s_or_b64 exec, exec, s[16:17]
	v_cmp_gt_u32_e64 s[10:11], 32, v15
	s_and_saveexec_b64 s[16:17], s[10:11]
	s_cbranch_execz .LBB124_359
.LBB124_1054:
	ds_read_b64 v[27:28], v26 offset:22784
	ds_read_b64 v[29:30], v25 offset:20832
	s_waitcnt lgkmcnt(0)
	v_fma_f64 v[11:12], v[27:28], v[29:30], v[11:12]
	s_or_b64 exec, exec, s[16:17]
	v_cmp_gt_u32_e64 s[10:11], 24, v15
	s_and_saveexec_b64 s[16:17], s[10:11]
	s_cbranch_execz .LBB124_360
.LBB124_1055:
	ds_read_b64 v[27:28], v26 offset:23296
	ds_read_b64 v[29:30], v25 offset:20840
	s_waitcnt lgkmcnt(0)
	v_fma_f64 v[11:12], v[27:28], v[29:30], v[11:12]
	s_or_b64 exec, exec, s[16:17]
	s_and_saveexec_b64 s[10:11], s[2:3]
	s_cbranch_execz .LBB124_361
.LBB124_1056:
	ds_read_b64 v[26:27], v26 offset:23808
	ds_read_b64 v[28:29], v25 offset:20848
	s_waitcnt lgkmcnt(0)
	v_fma_f64 v[11:12], v[26:27], v[28:29], v[11:12]
	s_or_b64 exec, exec, s[10:11]
	v_cmp_gt_u32_e64 s[10:11], 8, v15
	s_and_saveexec_b64 s[16:17], s[10:11]
	s_cbranch_execnz .LBB124_362
	s_branch .LBB124_363
.LBB124_1057:
	ds_read_b64 v[27:28], v26 offset:19200
	ds_read_b64 v[29:30], v25 offset:18728
	s_waitcnt lgkmcnt(0)
	v_fma_f64 v[11:12], v[27:28], v[29:30], v[11:12]
	s_or_b64 exec, exec, s[16:17]
	v_cmp_gt_u32_e64 s[10:11], 8, v15
	s_and_saveexec_b64 s[16:17], s[10:11]
	s_cbranch_execz .LBB124_415
.LBB124_1058:
	ds_read_b64 v[26:27], v26 offset:19712
	ds_read_b64 v[28:29], v25 offset:18736
	s_waitcnt lgkmcnt(0)
	v_fma_f64 v[11:12], v[26:27], v[28:29], v[11:12]
	s_or_b64 exec, exec, s[16:17]
	v_cmp_gt_u32_e64 s[10:11], 4, v15
	s_and_saveexec_b64 s[16:17], s[10:11]
	s_cbranch_execnz .LBB124_416
	s_branch .LBB124_417
.LBB124_1059:
	ds_read_b64 v[30:31], v29 offset:31232
	ds_read_b64 v[32:33], v28 offset:16872
	s_waitcnt lgkmcnt(0)
	v_fma_f64 v[11:12], v[30:31], v[32:33], v[11:12]
	s_or_b64 exec, exec, s[92:93]
	s_and_saveexec_b64 s[16:17], s[14:15]
	s_cbranch_execz .LBB124_509
.LBB124_1060:
	ds_read_b64 v[29:30], v29 offset:31744
	ds_read_b64 v[31:32], v28 offset:16880
	s_waitcnt lgkmcnt(0)
	v_fma_f64 v[11:12], v[29:30], v[31:32], v[11:12]
	s_or_b64 exec, exec, s[16:17]
	v_cmp_gt_u32_e64 s[16:17], 32, v15
	s_and_saveexec_b64 s[92:93], s[16:17]
	s_cbranch_execnz .LBB124_510
	s_branch .LBB124_511
.LBB124_1061:
	ds_read_b64 v[27:28], v26 offset:15040
	ds_read_b64 v[29:30], v25 offset:14568
	s_waitcnt lgkmcnt(0)
	v_fma_f64 v[11:12], v[27:28], v[29:30], v[11:12]
	s_or_b64 exec, exec, s[16:17]
	v_cmp_gt_u32_e64 s[10:11], 8, v15
	s_and_saveexec_b64 s[16:17], s[10:11]
	s_cbranch_execz .LBB124_551
.LBB124_1062:
	ds_read_b64 v[26:27], v26 offset:15552
	ds_read_b64 v[28:29], v25 offset:14576
	s_waitcnt lgkmcnt(0)
	v_fma_f64 v[11:12], v[26:27], v[28:29], v[11:12]
	s_or_b64 exec, exec, s[16:17]
	v_cmp_gt_u32_e64 s[10:11], 4, v15
	s_and_saveexec_b64 s[16:17], s[10:11]
	s_cbranch_execnz .LBB124_552
	s_branch .LBB124_553
.LBB124_1063:
	ds_read_b64 v[27:28], v26 offset:12928
	ds_read_b64 v[29:30], v25 offset:12488
	s_waitcnt lgkmcnt(0)
	v_fma_f64 v[11:12], v[27:28], v[29:30], v[11:12]
	s_or_b64 exec, exec, s[16:17]
	v_cmp_gt_u32_e64 s[10:11], 48, v15
	s_and_saveexec_b64 s[16:17], s[10:11]
	s_cbranch_execz .LBB124_589
.LBB124_1064:
	ds_read_b64 v[27:28], v26 offset:13440
	ds_read_b64 v[29:30], v25 offset:12496
	s_waitcnt lgkmcnt(0)
	v_fma_f64 v[11:12], v[27:28], v[29:30], v[11:12]
	s_or_b64 exec, exec, s[16:17]
	v_cmp_gt_u32_e64 s[10:11], 40, v15
	s_and_saveexec_b64 s[16:17], s[10:11]
	s_cbranch_execz .LBB124_590
.LBB124_1065:
	ds_read_b64 v[27:28], v26 offset:13952
	ds_read_b64 v[29:30], v25 offset:12504
	s_waitcnt lgkmcnt(0)
	v_fma_f64 v[11:12], v[27:28], v[29:30], v[11:12]
	s_or_b64 exec, exec, s[16:17]
	v_cmp_gt_u32_e64 s[10:11], 32, v15
	s_and_saveexec_b64 s[16:17], s[10:11]
	s_cbranch_execz .LBB124_591
.LBB124_1066:
	ds_read_b64 v[27:28], v26 offset:14464
	ds_read_b64 v[29:30], v25 offset:12512
	s_waitcnt lgkmcnt(0)
	v_fma_f64 v[11:12], v[27:28], v[29:30], v[11:12]
	s_or_b64 exec, exec, s[16:17]
	v_cmp_gt_u32_e64 s[10:11], 24, v15
	s_and_saveexec_b64 s[16:17], s[10:11]
	s_cbranch_execz .LBB124_592
.LBB124_1067:
	ds_read_b64 v[27:28], v26 offset:14976
	ds_read_b64 v[29:30], v25 offset:12520
	s_waitcnt lgkmcnt(0)
	v_fma_f64 v[11:12], v[27:28], v[29:30], v[11:12]
	s_or_b64 exec, exec, s[16:17]
	s_and_saveexec_b64 s[10:11], s[2:3]
	s_cbranch_execz .LBB124_593
.LBB124_1068:
	ds_read_b64 v[26:27], v26 offset:15488
	ds_read_b64 v[28:29], v25 offset:12528
	s_waitcnt lgkmcnt(0)
	v_fma_f64 v[11:12], v[26:27], v[28:29], v[11:12]
	s_or_b64 exec, exec, s[10:11]
	v_cmp_gt_u32_e64 s[10:11], 8, v15
	s_and_saveexec_b64 s[16:17], s[10:11]
	s_cbranch_execnz .LBB124_594
	s_branch .LBB124_595
.LBB124_1069:
	ds_read_b64 v[27:28], v26 offset:10880
	ds_read_b64 v[29:30], v25 offset:10408
	s_waitcnt lgkmcnt(0)
	v_fma_f64 v[11:12], v[27:28], v[29:30], v[11:12]
	s_or_b64 exec, exec, s[16:17]
	v_cmp_gt_u32_e64 s[10:11], 8, v15
	s_and_saveexec_b64 s[16:17], s[10:11]
	s_cbranch_execz .LBB124_647
.LBB124_1070:
	ds_read_b64 v[26:27], v26 offset:11392
	ds_read_b64 v[28:29], v25 offset:10416
	s_waitcnt lgkmcnt(0)
	v_fma_f64 v[11:12], v[26:27], v[28:29], v[11:12]
	s_or_b64 exec, exec, s[16:17]
	v_cmp_gt_u32_e64 s[10:11], 4, v15
	s_and_saveexec_b64 s[16:17], s[10:11]
	s_cbranch_execnz .LBB124_648
	s_branch .LBB124_649
.LBB124_1071:
	ds_read_b64 v[27:28], v26 offset:13824
	ds_read_b64 v[29:30], v25 offset:8408
	s_waitcnt lgkmcnt(0)
	v_fma_f64 v[11:12], v[27:28], v[29:30], v[11:12]
	s_or_b64 exec, exec, s[16:17]
	s_and_saveexec_b64 s[10:11], s[14:15]
	s_cbranch_execz .LBB124_705
.LBB124_1072:
	ds_read_b64 v[27:28], v26 offset:14336
	ds_read_b64 v[29:30], v25 offset:8416
	s_waitcnt lgkmcnt(0)
	v_fma_f64 v[11:12], v[27:28], v[29:30], v[11:12]
	s_or_b64 exec, exec, s[10:11]
	v_cmp_gt_u32_e64 s[10:11], 48, v15
	s_and_saveexec_b64 s[16:17], s[10:11]
	s_cbranch_execz .LBB124_706
.LBB124_1073:
	ds_read_b64 v[27:28], v26 offset:14848
	ds_read_b64 v[29:30], v25 offset:8424
	s_waitcnt lgkmcnt(0)
	v_fma_f64 v[11:12], v[27:28], v[29:30], v[11:12]
	s_or_b64 exec, exec, s[16:17]
	v_cmp_gt_u32_e64 s[10:11], 32, v15
	s_and_saveexec_b64 s[16:17], s[10:11]
	s_cbranch_execz .LBB124_707
.LBB124_1074:
	ds_read_b64 v[26:27], v26 offset:15360
	ds_read_b64 v[28:29], v25 offset:8432
	s_waitcnt lgkmcnt(0)
	v_fma_f64 v[11:12], v[26:27], v[28:29], v[11:12]
	s_or_b64 exec, exec, s[16:17]
	v_cmp_gt_u32_e64 s[10:11], 16, v15
	s_and_saveexec_b64 s[16:17], s[10:11]
	s_cbranch_execnz .LBB124_708
	s_branch .LBB124_709
.LBB124_1075:
	ds_read_b64 v[24:25], v23 offset:6720
	ds_read_b64 v[26:27], v22 offset:6248
	s_waitcnt lgkmcnt(0)
	v_fma_f64 v[11:12], v[24:25], v[26:27], v[11:12]
	s_or_b64 exec, exec, s[12:13]
	v_cmp_gt_u32_e64 s[8:9], 8, v15
	s_and_saveexec_b64 s[12:13], s[8:9]
	s_cbranch_execz .LBB124_793
.LBB124_1076:
	ds_read_b64 v[23:24], v23 offset:7232
	ds_read_b64 v[25:26], v22 offset:6256
	s_waitcnt lgkmcnt(0)
	v_fma_f64 v[11:12], v[23:24], v[25:26], v[11:12]
	s_or_b64 exec, exec, s[12:13]
	v_cmp_gt_u32_e64 s[8:9], 4, v15
	s_and_saveexec_b64 s[12:13], s[8:9]
	s_cbranch_execnz .LBB124_794
	s_branch .LBB124_795
.LBB124_1077:
	ds_read_b64 v[24:25], v23 offset:4608
	ds_read_b64 v[26:27], v22 offset:4168
	s_waitcnt lgkmcnt(0)
	v_fma_f64 v[11:12], v[24:25], v[26:27], v[11:12]
	s_or_b64 exec, exec, s[12:13]
	v_cmp_gt_u32_e64 s[8:9], 48, v15
	s_and_saveexec_b64 s[12:13], s[8:9]
	s_cbranch_execz .LBB124_831
.LBB124_1078:
	ds_read_b64 v[24:25], v23 offset:5120
	ds_read_b64 v[26:27], v22 offset:4176
	s_waitcnt lgkmcnt(0)
	v_fma_f64 v[11:12], v[24:25], v[26:27], v[11:12]
	s_or_b64 exec, exec, s[12:13]
	v_cmp_gt_u32_e64 s[8:9], 40, v15
	s_and_saveexec_b64 s[12:13], s[8:9]
	s_cbranch_execz .LBB124_832
.LBB124_1079:
	ds_read_b64 v[24:25], v23 offset:5632
	ds_read_b64 v[26:27], v22 offset:4184
	s_waitcnt lgkmcnt(0)
	v_fma_f64 v[11:12], v[24:25], v[26:27], v[11:12]
	s_or_b64 exec, exec, s[12:13]
	v_cmp_gt_u32_e64 s[8:9], 32, v15
	s_and_saveexec_b64 s[12:13], s[8:9]
	s_cbranch_execz .LBB124_833
.LBB124_1080:
	ds_read_b64 v[24:25], v23 offset:6144
	ds_read_b64 v[26:27], v22 offset:4192
	s_waitcnt lgkmcnt(0)
	v_fma_f64 v[11:12], v[24:25], v[26:27], v[11:12]
	s_or_b64 exec, exec, s[12:13]
	v_cmp_gt_u32_e64 s[8:9], 24, v15
	s_and_saveexec_b64 s[12:13], s[8:9]
	s_cbranch_execz .LBB124_834
.LBB124_1081:
	ds_read_b64 v[24:25], v23 offset:6656
	ds_read_b64 v[26:27], v22 offset:4200
	s_waitcnt lgkmcnt(0)
	v_fma_f64 v[11:12], v[24:25], v[26:27], v[11:12]
	s_or_b64 exec, exec, s[12:13]
	s_and_saveexec_b64 s[8:9], s[2:3]
	s_cbranch_execz .LBB124_835
.LBB124_1082:
	ds_read_b64 v[23:24], v23 offset:7168
	ds_read_b64 v[25:26], v22 offset:4208
	s_waitcnt lgkmcnt(0)
	v_fma_f64 v[11:12], v[23:24], v[25:26], v[11:12]
	s_or_b64 exec, exec, s[8:9]
	v_cmp_gt_u32_e64 s[8:9], 8, v15
	s_and_saveexec_b64 s[12:13], s[8:9]
	s_cbranch_execnz .LBB124_836
	s_branch .LBB124_837
.LBB124_1083:
	ds_read_b64 v[21:22], v20 offset:2560
	ds_read_b64 v[23:24], v19 offset:2088
	s_waitcnt lgkmcnt(0)
	v_fma_f64 v[11:12], v[21:22], v[23:24], v[11:12]
	s_or_b64 exec, exec, s[12:13]
	v_cmp_gt_u32_e64 s[8:9], 8, v15
	s_and_saveexec_b64 s[12:13], s[8:9]
	s_cbranch_execz .LBB124_889
.LBB124_1084:
	ds_read_b64 v[20:21], v20 offset:3072
	ds_read_b64 v[22:23], v19 offset:2096
	s_waitcnt lgkmcnt(0)
	v_fma_f64 v[11:12], v[20:21], v[22:23], v[11:12]
	s_or_b64 exec, exec, s[12:13]
	v_cmp_gt_u32_e64 s[8:9], 4, v15
	s_and_saveexec_b64 s[12:13], s[8:9]
	s_cbranch_execnz .LBB124_890
	s_branch .LBB124_891
	.section	.rodata,"a",@progbits
	.p2align	6, 0x0
	.amdhsa_kernel _ZL19rocblas_trsv_deviceILi64ELi16ELb0ELb0ELb0ELb0EdPKdPKS1_PKPdEviT7_lllT6_T8_lllPii
		.amdhsa_group_segment_fixed_size 41480
		.amdhsa_private_segment_fixed_size 0
		.amdhsa_kernarg_size 352
		.amdhsa_user_sgpr_count 6
		.amdhsa_user_sgpr_private_segment_buffer 1
		.amdhsa_user_sgpr_dispatch_ptr 0
		.amdhsa_user_sgpr_queue_ptr 0
		.amdhsa_user_sgpr_kernarg_segment_ptr 1
		.amdhsa_user_sgpr_dispatch_id 0
		.amdhsa_user_sgpr_flat_scratch_init 0
		.amdhsa_user_sgpr_private_segment_size 0
		.amdhsa_uses_dynamic_stack 0
		.amdhsa_system_sgpr_private_segment_wavefront_offset 0
		.amdhsa_system_sgpr_workgroup_id_x 1
		.amdhsa_system_sgpr_workgroup_id_y 0
		.amdhsa_system_sgpr_workgroup_id_z 1
		.amdhsa_system_sgpr_workgroup_info 0
		.amdhsa_system_vgpr_workitem_id 1
		.amdhsa_next_free_vgpr 49
		.amdhsa_next_free_sgpr 98
		.amdhsa_reserve_vcc 1
		.amdhsa_reserve_flat_scratch 0
		.amdhsa_float_round_mode_32 0
		.amdhsa_float_round_mode_16_64 0
		.amdhsa_float_denorm_mode_32 3
		.amdhsa_float_denorm_mode_16_64 3
		.amdhsa_dx10_clamp 1
		.amdhsa_ieee_mode 1
		.amdhsa_fp16_overflow 0
		.amdhsa_exception_fp_ieee_invalid_op 0
		.amdhsa_exception_fp_denorm_src 0
		.amdhsa_exception_fp_ieee_div_zero 0
		.amdhsa_exception_fp_ieee_overflow 0
		.amdhsa_exception_fp_ieee_underflow 0
		.amdhsa_exception_fp_ieee_inexact 0
		.amdhsa_exception_int_div_zero 0
	.end_amdhsa_kernel
	.section	.text._ZL19rocblas_trsv_deviceILi64ELi16ELb0ELb0ELb0ELb0EdPKdPKS1_PKPdEviT7_lllT6_T8_lllPii,"axG",@progbits,_ZL19rocblas_trsv_deviceILi64ELi16ELb0ELb0ELb0ELb0EdPKdPKS1_PKPdEviT7_lllT6_T8_lllPii,comdat
.Lfunc_end124:
	.size	_ZL19rocblas_trsv_deviceILi64ELi16ELb0ELb0ELb0ELb0EdPKdPKS1_PKPdEviT7_lllT6_T8_lllPii, .Lfunc_end124-_ZL19rocblas_trsv_deviceILi64ELi16ELb0ELb0ELb0ELb0EdPKdPKS1_PKPdEviT7_lllT6_T8_lllPii
                                        ; -- End function
	.set _ZL19rocblas_trsv_deviceILi64ELi16ELb0ELb0ELb0ELb0EdPKdPKS1_PKPdEviT7_lllT6_T8_lllPii.num_vgpr, 37
	.set _ZL19rocblas_trsv_deviceILi64ELi16ELb0ELb0ELb0ELb0EdPKdPKS1_PKPdEviT7_lllT6_T8_lllPii.num_agpr, 0
	.set _ZL19rocblas_trsv_deviceILi64ELi16ELb0ELb0ELb0ELb0EdPKdPKS1_PKPdEviT7_lllT6_T8_lllPii.numbered_sgpr, 96
	.set _ZL19rocblas_trsv_deviceILi64ELi16ELb0ELb0ELb0ELb0EdPKdPKS1_PKPdEviT7_lllT6_T8_lllPii.num_named_barrier, 0
	.set _ZL19rocblas_trsv_deviceILi64ELi16ELb0ELb0ELb0ELb0EdPKdPKS1_PKPdEviT7_lllT6_T8_lllPii.private_seg_size, 0
	.set _ZL19rocblas_trsv_deviceILi64ELi16ELb0ELb0ELb0ELb0EdPKdPKS1_PKPdEviT7_lllT6_T8_lllPii.uses_vcc, 1
	.set _ZL19rocblas_trsv_deviceILi64ELi16ELb0ELb0ELb0ELb0EdPKdPKS1_PKPdEviT7_lllT6_T8_lllPii.uses_flat_scratch, 0
	.set _ZL19rocblas_trsv_deviceILi64ELi16ELb0ELb0ELb0ELb0EdPKdPKS1_PKPdEviT7_lllT6_T8_lllPii.has_dyn_sized_stack, 0
	.set _ZL19rocblas_trsv_deviceILi64ELi16ELb0ELb0ELb0ELb0EdPKdPKS1_PKPdEviT7_lllT6_T8_lllPii.has_recursion, 0
	.set _ZL19rocblas_trsv_deviceILi64ELi16ELb0ELb0ELb0ELb0EdPKdPKS1_PKPdEviT7_lllT6_T8_lllPii.has_indirect_call, 0
	.section	.AMDGPU.csdata,"",@progbits
; Kernel info:
; codeLenInByte = 34724
; TotalNumSgprs: 100
; NumVgprs: 37
; ScratchSize: 0
; MemoryBound: 0
; FloatMode: 240
; IeeeMode: 1
; LDSByteSize: 41480 bytes/workgroup (compile time only)
; SGPRBlocks: 12
; VGPRBlocks: 12
; NumSGPRsForWavesPerEU: 102
; NumVGPRsForWavesPerEU: 49
; Occupancy: 4
; WaveLimiterHint : 1
; COMPUTE_PGM_RSRC2:SCRATCH_EN: 0
; COMPUTE_PGM_RSRC2:USER_SGPR: 6
; COMPUTE_PGM_RSRC2:TRAP_HANDLER: 0
; COMPUTE_PGM_RSRC2:TGID_X_EN: 1
; COMPUTE_PGM_RSRC2:TGID_Y_EN: 0
; COMPUTE_PGM_RSRC2:TGID_Z_EN: 1
; COMPUTE_PGM_RSRC2:TIDIG_COMP_CNT: 1
	.section	.text._ZL19rocblas_trsv_deviceILi64ELi16ELb0ELb1ELb0ELb0EdPKdPKS1_PKPdEviT7_lllT6_T8_lllPii,"axG",@progbits,_ZL19rocblas_trsv_deviceILi64ELi16ELb0ELb1ELb0ELb0EdPKdPKS1_PKPdEviT7_lllT6_T8_lllPii,comdat
	.globl	_ZL19rocblas_trsv_deviceILi64ELi16ELb0ELb1ELb0ELb0EdPKdPKS1_PKPdEviT7_lllT6_T8_lllPii ; -- Begin function _ZL19rocblas_trsv_deviceILi64ELi16ELb0ELb1ELb0ELb0EdPKdPKS1_PKPdEviT7_lllT6_T8_lllPii
	.p2align	8
	.type	_ZL19rocblas_trsv_deviceILi64ELi16ELb0ELb1ELb0ELb0EdPKdPKS1_PKPdEviT7_lllT6_T8_lllPii,@function
_ZL19rocblas_trsv_deviceILi64ELi16ELb0ELb1ELb0ELb0EdPKdPKS1_PKPdEviT7_lllT6_T8_lllPii: ; @_ZL19rocblas_trsv_deviceILi64ELi16ELb0ELb1ELb0ELb0EdPKdPKS1_PKPdEviT7_lllT6_T8_lllPii
; %bb.0:
	s_load_dwordx4 s[0:3], s[4:5], 0x8
	s_mov_b32 s28, s7
	s_mov_b32 s29, 0
	s_lshl_b64 s[8:9], s[28:29], 3
	v_mov_b32_e32 v2, v1
	s_waitcnt lgkmcnt(0)
	s_add_u32 s0, s0, s8
	s_addc_u32 s1, s1, s9
	s_load_dwordx2 s[10:11], s[0:1], 0x0
	s_load_dword s7, s[4:5], 0x0
	s_load_dwordx8 s[20:27], s[4:5], 0x28
	s_load_dwordx2 s[30:31], s[4:5], 0x18
	s_lshl_b64 s[0:1], s[2:3], 3
	s_waitcnt lgkmcnt(0)
	s_add_u32 s37, s10, s0
	s_addc_u32 s90, s11, s1
	s_add_u32 s0, s22, s8
	s_addc_u32 s1, s23, s9
	s_load_dwordx2 s[58:59], s[0:1], 0x0
	s_load_dwordx2 s[34:35], s[20:21], 0x0
	s_load_dword s91, s[4:5], 0x6c
	s_cmp_eq_u32 s6, 0
	s_cbranch_scc1 .LBB125_10
; %bb.1:
	s_lshl_b32 s33, s6, 6
	v_add_u32_e32 v1, s33, v0
	v_ashrrev_i32_e32 v3, 31, v1
	v_mul_lo_u32 v5, s30, v3
	v_mul_lo_u32 v6, s31, v1
	v_mad_u64_u32 v[3:4], s[0:1], s30, v1, 0
	v_add_u32_e32 v7, s33, v2
	v_subrev_u32_e32 v11, 64, v7
	v_add3_u32 v4, v4, v5, v6
	v_lshlrev_b64 v[3:4], 3, v[3:4]
	v_ashrrev_i32_e32 v12, 31, v11
	v_cmp_gt_i32_e32 vcc, s7, v1
	v_mov_b32_e32 v1, s90
	v_add_co_u32_e64 v5, s[0:1], s37, v3
	v_addc_co_u32_e64 v1, s[0:1], v1, v4, s[0:1]
	v_lshlrev_b64 v[3:4], 3, v[11:12]
	s_waitcnt lgkmcnt(0)
	v_add_co_u32_e64 v12, s[0:1], v5, v3
	v_addc_co_u32_e64 v13, s[0:1], v1, v4, s[0:1]
	v_cmp_gt_i32_e64 s[0:1], s7, v11
	v_mov_b32_e32 v3, 0
	v_mov_b32_e32 v5, 0
	;; [unrolled: 1-line block ×4, first 2 shown]
	s_and_b64 s[2:3], s[0:1], vcc
	s_barrier
	s_and_saveexec_b64 s[0:1], s[2:3]
	s_cbranch_execz .LBB125_3
; %bb.2:
	flat_load_dwordx2 v[5:6], v[12:13]
.LBB125_3:
	s_or_b64 exec, exec, s[0:1]
	v_add_u32_e32 v1, 16, v11
	v_cmp_gt_i32_e64 s[0:1], s7, v1
	s_and_b64 s[2:3], s[0:1], vcc
	s_waitcnt vmcnt(0) lgkmcnt(0)
	s_barrier
	s_and_saveexec_b64 s[0:1], s[2:3]
	s_cbranch_execz .LBB125_5
; %bb.4:
	flat_load_dwordx2 v[3:4], v[12:13] offset:128
.LBB125_5:
	s_or_b64 exec, exec, s[0:1]
	v_add_u32_e32 v1, 32, v11
	v_cmp_gt_i32_e64 s[0:1], s7, v1
	v_mov_b32_e32 v7, 0
	v_mov_b32_e32 v9, 0
	;; [unrolled: 1-line block ×4, first 2 shown]
	s_and_b64 s[2:3], s[0:1], vcc
	s_waitcnt vmcnt(0) lgkmcnt(0)
	s_barrier
	s_and_saveexec_b64 s[0:1], s[2:3]
	s_cbranch_execz .LBB125_7
; %bb.6:
	flat_load_dwordx2 v[9:10], v[12:13] offset:256
.LBB125_7:
	s_or_b64 exec, exec, s[0:1]
	v_add_u32_e32 v1, 48, v11
	v_cmp_gt_i32_e64 s[0:1], s7, v1
	s_and_b64 s[2:3], s[0:1], vcc
	s_waitcnt vmcnt(0) lgkmcnt(0)
	s_barrier
	s_and_saveexec_b64 s[0:1], s[2:3]
	s_cbranch_execz .LBB125_9
; %bb.8:
	flat_load_dwordx2 v[7:8], v[12:13] offset:384
.LBB125_9:
	s_or_b64 exec, exec, s[0:1]
	s_branch .LBB125_11
.LBB125_10:
                                        ; implicit-def: $vgpr7_vgpr8
                                        ; implicit-def: $vgpr9_vgpr10
                                        ; implicit-def: $vgpr3_vgpr4
                                        ; implicit-def: $vgpr5_vgpr6
	s_mov_b32 s33, s29
.LBB125_11:
	s_ashr_i32 s0, s7, 31
	s_lshr_b32 s0, s0, 26
	s_add_i32 s0, s7, s0
	s_andn2_b32 s0, s0, 63
	s_sub_i32 s36, s7, s0
	s_add_i32 s0, s7, -1
	s_ashr_i32 s1, s0, 31
	s_lshr_b32 s1, s1, 26
	s_add_i32 s0, s0, s1
	s_ashr_i32 s0, s0, 6
	s_cmp_eq_u32 s0, s6
	s_cselect_b64 s[0:1], -1, 0
	s_cmp_lg_u32 s36, 0
	s_cselect_b64 s[2:3], -1, 0
	s_and_b64 s[22:23], s[2:3], s[0:1]
	s_cmp_lt_i32 s6, 5
	s_cselect_b64 s[2:3], -1, 0
	s_or_b64 s[0:1], s[2:3], s[22:23]
	s_ashr_i32 s46, s33, 31
	s_add_u32 s10, s30, 1
	v_mov_b32_e32 v1, 0
	v_mov_b32_e32 v11, s33
	v_mad_u64_u32 v[11:12], s[8:9], s10, v11, v[0:1]
	s_addc_u32 s11, s31, 0
	s_mul_i32 s8, s10, s46
	s_mul_i32 s11, s11, s33
	s_add_i32 s8, s8, s11
	s_mov_b64 s[12:13], -1
	v_lshlrev_b32_e32 v17, 6, v0
	v_add_u32_e32 v12, s8, v12
	s_and_b64 vcc, exec, s[22:23]
	v_cmp_le_u32_e64 s[8:9], v2, v0
	s_cbranch_vccnz .LBB125_33
; %bb.12:
	v_mad_u64_u32 v[15:16], s[10:11], s30, v2, v[11:12]
	v_mov_b32_e32 v1, v16
	v_mad_u64_u32 v[13:14], s[10:11], s31, v2, v[1:2]
	s_mov_b64 s[10:11], 0
	v_mov_b32_e32 v16, v13
                                        ; implicit-def: $vgpr13_vgpr14
	s_and_saveexec_b64 s[12:13], s[8:9]
	s_xor_b64 s[8:9], exec, s[12:13]
	s_cbranch_execnz .LBB125_1051
; %bb.13:
	s_andn2_saveexec_b64 s[8:9], s[8:9]
	s_cbranch_execnz .LBB125_1056
.LBB125_14:
	s_or_b64 exec, exec, s[8:9]
	s_and_saveexec_b64 s[8:9], s[10:11]
.LBB125_15:
	v_add_u32_e32 v1, v2, v17
	v_lshl_add_u32 v15, v2, 6, v0
	v_cndmask_b32_e64 v1, v15, v1, s[2:3]
	v_lshlrev_b32_e32 v1, 3, v1
	ds_write_b64 v1, v[13:14]
.LBB125_16:
	s_or_b64 exec, exec, s[8:9]
	v_add_u32_e32 v1, 16, v2
	v_mad_u64_u32 v[15:16], s[2:3], s30, v1, v[11:12]
	v_cmp_le_u32_e32 vcc, v1, v0
	s_mov_b64 s[8:9], 0
	v_mov_b32_e32 v13, v16
	v_mad_u64_u32 v[13:14], s[2:3], s31, v1, v[13:14]
	v_mov_b32_e32 v16, v13
                                        ; implicit-def: $vgpr13_vgpr14
	s_and_saveexec_b64 s[2:3], vcc
	s_xor_b64 s[2:3], exec, s[2:3]
	s_cbranch_execnz .LBB125_1057
; %bb.17:
	s_andn2_saveexec_b64 s[2:3], s[2:3]
	s_cbranch_execnz .LBB125_1062
.LBB125_18:
	s_or_b64 exec, exec, s[2:3]
	s_and_saveexec_b64 s[2:3], s[8:9]
.LBB125_19:
	v_add_u32_e32 v15, v1, v17
	v_lshl_add_u32 v1, v1, 6, v0
	v_cndmask_b32_e64 v1, v1, v15, s[0:1]
	v_lshlrev_b32_e32 v1, 3, v1
	ds_write_b64 v1, v[13:14]
.LBB125_20:
	s_or_b64 exec, exec, s[2:3]
	v_add_u32_e32 v1, 32, v2
	v_mad_u64_u32 v[15:16], s[2:3], s30, v1, v[11:12]
	v_cmp_le_u32_e32 vcc, v1, v0
	s_mov_b64 s[8:9], 0
	v_mov_b32_e32 v13, v16
	v_mad_u64_u32 v[13:14], s[2:3], s31, v1, v[13:14]
	v_mov_b32_e32 v16, v13
                                        ; implicit-def: $vgpr13_vgpr14
	s_and_saveexec_b64 s[2:3], vcc
	s_xor_b64 s[2:3], exec, s[2:3]
	s_cbranch_execnz .LBB125_1063
; %bb.21:
	s_andn2_saveexec_b64 s[2:3], s[2:3]
	s_cbranch_execnz .LBB125_1068
.LBB125_22:
	s_or_b64 exec, exec, s[2:3]
	s_and_saveexec_b64 s[2:3], s[8:9]
.LBB125_23:
	v_add_u32_e32 v15, v1, v17
	v_lshl_add_u32 v1, v1, 6, v0
	v_cndmask_b32_e64 v1, v1, v15, s[0:1]
	v_lshlrev_b32_e32 v1, 3, v1
	ds_write_b64 v1, v[13:14]
.LBB125_24:
	s_or_b64 exec, exec, s[2:3]
	v_add_u32_e32 v1, 48, v2
	v_mad_u64_u32 v[15:16], s[2:3], s30, v1, v[11:12]
	v_cmp_le_u32_e32 vcc, v1, v0
	s_mov_b64 s[10:11], 0
	v_mov_b32_e32 v13, v16
	v_mad_u64_u32 v[13:14], s[2:3], s31, v1, v[13:14]
	v_mov_b32_e32 v16, v13
                                        ; implicit-def: $vgpr13_vgpr14
	s_and_saveexec_b64 s[2:3], vcc
	s_xor_b64 s[2:3], exec, s[2:3]
	s_cbranch_execz .LBB125_30
; %bb.25:
	v_cmp_ne_u32_e32 vcc, v0, v1
	s_mov_b64 s[8:9], 0
	s_and_saveexec_b64 s[10:11], vcc
	s_xor_b64 s[10:11], exec, s[10:11]
; %bb.26:
	v_or_b32_e32 v13, v1, v0
	v_cmp_gt_u32_e32 vcc, 64, v13
	s_and_b64 s[8:9], vcc, exec
                                        ; implicit-def: $vgpr15_vgpr16
; %bb.27:
	s_or_saveexec_b64 s[10:11], s[10:11]
	v_mov_b32_e32 v13, 0
	v_mov_b32_e32 v14, 0
	s_xor_b64 exec, exec, s[10:11]
	s_cbranch_execz .LBB125_29
; %bb.28:
	v_lshlrev_b64 v[13:14], 3, v[15:16]
	v_mov_b32_e32 v15, s90
	v_add_co_u32_e32 v13, vcc, s37, v13
	v_addc_co_u32_e32 v14, vcc, v15, v14, vcc
	flat_load_dwordx2 v[13:14], v[13:14]
	s_or_b64 s[8:9], s[8:9], exec
	s_waitcnt vmcnt(0) lgkmcnt(0)
	v_div_scale_f64 v[15:16], s[12:13], v[13:14], v[13:14], 1.0
	v_div_scale_f64 v[22:23], vcc, 1.0, v[13:14], 1.0
	v_rcp_f64_e32 v[18:19], v[15:16]
	v_fma_f64 v[20:21], -v[15:16], v[18:19], 1.0
	v_fma_f64 v[18:19], v[18:19], v[20:21], v[18:19]
	v_fma_f64 v[20:21], -v[15:16], v[18:19], 1.0
	v_fma_f64 v[18:19], v[18:19], v[20:21], v[18:19]
	v_mul_f64 v[20:21], v[22:23], v[18:19]
	v_fma_f64 v[15:16], -v[15:16], v[20:21], v[22:23]
	v_div_fmas_f64 v[15:16], v[15:16], v[18:19], v[20:21]
	v_div_fixup_f64 v[13:14], v[15:16], v[13:14], 1.0
.LBB125_29:
	s_or_b64 exec, exec, s[10:11]
	s_and_b64 s[10:11], s[8:9], exec
                                        ; implicit-def: $vgpr15_vgpr16
.LBB125_30:
	s_or_saveexec_b64 s[2:3], s[2:3]
	v_add_u32_e32 v18, v1, v17
	v_lshl_add_u32 v1, v1, 6, v0
	s_xor_b64 exec, exec, s[2:3]
	s_cbranch_execz .LBB125_32
; %bb.31:
	v_lshlrev_b64 v[13:14], 3, v[15:16]
	v_mov_b32_e32 v15, s90
	v_add_co_u32_e32 v13, vcc, s37, v13
	v_addc_co_u32_e32 v14, vcc, v15, v14, vcc
	flat_load_dwordx2 v[13:14], v[13:14]
	s_or_b64 s[10:11], s[10:11], exec
	s_waitcnt vmcnt(0) lgkmcnt(0)
	v_xor_b32_e32 v14, 0x80000000, v14
.LBB125_32:
	s_or_b64 exec, exec, s[2:3]
	v_cndmask_b32_e64 v1, v1, v18, s[0:1]
	s_branch .LBB125_55
.LBB125_33:
	s_mov_b64 s[10:11], 0
                                        ; implicit-def: $vgpr13_vgpr14
                                        ; implicit-def: $vgpr1
	s_and_b64 vcc, exec, s[12:13]
	s_cbranch_vccz .LBB125_55
; %bb.34:
	v_mad_u64_u32 v[13:14], s[2:3], s30, v2, v[11:12]
	v_cmp_le_u32_e32 vcc, v2, v0
	v_cmp_gt_i32_e64 s[2:3], s36, v0
	v_mov_b32_e32 v1, v14
	v_mad_u64_u32 v[14:15], s[8:9], s31, v2, v[1:2]
	v_max_i32_e32 v1, v2, v0
	v_cmp_le_i32_e64 s[8:9], s36, v1
	s_or_b64 s[8:9], s[8:9], vcc
	s_mov_b64 s[12:13], 0
                                        ; implicit-def: $vgpr15_vgpr16
	s_and_saveexec_b64 s[14:15], s[8:9]
	s_xor_b64 s[8:9], exec, s[14:15]
	s_cbranch_execnz .LBB125_1069
; %bb.35:
	s_andn2_saveexec_b64 s[8:9], s[8:9]
	s_cbranch_execnz .LBB125_1074
.LBB125_36:
	s_or_b64 exec, exec, s[8:9]
	s_and_saveexec_b64 s[8:9], s[12:13]
.LBB125_37:
	v_lshlrev_b32_e32 v1, 3, v17
	v_lshl_add_u32 v1, v2, 3, v1
	ds_write_b64 v1, v[15:16]
.LBB125_38:
	s_or_b64 exec, exec, s[8:9]
	v_add_u32_e32 v1, 16, v2
	v_mad_u64_u32 v[13:14], s[8:9], s30, v1, v[11:12]
	v_cmp_gt_u32_e32 vcc, v1, v0
	s_mov_b64 s[12:13], 0
	v_mad_u64_u32 v[14:15], s[8:9], s31, v1, v[14:15]
	v_cmp_gt_i32_e64 s[8:9], s36, v1
	s_and_b64 s[8:9], vcc, s[8:9]
	s_and_b64 s[8:9], s[2:3], s[8:9]
	s_xor_b64 s[8:9], s[8:9], -1
                                        ; implicit-def: $vgpr15_vgpr16
	s_and_saveexec_b64 s[14:15], s[8:9]
	s_xor_b64 s[8:9], exec, s[14:15]
	s_cbranch_execnz .LBB125_1075
; %bb.39:
	s_andn2_saveexec_b64 s[8:9], s[8:9]
	s_cbranch_execnz .LBB125_1080
.LBB125_40:
	s_or_b64 exec, exec, s[8:9]
	s_and_saveexec_b64 s[8:9], s[12:13]
.LBB125_41:
	v_add_u32_e32 v13, v1, v17
	v_lshl_add_u32 v1, v1, 6, v0
	v_cndmask_b32_e64 v1, v1, v13, s[0:1]
	v_lshlrev_b32_e32 v1, 3, v1
	ds_write_b64 v1, v[15:16]
.LBB125_42:
	s_or_b64 exec, exec, s[8:9]
	v_add_u32_e32 v1, 32, v2
	v_mad_u64_u32 v[13:14], s[8:9], s30, v1, v[11:12]
	v_cmp_gt_u32_e32 vcc, v1, v0
	s_mov_b64 s[12:13], 0
	v_mad_u64_u32 v[14:15], s[8:9], s31, v1, v[14:15]
	v_cmp_gt_i32_e64 s[8:9], s36, v1
	s_and_b64 s[8:9], vcc, s[8:9]
	s_and_b64 s[8:9], s[2:3], s[8:9]
	s_xor_b64 s[8:9], s[8:9], -1
                                        ; implicit-def: $vgpr15_vgpr16
	s_and_saveexec_b64 s[14:15], s[8:9]
	s_xor_b64 s[8:9], exec, s[14:15]
	s_cbranch_execnz .LBB125_1081
; %bb.43:
	s_andn2_saveexec_b64 s[8:9], s[8:9]
	s_cbranch_execnz .LBB125_1086
.LBB125_44:
	s_or_b64 exec, exec, s[8:9]
	s_and_saveexec_b64 s[8:9], s[12:13]
.LBB125_45:
	v_add_u32_e32 v13, v1, v17
	v_lshl_add_u32 v1, v1, 6, v0
	v_cndmask_b32_e64 v1, v1, v13, s[0:1]
	v_lshlrev_b32_e32 v1, 3, v1
	ds_write_b64 v1, v[15:16]
.LBB125_46:
	s_or_b64 exec, exec, s[8:9]
	v_add_u32_e32 v1, 48, v2
	v_mad_u64_u32 v[11:12], s[8:9], s30, v1, v[11:12]
	v_cmp_gt_u32_e32 vcc, v1, v0
	v_mad_u64_u32 v[12:13], s[8:9], s31, v1, v[12:13]
	v_cmp_gt_i32_e64 s[8:9], s36, v1
	s_and_b64 s[8:9], vcc, s[8:9]
	s_and_b64 s[8:9], s[2:3], s[8:9]
	s_xor_b64 s[8:9], s[8:9], -1
                                        ; implicit-def: $vgpr13_vgpr14
	s_and_saveexec_b64 s[12:13], s[8:9]
	s_xor_b64 s[8:9], exec, s[12:13]
	s_cbranch_execz .LBB125_52
; %bb.47:
	v_cmp_ne_u32_e32 vcc, v0, v1
	s_xor_b64 s[2:3], s[2:3], -1
	s_or_b64 s[12:13], s[2:3], vcc
	s_mov_b64 s[2:3], s[10:11]
	s_and_saveexec_b64 s[14:15], s[12:13]
	s_xor_b64 s[12:13], exec, s[14:15]
; %bb.48:
	v_or_b32_e32 v11, v1, v0
	v_cmp_gt_u32_e32 vcc, 64, v11
	s_andn2_b64 s[2:3], s[10:11], exec
	s_and_b64 s[14:15], vcc, exec
	s_or_b64 s[2:3], s[2:3], s[14:15]
                                        ; implicit-def: $vgpr11_vgpr12
; %bb.49:
	s_or_saveexec_b64 s[12:13], s[12:13]
	v_mov_b32_e32 v13, 0
	v_mov_b32_e32 v14, 0
	s_xor_b64 exec, exec, s[12:13]
	s_cbranch_execz .LBB125_51
; %bb.50:
	v_lshlrev_b64 v[11:12], 3, v[11:12]
	v_mov_b32_e32 v13, s90
	v_add_co_u32_e32 v11, vcc, s37, v11
	v_addc_co_u32_e32 v12, vcc, v13, v12, vcc
	flat_load_dwordx2 v[11:12], v[11:12]
	s_or_b64 s[2:3], s[2:3], exec
	s_waitcnt vmcnt(0) lgkmcnt(0)
	v_div_scale_f64 v[13:14], s[14:15], v[11:12], v[11:12], 1.0
	v_div_scale_f64 v[20:21], vcc, 1.0, v[11:12], 1.0
	v_rcp_f64_e32 v[15:16], v[13:14]
	v_fma_f64 v[18:19], -v[13:14], v[15:16], 1.0
	v_fma_f64 v[15:16], v[15:16], v[18:19], v[15:16]
	v_fma_f64 v[18:19], -v[13:14], v[15:16], 1.0
	v_fma_f64 v[15:16], v[15:16], v[18:19], v[15:16]
	v_mul_f64 v[18:19], v[20:21], v[15:16]
	v_fma_f64 v[13:14], -v[13:14], v[18:19], v[20:21]
	v_div_fmas_f64 v[13:14], v[13:14], v[15:16], v[18:19]
	v_div_fixup_f64 v[13:14], v[13:14], v[11:12], 1.0
.LBB125_51:
	s_or_b64 exec, exec, s[12:13]
	s_andn2_b64 s[10:11], s[10:11], exec
	s_and_b64 s[2:3], s[2:3], exec
	s_or_b64 s[10:11], s[10:11], s[2:3]
                                        ; implicit-def: $vgpr11_vgpr12
.LBB125_52:
	s_or_saveexec_b64 s[2:3], s[8:9]
	v_add_u32_e32 v15, v1, v17
	v_lshl_add_u32 v1, v1, 6, v0
	s_xor_b64 exec, exec, s[2:3]
	s_cbranch_execz .LBB125_54
; %bb.53:
	v_lshlrev_b64 v[11:12], 3, v[11:12]
	v_mov_b32_e32 v13, s90
	v_add_co_u32_e32 v11, vcc, s37, v11
	v_addc_co_u32_e32 v12, vcc, v13, v12, vcc
	flat_load_dwordx2 v[13:14], v[11:12]
	s_or_b64 s[10:11], s[10:11], exec
	s_waitcnt vmcnt(0) lgkmcnt(0)
	v_xor_b32_e32 v14, 0x80000000, v14
.LBB125_54:
	s_or_b64 exec, exec, s[2:3]
	v_cndmask_b32_e64 v1, v1, v15, s[0:1]
.LBB125_55:
	s_xor_b64 s[0:1], s[0:1], -1
	s_and_saveexec_b64 s[2:3], s[10:11]
; %bb.56:
	v_lshlrev_b32_e32 v1, 3, v1
	ds_write_b64 v1, v[13:14]
; %bb.57:
	s_or_b64 exec, exec, s[2:3]
	v_cndmask_b32_e64 v1, 0, 1, s[0:1]
	v_cmp_ne_u32_e64 s[2:3], 1, v1
                                        ; implicit-def: $vgpr36 : SGPR spill to VGPR lane
	s_andn2_b64 vcc, exec, s[0:1]
	v_writelane_b32 v36, s2, 0
	s_waitcnt vmcnt(0) lgkmcnt(0)
	s_barrier
	v_writelane_b32 v36, s3, 1
	s_cbranch_vccnz .LBB125_987
; %bb.58:
	v_or_b32_e32 v1, v0, v2
	v_cmp_eq_u32_e32 vcc, 0, v1
	s_and_saveexec_b64 s[0:1], vcc
	s_cbranch_execz .LBB125_60
; %bb.59:
	v_mov_b32_e32 v1, 0
	ds_read_b128 v[11:14], v1 offset:32752
	ds_read_b64 v[15:16], v1 offset:32240
	s_movk_i32 s2, 0x7800
	v_add_u32_e64 v1, s2, 0
	s_waitcnt lgkmcnt(0)
	v_mul_f64 v[13:14], v[15:16], v[13:14]
	v_mul_f64 v[11:12], v[11:12], v[13:14]
	ds_write2_b64 v1, v[11:12], v[11:12] offset0:191 offset1:254
.LBB125_60:
	s_or_b64 exec, exec, s[0:1]
	v_lshlrev_b32_e32 v11, 6, v2
	v_add_u32_e32 v15, v11, v0
	v_and_b32_e32 v12, v11, v0
	v_xor_b32_e32 v11, v11, v0
	v_lshrrev_b16_e32 v11, 1, v11
	v_add_u16_e32 v14, v12, v11
	v_mov_b32_e32 v11, 0
	v_and_b32_e32 v1, 1, v0
	v_sub_u32_e32 v13, 1, v14
	v_cmp_lt_u32_e64 s[8:9], 3, v15
	v_mov_b32_e32 v12, 0
	v_cmp_gt_u32_e64 s[2:3], 4, v15
	s_waitcnt lgkmcnt(0)
	s_barrier
	buffer_wbinvl1_vol
	s_and_saveexec_b64 s[0:1], s[2:3]
	s_cbranch_execz .LBB125_64
; %bb.61:
	v_lshlrev_b32_e32 v16, 9, v13
	v_lshlrev_b32_e32 v11, 3, v1
	ds_read_b64 v[11:12], v11 offset:32224
	ds_read_b64 v[16:17], v16 offset:32240
	v_cmp_gt_u32_e64 s[10:11], 2, v15
	s_waitcnt lgkmcnt(0)
	v_fma_f64 v[11:12], v[11:12], v[16:17], 0
	s_and_saveexec_b64 s[12:13], s[10:11]
	s_cbranch_execz .LBB125_63
; %bb.62:
	v_lshlrev_b32_e32 v16, 3, v0
	v_mov_b32_e32 v18, 0
	ds_read_b64 v[16:17], v16 offset:32736
	ds_read_b64 v[18:19], v18 offset:32760
	s_waitcnt lgkmcnt(0)
	v_fma_f64 v[11:12], v[16:17], v[18:19], v[11:12]
.LBB125_63:
	s_or_b64 exec, exec, s[12:13]
.LBB125_64:
	s_or_b64 exec, exec, s[0:1]
	v_mov_b32_e32 v16, 0x8000
	v_cmp_ne_u32_e64 s[10:11], 0, v1
	s_xor_b64 s[0:1], s[8:9], -1
	v_lshl_add_u32 v14, v14, 3, v16
	s_and_b64 s[40:41], s[10:11], s[0:1]
	s_and_saveexec_b64 s[8:9], s[40:41]
	s_cbranch_execz .LBB125_66
; %bb.65:
	v_mov_b32_e32 v16, 0
	ds_read_b64 v[16:17], v16 offset:31720
	s_waitcnt lgkmcnt(0)
	v_mul_f64 v[11:12], v[11:12], v[16:17]
	v_xor_b32_e32 v17, 0x80000000, v12
	v_mov_b32_e32 v16, v11
	ds_write_b64 v14, v[16:17]
.LBB125_66:
	s_or_b64 exec, exec, s[8:9]
	v_cmp_eq_u32_e64 s[8:9], 0, v1
	s_and_b64 s[38:39], s[8:9], s[0:1]
	s_waitcnt lgkmcnt(0)
	s_barrier
	s_and_saveexec_b64 s[0:1], s[38:39]
	s_cbranch_execz .LBB125_68
; %bb.67:
	v_mov_b32_e32 v16, 0
	ds_read_b64 v[16:17], v16 offset:31712
	ds_read_b64 v[18:19], v14
	s_waitcnt lgkmcnt(0)
	v_fma_f64 v[11:12], -v[16:17], v[18:19], v[11:12]
.LBB125_68:
	s_or_b64 exec, exec, s[0:1]
	s_barrier
	s_and_saveexec_b64 s[0:1], s[38:39]
	s_cbranch_execz .LBB125_70
; %bb.69:
	v_mov_b32_e32 v16, 0
	ds_read_b64 v[16:17], v16 offset:31200
	s_waitcnt lgkmcnt(0)
	v_mul_f64 v[11:12], v[11:12], v[16:17]
	v_xor_b32_e32 v17, 0x80000000, v12
	v_mov_b32_e32 v16, v11
	ds_write_b64 v14, v[16:17]
.LBB125_70:
	s_or_b64 exec, exec, s[0:1]
	s_waitcnt lgkmcnt(0)
	s_barrier
	s_barrier
	s_and_saveexec_b64 s[0:1], s[2:3]
; %bb.71:
	v_lshlrev_b32_e32 v16, 3, v1
	v_lshl_or_b32 v16, v13, 9, v16
	ds_write_b64 v16, v[11:12] offset:32224
; %bb.72:
	s_or_b64 exec, exec, s[0:1]
	v_cmp_eq_u32_e64 s[12:13], 0, v2
	v_cmp_gt_u32_e64 s[8:9], 2, v0
	s_and_b64 s[42:43], s[12:13], s[8:9]
	s_waitcnt lgkmcnt(0)
	s_barrier
	s_barrier
	s_and_saveexec_b64 s[0:1], s[42:43]
	s_cbranch_execz .LBB125_74
; %bb.73:
	v_lshlrev_b32_e32 v16, 3, v0
	s_movk_i32 s8, 0x1f8
	v_mad_u32_u24 v17, v0, s8, v16
	ds_read_b64 v[11:12], v17 offset:32224
	s_waitcnt lgkmcnt(0)
	ds_write_b64 v16, v[11:12] offset:31216
	ds_read_b64 v[11:12], v17 offset:32232
	s_waitcnt lgkmcnt(0)
	ds_write_b64 v16, v[11:12] offset:31728
.LBB125_74:
	s_or_b64 exec, exec, s[0:1]
	s_waitcnt lgkmcnt(0)
	s_barrier
	s_and_saveexec_b64 s[0:1], vcc
	s_cbranch_execz .LBB125_76
; %bb.75:
	v_mov_b32_e32 v11, 0
	ds_read_b128 v[16:19], v11 offset:31712
	ds_read_b64 v[11:12], v11 offset:31200
	s_movk_i32 s8, 0x7800
	s_waitcnt lgkmcnt(0)
	v_mul_f64 v[11:12], v[11:12], v[18:19]
	v_mul_f64 v[11:12], v[16:17], v[11:12]
	v_add_u32_e64 v16, s8, 0
	ds_write2_b64 v16, v[11:12], v[11:12] offset0:61 offset1:124
.LBB125_76:
	s_or_b64 exec, exec, s[0:1]
	v_lshrrev_b32_e32 v18, 2, v15
	v_mov_b32_e32 v11, 0
	v_and_b32_e32 v16, 3, v0
	v_sub_u32_e32 v17, 3, v18
	v_cmp_lt_u32_e64 s[8:9], 15, v15
	v_mov_b32_e32 v12, 0
	v_cmp_gt_u32_e64 s[18:19], 16, v15
	s_waitcnt lgkmcnt(0)
	s_barrier
	buffer_wbinvl1_vol
	s_and_saveexec_b64 s[0:1], s[18:19]
	s_cbranch_execz .LBB125_82
; %bb.77:
	v_lshlrev_b32_e32 v20, 3, v16
	v_lshlrev_b32_e32 v19, 9, v17
	ds_read_b64 v[11:12], v20 offset:31168
	ds_read_b64 v[21:22], v19 offset:31200
	v_cmp_gt_u32_e64 s[10:11], 12, v15
	s_waitcnt lgkmcnt(0)
	v_fma_f64 v[11:12], v[11:12], v[21:22], 0
	s_and_saveexec_b64 s[14:15], s[10:11]
	s_cbranch_execnz .LBB125_1098
; %bb.78:
	s_or_b64 exec, exec, s[14:15]
	v_cmp_gt_u32_e64 s[10:11], 8, v15
	s_and_saveexec_b64 s[14:15], s[10:11]
	s_cbranch_execnz .LBB125_1099
.LBB125_79:
	s_or_b64 exec, exec, s[14:15]
	v_cmp_gt_u32_e64 s[10:11], 4, v15
	s_and_saveexec_b64 s[14:15], s[10:11]
	s_cbranch_execz .LBB125_81
.LBB125_80:
	v_lshlrev_b32_e32 v19, 3, v0
	v_mov_b32_e32 v21, 0
	ds_read_b64 v[19:20], v19 offset:32704
	ds_read_b64 v[21:22], v21 offset:32760
	s_waitcnt lgkmcnt(0)
	v_fma_f64 v[11:12], v[19:20], v[21:22], v[11:12]
.LBB125_81:
	s_or_b64 exec, exec, s[14:15]
.LBB125_82:
	v_writelane_b32 v36, s46, 2
	s_or_b64 exec, exec, s[0:1]
	v_mov_b32_e32 v19, 0x8000
	v_cmp_eq_u32_e64 s[10:11], 3, v16
	s_xor_b64 s[0:1], s[8:9], -1
	v_lshl_add_u32 v18, v18, 3, v19
	s_and_b64 s[46:47], s[10:11], s[0:1]
	s_and_saveexec_b64 s[8:9], s[46:47]
	s_cbranch_execz .LBB125_84
; %bb.83:
	v_mov_b32_e32 v19, 0
	ds_read_b64 v[19:20], v19 offset:30680
	s_waitcnt lgkmcnt(0)
	v_mul_f64 v[11:12], v[11:12], v[19:20]
	v_xor_b32_e32 v20, 0x80000000, v12
	v_mov_b32_e32 v19, v11
	ds_write_b64 v18, v[19:20]
.LBB125_84:
	s_or_b64 exec, exec, s[8:9]
	v_cmp_ne_u32_e64 s[8:9], 3, v16
	s_and_b64 s[48:49], s[8:9], s[0:1]
	s_waitcnt lgkmcnt(0)
	s_barrier
	s_and_saveexec_b64 s[8:9], s[48:49]
	s_cbranch_execz .LBB125_86
; %bb.85:
	v_lshlrev_b32_e32 v19, 3, v16
	ds_read_b64 v[19:20], v19 offset:30656
	ds_read_b64 v[21:22], v18
	s_waitcnt lgkmcnt(0)
	v_fma_f64 v[11:12], -v[19:20], v[21:22], v[11:12]
.LBB125_86:
	s_or_b64 exec, exec, s[8:9]
	v_cmp_eq_u32_e64 s[8:9], 2, v16
	s_and_b64 s[50:51], s[8:9], s[0:1]
	s_barrier
	s_and_saveexec_b64 s[8:9], s[50:51]
	s_cbranch_execz .LBB125_88
; %bb.87:
	v_mov_b32_e32 v19, 0
	ds_read_b64 v[19:20], v19 offset:30160
	s_waitcnt lgkmcnt(0)
	v_mul_f64 v[11:12], v[11:12], v[19:20]
	v_xor_b32_e32 v20, 0x80000000, v12
	v_mov_b32_e32 v19, v11
	ds_write_b64 v18, v[19:20]
.LBB125_88:
	s_or_b64 exec, exec, s[8:9]
	v_cmp_gt_u32_e64 s[8:9], 2, v16
	s_and_b64 s[52:53], s[8:9], s[0:1]
	s_waitcnt lgkmcnt(0)
	s_barrier
	s_and_saveexec_b64 s[8:9], s[52:53]
	s_cbranch_execz .LBB125_90
; %bb.89:
	v_lshlrev_b32_e32 v19, 3, v16
	ds_read_b64 v[19:20], v19 offset:30144
	ds_read_b64 v[21:22], v18
	s_waitcnt lgkmcnt(0)
	v_fma_f64 v[11:12], -v[19:20], v[21:22], v[11:12]
.LBB125_90:
	s_or_b64 exec, exec, s[8:9]
	v_cmp_eq_u32_e64 s[8:9], 1, v16
	s_and_b64 s[54:55], s[8:9], s[0:1]
	s_barrier
	s_and_saveexec_b64 s[8:9], s[54:55]
	s_cbranch_execz .LBB125_92
; %bb.91:
	v_mov_b32_e32 v19, 0
	ds_read_b64 v[19:20], v19 offset:29640
	s_waitcnt lgkmcnt(0)
	v_mul_f64 v[11:12], v[11:12], v[19:20]
	v_xor_b32_e32 v20, 0x80000000, v12
	v_mov_b32_e32 v19, v11
	ds_write_b64 v18, v[19:20]
.LBB125_92:
	s_or_b64 exec, exec, s[8:9]
	v_cmp_eq_u32_e64 s[8:9], 0, v16
	s_and_b64 s[44:45], s[8:9], s[0:1]
	s_waitcnt lgkmcnt(0)
	s_barrier
	s_and_saveexec_b64 s[0:1], s[44:45]
	s_cbranch_execz .LBB125_94
; %bb.93:
	v_mov_b32_e32 v19, 0
	ds_read_b64 v[19:20], v19 offset:29632
	ds_read_b64 v[21:22], v18
	s_waitcnt lgkmcnt(0)
	v_fma_f64 v[11:12], -v[19:20], v[21:22], v[11:12]
.LBB125_94:
	s_or_b64 exec, exec, s[0:1]
	s_barrier
	s_and_saveexec_b64 s[0:1], s[44:45]
	s_cbranch_execz .LBB125_96
; %bb.95:
	v_mov_b32_e32 v19, 0
	ds_read_b64 v[19:20], v19 offset:29120
	s_waitcnt lgkmcnt(0)
	v_mul_f64 v[11:12], v[11:12], v[19:20]
	v_xor_b32_e32 v20, 0x80000000, v12
	v_mov_b32_e32 v19, v11
	ds_write_b64 v18, v[19:20]
.LBB125_96:
	s_or_b64 exec, exec, s[0:1]
	s_waitcnt lgkmcnt(0)
	s_barrier
	s_barrier
	s_and_saveexec_b64 s[0:1], s[18:19]
; %bb.97:
	v_lshlrev_b32_e32 v19, 3, v16
	v_lshl_or_b32 v19, v17, 9, v19
	ds_write_b64 v19, v[11:12] offset:31168
; %bb.98:
	s_or_b64 exec, exec, s[0:1]
	v_cmp_gt_u32_e64 s[8:9], 4, v0
	s_and_b64 s[56:57], s[12:13], s[8:9]
	s_waitcnt lgkmcnt(0)
	s_barrier
	s_barrier
	s_and_saveexec_b64 s[0:1], s[56:57]
	s_cbranch_execz .LBB125_100
; %bb.99:
	v_lshlrev_b32_e32 v19, 9, v0
	ds_read_b64 v[11:12], v19 offset:31168
	s_movk_i32 s8, 0xfe08
	v_mad_i32_i24 v20, v0, s8, v19
	s_waitcnt lgkmcnt(0)
	ds_write_b64 v20, v[11:12] offset:29152
	ds_read_b64 v[11:12], v19 offset:31176
	s_waitcnt lgkmcnt(0)
	ds_write_b64 v20, v[11:12] offset:29664
	ds_read_b64 v[11:12], v19 offset:31184
	;; [unrolled: 3-line block ×3, first 2 shown]
	s_waitcnt lgkmcnt(0)
	ds_write_b64 v20, v[11:12] offset:30688
.LBB125_100:
	s_or_b64 exec, exec, s[0:1]
	s_waitcnt lgkmcnt(0)
	s_barrier
	s_and_saveexec_b64 s[0:1], vcc
	s_cbranch_execz .LBB125_102
; %bb.101:
	v_mov_b32_e32 v11, 0
	ds_read_b128 v[19:22], v11 offset:30672
	ds_read_b64 v[11:12], v11 offset:30160
	s_movk_i32 s8, 0x7000
	s_waitcnt lgkmcnt(0)
	v_mul_f64 v[11:12], v[11:12], v[21:22]
	v_mul_f64 v[11:12], v[19:20], v[11:12]
	v_add_u32_e64 v19, s8, 0
	ds_write2_b64 v19, v[11:12], v[11:12] offset0:187 offset1:250
.LBB125_102:
	s_or_b64 exec, exec, s[0:1]
	v_mov_b32_e32 v11, 0
	v_mov_b32_e32 v12, 0
	s_waitcnt lgkmcnt(0)
	s_barrier
	buffer_wbinvl1_vol
	s_and_saveexec_b64 s[0:1], s[2:3]
	s_cbranch_execz .LBB125_106
; %bb.103:
	v_lshlrev_b32_e32 v19, 9, v13
	v_lshlrev_b32_e32 v11, 3, v1
	ds_read_b64 v[11:12], v11 offset:30144
	ds_read_b64 v[19:20], v19 offset:30160
	v_cmp_gt_u32_e64 s[8:9], 2, v15
	s_waitcnt lgkmcnt(0)
	v_fma_f64 v[11:12], v[11:12], v[19:20], 0
	s_and_saveexec_b64 s[10:11], s[8:9]
	s_cbranch_execz .LBB125_105
; %bb.104:
	v_lshlrev_b32_e32 v19, 3, v0
	v_mov_b32_e32 v21, 0
	ds_read_b64 v[19:20], v19 offset:30656
	ds_read_b64 v[21:22], v21 offset:30680
	s_waitcnt lgkmcnt(0)
	v_fma_f64 v[11:12], v[19:20], v[21:22], v[11:12]
.LBB125_105:
	s_or_b64 exec, exec, s[10:11]
.LBB125_106:
	s_or_b64 exec, exec, s[0:1]
	s_and_saveexec_b64 s[0:1], s[40:41]
	s_cbranch_execz .LBB125_108
; %bb.107:
	v_mov_b32_e32 v19, 0
	ds_read_b64 v[19:20], v19 offset:29640
	s_waitcnt lgkmcnt(0)
	v_mul_f64 v[11:12], v[11:12], v[19:20]
	v_xor_b32_e32 v20, 0x80000000, v12
	v_mov_b32_e32 v19, v11
	ds_write_b64 v14, v[19:20]
.LBB125_108:
	s_or_b64 exec, exec, s[0:1]
	s_waitcnt lgkmcnt(0)
	s_barrier
	s_and_saveexec_b64 s[0:1], s[38:39]
	s_cbranch_execz .LBB125_110
; %bb.109:
	v_mov_b32_e32 v19, 0
	ds_read_b64 v[19:20], v19 offset:29632
	ds_read_b64 v[21:22], v14
	s_waitcnt lgkmcnt(0)
	v_fma_f64 v[11:12], -v[19:20], v[21:22], v[11:12]
.LBB125_110:
	s_or_b64 exec, exec, s[0:1]
	s_barrier
	s_and_saveexec_b64 s[0:1], s[38:39]
	s_cbranch_execz .LBB125_112
; %bb.111:
	v_mov_b32_e32 v19, 0
	ds_read_b64 v[19:20], v19 offset:29120
	s_waitcnt lgkmcnt(0)
	v_mul_f64 v[11:12], v[11:12], v[19:20]
	v_xor_b32_e32 v20, 0x80000000, v12
	v_mov_b32_e32 v19, v11
	ds_write_b64 v14, v[19:20]
.LBB125_112:
	s_or_b64 exec, exec, s[0:1]
	s_waitcnt lgkmcnt(0)
	s_barrier
	s_barrier
	s_and_saveexec_b64 s[0:1], s[2:3]
; %bb.113:
	v_lshlrev_b32_e32 v19, 3, v1
	v_lshl_or_b32 v19, v13, 9, v19
	ds_write_b64 v19, v[11:12] offset:30144
; %bb.114:
	s_or_b64 exec, exec, s[0:1]
	s_waitcnt lgkmcnt(0)
	s_barrier
	s_barrier
	s_and_saveexec_b64 s[0:1], s[42:43]
	s_cbranch_execz .LBB125_116
; %bb.115:
	v_lshlrev_b32_e32 v19, 3, v0
	s_movk_i32 s8, 0x1f8
	v_mad_u32_u24 v20, v0, s8, v19
	ds_read_b64 v[11:12], v20 offset:30144
	s_waitcnt lgkmcnt(0)
	ds_write_b64 v19, v[11:12] offset:29136
	ds_read_b64 v[11:12], v20 offset:30152
	s_waitcnt lgkmcnt(0)
	ds_write_b64 v19, v[11:12] offset:29648
.LBB125_116:
	s_or_b64 exec, exec, s[0:1]
	s_waitcnt lgkmcnt(0)
	s_barrier
	s_and_saveexec_b64 s[0:1], vcc
	s_cbranch_execz .LBB125_118
; %bb.117:
	v_mov_b32_e32 v11, 0
	ds_read_b128 v[19:22], v11 offset:29632
	ds_read_b64 v[11:12], v11 offset:29120
	s_movk_i32 s8, 0x7000
	s_waitcnt lgkmcnt(0)
	v_mul_f64 v[11:12], v[11:12], v[21:22]
	v_mul_f64 v[11:12], v[19:20], v[11:12]
	v_add_u32_e64 v19, s8, 0
	ds_write2_b64 v19, v[11:12], v[11:12] offset0:57 offset1:120
.LBB125_118:
	s_or_b64 exec, exec, s[0:1]
	v_lshrrev_b32_e32 v21, 3, v15
	v_mov_b32_e32 v11, 0
	v_and_b32_e32 v19, 7, v0
	v_sub_u32_e32 v20, 7, v21
	v_cmp_lt_u32_e64 s[10:11], 63, v15
	v_mov_b32_e32 v12, 0
	v_cmp_gt_u32_e64 s[8:9], 64, v15
	s_waitcnt lgkmcnt(0)
	s_barrier
	buffer_wbinvl1_vol
	s_and_saveexec_b64 s[0:1], s[8:9]
	s_cbranch_execz .LBB125_128
; %bb.119:
	v_lshlrev_b32_e32 v23, 3, v19
	v_lshlrev_b32_e32 v22, 9, v20
	ds_read_b64 v[11:12], v23 offset:29056
	ds_read_b64 v[24:25], v22 offset:29120
	v_cmp_gt_u32_e64 s[14:15], 56, v15
	s_waitcnt lgkmcnt(0)
	v_fma_f64 v[11:12], v[11:12], v[24:25], 0
	s_and_saveexec_b64 s[16:17], s[14:15]
	s_cbranch_execnz .LBB125_1100
; %bb.120:
	s_or_b64 exec, exec, s[16:17]
	v_cmp_gt_u32_e64 s[14:15], 48, v15
	s_and_saveexec_b64 s[16:17], s[14:15]
	s_cbranch_execnz .LBB125_1101
.LBB125_121:
	s_or_b64 exec, exec, s[16:17]
	v_cmp_gt_u32_e64 s[14:15], 40, v15
	s_and_saveexec_b64 s[16:17], s[14:15]
	s_cbranch_execnz .LBB125_1102
.LBB125_122:
	s_or_b64 exec, exec, s[16:17]
	v_cmp_gt_u32_e64 s[14:15], 32, v15
	s_and_saveexec_b64 s[16:17], s[14:15]
	s_cbranch_execnz .LBB125_1103
.LBB125_123:
	s_or_b64 exec, exec, s[16:17]
	v_cmp_gt_u32_e64 s[14:15], 24, v15
	s_and_saveexec_b64 s[16:17], s[14:15]
	s_cbranch_execnz .LBB125_1104
.LBB125_124:
	s_or_b64 exec, exec, s[16:17]
	s_and_saveexec_b64 s[14:15], s[18:19]
	s_cbranch_execnz .LBB125_1105
.LBB125_125:
	s_or_b64 exec, exec, s[14:15]
	v_cmp_gt_u32_e64 s[14:15], 8, v15
	s_and_saveexec_b64 s[16:17], s[14:15]
	s_cbranch_execz .LBB125_127
.LBB125_126:
	v_lshlrev_b32_e32 v22, 3, v0
	v_mov_b32_e32 v24, 0
	ds_read_b64 v[22:23], v22 offset:32640
	ds_read_b64 v[24:25], v24 offset:32760
	s_waitcnt lgkmcnt(0)
	v_fma_f64 v[11:12], v[22:23], v[24:25], v[11:12]
.LBB125_127:
	s_or_b64 exec, exec, s[16:17]
.LBB125_128:
	v_writelane_b32 v36, s58, 3
	v_writelane_b32 v36, s59, 4
	;; [unrolled: 1-line block ×4, first 2 shown]
	s_or_b64 exec, exec, s[0:1]
	v_mov_b32_e32 v22, 0x8000
	v_cmp_eq_u32_e64 s[14:15], 7, v19
	s_xor_b64 s[0:1], s[10:11], -1
	v_lshl_add_u32 v21, v21, 3, v22
	s_and_b64 s[58:59], s[14:15], s[0:1]
	s_and_saveexec_b64 s[10:11], s[58:59]
	s_cbranch_execz .LBB125_130
; %bb.129:
	v_mov_b32_e32 v22, 0
	ds_read_b64 v[22:23], v22 offset:28600
	s_waitcnt lgkmcnt(0)
	v_mul_f64 v[11:12], v[11:12], v[22:23]
	v_xor_b32_e32 v23, 0x80000000, v12
	v_mov_b32_e32 v22, v11
	ds_write_b64 v21, v[22:23]
.LBB125_130:
	s_or_b64 exec, exec, s[10:11]
	v_cmp_ne_u32_e64 s[10:11], 7, v19
	s_and_b64 s[60:61], s[10:11], s[0:1]
	s_waitcnt lgkmcnt(0)
	s_barrier
	s_and_saveexec_b64 s[10:11], s[60:61]
	s_cbranch_execz .LBB125_132
; %bb.131:
	v_lshlrev_b32_e32 v22, 3, v19
	ds_read_b64 v[22:23], v22 offset:28544
	ds_read_b64 v[24:25], v21
	s_waitcnt lgkmcnt(0)
	v_fma_f64 v[11:12], -v[22:23], v[24:25], v[11:12]
.LBB125_132:
	s_or_b64 exec, exec, s[10:11]
	v_cmp_eq_u32_e64 s[10:11], 6, v19
	s_and_b64 s[62:63], s[10:11], s[0:1]
	s_barrier
	s_and_saveexec_b64 s[10:11], s[62:63]
	s_cbranch_execz .LBB125_134
; %bb.133:
	v_mov_b32_e32 v22, 0
	ds_read_b64 v[22:23], v22 offset:28080
	s_waitcnt lgkmcnt(0)
	v_mul_f64 v[11:12], v[11:12], v[22:23]
	v_xor_b32_e32 v23, 0x80000000, v12
	v_mov_b32_e32 v22, v11
	ds_write_b64 v21, v[22:23]
.LBB125_134:
	s_or_b64 exec, exec, s[10:11]
	v_cmp_gt_u32_e64 s[10:11], 6, v19
	s_and_b64 s[64:65], s[10:11], s[0:1]
	s_waitcnt lgkmcnt(0)
	s_barrier
	s_and_saveexec_b64 s[10:11], s[64:65]
	s_cbranch_execz .LBB125_136
; %bb.135:
	v_lshlrev_b32_e32 v22, 3, v19
	ds_read_b64 v[22:23], v22 offset:28032
	ds_read_b64 v[24:25], v21
	s_waitcnt lgkmcnt(0)
	v_fma_f64 v[11:12], -v[22:23], v[24:25], v[11:12]
.LBB125_136:
	s_or_b64 exec, exec, s[10:11]
	v_cmp_eq_u32_e64 s[10:11], 5, v19
	s_and_b64 s[66:67], s[10:11], s[0:1]
	s_barrier
	s_and_saveexec_b64 s[10:11], s[66:67]
	s_cbranch_execz .LBB125_138
; %bb.137:
	v_mov_b32_e32 v22, 0
	ds_read_b64 v[22:23], v22 offset:27560
	s_waitcnt lgkmcnt(0)
	v_mul_f64 v[11:12], v[11:12], v[22:23]
	v_xor_b32_e32 v23, 0x80000000, v12
	v_mov_b32_e32 v22, v11
	ds_write_b64 v21, v[22:23]
.LBB125_138:
	s_or_b64 exec, exec, s[10:11]
	v_cmp_gt_u32_e64 s[10:11], 5, v19
	;; [unrolled: 29-line block ×5, first 2 shown]
	s_and_b64 s[82:83], s[10:11], s[0:1]
	s_waitcnt lgkmcnt(0)
	s_barrier
	s_and_saveexec_b64 s[10:11], s[82:83]
	s_cbranch_execz .LBB125_152
; %bb.151:
	v_lshlrev_b32_e32 v22, 3, v19
	ds_read_b64 v[22:23], v22 offset:25984
	ds_read_b64 v[24:25], v21
	s_waitcnt lgkmcnt(0)
	v_fma_f64 v[11:12], -v[22:23], v[24:25], v[11:12]
.LBB125_152:
	s_or_b64 exec, exec, s[10:11]
	v_cmp_eq_u32_e64 s[10:11], 1, v19
	s_and_b64 s[84:85], s[10:11], s[0:1]
	s_barrier
	s_and_saveexec_b64 s[10:11], s[84:85]
	s_cbranch_execz .LBB125_154
; %bb.153:
	v_mov_b32_e32 v22, 0
	ds_read_b64 v[22:23], v22 offset:25480
	s_waitcnt lgkmcnt(0)
	v_mul_f64 v[11:12], v[11:12], v[22:23]
	v_xor_b32_e32 v23, 0x80000000, v12
	v_mov_b32_e32 v22, v11
	ds_write_b64 v21, v[22:23]
.LBB125_154:
	s_or_b64 exec, exec, s[10:11]
	v_cmp_eq_u32_e64 s[10:11], 0, v19
	s_and_b64 s[68:69], s[10:11], s[0:1]
	s_waitcnt lgkmcnt(0)
	s_barrier
	s_and_saveexec_b64 s[0:1], s[68:69]
	s_cbranch_execz .LBB125_156
; %bb.155:
	v_mov_b32_e32 v22, 0
	ds_read_b64 v[22:23], v22 offset:25472
	ds_read_b64 v[24:25], v21
	s_waitcnt lgkmcnt(0)
	v_fma_f64 v[11:12], -v[22:23], v[24:25], v[11:12]
.LBB125_156:
	s_or_b64 exec, exec, s[0:1]
	s_barrier
	s_and_saveexec_b64 s[0:1], s[68:69]
	s_cbranch_execz .LBB125_158
; %bb.157:
	v_mov_b32_e32 v22, 0
	ds_read_b64 v[22:23], v22 offset:24960
	s_waitcnt lgkmcnt(0)
	v_mul_f64 v[11:12], v[11:12], v[22:23]
	v_xor_b32_e32 v23, 0x80000000, v12
	v_mov_b32_e32 v22, v11
	ds_write_b64 v21, v[22:23]
.LBB125_158:
	s_or_b64 exec, exec, s[0:1]
	s_waitcnt lgkmcnt(0)
	s_barrier
	s_barrier
	s_and_saveexec_b64 s[0:1], s[8:9]
; %bb.159:
	v_lshlrev_b32_e32 v22, 3, v19
	v_lshl_or_b32 v22, v20, 9, v22
	ds_write_b64 v22, v[11:12] offset:29056
; %bb.160:
	s_or_b64 exec, exec, s[0:1]
	v_cmp_gt_u32_e64 s[10:11], 8, v0
	s_and_b64 s[86:87], s[12:13], s[10:11]
	s_waitcnt lgkmcnt(0)
	s_barrier
	s_barrier
	s_and_saveexec_b64 s[0:1], s[86:87]
	s_cbranch_execz .LBB125_162
; %bb.161:
	v_lshlrev_b32_e32 v22, 9, v0
	ds_read_b64 v[11:12], v22 offset:29056
	s_movk_i32 s10, 0xfe08
	v_mad_i32_i24 v23, v0, s10, v22
	s_waitcnt lgkmcnt(0)
	ds_write_b64 v23, v[11:12] offset:25024
	ds_read_b64 v[11:12], v22 offset:29064
	s_waitcnt lgkmcnt(0)
	ds_write_b64 v23, v[11:12] offset:25536
	ds_read_b64 v[11:12], v22 offset:29072
	;; [unrolled: 3-line block ×7, first 2 shown]
	s_waitcnt lgkmcnt(0)
	ds_write_b64 v23, v[11:12] offset:28608
.LBB125_162:
	s_or_b64 exec, exec, s[0:1]
	s_waitcnt lgkmcnt(0)
	s_barrier
	s_and_saveexec_b64 s[0:1], vcc
	s_cbranch_execz .LBB125_164
; %bb.163:
	v_mov_b32_e32 v11, 0
	ds_read_b128 v[22:25], v11 offset:28592
	ds_read_b64 v[11:12], v11 offset:28080
	s_movk_i32 s10, 0x6800
	s_waitcnt lgkmcnt(0)
	v_mul_f64 v[11:12], v[11:12], v[24:25]
	v_mul_f64 v[11:12], v[22:23], v[11:12]
	v_add_u32_e64 v22, s10, 0
	ds_write2_b64 v22, v[11:12], v[11:12] offset0:183 offset1:246
.LBB125_164:
	s_or_b64 exec, exec, s[0:1]
	v_mov_b32_e32 v11, 0
	v_mov_b32_e32 v12, 0
	s_waitcnt lgkmcnt(0)
	s_barrier
	buffer_wbinvl1_vol
	s_and_saveexec_b64 s[0:1], s[2:3]
	s_cbranch_execz .LBB125_168
; %bb.165:
	v_lshlrev_b32_e32 v22, 9, v13
	v_lshlrev_b32_e32 v11, 3, v1
	ds_read_b64 v[11:12], v11 offset:28064
	ds_read_b64 v[22:23], v22 offset:28080
	v_cmp_gt_u32_e64 s[10:11], 2, v15
	s_waitcnt lgkmcnt(0)
	v_fma_f64 v[11:12], v[11:12], v[22:23], 0
	s_and_saveexec_b64 s[14:15], s[10:11]
	s_cbranch_execz .LBB125_167
; %bb.166:
	v_lshlrev_b32_e32 v22, 3, v0
	v_mov_b32_e32 v24, 0
	ds_read_b64 v[22:23], v22 offset:28576
	ds_read_b64 v[24:25], v24 offset:28600
	s_waitcnt lgkmcnt(0)
	v_fma_f64 v[11:12], v[22:23], v[24:25], v[11:12]
.LBB125_167:
	s_or_b64 exec, exec, s[14:15]
.LBB125_168:
	s_or_b64 exec, exec, s[0:1]
	s_and_saveexec_b64 s[0:1], s[40:41]
	s_cbranch_execz .LBB125_170
; %bb.169:
	v_mov_b32_e32 v22, 0
	ds_read_b64 v[22:23], v22 offset:27560
	s_waitcnt lgkmcnt(0)
	v_mul_f64 v[11:12], v[11:12], v[22:23]
	v_xor_b32_e32 v23, 0x80000000, v12
	v_mov_b32_e32 v22, v11
	ds_write_b64 v14, v[22:23]
.LBB125_170:
	s_or_b64 exec, exec, s[0:1]
	s_waitcnt lgkmcnt(0)
	s_barrier
	s_and_saveexec_b64 s[0:1], s[38:39]
	s_cbranch_execz .LBB125_172
; %bb.171:
	v_mov_b32_e32 v22, 0
	ds_read_b64 v[22:23], v22 offset:27552
	ds_read_b64 v[24:25], v14
	s_waitcnt lgkmcnt(0)
	v_fma_f64 v[11:12], -v[22:23], v[24:25], v[11:12]
.LBB125_172:
	s_or_b64 exec, exec, s[0:1]
	s_barrier
	s_and_saveexec_b64 s[0:1], s[38:39]
	s_cbranch_execz .LBB125_174
; %bb.173:
	v_mov_b32_e32 v22, 0
	ds_read_b64 v[22:23], v22 offset:27040
	s_waitcnt lgkmcnt(0)
	v_mul_f64 v[11:12], v[11:12], v[22:23]
	v_xor_b32_e32 v23, 0x80000000, v12
	v_mov_b32_e32 v22, v11
	ds_write_b64 v14, v[22:23]
.LBB125_174:
	s_or_b64 exec, exec, s[0:1]
	s_waitcnt lgkmcnt(0)
	s_barrier
	s_barrier
	s_and_saveexec_b64 s[0:1], s[2:3]
; %bb.175:
	v_lshlrev_b32_e32 v22, 3, v1
	v_lshl_or_b32 v22, v13, 9, v22
	ds_write_b64 v22, v[11:12] offset:28064
; %bb.176:
	s_or_b64 exec, exec, s[0:1]
	s_waitcnt lgkmcnt(0)
	s_barrier
	s_barrier
	s_and_saveexec_b64 s[0:1], s[42:43]
	s_cbranch_execz .LBB125_178
; %bb.177:
	v_lshlrev_b32_e32 v22, 3, v0
	s_movk_i32 s10, 0x1f8
	v_mad_u32_u24 v23, v0, s10, v22
	ds_read_b64 v[11:12], v23 offset:28064
	s_waitcnt lgkmcnt(0)
	ds_write_b64 v22, v[11:12] offset:27056
	ds_read_b64 v[11:12], v23 offset:28072
	s_waitcnt lgkmcnt(0)
	ds_write_b64 v22, v[11:12] offset:27568
.LBB125_178:
	s_or_b64 exec, exec, s[0:1]
	s_waitcnt lgkmcnt(0)
	s_barrier
	s_and_saveexec_b64 s[0:1], vcc
	s_cbranch_execz .LBB125_180
; %bb.179:
	v_mov_b32_e32 v11, 0
	ds_read_b128 v[22:25], v11 offset:27552
	ds_read_b64 v[11:12], v11 offset:27040
	s_movk_i32 s10, 0x6800
	s_waitcnt lgkmcnt(0)
	v_mul_f64 v[11:12], v[11:12], v[24:25]
	v_mul_f64 v[11:12], v[22:23], v[11:12]
	v_add_u32_e64 v22, s10, 0
	ds_write2_b64 v22, v[11:12], v[11:12] offset0:53 offset1:116
.LBB125_180:
	s_or_b64 exec, exec, s[0:1]
	v_mov_b32_e32 v11, 0
	v_mov_b32_e32 v12, 0
	s_waitcnt lgkmcnt(0)
	s_barrier
	buffer_wbinvl1_vol
	s_and_saveexec_b64 s[0:1], s[18:19]
	s_cbranch_execz .LBB125_186
; %bb.181:
	v_lshlrev_b32_e32 v23, 3, v16
	v_lshlrev_b32_e32 v22, 9, v17
	ds_read_b64 v[11:12], v23 offset:27008
	ds_read_b64 v[24:25], v22 offset:27040
	v_cmp_gt_u32_e64 s[10:11], 12, v15
	s_waitcnt lgkmcnt(0)
	v_fma_f64 v[11:12], v[11:12], v[24:25], 0
	s_and_saveexec_b64 s[14:15], s[10:11]
	s_cbranch_execnz .LBB125_1106
; %bb.182:
	s_or_b64 exec, exec, s[14:15]
	v_cmp_gt_u32_e64 s[10:11], 8, v15
	s_and_saveexec_b64 s[14:15], s[10:11]
	s_cbranch_execnz .LBB125_1107
.LBB125_183:
	s_or_b64 exec, exec, s[14:15]
	v_cmp_gt_u32_e64 s[10:11], 4, v15
	s_and_saveexec_b64 s[14:15], s[10:11]
	s_cbranch_execz .LBB125_185
.LBB125_184:
	v_lshlrev_b32_e32 v22, 3, v0
	v_mov_b32_e32 v24, 0
	ds_read_b64 v[22:23], v22 offset:28544
	ds_read_b64 v[24:25], v24 offset:28600
	s_waitcnt lgkmcnt(0)
	v_fma_f64 v[11:12], v[22:23], v[24:25], v[11:12]
.LBB125_185:
	s_or_b64 exec, exec, s[14:15]
.LBB125_186:
	s_or_b64 exec, exec, s[0:1]
	s_and_saveexec_b64 s[0:1], s[46:47]
	s_cbranch_execz .LBB125_188
; %bb.187:
	v_mov_b32_e32 v22, 0
	ds_read_b64 v[22:23], v22 offset:26520
	s_waitcnt lgkmcnt(0)
	v_mul_f64 v[11:12], v[11:12], v[22:23]
	v_xor_b32_e32 v23, 0x80000000, v12
	v_mov_b32_e32 v22, v11
	ds_write_b64 v18, v[22:23]
.LBB125_188:
	s_or_b64 exec, exec, s[0:1]
	s_waitcnt lgkmcnt(0)
	s_barrier
	s_and_saveexec_b64 s[0:1], s[48:49]
	s_cbranch_execz .LBB125_190
; %bb.189:
	v_lshlrev_b32_e32 v22, 3, v16
	ds_read_b64 v[22:23], v22 offset:26496
	ds_read_b64 v[24:25], v18
	s_waitcnt lgkmcnt(0)
	v_fma_f64 v[11:12], -v[22:23], v[24:25], v[11:12]
.LBB125_190:
	s_or_b64 exec, exec, s[0:1]
	s_barrier
	s_and_saveexec_b64 s[0:1], s[50:51]
	s_cbranch_execz .LBB125_192
; %bb.191:
	v_mov_b32_e32 v22, 0
	ds_read_b64 v[22:23], v22 offset:26000
	s_waitcnt lgkmcnt(0)
	v_mul_f64 v[11:12], v[11:12], v[22:23]
	v_xor_b32_e32 v23, 0x80000000, v12
	v_mov_b32_e32 v22, v11
	ds_write_b64 v18, v[22:23]
.LBB125_192:
	s_or_b64 exec, exec, s[0:1]
	s_waitcnt lgkmcnt(0)
	s_barrier
	s_and_saveexec_b64 s[0:1], s[52:53]
	s_cbranch_execz .LBB125_194
; %bb.193:
	v_lshlrev_b32_e32 v22, 3, v16
	ds_read_b64 v[22:23], v22 offset:25984
	ds_read_b64 v[24:25], v18
	s_waitcnt lgkmcnt(0)
	v_fma_f64 v[11:12], -v[22:23], v[24:25], v[11:12]
.LBB125_194:
	s_or_b64 exec, exec, s[0:1]
	s_barrier
	s_and_saveexec_b64 s[0:1], s[54:55]
	s_cbranch_execz .LBB125_196
; %bb.195:
	v_mov_b32_e32 v22, 0
	ds_read_b64 v[22:23], v22 offset:25480
	s_waitcnt lgkmcnt(0)
	v_mul_f64 v[11:12], v[11:12], v[22:23]
	v_xor_b32_e32 v23, 0x80000000, v12
	v_mov_b32_e32 v22, v11
	ds_write_b64 v18, v[22:23]
.LBB125_196:
	s_or_b64 exec, exec, s[0:1]
	s_waitcnt lgkmcnt(0)
	s_barrier
	s_and_saveexec_b64 s[0:1], s[44:45]
	s_cbranch_execz .LBB125_198
; %bb.197:
	v_mov_b32_e32 v22, 0
	ds_read_b64 v[22:23], v22 offset:25472
	ds_read_b64 v[24:25], v18
	s_waitcnt lgkmcnt(0)
	v_fma_f64 v[11:12], -v[22:23], v[24:25], v[11:12]
.LBB125_198:
	s_or_b64 exec, exec, s[0:1]
	s_barrier
	s_and_saveexec_b64 s[0:1], s[44:45]
	s_cbranch_execz .LBB125_200
; %bb.199:
	v_mov_b32_e32 v22, 0
	ds_read_b64 v[22:23], v22 offset:24960
	s_waitcnt lgkmcnt(0)
	v_mul_f64 v[11:12], v[11:12], v[22:23]
	v_xor_b32_e32 v23, 0x80000000, v12
	v_mov_b32_e32 v22, v11
	ds_write_b64 v18, v[22:23]
.LBB125_200:
	s_or_b64 exec, exec, s[0:1]
	s_waitcnt lgkmcnt(0)
	s_barrier
	s_barrier
	s_and_saveexec_b64 s[0:1], s[18:19]
; %bb.201:
	v_lshlrev_b32_e32 v22, 3, v16
	v_lshl_or_b32 v22, v17, 9, v22
	ds_write_b64 v22, v[11:12] offset:27008
; %bb.202:
	s_or_b64 exec, exec, s[0:1]
	s_waitcnt lgkmcnt(0)
	s_barrier
	s_barrier
	s_and_saveexec_b64 s[0:1], s[56:57]
	s_cbranch_execz .LBB125_204
; %bb.203:
	v_lshlrev_b32_e32 v22, 9, v0
	ds_read_b64 v[11:12], v22 offset:27008
	s_movk_i32 s10, 0xfe08
	v_mad_i32_i24 v23, v0, s10, v22
	s_waitcnt lgkmcnt(0)
	ds_write_b64 v23, v[11:12] offset:24992
	ds_read_b64 v[11:12], v22 offset:27016
	s_waitcnt lgkmcnt(0)
	ds_write_b64 v23, v[11:12] offset:25504
	ds_read_b64 v[11:12], v22 offset:27024
	;; [unrolled: 3-line block ×3, first 2 shown]
	s_waitcnt lgkmcnt(0)
	ds_write_b64 v23, v[11:12] offset:26528
.LBB125_204:
	s_or_b64 exec, exec, s[0:1]
	s_waitcnt lgkmcnt(0)
	s_barrier
	s_and_saveexec_b64 s[0:1], vcc
	s_cbranch_execz .LBB125_206
; %bb.205:
	v_mov_b32_e32 v11, 0
	ds_read_b128 v[22:25], v11 offset:26512
	ds_read_b64 v[11:12], v11 offset:26000
	s_movk_i32 s10, 0x6000
	s_waitcnt lgkmcnt(0)
	v_mul_f64 v[11:12], v[11:12], v[24:25]
	v_mul_f64 v[11:12], v[22:23], v[11:12]
	v_add_u32_e64 v22, s10, 0
	ds_write2_b64 v22, v[11:12], v[11:12] offset0:179 offset1:242
.LBB125_206:
	s_or_b64 exec, exec, s[0:1]
	v_mov_b32_e32 v11, 0
	v_mov_b32_e32 v12, 0
	s_waitcnt lgkmcnt(0)
	s_barrier
	buffer_wbinvl1_vol
	s_and_saveexec_b64 s[0:1], s[2:3]
	s_cbranch_execz .LBB125_210
; %bb.207:
	v_lshlrev_b32_e32 v22, 9, v13
	v_lshlrev_b32_e32 v11, 3, v1
	ds_read_b64 v[11:12], v11 offset:25984
	ds_read_b64 v[22:23], v22 offset:26000
	v_cmp_gt_u32_e64 s[10:11], 2, v15
	s_waitcnt lgkmcnt(0)
	v_fma_f64 v[11:12], v[11:12], v[22:23], 0
	s_and_saveexec_b64 s[14:15], s[10:11]
	s_cbranch_execz .LBB125_209
; %bb.208:
	v_lshlrev_b32_e32 v22, 3, v0
	v_mov_b32_e32 v24, 0
	ds_read_b64 v[22:23], v22 offset:26496
	ds_read_b64 v[24:25], v24 offset:26520
	s_waitcnt lgkmcnt(0)
	v_fma_f64 v[11:12], v[22:23], v[24:25], v[11:12]
.LBB125_209:
	s_or_b64 exec, exec, s[14:15]
.LBB125_210:
	s_or_b64 exec, exec, s[0:1]
	s_and_saveexec_b64 s[0:1], s[40:41]
	s_cbranch_execz .LBB125_212
; %bb.211:
	v_mov_b32_e32 v22, 0
	ds_read_b64 v[22:23], v22 offset:25480
	s_waitcnt lgkmcnt(0)
	v_mul_f64 v[11:12], v[11:12], v[22:23]
	v_xor_b32_e32 v23, 0x80000000, v12
	v_mov_b32_e32 v22, v11
	ds_write_b64 v14, v[22:23]
.LBB125_212:
	s_or_b64 exec, exec, s[0:1]
	s_waitcnt lgkmcnt(0)
	s_barrier
	s_and_saveexec_b64 s[0:1], s[38:39]
	s_cbranch_execz .LBB125_214
; %bb.213:
	v_mov_b32_e32 v22, 0
	ds_read_b64 v[22:23], v22 offset:25472
	ds_read_b64 v[24:25], v14
	s_waitcnt lgkmcnt(0)
	v_fma_f64 v[11:12], -v[22:23], v[24:25], v[11:12]
.LBB125_214:
	s_or_b64 exec, exec, s[0:1]
	s_barrier
	s_and_saveexec_b64 s[0:1], s[38:39]
	s_cbranch_execz .LBB125_216
; %bb.215:
	v_mov_b32_e32 v22, 0
	ds_read_b64 v[22:23], v22 offset:24960
	s_waitcnt lgkmcnt(0)
	v_mul_f64 v[11:12], v[11:12], v[22:23]
	v_xor_b32_e32 v23, 0x80000000, v12
	v_mov_b32_e32 v22, v11
	ds_write_b64 v14, v[22:23]
.LBB125_216:
	s_or_b64 exec, exec, s[0:1]
	s_waitcnt lgkmcnt(0)
	s_barrier
	s_barrier
	s_and_saveexec_b64 s[0:1], s[2:3]
; %bb.217:
	v_lshlrev_b32_e32 v22, 3, v1
	v_lshl_or_b32 v22, v13, 9, v22
	ds_write_b64 v22, v[11:12] offset:25984
; %bb.218:
	s_or_b64 exec, exec, s[0:1]
	s_waitcnt lgkmcnt(0)
	s_barrier
	s_barrier
	s_and_saveexec_b64 s[0:1], s[42:43]
	s_cbranch_execz .LBB125_220
; %bb.219:
	v_lshlrev_b32_e32 v22, 3, v0
	s_movk_i32 s10, 0x1f8
	v_mad_u32_u24 v23, v0, s10, v22
	ds_read_b64 v[11:12], v23 offset:25984
	s_waitcnt lgkmcnt(0)
	ds_write_b64 v22, v[11:12] offset:24976
	ds_read_b64 v[11:12], v23 offset:25992
	s_waitcnt lgkmcnt(0)
	ds_write_b64 v22, v[11:12] offset:25488
.LBB125_220:
	s_or_b64 exec, exec, s[0:1]
	s_waitcnt lgkmcnt(0)
	s_barrier
	s_and_saveexec_b64 s[0:1], vcc
	s_cbranch_execz .LBB125_222
; %bb.221:
	v_mov_b32_e32 v11, 0
	ds_read_b128 v[22:25], v11 offset:25472
	ds_read_b64 v[11:12], v11 offset:24960
	s_movk_i32 s10, 0x6000
	s_waitcnt lgkmcnt(0)
	v_mul_f64 v[11:12], v[11:12], v[24:25]
	v_mul_f64 v[11:12], v[22:23], v[11:12]
	v_add_u32_e64 v22, s10, 0
	ds_write2_b64 v22, v[11:12], v[11:12] offset0:49 offset1:112
.LBB125_222:
	s_or_b64 exec, exec, s[0:1]
	s_movk_i32 s0, 0xff
	v_lshrrev_b32_e32 v24, 4, v15
	v_cmp_lt_u32_e64 s[14:15], s0, v15
	s_movk_i32 s0, 0x100
	v_mov_b32_e32 v11, 0
	v_and_b32_e32 v22, 15, v0
	v_sub_u32_e32 v23, 15, v24
	v_mov_b32_e32 v12, 0
	v_cmp_gt_u32_e64 s[10:11], s0, v15
	s_waitcnt lgkmcnt(0)
	s_barrier
	buffer_wbinvl1_vol
	s_and_saveexec_b64 s[0:1], s[10:11]
	s_cbranch_execz .LBB125_250
; %bb.223:
	v_lshlrev_b32_e32 v26, 3, v22
	v_lshlrev_b32_e32 v25, 9, v23
	ds_read_b64 v[11:12], v26 offset:24832
	ds_read_b64 v[27:28], v25 offset:24960
	s_movk_i32 s16, 0xf0
	v_cmp_gt_u32_e64 s[16:17], s16, v15
	s_waitcnt lgkmcnt(0)
	v_fma_f64 v[11:12], v[11:12], v[27:28], 0
	s_and_saveexec_b64 s[20:21], s[16:17]
	s_cbranch_execz .LBB125_225
; %bb.224:
	ds_read_b64 v[27:28], v26 offset:25344
	ds_read_b64 v[29:30], v25 offset:24968
	s_waitcnt lgkmcnt(0)
	v_fma_f64 v[11:12], v[27:28], v[29:30], v[11:12]
.LBB125_225:
	s_or_b64 exec, exec, s[20:21]
	s_movk_i32 s16, 0xe0
	v_cmp_gt_u32_e64 s[16:17], s16, v15
	s_and_saveexec_b64 s[20:21], s[16:17]
	s_cbranch_execz .LBB125_227
; %bb.226:
	ds_read_b64 v[27:28], v26 offset:25856
	ds_read_b64 v[29:30], v25 offset:24976
	s_waitcnt lgkmcnt(0)
	v_fma_f64 v[11:12], v[27:28], v[29:30], v[11:12]
.LBB125_227:
	s_or_b64 exec, exec, s[20:21]
	s_movk_i32 s16, 0xd0
	v_cmp_gt_u32_e64 s[16:17], s16, v15
	;; [unrolled: 11-line block ×10, first 2 shown]
	s_and_saveexec_b64 s[20:21], s[16:17]
	s_cbranch_execnz .LBB125_1108
; %bb.244:
	s_or_b64 exec, exec, s[20:21]
	s_and_saveexec_b64 s[16:17], s[8:9]
	s_cbranch_execnz .LBB125_1109
.LBB125_245:
	s_or_b64 exec, exec, s[16:17]
	v_cmp_gt_u32_e64 s[16:17], 48, v15
	s_and_saveexec_b64 s[20:21], s[16:17]
	s_cbranch_execnz .LBB125_1110
.LBB125_246:
	s_or_b64 exec, exec, s[20:21]
	v_cmp_gt_u32_e64 s[16:17], 32, v15
	s_and_saveexec_b64 s[20:21], s[16:17]
	s_cbranch_execnz .LBB125_1111
.LBB125_247:
	s_or_b64 exec, exec, s[20:21]
	v_cmp_gt_u32_e64 s[16:17], 16, v15
	s_and_saveexec_b64 s[20:21], s[16:17]
	s_cbranch_execz .LBB125_249
.LBB125_248:
	v_lshlrev_b32_e32 v25, 3, v0
	v_mov_b32_e32 v27, 0
	ds_read_b64 v[25:26], v25 offset:32512
	ds_read_b64 v[27:28], v27 offset:32760
	s_waitcnt lgkmcnt(0)
	v_fma_f64 v[11:12], v[25:26], v[27:28], v[11:12]
.LBB125_249:
	s_or_b64 exec, exec, s[20:21]
.LBB125_250:
	s_or_b64 exec, exec, s[0:1]
	v_mov_b32_e32 v25, 0x8000
	v_lshl_add_u32 v24, v24, 3, v25
	v_cmp_eq_u32_e64 s[16:17], 15, v22
	s_xor_b64 s[20:21], s[14:15], -1
	s_and_b64 s[14:15], s[16:17], s[20:21]
	s_mov_b64 s[0:1], exec
	v_writelane_b32 v36, s14, 7
	v_writelane_b32 v36, s15, 8
	s_and_b64 s[14:15], s[0:1], s[14:15]
	s_mov_b64 exec, s[14:15]
	s_cbranch_execz .LBB125_252
; %bb.251:
	v_mov_b32_e32 v25, 0
	ds_read_b64 v[25:26], v25 offset:24440
	s_waitcnt lgkmcnt(0)
	v_mul_f64 v[11:12], v[11:12], v[25:26]
	v_xor_b32_e32 v26, 0x80000000, v12
	v_mov_b32_e32 v25, v11
	ds_write_b64 v24, v[25:26]
.LBB125_252:
	s_or_b64 exec, exec, s[0:1]
	v_cmp_ne_u32_e64 s[14:15], 15, v22
	s_waitcnt lgkmcnt(0)
	s_barrier
	s_and_b64 s[14:15], s[14:15], s[20:21]
	s_mov_b64 s[0:1], exec
	v_writelane_b32 v36, s14, 9
	v_writelane_b32 v36, s15, 10
	s_and_b64 s[14:15], s[0:1], s[14:15]
	s_mov_b64 exec, s[14:15]
	s_cbranch_execz .LBB125_254
; %bb.253:
	v_lshlrev_b32_e32 v25, 3, v22
	ds_read_b64 v[25:26], v25 offset:24320
	ds_read_b64 v[27:28], v24
	s_waitcnt lgkmcnt(0)
	v_fma_f64 v[11:12], -v[25:26], v[27:28], v[11:12]
.LBB125_254:
	s_or_b64 exec, exec, s[0:1]
	v_cmp_eq_u32_e64 s[14:15], 14, v22
	s_barrier
	s_and_b64 s[14:15], s[14:15], s[20:21]
	s_mov_b64 s[0:1], exec
	v_writelane_b32 v36, s14, 11
	v_writelane_b32 v36, s15, 12
	s_and_b64 s[14:15], s[0:1], s[14:15]
	s_mov_b64 exec, s[14:15]
	s_cbranch_execz .LBB125_256
; %bb.255:
	v_mov_b32_e32 v25, 0
	ds_read_b64 v[25:26], v25 offset:23920
	s_waitcnt lgkmcnt(0)
	v_mul_f64 v[11:12], v[11:12], v[25:26]
	v_xor_b32_e32 v26, 0x80000000, v12
	v_mov_b32_e32 v25, v11
	ds_write_b64 v24, v[25:26]
.LBB125_256:
	s_or_b64 exec, exec, s[0:1]
	v_cmp_gt_u32_e64 s[14:15], 14, v22
	s_waitcnt lgkmcnt(0)
	s_barrier
	s_and_b64 s[14:15], s[14:15], s[20:21]
	s_mov_b64 s[0:1], exec
	v_writelane_b32 v36, s14, 13
	v_writelane_b32 v36, s15, 14
	s_and_b64 s[14:15], s[0:1], s[14:15]
	s_mov_b64 exec, s[14:15]
	s_cbranch_execz .LBB125_258
; %bb.257:
	v_lshlrev_b32_e32 v25, 3, v22
	ds_read_b64 v[25:26], v25 offset:23808
	ds_read_b64 v[27:28], v24
	s_waitcnt lgkmcnt(0)
	v_fma_f64 v[11:12], -v[25:26], v[27:28], v[11:12]
.LBB125_258:
	s_or_b64 exec, exec, s[0:1]
	v_cmp_eq_u32_e64 s[14:15], 13, v22
	s_barrier
	s_and_b64 s[14:15], s[14:15], s[20:21]
	s_mov_b64 s[0:1], exec
	v_writelane_b32 v36, s14, 15
	v_writelane_b32 v36, s15, 16
	s_and_b64 s[14:15], s[0:1], s[14:15]
	s_mov_b64 exec, s[14:15]
	s_cbranch_execz .LBB125_260
; %bb.259:
	v_mov_b32_e32 v25, 0
	ds_read_b64 v[25:26], v25 offset:23400
	s_waitcnt lgkmcnt(0)
	v_mul_f64 v[11:12], v[11:12], v[25:26]
	v_xor_b32_e32 v26, 0x80000000, v12
	v_mov_b32_e32 v25, v11
	ds_write_b64 v24, v[25:26]
.LBB125_260:
	s_or_b64 exec, exec, s[0:1]
	v_cmp_gt_u32_e64 s[14:15], 13, v22
	;; [unrolled: 37-line block ×13, first 2 shown]
	s_waitcnt lgkmcnt(0)
	s_barrier
	s_and_b64 s[14:15], s[14:15], s[20:21]
	s_mov_b64 s[0:1], exec
	v_writelane_b32 v36, s14, 61
	v_writelane_b32 v36, s15, 62
	s_and_b64 s[14:15], s[0:1], s[14:15]
	s_mov_b64 exec, s[14:15]
	s_cbranch_execz .LBB125_306
; %bb.305:
	v_lshlrev_b32_e32 v25, 3, v22
	ds_read_b64 v[25:26], v25 offset:17664
	ds_read_b64 v[27:28], v24
	s_waitcnt lgkmcnt(0)
	v_fma_f64 v[11:12], -v[25:26], v[27:28], v[11:12]
.LBB125_306:
	s_or_b64 exec, exec, s[0:1]
	v_cmp_eq_u32_e64 s[14:15], 1, v22
	s_and_b64 s[92:93], s[14:15], s[20:21]
	s_barrier
	s_and_saveexec_b64 s[14:15], s[92:93]
	s_cbranch_execz .LBB125_308
; %bb.307:
	v_mov_b32_e32 v25, 0
	ds_read_b64 v[25:26], v25 offset:17160
	s_waitcnt lgkmcnt(0)
	v_mul_f64 v[11:12], v[11:12], v[25:26]
	v_xor_b32_e32 v26, 0x80000000, v12
	v_mov_b32_e32 v25, v11
	ds_write_b64 v24, v[25:26]
.LBB125_308:
	s_or_b64 exec, exec, s[14:15]
	v_cmp_eq_u32_e64 s[14:15], 0, v22
	s_and_b64 s[88:89], s[14:15], s[20:21]
	s_waitcnt lgkmcnt(0)
	s_barrier
	s_and_saveexec_b64 s[0:1], s[88:89]
	s_cbranch_execz .LBB125_310
; %bb.309:
	v_mov_b32_e32 v25, 0
	ds_read_b64 v[25:26], v25 offset:17152
	ds_read_b64 v[27:28], v24
	s_waitcnt lgkmcnt(0)
	v_fma_f64 v[11:12], -v[25:26], v[27:28], v[11:12]
.LBB125_310:
	s_or_b64 exec, exec, s[0:1]
	s_barrier
	s_and_saveexec_b64 s[14:15], s[88:89]
	s_cbranch_execz .LBB125_312
; %bb.311:
	v_mov_b32_e32 v25, 0
	ds_read_b64 v[25:26], v25 offset:16640
	s_waitcnt lgkmcnt(0)
	v_mul_f64 v[11:12], v[11:12], v[25:26]
	v_xor_b32_e32 v26, 0x80000000, v12
	v_mov_b32_e32 v25, v11
	ds_write_b64 v24, v[25:26]
.LBB125_312:
	s_or_b64 exec, exec, s[14:15]
	s_waitcnt lgkmcnt(0)
	s_barrier
	s_barrier
	s_and_saveexec_b64 s[0:1], s[10:11]
; %bb.313:
	v_lshlrev_b32_e32 v25, 3, v22
	v_lshl_or_b32 v25, v23, 9, v25
	ds_write_b64 v25, v[11:12] offset:24832
; %bb.314:
	s_or_b64 exec, exec, s[0:1]
	v_cmp_gt_u32_e64 s[14:15], 16, v0
	s_and_b64 s[94:95], s[12:13], s[14:15]
	s_waitcnt lgkmcnt(0)
	s_barrier
	s_barrier
	s_and_saveexec_b64 s[14:15], s[94:95]
	s_cbranch_execz .LBB125_316
; %bb.315:
	v_lshlrev_b32_e32 v25, 9, v0
	ds_read_b64 v[11:12], v25 offset:24832
	s_movk_i32 s0, 0xfe08
	v_mad_i32_i24 v26, v0, s0, v25
	s_waitcnt lgkmcnt(0)
	ds_write_b64 v26, v[11:12] offset:16768
	ds_read_b64 v[11:12], v25 offset:24840
	s_waitcnt lgkmcnt(0)
	ds_write_b64 v26, v[11:12] offset:17280
	ds_read_b64 v[11:12], v25 offset:24848
	;; [unrolled: 3-line block ×15, first 2 shown]
	s_waitcnt lgkmcnt(0)
	ds_write_b64 v26, v[11:12] offset:24448
.LBB125_316:
	s_or_b64 exec, exec, s[14:15]
	s_waitcnt lgkmcnt(0)
	s_barrier
	s_and_saveexec_b64 s[14:15], vcc
	s_cbranch_execz .LBB125_318
; %bb.317:
	v_mov_b32_e32 v11, 0
	ds_read_b128 v[25:28], v11 offset:24432
	ds_read_b64 v[11:12], v11 offset:23920
	s_movk_i32 s0, 0x5800
	s_waitcnt lgkmcnt(0)
	v_mul_f64 v[11:12], v[11:12], v[27:28]
	v_mul_f64 v[11:12], v[25:26], v[11:12]
	v_add_u32_e64 v25, s0, 0
	ds_write2_b64 v25, v[11:12], v[11:12] offset0:175 offset1:238
.LBB125_318:
	s_or_b64 exec, exec, s[14:15]
	v_mov_b32_e32 v11, 0
	v_mov_b32_e32 v12, 0
	s_waitcnt lgkmcnt(0)
	s_barrier
	buffer_wbinvl1_vol
	s_and_saveexec_b64 s[16:17], s[2:3]
	s_cbranch_execz .LBB125_322
; %bb.319:
	v_lshlrev_b32_e32 v25, 9, v13
	v_lshlrev_b32_e32 v11, 3, v1
	ds_read_b64 v[11:12], v11 offset:23904
	ds_read_b64 v[25:26], v25 offset:23920
	v_cmp_gt_u32_e64 s[14:15], 2, v15
	s_waitcnt lgkmcnt(0)
	v_fma_f64 v[11:12], v[11:12], v[25:26], 0
	s_and_saveexec_b64 s[20:21], s[14:15]
	s_cbranch_execz .LBB125_321
; %bb.320:
	v_lshlrev_b32_e32 v25, 3, v0
	v_mov_b32_e32 v27, 0
	ds_read_b64 v[25:26], v25 offset:24416
	ds_read_b64 v[27:28], v27 offset:24440
	s_waitcnt lgkmcnt(0)
	v_fma_f64 v[11:12], v[25:26], v[27:28], v[11:12]
.LBB125_321:
	s_or_b64 exec, exec, s[20:21]
.LBB125_322:
	s_or_b64 exec, exec, s[16:17]
	s_and_saveexec_b64 s[14:15], s[40:41]
	s_cbranch_execz .LBB125_324
; %bb.323:
	v_mov_b32_e32 v25, 0
	ds_read_b64 v[25:26], v25 offset:23400
	s_waitcnt lgkmcnt(0)
	v_mul_f64 v[11:12], v[11:12], v[25:26]
	v_xor_b32_e32 v26, 0x80000000, v12
	v_mov_b32_e32 v25, v11
	ds_write_b64 v14, v[25:26]
.LBB125_324:
	s_or_b64 exec, exec, s[14:15]
	s_waitcnt lgkmcnt(0)
	s_barrier
	s_and_saveexec_b64 s[0:1], s[38:39]
	s_cbranch_execz .LBB125_326
; %bb.325:
	v_mov_b32_e32 v25, 0
	ds_read_b64 v[25:26], v25 offset:23392
	ds_read_b64 v[27:28], v14
	s_waitcnt lgkmcnt(0)
	v_fma_f64 v[11:12], -v[25:26], v[27:28], v[11:12]
.LBB125_326:
	s_or_b64 exec, exec, s[0:1]
	s_barrier
	s_and_saveexec_b64 s[14:15], s[38:39]
	s_cbranch_execz .LBB125_328
; %bb.327:
	v_mov_b32_e32 v25, 0
	ds_read_b64 v[25:26], v25 offset:22880
	s_waitcnt lgkmcnt(0)
	v_mul_f64 v[11:12], v[11:12], v[25:26]
	v_xor_b32_e32 v26, 0x80000000, v12
	v_mov_b32_e32 v25, v11
	ds_write_b64 v14, v[25:26]
.LBB125_328:
	s_or_b64 exec, exec, s[14:15]
	s_waitcnt lgkmcnt(0)
	s_barrier
	s_barrier
	s_and_saveexec_b64 s[0:1], s[2:3]
; %bb.329:
	v_lshlrev_b32_e32 v25, 3, v1
	v_lshl_or_b32 v25, v13, 9, v25
	ds_write_b64 v25, v[11:12] offset:23904
; %bb.330:
	s_or_b64 exec, exec, s[0:1]
	s_waitcnt lgkmcnt(0)
	s_barrier
	s_barrier
	s_and_saveexec_b64 s[14:15], s[42:43]
	s_cbranch_execz .LBB125_332
; %bb.331:
	v_lshlrev_b32_e32 v25, 3, v0
	s_movk_i32 s0, 0x1f8
	v_mad_u32_u24 v26, v0, s0, v25
	ds_read_b64 v[11:12], v26 offset:23904
	s_waitcnt lgkmcnt(0)
	ds_write_b64 v25, v[11:12] offset:22896
	ds_read_b64 v[11:12], v26 offset:23912
	s_waitcnt lgkmcnt(0)
	ds_write_b64 v25, v[11:12] offset:23408
.LBB125_332:
	s_or_b64 exec, exec, s[14:15]
	s_waitcnt lgkmcnt(0)
	s_barrier
	s_and_saveexec_b64 s[14:15], vcc
	s_cbranch_execz .LBB125_334
; %bb.333:
	v_mov_b32_e32 v11, 0
	ds_read_b128 v[25:28], v11 offset:23392
	ds_read_b64 v[11:12], v11 offset:22880
	s_movk_i32 s0, 0x5800
	s_waitcnt lgkmcnt(0)
	v_mul_f64 v[11:12], v[11:12], v[27:28]
	v_mul_f64 v[11:12], v[25:26], v[11:12]
	v_add_u32_e64 v25, s0, 0
	ds_write2_b64 v25, v[11:12], v[11:12] offset0:45 offset1:108
.LBB125_334:
	s_or_b64 exec, exec, s[14:15]
	v_mov_b32_e32 v11, 0
	v_mov_b32_e32 v12, 0
	s_waitcnt lgkmcnt(0)
	s_barrier
	buffer_wbinvl1_vol
	s_and_saveexec_b64 s[16:17], s[18:19]
	s_cbranch_execz .LBB125_340
; %bb.335:
	v_lshlrev_b32_e32 v26, 3, v16
	v_lshlrev_b32_e32 v25, 9, v17
	ds_read_b64 v[11:12], v26 offset:22848
	ds_read_b64 v[27:28], v25 offset:22880
	v_cmp_gt_u32_e64 s[14:15], 12, v15
	s_waitcnt lgkmcnt(0)
	v_fma_f64 v[11:12], v[11:12], v[27:28], 0
	s_and_saveexec_b64 s[0:1], s[14:15]
	s_cbranch_execnz .LBB125_1112
; %bb.336:
	s_or_b64 exec, exec, s[0:1]
	v_cmp_gt_u32_e64 s[14:15], 8, v15
	s_and_saveexec_b64 s[0:1], s[14:15]
	s_cbranch_execnz .LBB125_1113
.LBB125_337:
	s_or_b64 exec, exec, s[0:1]
	v_cmp_gt_u32_e64 s[14:15], 4, v15
	s_and_saveexec_b64 s[20:21], s[14:15]
	s_cbranch_execz .LBB125_339
.LBB125_338:
	v_lshlrev_b32_e32 v25, 3, v0
	v_mov_b32_e32 v27, 0
	ds_read_b64 v[25:26], v25 offset:24384
	ds_read_b64 v[27:28], v27 offset:24440
	s_waitcnt lgkmcnt(0)
	v_fma_f64 v[11:12], v[25:26], v[27:28], v[11:12]
.LBB125_339:
	s_or_b64 exec, exec, s[20:21]
.LBB125_340:
	s_or_b64 exec, exec, s[16:17]
	s_and_saveexec_b64 s[14:15], s[46:47]
	s_cbranch_execz .LBB125_342
; %bb.341:
	v_mov_b32_e32 v25, 0
	ds_read_b64 v[25:26], v25 offset:22360
	s_waitcnt lgkmcnt(0)
	v_mul_f64 v[11:12], v[11:12], v[25:26]
	v_xor_b32_e32 v26, 0x80000000, v12
	v_mov_b32_e32 v25, v11
	ds_write_b64 v18, v[25:26]
.LBB125_342:
	s_or_b64 exec, exec, s[14:15]
	s_waitcnt lgkmcnt(0)
	s_barrier
	s_and_saveexec_b64 s[0:1], s[48:49]
	s_cbranch_execz .LBB125_344
; %bb.343:
	v_lshlrev_b32_e32 v25, 3, v16
	ds_read_b64 v[25:26], v25 offset:22336
	ds_read_b64 v[27:28], v18
	s_waitcnt lgkmcnt(0)
	v_fma_f64 v[11:12], -v[25:26], v[27:28], v[11:12]
.LBB125_344:
	s_or_b64 exec, exec, s[0:1]
	s_barrier
	s_and_saveexec_b64 s[14:15], s[50:51]
	s_cbranch_execz .LBB125_346
; %bb.345:
	v_mov_b32_e32 v25, 0
	ds_read_b64 v[25:26], v25 offset:21840
	s_waitcnt lgkmcnt(0)
	v_mul_f64 v[11:12], v[11:12], v[25:26]
	v_xor_b32_e32 v26, 0x80000000, v12
	v_mov_b32_e32 v25, v11
	ds_write_b64 v18, v[25:26]
.LBB125_346:
	s_or_b64 exec, exec, s[14:15]
	s_waitcnt lgkmcnt(0)
	s_barrier
	s_and_saveexec_b64 s[0:1], s[52:53]
	s_cbranch_execz .LBB125_348
; %bb.347:
	v_lshlrev_b32_e32 v25, 3, v16
	ds_read_b64 v[25:26], v25 offset:21824
	ds_read_b64 v[27:28], v18
	s_waitcnt lgkmcnt(0)
	v_fma_f64 v[11:12], -v[25:26], v[27:28], v[11:12]
.LBB125_348:
	s_or_b64 exec, exec, s[0:1]
	s_barrier
	s_and_saveexec_b64 s[14:15], s[54:55]
	s_cbranch_execz .LBB125_350
; %bb.349:
	v_mov_b32_e32 v25, 0
	ds_read_b64 v[25:26], v25 offset:21320
	s_waitcnt lgkmcnt(0)
	v_mul_f64 v[11:12], v[11:12], v[25:26]
	v_xor_b32_e32 v26, 0x80000000, v12
	v_mov_b32_e32 v25, v11
	ds_write_b64 v18, v[25:26]
.LBB125_350:
	s_or_b64 exec, exec, s[14:15]
	s_waitcnt lgkmcnt(0)
	s_barrier
	s_and_saveexec_b64 s[0:1], s[44:45]
	s_cbranch_execz .LBB125_352
; %bb.351:
	v_mov_b32_e32 v25, 0
	ds_read_b64 v[25:26], v25 offset:21312
	ds_read_b64 v[27:28], v18
	s_waitcnt lgkmcnt(0)
	v_fma_f64 v[11:12], -v[25:26], v[27:28], v[11:12]
.LBB125_352:
	s_or_b64 exec, exec, s[0:1]
	s_barrier
	s_and_saveexec_b64 s[14:15], s[44:45]
	s_cbranch_execz .LBB125_354
; %bb.353:
	v_mov_b32_e32 v25, 0
	ds_read_b64 v[25:26], v25 offset:20800
	s_waitcnt lgkmcnt(0)
	v_mul_f64 v[11:12], v[11:12], v[25:26]
	v_xor_b32_e32 v26, 0x80000000, v12
	v_mov_b32_e32 v25, v11
	ds_write_b64 v18, v[25:26]
.LBB125_354:
	s_or_b64 exec, exec, s[14:15]
	s_waitcnt lgkmcnt(0)
	s_barrier
	s_barrier
	s_and_saveexec_b64 s[0:1], s[18:19]
; %bb.355:
	v_lshlrev_b32_e32 v25, 3, v16
	v_lshl_or_b32 v25, v17, 9, v25
	ds_write_b64 v25, v[11:12] offset:22848
; %bb.356:
	s_or_b64 exec, exec, s[0:1]
	s_waitcnt lgkmcnt(0)
	s_barrier
	s_barrier
	s_and_saveexec_b64 s[14:15], s[56:57]
	s_cbranch_execz .LBB125_358
; %bb.357:
	v_lshlrev_b32_e32 v25, 9, v0
	ds_read_b64 v[11:12], v25 offset:22848
	s_movk_i32 s0, 0xfe08
	v_mad_i32_i24 v26, v0, s0, v25
	s_waitcnt lgkmcnt(0)
	ds_write_b64 v26, v[11:12] offset:20832
	ds_read_b64 v[11:12], v25 offset:22856
	s_waitcnt lgkmcnt(0)
	ds_write_b64 v26, v[11:12] offset:21344
	ds_read_b64 v[11:12], v25 offset:22864
	;; [unrolled: 3-line block ×3, first 2 shown]
	s_waitcnt lgkmcnt(0)
	ds_write_b64 v26, v[11:12] offset:22368
.LBB125_358:
	s_or_b64 exec, exec, s[14:15]
	s_waitcnt lgkmcnt(0)
	s_barrier
	s_and_saveexec_b64 s[14:15], vcc
	s_cbranch_execz .LBB125_360
; %bb.359:
	v_mov_b32_e32 v11, 0
	ds_read_b128 v[25:28], v11 offset:22352
	ds_read_b64 v[11:12], v11 offset:21840
	s_movk_i32 s0, 0x5000
	s_waitcnt lgkmcnt(0)
	v_mul_f64 v[11:12], v[11:12], v[27:28]
	v_mul_f64 v[11:12], v[25:26], v[11:12]
	v_add_u32_e64 v25, s0, 0
	ds_write2_b64 v25, v[11:12], v[11:12] offset0:171 offset1:234
.LBB125_360:
	s_or_b64 exec, exec, s[14:15]
	v_mov_b32_e32 v11, 0
	v_mov_b32_e32 v12, 0
	s_waitcnt lgkmcnt(0)
	s_barrier
	buffer_wbinvl1_vol
	s_and_saveexec_b64 s[16:17], s[2:3]
	s_cbranch_execz .LBB125_364
; %bb.361:
	v_lshlrev_b32_e32 v25, 9, v13
	v_lshlrev_b32_e32 v11, 3, v1
	ds_read_b64 v[11:12], v11 offset:21824
	ds_read_b64 v[25:26], v25 offset:21840
	v_cmp_gt_u32_e64 s[14:15], 2, v15
	s_waitcnt lgkmcnt(0)
	v_fma_f64 v[11:12], v[11:12], v[25:26], 0
	s_and_saveexec_b64 s[20:21], s[14:15]
	s_cbranch_execz .LBB125_363
; %bb.362:
	v_lshlrev_b32_e32 v25, 3, v0
	v_mov_b32_e32 v27, 0
	ds_read_b64 v[25:26], v25 offset:22336
	ds_read_b64 v[27:28], v27 offset:22360
	s_waitcnt lgkmcnt(0)
	v_fma_f64 v[11:12], v[25:26], v[27:28], v[11:12]
.LBB125_363:
	s_or_b64 exec, exec, s[20:21]
.LBB125_364:
	s_or_b64 exec, exec, s[16:17]
	s_and_saveexec_b64 s[14:15], s[40:41]
	s_cbranch_execz .LBB125_366
; %bb.365:
	v_mov_b32_e32 v25, 0
	ds_read_b64 v[25:26], v25 offset:21320
	s_waitcnt lgkmcnt(0)
	v_mul_f64 v[11:12], v[11:12], v[25:26]
	v_xor_b32_e32 v26, 0x80000000, v12
	v_mov_b32_e32 v25, v11
	ds_write_b64 v14, v[25:26]
.LBB125_366:
	s_or_b64 exec, exec, s[14:15]
	s_waitcnt lgkmcnt(0)
	s_barrier
	s_and_saveexec_b64 s[0:1], s[38:39]
	s_cbranch_execz .LBB125_368
; %bb.367:
	v_mov_b32_e32 v25, 0
	ds_read_b64 v[25:26], v25 offset:21312
	ds_read_b64 v[27:28], v14
	s_waitcnt lgkmcnt(0)
	v_fma_f64 v[11:12], -v[25:26], v[27:28], v[11:12]
.LBB125_368:
	s_or_b64 exec, exec, s[0:1]
	s_barrier
	s_and_saveexec_b64 s[14:15], s[38:39]
	s_cbranch_execz .LBB125_370
; %bb.369:
	v_mov_b32_e32 v25, 0
	ds_read_b64 v[25:26], v25 offset:20800
	s_waitcnt lgkmcnt(0)
	v_mul_f64 v[11:12], v[11:12], v[25:26]
	v_xor_b32_e32 v26, 0x80000000, v12
	v_mov_b32_e32 v25, v11
	ds_write_b64 v14, v[25:26]
.LBB125_370:
	s_or_b64 exec, exec, s[14:15]
	s_waitcnt lgkmcnt(0)
	s_barrier
	s_barrier
	s_and_saveexec_b64 s[0:1], s[2:3]
; %bb.371:
	v_lshlrev_b32_e32 v25, 3, v1
	v_lshl_or_b32 v25, v13, 9, v25
	ds_write_b64 v25, v[11:12] offset:21824
; %bb.372:
	s_or_b64 exec, exec, s[0:1]
	s_waitcnt lgkmcnt(0)
	s_barrier
	s_barrier
	s_and_saveexec_b64 s[14:15], s[42:43]
	s_cbranch_execz .LBB125_374
; %bb.373:
	v_lshlrev_b32_e32 v25, 3, v0
	s_movk_i32 s0, 0x1f8
	v_mad_u32_u24 v26, v0, s0, v25
	ds_read_b64 v[11:12], v26 offset:21824
	s_waitcnt lgkmcnt(0)
	ds_write_b64 v25, v[11:12] offset:20816
	ds_read_b64 v[11:12], v26 offset:21832
	s_waitcnt lgkmcnt(0)
	ds_write_b64 v25, v[11:12] offset:21328
.LBB125_374:
	s_or_b64 exec, exec, s[14:15]
	s_waitcnt lgkmcnt(0)
	s_barrier
	s_and_saveexec_b64 s[14:15], vcc
	s_cbranch_execz .LBB125_376
; %bb.375:
	v_mov_b32_e32 v11, 0
	ds_read_b128 v[25:28], v11 offset:21312
	ds_read_b64 v[11:12], v11 offset:20800
	s_movk_i32 s0, 0x5000
	s_waitcnt lgkmcnt(0)
	v_mul_f64 v[11:12], v[11:12], v[27:28]
	v_mul_f64 v[11:12], v[25:26], v[11:12]
	v_add_u32_e64 v25, s0, 0
	ds_write2_b64 v25, v[11:12], v[11:12] offset0:41 offset1:104
.LBB125_376:
	s_or_b64 exec, exec, s[14:15]
	v_mov_b32_e32 v11, 0
	v_mov_b32_e32 v12, 0
	s_waitcnt lgkmcnt(0)
	s_barrier
	buffer_wbinvl1_vol
	s_and_saveexec_b64 s[16:17], s[8:9]
	s_cbranch_execz .LBB125_386
; %bb.377:
	v_lshlrev_b32_e32 v26, 3, v19
	v_lshlrev_b32_e32 v25, 9, v20
	ds_read_b64 v[11:12], v26 offset:20736
	ds_read_b64 v[27:28], v25 offset:20800
	v_cmp_gt_u32_e64 s[14:15], 56, v15
	s_waitcnt lgkmcnt(0)
	v_fma_f64 v[11:12], v[11:12], v[27:28], 0
	s_and_saveexec_b64 s[0:1], s[14:15]
	s_cbranch_execnz .LBB125_1114
; %bb.378:
	s_or_b64 exec, exec, s[0:1]
	v_cmp_gt_u32_e64 s[14:15], 48, v15
	s_and_saveexec_b64 s[0:1], s[14:15]
	s_cbranch_execnz .LBB125_1115
.LBB125_379:
	s_or_b64 exec, exec, s[0:1]
	v_cmp_gt_u32_e64 s[14:15], 40, v15
	s_and_saveexec_b64 s[0:1], s[14:15]
	s_cbranch_execnz .LBB125_1116
.LBB125_380:
	s_or_b64 exec, exec, s[0:1]
	v_cmp_gt_u32_e64 s[14:15], 32, v15
	s_and_saveexec_b64 s[0:1], s[14:15]
	s_cbranch_execnz .LBB125_1117
.LBB125_381:
	s_or_b64 exec, exec, s[0:1]
	v_cmp_gt_u32_e64 s[14:15], 24, v15
	s_and_saveexec_b64 s[0:1], s[14:15]
	s_cbranch_execnz .LBB125_1118
.LBB125_382:
	s_or_b64 exec, exec, s[0:1]
	s_and_saveexec_b64 s[0:1], s[18:19]
	s_cbranch_execnz .LBB125_1119
.LBB125_383:
	s_or_b64 exec, exec, s[0:1]
	v_cmp_gt_u32_e64 s[14:15], 8, v15
	s_and_saveexec_b64 s[20:21], s[14:15]
	s_cbranch_execz .LBB125_385
.LBB125_384:
	v_lshlrev_b32_e32 v25, 3, v0
	v_mov_b32_e32 v27, 0
	ds_read_b64 v[25:26], v25 offset:24320
	ds_read_b64 v[27:28], v27 offset:24440
	s_waitcnt lgkmcnt(0)
	v_fma_f64 v[11:12], v[25:26], v[27:28], v[11:12]
.LBB125_385:
	s_or_b64 exec, exec, s[20:21]
.LBB125_386:
	s_or_b64 exec, exec, s[16:17]
	s_and_saveexec_b64 s[14:15], s[58:59]
	s_cbranch_execz .LBB125_388
; %bb.387:
	v_mov_b32_e32 v25, 0
	ds_read_b64 v[25:26], v25 offset:20280
	s_waitcnt lgkmcnt(0)
	v_mul_f64 v[11:12], v[11:12], v[25:26]
	v_xor_b32_e32 v26, 0x80000000, v12
	v_mov_b32_e32 v25, v11
	ds_write_b64 v21, v[25:26]
.LBB125_388:
	s_or_b64 exec, exec, s[14:15]
	s_waitcnt lgkmcnt(0)
	s_barrier
	s_and_saveexec_b64 s[0:1], s[60:61]
	s_cbranch_execz .LBB125_390
; %bb.389:
	v_lshlrev_b32_e32 v25, 3, v19
	ds_read_b64 v[25:26], v25 offset:20224
	ds_read_b64 v[27:28], v21
	s_waitcnt lgkmcnt(0)
	v_fma_f64 v[11:12], -v[25:26], v[27:28], v[11:12]
.LBB125_390:
	s_or_b64 exec, exec, s[0:1]
	s_barrier
	s_and_saveexec_b64 s[14:15], s[62:63]
	s_cbranch_execz .LBB125_392
; %bb.391:
	v_mov_b32_e32 v25, 0
	ds_read_b64 v[25:26], v25 offset:19760
	s_waitcnt lgkmcnt(0)
	v_mul_f64 v[11:12], v[11:12], v[25:26]
	v_xor_b32_e32 v26, 0x80000000, v12
	v_mov_b32_e32 v25, v11
	ds_write_b64 v21, v[25:26]
.LBB125_392:
	s_or_b64 exec, exec, s[14:15]
	s_waitcnt lgkmcnt(0)
	s_barrier
	s_and_saveexec_b64 s[0:1], s[64:65]
	s_cbranch_execz .LBB125_394
; %bb.393:
	v_lshlrev_b32_e32 v25, 3, v19
	ds_read_b64 v[25:26], v25 offset:19712
	ds_read_b64 v[27:28], v21
	s_waitcnt lgkmcnt(0)
	v_fma_f64 v[11:12], -v[25:26], v[27:28], v[11:12]
.LBB125_394:
	s_or_b64 exec, exec, s[0:1]
	s_barrier
	;; [unrolled: 25-line block ×6, first 2 shown]
	s_and_saveexec_b64 s[14:15], s[84:85]
	s_cbranch_execz .LBB125_412
; %bb.411:
	v_mov_b32_e32 v25, 0
	ds_read_b64 v[25:26], v25 offset:17160
	s_waitcnt lgkmcnt(0)
	v_mul_f64 v[11:12], v[11:12], v[25:26]
	v_xor_b32_e32 v26, 0x80000000, v12
	v_mov_b32_e32 v25, v11
	ds_write_b64 v21, v[25:26]
.LBB125_412:
	s_or_b64 exec, exec, s[14:15]
	s_waitcnt lgkmcnt(0)
	s_barrier
	s_and_saveexec_b64 s[0:1], s[68:69]
	s_cbranch_execz .LBB125_414
; %bb.413:
	v_mov_b32_e32 v25, 0
	ds_read_b64 v[25:26], v25 offset:17152
	ds_read_b64 v[27:28], v21
	s_waitcnt lgkmcnt(0)
	v_fma_f64 v[11:12], -v[25:26], v[27:28], v[11:12]
.LBB125_414:
	s_or_b64 exec, exec, s[0:1]
	s_barrier
	s_and_saveexec_b64 s[14:15], s[68:69]
	s_cbranch_execz .LBB125_416
; %bb.415:
	v_mov_b32_e32 v25, 0
	ds_read_b64 v[25:26], v25 offset:16640
	s_waitcnt lgkmcnt(0)
	v_mul_f64 v[11:12], v[11:12], v[25:26]
	v_xor_b32_e32 v26, 0x80000000, v12
	v_mov_b32_e32 v25, v11
	ds_write_b64 v21, v[25:26]
.LBB125_416:
	s_or_b64 exec, exec, s[14:15]
	s_waitcnt lgkmcnt(0)
	s_barrier
	s_barrier
	s_and_saveexec_b64 s[0:1], s[8:9]
; %bb.417:
	v_lshlrev_b32_e32 v25, 3, v19
	v_lshl_or_b32 v25, v20, 9, v25
	ds_write_b64 v25, v[11:12] offset:20736
; %bb.418:
	s_or_b64 exec, exec, s[0:1]
	s_waitcnt lgkmcnt(0)
	s_barrier
	s_barrier
	s_and_saveexec_b64 s[14:15], s[86:87]
	s_cbranch_execz .LBB125_420
; %bb.419:
	v_lshlrev_b32_e32 v25, 9, v0
	ds_read_b64 v[11:12], v25 offset:20736
	s_movk_i32 s0, 0xfe08
	v_mad_i32_i24 v26, v0, s0, v25
	s_waitcnt lgkmcnt(0)
	ds_write_b64 v26, v[11:12] offset:16704
	ds_read_b64 v[11:12], v25 offset:20744
	s_waitcnt lgkmcnt(0)
	ds_write_b64 v26, v[11:12] offset:17216
	ds_read_b64 v[11:12], v25 offset:20752
	;; [unrolled: 3-line block ×7, first 2 shown]
	s_waitcnt lgkmcnt(0)
	ds_write_b64 v26, v[11:12] offset:20288
.LBB125_420:
	s_or_b64 exec, exec, s[14:15]
	s_waitcnt lgkmcnt(0)
	s_barrier
	s_and_saveexec_b64 s[14:15], vcc
	s_cbranch_execz .LBB125_422
; %bb.421:
	v_mov_b32_e32 v11, 0
	ds_read_b128 v[25:28], v11 offset:20272
	ds_read_b64 v[11:12], v11 offset:19760
	s_movk_i32 s0, 0x4800
	s_waitcnt lgkmcnt(0)
	v_mul_f64 v[11:12], v[11:12], v[27:28]
	v_mul_f64 v[11:12], v[25:26], v[11:12]
	v_add_u32_e64 v25, s0, 0
	ds_write2_b64 v25, v[11:12], v[11:12] offset0:167 offset1:230
.LBB125_422:
	s_or_b64 exec, exec, s[14:15]
	v_mov_b32_e32 v11, 0
	v_mov_b32_e32 v12, 0
	s_waitcnt lgkmcnt(0)
	s_barrier
	buffer_wbinvl1_vol
	s_and_saveexec_b64 s[16:17], s[2:3]
	s_cbranch_execz .LBB125_426
; %bb.423:
	v_lshlrev_b32_e32 v25, 9, v13
	v_lshlrev_b32_e32 v11, 3, v1
	ds_read_b64 v[11:12], v11 offset:19744
	ds_read_b64 v[25:26], v25 offset:19760
	v_cmp_gt_u32_e64 s[14:15], 2, v15
	s_waitcnt lgkmcnt(0)
	v_fma_f64 v[11:12], v[11:12], v[25:26], 0
	s_and_saveexec_b64 s[20:21], s[14:15]
	s_cbranch_execz .LBB125_425
; %bb.424:
	v_lshlrev_b32_e32 v25, 3, v0
	v_mov_b32_e32 v27, 0
	ds_read_b64 v[25:26], v25 offset:20256
	ds_read_b64 v[27:28], v27 offset:20280
	s_waitcnt lgkmcnt(0)
	v_fma_f64 v[11:12], v[25:26], v[27:28], v[11:12]
.LBB125_425:
	s_or_b64 exec, exec, s[20:21]
.LBB125_426:
	s_or_b64 exec, exec, s[16:17]
	s_and_saveexec_b64 s[14:15], s[40:41]
	s_cbranch_execz .LBB125_428
; %bb.427:
	v_mov_b32_e32 v25, 0
	ds_read_b64 v[25:26], v25 offset:19240
	s_waitcnt lgkmcnt(0)
	v_mul_f64 v[11:12], v[11:12], v[25:26]
	v_xor_b32_e32 v26, 0x80000000, v12
	v_mov_b32_e32 v25, v11
	ds_write_b64 v14, v[25:26]
.LBB125_428:
	s_or_b64 exec, exec, s[14:15]
	s_waitcnt lgkmcnt(0)
	s_barrier
	s_and_saveexec_b64 s[0:1], s[38:39]
	s_cbranch_execz .LBB125_430
; %bb.429:
	v_mov_b32_e32 v25, 0
	ds_read_b64 v[25:26], v25 offset:19232
	ds_read_b64 v[27:28], v14
	s_waitcnt lgkmcnt(0)
	v_fma_f64 v[11:12], -v[25:26], v[27:28], v[11:12]
.LBB125_430:
	s_or_b64 exec, exec, s[0:1]
	s_barrier
	s_and_saveexec_b64 s[14:15], s[38:39]
	s_cbranch_execz .LBB125_432
; %bb.431:
	v_mov_b32_e32 v25, 0
	ds_read_b64 v[25:26], v25 offset:18720
	s_waitcnt lgkmcnt(0)
	v_mul_f64 v[11:12], v[11:12], v[25:26]
	v_xor_b32_e32 v26, 0x80000000, v12
	v_mov_b32_e32 v25, v11
	ds_write_b64 v14, v[25:26]
.LBB125_432:
	s_or_b64 exec, exec, s[14:15]
	s_waitcnt lgkmcnt(0)
	s_barrier
	s_barrier
	s_and_saveexec_b64 s[0:1], s[2:3]
; %bb.433:
	v_lshlrev_b32_e32 v25, 3, v1
	v_lshl_or_b32 v25, v13, 9, v25
	ds_write_b64 v25, v[11:12] offset:19744
; %bb.434:
	s_or_b64 exec, exec, s[0:1]
	s_waitcnt lgkmcnt(0)
	s_barrier
	s_barrier
	s_and_saveexec_b64 s[14:15], s[42:43]
	s_cbranch_execz .LBB125_436
; %bb.435:
	v_lshlrev_b32_e32 v25, 3, v0
	s_movk_i32 s0, 0x1f8
	v_mad_u32_u24 v26, v0, s0, v25
	ds_read_b64 v[11:12], v26 offset:19744
	s_waitcnt lgkmcnt(0)
	ds_write_b64 v25, v[11:12] offset:18736
	ds_read_b64 v[11:12], v26 offset:19752
	s_waitcnt lgkmcnt(0)
	ds_write_b64 v25, v[11:12] offset:19248
.LBB125_436:
	s_or_b64 exec, exec, s[14:15]
	s_waitcnt lgkmcnt(0)
	s_barrier
	s_and_saveexec_b64 s[14:15], vcc
	s_cbranch_execz .LBB125_438
; %bb.437:
	v_mov_b32_e32 v11, 0
	ds_read_b128 v[25:28], v11 offset:19232
	ds_read_b64 v[11:12], v11 offset:18720
	s_movk_i32 s0, 0x4800
	s_waitcnt lgkmcnt(0)
	v_mul_f64 v[11:12], v[11:12], v[27:28]
	v_mul_f64 v[11:12], v[25:26], v[11:12]
	v_add_u32_e64 v25, s0, 0
	ds_write2_b64 v25, v[11:12], v[11:12] offset0:37 offset1:100
.LBB125_438:
	s_or_b64 exec, exec, s[14:15]
	v_mov_b32_e32 v11, 0
	v_mov_b32_e32 v12, 0
	s_waitcnt lgkmcnt(0)
	s_barrier
	buffer_wbinvl1_vol
	s_and_saveexec_b64 s[16:17], s[18:19]
	s_cbranch_execz .LBB125_444
; %bb.439:
	v_lshlrev_b32_e32 v26, 3, v16
	v_lshlrev_b32_e32 v25, 9, v17
	ds_read_b64 v[11:12], v26 offset:18688
	ds_read_b64 v[27:28], v25 offset:18720
	v_cmp_gt_u32_e64 s[14:15], 12, v15
	s_waitcnt lgkmcnt(0)
	v_fma_f64 v[11:12], v[11:12], v[27:28], 0
	s_and_saveexec_b64 s[0:1], s[14:15]
	s_cbranch_execnz .LBB125_1120
; %bb.440:
	s_or_b64 exec, exec, s[0:1]
	v_cmp_gt_u32_e64 s[14:15], 8, v15
	s_and_saveexec_b64 s[0:1], s[14:15]
	s_cbranch_execnz .LBB125_1121
.LBB125_441:
	s_or_b64 exec, exec, s[0:1]
	v_cmp_gt_u32_e64 s[14:15], 4, v15
	s_and_saveexec_b64 s[20:21], s[14:15]
	s_cbranch_execz .LBB125_443
.LBB125_442:
	v_lshlrev_b32_e32 v25, 3, v0
	v_mov_b32_e32 v27, 0
	ds_read_b64 v[25:26], v25 offset:20224
	ds_read_b64 v[27:28], v27 offset:20280
	s_waitcnt lgkmcnt(0)
	v_fma_f64 v[11:12], v[25:26], v[27:28], v[11:12]
.LBB125_443:
	s_or_b64 exec, exec, s[20:21]
.LBB125_444:
	s_or_b64 exec, exec, s[16:17]
	s_and_saveexec_b64 s[14:15], s[46:47]
	s_cbranch_execz .LBB125_446
; %bb.445:
	v_mov_b32_e32 v25, 0
	ds_read_b64 v[25:26], v25 offset:18200
	s_waitcnt lgkmcnt(0)
	v_mul_f64 v[11:12], v[11:12], v[25:26]
	v_xor_b32_e32 v26, 0x80000000, v12
	v_mov_b32_e32 v25, v11
	ds_write_b64 v18, v[25:26]
.LBB125_446:
	s_or_b64 exec, exec, s[14:15]
	s_waitcnt lgkmcnt(0)
	s_barrier
	s_and_saveexec_b64 s[0:1], s[48:49]
	s_cbranch_execz .LBB125_448
; %bb.447:
	v_lshlrev_b32_e32 v25, 3, v16
	ds_read_b64 v[25:26], v25 offset:18176
	ds_read_b64 v[27:28], v18
	s_waitcnt lgkmcnt(0)
	v_fma_f64 v[11:12], -v[25:26], v[27:28], v[11:12]
.LBB125_448:
	s_or_b64 exec, exec, s[0:1]
	s_barrier
	s_and_saveexec_b64 s[14:15], s[50:51]
	s_cbranch_execz .LBB125_450
; %bb.449:
	v_mov_b32_e32 v25, 0
	ds_read_b64 v[25:26], v25 offset:17680
	s_waitcnt lgkmcnt(0)
	v_mul_f64 v[11:12], v[11:12], v[25:26]
	v_xor_b32_e32 v26, 0x80000000, v12
	v_mov_b32_e32 v25, v11
	ds_write_b64 v18, v[25:26]
.LBB125_450:
	s_or_b64 exec, exec, s[14:15]
	s_waitcnt lgkmcnt(0)
	s_barrier
	s_and_saveexec_b64 s[0:1], s[52:53]
	s_cbranch_execz .LBB125_452
; %bb.451:
	v_lshlrev_b32_e32 v25, 3, v16
	ds_read_b64 v[25:26], v25 offset:17664
	ds_read_b64 v[27:28], v18
	s_waitcnt lgkmcnt(0)
	v_fma_f64 v[11:12], -v[25:26], v[27:28], v[11:12]
.LBB125_452:
	s_or_b64 exec, exec, s[0:1]
	s_barrier
	s_and_saveexec_b64 s[14:15], s[54:55]
	s_cbranch_execz .LBB125_454
; %bb.453:
	v_mov_b32_e32 v25, 0
	ds_read_b64 v[25:26], v25 offset:17160
	s_waitcnt lgkmcnt(0)
	v_mul_f64 v[11:12], v[11:12], v[25:26]
	v_xor_b32_e32 v26, 0x80000000, v12
	v_mov_b32_e32 v25, v11
	ds_write_b64 v18, v[25:26]
.LBB125_454:
	s_or_b64 exec, exec, s[14:15]
	s_waitcnt lgkmcnt(0)
	s_barrier
	s_and_saveexec_b64 s[0:1], s[44:45]
	s_cbranch_execz .LBB125_456
; %bb.455:
	v_mov_b32_e32 v25, 0
	ds_read_b64 v[25:26], v25 offset:17152
	ds_read_b64 v[27:28], v18
	s_waitcnt lgkmcnt(0)
	v_fma_f64 v[11:12], -v[25:26], v[27:28], v[11:12]
.LBB125_456:
	s_or_b64 exec, exec, s[0:1]
	s_barrier
	s_and_saveexec_b64 s[14:15], s[44:45]
	s_cbranch_execz .LBB125_458
; %bb.457:
	v_mov_b32_e32 v25, 0
	ds_read_b64 v[25:26], v25 offset:16640
	s_waitcnt lgkmcnt(0)
	v_mul_f64 v[11:12], v[11:12], v[25:26]
	v_xor_b32_e32 v26, 0x80000000, v12
	v_mov_b32_e32 v25, v11
	ds_write_b64 v18, v[25:26]
.LBB125_458:
	s_or_b64 exec, exec, s[14:15]
	s_waitcnt lgkmcnt(0)
	s_barrier
	s_barrier
	s_and_saveexec_b64 s[0:1], s[18:19]
; %bb.459:
	v_lshlrev_b32_e32 v25, 3, v16
	v_lshl_or_b32 v25, v17, 9, v25
	ds_write_b64 v25, v[11:12] offset:18688
; %bb.460:
	s_or_b64 exec, exec, s[0:1]
	s_waitcnt lgkmcnt(0)
	s_barrier
	s_barrier
	s_and_saveexec_b64 s[14:15], s[56:57]
	s_cbranch_execz .LBB125_462
; %bb.461:
	v_lshlrev_b32_e32 v25, 9, v0
	ds_read_b64 v[11:12], v25 offset:18688
	s_movk_i32 s0, 0xfe08
	v_mad_i32_i24 v26, v0, s0, v25
	s_waitcnt lgkmcnt(0)
	ds_write_b64 v26, v[11:12] offset:16672
	ds_read_b64 v[11:12], v25 offset:18696
	s_waitcnt lgkmcnt(0)
	ds_write_b64 v26, v[11:12] offset:17184
	ds_read_b64 v[11:12], v25 offset:18704
	;; [unrolled: 3-line block ×3, first 2 shown]
	s_waitcnt lgkmcnt(0)
	ds_write_b64 v26, v[11:12] offset:18208
.LBB125_462:
	s_or_b64 exec, exec, s[14:15]
	s_waitcnt lgkmcnt(0)
	s_barrier
	s_and_saveexec_b64 s[14:15], vcc
	s_cbranch_execz .LBB125_464
; %bb.463:
	v_mov_b32_e32 v11, 0
	ds_read_b128 v[25:28], v11 offset:18192
	ds_read_b64 v[11:12], v11 offset:17680
	s_movk_i32 s0, 0x4000
	s_waitcnt lgkmcnt(0)
	v_mul_f64 v[11:12], v[11:12], v[27:28]
	v_mul_f64 v[11:12], v[25:26], v[11:12]
	v_add_u32_e64 v25, s0, 0
	ds_write2_b64 v25, v[11:12], v[11:12] offset0:163 offset1:226
.LBB125_464:
	s_or_b64 exec, exec, s[14:15]
	v_mov_b32_e32 v11, 0
	v_mov_b32_e32 v12, 0
	s_waitcnt lgkmcnt(0)
	s_barrier
	buffer_wbinvl1_vol
	s_and_saveexec_b64 s[16:17], s[2:3]
	s_cbranch_execz .LBB125_468
; %bb.465:
	v_lshlrev_b32_e32 v25, 9, v13
	v_lshlrev_b32_e32 v11, 3, v1
	ds_read_b64 v[11:12], v11 offset:17664
	ds_read_b64 v[25:26], v25 offset:17680
	v_cmp_gt_u32_e64 s[14:15], 2, v15
	s_waitcnt lgkmcnt(0)
	v_fma_f64 v[11:12], v[11:12], v[25:26], 0
	s_and_saveexec_b64 s[20:21], s[14:15]
	s_cbranch_execz .LBB125_467
; %bb.466:
	v_lshlrev_b32_e32 v25, 3, v0
	v_mov_b32_e32 v27, 0
	ds_read_b64 v[25:26], v25 offset:18176
	ds_read_b64 v[27:28], v27 offset:18200
	s_waitcnt lgkmcnt(0)
	v_fma_f64 v[11:12], v[25:26], v[27:28], v[11:12]
.LBB125_467:
	s_or_b64 exec, exec, s[20:21]
.LBB125_468:
	s_or_b64 exec, exec, s[16:17]
	s_and_saveexec_b64 s[14:15], s[40:41]
	s_cbranch_execz .LBB125_470
; %bb.469:
	v_mov_b32_e32 v25, 0
	ds_read_b64 v[25:26], v25 offset:17160
	s_waitcnt lgkmcnt(0)
	v_mul_f64 v[11:12], v[11:12], v[25:26]
	v_xor_b32_e32 v26, 0x80000000, v12
	v_mov_b32_e32 v25, v11
	ds_write_b64 v14, v[25:26]
.LBB125_470:
	s_or_b64 exec, exec, s[14:15]
	s_waitcnt lgkmcnt(0)
	s_barrier
	s_and_saveexec_b64 s[0:1], s[38:39]
	s_cbranch_execz .LBB125_472
; %bb.471:
	v_mov_b32_e32 v25, 0
	ds_read_b64 v[25:26], v25 offset:17152
	ds_read_b64 v[27:28], v14
	s_waitcnt lgkmcnt(0)
	v_fma_f64 v[11:12], -v[25:26], v[27:28], v[11:12]
.LBB125_472:
	s_or_b64 exec, exec, s[0:1]
	s_barrier
	s_and_saveexec_b64 s[14:15], s[38:39]
	s_cbranch_execz .LBB125_474
; %bb.473:
	v_mov_b32_e32 v25, 0
	ds_read_b64 v[25:26], v25 offset:16640
	s_waitcnt lgkmcnt(0)
	v_mul_f64 v[11:12], v[11:12], v[25:26]
	v_xor_b32_e32 v26, 0x80000000, v12
	v_mov_b32_e32 v25, v11
	ds_write_b64 v14, v[25:26]
.LBB125_474:
	s_or_b64 exec, exec, s[14:15]
	s_waitcnt lgkmcnt(0)
	s_barrier
	s_barrier
	s_and_saveexec_b64 s[0:1], s[2:3]
; %bb.475:
	v_lshlrev_b32_e32 v25, 3, v1
	v_lshl_or_b32 v25, v13, 9, v25
	ds_write_b64 v25, v[11:12] offset:17664
; %bb.476:
	s_or_b64 exec, exec, s[0:1]
	s_waitcnt lgkmcnt(0)
	s_barrier
	s_barrier
	s_and_saveexec_b64 s[14:15], s[42:43]
	s_cbranch_execz .LBB125_478
; %bb.477:
	v_lshlrev_b32_e32 v25, 3, v0
	s_movk_i32 s0, 0x1f8
	v_mad_u32_u24 v26, v0, s0, v25
	ds_read_b64 v[11:12], v26 offset:17664
	s_waitcnt lgkmcnt(0)
	ds_write_b64 v25, v[11:12] offset:16656
	ds_read_b64 v[11:12], v26 offset:17672
	s_waitcnt lgkmcnt(0)
	ds_write_b64 v25, v[11:12] offset:17168
.LBB125_478:
	s_or_b64 exec, exec, s[14:15]
	s_waitcnt lgkmcnt(0)
	s_barrier
	s_and_saveexec_b64 s[14:15], vcc
	s_cbranch_execz .LBB125_480
; %bb.479:
	v_mov_b32_e32 v11, 0
	ds_read_b128 v[25:28], v11 offset:17152
	ds_read_b64 v[11:12], v11 offset:16640
	s_movk_i32 s0, 0x4000
	s_waitcnt lgkmcnt(0)
	v_mul_f64 v[11:12], v[11:12], v[27:28]
	v_mul_f64 v[11:12], v[25:26], v[11:12]
	v_add_u32_e64 v25, s0, 0
	ds_write2_b64 v25, v[11:12], v[11:12] offset0:33 offset1:96
.LBB125_480:
	s_or_b64 exec, exec, s[14:15]
	s_movk_i32 s0, 0x3ff
	v_lshrrev_b32_e32 v27, 5, v15
	v_cmp_lt_u32_e64 s[16:17], s0, v15
	s_movk_i32 s0, 0x400
	v_mov_b32_e32 v11, 0
	v_and_b32_e32 v25, 31, v0
	v_sub_u32_e32 v26, 31, v27
	v_mov_b32_e32 v12, 0
	v_cmp_gt_u32_e64 s[14:15], s0, v15
	s_waitcnt lgkmcnt(0)
	s_barrier
	buffer_wbinvl1_vol
	s_and_saveexec_b64 s[34:35], s[14:15]
	s_cbranch_execz .LBB125_542
; %bb.481:
	v_lshlrev_b32_e32 v29, 3, v25
	v_lshlrev_b32_e32 v28, 9, v26
	ds_read_b64 v[11:12], v29 offset:16384
	ds_read_b64 v[30:31], v28 offset:16640
	s_movk_i32 s0, 0x3e0
	v_cmp_gt_u32_e64 s[20:21], s0, v15
	s_waitcnt lgkmcnt(0)
	v_fma_f64 v[11:12], v[11:12], v[30:31], 0
	s_and_saveexec_b64 s[0:1], s[20:21]
	s_cbranch_execz .LBB125_483
; %bb.482:
	ds_read_b64 v[30:31], v29 offset:16896
	ds_read_b64 v[32:33], v28 offset:16648
	s_waitcnt lgkmcnt(0)
	v_fma_f64 v[11:12], v[30:31], v[32:33], v[11:12]
.LBB125_483:
	s_or_b64 exec, exec, s[0:1]
	s_movk_i32 s0, 0x3c0
	v_cmp_gt_u32_e64 s[20:21], s0, v15
	s_and_saveexec_b64 s[0:1], s[20:21]
	s_cbranch_execz .LBB125_485
; %bb.484:
	ds_read_b64 v[30:31], v29 offset:17408
	ds_read_b64 v[32:33], v28 offset:16656
	s_waitcnt lgkmcnt(0)
	v_fma_f64 v[11:12], v[30:31], v[32:33], v[11:12]
.LBB125_485:
	s_or_b64 exec, exec, s[0:1]
	s_movk_i32 s0, 0x3a0
	v_cmp_gt_u32_e64 s[20:21], s0, v15
	;; [unrolled: 11-line block ×22, first 2 shown]
	s_and_saveexec_b64 s[0:1], s[20:21]
	s_cbranch_execz .LBB125_527
; %bb.526:
	ds_read_b64 v[30:31], v29 offset:28160
	ds_read_b64 v[32:33], v28 offset:16824
	s_waitcnt lgkmcnt(0)
	v_fma_f64 v[11:12], v[30:31], v[32:33], v[11:12]
.LBB125_527:
	s_or_b64 exec, exec, s[0:1]
	s_and_saveexec_b64 s[0:1], s[10:11]
	s_cbranch_execz .LBB125_529
; %bb.528:
	ds_read_b64 v[30:31], v29 offset:28672
	ds_read_b64 v[32:33], v28 offset:16832
	s_waitcnt lgkmcnt(0)
	v_fma_f64 v[11:12], v[30:31], v[32:33], v[11:12]
.LBB125_529:
	s_or_b64 exec, exec, s[0:1]
	s_movk_i32 s0, 0xe0
	v_cmp_gt_u32_e64 s[20:21], s0, v15
	s_and_saveexec_b64 s[0:1], s[20:21]
	s_cbranch_execz .LBB125_531
; %bb.530:
	ds_read_b64 v[30:31], v29 offset:29184
	ds_read_b64 v[32:33], v28 offset:16840
	s_waitcnt lgkmcnt(0)
	v_fma_f64 v[11:12], v[30:31], v[32:33], v[11:12]
.LBB125_531:
	s_or_b64 exec, exec, s[0:1]
	s_movk_i32 s0, 0xc0
	v_cmp_gt_u32_e64 s[20:21], s0, v15
	;; [unrolled: 11-line block ×5, first 2 shown]
	s_and_saveexec_b64 s[0:1], s[20:21]
	s_cbranch_execnz .LBB125_1122
; %bb.538:
	s_or_b64 exec, exec, s[0:1]
	s_and_saveexec_b64 s[0:1], s[8:9]
	s_cbranch_execnz .LBB125_1123
.LBB125_539:
	s_or_b64 exec, exec, s[0:1]
	v_cmp_gt_u32_e64 s[20:21], 32, v15
	s_and_saveexec_b64 s[0:1], s[20:21]
	s_cbranch_execz .LBB125_541
.LBB125_540:
	v_lshlrev_b32_e32 v28, 3, v0
	v_mov_b32_e32 v30, 0
	ds_read_b64 v[28:29], v28 offset:32256
	ds_read_b64 v[30:31], v30 offset:32760
	s_waitcnt lgkmcnt(0)
	v_fma_f64 v[11:12], v[28:29], v[30:31], v[11:12]
.LBB125_541:
	s_or_b64 exec, exec, s[0:1]
.LBB125_542:
	s_or_b64 exec, exec, s[34:35]
	v_mov_b32_e32 v28, 0x8000
	s_movk_i32 s0, 0x208
	v_lshlrev_b32_e32 v29, 9, v25
	v_mov_b32_e32 v30, 0x3800
	v_lshl_add_u32 v27, v27, 3, v28
	v_mul_u32_u24_e32 v28, 0x208, v25
	v_sub_u32_e32 v29, 0, v29
	v_mad_u32_u24 v30, v25, s0, v30
	s_mov_b32 s34, 31
	s_xor_b64 s[20:21], s[16:17], -1
	s_branch .LBB125_544
.LBB125_543:                            ;   in Loop: Header=BB125_544 Depth=1
	s_or_b64 exec, exec, s[0:1]
	s_add_i32 s34, s34, -4
	s_cmp_eq_u32 s35, 0
	v_add_u32_e32 v29, 0xfffff800, v29
	s_barrier
	s_cbranch_scc1 .LBB125_560
.LBB125_544:                            ; =>This Inner Loop Header: Depth=1
	s_movk_i32 s0, 0xc200
	v_cmp_eq_u32_e64 s[16:17], s0, v29
	s_and_b64 s[16:17], s[20:21], s[16:17]
	s_and_saveexec_b64 s[0:1], s[16:17]
	s_cbranch_execz .LBB125_546
; %bb.545:                              ;   in Loop: Header=BB125_544 Depth=1
	ds_read_b64 v[31:32], v28
	s_waitcnt lgkmcnt(0)
	v_mul_f64 v[11:12], v[11:12], v[31:32]
	v_xor_b32_e32 v32, 0x80000000, v12
	v_mov_b32_e32 v31, v11
	ds_write_b64 v27, v[31:32]
.LBB125_546:                            ;   in Loop: Header=BB125_544 Depth=1
	s_or_b64 exec, exec, s[0:1]
	v_cmp_gt_u32_e64 s[16:17], s34, v25
	s_and_b64 s[16:17], s[20:21], s[16:17]
	v_add_u32_e32 v31, v30, v29
	s_waitcnt lgkmcnt(0)
	s_barrier
	s_and_saveexec_b64 s[0:1], s[16:17]
	s_cbranch_execz .LBB125_548
; %bb.547:                              ;   in Loop: Header=BB125_544 Depth=1
	ds_read_b64 v[32:33], v31 offset:1536
	ds_read_b64 v[34:35], v27
	s_waitcnt lgkmcnt(0)
	v_fma_f64 v[11:12], -v[32:33], v[34:35], v[11:12]
.LBB125_548:                            ;   in Loop: Header=BB125_544 Depth=1
	s_or_b64 exec, exec, s[0:1]
	s_add_i32 s35, s34, -1
	v_cmp_eq_u32_e64 s[16:17], s35, v25
	s_and_b64 s[16:17], s[20:21], s[16:17]
	s_barrier
	s_and_saveexec_b64 s[0:1], s[16:17]
	s_cbranch_execz .LBB125_550
; %bb.549:                              ;   in Loop: Header=BB125_544 Depth=1
	ds_read_b64 v[32:33], v28
	s_waitcnt lgkmcnt(0)
	v_mul_f64 v[11:12], v[11:12], v[32:33]
	v_xor_b32_e32 v33, 0x80000000, v12
	v_mov_b32_e32 v32, v11
	ds_write_b64 v27, v[32:33]
.LBB125_550:                            ;   in Loop: Header=BB125_544 Depth=1
	s_or_b64 exec, exec, s[0:1]
	v_cmp_gt_u32_e64 s[16:17], s35, v25
	s_and_b64 s[16:17], s[20:21], s[16:17]
	s_waitcnt lgkmcnt(0)
	s_barrier
	s_and_saveexec_b64 s[0:1], s[16:17]
	s_cbranch_execz .LBB125_552
; %bb.551:                              ;   in Loop: Header=BB125_544 Depth=1
	ds_read_b64 v[32:33], v31 offset:1024
	ds_read_b64 v[34:35], v27
	s_waitcnt lgkmcnt(0)
	v_fma_f64 v[11:12], -v[32:33], v[34:35], v[11:12]
.LBB125_552:                            ;   in Loop: Header=BB125_544 Depth=1
	s_or_b64 exec, exec, s[0:1]
	s_add_i32 s35, s34, -2
	v_cmp_eq_u32_e64 s[16:17], s35, v25
	s_and_b64 s[16:17], s[20:21], s[16:17]
	s_barrier
	s_and_saveexec_b64 s[0:1], s[16:17]
	s_cbranch_execz .LBB125_554
; %bb.553:                              ;   in Loop: Header=BB125_544 Depth=1
	ds_read_b64 v[32:33], v28
	s_waitcnt lgkmcnt(0)
	v_mul_f64 v[11:12], v[11:12], v[32:33]
	v_xor_b32_e32 v33, 0x80000000, v12
	v_mov_b32_e32 v32, v11
	ds_write_b64 v27, v[32:33]
.LBB125_554:                            ;   in Loop: Header=BB125_544 Depth=1
	s_or_b64 exec, exec, s[0:1]
	v_cmp_gt_u32_e64 s[16:17], s35, v25
	s_and_b64 s[16:17], s[20:21], s[16:17]
	;; [unrolled: 28-line block ×3, first 2 shown]
	s_waitcnt lgkmcnt(0)
	s_barrier
	s_and_saveexec_b64 s[0:1], s[16:17]
	s_cbranch_execz .LBB125_543
; %bb.559:                              ;   in Loop: Header=BB125_544 Depth=1
	ds_read_b64 v[31:32], v31
	ds_read_b64 v[33:34], v27
	s_waitcnt lgkmcnt(0)
	v_fma_f64 v[11:12], -v[31:32], v[33:34], v[11:12]
	s_branch .LBB125_543
.LBB125_560:
	s_and_saveexec_b64 s[0:1], s[14:15]
; %bb.561:
	v_lshlrev_b32_e32 v25, 3, v25
	v_lshl_or_b32 v25, v26, 9, v25
	ds_write_b64 v25, v[11:12] offset:16384
; %bb.562:
	s_or_b64 exec, exec, s[0:1]
	v_cmp_gt_u32_e64 s[14:15], 32, v0
	s_and_b64 s[0:1], s[12:13], s[14:15]
	s_waitcnt lgkmcnt(0)
	s_barrier
	s_barrier
	s_and_saveexec_b64 s[12:13], s[0:1]
	s_cbranch_execz .LBB125_564
; %bb.563:
	v_lshlrev_b32_e32 v25, 9, v0
	ds_read_b64 v[11:12], v25 offset:16384
	s_movk_i32 s0, 0xfe08
	v_mad_i32_i24 v26, v0, s0, v25
	s_waitcnt lgkmcnt(0)
	ds_write_b64 v26, v[11:12] offset:256
	ds_read_b64 v[11:12], v25 offset:16392
	s_waitcnt lgkmcnt(0)
	ds_write_b64 v26, v[11:12] offset:768
	ds_read_b64 v[11:12], v25 offset:16400
	;; [unrolled: 3-line block ×31, first 2 shown]
	s_waitcnt lgkmcnt(0)
	ds_write_b64 v26, v[11:12] offset:16128
.LBB125_564:
	s_or_b64 exec, exec, s[12:13]
	s_waitcnt lgkmcnt(0)
	s_barrier
	s_and_saveexec_b64 s[12:13], vcc
	s_cbranch_execz .LBB125_566
; %bb.565:
	v_mov_b32_e32 v11, 0
	ds_read_b128 v[25:28], v11 offset:16112
	ds_read_b64 v[11:12], v11 offset:15600
	s_movk_i32 s0, 0x3800
	s_waitcnt lgkmcnt(0)
	v_mul_f64 v[11:12], v[11:12], v[27:28]
	v_mul_f64 v[11:12], v[25:26], v[11:12]
	v_add_u32_e64 v25, s0, 0
	ds_write2_b64 v25, v[11:12], v[11:12] offset0:159 offset1:222
.LBB125_566:
	s_or_b64 exec, exec, s[12:13]
	v_mov_b32_e32 v11, 0
	v_mov_b32_e32 v12, 0
	s_waitcnt lgkmcnt(0)
	s_barrier
	buffer_wbinvl1_vol
	s_and_saveexec_b64 s[14:15], s[2:3]
	s_cbranch_execz .LBB125_570
; %bb.567:
	v_lshlrev_b32_e32 v25, 9, v13
	v_lshlrev_b32_e32 v11, 3, v1
	ds_read_b64 v[11:12], v11 offset:15584
	ds_read_b64 v[25:26], v25 offset:15600
	v_cmp_gt_u32_e64 s[12:13], 2, v15
	s_waitcnt lgkmcnt(0)
	v_fma_f64 v[11:12], v[11:12], v[25:26], 0
	s_and_saveexec_b64 s[0:1], s[12:13]
	s_cbranch_execz .LBB125_569
; %bb.568:
	v_lshlrev_b32_e32 v25, 3, v0
	v_mov_b32_e32 v27, 0
	ds_read_b64 v[25:26], v25 offset:16096
	ds_read_b64 v[27:28], v27 offset:16120
	s_waitcnt lgkmcnt(0)
	v_fma_f64 v[11:12], v[25:26], v[27:28], v[11:12]
.LBB125_569:
	s_or_b64 exec, exec, s[0:1]
.LBB125_570:
	s_or_b64 exec, exec, s[14:15]
	s_and_saveexec_b64 s[12:13], s[40:41]
	s_cbranch_execz .LBB125_572
; %bb.571:
	v_mov_b32_e32 v25, 0
	ds_read_b64 v[25:26], v25 offset:15080
	s_waitcnt lgkmcnt(0)
	v_mul_f64 v[11:12], v[11:12], v[25:26]
	v_xor_b32_e32 v26, 0x80000000, v12
	v_mov_b32_e32 v25, v11
	ds_write_b64 v14, v[25:26]
.LBB125_572:
	s_or_b64 exec, exec, s[12:13]
	s_waitcnt lgkmcnt(0)
	s_barrier
	s_and_saveexec_b64 s[0:1], s[38:39]
	s_cbranch_execz .LBB125_574
; %bb.573:
	v_mov_b32_e32 v25, 0
	ds_read_b64 v[25:26], v25 offset:15072
	ds_read_b64 v[27:28], v14
	s_waitcnt lgkmcnt(0)
	v_fma_f64 v[11:12], -v[25:26], v[27:28], v[11:12]
.LBB125_574:
	s_or_b64 exec, exec, s[0:1]
	s_barrier
	s_and_saveexec_b64 s[12:13], s[38:39]
	s_cbranch_execz .LBB125_576
; %bb.575:
	v_mov_b32_e32 v25, 0
	ds_read_b64 v[25:26], v25 offset:14560
	s_waitcnt lgkmcnt(0)
	v_mul_f64 v[11:12], v[11:12], v[25:26]
	v_xor_b32_e32 v26, 0x80000000, v12
	v_mov_b32_e32 v25, v11
	ds_write_b64 v14, v[25:26]
.LBB125_576:
	s_or_b64 exec, exec, s[12:13]
	s_waitcnt lgkmcnt(0)
	s_barrier
	s_barrier
	s_and_saveexec_b64 s[0:1], s[2:3]
; %bb.577:
	v_lshlrev_b32_e32 v25, 3, v1
	v_lshl_or_b32 v25, v13, 9, v25
	ds_write_b64 v25, v[11:12] offset:15584
; %bb.578:
	s_or_b64 exec, exec, s[0:1]
	s_waitcnt lgkmcnt(0)
	s_barrier
	s_barrier
	s_and_saveexec_b64 s[0:1], s[42:43]
	s_cbranch_execz .LBB125_580
; %bb.579:
	v_lshlrev_b32_e32 v25, 3, v0
	s_movk_i32 s12, 0x1f8
	v_mad_u32_u24 v26, v0, s12, v25
	ds_read_b64 v[11:12], v26 offset:15584
	s_waitcnt lgkmcnt(0)
	ds_write_b64 v25, v[11:12] offset:14576
	ds_read_b64 v[11:12], v26 offset:15592
	s_waitcnt lgkmcnt(0)
	ds_write_b64 v25, v[11:12] offset:15088
.LBB125_580:
	s_or_b64 exec, exec, s[0:1]
	s_waitcnt lgkmcnt(0)
	s_barrier
	s_and_saveexec_b64 s[12:13], vcc
	s_cbranch_execz .LBB125_582
; %bb.581:
	v_mov_b32_e32 v11, 0
	ds_read_b128 v[25:28], v11 offset:15072
	ds_read_b64 v[11:12], v11 offset:14560
	s_movk_i32 s0, 0x3800
	s_waitcnt lgkmcnt(0)
	v_mul_f64 v[11:12], v[11:12], v[27:28]
	v_mul_f64 v[11:12], v[25:26], v[11:12]
	v_add_u32_e64 v25, s0, 0
	ds_write2_b64 v25, v[11:12], v[11:12] offset0:29 offset1:92
.LBB125_582:
	s_or_b64 exec, exec, s[12:13]
	v_mov_b32_e32 v11, 0
	v_mov_b32_e32 v12, 0
	s_waitcnt lgkmcnt(0)
	s_barrier
	buffer_wbinvl1_vol
	s_and_saveexec_b64 s[14:15], s[18:19]
	s_cbranch_execz .LBB125_588
; %bb.583:
	v_lshlrev_b32_e32 v26, 3, v16
	v_lshlrev_b32_e32 v25, 9, v17
	ds_read_b64 v[11:12], v26 offset:14528
	ds_read_b64 v[27:28], v25 offset:14560
	v_cmp_gt_u32_e64 s[12:13], 12, v15
	s_waitcnt lgkmcnt(0)
	v_fma_f64 v[11:12], v[11:12], v[27:28], 0
	s_and_saveexec_b64 s[0:1], s[12:13]
	s_cbranch_execnz .LBB125_1124
; %bb.584:
	s_or_b64 exec, exec, s[0:1]
	v_cmp_gt_u32_e64 s[12:13], 8, v15
	s_and_saveexec_b64 s[0:1], s[12:13]
	s_cbranch_execnz .LBB125_1125
.LBB125_585:
	s_or_b64 exec, exec, s[0:1]
	v_cmp_gt_u32_e64 s[12:13], 4, v15
	s_and_saveexec_b64 s[0:1], s[12:13]
	s_cbranch_execz .LBB125_587
.LBB125_586:
	v_lshlrev_b32_e32 v25, 3, v0
	v_mov_b32_e32 v27, 0
	ds_read_b64 v[25:26], v25 offset:16064
	ds_read_b64 v[27:28], v27 offset:16120
	s_waitcnt lgkmcnt(0)
	v_fma_f64 v[11:12], v[25:26], v[27:28], v[11:12]
.LBB125_587:
	s_or_b64 exec, exec, s[0:1]
.LBB125_588:
	s_or_b64 exec, exec, s[14:15]
	s_and_saveexec_b64 s[12:13], s[46:47]
	s_cbranch_execz .LBB125_590
; %bb.589:
	v_mov_b32_e32 v25, 0
	ds_read_b64 v[25:26], v25 offset:14040
	s_waitcnt lgkmcnt(0)
	v_mul_f64 v[11:12], v[11:12], v[25:26]
	v_xor_b32_e32 v26, 0x80000000, v12
	v_mov_b32_e32 v25, v11
	ds_write_b64 v18, v[25:26]
.LBB125_590:
	s_or_b64 exec, exec, s[12:13]
	s_waitcnt lgkmcnt(0)
	s_barrier
	s_and_saveexec_b64 s[0:1], s[48:49]
	s_cbranch_execz .LBB125_592
; %bb.591:
	v_lshlrev_b32_e32 v25, 3, v16
	ds_read_b64 v[25:26], v25 offset:14016
	ds_read_b64 v[27:28], v18
	s_waitcnt lgkmcnt(0)
	v_fma_f64 v[11:12], -v[25:26], v[27:28], v[11:12]
.LBB125_592:
	s_or_b64 exec, exec, s[0:1]
	s_barrier
	s_and_saveexec_b64 s[12:13], s[50:51]
	s_cbranch_execz .LBB125_594
; %bb.593:
	v_mov_b32_e32 v25, 0
	ds_read_b64 v[25:26], v25 offset:13520
	s_waitcnt lgkmcnt(0)
	v_mul_f64 v[11:12], v[11:12], v[25:26]
	v_xor_b32_e32 v26, 0x80000000, v12
	v_mov_b32_e32 v25, v11
	ds_write_b64 v18, v[25:26]
.LBB125_594:
	s_or_b64 exec, exec, s[12:13]
	s_waitcnt lgkmcnt(0)
	s_barrier
	s_and_saveexec_b64 s[0:1], s[52:53]
	s_cbranch_execz .LBB125_596
; %bb.595:
	v_lshlrev_b32_e32 v25, 3, v16
	ds_read_b64 v[25:26], v25 offset:13504
	ds_read_b64 v[27:28], v18
	s_waitcnt lgkmcnt(0)
	v_fma_f64 v[11:12], -v[25:26], v[27:28], v[11:12]
.LBB125_596:
	s_or_b64 exec, exec, s[0:1]
	s_barrier
	s_and_saveexec_b64 s[12:13], s[54:55]
	s_cbranch_execz .LBB125_598
; %bb.597:
	v_mov_b32_e32 v25, 0
	ds_read_b64 v[25:26], v25 offset:13000
	s_waitcnt lgkmcnt(0)
	v_mul_f64 v[11:12], v[11:12], v[25:26]
	v_xor_b32_e32 v26, 0x80000000, v12
	v_mov_b32_e32 v25, v11
	ds_write_b64 v18, v[25:26]
.LBB125_598:
	s_or_b64 exec, exec, s[12:13]
	s_waitcnt lgkmcnt(0)
	s_barrier
	s_and_saveexec_b64 s[0:1], s[44:45]
	s_cbranch_execz .LBB125_600
; %bb.599:
	v_mov_b32_e32 v25, 0
	ds_read_b64 v[25:26], v25 offset:12992
	ds_read_b64 v[27:28], v18
	s_waitcnt lgkmcnt(0)
	v_fma_f64 v[11:12], -v[25:26], v[27:28], v[11:12]
.LBB125_600:
	s_or_b64 exec, exec, s[0:1]
	s_barrier
	s_and_saveexec_b64 s[12:13], s[44:45]
	s_cbranch_execz .LBB125_602
; %bb.601:
	v_mov_b32_e32 v25, 0
	ds_read_b64 v[25:26], v25 offset:12480
	s_waitcnt lgkmcnt(0)
	v_mul_f64 v[11:12], v[11:12], v[25:26]
	v_xor_b32_e32 v26, 0x80000000, v12
	v_mov_b32_e32 v25, v11
	ds_write_b64 v18, v[25:26]
.LBB125_602:
	s_or_b64 exec, exec, s[12:13]
	s_waitcnt lgkmcnt(0)
	s_barrier
	s_barrier
	s_and_saveexec_b64 s[0:1], s[18:19]
; %bb.603:
	v_lshlrev_b32_e32 v25, 3, v16
	v_lshl_or_b32 v25, v17, 9, v25
	ds_write_b64 v25, v[11:12] offset:14528
; %bb.604:
	s_or_b64 exec, exec, s[0:1]
	s_waitcnt lgkmcnt(0)
	s_barrier
	s_barrier
	s_and_saveexec_b64 s[12:13], s[56:57]
	s_cbranch_execz .LBB125_606
; %bb.605:
	v_lshlrev_b32_e32 v25, 9, v0
	ds_read_b64 v[11:12], v25 offset:14528
	s_movk_i32 s0, 0xfe08
	v_mad_i32_i24 v26, v0, s0, v25
	s_waitcnt lgkmcnt(0)
	ds_write_b64 v26, v[11:12] offset:12512
	ds_read_b64 v[11:12], v25 offset:14536
	s_waitcnt lgkmcnt(0)
	ds_write_b64 v26, v[11:12] offset:13024
	ds_read_b64 v[11:12], v25 offset:14544
	;; [unrolled: 3-line block ×3, first 2 shown]
	s_waitcnt lgkmcnt(0)
	ds_write_b64 v26, v[11:12] offset:14048
.LBB125_606:
	s_or_b64 exec, exec, s[12:13]
	s_waitcnt lgkmcnt(0)
	s_barrier
	s_and_saveexec_b64 s[12:13], vcc
	s_cbranch_execz .LBB125_608
; %bb.607:
	v_mov_b32_e32 v11, 0
	ds_read_b128 v[25:28], v11 offset:14032
	ds_read_b64 v[11:12], v11 offset:13520
	s_movk_i32 s0, 0x3000
	s_waitcnt lgkmcnt(0)
	v_mul_f64 v[11:12], v[11:12], v[27:28]
	v_mul_f64 v[11:12], v[25:26], v[11:12]
	v_add_u32_e64 v25, s0, 0
	ds_write2_b64 v25, v[11:12], v[11:12] offset0:155 offset1:218
.LBB125_608:
	s_or_b64 exec, exec, s[12:13]
	v_mov_b32_e32 v11, 0
	v_mov_b32_e32 v12, 0
	s_waitcnt lgkmcnt(0)
	s_barrier
	buffer_wbinvl1_vol
	s_and_saveexec_b64 s[14:15], s[2:3]
	s_cbranch_execz .LBB125_612
; %bb.609:
	v_lshlrev_b32_e32 v25, 9, v13
	v_lshlrev_b32_e32 v11, 3, v1
	ds_read_b64 v[11:12], v11 offset:13504
	ds_read_b64 v[25:26], v25 offset:13520
	v_cmp_gt_u32_e64 s[12:13], 2, v15
	s_waitcnt lgkmcnt(0)
	v_fma_f64 v[11:12], v[11:12], v[25:26], 0
	s_and_saveexec_b64 s[0:1], s[12:13]
	s_cbranch_execz .LBB125_611
; %bb.610:
	v_lshlrev_b32_e32 v25, 3, v0
	v_mov_b32_e32 v27, 0
	ds_read_b64 v[25:26], v25 offset:14016
	ds_read_b64 v[27:28], v27 offset:14040
	s_waitcnt lgkmcnt(0)
	v_fma_f64 v[11:12], v[25:26], v[27:28], v[11:12]
.LBB125_611:
	s_or_b64 exec, exec, s[0:1]
.LBB125_612:
	s_or_b64 exec, exec, s[14:15]
	s_and_saveexec_b64 s[12:13], s[40:41]
	s_cbranch_execz .LBB125_614
; %bb.613:
	v_mov_b32_e32 v25, 0
	ds_read_b64 v[25:26], v25 offset:13000
	s_waitcnt lgkmcnt(0)
	v_mul_f64 v[11:12], v[11:12], v[25:26]
	v_xor_b32_e32 v26, 0x80000000, v12
	v_mov_b32_e32 v25, v11
	ds_write_b64 v14, v[25:26]
.LBB125_614:
	s_or_b64 exec, exec, s[12:13]
	s_waitcnt lgkmcnt(0)
	s_barrier
	s_and_saveexec_b64 s[0:1], s[38:39]
	s_cbranch_execz .LBB125_616
; %bb.615:
	v_mov_b32_e32 v25, 0
	ds_read_b64 v[25:26], v25 offset:12992
	ds_read_b64 v[27:28], v14
	s_waitcnt lgkmcnt(0)
	v_fma_f64 v[11:12], -v[25:26], v[27:28], v[11:12]
.LBB125_616:
	s_or_b64 exec, exec, s[0:1]
	s_barrier
	s_and_saveexec_b64 s[12:13], s[38:39]
	s_cbranch_execz .LBB125_618
; %bb.617:
	v_mov_b32_e32 v25, 0
	ds_read_b64 v[25:26], v25 offset:12480
	s_waitcnt lgkmcnt(0)
	v_mul_f64 v[11:12], v[11:12], v[25:26]
	v_xor_b32_e32 v26, 0x80000000, v12
	v_mov_b32_e32 v25, v11
	ds_write_b64 v14, v[25:26]
.LBB125_618:
	s_or_b64 exec, exec, s[12:13]
	s_waitcnt lgkmcnt(0)
	s_barrier
	s_barrier
	s_and_saveexec_b64 s[0:1], s[2:3]
; %bb.619:
	v_lshlrev_b32_e32 v25, 3, v1
	v_lshl_or_b32 v25, v13, 9, v25
	ds_write_b64 v25, v[11:12] offset:13504
; %bb.620:
	s_or_b64 exec, exec, s[0:1]
	s_waitcnt lgkmcnt(0)
	s_barrier
	s_barrier
	s_and_saveexec_b64 s[0:1], s[42:43]
	s_cbranch_execz .LBB125_622
; %bb.621:
	v_lshlrev_b32_e32 v25, 3, v0
	s_movk_i32 s12, 0x1f8
	v_mad_u32_u24 v26, v0, s12, v25
	ds_read_b64 v[11:12], v26 offset:13504
	s_waitcnt lgkmcnt(0)
	ds_write_b64 v25, v[11:12] offset:12496
	ds_read_b64 v[11:12], v26 offset:13512
	s_waitcnt lgkmcnt(0)
	ds_write_b64 v25, v[11:12] offset:13008
.LBB125_622:
	s_or_b64 exec, exec, s[0:1]
	s_waitcnt lgkmcnt(0)
	s_barrier
	s_and_saveexec_b64 s[12:13], vcc
	s_cbranch_execz .LBB125_624
; %bb.623:
	v_mov_b32_e32 v11, 0
	ds_read_b128 v[25:28], v11 offset:12992
	ds_read_b64 v[11:12], v11 offset:12480
	s_movk_i32 s0, 0x3000
	s_waitcnt lgkmcnt(0)
	v_mul_f64 v[11:12], v[11:12], v[27:28]
	v_mul_f64 v[11:12], v[25:26], v[11:12]
	v_add_u32_e64 v25, s0, 0
	ds_write2_b64 v25, v[11:12], v[11:12] offset0:25 offset1:88
.LBB125_624:
	s_or_b64 exec, exec, s[12:13]
	v_mov_b32_e32 v11, 0
	v_mov_b32_e32 v12, 0
	s_waitcnt lgkmcnt(0)
	s_barrier
	buffer_wbinvl1_vol
	s_and_saveexec_b64 s[14:15], s[8:9]
	s_cbranch_execz .LBB125_634
; %bb.625:
	v_lshlrev_b32_e32 v26, 3, v19
	v_lshlrev_b32_e32 v25, 9, v20
	ds_read_b64 v[11:12], v26 offset:12416
	ds_read_b64 v[27:28], v25 offset:12480
	v_cmp_gt_u32_e64 s[12:13], 56, v15
	s_waitcnt lgkmcnt(0)
	v_fma_f64 v[11:12], v[11:12], v[27:28], 0
	s_and_saveexec_b64 s[0:1], s[12:13]
	s_cbranch_execnz .LBB125_1126
; %bb.626:
	s_or_b64 exec, exec, s[0:1]
	v_cmp_gt_u32_e64 s[12:13], 48, v15
	s_and_saveexec_b64 s[0:1], s[12:13]
	s_cbranch_execnz .LBB125_1127
.LBB125_627:
	s_or_b64 exec, exec, s[0:1]
	v_cmp_gt_u32_e64 s[12:13], 40, v15
	s_and_saveexec_b64 s[0:1], s[12:13]
	s_cbranch_execnz .LBB125_1128
.LBB125_628:
	s_or_b64 exec, exec, s[0:1]
	v_cmp_gt_u32_e64 s[12:13], 32, v15
	s_and_saveexec_b64 s[0:1], s[12:13]
	s_cbranch_execnz .LBB125_1129
.LBB125_629:
	s_or_b64 exec, exec, s[0:1]
	v_cmp_gt_u32_e64 s[12:13], 24, v15
	s_and_saveexec_b64 s[0:1], s[12:13]
	s_cbranch_execnz .LBB125_1130
.LBB125_630:
	s_or_b64 exec, exec, s[0:1]
	s_and_saveexec_b64 s[0:1], s[18:19]
	s_cbranch_execnz .LBB125_1131
.LBB125_631:
	s_or_b64 exec, exec, s[0:1]
	v_cmp_gt_u32_e64 s[12:13], 8, v15
	s_and_saveexec_b64 s[0:1], s[12:13]
	s_cbranch_execz .LBB125_633
.LBB125_632:
	v_lshlrev_b32_e32 v25, 3, v0
	v_mov_b32_e32 v27, 0
	ds_read_b64 v[25:26], v25 offset:16000
	ds_read_b64 v[27:28], v27 offset:16120
	s_waitcnt lgkmcnt(0)
	v_fma_f64 v[11:12], v[25:26], v[27:28], v[11:12]
.LBB125_633:
	s_or_b64 exec, exec, s[0:1]
.LBB125_634:
	s_or_b64 exec, exec, s[14:15]
	s_and_saveexec_b64 s[12:13], s[58:59]
	s_cbranch_execz .LBB125_636
; %bb.635:
	v_mov_b32_e32 v25, 0
	ds_read_b64 v[25:26], v25 offset:11960
	s_waitcnt lgkmcnt(0)
	v_mul_f64 v[11:12], v[11:12], v[25:26]
	v_xor_b32_e32 v26, 0x80000000, v12
	v_mov_b32_e32 v25, v11
	ds_write_b64 v21, v[25:26]
.LBB125_636:
	s_or_b64 exec, exec, s[12:13]
	s_waitcnt lgkmcnt(0)
	s_barrier
	s_and_saveexec_b64 s[0:1], s[60:61]
	s_cbranch_execz .LBB125_638
; %bb.637:
	v_lshlrev_b32_e32 v25, 3, v19
	ds_read_b64 v[25:26], v25 offset:11904
	ds_read_b64 v[27:28], v21
	s_waitcnt lgkmcnt(0)
	v_fma_f64 v[11:12], -v[25:26], v[27:28], v[11:12]
.LBB125_638:
	s_or_b64 exec, exec, s[0:1]
	s_barrier
	s_and_saveexec_b64 s[12:13], s[62:63]
	s_cbranch_execz .LBB125_640
; %bb.639:
	v_mov_b32_e32 v25, 0
	ds_read_b64 v[25:26], v25 offset:11440
	s_waitcnt lgkmcnt(0)
	v_mul_f64 v[11:12], v[11:12], v[25:26]
	v_xor_b32_e32 v26, 0x80000000, v12
	v_mov_b32_e32 v25, v11
	ds_write_b64 v21, v[25:26]
.LBB125_640:
	s_or_b64 exec, exec, s[12:13]
	s_waitcnt lgkmcnt(0)
	s_barrier
	s_and_saveexec_b64 s[0:1], s[64:65]
	s_cbranch_execz .LBB125_642
; %bb.641:
	v_lshlrev_b32_e32 v25, 3, v19
	ds_read_b64 v[25:26], v25 offset:11392
	ds_read_b64 v[27:28], v21
	s_waitcnt lgkmcnt(0)
	v_fma_f64 v[11:12], -v[25:26], v[27:28], v[11:12]
.LBB125_642:
	s_or_b64 exec, exec, s[0:1]
	s_barrier
	;; [unrolled: 25-line block ×6, first 2 shown]
	s_and_saveexec_b64 s[12:13], s[84:85]
	s_cbranch_execz .LBB125_660
; %bb.659:
	v_mov_b32_e32 v25, 0
	ds_read_b64 v[25:26], v25 offset:8840
	s_waitcnt lgkmcnt(0)
	v_mul_f64 v[11:12], v[11:12], v[25:26]
	v_xor_b32_e32 v26, 0x80000000, v12
	v_mov_b32_e32 v25, v11
	ds_write_b64 v21, v[25:26]
.LBB125_660:
	s_or_b64 exec, exec, s[12:13]
	s_waitcnt lgkmcnt(0)
	s_barrier
	s_and_saveexec_b64 s[0:1], s[68:69]
	s_cbranch_execz .LBB125_662
; %bb.661:
	v_mov_b32_e32 v25, 0
	ds_read_b64 v[25:26], v25 offset:8832
	ds_read_b64 v[27:28], v21
	s_waitcnt lgkmcnt(0)
	v_fma_f64 v[11:12], -v[25:26], v[27:28], v[11:12]
.LBB125_662:
	s_or_b64 exec, exec, s[0:1]
	s_barrier
	s_and_saveexec_b64 s[12:13], s[68:69]
	s_cbranch_execz .LBB125_664
; %bb.663:
	v_mov_b32_e32 v25, 0
	ds_read_b64 v[25:26], v25 offset:8320
	s_waitcnt lgkmcnt(0)
	v_mul_f64 v[11:12], v[11:12], v[25:26]
	v_xor_b32_e32 v26, 0x80000000, v12
	v_mov_b32_e32 v25, v11
	ds_write_b64 v21, v[25:26]
.LBB125_664:
	s_or_b64 exec, exec, s[12:13]
	s_waitcnt lgkmcnt(0)
	s_barrier
	s_barrier
	s_and_saveexec_b64 s[0:1], s[8:9]
; %bb.665:
	v_lshlrev_b32_e32 v25, 3, v19
	v_lshl_or_b32 v25, v20, 9, v25
	ds_write_b64 v25, v[11:12] offset:12416
; %bb.666:
	s_or_b64 exec, exec, s[0:1]
	s_waitcnt lgkmcnt(0)
	s_barrier
	s_barrier
	s_and_saveexec_b64 s[12:13], s[86:87]
	s_cbranch_execz .LBB125_668
; %bb.667:
	v_lshlrev_b32_e32 v25, 9, v0
	ds_read_b64 v[11:12], v25 offset:12416
	s_movk_i32 s0, 0xfe08
	v_mad_i32_i24 v26, v0, s0, v25
	s_waitcnt lgkmcnt(0)
	ds_write_b64 v26, v[11:12] offset:8384
	ds_read_b64 v[11:12], v25 offset:12424
	s_waitcnt lgkmcnt(0)
	ds_write_b64 v26, v[11:12] offset:8896
	ds_read_b64 v[11:12], v25 offset:12432
	;; [unrolled: 3-line block ×7, first 2 shown]
	s_waitcnt lgkmcnt(0)
	ds_write_b64 v26, v[11:12] offset:11968
.LBB125_668:
	s_or_b64 exec, exec, s[12:13]
	s_waitcnt lgkmcnt(0)
	s_barrier
	s_and_saveexec_b64 s[12:13], vcc
	s_cbranch_execz .LBB125_670
; %bb.669:
	v_mov_b32_e32 v11, 0
	ds_read_b128 v[25:28], v11 offset:11952
	ds_read_b64 v[11:12], v11 offset:11440
	s_movk_i32 s0, 0x2800
	s_waitcnt lgkmcnt(0)
	v_mul_f64 v[11:12], v[11:12], v[27:28]
	v_mul_f64 v[11:12], v[25:26], v[11:12]
	v_add_u32_e64 v25, s0, 0
	ds_write2_b64 v25, v[11:12], v[11:12] offset0:151 offset1:214
.LBB125_670:
	s_or_b64 exec, exec, s[12:13]
	v_mov_b32_e32 v11, 0
	v_mov_b32_e32 v12, 0
	s_waitcnt lgkmcnt(0)
	s_barrier
	buffer_wbinvl1_vol
	s_and_saveexec_b64 s[14:15], s[2:3]
	s_cbranch_execz .LBB125_674
; %bb.671:
	v_lshlrev_b32_e32 v25, 9, v13
	v_lshlrev_b32_e32 v11, 3, v1
	ds_read_b64 v[11:12], v11 offset:11424
	ds_read_b64 v[25:26], v25 offset:11440
	v_cmp_gt_u32_e64 s[12:13], 2, v15
	s_waitcnt lgkmcnt(0)
	v_fma_f64 v[11:12], v[11:12], v[25:26], 0
	s_and_saveexec_b64 s[0:1], s[12:13]
	s_cbranch_execz .LBB125_673
; %bb.672:
	v_lshlrev_b32_e32 v25, 3, v0
	v_mov_b32_e32 v27, 0
	ds_read_b64 v[25:26], v25 offset:11936
	ds_read_b64 v[27:28], v27 offset:11960
	s_waitcnt lgkmcnt(0)
	v_fma_f64 v[11:12], v[25:26], v[27:28], v[11:12]
.LBB125_673:
	s_or_b64 exec, exec, s[0:1]
.LBB125_674:
	s_or_b64 exec, exec, s[14:15]
	s_and_saveexec_b64 s[12:13], s[40:41]
	s_cbranch_execz .LBB125_676
; %bb.675:
	v_mov_b32_e32 v25, 0
	ds_read_b64 v[25:26], v25 offset:10920
	s_waitcnt lgkmcnt(0)
	v_mul_f64 v[11:12], v[11:12], v[25:26]
	v_xor_b32_e32 v26, 0x80000000, v12
	v_mov_b32_e32 v25, v11
	ds_write_b64 v14, v[25:26]
.LBB125_676:
	s_or_b64 exec, exec, s[12:13]
	s_waitcnt lgkmcnt(0)
	s_barrier
	s_and_saveexec_b64 s[0:1], s[38:39]
	s_cbranch_execz .LBB125_678
; %bb.677:
	v_mov_b32_e32 v25, 0
	ds_read_b64 v[25:26], v25 offset:10912
	ds_read_b64 v[27:28], v14
	s_waitcnt lgkmcnt(0)
	v_fma_f64 v[11:12], -v[25:26], v[27:28], v[11:12]
.LBB125_678:
	s_or_b64 exec, exec, s[0:1]
	s_barrier
	s_and_saveexec_b64 s[12:13], s[38:39]
	s_cbranch_execz .LBB125_680
; %bb.679:
	v_mov_b32_e32 v25, 0
	ds_read_b64 v[25:26], v25 offset:10400
	s_waitcnt lgkmcnt(0)
	v_mul_f64 v[11:12], v[11:12], v[25:26]
	v_xor_b32_e32 v26, 0x80000000, v12
	v_mov_b32_e32 v25, v11
	ds_write_b64 v14, v[25:26]
.LBB125_680:
	s_or_b64 exec, exec, s[12:13]
	s_waitcnt lgkmcnt(0)
	s_barrier
	s_barrier
	s_and_saveexec_b64 s[0:1], s[2:3]
; %bb.681:
	v_lshlrev_b32_e32 v25, 3, v1
	v_lshl_or_b32 v25, v13, 9, v25
	ds_write_b64 v25, v[11:12] offset:11424
; %bb.682:
	s_or_b64 exec, exec, s[0:1]
	s_waitcnt lgkmcnt(0)
	s_barrier
	s_barrier
	s_and_saveexec_b64 s[0:1], s[42:43]
	s_cbranch_execz .LBB125_684
; %bb.683:
	v_lshlrev_b32_e32 v25, 3, v0
	s_movk_i32 s12, 0x1f8
	v_mad_u32_u24 v26, v0, s12, v25
	ds_read_b64 v[11:12], v26 offset:11424
	s_waitcnt lgkmcnt(0)
	ds_write_b64 v25, v[11:12] offset:10416
	ds_read_b64 v[11:12], v26 offset:11432
	s_waitcnt lgkmcnt(0)
	ds_write_b64 v25, v[11:12] offset:10928
.LBB125_684:
	s_or_b64 exec, exec, s[0:1]
	s_waitcnt lgkmcnt(0)
	s_barrier
	s_and_saveexec_b64 s[12:13], vcc
	s_cbranch_execz .LBB125_686
; %bb.685:
	v_mov_b32_e32 v11, 0
	ds_read_b128 v[25:28], v11 offset:10912
	ds_read_b64 v[11:12], v11 offset:10400
	s_movk_i32 s0, 0x2800
	s_waitcnt lgkmcnt(0)
	v_mul_f64 v[11:12], v[11:12], v[27:28]
	v_mul_f64 v[11:12], v[25:26], v[11:12]
	v_add_u32_e64 v25, s0, 0
	ds_write2_b64 v25, v[11:12], v[11:12] offset0:21 offset1:84
.LBB125_686:
	s_or_b64 exec, exec, s[12:13]
	v_mov_b32_e32 v11, 0
	v_mov_b32_e32 v12, 0
	s_waitcnt lgkmcnt(0)
	s_barrier
	buffer_wbinvl1_vol
	s_and_saveexec_b64 s[14:15], s[18:19]
	s_cbranch_execz .LBB125_692
; %bb.687:
	v_lshlrev_b32_e32 v26, 3, v16
	v_lshlrev_b32_e32 v25, 9, v17
	ds_read_b64 v[11:12], v26 offset:10368
	ds_read_b64 v[27:28], v25 offset:10400
	v_cmp_gt_u32_e64 s[12:13], 12, v15
	s_waitcnt lgkmcnt(0)
	v_fma_f64 v[11:12], v[11:12], v[27:28], 0
	s_and_saveexec_b64 s[0:1], s[12:13]
	s_cbranch_execnz .LBB125_1132
; %bb.688:
	s_or_b64 exec, exec, s[0:1]
	v_cmp_gt_u32_e64 s[12:13], 8, v15
	s_and_saveexec_b64 s[0:1], s[12:13]
	s_cbranch_execnz .LBB125_1133
.LBB125_689:
	s_or_b64 exec, exec, s[0:1]
	v_cmp_gt_u32_e64 s[12:13], 4, v15
	s_and_saveexec_b64 s[0:1], s[12:13]
	s_cbranch_execz .LBB125_691
.LBB125_690:
	v_lshlrev_b32_e32 v25, 3, v0
	v_mov_b32_e32 v27, 0
	ds_read_b64 v[25:26], v25 offset:11904
	ds_read_b64 v[27:28], v27 offset:11960
	s_waitcnt lgkmcnt(0)
	v_fma_f64 v[11:12], v[25:26], v[27:28], v[11:12]
.LBB125_691:
	s_or_b64 exec, exec, s[0:1]
.LBB125_692:
	s_or_b64 exec, exec, s[14:15]
	s_and_saveexec_b64 s[12:13], s[46:47]
	s_cbranch_execz .LBB125_694
; %bb.693:
	v_mov_b32_e32 v25, 0
	ds_read_b64 v[25:26], v25 offset:9880
	s_waitcnt lgkmcnt(0)
	v_mul_f64 v[11:12], v[11:12], v[25:26]
	v_xor_b32_e32 v26, 0x80000000, v12
	v_mov_b32_e32 v25, v11
	ds_write_b64 v18, v[25:26]
.LBB125_694:
	s_or_b64 exec, exec, s[12:13]
	s_waitcnt lgkmcnt(0)
	s_barrier
	s_and_saveexec_b64 s[0:1], s[48:49]
	s_cbranch_execz .LBB125_696
; %bb.695:
	v_lshlrev_b32_e32 v25, 3, v16
	ds_read_b64 v[25:26], v25 offset:9856
	ds_read_b64 v[27:28], v18
	s_waitcnt lgkmcnt(0)
	v_fma_f64 v[11:12], -v[25:26], v[27:28], v[11:12]
.LBB125_696:
	s_or_b64 exec, exec, s[0:1]
	s_barrier
	s_and_saveexec_b64 s[12:13], s[50:51]
	s_cbranch_execz .LBB125_698
; %bb.697:
	v_mov_b32_e32 v25, 0
	ds_read_b64 v[25:26], v25 offset:9360
	s_waitcnt lgkmcnt(0)
	v_mul_f64 v[11:12], v[11:12], v[25:26]
	v_xor_b32_e32 v26, 0x80000000, v12
	v_mov_b32_e32 v25, v11
	ds_write_b64 v18, v[25:26]
.LBB125_698:
	s_or_b64 exec, exec, s[12:13]
	s_waitcnt lgkmcnt(0)
	s_barrier
	s_and_saveexec_b64 s[0:1], s[52:53]
	s_cbranch_execz .LBB125_700
; %bb.699:
	v_lshlrev_b32_e32 v25, 3, v16
	ds_read_b64 v[25:26], v25 offset:9344
	ds_read_b64 v[27:28], v18
	s_waitcnt lgkmcnt(0)
	v_fma_f64 v[11:12], -v[25:26], v[27:28], v[11:12]
.LBB125_700:
	s_or_b64 exec, exec, s[0:1]
	s_barrier
	s_and_saveexec_b64 s[12:13], s[54:55]
	s_cbranch_execz .LBB125_702
; %bb.701:
	v_mov_b32_e32 v25, 0
	ds_read_b64 v[25:26], v25 offset:8840
	s_waitcnt lgkmcnt(0)
	v_mul_f64 v[11:12], v[11:12], v[25:26]
	v_xor_b32_e32 v26, 0x80000000, v12
	v_mov_b32_e32 v25, v11
	ds_write_b64 v18, v[25:26]
.LBB125_702:
	s_or_b64 exec, exec, s[12:13]
	s_waitcnt lgkmcnt(0)
	s_barrier
	s_and_saveexec_b64 s[0:1], s[44:45]
	s_cbranch_execz .LBB125_704
; %bb.703:
	v_mov_b32_e32 v25, 0
	ds_read_b64 v[25:26], v25 offset:8832
	ds_read_b64 v[27:28], v18
	s_waitcnt lgkmcnt(0)
	v_fma_f64 v[11:12], -v[25:26], v[27:28], v[11:12]
.LBB125_704:
	s_or_b64 exec, exec, s[0:1]
	s_barrier
	s_and_saveexec_b64 s[12:13], s[44:45]
	s_cbranch_execz .LBB125_706
; %bb.705:
	v_mov_b32_e32 v25, 0
	ds_read_b64 v[25:26], v25 offset:8320
	s_waitcnt lgkmcnt(0)
	v_mul_f64 v[11:12], v[11:12], v[25:26]
	v_xor_b32_e32 v26, 0x80000000, v12
	v_mov_b32_e32 v25, v11
	ds_write_b64 v18, v[25:26]
.LBB125_706:
	s_or_b64 exec, exec, s[12:13]
	s_waitcnt lgkmcnt(0)
	s_barrier
	s_barrier
	s_and_saveexec_b64 s[0:1], s[18:19]
; %bb.707:
	v_lshlrev_b32_e32 v25, 3, v16
	v_lshl_or_b32 v25, v17, 9, v25
	ds_write_b64 v25, v[11:12] offset:10368
; %bb.708:
	s_or_b64 exec, exec, s[0:1]
	s_waitcnt lgkmcnt(0)
	s_barrier
	s_barrier
	s_and_saveexec_b64 s[12:13], s[56:57]
	s_cbranch_execz .LBB125_710
; %bb.709:
	v_lshlrev_b32_e32 v25, 9, v0
	ds_read_b64 v[11:12], v25 offset:10368
	s_movk_i32 s0, 0xfe08
	v_mad_i32_i24 v26, v0, s0, v25
	s_waitcnt lgkmcnt(0)
	ds_write_b64 v26, v[11:12] offset:8352
	ds_read_b64 v[11:12], v25 offset:10376
	s_waitcnt lgkmcnt(0)
	ds_write_b64 v26, v[11:12] offset:8864
	ds_read_b64 v[11:12], v25 offset:10384
	;; [unrolled: 3-line block ×3, first 2 shown]
	s_waitcnt lgkmcnt(0)
	ds_write_b64 v26, v[11:12] offset:9888
.LBB125_710:
	s_or_b64 exec, exec, s[12:13]
	s_waitcnt lgkmcnt(0)
	s_barrier
	s_and_saveexec_b64 s[12:13], vcc
	s_cbranch_execz .LBB125_712
; %bb.711:
	v_mov_b32_e32 v11, 0
	ds_read_b128 v[25:28], v11 offset:9872
	ds_read_b64 v[11:12], v11 offset:9360
	s_movk_i32 s0, 0x2000
	s_waitcnt lgkmcnt(0)
	v_mul_f64 v[11:12], v[11:12], v[27:28]
	v_mul_f64 v[11:12], v[25:26], v[11:12]
	v_add_u32_e64 v25, s0, 0
	ds_write2_b64 v25, v[11:12], v[11:12] offset0:147 offset1:210
.LBB125_712:
	s_or_b64 exec, exec, s[12:13]
	v_mov_b32_e32 v11, 0
	v_mov_b32_e32 v12, 0
	s_waitcnt lgkmcnt(0)
	s_barrier
	buffer_wbinvl1_vol
	s_and_saveexec_b64 s[14:15], s[2:3]
	s_cbranch_execz .LBB125_716
; %bb.713:
	v_lshlrev_b32_e32 v25, 9, v13
	v_lshlrev_b32_e32 v11, 3, v1
	ds_read_b64 v[11:12], v11 offset:9344
	ds_read_b64 v[25:26], v25 offset:9360
	v_cmp_gt_u32_e64 s[12:13], 2, v15
	s_waitcnt lgkmcnt(0)
	v_fma_f64 v[11:12], v[11:12], v[25:26], 0
	s_and_saveexec_b64 s[0:1], s[12:13]
	s_cbranch_execz .LBB125_715
; %bb.714:
	v_lshlrev_b32_e32 v25, 3, v0
	v_mov_b32_e32 v27, 0
	ds_read_b64 v[25:26], v25 offset:9856
	ds_read_b64 v[27:28], v27 offset:9880
	s_waitcnt lgkmcnt(0)
	v_fma_f64 v[11:12], v[25:26], v[27:28], v[11:12]
.LBB125_715:
	s_or_b64 exec, exec, s[0:1]
.LBB125_716:
	s_or_b64 exec, exec, s[14:15]
	s_and_saveexec_b64 s[12:13], s[40:41]
	s_cbranch_execz .LBB125_718
; %bb.717:
	v_mov_b32_e32 v25, 0
	ds_read_b64 v[25:26], v25 offset:8840
	s_waitcnt lgkmcnt(0)
	v_mul_f64 v[11:12], v[11:12], v[25:26]
	v_xor_b32_e32 v26, 0x80000000, v12
	v_mov_b32_e32 v25, v11
	ds_write_b64 v14, v[25:26]
.LBB125_718:
	s_or_b64 exec, exec, s[12:13]
	s_waitcnt lgkmcnt(0)
	s_barrier
	s_and_saveexec_b64 s[0:1], s[38:39]
	s_cbranch_execz .LBB125_720
; %bb.719:
	v_mov_b32_e32 v25, 0
	ds_read_b64 v[25:26], v25 offset:8832
	ds_read_b64 v[27:28], v14
	s_waitcnt lgkmcnt(0)
	v_fma_f64 v[11:12], -v[25:26], v[27:28], v[11:12]
.LBB125_720:
	s_or_b64 exec, exec, s[0:1]
	s_barrier
	s_and_saveexec_b64 s[12:13], s[38:39]
	s_cbranch_execz .LBB125_722
; %bb.721:
	v_mov_b32_e32 v25, 0
	ds_read_b64 v[25:26], v25 offset:8320
	s_waitcnt lgkmcnt(0)
	v_mul_f64 v[11:12], v[11:12], v[25:26]
	v_xor_b32_e32 v26, 0x80000000, v12
	v_mov_b32_e32 v25, v11
	ds_write_b64 v14, v[25:26]
.LBB125_722:
	s_or_b64 exec, exec, s[12:13]
	s_waitcnt lgkmcnt(0)
	s_barrier
	s_barrier
	s_and_saveexec_b64 s[0:1], s[2:3]
; %bb.723:
	v_lshlrev_b32_e32 v25, 3, v1
	v_lshl_or_b32 v25, v13, 9, v25
	ds_write_b64 v25, v[11:12] offset:9344
; %bb.724:
	s_or_b64 exec, exec, s[0:1]
	s_waitcnt lgkmcnt(0)
	s_barrier
	s_barrier
	s_and_saveexec_b64 s[0:1], s[42:43]
	s_cbranch_execz .LBB125_726
; %bb.725:
	v_lshlrev_b32_e32 v25, 3, v0
	s_movk_i32 s12, 0x1f8
	v_mad_u32_u24 v26, v0, s12, v25
	ds_read_b64 v[11:12], v26 offset:9344
	s_waitcnt lgkmcnt(0)
	ds_write_b64 v25, v[11:12] offset:8336
	ds_read_b64 v[11:12], v26 offset:9352
	s_waitcnt lgkmcnt(0)
	ds_write_b64 v25, v[11:12] offset:8848
.LBB125_726:
	s_or_b64 exec, exec, s[0:1]
	s_waitcnt lgkmcnt(0)
	s_barrier
	s_and_saveexec_b64 s[12:13], vcc
	s_cbranch_execz .LBB125_728
; %bb.727:
	v_mov_b32_e32 v11, 0
	ds_read_b128 v[25:28], v11 offset:8832
	ds_read_b64 v[11:12], v11 offset:8320
	s_movk_i32 s0, 0x2000
	s_waitcnt lgkmcnt(0)
	v_mul_f64 v[11:12], v[11:12], v[27:28]
	v_mul_f64 v[11:12], v[25:26], v[11:12]
	v_add_u32_e64 v25, s0, 0
	ds_write2_b64 v25, v[11:12], v[11:12] offset0:17 offset1:80
.LBB125_728:
	s_or_b64 exec, exec, s[12:13]
	v_mov_b32_e32 v11, 0
	v_mov_b32_e32 v12, 0
	s_waitcnt lgkmcnt(0)
	s_barrier
	buffer_wbinvl1_vol
	s_and_saveexec_b64 s[14:15], s[10:11]
	s_cbranch_execz .LBB125_756
; %bb.729:
	v_lshlrev_b32_e32 v26, 3, v22
	v_lshlrev_b32_e32 v25, 9, v23
	ds_read_b64 v[11:12], v26 offset:8192
	ds_read_b64 v[27:28], v25 offset:8320
	s_movk_i32 s0, 0xf0
	v_cmp_gt_u32_e64 s[12:13], s0, v15
	s_waitcnt lgkmcnt(0)
	v_fma_f64 v[11:12], v[11:12], v[27:28], 0
	s_and_saveexec_b64 s[0:1], s[12:13]
	s_cbranch_execz .LBB125_731
; %bb.730:
	ds_read_b64 v[27:28], v26 offset:8704
	ds_read_b64 v[29:30], v25 offset:8328
	s_waitcnt lgkmcnt(0)
	v_fma_f64 v[11:12], v[27:28], v[29:30], v[11:12]
.LBB125_731:
	s_or_b64 exec, exec, s[0:1]
	s_movk_i32 s0, 0xe0
	v_cmp_gt_u32_e64 s[12:13], s0, v15
	s_and_saveexec_b64 s[0:1], s[12:13]
	s_cbranch_execz .LBB125_733
; %bb.732:
	ds_read_b64 v[27:28], v26 offset:9216
	ds_read_b64 v[29:30], v25 offset:8336
	s_waitcnt lgkmcnt(0)
	v_fma_f64 v[11:12], v[27:28], v[29:30], v[11:12]
.LBB125_733:
	s_or_b64 exec, exec, s[0:1]
	s_movk_i32 s0, 0xd0
	v_cmp_gt_u32_e64 s[12:13], s0, v15
	;; [unrolled: 11-line block ×10, first 2 shown]
	s_and_saveexec_b64 s[0:1], s[12:13]
	s_cbranch_execnz .LBB125_1134
; %bb.750:
	s_or_b64 exec, exec, s[0:1]
	s_and_saveexec_b64 s[0:1], s[8:9]
	s_cbranch_execnz .LBB125_1135
.LBB125_751:
	s_or_b64 exec, exec, s[0:1]
	v_cmp_gt_u32_e64 s[12:13], 48, v15
	s_and_saveexec_b64 s[0:1], s[12:13]
	s_cbranch_execnz .LBB125_1136
.LBB125_752:
	s_or_b64 exec, exec, s[0:1]
	v_cmp_gt_u32_e64 s[12:13], 32, v15
	s_and_saveexec_b64 s[0:1], s[12:13]
	s_cbranch_execnz .LBB125_1137
.LBB125_753:
	s_or_b64 exec, exec, s[0:1]
	v_cmp_gt_u32_e64 s[12:13], 16, v15
	s_and_saveexec_b64 s[0:1], s[12:13]
	s_cbranch_execz .LBB125_755
.LBB125_754:
	v_lshlrev_b32_e32 v25, 3, v0
	v_mov_b32_e32 v27, 0
	ds_read_b64 v[25:26], v25 offset:15872
	ds_read_b64 v[27:28], v27 offset:16120
	s_waitcnt lgkmcnt(0)
	v_fma_f64 v[11:12], v[25:26], v[27:28], v[11:12]
.LBB125_755:
	s_or_b64 exec, exec, s[0:1]
.LBB125_756:
	s_or_b64 exec, exec, s[14:15]
	s_mov_b64 s[12:13], exec
	v_readlane_b32 s0, v36, 7
	v_readlane_b32 s1, v36, 8
	s_and_b64 s[0:1], s[12:13], s[0:1]
	s_mov_b64 exec, s[0:1]
	s_cbranch_execz .LBB125_758
; %bb.757:
	v_mov_b32_e32 v25, 0
	ds_read_b64 v[25:26], v25 offset:7800
	s_waitcnt lgkmcnt(0)
	v_mul_f64 v[11:12], v[11:12], v[25:26]
	v_xor_b32_e32 v26, 0x80000000, v12
	v_mov_b32_e32 v25, v11
	ds_write_b64 v24, v[25:26]
.LBB125_758:
	s_or_b64 exec, exec, s[12:13]
	s_waitcnt lgkmcnt(0)
	s_barrier
	s_mov_b64 s[0:1], exec
	v_readlane_b32 s12, v36, 9
	v_readlane_b32 s13, v36, 10
	s_and_b64 s[12:13], s[0:1], s[12:13]
	s_mov_b64 exec, s[12:13]
	s_cbranch_execz .LBB125_760
; %bb.759:
	v_lshlrev_b32_e32 v25, 3, v22
	ds_read_b64 v[25:26], v25 offset:7680
	ds_read_b64 v[27:28], v24
	s_waitcnt lgkmcnt(0)
	v_fma_f64 v[11:12], -v[25:26], v[27:28], v[11:12]
.LBB125_760:
	s_or_b64 exec, exec, s[0:1]
	s_barrier
	s_mov_b64 s[12:13], exec
	v_readlane_b32 s0, v36, 11
	v_readlane_b32 s1, v36, 12
	s_and_b64 s[0:1], s[12:13], s[0:1]
	s_mov_b64 exec, s[0:1]
	s_cbranch_execz .LBB125_762
; %bb.761:
	v_mov_b32_e32 v25, 0
	ds_read_b64 v[25:26], v25 offset:7280
	s_waitcnt lgkmcnt(0)
	v_mul_f64 v[11:12], v[11:12], v[25:26]
	v_xor_b32_e32 v26, 0x80000000, v12
	v_mov_b32_e32 v25, v11
	ds_write_b64 v24, v[25:26]
.LBB125_762:
	s_or_b64 exec, exec, s[12:13]
	s_waitcnt lgkmcnt(0)
	s_barrier
	s_mov_b64 s[0:1], exec
	v_readlane_b32 s12, v36, 13
	v_readlane_b32 s13, v36, 14
	s_and_b64 s[12:13], s[0:1], s[12:13]
	s_mov_b64 exec, s[12:13]
	s_cbranch_execz .LBB125_764
; %bb.763:
	v_lshlrev_b32_e32 v25, 3, v22
	ds_read_b64 v[25:26], v25 offset:7168
	ds_read_b64 v[27:28], v24
	s_waitcnt lgkmcnt(0)
	v_fma_f64 v[11:12], -v[25:26], v[27:28], v[11:12]
.LBB125_764:
	s_or_b64 exec, exec, s[0:1]
	s_barrier
	;; [unrolled: 33-line block ×14, first 2 shown]
	s_and_saveexec_b64 s[0:1], s[92:93]
	s_cbranch_execz .LBB125_814
; %bb.813:
	v_mov_b32_e32 v25, 0
	ds_read_b64 v[25:26], v25 offset:520
	s_waitcnt lgkmcnt(0)
	v_mul_f64 v[11:12], v[11:12], v[25:26]
	v_xor_b32_e32 v26, 0x80000000, v12
	v_mov_b32_e32 v25, v11
	ds_write_b64 v24, v[25:26]
.LBB125_814:
	s_or_b64 exec, exec, s[0:1]
	s_waitcnt lgkmcnt(0)
	s_barrier
	s_and_saveexec_b64 s[0:1], s[88:89]
	s_cbranch_execz .LBB125_816
; %bb.815:
	v_mov_b32_e32 v25, 0
	ds_read_b64 v[25:26], v25 offset:512
	ds_read_b64 v[27:28], v24
	s_waitcnt lgkmcnt(0)
	v_fma_f64 v[11:12], -v[25:26], v[27:28], v[11:12]
.LBB125_816:
	s_or_b64 exec, exec, s[0:1]
	s_barrier
	s_and_saveexec_b64 s[0:1], s[88:89]
	s_cbranch_execz .LBB125_818
; %bb.817:
	v_mov_b32_e32 v25, 0
	ds_read_b64 v[25:26], v25
	s_waitcnt lgkmcnt(0)
	v_mul_f64 v[11:12], v[11:12], v[25:26]
	v_xor_b32_e32 v26, 0x80000000, v12
	v_mov_b32_e32 v25, v11
	ds_write_b64 v24, v[25:26]
.LBB125_818:
	s_or_b64 exec, exec, s[0:1]
	s_waitcnt lgkmcnt(0)
	s_barrier
	s_barrier
	s_and_saveexec_b64 s[0:1], s[10:11]
; %bb.819:
	v_lshlrev_b32_e32 v22, 3, v22
	v_lshl_or_b32 v22, v23, 9, v22
	ds_write_b64 v22, v[11:12] offset:8192
; %bb.820:
	s_or_b64 exec, exec, s[0:1]
	s_waitcnt lgkmcnt(0)
	s_barrier
	s_barrier
	s_and_saveexec_b64 s[0:1], s[94:95]
	s_cbranch_execz .LBB125_822
; %bb.821:
	v_lshlrev_b32_e32 v22, 9, v0
	ds_read_b64 v[11:12], v22 offset:8192
	s_movk_i32 s10, 0xfe08
	v_mad_i32_i24 v23, v0, s10, v22
	s_waitcnt lgkmcnt(0)
	ds_write_b64 v23, v[11:12] offset:128
	ds_read_b64 v[11:12], v22 offset:8200
	s_waitcnt lgkmcnt(0)
	ds_write_b64 v23, v[11:12] offset:640
	ds_read_b64 v[11:12], v22 offset:8208
	;; [unrolled: 3-line block ×15, first 2 shown]
	s_waitcnt lgkmcnt(0)
	ds_write_b64 v23, v[11:12] offset:7808
.LBB125_822:
	s_or_b64 exec, exec, s[0:1]
	s_waitcnt lgkmcnt(0)
	s_barrier
	s_and_saveexec_b64 s[0:1], vcc
	s_cbranch_execz .LBB125_824
; %bb.823:
	v_mov_b32_e32 v11, 0
	ds_read_b128 v[22:25], v11 offset:7792
	ds_read_b64 v[11:12], v11 offset:7280
	s_movk_i32 s10, 0x1800
	s_waitcnt lgkmcnt(0)
	v_mul_f64 v[11:12], v[11:12], v[24:25]
	v_mul_f64 v[11:12], v[22:23], v[11:12]
	v_add_u32_e64 v22, s10, 0
	ds_write2_b64 v22, v[11:12], v[11:12] offset0:143 offset1:206
.LBB125_824:
	s_or_b64 exec, exec, s[0:1]
	v_mov_b32_e32 v11, 0
	v_mov_b32_e32 v12, 0
	s_waitcnt lgkmcnt(0)
	s_barrier
	buffer_wbinvl1_vol
	s_and_saveexec_b64 s[0:1], s[2:3]
	s_cbranch_execz .LBB125_828
; %bb.825:
	v_lshlrev_b32_e32 v22, 9, v13
	v_lshlrev_b32_e32 v11, 3, v1
	ds_read_b64 v[11:12], v11 offset:7264
	ds_read_b64 v[22:23], v22 offset:7280
	v_cmp_gt_u32_e64 s[10:11], 2, v15
	s_waitcnt lgkmcnt(0)
	v_fma_f64 v[11:12], v[11:12], v[22:23], 0
	s_and_saveexec_b64 s[12:13], s[10:11]
	s_cbranch_execz .LBB125_827
; %bb.826:
	v_lshlrev_b32_e32 v22, 3, v0
	v_mov_b32_e32 v24, 0
	ds_read_b64 v[22:23], v22 offset:7776
	ds_read_b64 v[24:25], v24 offset:7800
	s_waitcnt lgkmcnt(0)
	v_fma_f64 v[11:12], v[22:23], v[24:25], v[11:12]
.LBB125_827:
	s_or_b64 exec, exec, s[12:13]
.LBB125_828:
	s_or_b64 exec, exec, s[0:1]
	s_and_saveexec_b64 s[0:1], s[40:41]
	s_cbranch_execz .LBB125_830
; %bb.829:
	v_mov_b32_e32 v22, 0
	ds_read_b64 v[22:23], v22 offset:6760
	s_waitcnt lgkmcnt(0)
	v_mul_f64 v[11:12], v[11:12], v[22:23]
	v_xor_b32_e32 v23, 0x80000000, v12
	v_mov_b32_e32 v22, v11
	ds_write_b64 v14, v[22:23]
.LBB125_830:
	s_or_b64 exec, exec, s[0:1]
	s_waitcnt lgkmcnt(0)
	s_barrier
	s_and_saveexec_b64 s[0:1], s[38:39]
	s_cbranch_execz .LBB125_832
; %bb.831:
	v_mov_b32_e32 v22, 0
	ds_read_b64 v[22:23], v22 offset:6752
	ds_read_b64 v[24:25], v14
	s_waitcnt lgkmcnt(0)
	v_fma_f64 v[11:12], -v[22:23], v[24:25], v[11:12]
.LBB125_832:
	s_or_b64 exec, exec, s[0:1]
	s_barrier
	s_and_saveexec_b64 s[0:1], s[38:39]
	s_cbranch_execz .LBB125_834
; %bb.833:
	v_mov_b32_e32 v22, 0
	ds_read_b64 v[22:23], v22 offset:6240
	s_waitcnt lgkmcnt(0)
	v_mul_f64 v[11:12], v[11:12], v[22:23]
	v_xor_b32_e32 v23, 0x80000000, v12
	v_mov_b32_e32 v22, v11
	ds_write_b64 v14, v[22:23]
.LBB125_834:
	s_or_b64 exec, exec, s[0:1]
	s_waitcnt lgkmcnt(0)
	s_barrier
	s_barrier
	s_and_saveexec_b64 s[0:1], s[2:3]
; %bb.835:
	v_lshlrev_b32_e32 v22, 3, v1
	v_lshl_or_b32 v22, v13, 9, v22
	ds_write_b64 v22, v[11:12] offset:7264
; %bb.836:
	s_or_b64 exec, exec, s[0:1]
	s_waitcnt lgkmcnt(0)
	s_barrier
	s_barrier
	s_and_saveexec_b64 s[0:1], s[42:43]
	s_cbranch_execz .LBB125_838
; %bb.837:
	v_lshlrev_b32_e32 v22, 3, v0
	s_movk_i32 s10, 0x1f8
	v_mad_u32_u24 v23, v0, s10, v22
	ds_read_b64 v[11:12], v23 offset:7264
	s_waitcnt lgkmcnt(0)
	ds_write_b64 v22, v[11:12] offset:6256
	ds_read_b64 v[11:12], v23 offset:7272
	s_waitcnt lgkmcnt(0)
	ds_write_b64 v22, v[11:12] offset:6768
.LBB125_838:
	s_or_b64 exec, exec, s[0:1]
	s_waitcnt lgkmcnt(0)
	s_barrier
	s_and_saveexec_b64 s[0:1], vcc
	s_cbranch_execz .LBB125_840
; %bb.839:
	v_mov_b32_e32 v11, 0
	ds_read_b128 v[22:25], v11 offset:6752
	ds_read_b64 v[11:12], v11 offset:6240
	s_movk_i32 s10, 0x1800
	s_waitcnt lgkmcnt(0)
	v_mul_f64 v[11:12], v[11:12], v[24:25]
	v_mul_f64 v[11:12], v[22:23], v[11:12]
	v_add_u32_e64 v22, s10, 0
	ds_write2_b64 v22, v[11:12], v[11:12] offset0:13 offset1:76
.LBB125_840:
	s_or_b64 exec, exec, s[0:1]
	v_mov_b32_e32 v11, 0
	v_mov_b32_e32 v12, 0
	s_waitcnt lgkmcnt(0)
	s_barrier
	buffer_wbinvl1_vol
	s_and_saveexec_b64 s[0:1], s[18:19]
	s_cbranch_execz .LBB125_846
; %bb.841:
	v_lshlrev_b32_e32 v23, 3, v16
	v_lshlrev_b32_e32 v22, 9, v17
	ds_read_b64 v[11:12], v23 offset:6208
	ds_read_b64 v[24:25], v22 offset:6240
	v_cmp_gt_u32_e64 s[10:11], 12, v15
	s_waitcnt lgkmcnt(0)
	v_fma_f64 v[11:12], v[11:12], v[24:25], 0
	s_and_saveexec_b64 s[12:13], s[10:11]
	s_cbranch_execnz .LBB125_1138
; %bb.842:
	s_or_b64 exec, exec, s[12:13]
	v_cmp_gt_u32_e64 s[10:11], 8, v15
	s_and_saveexec_b64 s[12:13], s[10:11]
	s_cbranch_execnz .LBB125_1139
.LBB125_843:
	s_or_b64 exec, exec, s[12:13]
	v_cmp_gt_u32_e64 s[10:11], 4, v15
	s_and_saveexec_b64 s[12:13], s[10:11]
	s_cbranch_execz .LBB125_845
.LBB125_844:
	v_lshlrev_b32_e32 v22, 3, v0
	v_mov_b32_e32 v24, 0
	ds_read_b64 v[22:23], v22 offset:7744
	ds_read_b64 v[24:25], v24 offset:7800
	s_waitcnt lgkmcnt(0)
	v_fma_f64 v[11:12], v[22:23], v[24:25], v[11:12]
.LBB125_845:
	s_or_b64 exec, exec, s[12:13]
.LBB125_846:
	s_or_b64 exec, exec, s[0:1]
	s_and_saveexec_b64 s[0:1], s[46:47]
	s_cbranch_execz .LBB125_848
; %bb.847:
	v_mov_b32_e32 v22, 0
	ds_read_b64 v[22:23], v22 offset:5720
	s_waitcnt lgkmcnt(0)
	v_mul_f64 v[11:12], v[11:12], v[22:23]
	v_xor_b32_e32 v23, 0x80000000, v12
	v_mov_b32_e32 v22, v11
	ds_write_b64 v18, v[22:23]
.LBB125_848:
	s_or_b64 exec, exec, s[0:1]
	s_waitcnt lgkmcnt(0)
	s_barrier
	s_and_saveexec_b64 s[0:1], s[48:49]
	s_cbranch_execz .LBB125_850
; %bb.849:
	v_lshlrev_b32_e32 v22, 3, v16
	ds_read_b64 v[22:23], v22 offset:5696
	ds_read_b64 v[24:25], v18
	s_waitcnt lgkmcnt(0)
	v_fma_f64 v[11:12], -v[22:23], v[24:25], v[11:12]
.LBB125_850:
	s_or_b64 exec, exec, s[0:1]
	s_barrier
	s_and_saveexec_b64 s[0:1], s[50:51]
	s_cbranch_execz .LBB125_852
; %bb.851:
	v_mov_b32_e32 v22, 0
	ds_read_b64 v[22:23], v22 offset:5200
	s_waitcnt lgkmcnt(0)
	v_mul_f64 v[11:12], v[11:12], v[22:23]
	v_xor_b32_e32 v23, 0x80000000, v12
	v_mov_b32_e32 v22, v11
	ds_write_b64 v18, v[22:23]
.LBB125_852:
	s_or_b64 exec, exec, s[0:1]
	s_waitcnt lgkmcnt(0)
	s_barrier
	s_and_saveexec_b64 s[0:1], s[52:53]
	s_cbranch_execz .LBB125_854
; %bb.853:
	v_lshlrev_b32_e32 v22, 3, v16
	ds_read_b64 v[22:23], v22 offset:5184
	ds_read_b64 v[24:25], v18
	s_waitcnt lgkmcnt(0)
	v_fma_f64 v[11:12], -v[22:23], v[24:25], v[11:12]
.LBB125_854:
	s_or_b64 exec, exec, s[0:1]
	s_barrier
	s_and_saveexec_b64 s[0:1], s[54:55]
	s_cbranch_execz .LBB125_856
; %bb.855:
	v_mov_b32_e32 v22, 0
	ds_read_b64 v[22:23], v22 offset:4680
	s_waitcnt lgkmcnt(0)
	v_mul_f64 v[11:12], v[11:12], v[22:23]
	v_xor_b32_e32 v23, 0x80000000, v12
	v_mov_b32_e32 v22, v11
	ds_write_b64 v18, v[22:23]
.LBB125_856:
	s_or_b64 exec, exec, s[0:1]
	s_waitcnt lgkmcnt(0)
	s_barrier
	s_and_saveexec_b64 s[0:1], s[44:45]
	s_cbranch_execz .LBB125_858
; %bb.857:
	v_mov_b32_e32 v22, 0
	ds_read_b64 v[22:23], v22 offset:4672
	ds_read_b64 v[24:25], v18
	s_waitcnt lgkmcnt(0)
	v_fma_f64 v[11:12], -v[22:23], v[24:25], v[11:12]
.LBB125_858:
	s_or_b64 exec, exec, s[0:1]
	s_barrier
	s_and_saveexec_b64 s[0:1], s[44:45]
	s_cbranch_execz .LBB125_860
; %bb.859:
	v_mov_b32_e32 v22, 0
	ds_read_b64 v[22:23], v22 offset:4160
	s_waitcnt lgkmcnt(0)
	v_mul_f64 v[11:12], v[11:12], v[22:23]
	v_xor_b32_e32 v23, 0x80000000, v12
	v_mov_b32_e32 v22, v11
	ds_write_b64 v18, v[22:23]
.LBB125_860:
	s_or_b64 exec, exec, s[0:1]
	s_waitcnt lgkmcnt(0)
	s_barrier
	s_barrier
	s_and_saveexec_b64 s[0:1], s[18:19]
; %bb.861:
	v_lshlrev_b32_e32 v22, 3, v16
	v_lshl_or_b32 v22, v17, 9, v22
	ds_write_b64 v22, v[11:12] offset:6208
; %bb.862:
	s_or_b64 exec, exec, s[0:1]
	s_waitcnt lgkmcnt(0)
	s_barrier
	s_barrier
	s_and_saveexec_b64 s[0:1], s[56:57]
	s_cbranch_execz .LBB125_864
; %bb.863:
	v_lshlrev_b32_e32 v22, 9, v0
	ds_read_b64 v[11:12], v22 offset:6208
	s_movk_i32 s10, 0xfe08
	v_mad_i32_i24 v23, v0, s10, v22
	s_waitcnt lgkmcnt(0)
	ds_write_b64 v23, v[11:12] offset:4192
	ds_read_b64 v[11:12], v22 offset:6216
	s_waitcnt lgkmcnt(0)
	ds_write_b64 v23, v[11:12] offset:4704
	ds_read_b64 v[11:12], v22 offset:6224
	;; [unrolled: 3-line block ×3, first 2 shown]
	s_waitcnt lgkmcnt(0)
	ds_write_b64 v23, v[11:12] offset:5728
.LBB125_864:
	s_or_b64 exec, exec, s[0:1]
	s_waitcnt lgkmcnt(0)
	s_barrier
	s_and_saveexec_b64 s[0:1], vcc
	s_cbranch_execz .LBB125_866
; %bb.865:
	v_mov_b32_e32 v11, 0
	ds_read_b128 v[22:25], v11 offset:5712
	ds_read_b64 v[11:12], v11 offset:5200
	s_movk_i32 s10, 0x1000
	s_waitcnt lgkmcnt(0)
	v_mul_f64 v[11:12], v[11:12], v[24:25]
	v_mul_f64 v[11:12], v[22:23], v[11:12]
	v_add_u32_e64 v22, s10, 0
	ds_write2_b64 v22, v[11:12], v[11:12] offset0:139 offset1:202
.LBB125_866:
	s_or_b64 exec, exec, s[0:1]
	v_mov_b32_e32 v11, 0
	v_mov_b32_e32 v12, 0
	s_waitcnt lgkmcnt(0)
	s_barrier
	buffer_wbinvl1_vol
	s_and_saveexec_b64 s[0:1], s[2:3]
	s_cbranch_execz .LBB125_870
; %bb.867:
	v_lshlrev_b32_e32 v22, 9, v13
	v_lshlrev_b32_e32 v11, 3, v1
	ds_read_b64 v[11:12], v11 offset:5184
	ds_read_b64 v[22:23], v22 offset:5200
	v_cmp_gt_u32_e64 s[10:11], 2, v15
	s_waitcnt lgkmcnt(0)
	v_fma_f64 v[11:12], v[11:12], v[22:23], 0
	s_and_saveexec_b64 s[12:13], s[10:11]
	s_cbranch_execz .LBB125_869
; %bb.868:
	v_lshlrev_b32_e32 v22, 3, v0
	v_mov_b32_e32 v24, 0
	ds_read_b64 v[22:23], v22 offset:5696
	ds_read_b64 v[24:25], v24 offset:5720
	s_waitcnt lgkmcnt(0)
	v_fma_f64 v[11:12], v[22:23], v[24:25], v[11:12]
.LBB125_869:
	s_or_b64 exec, exec, s[12:13]
.LBB125_870:
	s_or_b64 exec, exec, s[0:1]
	s_and_saveexec_b64 s[0:1], s[40:41]
	s_cbranch_execz .LBB125_872
; %bb.871:
	v_mov_b32_e32 v22, 0
	ds_read_b64 v[22:23], v22 offset:4680
	s_waitcnt lgkmcnt(0)
	v_mul_f64 v[11:12], v[11:12], v[22:23]
	v_xor_b32_e32 v23, 0x80000000, v12
	v_mov_b32_e32 v22, v11
	ds_write_b64 v14, v[22:23]
.LBB125_872:
	s_or_b64 exec, exec, s[0:1]
	s_waitcnt lgkmcnt(0)
	s_barrier
	s_and_saveexec_b64 s[0:1], s[38:39]
	s_cbranch_execz .LBB125_874
; %bb.873:
	v_mov_b32_e32 v22, 0
	ds_read_b64 v[22:23], v22 offset:4672
	ds_read_b64 v[24:25], v14
	s_waitcnt lgkmcnt(0)
	v_fma_f64 v[11:12], -v[22:23], v[24:25], v[11:12]
.LBB125_874:
	s_or_b64 exec, exec, s[0:1]
	s_barrier
	s_and_saveexec_b64 s[0:1], s[38:39]
	s_cbranch_execz .LBB125_876
; %bb.875:
	v_mov_b32_e32 v22, 0
	ds_read_b64 v[22:23], v22 offset:4160
	s_waitcnt lgkmcnt(0)
	v_mul_f64 v[11:12], v[11:12], v[22:23]
	v_xor_b32_e32 v23, 0x80000000, v12
	v_mov_b32_e32 v22, v11
	ds_write_b64 v14, v[22:23]
.LBB125_876:
	s_or_b64 exec, exec, s[0:1]
	s_waitcnt lgkmcnt(0)
	s_barrier
	s_barrier
	s_and_saveexec_b64 s[0:1], s[2:3]
; %bb.877:
	v_lshlrev_b32_e32 v22, 3, v1
	v_lshl_or_b32 v22, v13, 9, v22
	ds_write_b64 v22, v[11:12] offset:5184
; %bb.878:
	s_or_b64 exec, exec, s[0:1]
	s_waitcnt lgkmcnt(0)
	s_barrier
	s_barrier
	s_and_saveexec_b64 s[0:1], s[42:43]
	s_cbranch_execz .LBB125_880
; %bb.879:
	v_lshlrev_b32_e32 v22, 3, v0
	s_movk_i32 s10, 0x1f8
	v_mad_u32_u24 v23, v0, s10, v22
	ds_read_b64 v[11:12], v23 offset:5184
	s_waitcnt lgkmcnt(0)
	ds_write_b64 v22, v[11:12] offset:4176
	ds_read_b64 v[11:12], v23 offset:5192
	s_waitcnt lgkmcnt(0)
	ds_write_b64 v22, v[11:12] offset:4688
.LBB125_880:
	s_or_b64 exec, exec, s[0:1]
	s_waitcnt lgkmcnt(0)
	s_barrier
	s_and_saveexec_b64 s[0:1], vcc
	s_cbranch_execz .LBB125_882
; %bb.881:
	v_mov_b32_e32 v11, 0
	ds_read_b128 v[22:25], v11 offset:4672
	ds_read_b64 v[11:12], v11 offset:4160
	s_movk_i32 s10, 0x1000
	s_waitcnt lgkmcnt(0)
	v_mul_f64 v[11:12], v[11:12], v[24:25]
	v_mul_f64 v[11:12], v[22:23], v[11:12]
	v_add_u32_e64 v22, s10, 0
	ds_write2_b64 v22, v[11:12], v[11:12] offset0:9 offset1:72
.LBB125_882:
	s_or_b64 exec, exec, s[0:1]
	v_mov_b32_e32 v11, 0
	v_mov_b32_e32 v12, 0
	s_waitcnt lgkmcnt(0)
	s_barrier
	buffer_wbinvl1_vol
	s_and_saveexec_b64 s[0:1], s[8:9]
	s_cbranch_execz .LBB125_892
; %bb.883:
	v_lshlrev_b32_e32 v23, 3, v19
	v_lshlrev_b32_e32 v22, 9, v20
	ds_read_b64 v[11:12], v23 offset:4096
	ds_read_b64 v[24:25], v22 offset:4160
	v_cmp_gt_u32_e64 s[10:11], 56, v15
	s_waitcnt lgkmcnt(0)
	v_fma_f64 v[11:12], v[11:12], v[24:25], 0
	s_and_saveexec_b64 s[12:13], s[10:11]
	s_cbranch_execnz .LBB125_1140
; %bb.884:
	s_or_b64 exec, exec, s[12:13]
	v_cmp_gt_u32_e64 s[10:11], 48, v15
	s_and_saveexec_b64 s[12:13], s[10:11]
	s_cbranch_execnz .LBB125_1141
.LBB125_885:
	s_or_b64 exec, exec, s[12:13]
	v_cmp_gt_u32_e64 s[10:11], 40, v15
	s_and_saveexec_b64 s[12:13], s[10:11]
	s_cbranch_execnz .LBB125_1142
.LBB125_886:
	s_or_b64 exec, exec, s[12:13]
	v_cmp_gt_u32_e64 s[10:11], 32, v15
	s_and_saveexec_b64 s[12:13], s[10:11]
	s_cbranch_execnz .LBB125_1143
.LBB125_887:
	s_or_b64 exec, exec, s[12:13]
	v_cmp_gt_u32_e64 s[10:11], 24, v15
	s_and_saveexec_b64 s[12:13], s[10:11]
	s_cbranch_execnz .LBB125_1144
.LBB125_888:
	s_or_b64 exec, exec, s[12:13]
	s_and_saveexec_b64 s[10:11], s[18:19]
	s_cbranch_execnz .LBB125_1145
.LBB125_889:
	s_or_b64 exec, exec, s[10:11]
	v_cmp_gt_u32_e64 s[10:11], 8, v15
	s_and_saveexec_b64 s[12:13], s[10:11]
	s_cbranch_execz .LBB125_891
.LBB125_890:
	v_lshlrev_b32_e32 v22, 3, v0
	v_mov_b32_e32 v24, 0
	ds_read_b64 v[22:23], v22 offset:7680
	ds_read_b64 v[24:25], v24 offset:7800
	s_waitcnt lgkmcnt(0)
	v_fma_f64 v[11:12], v[22:23], v[24:25], v[11:12]
.LBB125_891:
	s_or_b64 exec, exec, s[12:13]
.LBB125_892:
	s_or_b64 exec, exec, s[0:1]
	s_and_saveexec_b64 s[0:1], s[58:59]
	s_cbranch_execz .LBB125_894
; %bb.893:
	v_mov_b32_e32 v22, 0
	ds_read_b64 v[22:23], v22 offset:3640
	s_waitcnt lgkmcnt(0)
	v_mul_f64 v[11:12], v[11:12], v[22:23]
	v_xor_b32_e32 v23, 0x80000000, v12
	v_mov_b32_e32 v22, v11
	ds_write_b64 v21, v[22:23]
.LBB125_894:
	s_or_b64 exec, exec, s[0:1]
	s_waitcnt lgkmcnt(0)
	s_barrier
	s_and_saveexec_b64 s[0:1], s[60:61]
	v_readlane_b32 s34, v36, 5
	v_readlane_b32 s58, v36, 3
	;; [unrolled: 1-line block ×4, first 2 shown]
	s_cbranch_execz .LBB125_896
; %bb.895:
	v_lshlrev_b32_e32 v22, 3, v19
	ds_read_b64 v[22:23], v22 offset:3584
	ds_read_b64 v[24:25], v21
	s_waitcnt lgkmcnt(0)
	v_fma_f64 v[11:12], -v[22:23], v[24:25], v[11:12]
.LBB125_896:
	s_or_b64 exec, exec, s[0:1]
	s_barrier
	s_and_saveexec_b64 s[0:1], s[62:63]
	s_cbranch_execz .LBB125_898
; %bb.897:
	v_mov_b32_e32 v22, 0
	ds_read_b64 v[22:23], v22 offset:3120
	s_waitcnt lgkmcnt(0)
	v_mul_f64 v[11:12], v[11:12], v[22:23]
	v_xor_b32_e32 v23, 0x80000000, v12
	v_mov_b32_e32 v22, v11
	ds_write_b64 v21, v[22:23]
.LBB125_898:
	s_or_b64 exec, exec, s[0:1]
	s_waitcnt lgkmcnt(0)
	s_barrier
	s_and_saveexec_b64 s[0:1], s[64:65]
	s_cbranch_execz .LBB125_900
; %bb.899:
	v_lshlrev_b32_e32 v22, 3, v19
	ds_read_b64 v[22:23], v22 offset:3072
	ds_read_b64 v[24:25], v21
	s_waitcnt lgkmcnt(0)
	v_fma_f64 v[11:12], -v[22:23], v[24:25], v[11:12]
.LBB125_900:
	s_or_b64 exec, exec, s[0:1]
	s_barrier
	s_and_saveexec_b64 s[0:1], s[66:67]
	s_cbranch_execz .LBB125_902
; %bb.901:
	v_mov_b32_e32 v22, 0
	ds_read_b64 v[22:23], v22 offset:2600
	s_waitcnt lgkmcnt(0)
	v_mul_f64 v[11:12], v[11:12], v[22:23]
	v_xor_b32_e32 v23, 0x80000000, v12
	v_mov_b32_e32 v22, v11
	ds_write_b64 v21, v[22:23]
.LBB125_902:
	s_or_b64 exec, exec, s[0:1]
	s_waitcnt lgkmcnt(0)
	s_barrier
	s_and_saveexec_b64 s[0:1], s[70:71]
	;; [unrolled: 25-line block ×6, first 2 shown]
	s_cbranch_execz .LBB125_920
; %bb.919:
	v_mov_b32_e32 v22, 0
	ds_read_b64 v[22:23], v22 offset:512
	ds_read_b64 v[24:25], v21
	s_waitcnt lgkmcnt(0)
	v_fma_f64 v[11:12], -v[22:23], v[24:25], v[11:12]
.LBB125_920:
	s_or_b64 exec, exec, s[0:1]
	s_barrier
	s_and_saveexec_b64 s[0:1], s[68:69]
	s_cbranch_execz .LBB125_922
; %bb.921:
	v_mov_b32_e32 v22, 0
	ds_read_b64 v[22:23], v22
	s_waitcnt lgkmcnt(0)
	v_mul_f64 v[11:12], v[11:12], v[22:23]
	v_xor_b32_e32 v23, 0x80000000, v12
	v_mov_b32_e32 v22, v11
	ds_write_b64 v21, v[22:23]
.LBB125_922:
	s_or_b64 exec, exec, s[0:1]
	s_waitcnt lgkmcnt(0)
	s_barrier
	s_barrier
	s_and_saveexec_b64 s[0:1], s[8:9]
; %bb.923:
	v_lshlrev_b32_e32 v19, 3, v19
	v_lshl_or_b32 v19, v20, 9, v19
	ds_write_b64 v19, v[11:12] offset:4096
; %bb.924:
	s_or_b64 exec, exec, s[0:1]
	s_waitcnt lgkmcnt(0)
	s_barrier
	s_barrier
	s_and_saveexec_b64 s[0:1], s[86:87]
	s_cbranch_execz .LBB125_926
; %bb.925:
	v_lshlrev_b32_e32 v19, 9, v0
	ds_read_b64 v[11:12], v19 offset:4096
	s_movk_i32 s8, 0xfe08
	v_mad_i32_i24 v20, v0, s8, v19
	s_waitcnt lgkmcnt(0)
	ds_write_b64 v20, v[11:12] offset:64
	ds_read_b64 v[11:12], v19 offset:4104
	s_waitcnt lgkmcnt(0)
	ds_write_b64 v20, v[11:12] offset:576
	ds_read_b64 v[11:12], v19 offset:4112
	;; [unrolled: 3-line block ×7, first 2 shown]
	s_waitcnt lgkmcnt(0)
	ds_write_b64 v20, v[11:12] offset:3648
.LBB125_926:
	s_or_b64 exec, exec, s[0:1]
	s_waitcnt lgkmcnt(0)
	s_barrier
	s_and_saveexec_b64 s[0:1], vcc
	s_cbranch_execz .LBB125_928
; %bb.927:
	v_mov_b32_e32 v11, 0
	ds_read_b128 v[19:22], v11 offset:3632
	ds_read_b64 v[11:12], v11 offset:3120
	s_movk_i32 s8, 0x800
	s_waitcnt lgkmcnt(0)
	v_mul_f64 v[11:12], v[11:12], v[21:22]
	v_mul_f64 v[11:12], v[19:20], v[11:12]
	v_add_u32_e64 v19, s8, 0
	ds_write2_b64 v19, v[11:12], v[11:12] offset0:135 offset1:198
.LBB125_928:
	s_or_b64 exec, exec, s[0:1]
	v_mov_b32_e32 v11, 0
	v_mov_b32_e32 v12, 0
	s_waitcnt lgkmcnt(0)
	s_barrier
	buffer_wbinvl1_vol
	s_and_saveexec_b64 s[0:1], s[2:3]
	s_cbranch_execz .LBB125_932
; %bb.929:
	v_lshlrev_b32_e32 v19, 9, v13
	v_lshlrev_b32_e32 v11, 3, v1
	ds_read_b64 v[11:12], v11 offset:3104
	ds_read_b64 v[19:20], v19 offset:3120
	v_cmp_gt_u32_e64 s[8:9], 2, v15
	s_waitcnt lgkmcnt(0)
	v_fma_f64 v[11:12], v[11:12], v[19:20], 0
	s_and_saveexec_b64 s[10:11], s[8:9]
	s_cbranch_execz .LBB125_931
; %bb.930:
	v_lshlrev_b32_e32 v19, 3, v0
	v_mov_b32_e32 v21, 0
	ds_read_b64 v[19:20], v19 offset:3616
	ds_read_b64 v[21:22], v21 offset:3640
	s_waitcnt lgkmcnt(0)
	v_fma_f64 v[11:12], v[19:20], v[21:22], v[11:12]
.LBB125_931:
	s_or_b64 exec, exec, s[10:11]
.LBB125_932:
	s_or_b64 exec, exec, s[0:1]
	s_and_saveexec_b64 s[0:1], s[40:41]
	s_cbranch_execz .LBB125_934
; %bb.933:
	v_mov_b32_e32 v19, 0
	ds_read_b64 v[19:20], v19 offset:2600
	s_waitcnt lgkmcnt(0)
	v_mul_f64 v[11:12], v[11:12], v[19:20]
	v_xor_b32_e32 v20, 0x80000000, v12
	v_mov_b32_e32 v19, v11
	ds_write_b64 v14, v[19:20]
.LBB125_934:
	s_or_b64 exec, exec, s[0:1]
	s_waitcnt lgkmcnt(0)
	s_barrier
	s_and_saveexec_b64 s[0:1], s[38:39]
	s_cbranch_execz .LBB125_936
; %bb.935:
	v_mov_b32_e32 v19, 0
	ds_read_b64 v[19:20], v19 offset:2592
	ds_read_b64 v[21:22], v14
	s_waitcnt lgkmcnt(0)
	v_fma_f64 v[11:12], -v[19:20], v[21:22], v[11:12]
.LBB125_936:
	s_or_b64 exec, exec, s[0:1]
	s_barrier
	s_and_saveexec_b64 s[0:1], s[38:39]
	s_cbranch_execz .LBB125_938
; %bb.937:
	v_mov_b32_e32 v19, 0
	ds_read_b64 v[19:20], v19 offset:2080
	s_waitcnt lgkmcnt(0)
	v_mul_f64 v[11:12], v[11:12], v[19:20]
	v_xor_b32_e32 v20, 0x80000000, v12
	v_mov_b32_e32 v19, v11
	ds_write_b64 v14, v[19:20]
.LBB125_938:
	s_or_b64 exec, exec, s[0:1]
	s_waitcnt lgkmcnt(0)
	s_barrier
	s_barrier
	s_and_saveexec_b64 s[0:1], s[2:3]
; %bb.939:
	v_lshlrev_b32_e32 v19, 3, v1
	v_lshl_or_b32 v19, v13, 9, v19
	ds_write_b64 v19, v[11:12] offset:3104
; %bb.940:
	s_or_b64 exec, exec, s[0:1]
	s_waitcnt lgkmcnt(0)
	s_barrier
	s_barrier
	s_and_saveexec_b64 s[0:1], s[42:43]
	s_cbranch_execz .LBB125_942
; %bb.941:
	v_lshlrev_b32_e32 v19, 3, v0
	s_movk_i32 s8, 0x1f8
	v_mad_u32_u24 v20, v0, s8, v19
	ds_read_b64 v[11:12], v20 offset:3104
	s_waitcnt lgkmcnt(0)
	ds_write_b64 v19, v[11:12] offset:2096
	ds_read_b64 v[11:12], v20 offset:3112
	s_waitcnt lgkmcnt(0)
	ds_write_b64 v19, v[11:12] offset:2608
.LBB125_942:
	s_or_b64 exec, exec, s[0:1]
	s_waitcnt lgkmcnt(0)
	s_barrier
	s_and_saveexec_b64 s[0:1], vcc
	s_cbranch_execz .LBB125_944
; %bb.943:
	v_mov_b32_e32 v11, 0
	ds_read_b128 v[19:22], v11 offset:2592
	ds_read_b64 v[11:12], v11 offset:2080
	s_movk_i32 s8, 0x800
	s_waitcnt lgkmcnt(0)
	v_mul_f64 v[11:12], v[11:12], v[21:22]
	v_mul_f64 v[11:12], v[19:20], v[11:12]
	v_add_u32_e64 v19, s8, 0
	ds_write2_b64 v19, v[11:12], v[11:12] offset0:5 offset1:68
.LBB125_944:
	s_or_b64 exec, exec, s[0:1]
	v_mov_b32_e32 v11, 0
	v_mov_b32_e32 v12, 0
	s_waitcnt lgkmcnt(0)
	s_barrier
	buffer_wbinvl1_vol
	s_and_saveexec_b64 s[0:1], s[18:19]
	s_cbranch_execz .LBB125_950
; %bb.945:
	v_lshlrev_b32_e32 v20, 3, v16
	v_lshlrev_b32_e32 v19, 9, v17
	ds_read_b64 v[11:12], v20 offset:2048
	ds_read_b64 v[21:22], v19 offset:2080
	v_cmp_gt_u32_e64 s[8:9], 12, v15
	s_waitcnt lgkmcnt(0)
	v_fma_f64 v[11:12], v[11:12], v[21:22], 0
	s_and_saveexec_b64 s[10:11], s[8:9]
	s_cbranch_execnz .LBB125_1146
; %bb.946:
	s_or_b64 exec, exec, s[10:11]
	v_cmp_gt_u32_e64 s[8:9], 8, v15
	s_and_saveexec_b64 s[10:11], s[8:9]
	s_cbranch_execnz .LBB125_1147
.LBB125_947:
	s_or_b64 exec, exec, s[10:11]
	v_cmp_gt_u32_e64 s[8:9], 4, v15
	s_and_saveexec_b64 s[10:11], s[8:9]
	s_cbranch_execz .LBB125_949
.LBB125_948:
	v_lshlrev_b32_e32 v19, 3, v0
	v_mov_b32_e32 v21, 0
	ds_read_b64 v[19:20], v19 offset:3584
	ds_read_b64 v[21:22], v21 offset:3640
	s_waitcnt lgkmcnt(0)
	v_fma_f64 v[11:12], v[19:20], v[21:22], v[11:12]
.LBB125_949:
	s_or_b64 exec, exec, s[10:11]
.LBB125_950:
	s_or_b64 exec, exec, s[0:1]
	s_and_saveexec_b64 s[0:1], s[46:47]
	s_cbranch_execz .LBB125_952
; %bb.951:
	v_mov_b32_e32 v19, 0
	ds_read_b64 v[19:20], v19 offset:1560
	s_waitcnt lgkmcnt(0)
	v_mul_f64 v[11:12], v[11:12], v[19:20]
	v_xor_b32_e32 v20, 0x80000000, v12
	v_mov_b32_e32 v19, v11
	ds_write_b64 v18, v[19:20]
.LBB125_952:
	s_or_b64 exec, exec, s[0:1]
	s_waitcnt lgkmcnt(0)
	s_barrier
	s_and_saveexec_b64 s[0:1], s[48:49]
	v_readlane_b32 s46, v36, 2
	s_cbranch_execz .LBB125_954
; %bb.953:
	v_lshlrev_b32_e32 v19, 3, v16
	ds_read_b64 v[19:20], v19 offset:1536
	ds_read_b64 v[21:22], v18
	s_waitcnt lgkmcnt(0)
	v_fma_f64 v[11:12], -v[19:20], v[21:22], v[11:12]
.LBB125_954:
	s_or_b64 exec, exec, s[0:1]
	s_barrier
	s_and_saveexec_b64 s[0:1], s[50:51]
	s_cbranch_execz .LBB125_956
; %bb.955:
	v_mov_b32_e32 v19, 0
	ds_read_b64 v[19:20], v19 offset:1040
	s_waitcnt lgkmcnt(0)
	v_mul_f64 v[11:12], v[11:12], v[19:20]
	v_xor_b32_e32 v20, 0x80000000, v12
	v_mov_b32_e32 v19, v11
	ds_write_b64 v18, v[19:20]
.LBB125_956:
	s_or_b64 exec, exec, s[0:1]
	s_waitcnt lgkmcnt(0)
	s_barrier
	s_and_saveexec_b64 s[0:1], s[52:53]
	s_cbranch_execz .LBB125_958
; %bb.957:
	v_lshlrev_b32_e32 v19, 3, v16
	ds_read_b64 v[19:20], v19 offset:1024
	ds_read_b64 v[21:22], v18
	s_waitcnt lgkmcnt(0)
	v_fma_f64 v[11:12], -v[19:20], v[21:22], v[11:12]
.LBB125_958:
	s_or_b64 exec, exec, s[0:1]
	s_barrier
	s_and_saveexec_b64 s[0:1], s[54:55]
	s_cbranch_execz .LBB125_960
; %bb.959:
	v_mov_b32_e32 v19, 0
	ds_read_b64 v[19:20], v19 offset:520
	s_waitcnt lgkmcnt(0)
	v_mul_f64 v[11:12], v[11:12], v[19:20]
	v_xor_b32_e32 v20, 0x80000000, v12
	v_mov_b32_e32 v19, v11
	ds_write_b64 v18, v[19:20]
.LBB125_960:
	s_or_b64 exec, exec, s[0:1]
	s_waitcnt lgkmcnt(0)
	s_barrier
	s_and_saveexec_b64 s[0:1], s[44:45]
	s_cbranch_execz .LBB125_962
; %bb.961:
	v_mov_b32_e32 v19, 0
	ds_read_b64 v[19:20], v19 offset:512
	ds_read_b64 v[21:22], v18
	s_waitcnt lgkmcnt(0)
	v_fma_f64 v[11:12], -v[19:20], v[21:22], v[11:12]
.LBB125_962:
	s_or_b64 exec, exec, s[0:1]
	s_barrier
	s_and_saveexec_b64 s[0:1], s[44:45]
	s_cbranch_execz .LBB125_964
; %bb.963:
	v_mov_b32_e32 v19, 0
	ds_read_b64 v[19:20], v19
	s_waitcnt lgkmcnt(0)
	v_mul_f64 v[11:12], v[11:12], v[19:20]
	v_xor_b32_e32 v20, 0x80000000, v12
	v_mov_b32_e32 v19, v11
	ds_write_b64 v18, v[19:20]
.LBB125_964:
	s_or_b64 exec, exec, s[0:1]
	s_waitcnt lgkmcnt(0)
	s_barrier
	s_barrier
	s_and_saveexec_b64 s[0:1], s[18:19]
; %bb.965:
	v_lshlrev_b32_e32 v16, 3, v16
	v_lshl_or_b32 v16, v17, 9, v16
	ds_write_b64 v16, v[11:12] offset:2048
; %bb.966:
	s_or_b64 exec, exec, s[0:1]
	s_waitcnt lgkmcnt(0)
	s_barrier
	s_barrier
	s_and_saveexec_b64 s[0:1], s[56:57]
	s_cbranch_execz .LBB125_968
; %bb.967:
	v_lshlrev_b32_e32 v16, 9, v0
	ds_read_b64 v[11:12], v16 offset:2048
	s_movk_i32 s8, 0xfe08
	v_mad_i32_i24 v17, v0, s8, v16
	s_waitcnt lgkmcnt(0)
	ds_write_b64 v17, v[11:12] offset:32
	ds_read_b64 v[11:12], v16 offset:2056
	s_waitcnt lgkmcnt(0)
	ds_write_b64 v17, v[11:12] offset:544
	ds_read_b64 v[11:12], v16 offset:2064
	;; [unrolled: 3-line block ×3, first 2 shown]
	s_waitcnt lgkmcnt(0)
	ds_write_b64 v17, v[11:12] offset:1568
.LBB125_968:
	s_or_b64 exec, exec, s[0:1]
	s_waitcnt lgkmcnt(0)
	s_barrier
	s_and_saveexec_b64 s[0:1], vcc
	s_cbranch_execz .LBB125_970
; %bb.969:
	v_mov_b32_e32 v20, 0
	ds_read_b128 v[16:19], v20 offset:1552
	ds_read_b64 v[11:12], v20 offset:1040
	s_waitcnt lgkmcnt(0)
	v_mul_f64 v[11:12], v[11:12], v[18:19]
	v_mul_f64 v[11:12], v[16:17], v[11:12]
	ds_write2_b64 v20, v[11:12], v[11:12] offset0:131 offset1:194
.LBB125_970:
	s_or_b64 exec, exec, s[0:1]
	v_mov_b32_e32 v11, 0
	v_mov_b32_e32 v12, 0
	s_waitcnt lgkmcnt(0)
	s_barrier
	buffer_wbinvl1_vol
	s_and_saveexec_b64 s[0:1], s[2:3]
	s_cbranch_execz .LBB125_974
; %bb.971:
	v_lshlrev_b32_e32 v16, 9, v13
	v_lshlrev_b32_e32 v11, 3, v1
	ds_read_b64 v[11:12], v11 offset:1024
	ds_read_b64 v[16:17], v16 offset:1040
	v_cmp_gt_u32_e64 s[8:9], 2, v15
	s_waitcnt lgkmcnt(0)
	v_fma_f64 v[11:12], v[11:12], v[16:17], 0
	s_and_saveexec_b64 s[10:11], s[8:9]
	s_cbranch_execz .LBB125_973
; %bb.972:
	v_lshlrev_b32_e32 v15, 3, v0
	v_mov_b32_e32 v17, 0
	ds_read_b64 v[15:16], v15 offset:1536
	ds_read_b64 v[17:18], v17 offset:1560
	s_waitcnt lgkmcnt(0)
	v_fma_f64 v[11:12], v[15:16], v[17:18], v[11:12]
.LBB125_973:
	s_or_b64 exec, exec, s[10:11]
.LBB125_974:
	s_or_b64 exec, exec, s[0:1]
	s_and_saveexec_b64 s[0:1], s[40:41]
	s_cbranch_execz .LBB125_976
; %bb.975:
	v_mov_b32_e32 v15, 0
	ds_read_b64 v[15:16], v15 offset:520
	s_waitcnt lgkmcnt(0)
	v_mul_f64 v[11:12], v[11:12], v[15:16]
	v_xor_b32_e32 v16, 0x80000000, v12
	v_mov_b32_e32 v15, v11
	ds_write_b64 v14, v[15:16]
.LBB125_976:
	s_or_b64 exec, exec, s[0:1]
	s_waitcnt lgkmcnt(0)
	s_barrier
	s_and_saveexec_b64 s[0:1], s[38:39]
	s_cbranch_execz .LBB125_978
; %bb.977:
	v_mov_b32_e32 v15, 0
	ds_read_b64 v[15:16], v15 offset:512
	ds_read_b64 v[17:18], v14
	s_waitcnt lgkmcnt(0)
	v_fma_f64 v[11:12], -v[15:16], v[17:18], v[11:12]
.LBB125_978:
	s_or_b64 exec, exec, s[0:1]
	s_barrier
	s_and_saveexec_b64 s[0:1], s[38:39]
	s_cbranch_execz .LBB125_980
; %bb.979:
	v_mov_b32_e32 v15, 0
	ds_read_b64 v[15:16], v15
	s_waitcnt lgkmcnt(0)
	v_mul_f64 v[11:12], v[11:12], v[15:16]
	v_xor_b32_e32 v16, 0x80000000, v12
	v_mov_b32_e32 v15, v11
	ds_write_b64 v14, v[15:16]
.LBB125_980:
	s_or_b64 exec, exec, s[0:1]
	s_waitcnt lgkmcnt(0)
	s_barrier
	s_barrier
	s_and_saveexec_b64 s[0:1], s[2:3]
; %bb.981:
	v_lshlrev_b32_e32 v1, 3, v1
	v_lshl_or_b32 v1, v13, 9, v1
	ds_write_b64 v1, v[11:12] offset:1024
; %bb.982:
	s_or_b64 exec, exec, s[0:1]
	s_waitcnt lgkmcnt(0)
	s_barrier
	s_barrier
	s_and_saveexec_b64 s[0:1], s[42:43]
	s_cbranch_execz .LBB125_984
; %bb.983:
	v_lshlrev_b32_e32 v1, 3, v0
	s_movk_i32 s2, 0x1f8
	v_mad_u32_u24 v13, v0, s2, v1
	ds_read_b64 v[11:12], v13 offset:1024
	s_waitcnt lgkmcnt(0)
	ds_write_b64 v1, v[11:12] offset:16
	ds_read_b64 v[11:12], v13 offset:1032
	s_waitcnt lgkmcnt(0)
	ds_write_b64 v1, v[11:12] offset:528
.LBB125_984:
	s_or_b64 exec, exec, s[0:1]
	s_waitcnt lgkmcnt(0)
	s_barrier
	s_and_saveexec_b64 s[0:1], vcc
	s_cbranch_execz .LBB125_986
; %bb.985:
	v_mov_b32_e32 v1, 0
	ds_read_b128 v[11:14], v1 offset:512
	ds_read_b64 v[15:16], v1
	s_waitcnt lgkmcnt(0)
	v_mul_f64 v[13:14], v[15:16], v[13:14]
	v_mul_f64 v[11:12], v[11:12], v[13:14]
	ds_write2_b64 v1, v[11:12], v[11:12] offset0:1 offset1:64
.LBB125_986:
	s_or_b64 exec, exec, s[0:1]
.LBB125_987:
	s_lshl_b64 s[0:1], s[24:25], 3
	s_add_u32 s20, s58, s0
	v_cmp_le_i32_e32 vcc, s36, v0
	s_addc_u32 s21, s59, s1
	s_and_b64 s[14:15], vcc, s[22:23]
	v_cmp_eq_u32_e64 s[2:3], 0, v2
	s_xor_b64 s[0:1], s[14:15], -1
	v_mov_b32_e32 v11, 0
	s_and_b64 s[8:9], s[2:3], s[0:1]
	v_mov_b32_e32 v12, 0
	v_add_u32_e32 v13, s33, v0
	s_waitcnt lgkmcnt(0)
	s_barrier
	s_and_saveexec_b64 s[0:1], s[8:9]
	s_cbranch_execz .LBB125_989
; %bb.988:
	v_ashrrev_i32_e32 v1, 31, v13
	v_mul_lo_u32 v14, s27, v13
	v_mad_u64_u32 v[11:12], s[8:9], s26, v13, 0
	v_mul_lo_u32 v1, s26, v1
	v_add3_u32 v12, v12, v1, v14
	v_lshlrev_b64 v[11:12], 3, v[11:12]
	v_mov_b32_e32 v1, s21
	v_add_co_u32_e32 v11, vcc, s20, v11
	v_addc_co_u32_e32 v12, vcc, v1, v12, vcc
	flat_load_dwordx2 v[11:12], v[11:12]
	s_waitcnt vmcnt(0) lgkmcnt(0)
	v_mul_f64 v[11:12], v[11:12], -s[34:35]
.LBB125_989:
	s_or_b64 exec, exec, s[0:1]
	s_load_dwordx2 s[0:1], s[4:5], 0x50
	s_and_b32 s4, 0xffff, s91
	v_mad_u32_u24 v19, v2, s4, v0
	v_mov_b32_e32 v14, 0
	s_cmp_lt_i32 s6, 1
	v_cmp_eq_u32_e64 s[4:5], 0, v19
	s_cbranch_scc1 .LBB125_1015
; %bb.990:
	v_mad_u64_u32 v[15:16], s[8:9], s30, v13, 0
	s_mov_b32 s24, 0
	v_cmp_gt_u32_e64 s[12:13], 64, v19
	v_mov_b32_e32 v1, v16
	v_mad_u64_u32 v[16:17], s[8:9], s31, v13, v[1:2]
	s_lshl_b64 s[8:9], s[28:29], 2
	s_waitcnt lgkmcnt(0)
	s_add_u32 s16, s0, s8
	v_lshlrev_b64 v[15:16], 3, v[15:16]
	s_addc_u32 s17, s1, s9
	v_mov_b32_e32 v17, 0xa000
	v_cmp_gt_i32_e64 s[8:9], s7, v13
	v_mov_b32_e32 v13, s90
	v_add_co_u32_e32 v21, vcc, s37, v15
	v_lshl_add_u32 v1, v19, 3, v17
	v_lshl_or_b32 v20, v2, 3, v17
	s_add_i32 s25, s6, -1
	v_addc_co_u32_e32 v22, vcc, v13, v16, vcc
	v_mov_b32_e32 v23, -1
	s_branch .LBB125_993
.LBB125_991:                            ;   in Loop: Header=BB125_993 Depth=1
	ds_read_b64 v[15:16], v20 offset:384
	s_waitcnt vmcnt(0) lgkmcnt(0)
	v_fma_f64 v[11:12], v[17:18], v[15:16], v[11:12]
.LBB125_992:                            ;   in Loop: Header=BB125_993 Depth=1
	s_or_b64 exec, exec, s[18:19]
	s_add_i32 s24, s24, 1
	s_cmp_eq_u32 s24, s6
	s_cbranch_scc1 .LBB125_1015
.LBB125_993:                            ; =>This Loop Header: Depth=1
                                        ;     Child Loop BB125_995 Depth 2
	v_cmp_gt_i32_e32 vcc, s24, v23
	s_and_b64 s[18:19], s[4:5], vcc
	s_and_saveexec_b64 s[10:11], s[18:19]
	s_cbranch_execz .LBB125_996
; %bb.994:                              ;   in Loop: Header=BB125_993 Depth=1
	global_load_dword v23, v14, s[16:17]
	s_waitcnt vmcnt(0)
	v_cmp_le_i32_e32 vcc, s24, v23
	s_cbranch_vccnz .LBB125_996
.LBB125_995:                            ;   Parent Loop BB125_993 Depth=1
                                        ; =>  This Inner Loop Header: Depth=2
	buffer_wbinvl1_vol
	global_load_dword v23, v14, s[16:17]
	s_waitcnt vmcnt(0)
	v_cmp_gt_i32_e32 vcc, s24, v23
	s_cbranch_vccnz .LBB125_995
.LBB125_996:                            ;   in Loop: Header=BB125_993 Depth=1
	s_or_b64 exec, exec, s[10:11]
	s_lshl_b32 s30, s24, 6
	buffer_wbinvl1_vol
	s_barrier
	s_and_saveexec_b64 s[10:11], s[12:13]
	s_cbranch_execz .LBB125_1000
; %bb.997:                              ;   in Loop: Header=BB125_993 Depth=1
	v_or_b32_e32 v13, s30, v19
	v_mov_b32_e32 v15, 0
	v_mov_b32_e32 v16, 0
	v_cmp_gt_i32_e32 vcc, s7, v13
	s_and_saveexec_b64 s[18:19], vcc
	s_cbranch_execz .LBB125_999
; %bb.998:                              ;   in Loop: Header=BB125_993 Depth=1
	v_mad_u64_u32 v[15:16], s[34:35], s26, v13, 0
	v_mad_u64_u32 v[16:17], s[34:35], s27, v13, v[16:17]
	v_mov_b32_e32 v13, s21
	v_lshlrev_b64 v[15:16], 3, v[15:16]
	v_add_co_u32_e32 v15, vcc, s20, v15
	v_addc_co_u32_e32 v16, vcc, v13, v16, vcc
	flat_load_dwordx2 v[15:16], v[15:16]
.LBB125_999:                            ;   in Loop: Header=BB125_993 Depth=1
	s_or_b64 exec, exec, s[18:19]
	s_waitcnt vmcnt(0) lgkmcnt(0)
	ds_write_b64 v1, v[15:16]
.LBB125_1000:                           ;   in Loop: Header=BB125_993 Depth=1
	s_or_b64 exec, exec, s[10:11]
	v_add_u32_e32 v13, s30, v2
	v_lshlrev_b64 v[15:16], 3, v[13:14]
	s_cmp_lg_u32 s24, s25
	v_add_co_u32_e32 v15, vcc, v21, v15
	s_cselect_b64 s[10:11], -1, 0
	v_addc_co_u32_e32 v16, vcc, v22, v16, vcc
	v_cmp_gt_i32_e32 vcc, s7, v13
	v_cndmask_b32_e64 v17, 0, 1, s[10:11]
	s_and_b64 s[30:31], vcc, s[8:9]
	v_cmp_ne_u32_e64 s[10:11], 1, v17
	s_waitcnt lgkmcnt(0)
	s_barrier
	s_and_saveexec_b64 s[18:19], s[30:31]
	s_cbranch_execz .LBB125_1004
; %bb.1001:                             ;   in Loop: Header=BB125_993 Depth=1
	v_mov_b32_e32 v18, v6
	s_and_b64 vcc, exec, s[10:11]
	v_mov_b32_e32 v17, v5
	s_cbranch_vccnz .LBB125_1003
; %bb.1002:                             ;   in Loop: Header=BB125_993 Depth=1
	flat_load_dwordx2 v[17:18], v[15:16]
.LBB125_1003:                           ;   in Loop: Header=BB125_993 Depth=1
	ds_read_b64 v[24:25], v20
	s_waitcnt vmcnt(0) lgkmcnt(0)
	v_fma_f64 v[11:12], v[17:18], v[24:25], v[11:12]
.LBB125_1004:                           ;   in Loop: Header=BB125_993 Depth=1
	s_or_b64 exec, exec, s[18:19]
	v_add_u32_e32 v17, 16, v13
	v_cmp_gt_i32_e32 vcc, s7, v17
	s_and_b64 s[30:31], vcc, s[8:9]
	s_and_saveexec_b64 s[18:19], s[30:31]
	s_cbranch_execz .LBB125_1008
; %bb.1005:                             ;   in Loop: Header=BB125_993 Depth=1
	v_mov_b32_e32 v18, v4
	s_and_b64 vcc, exec, s[10:11]
	v_mov_b32_e32 v17, v3
	s_cbranch_vccnz .LBB125_1007
; %bb.1006:                             ;   in Loop: Header=BB125_993 Depth=1
	flat_load_dwordx2 v[17:18], v[15:16] offset:128
.LBB125_1007:                           ;   in Loop: Header=BB125_993 Depth=1
	ds_read_b64 v[24:25], v20 offset:128
	s_waitcnt vmcnt(0) lgkmcnt(0)
	v_fma_f64 v[11:12], v[17:18], v[24:25], v[11:12]
.LBB125_1008:                           ;   in Loop: Header=BB125_993 Depth=1
	s_or_b64 exec, exec, s[18:19]
	v_add_u32_e32 v17, 32, v13
	v_cmp_gt_i32_e32 vcc, s7, v17
	s_and_b64 s[30:31], vcc, s[8:9]
	s_and_saveexec_b64 s[18:19], s[30:31]
	s_cbranch_execz .LBB125_1012
; %bb.1009:                             ;   in Loop: Header=BB125_993 Depth=1
	v_mov_b32_e32 v18, v10
	s_and_b64 vcc, exec, s[10:11]
	v_mov_b32_e32 v17, v9
	s_cbranch_vccnz .LBB125_1011
; %bb.1010:                             ;   in Loop: Header=BB125_993 Depth=1
	flat_load_dwordx2 v[17:18], v[15:16] offset:256
.LBB125_1011:                           ;   in Loop: Header=BB125_993 Depth=1
	ds_read_b64 v[24:25], v20 offset:256
	s_waitcnt vmcnt(0) lgkmcnt(0)
	v_fma_f64 v[11:12], v[17:18], v[24:25], v[11:12]
.LBB125_1012:                           ;   in Loop: Header=BB125_993 Depth=1
	s_or_b64 exec, exec, s[18:19]
	v_add_u32_e32 v13, 48, v13
	v_cmp_gt_i32_e32 vcc, s7, v13
	s_and_b64 s[30:31], vcc, s[8:9]
	s_and_saveexec_b64 s[18:19], s[30:31]
	s_cbranch_execz .LBB125_992
; %bb.1013:                             ;   in Loop: Header=BB125_993 Depth=1
	v_mov_b32_e32 v18, v8
	s_and_b64 vcc, exec, s[10:11]
	v_mov_b32_e32 v17, v7
	s_cbranch_vccnz .LBB125_991
; %bb.1014:                             ;   in Loop: Header=BB125_993 Depth=1
	flat_load_dwordx2 v[17:18], v[15:16] offset:384
	s_branch .LBB125_991
.LBB125_1015:
	v_lshl_add_u32 v1, v2, 6, v0
	s_xor_b64 s[4:5], s[22:23], -1
	v_lshlrev_b32_e32 v1, 3, v1
	ds_write_b64 v1, v[11:12] offset:32768
	s_waitcnt lgkmcnt(0)
	s_barrier
	s_and_saveexec_b64 s[6:7], s[2:3]
	s_cbranch_execz .LBB125_1017
; %bb.1016:
	v_lshlrev_b32_e32 v15, 3, v0
	ds_read2st64_b64 v[3:6], v15 offset0:65 offset1:66
	ds_read_b64 v[13:14], v15 offset:40448
	s_waitcnt lgkmcnt(1)
	v_add_f64 v[3:4], v[11:12], v[3:4]
	v_add_f64 v[11:12], v[3:4], v[5:6]
	ds_read2st64_b64 v[3:6], v15 offset0:67 offset1:68
	ds_read2st64_b64 v[7:10], v15 offset0:69 offset1:70
	s_waitcnt lgkmcnt(1)
	v_add_f64 v[3:4], v[11:12], v[3:4]
	v_add_f64 v[3:4], v[3:4], v[5:6]
	s_waitcnt lgkmcnt(0)
	v_add_f64 v[3:4], v[3:4], v[7:8]
	v_add_f64 v[11:12], v[3:4], v[9:10]
	ds_read2st64_b64 v[3:6], v15 offset0:71 offset1:72
	ds_read2st64_b64 v[7:10], v15 offset0:73 offset1:74
	s_waitcnt lgkmcnt(1)
	v_add_f64 v[3:4], v[11:12], v[3:4]
	v_add_f64 v[3:4], v[3:4], v[5:6]
	;; [unrolled: 8-line block ×3, first 2 shown]
	s_waitcnt lgkmcnt(0)
	v_add_f64 v[3:4], v[3:4], v[7:8]
	v_add_f64 v[3:4], v[3:4], v[9:10]
	;; [unrolled: 1-line block ×3, first 2 shown]
	v_xor_b32_e32 v4, 0x80000000, v4
	v_cndmask_b32_e64 v12, v4, 0, s[14:15]
	v_cndmask_b32_e64 v11, v3, 0, s[14:15]
.LBB125_1017:
	s_or_b64 exec, exec, s[6:7]
	v_readlane_b32 s6, v36, 0
	v_readlane_b32 s7, v36, 1
	s_and_b64 vcc, exec, s[6:7]
	s_cbranch_vccnz .LBB125_1030
; %bb.1018:
	v_mov_b32_e32 v3, 0xa000
	v_lshl_or_b32 v5, v2, 3, v3
	s_and_saveexec_b64 s[6:7], s[2:3]
; %bb.1019:
	v_lshl_add_u32 v3, v0, 3, v5
	ds_write_b64 v3, v[11:12]
; %bb.1020:
	s_or_b64 exec, exec, s[6:7]
	v_mov_b32_e32 v3, 0
	v_mov_b32_e32 v4, 0
	v_cmp_le_u32_e32 vcc, v2, v0
	s_waitcnt lgkmcnt(0)
	s_barrier
	s_and_saveexec_b64 s[6:7], vcc
	s_cbranch_execz .LBB125_1022
; %bb.1021:
	ds_read_b64 v[3:4], v1
	ds_read_b64 v[6:7], v5
	s_waitcnt lgkmcnt(0)
	v_fma_f64 v[3:4], v[3:4], v[6:7], 0
.LBB125_1022:
	s_or_b64 exec, exec, s[6:7]
	v_add_u32_e32 v6, 16, v2
	v_cmp_ge_u32_e32 vcc, v0, v6
	s_and_saveexec_b64 s[6:7], vcc
	s_cbranch_execz .LBB125_1024
; %bb.1023:
	ds_read_b64 v[6:7], v1 offset:8192
	ds_read_b64 v[8:9], v5 offset:128
	s_waitcnt lgkmcnt(0)
	v_fma_f64 v[3:4], v[6:7], v[8:9], v[3:4]
.LBB125_1024:
	s_or_b64 exec, exec, s[6:7]
	v_add_u32_e32 v6, 32, v2
	v_cmp_ge_u32_e32 vcc, v0, v6
	s_and_saveexec_b64 s[6:7], vcc
	s_cbranch_execz .LBB125_1026
; %bb.1025:
	ds_read_b64 v[6:7], v1 offset:16384
	ds_read_b64 v[8:9], v5 offset:256
	s_waitcnt lgkmcnt(0)
	v_fma_f64 v[3:4], v[6:7], v[8:9], v[3:4]
.LBB125_1026:
	s_or_b64 exec, exec, s[6:7]
	v_add_u32_e32 v2, 48, v2
	v_add_u32_e32 v6, 0x8000, v1
	v_cmp_ge_u32_e32 vcc, v0, v2
	s_and_saveexec_b64 s[6:7], vcc
	s_cbranch_execz .LBB125_1028
; %bb.1027:
	ds_read_b64 v[1:2], v1 offset:24576
	ds_read_b64 v[7:8], v5 offset:384
	s_waitcnt lgkmcnt(0)
	v_fma_f64 v[3:4], v[1:2], v[7:8], v[3:4]
.LBB125_1028:
	s_or_b64 exec, exec, s[6:7]
	s_mov_b64 s[8:9], 0
	s_mov_b64 s[6:7], 0
	ds_write_b64 v6, v[3:4]
	s_waitcnt lgkmcnt(0)
	s_barrier
                                        ; implicit-def: $vgpr5_vgpr6
                                        ; implicit-def: $vgpr1_vgpr2
	s_and_saveexec_b64 s[10:11], s[2:3]
	s_cbranch_execz .LBB125_1087
; %bb.1029:
	v_lshlrev_b32_e32 v15, 3, v0
	ds_read2st64_b64 v[5:8], v15 offset0:65 offset1:66
	ds_read_b64 v[9:10], v15 offset:40448
	s_mov_b64 s[6:7], exec
	s_waitcnt lgkmcnt(1)
	v_add_f64 v[1:2], v[3:4], v[5:6]
	v_add_f64 v[13:14], v[7:8], v[1:2]
	ds_read2st64_b64 v[1:4], v15 offset0:67 offset1:68
	ds_read2st64_b64 v[5:8], v15 offset0:69 offset1:70
	s_waitcnt lgkmcnt(1)
	v_add_f64 v[1:2], v[1:2], v[13:14]
	v_add_f64 v[1:2], v[3:4], v[1:2]
	s_waitcnt lgkmcnt(0)
	v_add_f64 v[1:2], v[5:6], v[1:2]
	v_add_f64 v[13:14], v[7:8], v[1:2]
	ds_read2st64_b64 v[1:4], v15 offset0:71 offset1:72
	ds_read2st64_b64 v[5:8], v15 offset0:73 offset1:74
	s_waitcnt lgkmcnt(1)
	v_add_f64 v[1:2], v[1:2], v[13:14]
	v_add_f64 v[1:2], v[3:4], v[1:2]
	;; [unrolled: 8-line block ×3, first 2 shown]
	s_waitcnt lgkmcnt(0)
	v_add_f64 v[1:2], v[5:6], v[1:2]
	v_add_f64 v[3:4], v[7:8], v[1:2]
	v_add_u32_e32 v7, s33, v19
	v_mad_u64_u32 v[1:2], s[12:13], s26, v7, 0
	v_add_f64 v[5:6], v[9:10], v[3:4]
	v_mad_u64_u32 v[2:3], s[12:13], s27, v7, v[2:3]
	s_or_b64 exec, exec, s[10:11]
	s_and_b64 vcc, exec, s[8:9]
	s_cbranch_vccnz .LBB125_1031
	s_branch .LBB125_1088
.LBB125_1030:
	s_mov_b64 s[6:7], 0
                                        ; implicit-def: $vgpr5_vgpr6
                                        ; implicit-def: $vgpr1_vgpr2
	s_cbranch_execz .LBB125_1088
.LBB125_1031:
	v_mul_u32_u24_e32 v1, 0x208, v0
	v_lshlrev_b32_e32 v2, 9, v0
	v_sub_u32_e32 v2, v1, v2
	s_mov_b32 s10, 0
	v_mov_b32_e32 v3, 0
	v_mov_b32_e32 v4, v0
	s_branch .LBB125_1033
.LBB125_1032:                           ;   in Loop: Header=BB125_1033 Depth=1
	s_or_b64 exec, exec, s[8:9]
	s_add_i32 s10, s10, 4
	v_add_u32_e32 v2, 0x800, v2
	s_cmp_lg_u32 s10, 64
	v_add_u32_e32 v4, -4, v4
	s_barrier
	s_cbranch_scc0 .LBB125_1049
.LBB125_1033:                           ; =>This Inner Loop Header: Depth=1
	v_cmp_eq_u32_e32 vcc, 0, v4
	s_and_b64 s[12:13], s[2:3], vcc
	s_and_saveexec_b64 s[8:9], s[12:13]
	s_cbranch_execz .LBB125_1035
; %bb.1034:                             ;   in Loop: Header=BB125_1033 Depth=1
	ds_read_b64 v[5:6], v1
	s_waitcnt lgkmcnt(0)
	v_mul_f64 v[11:12], v[11:12], v[5:6]
	ds_write_b64 v3, v[11:12] offset:41472
.LBB125_1035:                           ;   in Loop: Header=BB125_1033 Depth=1
	s_or_b64 exec, exec, s[8:9]
	v_cmp_lt_u32_e32 vcc, s10, v0
	s_and_b64 s[12:13], s[2:3], vcc
	s_waitcnt lgkmcnt(0)
	s_barrier
	s_and_saveexec_b64 s[8:9], s[12:13]
	s_cbranch_execz .LBB125_1037
; %bb.1036:                             ;   in Loop: Header=BB125_1033 Depth=1
	ds_read_b64 v[5:6], v2
	ds_read_b64 v[7:8], v3 offset:41472
	s_waitcnt lgkmcnt(0)
	v_fma_f64 v[11:12], v[5:6], v[7:8], v[11:12]
.LBB125_1037:                           ;   in Loop: Header=BB125_1033 Depth=1
	s_or_b64 exec, exec, s[8:9]
	s_or_b32 s11, s10, 1
	v_cmp_eq_u32_e32 vcc, s11, v0
	s_and_b64 s[12:13], s[2:3], vcc
	s_barrier
	s_and_saveexec_b64 s[8:9], s[12:13]
	s_cbranch_execz .LBB125_1039
; %bb.1038:                             ;   in Loop: Header=BB125_1033 Depth=1
	ds_read_b64 v[5:6], v1
	s_waitcnt lgkmcnt(0)
	v_mul_f64 v[11:12], v[11:12], v[5:6]
	ds_write_b64 v3, v[11:12] offset:41472
.LBB125_1039:                           ;   in Loop: Header=BB125_1033 Depth=1
	s_or_b64 exec, exec, s[8:9]
	v_cmp_lt_u32_e32 vcc, s11, v0
	s_and_b64 s[12:13], s[2:3], vcc
	s_waitcnt lgkmcnt(0)
	s_barrier
	s_and_saveexec_b64 s[8:9], s[12:13]
	s_cbranch_execz .LBB125_1041
; %bb.1040:                             ;   in Loop: Header=BB125_1033 Depth=1
	ds_read_b64 v[5:6], v2 offset:512
	ds_read_b64 v[7:8], v3 offset:41472
	s_waitcnt lgkmcnt(0)
	v_fma_f64 v[11:12], v[5:6], v[7:8], v[11:12]
.LBB125_1041:                           ;   in Loop: Header=BB125_1033 Depth=1
	s_or_b64 exec, exec, s[8:9]
	s_or_b32 s11, s10, 2
	v_cmp_eq_u32_e32 vcc, s11, v0
	s_and_b64 s[12:13], s[2:3], vcc
	s_barrier
	s_and_saveexec_b64 s[8:9], s[12:13]
	s_cbranch_execz .LBB125_1043
; %bb.1042:                             ;   in Loop: Header=BB125_1033 Depth=1
	ds_read_b64 v[5:6], v1
	s_waitcnt lgkmcnt(0)
	v_mul_f64 v[11:12], v[11:12], v[5:6]
	ds_write_b64 v3, v[11:12] offset:41472
.LBB125_1043:                           ;   in Loop: Header=BB125_1033 Depth=1
	s_or_b64 exec, exec, s[8:9]
	v_cmp_lt_u32_e32 vcc, s11, v0
	s_and_b64 s[12:13], s[2:3], vcc
	s_waitcnt lgkmcnt(0)
	s_barrier
	s_and_saveexec_b64 s[8:9], s[12:13]
	s_cbranch_execz .LBB125_1045
; %bb.1044:                             ;   in Loop: Header=BB125_1033 Depth=1
	ds_read_b64 v[5:6], v2 offset:1024
	ds_read_b64 v[7:8], v3 offset:41472
	s_waitcnt lgkmcnt(0)
	v_fma_f64 v[11:12], v[5:6], v[7:8], v[11:12]
.LBB125_1045:                           ;   in Loop: Header=BB125_1033 Depth=1
	s_or_b64 exec, exec, s[8:9]
	s_or_b32 s11, s10, 3
	v_cmp_eq_u32_e32 vcc, s11, v0
	s_and_b64 s[12:13], s[2:3], vcc
	s_barrier
	s_and_saveexec_b64 s[8:9], s[12:13]
	s_cbranch_execz .LBB125_1047
; %bb.1046:                             ;   in Loop: Header=BB125_1033 Depth=1
	ds_read_b64 v[5:6], v1
	s_waitcnt lgkmcnt(0)
	v_mul_f64 v[11:12], v[11:12], v[5:6]
	ds_write_b64 v3, v[11:12] offset:41472
.LBB125_1047:                           ;   in Loop: Header=BB125_1033 Depth=1
	s_or_b64 exec, exec, s[8:9]
	v_cmp_lt_u32_e32 vcc, s11, v0
	s_and_b64 s[12:13], s[2:3], vcc
	s_waitcnt lgkmcnt(0)
	s_barrier
	s_and_saveexec_b64 s[8:9], s[12:13]
	s_cbranch_execz .LBB125_1032
; %bb.1048:                             ;   in Loop: Header=BB125_1033 Depth=1
	ds_read_b64 v[5:6], v2 offset:1536
	ds_read_b64 v[7:8], v3 offset:41472
	s_waitcnt lgkmcnt(0)
	v_fma_f64 v[11:12], v[5:6], v[7:8], v[11:12]
	s_branch .LBB125_1032
.LBB125_1049:
	s_and_b64 vcc, exec, s[4:5]
	s_cbranch_vccz .LBB125_1089
; %bb.1050:
	s_and_b64 s[4:5], s[2:3], exec
	s_cbranch_execz .LBB125_1090
	s_branch .LBB125_1091
.LBB125_1051:
	v_cmp_ne_u32_e32 vcc, v0, v2
	s_and_saveexec_b64 s[12:13], vcc
	s_xor_b64 s[12:13], exec, s[12:13]
; %bb.1052:
	v_or_b32_e32 v1, v2, v0
	v_cmp_gt_u32_e32 vcc, 64, v1
	s_and_b64 s[10:11], vcc, exec
                                        ; implicit-def: $vgpr15_vgpr16
; %bb.1053:
	s_or_saveexec_b64 s[12:13], s[12:13]
	v_mov_b32_e32 v13, 0
	v_mov_b32_e32 v14, 0
	s_xor_b64 exec, exec, s[12:13]
	s_cbranch_execz .LBB125_1055
; %bb.1054:
	v_lshlrev_b64 v[13:14], 3, v[15:16]
	v_mov_b32_e32 v1, s90
	v_add_co_u32_e32 v13, vcc, s37, v13
	v_addc_co_u32_e32 v14, vcc, v1, v14, vcc
	flat_load_dwordx2 v[13:14], v[13:14]
	s_or_b64 s[10:11], s[10:11], exec
	s_waitcnt vmcnt(0) lgkmcnt(0)
	v_div_scale_f64 v[15:16], s[14:15], v[13:14], v[13:14], 1.0
	v_div_scale_f64 v[22:23], vcc, 1.0, v[13:14], 1.0
	v_rcp_f64_e32 v[18:19], v[15:16]
	v_fma_f64 v[20:21], -v[15:16], v[18:19], 1.0
	v_fma_f64 v[18:19], v[18:19], v[20:21], v[18:19]
	v_fma_f64 v[20:21], -v[15:16], v[18:19], 1.0
	v_fma_f64 v[18:19], v[18:19], v[20:21], v[18:19]
	v_mul_f64 v[20:21], v[22:23], v[18:19]
	v_fma_f64 v[15:16], -v[15:16], v[20:21], v[22:23]
	v_div_fmas_f64 v[15:16], v[15:16], v[18:19], v[20:21]
	v_div_fixup_f64 v[13:14], v[15:16], v[13:14], 1.0
.LBB125_1055:
	s_or_b64 exec, exec, s[12:13]
	s_and_b64 s[10:11], s[10:11], exec
                                        ; implicit-def: $vgpr15_vgpr16
	s_andn2_saveexec_b64 s[8:9], s[8:9]
	s_cbranch_execz .LBB125_14
.LBB125_1056:
	v_lshlrev_b64 v[13:14], 3, v[15:16]
	v_mov_b32_e32 v1, s90
	v_add_co_u32_e32 v13, vcc, s37, v13
	v_addc_co_u32_e32 v14, vcc, v1, v14, vcc
	flat_load_dwordx2 v[13:14], v[13:14]
	s_or_b64 s[10:11], s[10:11], exec
	s_waitcnt vmcnt(0) lgkmcnt(0)
	v_xor_b32_e32 v14, 0x80000000, v14
	s_or_b64 exec, exec, s[8:9]
	s_and_saveexec_b64 s[8:9], s[10:11]
	s_cbranch_execnz .LBB125_15
	s_branch .LBB125_16
.LBB125_1057:
	v_cmp_ne_u32_e32 vcc, v0, v1
	s_and_saveexec_b64 s[10:11], vcc
	s_xor_b64 s[10:11], exec, s[10:11]
; %bb.1058:
	v_or_b32_e32 v13, v1, v0
	v_cmp_gt_u32_e32 vcc, 64, v13
	s_and_b64 s[8:9], vcc, exec
                                        ; implicit-def: $vgpr15_vgpr16
; %bb.1059:
	s_or_saveexec_b64 s[10:11], s[10:11]
	v_mov_b32_e32 v13, 0
	v_mov_b32_e32 v14, 0
	s_xor_b64 exec, exec, s[10:11]
	s_cbranch_execz .LBB125_1061
; %bb.1060:
	v_lshlrev_b64 v[13:14], 3, v[15:16]
	v_mov_b32_e32 v15, s90
	v_add_co_u32_e32 v13, vcc, s37, v13
	v_addc_co_u32_e32 v14, vcc, v15, v14, vcc
	flat_load_dwordx2 v[13:14], v[13:14]
	s_or_b64 s[8:9], s[8:9], exec
	s_waitcnt vmcnt(0) lgkmcnt(0)
	v_div_scale_f64 v[15:16], s[12:13], v[13:14], v[13:14], 1.0
	v_div_scale_f64 v[22:23], vcc, 1.0, v[13:14], 1.0
	v_rcp_f64_e32 v[18:19], v[15:16]
	v_fma_f64 v[20:21], -v[15:16], v[18:19], 1.0
	v_fma_f64 v[18:19], v[18:19], v[20:21], v[18:19]
	v_fma_f64 v[20:21], -v[15:16], v[18:19], 1.0
	v_fma_f64 v[18:19], v[18:19], v[20:21], v[18:19]
	v_mul_f64 v[20:21], v[22:23], v[18:19]
	v_fma_f64 v[15:16], -v[15:16], v[20:21], v[22:23]
	v_div_fmas_f64 v[15:16], v[15:16], v[18:19], v[20:21]
	v_div_fixup_f64 v[13:14], v[15:16], v[13:14], 1.0
.LBB125_1061:
	s_or_b64 exec, exec, s[10:11]
	s_and_b64 s[8:9], s[8:9], exec
                                        ; implicit-def: $vgpr15_vgpr16
	s_andn2_saveexec_b64 s[2:3], s[2:3]
	s_cbranch_execz .LBB125_18
.LBB125_1062:
	v_lshlrev_b64 v[13:14], 3, v[15:16]
	v_mov_b32_e32 v15, s90
	v_add_co_u32_e32 v13, vcc, s37, v13
	v_addc_co_u32_e32 v14, vcc, v15, v14, vcc
	flat_load_dwordx2 v[13:14], v[13:14]
	s_or_b64 s[8:9], s[8:9], exec
	s_waitcnt vmcnt(0) lgkmcnt(0)
	v_xor_b32_e32 v14, 0x80000000, v14
	s_or_b64 exec, exec, s[2:3]
	s_and_saveexec_b64 s[2:3], s[8:9]
	s_cbranch_execnz .LBB125_19
	s_branch .LBB125_20
.LBB125_1063:
	v_cmp_ne_u32_e32 vcc, v0, v1
	s_and_saveexec_b64 s[10:11], vcc
	s_xor_b64 s[10:11], exec, s[10:11]
; %bb.1064:
	v_or_b32_e32 v13, v1, v0
	v_cmp_gt_u32_e32 vcc, 64, v13
	s_and_b64 s[8:9], vcc, exec
                                        ; implicit-def: $vgpr15_vgpr16
; %bb.1065:
	s_or_saveexec_b64 s[10:11], s[10:11]
	v_mov_b32_e32 v13, 0
	v_mov_b32_e32 v14, 0
	s_xor_b64 exec, exec, s[10:11]
	s_cbranch_execz .LBB125_1067
; %bb.1066:
	v_lshlrev_b64 v[13:14], 3, v[15:16]
	v_mov_b32_e32 v15, s90
	v_add_co_u32_e32 v13, vcc, s37, v13
	v_addc_co_u32_e32 v14, vcc, v15, v14, vcc
	flat_load_dwordx2 v[13:14], v[13:14]
	s_or_b64 s[8:9], s[8:9], exec
	s_waitcnt vmcnt(0) lgkmcnt(0)
	v_div_scale_f64 v[15:16], s[12:13], v[13:14], v[13:14], 1.0
	v_div_scale_f64 v[22:23], vcc, 1.0, v[13:14], 1.0
	v_rcp_f64_e32 v[18:19], v[15:16]
	v_fma_f64 v[20:21], -v[15:16], v[18:19], 1.0
	v_fma_f64 v[18:19], v[18:19], v[20:21], v[18:19]
	v_fma_f64 v[20:21], -v[15:16], v[18:19], 1.0
	v_fma_f64 v[18:19], v[18:19], v[20:21], v[18:19]
	v_mul_f64 v[20:21], v[22:23], v[18:19]
	v_fma_f64 v[15:16], -v[15:16], v[20:21], v[22:23]
	v_div_fmas_f64 v[15:16], v[15:16], v[18:19], v[20:21]
	v_div_fixup_f64 v[13:14], v[15:16], v[13:14], 1.0
.LBB125_1067:
	s_or_b64 exec, exec, s[10:11]
	s_and_b64 s[8:9], s[8:9], exec
                                        ; implicit-def: $vgpr15_vgpr16
	s_andn2_saveexec_b64 s[2:3], s[2:3]
	s_cbranch_execz .LBB125_22
.LBB125_1068:
	v_lshlrev_b64 v[13:14], 3, v[15:16]
	v_mov_b32_e32 v15, s90
	v_add_co_u32_e32 v13, vcc, s37, v13
	v_addc_co_u32_e32 v14, vcc, v15, v14, vcc
	flat_load_dwordx2 v[13:14], v[13:14]
	s_or_b64 s[8:9], s[8:9], exec
	s_waitcnt vmcnt(0) lgkmcnt(0)
	v_xor_b32_e32 v14, 0x80000000, v14
	s_or_b64 exec, exec, s[2:3]
	s_and_saveexec_b64 s[2:3], s[8:9]
	s_cbranch_execnz .LBB125_23
	s_branch .LBB125_24
.LBB125_1069:
	v_cmp_ne_u32_e32 vcc, v0, v2
	s_xor_b64 s[12:13], s[2:3], -1
	s_or_b64 s[14:15], s[12:13], vcc
	s_mov_b64 s[12:13], 0
	s_and_saveexec_b64 s[16:17], s[14:15]
	s_xor_b64 s[14:15], exec, s[16:17]
; %bb.1070:
	v_or_b32_e32 v1, v2, v0
	v_cmp_gt_u32_e32 vcc, 64, v1
	s_and_b64 s[12:13], vcc, exec
                                        ; implicit-def: $vgpr13_vgpr14
; %bb.1071:
	s_or_saveexec_b64 s[14:15], s[14:15]
	v_mov_b32_e32 v15, 0
	v_mov_b32_e32 v16, 0
	s_xor_b64 exec, exec, s[14:15]
	s_cbranch_execz .LBB125_1073
; %bb.1072:
	v_lshlrev_b64 v[13:14], 3, v[13:14]
	v_mov_b32_e32 v1, s90
	v_add_co_u32_e32 v13, vcc, s37, v13
	v_addc_co_u32_e32 v14, vcc, v1, v14, vcc
	flat_load_dwordx2 v[13:14], v[13:14]
	s_or_b64 s[12:13], s[12:13], exec
	s_waitcnt vmcnt(0) lgkmcnt(0)
	v_div_scale_f64 v[15:16], s[16:17], v[13:14], v[13:14], 1.0
	v_div_scale_f64 v[22:23], vcc, 1.0, v[13:14], 1.0
	v_rcp_f64_e32 v[18:19], v[15:16]
	v_fma_f64 v[20:21], -v[15:16], v[18:19], 1.0
	v_fma_f64 v[18:19], v[18:19], v[20:21], v[18:19]
	v_fma_f64 v[20:21], -v[15:16], v[18:19], 1.0
	v_fma_f64 v[18:19], v[18:19], v[20:21], v[18:19]
	v_mul_f64 v[20:21], v[22:23], v[18:19]
	v_fma_f64 v[15:16], -v[15:16], v[20:21], v[22:23]
	v_div_fmas_f64 v[15:16], v[15:16], v[18:19], v[20:21]
	v_div_fixup_f64 v[15:16], v[15:16], v[13:14], 1.0
.LBB125_1073:
	s_or_b64 exec, exec, s[14:15]
	s_and_b64 s[12:13], s[12:13], exec
                                        ; implicit-def: $vgpr13_vgpr14
	s_andn2_saveexec_b64 s[8:9], s[8:9]
	s_cbranch_execz .LBB125_36
.LBB125_1074:
	v_lshlrev_b64 v[13:14], 3, v[13:14]
	v_mov_b32_e32 v1, s90
	v_add_co_u32_e32 v13, vcc, s37, v13
	v_addc_co_u32_e32 v14, vcc, v1, v14, vcc
	flat_load_dwordx2 v[15:16], v[13:14]
	s_or_b64 s[12:13], s[12:13], exec
	s_waitcnt vmcnt(0) lgkmcnt(0)
	v_xor_b32_e32 v16, 0x80000000, v16
	s_or_b64 exec, exec, s[8:9]
	s_and_saveexec_b64 s[8:9], s[12:13]
	s_cbranch_execnz .LBB125_37
	s_branch .LBB125_38
.LBB125_1075:
	v_cmp_ne_u32_e32 vcc, v0, v1
	s_xor_b64 s[12:13], s[2:3], -1
	s_or_b64 s[14:15], s[12:13], vcc
	s_mov_b64 s[12:13], 0
	s_and_saveexec_b64 s[16:17], s[14:15]
	s_xor_b64 s[14:15], exec, s[16:17]
; %bb.1076:
	v_or_b32_e32 v13, v1, v0
	v_cmp_gt_u32_e32 vcc, 64, v13
	s_and_b64 s[12:13], vcc, exec
                                        ; implicit-def: $vgpr13_vgpr14
; %bb.1077:
	s_or_saveexec_b64 s[14:15], s[14:15]
	v_mov_b32_e32 v15, 0
	v_mov_b32_e32 v16, 0
	s_xor_b64 exec, exec, s[14:15]
	s_cbranch_execz .LBB125_1079
; %bb.1078:
	v_lshlrev_b64 v[13:14], 3, v[13:14]
	v_mov_b32_e32 v15, s90
	v_add_co_u32_e32 v13, vcc, s37, v13
	v_addc_co_u32_e32 v14, vcc, v15, v14, vcc
	flat_load_dwordx2 v[13:14], v[13:14]
	s_or_b64 s[12:13], s[12:13], exec
	s_waitcnt vmcnt(0) lgkmcnt(0)
	v_div_scale_f64 v[15:16], s[16:17], v[13:14], v[13:14], 1.0
	v_div_scale_f64 v[22:23], vcc, 1.0, v[13:14], 1.0
	v_rcp_f64_e32 v[18:19], v[15:16]
	v_fma_f64 v[20:21], -v[15:16], v[18:19], 1.0
	v_fma_f64 v[18:19], v[18:19], v[20:21], v[18:19]
	v_fma_f64 v[20:21], -v[15:16], v[18:19], 1.0
	v_fma_f64 v[18:19], v[18:19], v[20:21], v[18:19]
	v_mul_f64 v[20:21], v[22:23], v[18:19]
	v_fma_f64 v[15:16], -v[15:16], v[20:21], v[22:23]
	v_div_fmas_f64 v[15:16], v[15:16], v[18:19], v[20:21]
	v_div_fixup_f64 v[15:16], v[15:16], v[13:14], 1.0
.LBB125_1079:
	s_or_b64 exec, exec, s[14:15]
	s_and_b64 s[12:13], s[12:13], exec
                                        ; implicit-def: $vgpr13_vgpr14
	s_andn2_saveexec_b64 s[8:9], s[8:9]
	s_cbranch_execz .LBB125_40
.LBB125_1080:
	v_lshlrev_b64 v[13:14], 3, v[13:14]
	v_mov_b32_e32 v15, s90
	v_add_co_u32_e32 v13, vcc, s37, v13
	v_addc_co_u32_e32 v14, vcc, v15, v14, vcc
	flat_load_dwordx2 v[15:16], v[13:14]
	s_or_b64 s[12:13], s[12:13], exec
	s_waitcnt vmcnt(0) lgkmcnt(0)
	v_xor_b32_e32 v16, 0x80000000, v16
	s_or_b64 exec, exec, s[8:9]
	s_and_saveexec_b64 s[8:9], s[12:13]
	s_cbranch_execnz .LBB125_41
	s_branch .LBB125_42
.LBB125_1081:
	v_cmp_ne_u32_e32 vcc, v0, v1
	s_xor_b64 s[12:13], s[2:3], -1
	s_or_b64 s[14:15], s[12:13], vcc
	s_mov_b64 s[12:13], 0
	s_and_saveexec_b64 s[16:17], s[14:15]
	s_xor_b64 s[14:15], exec, s[16:17]
; %bb.1082:
	v_or_b32_e32 v13, v1, v0
	v_cmp_gt_u32_e32 vcc, 64, v13
	s_and_b64 s[12:13], vcc, exec
                                        ; implicit-def: $vgpr13_vgpr14
; %bb.1083:
	s_or_saveexec_b64 s[14:15], s[14:15]
	v_mov_b32_e32 v15, 0
	v_mov_b32_e32 v16, 0
	s_xor_b64 exec, exec, s[14:15]
	s_cbranch_execz .LBB125_1085
; %bb.1084:
	v_lshlrev_b64 v[13:14], 3, v[13:14]
	v_mov_b32_e32 v15, s90
	v_add_co_u32_e32 v13, vcc, s37, v13
	v_addc_co_u32_e32 v14, vcc, v15, v14, vcc
	flat_load_dwordx2 v[13:14], v[13:14]
	s_or_b64 s[12:13], s[12:13], exec
	s_waitcnt vmcnt(0) lgkmcnt(0)
	v_div_scale_f64 v[15:16], s[16:17], v[13:14], v[13:14], 1.0
	v_div_scale_f64 v[22:23], vcc, 1.0, v[13:14], 1.0
	v_rcp_f64_e32 v[18:19], v[15:16]
	v_fma_f64 v[20:21], -v[15:16], v[18:19], 1.0
	v_fma_f64 v[18:19], v[18:19], v[20:21], v[18:19]
	v_fma_f64 v[20:21], -v[15:16], v[18:19], 1.0
	v_fma_f64 v[18:19], v[18:19], v[20:21], v[18:19]
	v_mul_f64 v[20:21], v[22:23], v[18:19]
	v_fma_f64 v[15:16], -v[15:16], v[20:21], v[22:23]
	v_div_fmas_f64 v[15:16], v[15:16], v[18:19], v[20:21]
	v_div_fixup_f64 v[15:16], v[15:16], v[13:14], 1.0
.LBB125_1085:
	s_or_b64 exec, exec, s[14:15]
	s_and_b64 s[12:13], s[12:13], exec
                                        ; implicit-def: $vgpr13_vgpr14
	s_andn2_saveexec_b64 s[8:9], s[8:9]
	s_cbranch_execz .LBB125_44
.LBB125_1086:
	v_lshlrev_b64 v[13:14], 3, v[13:14]
	v_mov_b32_e32 v15, s90
	v_add_co_u32_e32 v13, vcc, s37, v13
	v_addc_co_u32_e32 v14, vcc, v15, v14, vcc
	flat_load_dwordx2 v[15:16], v[13:14]
	s_or_b64 s[12:13], s[12:13], exec
	s_waitcnt vmcnt(0) lgkmcnt(0)
	v_xor_b32_e32 v16, 0x80000000, v16
	s_or_b64 exec, exec, s[8:9]
	s_and_saveexec_b64 s[8:9], s[12:13]
	s_cbranch_execnz .LBB125_45
	s_branch .LBB125_46
.LBB125_1087:
	s_or_b64 exec, exec, s[10:11]
	s_and_b64 vcc, exec, s[8:9]
	s_cbranch_vccnz .LBB125_1031
.LBB125_1088:
	v_mov_b32_e32 v12, v6
	v_mov_b32_e32 v11, v5
	s_and_saveexec_b64 s[2:3], s[6:7]
	s_cbranch_execnz .LBB125_1094
	s_branch .LBB125_1095
.LBB125_1089:
	s_mov_b64 s[4:5], 0
.LBB125_1090:
	v_cmp_gt_i32_e32 vcc, s36, v0
	s_and_b64 s[2:3], s[2:3], vcc
	s_andn2_b64 s[4:5], s[4:5], exec
	s_and_b64 s[2:3], s[2:3], exec
	s_or_b64 s[4:5], s[4:5], s[2:3]
.LBB125_1091:
                                        ; implicit-def: $vgpr1_vgpr2
	s_and_saveexec_b64 s[2:3], s[4:5]
	s_cbranch_execz .LBB125_1093
; %bb.1092:
	v_mov_b32_e32 v0, s46
	v_add_co_u32_e32 v1, vcc, s33, v19
	v_addc_co_u32_e32 v0, vcc, 0, v0, vcc
	v_mul_lo_u32 v0, v0, s26
	v_mul_lo_u32 v3, v1, s27
	v_mad_u64_u32 v[1:2], s[4:5], v1, s26, 0
	s_or_b64 s[6:7], s[6:7], exec
	v_add3_u32 v2, v2, v3, v0
.LBB125_1093:
	s_or_b64 exec, exec, s[2:3]
	s_and_saveexec_b64 s[2:3], s[6:7]
	s_cbranch_execz .LBB125_1095
.LBB125_1094:
	v_lshlrev_b64 v[0:1], 3, v[1:2]
	v_mov_b32_e32 v2, s21
	v_add_co_u32_e32 v0, vcc, s20, v0
	v_addc_co_u32_e32 v1, vcc, v2, v1, vcc
	flat_store_dwordx2 v[0:1], v[11:12]
.LBB125_1095:
	s_or_b64 exec, exec, s[2:3]
	v_cmp_eq_u32_e32 vcc, 0, v19
	s_waitcnt vmcnt(0) lgkmcnt(0)
	buffer_wbinvl1_vol
	s_barrier
	s_and_saveexec_b64 s[2:3], vcc
	s_cbranch_execz .LBB125_1097
; %bb.1096:
	s_lshl_b64 s[4:5], s[28:29], 2
	s_add_u32 s0, s0, s4
	s_addc_u32 s1, s1, s5
	v_mov_b32_e32 v0, 0
	global_load_dword v1, v0, s[0:1]
	s_waitcnt vmcnt(0)
	v_add_u32_e32 v1, 1, v1
	global_store_dword v0, v1, s[0:1]
.LBB125_1097:
	s_or_b64 exec, exec, s[2:3]
	s_waitcnt vmcnt(0)
	buffer_wbinvl1_vol
	s_endpgm
.LBB125_1098:
	ds_read_b64 v[21:22], v20 offset:31680
	ds_read_b64 v[23:24], v19 offset:31208
	s_waitcnt lgkmcnt(0)
	v_fma_f64 v[11:12], v[21:22], v[23:24], v[11:12]
	s_or_b64 exec, exec, s[14:15]
	v_cmp_gt_u32_e64 s[10:11], 8, v15
	s_and_saveexec_b64 s[14:15], s[10:11]
	s_cbranch_execz .LBB125_79
.LBB125_1099:
	ds_read_b64 v[20:21], v20 offset:32192
	ds_read_b64 v[22:23], v19 offset:31216
	s_waitcnt lgkmcnt(0)
	v_fma_f64 v[11:12], v[20:21], v[22:23], v[11:12]
	s_or_b64 exec, exec, s[14:15]
	v_cmp_gt_u32_e64 s[10:11], 4, v15
	s_and_saveexec_b64 s[14:15], s[10:11]
	s_cbranch_execnz .LBB125_80
	s_branch .LBB125_81
.LBB125_1100:
	ds_read_b64 v[24:25], v23 offset:29568
	ds_read_b64 v[26:27], v22 offset:29128
	s_waitcnt lgkmcnt(0)
	v_fma_f64 v[11:12], v[24:25], v[26:27], v[11:12]
	s_or_b64 exec, exec, s[16:17]
	v_cmp_gt_u32_e64 s[14:15], 48, v15
	s_and_saveexec_b64 s[16:17], s[14:15]
	s_cbranch_execz .LBB125_121
.LBB125_1101:
	ds_read_b64 v[24:25], v23 offset:30080
	ds_read_b64 v[26:27], v22 offset:29136
	s_waitcnt lgkmcnt(0)
	v_fma_f64 v[11:12], v[24:25], v[26:27], v[11:12]
	s_or_b64 exec, exec, s[16:17]
	v_cmp_gt_u32_e64 s[14:15], 40, v15
	s_and_saveexec_b64 s[16:17], s[14:15]
	s_cbranch_execz .LBB125_122
.LBB125_1102:
	ds_read_b64 v[24:25], v23 offset:30592
	ds_read_b64 v[26:27], v22 offset:29144
	s_waitcnt lgkmcnt(0)
	v_fma_f64 v[11:12], v[24:25], v[26:27], v[11:12]
	s_or_b64 exec, exec, s[16:17]
	v_cmp_gt_u32_e64 s[14:15], 32, v15
	s_and_saveexec_b64 s[16:17], s[14:15]
	s_cbranch_execz .LBB125_123
.LBB125_1103:
	ds_read_b64 v[24:25], v23 offset:31104
	ds_read_b64 v[26:27], v22 offset:29152
	s_waitcnt lgkmcnt(0)
	v_fma_f64 v[11:12], v[24:25], v[26:27], v[11:12]
	s_or_b64 exec, exec, s[16:17]
	v_cmp_gt_u32_e64 s[14:15], 24, v15
	s_and_saveexec_b64 s[16:17], s[14:15]
	s_cbranch_execz .LBB125_124
.LBB125_1104:
	ds_read_b64 v[24:25], v23 offset:31616
	ds_read_b64 v[26:27], v22 offset:29160
	s_waitcnt lgkmcnt(0)
	v_fma_f64 v[11:12], v[24:25], v[26:27], v[11:12]
	s_or_b64 exec, exec, s[16:17]
	s_and_saveexec_b64 s[14:15], s[18:19]
	s_cbranch_execz .LBB125_125
.LBB125_1105:
	ds_read_b64 v[23:24], v23 offset:32128
	ds_read_b64 v[25:26], v22 offset:29168
	s_waitcnt lgkmcnt(0)
	v_fma_f64 v[11:12], v[23:24], v[25:26], v[11:12]
	s_or_b64 exec, exec, s[14:15]
	v_cmp_gt_u32_e64 s[14:15], 8, v15
	s_and_saveexec_b64 s[16:17], s[14:15]
	s_cbranch_execnz .LBB125_126
	s_branch .LBB125_127
.LBB125_1106:
	ds_read_b64 v[24:25], v23 offset:27520
	ds_read_b64 v[26:27], v22 offset:27048
	s_waitcnt lgkmcnt(0)
	v_fma_f64 v[11:12], v[24:25], v[26:27], v[11:12]
	s_or_b64 exec, exec, s[14:15]
	v_cmp_gt_u32_e64 s[10:11], 8, v15
	s_and_saveexec_b64 s[14:15], s[10:11]
	s_cbranch_execz .LBB125_183
.LBB125_1107:
	ds_read_b64 v[23:24], v23 offset:28032
	ds_read_b64 v[25:26], v22 offset:27056
	s_waitcnt lgkmcnt(0)
	v_fma_f64 v[11:12], v[23:24], v[25:26], v[11:12]
	s_or_b64 exec, exec, s[14:15]
	v_cmp_gt_u32_e64 s[10:11], 4, v15
	s_and_saveexec_b64 s[14:15], s[10:11]
	s_cbranch_execnz .LBB125_184
	s_branch .LBB125_185
.LBB125_1108:
	ds_read_b64 v[27:28], v26 offset:30464
	ds_read_b64 v[29:30], v25 offset:25048
	s_waitcnt lgkmcnt(0)
	v_fma_f64 v[11:12], v[27:28], v[29:30], v[11:12]
	s_or_b64 exec, exec, s[20:21]
	s_and_saveexec_b64 s[16:17], s[8:9]
	s_cbranch_execz .LBB125_245
.LBB125_1109:
	ds_read_b64 v[27:28], v26 offset:30976
	ds_read_b64 v[29:30], v25 offset:25056
	s_waitcnt lgkmcnt(0)
	v_fma_f64 v[11:12], v[27:28], v[29:30], v[11:12]
	s_or_b64 exec, exec, s[16:17]
	v_cmp_gt_u32_e64 s[16:17], 48, v15
	s_and_saveexec_b64 s[20:21], s[16:17]
	s_cbranch_execz .LBB125_246
.LBB125_1110:
	ds_read_b64 v[27:28], v26 offset:31488
	ds_read_b64 v[29:30], v25 offset:25064
	s_waitcnt lgkmcnt(0)
	v_fma_f64 v[11:12], v[27:28], v[29:30], v[11:12]
	s_or_b64 exec, exec, s[20:21]
	v_cmp_gt_u32_e64 s[16:17], 32, v15
	s_and_saveexec_b64 s[20:21], s[16:17]
	s_cbranch_execz .LBB125_247
.LBB125_1111:
	ds_read_b64 v[26:27], v26 offset:32000
	ds_read_b64 v[28:29], v25 offset:25072
	s_waitcnt lgkmcnt(0)
	v_fma_f64 v[11:12], v[26:27], v[28:29], v[11:12]
	s_or_b64 exec, exec, s[20:21]
	v_cmp_gt_u32_e64 s[16:17], 16, v15
	s_and_saveexec_b64 s[20:21], s[16:17]
	s_cbranch_execnz .LBB125_248
	s_branch .LBB125_249
.LBB125_1112:
	ds_read_b64 v[27:28], v26 offset:23360
	ds_read_b64 v[29:30], v25 offset:22888
	s_waitcnt lgkmcnt(0)
	v_fma_f64 v[11:12], v[27:28], v[29:30], v[11:12]
	s_or_b64 exec, exec, s[0:1]
	v_cmp_gt_u32_e64 s[14:15], 8, v15
	s_and_saveexec_b64 s[0:1], s[14:15]
	s_cbranch_execz .LBB125_337
.LBB125_1113:
	ds_read_b64 v[26:27], v26 offset:23872
	ds_read_b64 v[28:29], v25 offset:22896
	s_waitcnt lgkmcnt(0)
	v_fma_f64 v[11:12], v[26:27], v[28:29], v[11:12]
	s_or_b64 exec, exec, s[0:1]
	v_cmp_gt_u32_e64 s[14:15], 4, v15
	s_and_saveexec_b64 s[20:21], s[14:15]
	s_cbranch_execnz .LBB125_338
	s_branch .LBB125_339
.LBB125_1114:
	ds_read_b64 v[27:28], v26 offset:21248
	ds_read_b64 v[29:30], v25 offset:20808
	s_waitcnt lgkmcnt(0)
	v_fma_f64 v[11:12], v[27:28], v[29:30], v[11:12]
	s_or_b64 exec, exec, s[0:1]
	v_cmp_gt_u32_e64 s[14:15], 48, v15
	s_and_saveexec_b64 s[0:1], s[14:15]
	s_cbranch_execz .LBB125_379
.LBB125_1115:
	ds_read_b64 v[27:28], v26 offset:21760
	ds_read_b64 v[29:30], v25 offset:20816
	s_waitcnt lgkmcnt(0)
	v_fma_f64 v[11:12], v[27:28], v[29:30], v[11:12]
	s_or_b64 exec, exec, s[0:1]
	v_cmp_gt_u32_e64 s[14:15], 40, v15
	s_and_saveexec_b64 s[0:1], s[14:15]
	s_cbranch_execz .LBB125_380
.LBB125_1116:
	ds_read_b64 v[27:28], v26 offset:22272
	ds_read_b64 v[29:30], v25 offset:20824
	s_waitcnt lgkmcnt(0)
	v_fma_f64 v[11:12], v[27:28], v[29:30], v[11:12]
	s_or_b64 exec, exec, s[0:1]
	v_cmp_gt_u32_e64 s[14:15], 32, v15
	s_and_saveexec_b64 s[0:1], s[14:15]
	s_cbranch_execz .LBB125_381
.LBB125_1117:
	ds_read_b64 v[27:28], v26 offset:22784
	ds_read_b64 v[29:30], v25 offset:20832
	s_waitcnt lgkmcnt(0)
	v_fma_f64 v[11:12], v[27:28], v[29:30], v[11:12]
	s_or_b64 exec, exec, s[0:1]
	v_cmp_gt_u32_e64 s[14:15], 24, v15
	s_and_saveexec_b64 s[0:1], s[14:15]
	s_cbranch_execz .LBB125_382
.LBB125_1118:
	ds_read_b64 v[27:28], v26 offset:23296
	ds_read_b64 v[29:30], v25 offset:20840
	s_waitcnt lgkmcnt(0)
	v_fma_f64 v[11:12], v[27:28], v[29:30], v[11:12]
	s_or_b64 exec, exec, s[0:1]
	s_and_saveexec_b64 s[0:1], s[18:19]
	s_cbranch_execz .LBB125_383
.LBB125_1119:
	ds_read_b64 v[26:27], v26 offset:23808
	ds_read_b64 v[28:29], v25 offset:20848
	s_waitcnt lgkmcnt(0)
	v_fma_f64 v[11:12], v[26:27], v[28:29], v[11:12]
	s_or_b64 exec, exec, s[0:1]
	v_cmp_gt_u32_e64 s[14:15], 8, v15
	s_and_saveexec_b64 s[20:21], s[14:15]
	s_cbranch_execnz .LBB125_384
	s_branch .LBB125_385
.LBB125_1120:
	ds_read_b64 v[27:28], v26 offset:19200
	ds_read_b64 v[29:30], v25 offset:18728
	s_waitcnt lgkmcnt(0)
	v_fma_f64 v[11:12], v[27:28], v[29:30], v[11:12]
	s_or_b64 exec, exec, s[0:1]
	v_cmp_gt_u32_e64 s[14:15], 8, v15
	s_and_saveexec_b64 s[0:1], s[14:15]
	s_cbranch_execz .LBB125_441
.LBB125_1121:
	ds_read_b64 v[26:27], v26 offset:19712
	ds_read_b64 v[28:29], v25 offset:18736
	s_waitcnt lgkmcnt(0)
	v_fma_f64 v[11:12], v[26:27], v[28:29], v[11:12]
	s_or_b64 exec, exec, s[0:1]
	v_cmp_gt_u32_e64 s[14:15], 4, v15
	s_and_saveexec_b64 s[20:21], s[14:15]
	s_cbranch_execnz .LBB125_442
	s_branch .LBB125_443
.LBB125_1122:
	ds_read_b64 v[30:31], v29 offset:31232
	ds_read_b64 v[32:33], v28 offset:16872
	s_waitcnt lgkmcnt(0)
	v_fma_f64 v[11:12], v[30:31], v[32:33], v[11:12]
	s_or_b64 exec, exec, s[0:1]
	s_and_saveexec_b64 s[0:1], s[8:9]
	s_cbranch_execz .LBB125_539
.LBB125_1123:
	ds_read_b64 v[29:30], v29 offset:31744
	ds_read_b64 v[31:32], v28 offset:16880
	s_waitcnt lgkmcnt(0)
	v_fma_f64 v[11:12], v[29:30], v[31:32], v[11:12]
	s_or_b64 exec, exec, s[0:1]
	v_cmp_gt_u32_e64 s[20:21], 32, v15
	s_and_saveexec_b64 s[0:1], s[20:21]
	s_cbranch_execnz .LBB125_540
	s_branch .LBB125_541
.LBB125_1124:
	ds_read_b64 v[27:28], v26 offset:15040
	ds_read_b64 v[29:30], v25 offset:14568
	s_waitcnt lgkmcnt(0)
	v_fma_f64 v[11:12], v[27:28], v[29:30], v[11:12]
	s_or_b64 exec, exec, s[0:1]
	v_cmp_gt_u32_e64 s[12:13], 8, v15
	s_and_saveexec_b64 s[0:1], s[12:13]
	s_cbranch_execz .LBB125_585
.LBB125_1125:
	ds_read_b64 v[26:27], v26 offset:15552
	ds_read_b64 v[28:29], v25 offset:14576
	s_waitcnt lgkmcnt(0)
	v_fma_f64 v[11:12], v[26:27], v[28:29], v[11:12]
	s_or_b64 exec, exec, s[0:1]
	v_cmp_gt_u32_e64 s[12:13], 4, v15
	s_and_saveexec_b64 s[0:1], s[12:13]
	s_cbranch_execnz .LBB125_586
	s_branch .LBB125_587
.LBB125_1126:
	ds_read_b64 v[27:28], v26 offset:12928
	ds_read_b64 v[29:30], v25 offset:12488
	s_waitcnt lgkmcnt(0)
	v_fma_f64 v[11:12], v[27:28], v[29:30], v[11:12]
	s_or_b64 exec, exec, s[0:1]
	v_cmp_gt_u32_e64 s[12:13], 48, v15
	s_and_saveexec_b64 s[0:1], s[12:13]
	s_cbranch_execz .LBB125_627
.LBB125_1127:
	ds_read_b64 v[27:28], v26 offset:13440
	ds_read_b64 v[29:30], v25 offset:12496
	s_waitcnt lgkmcnt(0)
	v_fma_f64 v[11:12], v[27:28], v[29:30], v[11:12]
	s_or_b64 exec, exec, s[0:1]
	v_cmp_gt_u32_e64 s[12:13], 40, v15
	s_and_saveexec_b64 s[0:1], s[12:13]
	s_cbranch_execz .LBB125_628
.LBB125_1128:
	ds_read_b64 v[27:28], v26 offset:13952
	ds_read_b64 v[29:30], v25 offset:12504
	s_waitcnt lgkmcnt(0)
	v_fma_f64 v[11:12], v[27:28], v[29:30], v[11:12]
	s_or_b64 exec, exec, s[0:1]
	v_cmp_gt_u32_e64 s[12:13], 32, v15
	s_and_saveexec_b64 s[0:1], s[12:13]
	s_cbranch_execz .LBB125_629
.LBB125_1129:
	ds_read_b64 v[27:28], v26 offset:14464
	ds_read_b64 v[29:30], v25 offset:12512
	s_waitcnt lgkmcnt(0)
	v_fma_f64 v[11:12], v[27:28], v[29:30], v[11:12]
	s_or_b64 exec, exec, s[0:1]
	v_cmp_gt_u32_e64 s[12:13], 24, v15
	s_and_saveexec_b64 s[0:1], s[12:13]
	s_cbranch_execz .LBB125_630
.LBB125_1130:
	ds_read_b64 v[27:28], v26 offset:14976
	ds_read_b64 v[29:30], v25 offset:12520
	s_waitcnt lgkmcnt(0)
	v_fma_f64 v[11:12], v[27:28], v[29:30], v[11:12]
	s_or_b64 exec, exec, s[0:1]
	s_and_saveexec_b64 s[0:1], s[18:19]
	s_cbranch_execz .LBB125_631
.LBB125_1131:
	ds_read_b64 v[26:27], v26 offset:15488
	ds_read_b64 v[28:29], v25 offset:12528
	s_waitcnt lgkmcnt(0)
	v_fma_f64 v[11:12], v[26:27], v[28:29], v[11:12]
	s_or_b64 exec, exec, s[0:1]
	v_cmp_gt_u32_e64 s[12:13], 8, v15
	s_and_saveexec_b64 s[0:1], s[12:13]
	s_cbranch_execnz .LBB125_632
	s_branch .LBB125_633
.LBB125_1132:
	ds_read_b64 v[27:28], v26 offset:10880
	ds_read_b64 v[29:30], v25 offset:10408
	s_waitcnt lgkmcnt(0)
	v_fma_f64 v[11:12], v[27:28], v[29:30], v[11:12]
	s_or_b64 exec, exec, s[0:1]
	v_cmp_gt_u32_e64 s[12:13], 8, v15
	s_and_saveexec_b64 s[0:1], s[12:13]
	s_cbranch_execz .LBB125_689
.LBB125_1133:
	ds_read_b64 v[26:27], v26 offset:11392
	ds_read_b64 v[28:29], v25 offset:10416
	s_waitcnt lgkmcnt(0)
	v_fma_f64 v[11:12], v[26:27], v[28:29], v[11:12]
	s_or_b64 exec, exec, s[0:1]
	v_cmp_gt_u32_e64 s[12:13], 4, v15
	s_and_saveexec_b64 s[0:1], s[12:13]
	s_cbranch_execnz .LBB125_690
	s_branch .LBB125_691
.LBB125_1134:
	ds_read_b64 v[27:28], v26 offset:13824
	ds_read_b64 v[29:30], v25 offset:8408
	s_waitcnt lgkmcnt(0)
	v_fma_f64 v[11:12], v[27:28], v[29:30], v[11:12]
	s_or_b64 exec, exec, s[0:1]
	s_and_saveexec_b64 s[0:1], s[8:9]
	s_cbranch_execz .LBB125_751
.LBB125_1135:
	ds_read_b64 v[27:28], v26 offset:14336
	ds_read_b64 v[29:30], v25 offset:8416
	s_waitcnt lgkmcnt(0)
	v_fma_f64 v[11:12], v[27:28], v[29:30], v[11:12]
	s_or_b64 exec, exec, s[0:1]
	v_cmp_gt_u32_e64 s[12:13], 48, v15
	s_and_saveexec_b64 s[0:1], s[12:13]
	s_cbranch_execz .LBB125_752
.LBB125_1136:
	ds_read_b64 v[27:28], v26 offset:14848
	ds_read_b64 v[29:30], v25 offset:8424
	s_waitcnt lgkmcnt(0)
	v_fma_f64 v[11:12], v[27:28], v[29:30], v[11:12]
	s_or_b64 exec, exec, s[0:1]
	v_cmp_gt_u32_e64 s[12:13], 32, v15
	s_and_saveexec_b64 s[0:1], s[12:13]
	s_cbranch_execz .LBB125_753
.LBB125_1137:
	ds_read_b64 v[26:27], v26 offset:15360
	ds_read_b64 v[28:29], v25 offset:8432
	s_waitcnt lgkmcnt(0)
	v_fma_f64 v[11:12], v[26:27], v[28:29], v[11:12]
	s_or_b64 exec, exec, s[0:1]
	v_cmp_gt_u32_e64 s[12:13], 16, v15
	s_and_saveexec_b64 s[0:1], s[12:13]
	s_cbranch_execnz .LBB125_754
	s_branch .LBB125_755
.LBB125_1138:
	ds_read_b64 v[24:25], v23 offset:6720
	ds_read_b64 v[26:27], v22 offset:6248
	s_waitcnt lgkmcnt(0)
	v_fma_f64 v[11:12], v[24:25], v[26:27], v[11:12]
	s_or_b64 exec, exec, s[12:13]
	v_cmp_gt_u32_e64 s[10:11], 8, v15
	s_and_saveexec_b64 s[12:13], s[10:11]
	s_cbranch_execz .LBB125_843
.LBB125_1139:
	ds_read_b64 v[23:24], v23 offset:7232
	ds_read_b64 v[25:26], v22 offset:6256
	s_waitcnt lgkmcnt(0)
	v_fma_f64 v[11:12], v[23:24], v[25:26], v[11:12]
	s_or_b64 exec, exec, s[12:13]
	v_cmp_gt_u32_e64 s[10:11], 4, v15
	s_and_saveexec_b64 s[12:13], s[10:11]
	s_cbranch_execnz .LBB125_844
	s_branch .LBB125_845
.LBB125_1140:
	ds_read_b64 v[24:25], v23 offset:4608
	ds_read_b64 v[26:27], v22 offset:4168
	s_waitcnt lgkmcnt(0)
	v_fma_f64 v[11:12], v[24:25], v[26:27], v[11:12]
	s_or_b64 exec, exec, s[12:13]
	v_cmp_gt_u32_e64 s[10:11], 48, v15
	s_and_saveexec_b64 s[12:13], s[10:11]
	s_cbranch_execz .LBB125_885
.LBB125_1141:
	ds_read_b64 v[24:25], v23 offset:5120
	ds_read_b64 v[26:27], v22 offset:4176
	s_waitcnt lgkmcnt(0)
	v_fma_f64 v[11:12], v[24:25], v[26:27], v[11:12]
	s_or_b64 exec, exec, s[12:13]
	v_cmp_gt_u32_e64 s[10:11], 40, v15
	s_and_saveexec_b64 s[12:13], s[10:11]
	s_cbranch_execz .LBB125_886
.LBB125_1142:
	ds_read_b64 v[24:25], v23 offset:5632
	ds_read_b64 v[26:27], v22 offset:4184
	s_waitcnt lgkmcnt(0)
	v_fma_f64 v[11:12], v[24:25], v[26:27], v[11:12]
	s_or_b64 exec, exec, s[12:13]
	v_cmp_gt_u32_e64 s[10:11], 32, v15
	s_and_saveexec_b64 s[12:13], s[10:11]
	s_cbranch_execz .LBB125_887
.LBB125_1143:
	ds_read_b64 v[24:25], v23 offset:6144
	ds_read_b64 v[26:27], v22 offset:4192
	s_waitcnt lgkmcnt(0)
	v_fma_f64 v[11:12], v[24:25], v[26:27], v[11:12]
	s_or_b64 exec, exec, s[12:13]
	v_cmp_gt_u32_e64 s[10:11], 24, v15
	s_and_saveexec_b64 s[12:13], s[10:11]
	s_cbranch_execz .LBB125_888
.LBB125_1144:
	ds_read_b64 v[24:25], v23 offset:6656
	ds_read_b64 v[26:27], v22 offset:4200
	s_waitcnt lgkmcnt(0)
	v_fma_f64 v[11:12], v[24:25], v[26:27], v[11:12]
	s_or_b64 exec, exec, s[12:13]
	s_and_saveexec_b64 s[10:11], s[18:19]
	s_cbranch_execz .LBB125_889
.LBB125_1145:
	ds_read_b64 v[23:24], v23 offset:7168
	ds_read_b64 v[25:26], v22 offset:4208
	s_waitcnt lgkmcnt(0)
	v_fma_f64 v[11:12], v[23:24], v[25:26], v[11:12]
	s_or_b64 exec, exec, s[10:11]
	v_cmp_gt_u32_e64 s[10:11], 8, v15
	s_and_saveexec_b64 s[12:13], s[10:11]
	s_cbranch_execnz .LBB125_890
	s_branch .LBB125_891
.LBB125_1146:
	ds_read_b64 v[21:22], v20 offset:2560
	ds_read_b64 v[23:24], v19 offset:2088
	s_waitcnt lgkmcnt(0)
	v_fma_f64 v[11:12], v[21:22], v[23:24], v[11:12]
	s_or_b64 exec, exec, s[10:11]
	v_cmp_gt_u32_e64 s[8:9], 8, v15
	s_and_saveexec_b64 s[10:11], s[8:9]
	s_cbranch_execz .LBB125_947
.LBB125_1147:
	ds_read_b64 v[20:21], v20 offset:3072
	ds_read_b64 v[22:23], v19 offset:2096
	s_waitcnt lgkmcnt(0)
	v_fma_f64 v[11:12], v[20:21], v[22:23], v[11:12]
	s_or_b64 exec, exec, s[10:11]
	v_cmp_gt_u32_e64 s[8:9], 4, v15
	s_and_saveexec_b64 s[10:11], s[8:9]
	s_cbranch_execnz .LBB125_948
	s_branch .LBB125_949
	.section	.rodata,"a",@progbits
	.p2align	6, 0x0
	.amdhsa_kernel _ZL19rocblas_trsv_deviceILi64ELi16ELb0ELb1ELb0ELb0EdPKdPKS1_PKPdEviT7_lllT6_T8_lllPii
		.amdhsa_group_segment_fixed_size 41480
		.amdhsa_private_segment_fixed_size 0
		.amdhsa_kernarg_size 352
		.amdhsa_user_sgpr_count 6
		.amdhsa_user_sgpr_private_segment_buffer 1
		.amdhsa_user_sgpr_dispatch_ptr 0
		.amdhsa_user_sgpr_queue_ptr 0
		.amdhsa_user_sgpr_kernarg_segment_ptr 1
		.amdhsa_user_sgpr_dispatch_id 0
		.amdhsa_user_sgpr_flat_scratch_init 0
		.amdhsa_user_sgpr_private_segment_size 0
		.amdhsa_uses_dynamic_stack 0
		.amdhsa_system_sgpr_private_segment_wavefront_offset 0
		.amdhsa_system_sgpr_workgroup_id_x 1
		.amdhsa_system_sgpr_workgroup_id_y 0
		.amdhsa_system_sgpr_workgroup_id_z 1
		.amdhsa_system_sgpr_workgroup_info 0
		.amdhsa_system_vgpr_workitem_id 1
		.amdhsa_next_free_vgpr 49
		.amdhsa_next_free_sgpr 98
		.amdhsa_reserve_vcc 1
		.amdhsa_reserve_flat_scratch 0
		.amdhsa_float_round_mode_32 0
		.amdhsa_float_round_mode_16_64 0
		.amdhsa_float_denorm_mode_32 3
		.amdhsa_float_denorm_mode_16_64 3
		.amdhsa_dx10_clamp 1
		.amdhsa_ieee_mode 1
		.amdhsa_fp16_overflow 0
		.amdhsa_exception_fp_ieee_invalid_op 0
		.amdhsa_exception_fp_denorm_src 0
		.amdhsa_exception_fp_ieee_div_zero 0
		.amdhsa_exception_fp_ieee_overflow 0
		.amdhsa_exception_fp_ieee_underflow 0
		.amdhsa_exception_fp_ieee_inexact 0
		.amdhsa_exception_int_div_zero 0
	.end_amdhsa_kernel
	.section	.text._ZL19rocblas_trsv_deviceILi64ELi16ELb0ELb1ELb0ELb0EdPKdPKS1_PKPdEviT7_lllT6_T8_lllPii,"axG",@progbits,_ZL19rocblas_trsv_deviceILi64ELi16ELb0ELb1ELb0ELb0EdPKdPKS1_PKPdEviT7_lllT6_T8_lllPii,comdat
.Lfunc_end125:
	.size	_ZL19rocblas_trsv_deviceILi64ELi16ELb0ELb1ELb0ELb0EdPKdPKS1_PKPdEviT7_lllT6_T8_lllPii, .Lfunc_end125-_ZL19rocblas_trsv_deviceILi64ELi16ELb0ELb1ELb0ELb0EdPKdPKS1_PKPdEviT7_lllT6_T8_lllPii
                                        ; -- End function
	.set _ZL19rocblas_trsv_deviceILi64ELi16ELb0ELb1ELb0ELb0EdPKdPKS1_PKPdEviT7_lllT6_T8_lllPii.num_vgpr, 37
	.set _ZL19rocblas_trsv_deviceILi64ELi16ELb0ELb1ELb0ELb0EdPKdPKS1_PKPdEviT7_lllT6_T8_lllPii.num_agpr, 0
	.set _ZL19rocblas_trsv_deviceILi64ELi16ELb0ELb1ELb0ELb0EdPKdPKS1_PKPdEviT7_lllT6_T8_lllPii.numbered_sgpr, 96
	.set _ZL19rocblas_trsv_deviceILi64ELi16ELb0ELb1ELb0ELb0EdPKdPKS1_PKPdEviT7_lllT6_T8_lllPii.num_named_barrier, 0
	.set _ZL19rocblas_trsv_deviceILi64ELi16ELb0ELb1ELb0ELb0EdPKdPKS1_PKPdEviT7_lllT6_T8_lllPii.private_seg_size, 0
	.set _ZL19rocblas_trsv_deviceILi64ELi16ELb0ELb1ELb0ELb0EdPKdPKS1_PKPdEviT7_lllT6_T8_lllPii.uses_vcc, 1
	.set _ZL19rocblas_trsv_deviceILi64ELi16ELb0ELb1ELb0ELb0EdPKdPKS1_PKPdEviT7_lllT6_T8_lllPii.uses_flat_scratch, 0
	.set _ZL19rocblas_trsv_deviceILi64ELi16ELb0ELb1ELb0ELb0EdPKdPKS1_PKPdEviT7_lllT6_T8_lllPii.has_dyn_sized_stack, 0
	.set _ZL19rocblas_trsv_deviceILi64ELi16ELb0ELb1ELb0ELb0EdPKdPKS1_PKPdEviT7_lllT6_T8_lllPii.has_recursion, 0
	.set _ZL19rocblas_trsv_deviceILi64ELi16ELb0ELb1ELb0ELb0EdPKdPKS1_PKPdEviT7_lllT6_T8_lllPii.has_indirect_call, 0
	.section	.AMDGPU.csdata,"",@progbits
; Kernel info:
; codeLenInByte = 39516
; TotalNumSgprs: 100
; NumVgprs: 37
; ScratchSize: 0
; MemoryBound: 0
; FloatMode: 240
; IeeeMode: 1
; LDSByteSize: 41480 bytes/workgroup (compile time only)
; SGPRBlocks: 12
; VGPRBlocks: 12
; NumSGPRsForWavesPerEU: 102
; NumVGPRsForWavesPerEU: 49
; Occupancy: 4
; WaveLimiterHint : 1
; COMPUTE_PGM_RSRC2:SCRATCH_EN: 0
; COMPUTE_PGM_RSRC2:USER_SGPR: 6
; COMPUTE_PGM_RSRC2:TRAP_HANDLER: 0
; COMPUTE_PGM_RSRC2:TGID_X_EN: 1
; COMPUTE_PGM_RSRC2:TGID_Y_EN: 0
; COMPUTE_PGM_RSRC2:TGID_Z_EN: 1
; COMPUTE_PGM_RSRC2:TIDIG_COMP_CNT: 1
	.section	.text._ZL19rocblas_trsv_deviceILi64ELi16ELb0ELb1ELb1ELb0EdPKdPKS1_PKPdEviT7_lllT6_T8_lllPii,"axG",@progbits,_ZL19rocblas_trsv_deviceILi64ELi16ELb0ELb1ELb1ELb0EdPKdPKS1_PKPdEviT7_lllT6_T8_lllPii,comdat
	.globl	_ZL19rocblas_trsv_deviceILi64ELi16ELb0ELb1ELb1ELb0EdPKdPKS1_PKPdEviT7_lllT6_T8_lllPii ; -- Begin function _ZL19rocblas_trsv_deviceILi64ELi16ELb0ELb1ELb1ELb0EdPKdPKS1_PKPdEviT7_lllT6_T8_lllPii
	.p2align	8
	.type	_ZL19rocblas_trsv_deviceILi64ELi16ELb0ELb1ELb1ELb0EdPKdPKS1_PKPdEviT7_lllT6_T8_lllPii,@function
_ZL19rocblas_trsv_deviceILi64ELi16ELb0ELb1ELb1ELb0EdPKdPKS1_PKPdEviT7_lllT6_T8_lllPii: ; @_ZL19rocblas_trsv_deviceILi64ELi16ELb0ELb1ELb1ELb0EdPKdPKS1_PKPdEviT7_lllT6_T8_lllPii
; %bb.0:
	s_load_dwordx4 s[0:3], s[4:5], 0x8
	s_mov_b32 s28, s7
	s_mov_b32 s29, 0
	s_lshl_b64 s[8:9], s[28:29], 3
	v_mov_b32_e32 v2, v1
	s_waitcnt lgkmcnt(0)
	s_add_u32 s0, s0, s8
	s_addc_u32 s1, s1, s9
	s_load_dwordx2 s[10:11], s[0:1], 0x0
	s_load_dword s7, s[4:5], 0x0
	s_load_dwordx8 s[20:27], s[4:5], 0x28
	s_load_dwordx2 s[30:31], s[4:5], 0x18
	s_lshl_b64 s[0:1], s[2:3], 3
	s_waitcnt lgkmcnt(0)
	s_add_u32 s37, s10, s0
	s_addc_u32 s90, s11, s1
	s_add_u32 s0, s22, s8
	s_addc_u32 s1, s23, s9
	s_load_dwordx2 s[58:59], s[0:1], 0x0
	s_load_dwordx2 s[34:35], s[20:21], 0x0
	s_load_dword s91, s[4:5], 0x6c
	s_cmp_eq_u32 s6, 0
	s_cbranch_scc1 .LBB126_10
; %bb.1:
	s_lshl_b32 s33, s6, 6
	v_add_u32_e32 v1, s33, v0
	v_ashrrev_i32_e32 v3, 31, v1
	v_mul_lo_u32 v5, s30, v3
	v_mul_lo_u32 v6, s31, v1
	v_mad_u64_u32 v[3:4], s[0:1], s30, v1, 0
	v_add_u32_e32 v7, s33, v2
	v_subrev_u32_e32 v11, 64, v7
	v_add3_u32 v4, v4, v5, v6
	v_lshlrev_b64 v[3:4], 3, v[3:4]
	v_ashrrev_i32_e32 v12, 31, v11
	v_cmp_gt_i32_e32 vcc, s7, v1
	v_mov_b32_e32 v1, s90
	v_add_co_u32_e64 v5, s[0:1], s37, v3
	v_addc_co_u32_e64 v1, s[0:1], v1, v4, s[0:1]
	v_lshlrev_b64 v[3:4], 3, v[11:12]
	s_waitcnt lgkmcnt(0)
	v_add_co_u32_e64 v12, s[0:1], v5, v3
	v_addc_co_u32_e64 v13, s[0:1], v1, v4, s[0:1]
	v_cmp_gt_i32_e64 s[0:1], s7, v11
	v_mov_b32_e32 v3, 0
	v_mov_b32_e32 v5, 0
	;; [unrolled: 1-line block ×4, first 2 shown]
	s_and_b64 s[2:3], s[0:1], vcc
	s_barrier
	s_and_saveexec_b64 s[0:1], s[2:3]
	s_cbranch_execz .LBB126_3
; %bb.2:
	flat_load_dwordx2 v[5:6], v[12:13]
.LBB126_3:
	s_or_b64 exec, exec, s[0:1]
	v_add_u32_e32 v1, 16, v11
	v_cmp_gt_i32_e64 s[0:1], s7, v1
	s_and_b64 s[2:3], s[0:1], vcc
	s_waitcnt vmcnt(0) lgkmcnt(0)
	s_barrier
	s_and_saveexec_b64 s[0:1], s[2:3]
	s_cbranch_execz .LBB126_5
; %bb.4:
	flat_load_dwordx2 v[3:4], v[12:13] offset:128
.LBB126_5:
	s_or_b64 exec, exec, s[0:1]
	v_add_u32_e32 v1, 32, v11
	v_cmp_gt_i32_e64 s[0:1], s7, v1
	v_mov_b32_e32 v7, 0
	v_mov_b32_e32 v9, 0
	;; [unrolled: 1-line block ×4, first 2 shown]
	s_and_b64 s[2:3], s[0:1], vcc
	s_waitcnt vmcnt(0) lgkmcnt(0)
	s_barrier
	s_and_saveexec_b64 s[0:1], s[2:3]
	s_cbranch_execz .LBB126_7
; %bb.6:
	flat_load_dwordx2 v[9:10], v[12:13] offset:256
.LBB126_7:
	s_or_b64 exec, exec, s[0:1]
	v_add_u32_e32 v1, 48, v11
	v_cmp_gt_i32_e64 s[0:1], s7, v1
	s_and_b64 s[2:3], s[0:1], vcc
	s_waitcnt vmcnt(0) lgkmcnt(0)
	s_barrier
	s_and_saveexec_b64 s[0:1], s[2:3]
	s_cbranch_execz .LBB126_9
; %bb.8:
	flat_load_dwordx2 v[7:8], v[12:13] offset:384
.LBB126_9:
	s_or_b64 exec, exec, s[0:1]
	s_branch .LBB126_11
.LBB126_10:
                                        ; implicit-def: $vgpr7_vgpr8
                                        ; implicit-def: $vgpr9_vgpr10
                                        ; implicit-def: $vgpr3_vgpr4
                                        ; implicit-def: $vgpr5_vgpr6
	s_mov_b32 s33, s29
.LBB126_11:
	s_ashr_i32 s0, s7, 31
	s_lshr_b32 s0, s0, 26
	s_add_i32 s0, s7, s0
	s_andn2_b32 s0, s0, 63
	s_sub_i32 s36, s7, s0
	s_add_i32 s0, s7, -1
	s_ashr_i32 s1, s0, 31
	s_lshr_b32 s1, s1, 26
	s_add_i32 s0, s0, s1
	s_ashr_i32 s0, s0, 6
	s_cmp_eq_u32 s0, s6
	s_cselect_b64 s[0:1], -1, 0
	s_cmp_lg_u32 s36, 0
	s_cselect_b64 s[2:3], -1, 0
	s_and_b64 s[22:23], s[2:3], s[0:1]
	s_cmp_lt_i32 s6, 5
	s_cselect_b64 s[2:3], -1, 0
	s_or_b64 s[0:1], s[2:3], s[22:23]
	s_ashr_i32 s46, s33, 31
	s_add_u32 s10, s30, 1
	v_mov_b32_e32 v1, 0
	v_mov_b32_e32 v11, s33
	v_mad_u64_u32 v[11:12], s[8:9], s10, v11, v[0:1]
	s_addc_u32 s11, s31, 0
	s_mul_i32 s8, s10, s46
	s_mul_i32 s11, s11, s33
	s_add_i32 s8, s8, s11
	s_mov_b64 s[12:13], -1
	v_lshlrev_b32_e32 v17, 6, v0
	v_add_u32_e32 v12, s8, v12
	s_and_b64 vcc, exec, s[22:23]
	v_cmp_le_u32_e64 s[8:9], v2, v0
	s_cbranch_vccnz .LBB126_33
; %bb.12:
	v_mad_u64_u32 v[15:16], s[10:11], s30, v2, v[11:12]
	v_mov_b32_e32 v1, v16
	v_mad_u64_u32 v[13:14], s[10:11], s31, v2, v[1:2]
	s_mov_b64 s[10:11], 0
	v_mov_b32_e32 v16, v13
                                        ; implicit-def: $vgpr13_vgpr14
	s_and_saveexec_b64 s[12:13], s[8:9]
	s_xor_b64 s[8:9], exec, s[12:13]
	s_cbranch_execnz .LBB126_1051
; %bb.13:
	s_andn2_saveexec_b64 s[8:9], s[8:9]
	s_cbranch_execnz .LBB126_1056
.LBB126_14:
	s_or_b64 exec, exec, s[8:9]
	s_and_saveexec_b64 s[8:9], s[10:11]
.LBB126_15:
	v_add_u32_e32 v1, v2, v17
	v_lshl_add_u32 v15, v2, 6, v0
	v_cndmask_b32_e64 v1, v15, v1, s[2:3]
	v_lshlrev_b32_e32 v1, 3, v1
	ds_write_b64 v1, v[13:14]
.LBB126_16:
	s_or_b64 exec, exec, s[8:9]
	v_add_u32_e32 v1, 16, v2
	v_mad_u64_u32 v[15:16], s[2:3], s30, v1, v[11:12]
	v_cmp_le_u32_e32 vcc, v1, v0
	s_mov_b64 s[8:9], 0
	v_mov_b32_e32 v13, v16
	v_mad_u64_u32 v[13:14], s[2:3], s31, v1, v[13:14]
	v_mov_b32_e32 v16, v13
                                        ; implicit-def: $vgpr13_vgpr14
	s_and_saveexec_b64 s[2:3], vcc
	s_xor_b64 s[2:3], exec, s[2:3]
	s_cbranch_execnz .LBB126_1057
; %bb.17:
	s_andn2_saveexec_b64 s[2:3], s[2:3]
	s_cbranch_execnz .LBB126_1062
.LBB126_18:
	s_or_b64 exec, exec, s[2:3]
	s_and_saveexec_b64 s[2:3], s[8:9]
.LBB126_19:
	v_add_u32_e32 v15, v1, v17
	v_lshl_add_u32 v1, v1, 6, v0
	v_cndmask_b32_e64 v1, v1, v15, s[0:1]
	v_lshlrev_b32_e32 v1, 3, v1
	ds_write_b64 v1, v[13:14]
.LBB126_20:
	s_or_b64 exec, exec, s[2:3]
	v_add_u32_e32 v1, 32, v2
	v_mad_u64_u32 v[15:16], s[2:3], s30, v1, v[11:12]
	v_cmp_le_u32_e32 vcc, v1, v0
	s_mov_b64 s[8:9], 0
	v_mov_b32_e32 v13, v16
	v_mad_u64_u32 v[13:14], s[2:3], s31, v1, v[13:14]
	v_mov_b32_e32 v16, v13
                                        ; implicit-def: $vgpr13_vgpr14
	s_and_saveexec_b64 s[2:3], vcc
	s_xor_b64 s[2:3], exec, s[2:3]
	s_cbranch_execnz .LBB126_1063
; %bb.21:
	s_andn2_saveexec_b64 s[2:3], s[2:3]
	s_cbranch_execnz .LBB126_1068
.LBB126_22:
	s_or_b64 exec, exec, s[2:3]
	s_and_saveexec_b64 s[2:3], s[8:9]
.LBB126_23:
	v_add_u32_e32 v15, v1, v17
	v_lshl_add_u32 v1, v1, 6, v0
	v_cndmask_b32_e64 v1, v1, v15, s[0:1]
	v_lshlrev_b32_e32 v1, 3, v1
	ds_write_b64 v1, v[13:14]
.LBB126_24:
	s_or_b64 exec, exec, s[2:3]
	v_add_u32_e32 v1, 48, v2
	v_mad_u64_u32 v[15:16], s[2:3], s30, v1, v[11:12]
	v_cmp_le_u32_e32 vcc, v1, v0
	s_mov_b64 s[10:11], 0
	v_mov_b32_e32 v13, v16
	v_mad_u64_u32 v[13:14], s[2:3], s31, v1, v[13:14]
	v_mov_b32_e32 v16, v13
                                        ; implicit-def: $vgpr13_vgpr14
	s_and_saveexec_b64 s[2:3], vcc
	s_xor_b64 s[2:3], exec, s[2:3]
	s_cbranch_execz .LBB126_30
; %bb.25:
	v_cmp_ne_u32_e32 vcc, v0, v1
	s_mov_b64 s[8:9], 0
	s_and_saveexec_b64 s[10:11], vcc
	s_xor_b64 s[10:11], exec, s[10:11]
; %bb.26:
	v_or_b32_e32 v13, v1, v0
	v_cmp_gt_u32_e32 vcc, 64, v13
	s_and_b64 s[8:9], vcc, exec
                                        ; implicit-def: $vgpr15_vgpr16
; %bb.27:
	s_or_saveexec_b64 s[10:11], s[10:11]
	v_mov_b32_e32 v13, 0
	v_mov_b32_e32 v14, 0
	s_xor_b64 exec, exec, s[10:11]
	s_cbranch_execz .LBB126_29
; %bb.28:
	v_lshlrev_b64 v[13:14], 3, v[15:16]
	v_mov_b32_e32 v15, s90
	v_add_co_u32_e32 v13, vcc, s37, v13
	v_addc_co_u32_e32 v14, vcc, v15, v14, vcc
	flat_load_dwordx2 v[13:14], v[13:14]
	s_or_b64 s[8:9], s[8:9], exec
	s_waitcnt vmcnt(0) lgkmcnt(0)
	v_div_scale_f64 v[15:16], s[12:13], v[13:14], v[13:14], 1.0
	v_div_scale_f64 v[22:23], vcc, 1.0, v[13:14], 1.0
	v_rcp_f64_e32 v[18:19], v[15:16]
	v_fma_f64 v[20:21], -v[15:16], v[18:19], 1.0
	v_fma_f64 v[18:19], v[18:19], v[20:21], v[18:19]
	v_fma_f64 v[20:21], -v[15:16], v[18:19], 1.0
	v_fma_f64 v[18:19], v[18:19], v[20:21], v[18:19]
	v_mul_f64 v[20:21], v[22:23], v[18:19]
	v_fma_f64 v[15:16], -v[15:16], v[20:21], v[22:23]
	v_div_fmas_f64 v[15:16], v[15:16], v[18:19], v[20:21]
	v_div_fixup_f64 v[13:14], v[15:16], v[13:14], 1.0
.LBB126_29:
	s_or_b64 exec, exec, s[10:11]
	s_and_b64 s[10:11], s[8:9], exec
                                        ; implicit-def: $vgpr15_vgpr16
.LBB126_30:
	s_or_saveexec_b64 s[2:3], s[2:3]
	v_add_u32_e32 v18, v1, v17
	v_lshl_add_u32 v1, v1, 6, v0
	s_xor_b64 exec, exec, s[2:3]
	s_cbranch_execz .LBB126_32
; %bb.31:
	v_lshlrev_b64 v[13:14], 3, v[15:16]
	v_mov_b32_e32 v15, s90
	v_add_co_u32_e32 v13, vcc, s37, v13
	v_addc_co_u32_e32 v14, vcc, v15, v14, vcc
	flat_load_dwordx2 v[13:14], v[13:14]
	s_or_b64 s[10:11], s[10:11], exec
	s_waitcnt vmcnt(0) lgkmcnt(0)
	v_xor_b32_e32 v14, 0x80000000, v14
.LBB126_32:
	s_or_b64 exec, exec, s[2:3]
	v_cndmask_b32_e64 v1, v1, v18, s[0:1]
	s_branch .LBB126_55
.LBB126_33:
	s_mov_b64 s[10:11], 0
                                        ; implicit-def: $vgpr13_vgpr14
                                        ; implicit-def: $vgpr1
	s_and_b64 vcc, exec, s[12:13]
	s_cbranch_vccz .LBB126_55
; %bb.34:
	v_mad_u64_u32 v[13:14], s[2:3], s30, v2, v[11:12]
	v_cmp_le_u32_e32 vcc, v2, v0
	v_cmp_gt_i32_e64 s[2:3], s36, v0
	v_mov_b32_e32 v1, v14
	v_mad_u64_u32 v[14:15], s[8:9], s31, v2, v[1:2]
	v_max_i32_e32 v1, v2, v0
	v_cmp_le_i32_e64 s[8:9], s36, v1
	s_or_b64 s[8:9], s[8:9], vcc
	s_mov_b64 s[12:13], 0
                                        ; implicit-def: $vgpr15_vgpr16
	s_and_saveexec_b64 s[14:15], s[8:9]
	s_xor_b64 s[8:9], exec, s[14:15]
	s_cbranch_execnz .LBB126_1069
; %bb.35:
	s_andn2_saveexec_b64 s[8:9], s[8:9]
	s_cbranch_execnz .LBB126_1074
.LBB126_36:
	s_or_b64 exec, exec, s[8:9]
	s_and_saveexec_b64 s[8:9], s[12:13]
.LBB126_37:
	v_lshlrev_b32_e32 v1, 3, v17
	v_lshl_add_u32 v1, v2, 3, v1
	ds_write_b64 v1, v[15:16]
.LBB126_38:
	s_or_b64 exec, exec, s[8:9]
	v_add_u32_e32 v1, 16, v2
	v_mad_u64_u32 v[13:14], s[8:9], s30, v1, v[11:12]
	v_cmp_gt_u32_e32 vcc, v1, v0
	s_mov_b64 s[12:13], 0
	v_mad_u64_u32 v[14:15], s[8:9], s31, v1, v[14:15]
	v_cmp_gt_i32_e64 s[8:9], s36, v1
	s_and_b64 s[8:9], vcc, s[8:9]
	s_and_b64 s[8:9], s[2:3], s[8:9]
	s_xor_b64 s[8:9], s[8:9], -1
                                        ; implicit-def: $vgpr15_vgpr16
	s_and_saveexec_b64 s[14:15], s[8:9]
	s_xor_b64 s[8:9], exec, s[14:15]
	s_cbranch_execnz .LBB126_1075
; %bb.39:
	s_andn2_saveexec_b64 s[8:9], s[8:9]
	s_cbranch_execnz .LBB126_1080
.LBB126_40:
	s_or_b64 exec, exec, s[8:9]
	s_and_saveexec_b64 s[8:9], s[12:13]
.LBB126_41:
	v_add_u32_e32 v13, v1, v17
	v_lshl_add_u32 v1, v1, 6, v0
	v_cndmask_b32_e64 v1, v1, v13, s[0:1]
	v_lshlrev_b32_e32 v1, 3, v1
	ds_write_b64 v1, v[15:16]
.LBB126_42:
	s_or_b64 exec, exec, s[8:9]
	v_add_u32_e32 v1, 32, v2
	v_mad_u64_u32 v[13:14], s[8:9], s30, v1, v[11:12]
	v_cmp_gt_u32_e32 vcc, v1, v0
	s_mov_b64 s[12:13], 0
	v_mad_u64_u32 v[14:15], s[8:9], s31, v1, v[14:15]
	v_cmp_gt_i32_e64 s[8:9], s36, v1
	s_and_b64 s[8:9], vcc, s[8:9]
	s_and_b64 s[8:9], s[2:3], s[8:9]
	s_xor_b64 s[8:9], s[8:9], -1
                                        ; implicit-def: $vgpr15_vgpr16
	s_and_saveexec_b64 s[14:15], s[8:9]
	s_xor_b64 s[8:9], exec, s[14:15]
	s_cbranch_execnz .LBB126_1081
; %bb.43:
	s_andn2_saveexec_b64 s[8:9], s[8:9]
	s_cbranch_execnz .LBB126_1086
.LBB126_44:
	s_or_b64 exec, exec, s[8:9]
	s_and_saveexec_b64 s[8:9], s[12:13]
.LBB126_45:
	v_add_u32_e32 v13, v1, v17
	v_lshl_add_u32 v1, v1, 6, v0
	v_cndmask_b32_e64 v1, v1, v13, s[0:1]
	v_lshlrev_b32_e32 v1, 3, v1
	ds_write_b64 v1, v[15:16]
.LBB126_46:
	s_or_b64 exec, exec, s[8:9]
	v_add_u32_e32 v1, 48, v2
	v_mad_u64_u32 v[11:12], s[8:9], s30, v1, v[11:12]
	v_cmp_gt_u32_e32 vcc, v1, v0
	v_mad_u64_u32 v[12:13], s[8:9], s31, v1, v[12:13]
	v_cmp_gt_i32_e64 s[8:9], s36, v1
	s_and_b64 s[8:9], vcc, s[8:9]
	s_and_b64 s[8:9], s[2:3], s[8:9]
	s_xor_b64 s[8:9], s[8:9], -1
                                        ; implicit-def: $vgpr13_vgpr14
	s_and_saveexec_b64 s[12:13], s[8:9]
	s_xor_b64 s[8:9], exec, s[12:13]
	s_cbranch_execz .LBB126_52
; %bb.47:
	v_cmp_ne_u32_e32 vcc, v0, v1
	s_xor_b64 s[2:3], s[2:3], -1
	s_or_b64 s[12:13], s[2:3], vcc
	s_mov_b64 s[2:3], s[10:11]
	s_and_saveexec_b64 s[14:15], s[12:13]
	s_xor_b64 s[12:13], exec, s[14:15]
; %bb.48:
	v_or_b32_e32 v11, v1, v0
	v_cmp_gt_u32_e32 vcc, 64, v11
	s_andn2_b64 s[2:3], s[10:11], exec
	s_and_b64 s[14:15], vcc, exec
	s_or_b64 s[2:3], s[2:3], s[14:15]
                                        ; implicit-def: $vgpr11_vgpr12
; %bb.49:
	s_or_saveexec_b64 s[12:13], s[12:13]
	v_mov_b32_e32 v13, 0
	v_mov_b32_e32 v14, 0
	s_xor_b64 exec, exec, s[12:13]
	s_cbranch_execz .LBB126_51
; %bb.50:
	v_lshlrev_b64 v[11:12], 3, v[11:12]
	v_mov_b32_e32 v13, s90
	v_add_co_u32_e32 v11, vcc, s37, v11
	v_addc_co_u32_e32 v12, vcc, v13, v12, vcc
	flat_load_dwordx2 v[11:12], v[11:12]
	s_or_b64 s[2:3], s[2:3], exec
	s_waitcnt vmcnt(0) lgkmcnt(0)
	v_div_scale_f64 v[13:14], s[14:15], v[11:12], v[11:12], 1.0
	v_div_scale_f64 v[20:21], vcc, 1.0, v[11:12], 1.0
	v_rcp_f64_e32 v[15:16], v[13:14]
	v_fma_f64 v[18:19], -v[13:14], v[15:16], 1.0
	v_fma_f64 v[15:16], v[15:16], v[18:19], v[15:16]
	v_fma_f64 v[18:19], -v[13:14], v[15:16], 1.0
	v_fma_f64 v[15:16], v[15:16], v[18:19], v[15:16]
	v_mul_f64 v[18:19], v[20:21], v[15:16]
	v_fma_f64 v[13:14], -v[13:14], v[18:19], v[20:21]
	v_div_fmas_f64 v[13:14], v[13:14], v[15:16], v[18:19]
	v_div_fixup_f64 v[13:14], v[13:14], v[11:12], 1.0
.LBB126_51:
	s_or_b64 exec, exec, s[12:13]
	s_andn2_b64 s[10:11], s[10:11], exec
	s_and_b64 s[2:3], s[2:3], exec
	s_or_b64 s[10:11], s[10:11], s[2:3]
                                        ; implicit-def: $vgpr11_vgpr12
.LBB126_52:
	s_or_saveexec_b64 s[2:3], s[8:9]
	v_add_u32_e32 v15, v1, v17
	v_lshl_add_u32 v1, v1, 6, v0
	s_xor_b64 exec, exec, s[2:3]
	s_cbranch_execz .LBB126_54
; %bb.53:
	v_lshlrev_b64 v[11:12], 3, v[11:12]
	v_mov_b32_e32 v13, s90
	v_add_co_u32_e32 v11, vcc, s37, v11
	v_addc_co_u32_e32 v12, vcc, v13, v12, vcc
	flat_load_dwordx2 v[13:14], v[11:12]
	s_or_b64 s[10:11], s[10:11], exec
	s_waitcnt vmcnt(0) lgkmcnt(0)
	v_xor_b32_e32 v14, 0x80000000, v14
.LBB126_54:
	s_or_b64 exec, exec, s[2:3]
	v_cndmask_b32_e64 v1, v1, v15, s[0:1]
.LBB126_55:
	s_xor_b64 s[0:1], s[0:1], -1
	s_and_saveexec_b64 s[2:3], s[10:11]
; %bb.56:
	v_lshlrev_b32_e32 v1, 3, v1
	ds_write_b64 v1, v[13:14]
; %bb.57:
	s_or_b64 exec, exec, s[2:3]
	v_cndmask_b32_e64 v1, 0, 1, s[0:1]
	v_cmp_ne_u32_e64 s[2:3], 1, v1
                                        ; implicit-def: $vgpr36 : SGPR spill to VGPR lane
	s_andn2_b64 vcc, exec, s[0:1]
	v_writelane_b32 v36, s2, 0
	s_waitcnt vmcnt(0) lgkmcnt(0)
	s_barrier
	v_writelane_b32 v36, s3, 1
	s_cbranch_vccnz .LBB126_987
; %bb.58:
	v_or_b32_e32 v1, v0, v2
	v_cmp_eq_u32_e32 vcc, 0, v1
	s_and_saveexec_b64 s[0:1], vcc
	s_cbranch_execz .LBB126_60
; %bb.59:
	v_mov_b32_e32 v1, 0
	ds_read_b128 v[11:14], v1 offset:32752
	ds_read_b64 v[15:16], v1 offset:32240
	s_movk_i32 s2, 0x7800
	v_add_u32_e64 v1, s2, 0
	s_waitcnt lgkmcnt(0)
	v_mul_f64 v[13:14], v[15:16], v[13:14]
	v_mul_f64 v[11:12], v[11:12], v[13:14]
	ds_write2_b64 v1, v[11:12], v[11:12] offset0:191 offset1:254
.LBB126_60:
	s_or_b64 exec, exec, s[0:1]
	v_lshlrev_b32_e32 v11, 6, v2
	v_add_u32_e32 v15, v11, v0
	v_and_b32_e32 v12, v11, v0
	v_xor_b32_e32 v11, v11, v0
	v_lshrrev_b16_e32 v11, 1, v11
	v_add_u16_e32 v14, v12, v11
	v_mov_b32_e32 v11, 0
	v_and_b32_e32 v1, 1, v0
	v_sub_u32_e32 v13, 1, v14
	v_cmp_lt_u32_e64 s[8:9], 3, v15
	v_mov_b32_e32 v12, 0
	v_cmp_gt_u32_e64 s[2:3], 4, v15
	s_waitcnt lgkmcnt(0)
	s_barrier
	buffer_wbinvl1_vol
	s_and_saveexec_b64 s[0:1], s[2:3]
	s_cbranch_execz .LBB126_64
; %bb.61:
	v_lshlrev_b32_e32 v16, 9, v13
	v_lshlrev_b32_e32 v11, 3, v1
	ds_read_b64 v[11:12], v11 offset:32224
	ds_read_b64 v[16:17], v16 offset:32240
	v_cmp_gt_u32_e64 s[10:11], 2, v15
	s_waitcnt lgkmcnt(0)
	v_fma_f64 v[11:12], v[11:12], v[16:17], 0
	s_and_saveexec_b64 s[12:13], s[10:11]
	s_cbranch_execz .LBB126_63
; %bb.62:
	v_lshlrev_b32_e32 v16, 3, v0
	v_mov_b32_e32 v18, 0
	ds_read_b64 v[16:17], v16 offset:32736
	ds_read_b64 v[18:19], v18 offset:32760
	s_waitcnt lgkmcnt(0)
	v_fma_f64 v[11:12], v[16:17], v[18:19], v[11:12]
.LBB126_63:
	s_or_b64 exec, exec, s[12:13]
.LBB126_64:
	s_or_b64 exec, exec, s[0:1]
	v_mov_b32_e32 v16, 0x8000
	v_cmp_ne_u32_e64 s[10:11], 0, v1
	s_xor_b64 s[0:1], s[8:9], -1
	v_lshl_add_u32 v14, v14, 3, v16
	s_and_b64 s[40:41], s[10:11], s[0:1]
	s_and_saveexec_b64 s[8:9], s[40:41]
	s_cbranch_execz .LBB126_66
; %bb.65:
	v_mov_b32_e32 v16, 0
	ds_read_b64 v[16:17], v16 offset:31720
	s_waitcnt lgkmcnt(0)
	v_mul_f64 v[11:12], v[11:12], v[16:17]
	v_xor_b32_e32 v17, 0x80000000, v12
	v_mov_b32_e32 v16, v11
	ds_write_b64 v14, v[16:17]
.LBB126_66:
	s_or_b64 exec, exec, s[8:9]
	v_cmp_eq_u32_e64 s[8:9], 0, v1
	s_and_b64 s[38:39], s[8:9], s[0:1]
	s_waitcnt lgkmcnt(0)
	s_barrier
	s_and_saveexec_b64 s[0:1], s[38:39]
	s_cbranch_execz .LBB126_68
; %bb.67:
	v_mov_b32_e32 v16, 0
	ds_read_b64 v[16:17], v16 offset:31712
	ds_read_b64 v[18:19], v14
	s_waitcnt lgkmcnt(0)
	v_fma_f64 v[11:12], -v[16:17], v[18:19], v[11:12]
.LBB126_68:
	s_or_b64 exec, exec, s[0:1]
	s_barrier
	s_and_saveexec_b64 s[0:1], s[38:39]
	s_cbranch_execz .LBB126_70
; %bb.69:
	v_mov_b32_e32 v16, 0
	ds_read_b64 v[16:17], v16 offset:31200
	s_waitcnt lgkmcnt(0)
	v_mul_f64 v[11:12], v[11:12], v[16:17]
	v_xor_b32_e32 v17, 0x80000000, v12
	v_mov_b32_e32 v16, v11
	ds_write_b64 v14, v[16:17]
.LBB126_70:
	s_or_b64 exec, exec, s[0:1]
	s_waitcnt lgkmcnt(0)
	s_barrier
	s_barrier
	s_and_saveexec_b64 s[0:1], s[2:3]
; %bb.71:
	v_lshlrev_b32_e32 v16, 3, v1
	v_lshl_or_b32 v16, v13, 9, v16
	ds_write_b64 v16, v[11:12] offset:32224
; %bb.72:
	s_or_b64 exec, exec, s[0:1]
	v_cmp_eq_u32_e64 s[12:13], 0, v2
	v_cmp_gt_u32_e64 s[8:9], 2, v0
	s_and_b64 s[42:43], s[12:13], s[8:9]
	s_waitcnt lgkmcnt(0)
	s_barrier
	s_barrier
	s_and_saveexec_b64 s[0:1], s[42:43]
	s_cbranch_execz .LBB126_74
; %bb.73:
	v_lshlrev_b32_e32 v16, 3, v0
	s_movk_i32 s8, 0x1f8
	v_mad_u32_u24 v17, v0, s8, v16
	ds_read_b64 v[11:12], v17 offset:32224
	s_waitcnt lgkmcnt(0)
	ds_write_b64 v16, v[11:12] offset:31216
	ds_read_b64 v[11:12], v17 offset:32232
	s_waitcnt lgkmcnt(0)
	ds_write_b64 v16, v[11:12] offset:31728
.LBB126_74:
	s_or_b64 exec, exec, s[0:1]
	s_waitcnt lgkmcnt(0)
	s_barrier
	s_and_saveexec_b64 s[0:1], vcc
	s_cbranch_execz .LBB126_76
; %bb.75:
	v_mov_b32_e32 v11, 0
	ds_read_b128 v[16:19], v11 offset:31712
	ds_read_b64 v[11:12], v11 offset:31200
	s_movk_i32 s8, 0x7800
	s_waitcnt lgkmcnt(0)
	v_mul_f64 v[11:12], v[11:12], v[18:19]
	v_mul_f64 v[11:12], v[16:17], v[11:12]
	v_add_u32_e64 v16, s8, 0
	ds_write2_b64 v16, v[11:12], v[11:12] offset0:61 offset1:124
.LBB126_76:
	s_or_b64 exec, exec, s[0:1]
	v_lshrrev_b32_e32 v18, 2, v15
	v_mov_b32_e32 v11, 0
	v_and_b32_e32 v16, 3, v0
	v_sub_u32_e32 v17, 3, v18
	v_cmp_lt_u32_e64 s[8:9], 15, v15
	v_mov_b32_e32 v12, 0
	v_cmp_gt_u32_e64 s[18:19], 16, v15
	s_waitcnt lgkmcnt(0)
	s_barrier
	buffer_wbinvl1_vol
	s_and_saveexec_b64 s[0:1], s[18:19]
	s_cbranch_execz .LBB126_82
; %bb.77:
	v_lshlrev_b32_e32 v20, 3, v16
	v_lshlrev_b32_e32 v19, 9, v17
	ds_read_b64 v[11:12], v20 offset:31168
	ds_read_b64 v[21:22], v19 offset:31200
	v_cmp_gt_u32_e64 s[10:11], 12, v15
	s_waitcnt lgkmcnt(0)
	v_fma_f64 v[11:12], v[11:12], v[21:22], 0
	s_and_saveexec_b64 s[14:15], s[10:11]
	s_cbranch_execnz .LBB126_1098
; %bb.78:
	s_or_b64 exec, exec, s[14:15]
	v_cmp_gt_u32_e64 s[10:11], 8, v15
	s_and_saveexec_b64 s[14:15], s[10:11]
	s_cbranch_execnz .LBB126_1099
.LBB126_79:
	s_or_b64 exec, exec, s[14:15]
	v_cmp_gt_u32_e64 s[10:11], 4, v15
	s_and_saveexec_b64 s[14:15], s[10:11]
	s_cbranch_execz .LBB126_81
.LBB126_80:
	v_lshlrev_b32_e32 v19, 3, v0
	v_mov_b32_e32 v21, 0
	ds_read_b64 v[19:20], v19 offset:32704
	ds_read_b64 v[21:22], v21 offset:32760
	s_waitcnt lgkmcnt(0)
	v_fma_f64 v[11:12], v[19:20], v[21:22], v[11:12]
.LBB126_81:
	s_or_b64 exec, exec, s[14:15]
.LBB126_82:
	v_writelane_b32 v36, s46, 2
	s_or_b64 exec, exec, s[0:1]
	v_mov_b32_e32 v19, 0x8000
	v_cmp_eq_u32_e64 s[10:11], 3, v16
	s_xor_b64 s[0:1], s[8:9], -1
	v_lshl_add_u32 v18, v18, 3, v19
	s_and_b64 s[46:47], s[10:11], s[0:1]
	s_and_saveexec_b64 s[8:9], s[46:47]
	s_cbranch_execz .LBB126_84
; %bb.83:
	v_mov_b32_e32 v19, 0
	ds_read_b64 v[19:20], v19 offset:30680
	s_waitcnt lgkmcnt(0)
	v_mul_f64 v[11:12], v[11:12], v[19:20]
	v_xor_b32_e32 v20, 0x80000000, v12
	v_mov_b32_e32 v19, v11
	ds_write_b64 v18, v[19:20]
.LBB126_84:
	s_or_b64 exec, exec, s[8:9]
	v_cmp_ne_u32_e64 s[8:9], 3, v16
	s_and_b64 s[48:49], s[8:9], s[0:1]
	s_waitcnt lgkmcnt(0)
	s_barrier
	s_and_saveexec_b64 s[8:9], s[48:49]
	s_cbranch_execz .LBB126_86
; %bb.85:
	v_lshlrev_b32_e32 v19, 3, v16
	ds_read_b64 v[19:20], v19 offset:30656
	ds_read_b64 v[21:22], v18
	s_waitcnt lgkmcnt(0)
	v_fma_f64 v[11:12], -v[19:20], v[21:22], v[11:12]
.LBB126_86:
	s_or_b64 exec, exec, s[8:9]
	v_cmp_eq_u32_e64 s[8:9], 2, v16
	s_and_b64 s[50:51], s[8:9], s[0:1]
	s_barrier
	s_and_saveexec_b64 s[8:9], s[50:51]
	s_cbranch_execz .LBB126_88
; %bb.87:
	v_mov_b32_e32 v19, 0
	ds_read_b64 v[19:20], v19 offset:30160
	s_waitcnt lgkmcnt(0)
	v_mul_f64 v[11:12], v[11:12], v[19:20]
	v_xor_b32_e32 v20, 0x80000000, v12
	v_mov_b32_e32 v19, v11
	ds_write_b64 v18, v[19:20]
.LBB126_88:
	s_or_b64 exec, exec, s[8:9]
	v_cmp_gt_u32_e64 s[8:9], 2, v16
	s_and_b64 s[52:53], s[8:9], s[0:1]
	s_waitcnt lgkmcnt(0)
	s_barrier
	s_and_saveexec_b64 s[8:9], s[52:53]
	s_cbranch_execz .LBB126_90
; %bb.89:
	v_lshlrev_b32_e32 v19, 3, v16
	ds_read_b64 v[19:20], v19 offset:30144
	ds_read_b64 v[21:22], v18
	s_waitcnt lgkmcnt(0)
	v_fma_f64 v[11:12], -v[19:20], v[21:22], v[11:12]
.LBB126_90:
	s_or_b64 exec, exec, s[8:9]
	v_cmp_eq_u32_e64 s[8:9], 1, v16
	s_and_b64 s[54:55], s[8:9], s[0:1]
	s_barrier
	s_and_saveexec_b64 s[8:9], s[54:55]
	s_cbranch_execz .LBB126_92
; %bb.91:
	v_mov_b32_e32 v19, 0
	ds_read_b64 v[19:20], v19 offset:29640
	s_waitcnt lgkmcnt(0)
	v_mul_f64 v[11:12], v[11:12], v[19:20]
	v_xor_b32_e32 v20, 0x80000000, v12
	v_mov_b32_e32 v19, v11
	ds_write_b64 v18, v[19:20]
.LBB126_92:
	s_or_b64 exec, exec, s[8:9]
	v_cmp_eq_u32_e64 s[8:9], 0, v16
	s_and_b64 s[44:45], s[8:9], s[0:1]
	s_waitcnt lgkmcnt(0)
	s_barrier
	s_and_saveexec_b64 s[0:1], s[44:45]
	s_cbranch_execz .LBB126_94
; %bb.93:
	v_mov_b32_e32 v19, 0
	ds_read_b64 v[19:20], v19 offset:29632
	ds_read_b64 v[21:22], v18
	s_waitcnt lgkmcnt(0)
	v_fma_f64 v[11:12], -v[19:20], v[21:22], v[11:12]
.LBB126_94:
	s_or_b64 exec, exec, s[0:1]
	s_barrier
	s_and_saveexec_b64 s[0:1], s[44:45]
	s_cbranch_execz .LBB126_96
; %bb.95:
	v_mov_b32_e32 v19, 0
	ds_read_b64 v[19:20], v19 offset:29120
	s_waitcnt lgkmcnt(0)
	v_mul_f64 v[11:12], v[11:12], v[19:20]
	v_xor_b32_e32 v20, 0x80000000, v12
	v_mov_b32_e32 v19, v11
	ds_write_b64 v18, v[19:20]
.LBB126_96:
	s_or_b64 exec, exec, s[0:1]
	s_waitcnt lgkmcnt(0)
	s_barrier
	s_barrier
	s_and_saveexec_b64 s[0:1], s[18:19]
; %bb.97:
	v_lshlrev_b32_e32 v19, 3, v16
	v_lshl_or_b32 v19, v17, 9, v19
	ds_write_b64 v19, v[11:12] offset:31168
; %bb.98:
	s_or_b64 exec, exec, s[0:1]
	v_cmp_gt_u32_e64 s[8:9], 4, v0
	s_and_b64 s[56:57], s[12:13], s[8:9]
	s_waitcnt lgkmcnt(0)
	s_barrier
	s_barrier
	s_and_saveexec_b64 s[0:1], s[56:57]
	s_cbranch_execz .LBB126_100
; %bb.99:
	v_lshlrev_b32_e32 v19, 9, v0
	ds_read_b64 v[11:12], v19 offset:31168
	s_movk_i32 s8, 0xfe08
	v_mad_i32_i24 v20, v0, s8, v19
	s_waitcnt lgkmcnt(0)
	ds_write_b64 v20, v[11:12] offset:29152
	ds_read_b64 v[11:12], v19 offset:31176
	s_waitcnt lgkmcnt(0)
	ds_write_b64 v20, v[11:12] offset:29664
	ds_read_b64 v[11:12], v19 offset:31184
	s_waitcnt lgkmcnt(0)
	ds_write_b64 v20, v[11:12] offset:30176
	ds_read_b64 v[11:12], v19 offset:31192
	s_waitcnt lgkmcnt(0)
	ds_write_b64 v20, v[11:12] offset:30688
.LBB126_100:
	s_or_b64 exec, exec, s[0:1]
	s_waitcnt lgkmcnt(0)
	s_barrier
	s_and_saveexec_b64 s[0:1], vcc
	s_cbranch_execz .LBB126_102
; %bb.101:
	v_mov_b32_e32 v11, 0
	ds_read_b128 v[19:22], v11 offset:30672
	ds_read_b64 v[11:12], v11 offset:30160
	s_movk_i32 s8, 0x7000
	s_waitcnt lgkmcnt(0)
	v_mul_f64 v[11:12], v[11:12], v[21:22]
	v_mul_f64 v[11:12], v[19:20], v[11:12]
	v_add_u32_e64 v19, s8, 0
	ds_write2_b64 v19, v[11:12], v[11:12] offset0:187 offset1:250
.LBB126_102:
	s_or_b64 exec, exec, s[0:1]
	v_mov_b32_e32 v11, 0
	v_mov_b32_e32 v12, 0
	s_waitcnt lgkmcnt(0)
	s_barrier
	buffer_wbinvl1_vol
	s_and_saveexec_b64 s[0:1], s[2:3]
	s_cbranch_execz .LBB126_106
; %bb.103:
	v_lshlrev_b32_e32 v19, 9, v13
	v_lshlrev_b32_e32 v11, 3, v1
	ds_read_b64 v[11:12], v11 offset:30144
	ds_read_b64 v[19:20], v19 offset:30160
	v_cmp_gt_u32_e64 s[8:9], 2, v15
	s_waitcnt lgkmcnt(0)
	v_fma_f64 v[11:12], v[11:12], v[19:20], 0
	s_and_saveexec_b64 s[10:11], s[8:9]
	s_cbranch_execz .LBB126_105
; %bb.104:
	v_lshlrev_b32_e32 v19, 3, v0
	v_mov_b32_e32 v21, 0
	ds_read_b64 v[19:20], v19 offset:30656
	ds_read_b64 v[21:22], v21 offset:30680
	s_waitcnt lgkmcnt(0)
	v_fma_f64 v[11:12], v[19:20], v[21:22], v[11:12]
.LBB126_105:
	s_or_b64 exec, exec, s[10:11]
.LBB126_106:
	s_or_b64 exec, exec, s[0:1]
	s_and_saveexec_b64 s[0:1], s[40:41]
	s_cbranch_execz .LBB126_108
; %bb.107:
	v_mov_b32_e32 v19, 0
	ds_read_b64 v[19:20], v19 offset:29640
	s_waitcnt lgkmcnt(0)
	v_mul_f64 v[11:12], v[11:12], v[19:20]
	v_xor_b32_e32 v20, 0x80000000, v12
	v_mov_b32_e32 v19, v11
	ds_write_b64 v14, v[19:20]
.LBB126_108:
	s_or_b64 exec, exec, s[0:1]
	s_waitcnt lgkmcnt(0)
	s_barrier
	s_and_saveexec_b64 s[0:1], s[38:39]
	s_cbranch_execz .LBB126_110
; %bb.109:
	v_mov_b32_e32 v19, 0
	ds_read_b64 v[19:20], v19 offset:29632
	ds_read_b64 v[21:22], v14
	s_waitcnt lgkmcnt(0)
	v_fma_f64 v[11:12], -v[19:20], v[21:22], v[11:12]
.LBB126_110:
	s_or_b64 exec, exec, s[0:1]
	s_barrier
	s_and_saveexec_b64 s[0:1], s[38:39]
	s_cbranch_execz .LBB126_112
; %bb.111:
	v_mov_b32_e32 v19, 0
	ds_read_b64 v[19:20], v19 offset:29120
	s_waitcnt lgkmcnt(0)
	v_mul_f64 v[11:12], v[11:12], v[19:20]
	v_xor_b32_e32 v20, 0x80000000, v12
	v_mov_b32_e32 v19, v11
	ds_write_b64 v14, v[19:20]
.LBB126_112:
	s_or_b64 exec, exec, s[0:1]
	s_waitcnt lgkmcnt(0)
	s_barrier
	s_barrier
	s_and_saveexec_b64 s[0:1], s[2:3]
; %bb.113:
	v_lshlrev_b32_e32 v19, 3, v1
	v_lshl_or_b32 v19, v13, 9, v19
	ds_write_b64 v19, v[11:12] offset:30144
; %bb.114:
	s_or_b64 exec, exec, s[0:1]
	s_waitcnt lgkmcnt(0)
	s_barrier
	s_barrier
	s_and_saveexec_b64 s[0:1], s[42:43]
	s_cbranch_execz .LBB126_116
; %bb.115:
	v_lshlrev_b32_e32 v19, 3, v0
	s_movk_i32 s8, 0x1f8
	v_mad_u32_u24 v20, v0, s8, v19
	ds_read_b64 v[11:12], v20 offset:30144
	s_waitcnt lgkmcnt(0)
	ds_write_b64 v19, v[11:12] offset:29136
	ds_read_b64 v[11:12], v20 offset:30152
	s_waitcnt lgkmcnt(0)
	ds_write_b64 v19, v[11:12] offset:29648
.LBB126_116:
	s_or_b64 exec, exec, s[0:1]
	s_waitcnt lgkmcnt(0)
	s_barrier
	s_and_saveexec_b64 s[0:1], vcc
	s_cbranch_execz .LBB126_118
; %bb.117:
	v_mov_b32_e32 v11, 0
	ds_read_b128 v[19:22], v11 offset:29632
	ds_read_b64 v[11:12], v11 offset:29120
	s_movk_i32 s8, 0x7000
	s_waitcnt lgkmcnt(0)
	v_mul_f64 v[11:12], v[11:12], v[21:22]
	v_mul_f64 v[11:12], v[19:20], v[11:12]
	v_add_u32_e64 v19, s8, 0
	ds_write2_b64 v19, v[11:12], v[11:12] offset0:57 offset1:120
.LBB126_118:
	s_or_b64 exec, exec, s[0:1]
	v_lshrrev_b32_e32 v21, 3, v15
	v_mov_b32_e32 v11, 0
	v_and_b32_e32 v19, 7, v0
	v_sub_u32_e32 v20, 7, v21
	v_cmp_lt_u32_e64 s[10:11], 63, v15
	v_mov_b32_e32 v12, 0
	v_cmp_gt_u32_e64 s[8:9], 64, v15
	s_waitcnt lgkmcnt(0)
	s_barrier
	buffer_wbinvl1_vol
	s_and_saveexec_b64 s[0:1], s[8:9]
	s_cbranch_execz .LBB126_128
; %bb.119:
	v_lshlrev_b32_e32 v23, 3, v19
	v_lshlrev_b32_e32 v22, 9, v20
	ds_read_b64 v[11:12], v23 offset:29056
	ds_read_b64 v[24:25], v22 offset:29120
	v_cmp_gt_u32_e64 s[14:15], 56, v15
	s_waitcnt lgkmcnt(0)
	v_fma_f64 v[11:12], v[11:12], v[24:25], 0
	s_and_saveexec_b64 s[16:17], s[14:15]
	s_cbranch_execnz .LBB126_1100
; %bb.120:
	s_or_b64 exec, exec, s[16:17]
	v_cmp_gt_u32_e64 s[14:15], 48, v15
	s_and_saveexec_b64 s[16:17], s[14:15]
	s_cbranch_execnz .LBB126_1101
.LBB126_121:
	s_or_b64 exec, exec, s[16:17]
	v_cmp_gt_u32_e64 s[14:15], 40, v15
	s_and_saveexec_b64 s[16:17], s[14:15]
	s_cbranch_execnz .LBB126_1102
.LBB126_122:
	s_or_b64 exec, exec, s[16:17]
	v_cmp_gt_u32_e64 s[14:15], 32, v15
	s_and_saveexec_b64 s[16:17], s[14:15]
	s_cbranch_execnz .LBB126_1103
.LBB126_123:
	s_or_b64 exec, exec, s[16:17]
	v_cmp_gt_u32_e64 s[14:15], 24, v15
	s_and_saveexec_b64 s[16:17], s[14:15]
	s_cbranch_execnz .LBB126_1104
.LBB126_124:
	s_or_b64 exec, exec, s[16:17]
	s_and_saveexec_b64 s[14:15], s[18:19]
	s_cbranch_execnz .LBB126_1105
.LBB126_125:
	s_or_b64 exec, exec, s[14:15]
	v_cmp_gt_u32_e64 s[14:15], 8, v15
	s_and_saveexec_b64 s[16:17], s[14:15]
	s_cbranch_execz .LBB126_127
.LBB126_126:
	v_lshlrev_b32_e32 v22, 3, v0
	v_mov_b32_e32 v24, 0
	ds_read_b64 v[22:23], v22 offset:32640
	ds_read_b64 v[24:25], v24 offset:32760
	s_waitcnt lgkmcnt(0)
	v_fma_f64 v[11:12], v[22:23], v[24:25], v[11:12]
.LBB126_127:
	s_or_b64 exec, exec, s[16:17]
.LBB126_128:
	v_writelane_b32 v36, s58, 3
	v_writelane_b32 v36, s59, 4
	;; [unrolled: 1-line block ×4, first 2 shown]
	s_or_b64 exec, exec, s[0:1]
	v_mov_b32_e32 v22, 0x8000
	v_cmp_eq_u32_e64 s[14:15], 7, v19
	s_xor_b64 s[0:1], s[10:11], -1
	v_lshl_add_u32 v21, v21, 3, v22
	s_and_b64 s[58:59], s[14:15], s[0:1]
	s_and_saveexec_b64 s[10:11], s[58:59]
	s_cbranch_execz .LBB126_130
; %bb.129:
	v_mov_b32_e32 v22, 0
	ds_read_b64 v[22:23], v22 offset:28600
	s_waitcnt lgkmcnt(0)
	v_mul_f64 v[11:12], v[11:12], v[22:23]
	v_xor_b32_e32 v23, 0x80000000, v12
	v_mov_b32_e32 v22, v11
	ds_write_b64 v21, v[22:23]
.LBB126_130:
	s_or_b64 exec, exec, s[10:11]
	v_cmp_ne_u32_e64 s[10:11], 7, v19
	s_and_b64 s[60:61], s[10:11], s[0:1]
	s_waitcnt lgkmcnt(0)
	s_barrier
	s_and_saveexec_b64 s[10:11], s[60:61]
	s_cbranch_execz .LBB126_132
; %bb.131:
	v_lshlrev_b32_e32 v22, 3, v19
	ds_read_b64 v[22:23], v22 offset:28544
	ds_read_b64 v[24:25], v21
	s_waitcnt lgkmcnt(0)
	v_fma_f64 v[11:12], -v[22:23], v[24:25], v[11:12]
.LBB126_132:
	s_or_b64 exec, exec, s[10:11]
	v_cmp_eq_u32_e64 s[10:11], 6, v19
	s_and_b64 s[62:63], s[10:11], s[0:1]
	s_barrier
	s_and_saveexec_b64 s[10:11], s[62:63]
	s_cbranch_execz .LBB126_134
; %bb.133:
	v_mov_b32_e32 v22, 0
	ds_read_b64 v[22:23], v22 offset:28080
	s_waitcnt lgkmcnt(0)
	v_mul_f64 v[11:12], v[11:12], v[22:23]
	v_xor_b32_e32 v23, 0x80000000, v12
	v_mov_b32_e32 v22, v11
	ds_write_b64 v21, v[22:23]
.LBB126_134:
	s_or_b64 exec, exec, s[10:11]
	v_cmp_gt_u32_e64 s[10:11], 6, v19
	s_and_b64 s[64:65], s[10:11], s[0:1]
	s_waitcnt lgkmcnt(0)
	s_barrier
	s_and_saveexec_b64 s[10:11], s[64:65]
	s_cbranch_execz .LBB126_136
; %bb.135:
	v_lshlrev_b32_e32 v22, 3, v19
	ds_read_b64 v[22:23], v22 offset:28032
	ds_read_b64 v[24:25], v21
	s_waitcnt lgkmcnt(0)
	v_fma_f64 v[11:12], -v[22:23], v[24:25], v[11:12]
.LBB126_136:
	s_or_b64 exec, exec, s[10:11]
	v_cmp_eq_u32_e64 s[10:11], 5, v19
	s_and_b64 s[66:67], s[10:11], s[0:1]
	s_barrier
	s_and_saveexec_b64 s[10:11], s[66:67]
	s_cbranch_execz .LBB126_138
; %bb.137:
	v_mov_b32_e32 v22, 0
	ds_read_b64 v[22:23], v22 offset:27560
	s_waitcnt lgkmcnt(0)
	v_mul_f64 v[11:12], v[11:12], v[22:23]
	v_xor_b32_e32 v23, 0x80000000, v12
	v_mov_b32_e32 v22, v11
	ds_write_b64 v21, v[22:23]
.LBB126_138:
	s_or_b64 exec, exec, s[10:11]
	v_cmp_gt_u32_e64 s[10:11], 5, v19
	;; [unrolled: 29-line block ×5, first 2 shown]
	s_and_b64 s[82:83], s[10:11], s[0:1]
	s_waitcnt lgkmcnt(0)
	s_barrier
	s_and_saveexec_b64 s[10:11], s[82:83]
	s_cbranch_execz .LBB126_152
; %bb.151:
	v_lshlrev_b32_e32 v22, 3, v19
	ds_read_b64 v[22:23], v22 offset:25984
	ds_read_b64 v[24:25], v21
	s_waitcnt lgkmcnt(0)
	v_fma_f64 v[11:12], -v[22:23], v[24:25], v[11:12]
.LBB126_152:
	s_or_b64 exec, exec, s[10:11]
	v_cmp_eq_u32_e64 s[10:11], 1, v19
	s_and_b64 s[84:85], s[10:11], s[0:1]
	s_barrier
	s_and_saveexec_b64 s[10:11], s[84:85]
	s_cbranch_execz .LBB126_154
; %bb.153:
	v_mov_b32_e32 v22, 0
	ds_read_b64 v[22:23], v22 offset:25480
	s_waitcnt lgkmcnt(0)
	v_mul_f64 v[11:12], v[11:12], v[22:23]
	v_xor_b32_e32 v23, 0x80000000, v12
	v_mov_b32_e32 v22, v11
	ds_write_b64 v21, v[22:23]
.LBB126_154:
	s_or_b64 exec, exec, s[10:11]
	v_cmp_eq_u32_e64 s[10:11], 0, v19
	s_and_b64 s[68:69], s[10:11], s[0:1]
	s_waitcnt lgkmcnt(0)
	s_barrier
	s_and_saveexec_b64 s[0:1], s[68:69]
	s_cbranch_execz .LBB126_156
; %bb.155:
	v_mov_b32_e32 v22, 0
	ds_read_b64 v[22:23], v22 offset:25472
	ds_read_b64 v[24:25], v21
	s_waitcnt lgkmcnt(0)
	v_fma_f64 v[11:12], -v[22:23], v[24:25], v[11:12]
.LBB126_156:
	s_or_b64 exec, exec, s[0:1]
	s_barrier
	s_and_saveexec_b64 s[0:1], s[68:69]
	s_cbranch_execz .LBB126_158
; %bb.157:
	v_mov_b32_e32 v22, 0
	ds_read_b64 v[22:23], v22 offset:24960
	s_waitcnt lgkmcnt(0)
	v_mul_f64 v[11:12], v[11:12], v[22:23]
	v_xor_b32_e32 v23, 0x80000000, v12
	v_mov_b32_e32 v22, v11
	ds_write_b64 v21, v[22:23]
.LBB126_158:
	s_or_b64 exec, exec, s[0:1]
	s_waitcnt lgkmcnt(0)
	s_barrier
	s_barrier
	s_and_saveexec_b64 s[0:1], s[8:9]
; %bb.159:
	v_lshlrev_b32_e32 v22, 3, v19
	v_lshl_or_b32 v22, v20, 9, v22
	ds_write_b64 v22, v[11:12] offset:29056
; %bb.160:
	s_or_b64 exec, exec, s[0:1]
	v_cmp_gt_u32_e64 s[10:11], 8, v0
	s_and_b64 s[86:87], s[12:13], s[10:11]
	s_waitcnt lgkmcnt(0)
	s_barrier
	s_barrier
	s_and_saveexec_b64 s[0:1], s[86:87]
	s_cbranch_execz .LBB126_162
; %bb.161:
	v_lshlrev_b32_e32 v22, 9, v0
	ds_read_b64 v[11:12], v22 offset:29056
	s_movk_i32 s10, 0xfe08
	v_mad_i32_i24 v23, v0, s10, v22
	s_waitcnt lgkmcnt(0)
	ds_write_b64 v23, v[11:12] offset:25024
	ds_read_b64 v[11:12], v22 offset:29064
	s_waitcnt lgkmcnt(0)
	ds_write_b64 v23, v[11:12] offset:25536
	ds_read_b64 v[11:12], v22 offset:29072
	;; [unrolled: 3-line block ×7, first 2 shown]
	s_waitcnt lgkmcnt(0)
	ds_write_b64 v23, v[11:12] offset:28608
.LBB126_162:
	s_or_b64 exec, exec, s[0:1]
	s_waitcnt lgkmcnt(0)
	s_barrier
	s_and_saveexec_b64 s[0:1], vcc
	s_cbranch_execz .LBB126_164
; %bb.163:
	v_mov_b32_e32 v11, 0
	ds_read_b128 v[22:25], v11 offset:28592
	ds_read_b64 v[11:12], v11 offset:28080
	s_movk_i32 s10, 0x6800
	s_waitcnt lgkmcnt(0)
	v_mul_f64 v[11:12], v[11:12], v[24:25]
	v_mul_f64 v[11:12], v[22:23], v[11:12]
	v_add_u32_e64 v22, s10, 0
	ds_write2_b64 v22, v[11:12], v[11:12] offset0:183 offset1:246
.LBB126_164:
	s_or_b64 exec, exec, s[0:1]
	v_mov_b32_e32 v11, 0
	v_mov_b32_e32 v12, 0
	s_waitcnt lgkmcnt(0)
	s_barrier
	buffer_wbinvl1_vol
	s_and_saveexec_b64 s[0:1], s[2:3]
	s_cbranch_execz .LBB126_168
; %bb.165:
	v_lshlrev_b32_e32 v22, 9, v13
	v_lshlrev_b32_e32 v11, 3, v1
	ds_read_b64 v[11:12], v11 offset:28064
	ds_read_b64 v[22:23], v22 offset:28080
	v_cmp_gt_u32_e64 s[10:11], 2, v15
	s_waitcnt lgkmcnt(0)
	v_fma_f64 v[11:12], v[11:12], v[22:23], 0
	s_and_saveexec_b64 s[14:15], s[10:11]
	s_cbranch_execz .LBB126_167
; %bb.166:
	v_lshlrev_b32_e32 v22, 3, v0
	v_mov_b32_e32 v24, 0
	ds_read_b64 v[22:23], v22 offset:28576
	ds_read_b64 v[24:25], v24 offset:28600
	s_waitcnt lgkmcnt(0)
	v_fma_f64 v[11:12], v[22:23], v[24:25], v[11:12]
.LBB126_167:
	s_or_b64 exec, exec, s[14:15]
.LBB126_168:
	s_or_b64 exec, exec, s[0:1]
	s_and_saveexec_b64 s[0:1], s[40:41]
	s_cbranch_execz .LBB126_170
; %bb.169:
	v_mov_b32_e32 v22, 0
	ds_read_b64 v[22:23], v22 offset:27560
	s_waitcnt lgkmcnt(0)
	v_mul_f64 v[11:12], v[11:12], v[22:23]
	v_xor_b32_e32 v23, 0x80000000, v12
	v_mov_b32_e32 v22, v11
	ds_write_b64 v14, v[22:23]
.LBB126_170:
	s_or_b64 exec, exec, s[0:1]
	s_waitcnt lgkmcnt(0)
	s_barrier
	s_and_saveexec_b64 s[0:1], s[38:39]
	s_cbranch_execz .LBB126_172
; %bb.171:
	v_mov_b32_e32 v22, 0
	ds_read_b64 v[22:23], v22 offset:27552
	ds_read_b64 v[24:25], v14
	s_waitcnt lgkmcnt(0)
	v_fma_f64 v[11:12], -v[22:23], v[24:25], v[11:12]
.LBB126_172:
	s_or_b64 exec, exec, s[0:1]
	s_barrier
	s_and_saveexec_b64 s[0:1], s[38:39]
	s_cbranch_execz .LBB126_174
; %bb.173:
	v_mov_b32_e32 v22, 0
	ds_read_b64 v[22:23], v22 offset:27040
	s_waitcnt lgkmcnt(0)
	v_mul_f64 v[11:12], v[11:12], v[22:23]
	v_xor_b32_e32 v23, 0x80000000, v12
	v_mov_b32_e32 v22, v11
	ds_write_b64 v14, v[22:23]
.LBB126_174:
	s_or_b64 exec, exec, s[0:1]
	s_waitcnt lgkmcnt(0)
	s_barrier
	s_barrier
	s_and_saveexec_b64 s[0:1], s[2:3]
; %bb.175:
	v_lshlrev_b32_e32 v22, 3, v1
	v_lshl_or_b32 v22, v13, 9, v22
	ds_write_b64 v22, v[11:12] offset:28064
; %bb.176:
	s_or_b64 exec, exec, s[0:1]
	s_waitcnt lgkmcnt(0)
	s_barrier
	s_barrier
	s_and_saveexec_b64 s[0:1], s[42:43]
	s_cbranch_execz .LBB126_178
; %bb.177:
	v_lshlrev_b32_e32 v22, 3, v0
	s_movk_i32 s10, 0x1f8
	v_mad_u32_u24 v23, v0, s10, v22
	ds_read_b64 v[11:12], v23 offset:28064
	s_waitcnt lgkmcnt(0)
	ds_write_b64 v22, v[11:12] offset:27056
	ds_read_b64 v[11:12], v23 offset:28072
	s_waitcnt lgkmcnt(0)
	ds_write_b64 v22, v[11:12] offset:27568
.LBB126_178:
	s_or_b64 exec, exec, s[0:1]
	s_waitcnt lgkmcnt(0)
	s_barrier
	s_and_saveexec_b64 s[0:1], vcc
	s_cbranch_execz .LBB126_180
; %bb.179:
	v_mov_b32_e32 v11, 0
	ds_read_b128 v[22:25], v11 offset:27552
	ds_read_b64 v[11:12], v11 offset:27040
	s_movk_i32 s10, 0x6800
	s_waitcnt lgkmcnt(0)
	v_mul_f64 v[11:12], v[11:12], v[24:25]
	v_mul_f64 v[11:12], v[22:23], v[11:12]
	v_add_u32_e64 v22, s10, 0
	ds_write2_b64 v22, v[11:12], v[11:12] offset0:53 offset1:116
.LBB126_180:
	s_or_b64 exec, exec, s[0:1]
	v_mov_b32_e32 v11, 0
	v_mov_b32_e32 v12, 0
	s_waitcnt lgkmcnt(0)
	s_barrier
	buffer_wbinvl1_vol
	s_and_saveexec_b64 s[0:1], s[18:19]
	s_cbranch_execz .LBB126_186
; %bb.181:
	v_lshlrev_b32_e32 v23, 3, v16
	v_lshlrev_b32_e32 v22, 9, v17
	ds_read_b64 v[11:12], v23 offset:27008
	ds_read_b64 v[24:25], v22 offset:27040
	v_cmp_gt_u32_e64 s[10:11], 12, v15
	s_waitcnt lgkmcnt(0)
	v_fma_f64 v[11:12], v[11:12], v[24:25], 0
	s_and_saveexec_b64 s[14:15], s[10:11]
	s_cbranch_execnz .LBB126_1106
; %bb.182:
	s_or_b64 exec, exec, s[14:15]
	v_cmp_gt_u32_e64 s[10:11], 8, v15
	s_and_saveexec_b64 s[14:15], s[10:11]
	s_cbranch_execnz .LBB126_1107
.LBB126_183:
	s_or_b64 exec, exec, s[14:15]
	v_cmp_gt_u32_e64 s[10:11], 4, v15
	s_and_saveexec_b64 s[14:15], s[10:11]
	s_cbranch_execz .LBB126_185
.LBB126_184:
	v_lshlrev_b32_e32 v22, 3, v0
	v_mov_b32_e32 v24, 0
	ds_read_b64 v[22:23], v22 offset:28544
	ds_read_b64 v[24:25], v24 offset:28600
	s_waitcnt lgkmcnt(0)
	v_fma_f64 v[11:12], v[22:23], v[24:25], v[11:12]
.LBB126_185:
	s_or_b64 exec, exec, s[14:15]
.LBB126_186:
	s_or_b64 exec, exec, s[0:1]
	s_and_saveexec_b64 s[0:1], s[46:47]
	s_cbranch_execz .LBB126_188
; %bb.187:
	v_mov_b32_e32 v22, 0
	ds_read_b64 v[22:23], v22 offset:26520
	s_waitcnt lgkmcnt(0)
	v_mul_f64 v[11:12], v[11:12], v[22:23]
	v_xor_b32_e32 v23, 0x80000000, v12
	v_mov_b32_e32 v22, v11
	ds_write_b64 v18, v[22:23]
.LBB126_188:
	s_or_b64 exec, exec, s[0:1]
	s_waitcnt lgkmcnt(0)
	s_barrier
	s_and_saveexec_b64 s[0:1], s[48:49]
	s_cbranch_execz .LBB126_190
; %bb.189:
	v_lshlrev_b32_e32 v22, 3, v16
	ds_read_b64 v[22:23], v22 offset:26496
	ds_read_b64 v[24:25], v18
	s_waitcnt lgkmcnt(0)
	v_fma_f64 v[11:12], -v[22:23], v[24:25], v[11:12]
.LBB126_190:
	s_or_b64 exec, exec, s[0:1]
	s_barrier
	s_and_saveexec_b64 s[0:1], s[50:51]
	s_cbranch_execz .LBB126_192
; %bb.191:
	v_mov_b32_e32 v22, 0
	ds_read_b64 v[22:23], v22 offset:26000
	s_waitcnt lgkmcnt(0)
	v_mul_f64 v[11:12], v[11:12], v[22:23]
	v_xor_b32_e32 v23, 0x80000000, v12
	v_mov_b32_e32 v22, v11
	ds_write_b64 v18, v[22:23]
.LBB126_192:
	s_or_b64 exec, exec, s[0:1]
	s_waitcnt lgkmcnt(0)
	s_barrier
	s_and_saveexec_b64 s[0:1], s[52:53]
	s_cbranch_execz .LBB126_194
; %bb.193:
	v_lshlrev_b32_e32 v22, 3, v16
	ds_read_b64 v[22:23], v22 offset:25984
	ds_read_b64 v[24:25], v18
	s_waitcnt lgkmcnt(0)
	v_fma_f64 v[11:12], -v[22:23], v[24:25], v[11:12]
.LBB126_194:
	s_or_b64 exec, exec, s[0:1]
	s_barrier
	s_and_saveexec_b64 s[0:1], s[54:55]
	s_cbranch_execz .LBB126_196
; %bb.195:
	v_mov_b32_e32 v22, 0
	ds_read_b64 v[22:23], v22 offset:25480
	s_waitcnt lgkmcnt(0)
	v_mul_f64 v[11:12], v[11:12], v[22:23]
	v_xor_b32_e32 v23, 0x80000000, v12
	v_mov_b32_e32 v22, v11
	ds_write_b64 v18, v[22:23]
.LBB126_196:
	s_or_b64 exec, exec, s[0:1]
	s_waitcnt lgkmcnt(0)
	s_barrier
	s_and_saveexec_b64 s[0:1], s[44:45]
	s_cbranch_execz .LBB126_198
; %bb.197:
	v_mov_b32_e32 v22, 0
	ds_read_b64 v[22:23], v22 offset:25472
	ds_read_b64 v[24:25], v18
	s_waitcnt lgkmcnt(0)
	v_fma_f64 v[11:12], -v[22:23], v[24:25], v[11:12]
.LBB126_198:
	s_or_b64 exec, exec, s[0:1]
	s_barrier
	s_and_saveexec_b64 s[0:1], s[44:45]
	s_cbranch_execz .LBB126_200
; %bb.199:
	v_mov_b32_e32 v22, 0
	ds_read_b64 v[22:23], v22 offset:24960
	s_waitcnt lgkmcnt(0)
	v_mul_f64 v[11:12], v[11:12], v[22:23]
	v_xor_b32_e32 v23, 0x80000000, v12
	v_mov_b32_e32 v22, v11
	ds_write_b64 v18, v[22:23]
.LBB126_200:
	s_or_b64 exec, exec, s[0:1]
	s_waitcnt lgkmcnt(0)
	s_barrier
	s_barrier
	s_and_saveexec_b64 s[0:1], s[18:19]
; %bb.201:
	v_lshlrev_b32_e32 v22, 3, v16
	v_lshl_or_b32 v22, v17, 9, v22
	ds_write_b64 v22, v[11:12] offset:27008
; %bb.202:
	s_or_b64 exec, exec, s[0:1]
	s_waitcnt lgkmcnt(0)
	s_barrier
	s_barrier
	s_and_saveexec_b64 s[0:1], s[56:57]
	s_cbranch_execz .LBB126_204
; %bb.203:
	v_lshlrev_b32_e32 v22, 9, v0
	ds_read_b64 v[11:12], v22 offset:27008
	s_movk_i32 s10, 0xfe08
	v_mad_i32_i24 v23, v0, s10, v22
	s_waitcnt lgkmcnt(0)
	ds_write_b64 v23, v[11:12] offset:24992
	ds_read_b64 v[11:12], v22 offset:27016
	s_waitcnt lgkmcnt(0)
	ds_write_b64 v23, v[11:12] offset:25504
	ds_read_b64 v[11:12], v22 offset:27024
	;; [unrolled: 3-line block ×3, first 2 shown]
	s_waitcnt lgkmcnt(0)
	ds_write_b64 v23, v[11:12] offset:26528
.LBB126_204:
	s_or_b64 exec, exec, s[0:1]
	s_waitcnt lgkmcnt(0)
	s_barrier
	s_and_saveexec_b64 s[0:1], vcc
	s_cbranch_execz .LBB126_206
; %bb.205:
	v_mov_b32_e32 v11, 0
	ds_read_b128 v[22:25], v11 offset:26512
	ds_read_b64 v[11:12], v11 offset:26000
	s_movk_i32 s10, 0x6000
	s_waitcnt lgkmcnt(0)
	v_mul_f64 v[11:12], v[11:12], v[24:25]
	v_mul_f64 v[11:12], v[22:23], v[11:12]
	v_add_u32_e64 v22, s10, 0
	ds_write2_b64 v22, v[11:12], v[11:12] offset0:179 offset1:242
.LBB126_206:
	s_or_b64 exec, exec, s[0:1]
	v_mov_b32_e32 v11, 0
	v_mov_b32_e32 v12, 0
	s_waitcnt lgkmcnt(0)
	s_barrier
	buffer_wbinvl1_vol
	s_and_saveexec_b64 s[0:1], s[2:3]
	s_cbranch_execz .LBB126_210
; %bb.207:
	v_lshlrev_b32_e32 v22, 9, v13
	v_lshlrev_b32_e32 v11, 3, v1
	ds_read_b64 v[11:12], v11 offset:25984
	ds_read_b64 v[22:23], v22 offset:26000
	v_cmp_gt_u32_e64 s[10:11], 2, v15
	s_waitcnt lgkmcnt(0)
	v_fma_f64 v[11:12], v[11:12], v[22:23], 0
	s_and_saveexec_b64 s[14:15], s[10:11]
	s_cbranch_execz .LBB126_209
; %bb.208:
	v_lshlrev_b32_e32 v22, 3, v0
	v_mov_b32_e32 v24, 0
	ds_read_b64 v[22:23], v22 offset:26496
	ds_read_b64 v[24:25], v24 offset:26520
	s_waitcnt lgkmcnt(0)
	v_fma_f64 v[11:12], v[22:23], v[24:25], v[11:12]
.LBB126_209:
	s_or_b64 exec, exec, s[14:15]
.LBB126_210:
	s_or_b64 exec, exec, s[0:1]
	s_and_saveexec_b64 s[0:1], s[40:41]
	s_cbranch_execz .LBB126_212
; %bb.211:
	v_mov_b32_e32 v22, 0
	ds_read_b64 v[22:23], v22 offset:25480
	s_waitcnt lgkmcnt(0)
	v_mul_f64 v[11:12], v[11:12], v[22:23]
	v_xor_b32_e32 v23, 0x80000000, v12
	v_mov_b32_e32 v22, v11
	ds_write_b64 v14, v[22:23]
.LBB126_212:
	s_or_b64 exec, exec, s[0:1]
	s_waitcnt lgkmcnt(0)
	s_barrier
	s_and_saveexec_b64 s[0:1], s[38:39]
	s_cbranch_execz .LBB126_214
; %bb.213:
	v_mov_b32_e32 v22, 0
	ds_read_b64 v[22:23], v22 offset:25472
	ds_read_b64 v[24:25], v14
	s_waitcnt lgkmcnt(0)
	v_fma_f64 v[11:12], -v[22:23], v[24:25], v[11:12]
.LBB126_214:
	s_or_b64 exec, exec, s[0:1]
	s_barrier
	s_and_saveexec_b64 s[0:1], s[38:39]
	s_cbranch_execz .LBB126_216
; %bb.215:
	v_mov_b32_e32 v22, 0
	ds_read_b64 v[22:23], v22 offset:24960
	s_waitcnt lgkmcnt(0)
	v_mul_f64 v[11:12], v[11:12], v[22:23]
	v_xor_b32_e32 v23, 0x80000000, v12
	v_mov_b32_e32 v22, v11
	ds_write_b64 v14, v[22:23]
.LBB126_216:
	s_or_b64 exec, exec, s[0:1]
	s_waitcnt lgkmcnt(0)
	s_barrier
	s_barrier
	s_and_saveexec_b64 s[0:1], s[2:3]
; %bb.217:
	v_lshlrev_b32_e32 v22, 3, v1
	v_lshl_or_b32 v22, v13, 9, v22
	ds_write_b64 v22, v[11:12] offset:25984
; %bb.218:
	s_or_b64 exec, exec, s[0:1]
	s_waitcnt lgkmcnt(0)
	s_barrier
	s_barrier
	s_and_saveexec_b64 s[0:1], s[42:43]
	s_cbranch_execz .LBB126_220
; %bb.219:
	v_lshlrev_b32_e32 v22, 3, v0
	s_movk_i32 s10, 0x1f8
	v_mad_u32_u24 v23, v0, s10, v22
	ds_read_b64 v[11:12], v23 offset:25984
	s_waitcnt lgkmcnt(0)
	ds_write_b64 v22, v[11:12] offset:24976
	ds_read_b64 v[11:12], v23 offset:25992
	s_waitcnt lgkmcnt(0)
	ds_write_b64 v22, v[11:12] offset:25488
.LBB126_220:
	s_or_b64 exec, exec, s[0:1]
	s_waitcnt lgkmcnt(0)
	s_barrier
	s_and_saveexec_b64 s[0:1], vcc
	s_cbranch_execz .LBB126_222
; %bb.221:
	v_mov_b32_e32 v11, 0
	ds_read_b128 v[22:25], v11 offset:25472
	ds_read_b64 v[11:12], v11 offset:24960
	s_movk_i32 s10, 0x6000
	s_waitcnt lgkmcnt(0)
	v_mul_f64 v[11:12], v[11:12], v[24:25]
	v_mul_f64 v[11:12], v[22:23], v[11:12]
	v_add_u32_e64 v22, s10, 0
	ds_write2_b64 v22, v[11:12], v[11:12] offset0:49 offset1:112
.LBB126_222:
	s_or_b64 exec, exec, s[0:1]
	s_movk_i32 s0, 0xff
	v_lshrrev_b32_e32 v24, 4, v15
	v_cmp_lt_u32_e64 s[14:15], s0, v15
	s_movk_i32 s0, 0x100
	v_mov_b32_e32 v11, 0
	v_and_b32_e32 v22, 15, v0
	v_sub_u32_e32 v23, 15, v24
	v_mov_b32_e32 v12, 0
	v_cmp_gt_u32_e64 s[10:11], s0, v15
	s_waitcnt lgkmcnt(0)
	s_barrier
	buffer_wbinvl1_vol
	s_and_saveexec_b64 s[0:1], s[10:11]
	s_cbranch_execz .LBB126_250
; %bb.223:
	v_lshlrev_b32_e32 v26, 3, v22
	v_lshlrev_b32_e32 v25, 9, v23
	ds_read_b64 v[11:12], v26 offset:24832
	ds_read_b64 v[27:28], v25 offset:24960
	s_movk_i32 s16, 0xf0
	v_cmp_gt_u32_e64 s[16:17], s16, v15
	s_waitcnt lgkmcnt(0)
	v_fma_f64 v[11:12], v[11:12], v[27:28], 0
	s_and_saveexec_b64 s[20:21], s[16:17]
	s_cbranch_execz .LBB126_225
; %bb.224:
	ds_read_b64 v[27:28], v26 offset:25344
	ds_read_b64 v[29:30], v25 offset:24968
	s_waitcnt lgkmcnt(0)
	v_fma_f64 v[11:12], v[27:28], v[29:30], v[11:12]
.LBB126_225:
	s_or_b64 exec, exec, s[20:21]
	s_movk_i32 s16, 0xe0
	v_cmp_gt_u32_e64 s[16:17], s16, v15
	s_and_saveexec_b64 s[20:21], s[16:17]
	s_cbranch_execz .LBB126_227
; %bb.226:
	ds_read_b64 v[27:28], v26 offset:25856
	ds_read_b64 v[29:30], v25 offset:24976
	s_waitcnt lgkmcnt(0)
	v_fma_f64 v[11:12], v[27:28], v[29:30], v[11:12]
.LBB126_227:
	s_or_b64 exec, exec, s[20:21]
	s_movk_i32 s16, 0xd0
	v_cmp_gt_u32_e64 s[16:17], s16, v15
	;; [unrolled: 11-line block ×10, first 2 shown]
	s_and_saveexec_b64 s[20:21], s[16:17]
	s_cbranch_execnz .LBB126_1108
; %bb.244:
	s_or_b64 exec, exec, s[20:21]
	s_and_saveexec_b64 s[16:17], s[8:9]
	s_cbranch_execnz .LBB126_1109
.LBB126_245:
	s_or_b64 exec, exec, s[16:17]
	v_cmp_gt_u32_e64 s[16:17], 48, v15
	s_and_saveexec_b64 s[20:21], s[16:17]
	s_cbranch_execnz .LBB126_1110
.LBB126_246:
	s_or_b64 exec, exec, s[20:21]
	v_cmp_gt_u32_e64 s[16:17], 32, v15
	s_and_saveexec_b64 s[20:21], s[16:17]
	s_cbranch_execnz .LBB126_1111
.LBB126_247:
	s_or_b64 exec, exec, s[20:21]
	v_cmp_gt_u32_e64 s[16:17], 16, v15
	s_and_saveexec_b64 s[20:21], s[16:17]
	s_cbranch_execz .LBB126_249
.LBB126_248:
	v_lshlrev_b32_e32 v25, 3, v0
	v_mov_b32_e32 v27, 0
	ds_read_b64 v[25:26], v25 offset:32512
	ds_read_b64 v[27:28], v27 offset:32760
	s_waitcnt lgkmcnt(0)
	v_fma_f64 v[11:12], v[25:26], v[27:28], v[11:12]
.LBB126_249:
	s_or_b64 exec, exec, s[20:21]
.LBB126_250:
	s_or_b64 exec, exec, s[0:1]
	v_mov_b32_e32 v25, 0x8000
	v_lshl_add_u32 v24, v24, 3, v25
	v_cmp_eq_u32_e64 s[16:17], 15, v22
	s_xor_b64 s[20:21], s[14:15], -1
	s_and_b64 s[14:15], s[16:17], s[20:21]
	s_mov_b64 s[0:1], exec
	v_writelane_b32 v36, s14, 7
	v_writelane_b32 v36, s15, 8
	s_and_b64 s[14:15], s[0:1], s[14:15]
	s_mov_b64 exec, s[14:15]
	s_cbranch_execz .LBB126_252
; %bb.251:
	v_mov_b32_e32 v25, 0
	ds_read_b64 v[25:26], v25 offset:24440
	s_waitcnt lgkmcnt(0)
	v_mul_f64 v[11:12], v[11:12], v[25:26]
	v_xor_b32_e32 v26, 0x80000000, v12
	v_mov_b32_e32 v25, v11
	ds_write_b64 v24, v[25:26]
.LBB126_252:
	s_or_b64 exec, exec, s[0:1]
	v_cmp_ne_u32_e64 s[14:15], 15, v22
	s_waitcnt lgkmcnt(0)
	s_barrier
	s_and_b64 s[14:15], s[14:15], s[20:21]
	s_mov_b64 s[0:1], exec
	v_writelane_b32 v36, s14, 9
	v_writelane_b32 v36, s15, 10
	s_and_b64 s[14:15], s[0:1], s[14:15]
	s_mov_b64 exec, s[14:15]
	s_cbranch_execz .LBB126_254
; %bb.253:
	v_lshlrev_b32_e32 v25, 3, v22
	ds_read_b64 v[25:26], v25 offset:24320
	ds_read_b64 v[27:28], v24
	s_waitcnt lgkmcnt(0)
	v_fma_f64 v[11:12], -v[25:26], v[27:28], v[11:12]
.LBB126_254:
	s_or_b64 exec, exec, s[0:1]
	v_cmp_eq_u32_e64 s[14:15], 14, v22
	s_barrier
	s_and_b64 s[14:15], s[14:15], s[20:21]
	s_mov_b64 s[0:1], exec
	v_writelane_b32 v36, s14, 11
	v_writelane_b32 v36, s15, 12
	s_and_b64 s[14:15], s[0:1], s[14:15]
	s_mov_b64 exec, s[14:15]
	s_cbranch_execz .LBB126_256
; %bb.255:
	v_mov_b32_e32 v25, 0
	ds_read_b64 v[25:26], v25 offset:23920
	s_waitcnt lgkmcnt(0)
	v_mul_f64 v[11:12], v[11:12], v[25:26]
	v_xor_b32_e32 v26, 0x80000000, v12
	v_mov_b32_e32 v25, v11
	ds_write_b64 v24, v[25:26]
.LBB126_256:
	s_or_b64 exec, exec, s[0:1]
	v_cmp_gt_u32_e64 s[14:15], 14, v22
	s_waitcnt lgkmcnt(0)
	s_barrier
	s_and_b64 s[14:15], s[14:15], s[20:21]
	s_mov_b64 s[0:1], exec
	v_writelane_b32 v36, s14, 13
	v_writelane_b32 v36, s15, 14
	s_and_b64 s[14:15], s[0:1], s[14:15]
	s_mov_b64 exec, s[14:15]
	s_cbranch_execz .LBB126_258
; %bb.257:
	v_lshlrev_b32_e32 v25, 3, v22
	ds_read_b64 v[25:26], v25 offset:23808
	ds_read_b64 v[27:28], v24
	s_waitcnt lgkmcnt(0)
	v_fma_f64 v[11:12], -v[25:26], v[27:28], v[11:12]
.LBB126_258:
	s_or_b64 exec, exec, s[0:1]
	v_cmp_eq_u32_e64 s[14:15], 13, v22
	s_barrier
	s_and_b64 s[14:15], s[14:15], s[20:21]
	s_mov_b64 s[0:1], exec
	v_writelane_b32 v36, s14, 15
	v_writelane_b32 v36, s15, 16
	s_and_b64 s[14:15], s[0:1], s[14:15]
	s_mov_b64 exec, s[14:15]
	s_cbranch_execz .LBB126_260
; %bb.259:
	v_mov_b32_e32 v25, 0
	ds_read_b64 v[25:26], v25 offset:23400
	s_waitcnt lgkmcnt(0)
	v_mul_f64 v[11:12], v[11:12], v[25:26]
	v_xor_b32_e32 v26, 0x80000000, v12
	v_mov_b32_e32 v25, v11
	ds_write_b64 v24, v[25:26]
.LBB126_260:
	s_or_b64 exec, exec, s[0:1]
	v_cmp_gt_u32_e64 s[14:15], 13, v22
	s_waitcnt lgkmcnt(0)
	s_barrier
	s_and_b64 s[14:15], s[14:15], s[20:21]
	s_mov_b64 s[0:1], exec
	v_writelane_b32 v36, s14, 17
	v_writelane_b32 v36, s15, 18
	s_and_b64 s[14:15], s[0:1], s[14:15]
	s_mov_b64 exec, s[14:15]
	s_cbranch_execz .LBB126_262
; %bb.261:
	v_lshlrev_b32_e32 v25, 3, v22
	ds_read_b64 v[25:26], v25 offset:23296
	ds_read_b64 v[27:28], v24
	s_waitcnt lgkmcnt(0)
	v_fma_f64 v[11:12], -v[25:26], v[27:28], v[11:12]
.LBB126_262:
	s_or_b64 exec, exec, s[0:1]
	v_cmp_eq_u32_e64 s[14:15], 12, v22
	s_barrier
	s_and_b64 s[14:15], s[14:15], s[20:21]
	s_mov_b64 s[0:1], exec
	v_writelane_b32 v36, s14, 19
	v_writelane_b32 v36, s15, 20
	s_and_b64 s[14:15], s[0:1], s[14:15]
	s_mov_b64 exec, s[14:15]
	s_cbranch_execz .LBB126_264
; %bb.263:
	v_mov_b32_e32 v25, 0
	ds_read_b64 v[25:26], v25 offset:22880
	s_waitcnt lgkmcnt(0)
	v_mul_f64 v[11:12], v[11:12], v[25:26]
	v_xor_b32_e32 v26, 0x80000000, v12
	v_mov_b32_e32 v25, v11
	ds_write_b64 v24, v[25:26]
.LBB126_264:
	s_or_b64 exec, exec, s[0:1]
	v_cmp_gt_u32_e64 s[14:15], 12, v22
	s_waitcnt lgkmcnt(0)
	s_barrier
	s_and_b64 s[14:15], s[14:15], s[20:21]
	s_mov_b64 s[0:1], exec
	v_writelane_b32 v36, s14, 21
	v_writelane_b32 v36, s15, 22
	s_and_b64 s[14:15], s[0:1], s[14:15]
	s_mov_b64 exec, s[14:15]
	s_cbranch_execz .LBB126_266
; %bb.265:
	v_lshlrev_b32_e32 v25, 3, v22
	ds_read_b64 v[25:26], v25 offset:22784
	ds_read_b64 v[27:28], v24
	s_waitcnt lgkmcnt(0)
	v_fma_f64 v[11:12], -v[25:26], v[27:28], v[11:12]
.LBB126_266:
	s_or_b64 exec, exec, s[0:1]
	v_cmp_eq_u32_e64 s[14:15], 11, v22
	s_barrier
	s_and_b64 s[14:15], s[14:15], s[20:21]
	s_mov_b64 s[0:1], exec
	v_writelane_b32 v36, s14, 23
	v_writelane_b32 v36, s15, 24
	s_and_b64 s[14:15], s[0:1], s[14:15]
	s_mov_b64 exec, s[14:15]
	s_cbranch_execz .LBB126_268
; %bb.267:
	v_mov_b32_e32 v25, 0
	ds_read_b64 v[25:26], v25 offset:22360
	s_waitcnt lgkmcnt(0)
	v_mul_f64 v[11:12], v[11:12], v[25:26]
	v_xor_b32_e32 v26, 0x80000000, v12
	v_mov_b32_e32 v25, v11
	ds_write_b64 v24, v[25:26]
.LBB126_268:
	s_or_b64 exec, exec, s[0:1]
	v_cmp_gt_u32_e64 s[14:15], 11, v22
	s_waitcnt lgkmcnt(0)
	s_barrier
	s_and_b64 s[14:15], s[14:15], s[20:21]
	s_mov_b64 s[0:1], exec
	v_writelane_b32 v36, s14, 25
	v_writelane_b32 v36, s15, 26
	s_and_b64 s[14:15], s[0:1], s[14:15]
	s_mov_b64 exec, s[14:15]
	s_cbranch_execz .LBB126_270
; %bb.269:
	v_lshlrev_b32_e32 v25, 3, v22
	ds_read_b64 v[25:26], v25 offset:22272
	ds_read_b64 v[27:28], v24
	s_waitcnt lgkmcnt(0)
	v_fma_f64 v[11:12], -v[25:26], v[27:28], v[11:12]
.LBB126_270:
	s_or_b64 exec, exec, s[0:1]
	v_cmp_eq_u32_e64 s[14:15], 10, v22
	s_barrier
	s_and_b64 s[14:15], s[14:15], s[20:21]
	s_mov_b64 s[0:1], exec
	v_writelane_b32 v36, s14, 27
	v_writelane_b32 v36, s15, 28
	s_and_b64 s[14:15], s[0:1], s[14:15]
	s_mov_b64 exec, s[14:15]
	s_cbranch_execz .LBB126_272
; %bb.271:
	v_mov_b32_e32 v25, 0
	ds_read_b64 v[25:26], v25 offset:21840
	s_waitcnt lgkmcnt(0)
	v_mul_f64 v[11:12], v[11:12], v[25:26]
	v_xor_b32_e32 v26, 0x80000000, v12
	v_mov_b32_e32 v25, v11
	ds_write_b64 v24, v[25:26]
.LBB126_272:
	s_or_b64 exec, exec, s[0:1]
	v_cmp_gt_u32_e64 s[14:15], 10, v22
	s_waitcnt lgkmcnt(0)
	s_barrier
	s_and_b64 s[14:15], s[14:15], s[20:21]
	s_mov_b64 s[0:1], exec
	v_writelane_b32 v36, s14, 29
	v_writelane_b32 v36, s15, 30
	s_and_b64 s[14:15], s[0:1], s[14:15]
	s_mov_b64 exec, s[14:15]
	s_cbranch_execz .LBB126_274
; %bb.273:
	v_lshlrev_b32_e32 v25, 3, v22
	ds_read_b64 v[25:26], v25 offset:21760
	ds_read_b64 v[27:28], v24
	s_waitcnt lgkmcnt(0)
	v_fma_f64 v[11:12], -v[25:26], v[27:28], v[11:12]
.LBB126_274:
	s_or_b64 exec, exec, s[0:1]
	v_cmp_eq_u32_e64 s[14:15], 9, v22
	s_barrier
	s_and_b64 s[14:15], s[14:15], s[20:21]
	s_mov_b64 s[0:1], exec
	v_writelane_b32 v36, s14, 31
	v_writelane_b32 v36, s15, 32
	s_and_b64 s[14:15], s[0:1], s[14:15]
	s_mov_b64 exec, s[14:15]
	s_cbranch_execz .LBB126_276
; %bb.275:
	v_mov_b32_e32 v25, 0
	ds_read_b64 v[25:26], v25 offset:21320
	s_waitcnt lgkmcnt(0)
	v_mul_f64 v[11:12], v[11:12], v[25:26]
	v_xor_b32_e32 v26, 0x80000000, v12
	v_mov_b32_e32 v25, v11
	ds_write_b64 v24, v[25:26]
.LBB126_276:
	s_or_b64 exec, exec, s[0:1]
	v_cmp_gt_u32_e64 s[14:15], 9, v22
	s_waitcnt lgkmcnt(0)
	s_barrier
	s_and_b64 s[14:15], s[14:15], s[20:21]
	s_mov_b64 s[0:1], exec
	v_writelane_b32 v36, s14, 33
	v_writelane_b32 v36, s15, 34
	s_and_b64 s[14:15], s[0:1], s[14:15]
	s_mov_b64 exec, s[14:15]
	s_cbranch_execz .LBB126_278
; %bb.277:
	v_lshlrev_b32_e32 v25, 3, v22
	ds_read_b64 v[25:26], v25 offset:21248
	ds_read_b64 v[27:28], v24
	s_waitcnt lgkmcnt(0)
	v_fma_f64 v[11:12], -v[25:26], v[27:28], v[11:12]
.LBB126_278:
	s_or_b64 exec, exec, s[0:1]
	v_cmp_eq_u32_e64 s[14:15], 8, v22
	s_barrier
	s_and_b64 s[14:15], s[14:15], s[20:21]
	s_mov_b64 s[0:1], exec
	v_writelane_b32 v36, s14, 35
	v_writelane_b32 v36, s15, 36
	s_and_b64 s[14:15], s[0:1], s[14:15]
	s_mov_b64 exec, s[14:15]
	s_cbranch_execz .LBB126_280
; %bb.279:
	v_mov_b32_e32 v25, 0
	ds_read_b64 v[25:26], v25 offset:20800
	s_waitcnt lgkmcnt(0)
	v_mul_f64 v[11:12], v[11:12], v[25:26]
	v_xor_b32_e32 v26, 0x80000000, v12
	v_mov_b32_e32 v25, v11
	ds_write_b64 v24, v[25:26]
.LBB126_280:
	s_or_b64 exec, exec, s[0:1]
	v_cmp_gt_u32_e64 s[14:15], 8, v22
	s_waitcnt lgkmcnt(0)
	s_barrier
	s_and_b64 s[14:15], s[14:15], s[20:21]
	s_mov_b64 s[0:1], exec
	v_writelane_b32 v36, s14, 37
	v_writelane_b32 v36, s15, 38
	s_and_b64 s[14:15], s[0:1], s[14:15]
	s_mov_b64 exec, s[14:15]
	s_cbranch_execz .LBB126_282
; %bb.281:
	v_lshlrev_b32_e32 v25, 3, v22
	ds_read_b64 v[25:26], v25 offset:20736
	ds_read_b64 v[27:28], v24
	s_waitcnt lgkmcnt(0)
	v_fma_f64 v[11:12], -v[25:26], v[27:28], v[11:12]
.LBB126_282:
	s_or_b64 exec, exec, s[0:1]
	v_cmp_eq_u32_e64 s[14:15], 7, v22
	s_barrier
	s_and_b64 s[14:15], s[14:15], s[20:21]
	s_mov_b64 s[0:1], exec
	v_writelane_b32 v36, s14, 39
	v_writelane_b32 v36, s15, 40
	s_and_b64 s[14:15], s[0:1], s[14:15]
	s_mov_b64 exec, s[14:15]
	s_cbranch_execz .LBB126_284
; %bb.283:
	v_mov_b32_e32 v25, 0
	ds_read_b64 v[25:26], v25 offset:20280
	s_waitcnt lgkmcnt(0)
	v_mul_f64 v[11:12], v[11:12], v[25:26]
	v_xor_b32_e32 v26, 0x80000000, v12
	v_mov_b32_e32 v25, v11
	ds_write_b64 v24, v[25:26]
.LBB126_284:
	s_or_b64 exec, exec, s[0:1]
	v_cmp_gt_u32_e64 s[14:15], 7, v22
	s_waitcnt lgkmcnt(0)
	s_barrier
	s_and_b64 s[14:15], s[14:15], s[20:21]
	s_mov_b64 s[0:1], exec
	v_writelane_b32 v36, s14, 41
	v_writelane_b32 v36, s15, 42
	s_and_b64 s[14:15], s[0:1], s[14:15]
	s_mov_b64 exec, s[14:15]
	s_cbranch_execz .LBB126_286
; %bb.285:
	v_lshlrev_b32_e32 v25, 3, v22
	ds_read_b64 v[25:26], v25 offset:20224
	ds_read_b64 v[27:28], v24
	s_waitcnt lgkmcnt(0)
	v_fma_f64 v[11:12], -v[25:26], v[27:28], v[11:12]
.LBB126_286:
	s_or_b64 exec, exec, s[0:1]
	v_cmp_eq_u32_e64 s[14:15], 6, v22
	s_barrier
	s_and_b64 s[14:15], s[14:15], s[20:21]
	s_mov_b64 s[0:1], exec
	v_writelane_b32 v36, s14, 43
	v_writelane_b32 v36, s15, 44
	s_and_b64 s[14:15], s[0:1], s[14:15]
	s_mov_b64 exec, s[14:15]
	s_cbranch_execz .LBB126_288
; %bb.287:
	v_mov_b32_e32 v25, 0
	ds_read_b64 v[25:26], v25 offset:19760
	s_waitcnt lgkmcnt(0)
	v_mul_f64 v[11:12], v[11:12], v[25:26]
	v_xor_b32_e32 v26, 0x80000000, v12
	v_mov_b32_e32 v25, v11
	ds_write_b64 v24, v[25:26]
.LBB126_288:
	s_or_b64 exec, exec, s[0:1]
	v_cmp_gt_u32_e64 s[14:15], 6, v22
	s_waitcnt lgkmcnt(0)
	s_barrier
	s_and_b64 s[14:15], s[14:15], s[20:21]
	s_mov_b64 s[0:1], exec
	v_writelane_b32 v36, s14, 45
	v_writelane_b32 v36, s15, 46
	s_and_b64 s[14:15], s[0:1], s[14:15]
	s_mov_b64 exec, s[14:15]
	s_cbranch_execz .LBB126_290
; %bb.289:
	v_lshlrev_b32_e32 v25, 3, v22
	ds_read_b64 v[25:26], v25 offset:19712
	ds_read_b64 v[27:28], v24
	s_waitcnt lgkmcnt(0)
	v_fma_f64 v[11:12], -v[25:26], v[27:28], v[11:12]
.LBB126_290:
	s_or_b64 exec, exec, s[0:1]
	v_cmp_eq_u32_e64 s[14:15], 5, v22
	s_barrier
	s_and_b64 s[14:15], s[14:15], s[20:21]
	s_mov_b64 s[0:1], exec
	v_writelane_b32 v36, s14, 47
	v_writelane_b32 v36, s15, 48
	s_and_b64 s[14:15], s[0:1], s[14:15]
	s_mov_b64 exec, s[14:15]
	s_cbranch_execz .LBB126_292
; %bb.291:
	v_mov_b32_e32 v25, 0
	ds_read_b64 v[25:26], v25 offset:19240
	s_waitcnt lgkmcnt(0)
	v_mul_f64 v[11:12], v[11:12], v[25:26]
	v_xor_b32_e32 v26, 0x80000000, v12
	v_mov_b32_e32 v25, v11
	ds_write_b64 v24, v[25:26]
.LBB126_292:
	s_or_b64 exec, exec, s[0:1]
	v_cmp_gt_u32_e64 s[14:15], 5, v22
	s_waitcnt lgkmcnt(0)
	s_barrier
	s_and_b64 s[14:15], s[14:15], s[20:21]
	s_mov_b64 s[0:1], exec
	v_writelane_b32 v36, s14, 49
	v_writelane_b32 v36, s15, 50
	s_and_b64 s[14:15], s[0:1], s[14:15]
	s_mov_b64 exec, s[14:15]
	s_cbranch_execz .LBB126_294
; %bb.293:
	v_lshlrev_b32_e32 v25, 3, v22
	ds_read_b64 v[25:26], v25 offset:19200
	ds_read_b64 v[27:28], v24
	s_waitcnt lgkmcnt(0)
	v_fma_f64 v[11:12], -v[25:26], v[27:28], v[11:12]
.LBB126_294:
	s_or_b64 exec, exec, s[0:1]
	v_cmp_eq_u32_e64 s[14:15], 4, v22
	s_barrier
	s_and_b64 s[14:15], s[14:15], s[20:21]
	s_mov_b64 s[0:1], exec
	v_writelane_b32 v36, s14, 51
	v_writelane_b32 v36, s15, 52
	s_and_b64 s[14:15], s[0:1], s[14:15]
	s_mov_b64 exec, s[14:15]
	s_cbranch_execz .LBB126_296
; %bb.295:
	v_mov_b32_e32 v25, 0
	ds_read_b64 v[25:26], v25 offset:18720
	s_waitcnt lgkmcnt(0)
	v_mul_f64 v[11:12], v[11:12], v[25:26]
	v_xor_b32_e32 v26, 0x80000000, v12
	v_mov_b32_e32 v25, v11
	ds_write_b64 v24, v[25:26]
.LBB126_296:
	s_or_b64 exec, exec, s[0:1]
	v_cmp_gt_u32_e64 s[14:15], 4, v22
	s_waitcnt lgkmcnt(0)
	s_barrier
	s_and_b64 s[14:15], s[14:15], s[20:21]
	s_mov_b64 s[0:1], exec
	v_writelane_b32 v36, s14, 53
	v_writelane_b32 v36, s15, 54
	s_and_b64 s[14:15], s[0:1], s[14:15]
	s_mov_b64 exec, s[14:15]
	s_cbranch_execz .LBB126_298
; %bb.297:
	v_lshlrev_b32_e32 v25, 3, v22
	ds_read_b64 v[25:26], v25 offset:18688
	ds_read_b64 v[27:28], v24
	s_waitcnt lgkmcnt(0)
	v_fma_f64 v[11:12], -v[25:26], v[27:28], v[11:12]
.LBB126_298:
	s_or_b64 exec, exec, s[0:1]
	v_cmp_eq_u32_e64 s[14:15], 3, v22
	s_barrier
	s_and_b64 s[14:15], s[14:15], s[20:21]
	s_mov_b64 s[0:1], exec
	v_writelane_b32 v36, s14, 55
	v_writelane_b32 v36, s15, 56
	s_and_b64 s[14:15], s[0:1], s[14:15]
	s_mov_b64 exec, s[14:15]
	s_cbranch_execz .LBB126_300
; %bb.299:
	v_mov_b32_e32 v25, 0
	ds_read_b64 v[25:26], v25 offset:18200
	s_waitcnt lgkmcnt(0)
	v_mul_f64 v[11:12], v[11:12], v[25:26]
	v_xor_b32_e32 v26, 0x80000000, v12
	v_mov_b32_e32 v25, v11
	ds_write_b64 v24, v[25:26]
.LBB126_300:
	s_or_b64 exec, exec, s[0:1]
	v_cmp_gt_u32_e64 s[14:15], 3, v22
	s_waitcnt lgkmcnt(0)
	s_barrier
	s_and_b64 s[14:15], s[14:15], s[20:21]
	s_mov_b64 s[0:1], exec
	v_writelane_b32 v36, s14, 57
	v_writelane_b32 v36, s15, 58
	s_and_b64 s[14:15], s[0:1], s[14:15]
	s_mov_b64 exec, s[14:15]
	s_cbranch_execz .LBB126_302
; %bb.301:
	v_lshlrev_b32_e32 v25, 3, v22
	ds_read_b64 v[25:26], v25 offset:18176
	ds_read_b64 v[27:28], v24
	s_waitcnt lgkmcnt(0)
	v_fma_f64 v[11:12], -v[25:26], v[27:28], v[11:12]
.LBB126_302:
	s_or_b64 exec, exec, s[0:1]
	v_cmp_eq_u32_e64 s[14:15], 2, v22
	s_barrier
	s_and_b64 s[0:1], s[14:15], s[20:21]
	s_mov_b64 s[14:15], exec
	v_writelane_b32 v36, s0, 59
	v_writelane_b32 v36, s1, 60
	s_and_b64 s[0:1], s[14:15], s[0:1]
	s_mov_b64 exec, s[0:1]
	s_cbranch_execz .LBB126_304
; %bb.303:
	v_mov_b32_e32 v25, 0
	ds_read_b64 v[25:26], v25 offset:17680
	s_waitcnt lgkmcnt(0)
	v_mul_f64 v[11:12], v[11:12], v[25:26]
	v_xor_b32_e32 v26, 0x80000000, v12
	v_mov_b32_e32 v25, v11
	ds_write_b64 v24, v[25:26]
.LBB126_304:
	s_or_b64 exec, exec, s[14:15]
	v_cmp_gt_u32_e64 s[14:15], 2, v22
	s_waitcnt lgkmcnt(0)
	s_barrier
	s_and_b64 s[14:15], s[14:15], s[20:21]
	s_mov_b64 s[0:1], exec
	v_writelane_b32 v36, s14, 61
	v_writelane_b32 v36, s15, 62
	s_and_b64 s[14:15], s[0:1], s[14:15]
	s_mov_b64 exec, s[14:15]
	s_cbranch_execz .LBB126_306
; %bb.305:
	v_lshlrev_b32_e32 v25, 3, v22
	ds_read_b64 v[25:26], v25 offset:17664
	ds_read_b64 v[27:28], v24
	s_waitcnt lgkmcnt(0)
	v_fma_f64 v[11:12], -v[25:26], v[27:28], v[11:12]
.LBB126_306:
	s_or_b64 exec, exec, s[0:1]
	v_cmp_eq_u32_e64 s[14:15], 1, v22
	s_and_b64 s[92:93], s[14:15], s[20:21]
	s_barrier
	s_and_saveexec_b64 s[14:15], s[92:93]
	s_cbranch_execz .LBB126_308
; %bb.307:
	v_mov_b32_e32 v25, 0
	ds_read_b64 v[25:26], v25 offset:17160
	s_waitcnt lgkmcnt(0)
	v_mul_f64 v[11:12], v[11:12], v[25:26]
	v_xor_b32_e32 v26, 0x80000000, v12
	v_mov_b32_e32 v25, v11
	ds_write_b64 v24, v[25:26]
.LBB126_308:
	s_or_b64 exec, exec, s[14:15]
	v_cmp_eq_u32_e64 s[14:15], 0, v22
	s_and_b64 s[88:89], s[14:15], s[20:21]
	s_waitcnt lgkmcnt(0)
	s_barrier
	s_and_saveexec_b64 s[0:1], s[88:89]
	s_cbranch_execz .LBB126_310
; %bb.309:
	v_mov_b32_e32 v25, 0
	ds_read_b64 v[25:26], v25 offset:17152
	ds_read_b64 v[27:28], v24
	s_waitcnt lgkmcnt(0)
	v_fma_f64 v[11:12], -v[25:26], v[27:28], v[11:12]
.LBB126_310:
	s_or_b64 exec, exec, s[0:1]
	s_barrier
	s_and_saveexec_b64 s[14:15], s[88:89]
	s_cbranch_execz .LBB126_312
; %bb.311:
	v_mov_b32_e32 v25, 0
	ds_read_b64 v[25:26], v25 offset:16640
	s_waitcnt lgkmcnt(0)
	v_mul_f64 v[11:12], v[11:12], v[25:26]
	v_xor_b32_e32 v26, 0x80000000, v12
	v_mov_b32_e32 v25, v11
	ds_write_b64 v24, v[25:26]
.LBB126_312:
	s_or_b64 exec, exec, s[14:15]
	s_waitcnt lgkmcnt(0)
	s_barrier
	s_barrier
	s_and_saveexec_b64 s[0:1], s[10:11]
; %bb.313:
	v_lshlrev_b32_e32 v25, 3, v22
	v_lshl_or_b32 v25, v23, 9, v25
	ds_write_b64 v25, v[11:12] offset:24832
; %bb.314:
	s_or_b64 exec, exec, s[0:1]
	v_cmp_gt_u32_e64 s[14:15], 16, v0
	s_and_b64 s[94:95], s[12:13], s[14:15]
	s_waitcnt lgkmcnt(0)
	s_barrier
	s_barrier
	s_and_saveexec_b64 s[14:15], s[94:95]
	s_cbranch_execz .LBB126_316
; %bb.315:
	v_lshlrev_b32_e32 v25, 9, v0
	ds_read_b64 v[11:12], v25 offset:24832
	s_movk_i32 s0, 0xfe08
	v_mad_i32_i24 v26, v0, s0, v25
	s_waitcnt lgkmcnt(0)
	ds_write_b64 v26, v[11:12] offset:16768
	ds_read_b64 v[11:12], v25 offset:24840
	s_waitcnt lgkmcnt(0)
	ds_write_b64 v26, v[11:12] offset:17280
	ds_read_b64 v[11:12], v25 offset:24848
	;; [unrolled: 3-line block ×15, first 2 shown]
	s_waitcnt lgkmcnt(0)
	ds_write_b64 v26, v[11:12] offset:24448
.LBB126_316:
	s_or_b64 exec, exec, s[14:15]
	s_waitcnt lgkmcnt(0)
	s_barrier
	s_and_saveexec_b64 s[14:15], vcc
	s_cbranch_execz .LBB126_318
; %bb.317:
	v_mov_b32_e32 v11, 0
	ds_read_b128 v[25:28], v11 offset:24432
	ds_read_b64 v[11:12], v11 offset:23920
	s_movk_i32 s0, 0x5800
	s_waitcnt lgkmcnt(0)
	v_mul_f64 v[11:12], v[11:12], v[27:28]
	v_mul_f64 v[11:12], v[25:26], v[11:12]
	v_add_u32_e64 v25, s0, 0
	ds_write2_b64 v25, v[11:12], v[11:12] offset0:175 offset1:238
.LBB126_318:
	s_or_b64 exec, exec, s[14:15]
	v_mov_b32_e32 v11, 0
	v_mov_b32_e32 v12, 0
	s_waitcnt lgkmcnt(0)
	s_barrier
	buffer_wbinvl1_vol
	s_and_saveexec_b64 s[16:17], s[2:3]
	s_cbranch_execz .LBB126_322
; %bb.319:
	v_lshlrev_b32_e32 v25, 9, v13
	v_lshlrev_b32_e32 v11, 3, v1
	ds_read_b64 v[11:12], v11 offset:23904
	ds_read_b64 v[25:26], v25 offset:23920
	v_cmp_gt_u32_e64 s[14:15], 2, v15
	s_waitcnt lgkmcnt(0)
	v_fma_f64 v[11:12], v[11:12], v[25:26], 0
	s_and_saveexec_b64 s[20:21], s[14:15]
	s_cbranch_execz .LBB126_321
; %bb.320:
	v_lshlrev_b32_e32 v25, 3, v0
	v_mov_b32_e32 v27, 0
	ds_read_b64 v[25:26], v25 offset:24416
	ds_read_b64 v[27:28], v27 offset:24440
	s_waitcnt lgkmcnt(0)
	v_fma_f64 v[11:12], v[25:26], v[27:28], v[11:12]
.LBB126_321:
	s_or_b64 exec, exec, s[20:21]
.LBB126_322:
	s_or_b64 exec, exec, s[16:17]
	s_and_saveexec_b64 s[14:15], s[40:41]
	s_cbranch_execz .LBB126_324
; %bb.323:
	v_mov_b32_e32 v25, 0
	ds_read_b64 v[25:26], v25 offset:23400
	s_waitcnt lgkmcnt(0)
	v_mul_f64 v[11:12], v[11:12], v[25:26]
	v_xor_b32_e32 v26, 0x80000000, v12
	v_mov_b32_e32 v25, v11
	ds_write_b64 v14, v[25:26]
.LBB126_324:
	s_or_b64 exec, exec, s[14:15]
	s_waitcnt lgkmcnt(0)
	s_barrier
	s_and_saveexec_b64 s[0:1], s[38:39]
	s_cbranch_execz .LBB126_326
; %bb.325:
	v_mov_b32_e32 v25, 0
	ds_read_b64 v[25:26], v25 offset:23392
	ds_read_b64 v[27:28], v14
	s_waitcnt lgkmcnt(0)
	v_fma_f64 v[11:12], -v[25:26], v[27:28], v[11:12]
.LBB126_326:
	s_or_b64 exec, exec, s[0:1]
	s_barrier
	s_and_saveexec_b64 s[14:15], s[38:39]
	s_cbranch_execz .LBB126_328
; %bb.327:
	v_mov_b32_e32 v25, 0
	ds_read_b64 v[25:26], v25 offset:22880
	s_waitcnt lgkmcnt(0)
	v_mul_f64 v[11:12], v[11:12], v[25:26]
	v_xor_b32_e32 v26, 0x80000000, v12
	v_mov_b32_e32 v25, v11
	ds_write_b64 v14, v[25:26]
.LBB126_328:
	s_or_b64 exec, exec, s[14:15]
	s_waitcnt lgkmcnt(0)
	s_barrier
	s_barrier
	s_and_saveexec_b64 s[0:1], s[2:3]
; %bb.329:
	v_lshlrev_b32_e32 v25, 3, v1
	v_lshl_or_b32 v25, v13, 9, v25
	ds_write_b64 v25, v[11:12] offset:23904
; %bb.330:
	s_or_b64 exec, exec, s[0:1]
	s_waitcnt lgkmcnt(0)
	s_barrier
	s_barrier
	s_and_saveexec_b64 s[14:15], s[42:43]
	s_cbranch_execz .LBB126_332
; %bb.331:
	v_lshlrev_b32_e32 v25, 3, v0
	s_movk_i32 s0, 0x1f8
	v_mad_u32_u24 v26, v0, s0, v25
	ds_read_b64 v[11:12], v26 offset:23904
	s_waitcnt lgkmcnt(0)
	ds_write_b64 v25, v[11:12] offset:22896
	ds_read_b64 v[11:12], v26 offset:23912
	s_waitcnt lgkmcnt(0)
	ds_write_b64 v25, v[11:12] offset:23408
.LBB126_332:
	s_or_b64 exec, exec, s[14:15]
	s_waitcnt lgkmcnt(0)
	s_barrier
	s_and_saveexec_b64 s[14:15], vcc
	s_cbranch_execz .LBB126_334
; %bb.333:
	v_mov_b32_e32 v11, 0
	ds_read_b128 v[25:28], v11 offset:23392
	ds_read_b64 v[11:12], v11 offset:22880
	s_movk_i32 s0, 0x5800
	s_waitcnt lgkmcnt(0)
	v_mul_f64 v[11:12], v[11:12], v[27:28]
	v_mul_f64 v[11:12], v[25:26], v[11:12]
	v_add_u32_e64 v25, s0, 0
	ds_write2_b64 v25, v[11:12], v[11:12] offset0:45 offset1:108
.LBB126_334:
	s_or_b64 exec, exec, s[14:15]
	v_mov_b32_e32 v11, 0
	v_mov_b32_e32 v12, 0
	s_waitcnt lgkmcnt(0)
	s_barrier
	buffer_wbinvl1_vol
	s_and_saveexec_b64 s[16:17], s[18:19]
	s_cbranch_execz .LBB126_340
; %bb.335:
	v_lshlrev_b32_e32 v26, 3, v16
	v_lshlrev_b32_e32 v25, 9, v17
	ds_read_b64 v[11:12], v26 offset:22848
	ds_read_b64 v[27:28], v25 offset:22880
	v_cmp_gt_u32_e64 s[14:15], 12, v15
	s_waitcnt lgkmcnt(0)
	v_fma_f64 v[11:12], v[11:12], v[27:28], 0
	s_and_saveexec_b64 s[0:1], s[14:15]
	s_cbranch_execnz .LBB126_1112
; %bb.336:
	s_or_b64 exec, exec, s[0:1]
	v_cmp_gt_u32_e64 s[14:15], 8, v15
	s_and_saveexec_b64 s[0:1], s[14:15]
	s_cbranch_execnz .LBB126_1113
.LBB126_337:
	s_or_b64 exec, exec, s[0:1]
	v_cmp_gt_u32_e64 s[14:15], 4, v15
	s_and_saveexec_b64 s[20:21], s[14:15]
	s_cbranch_execz .LBB126_339
.LBB126_338:
	v_lshlrev_b32_e32 v25, 3, v0
	v_mov_b32_e32 v27, 0
	ds_read_b64 v[25:26], v25 offset:24384
	ds_read_b64 v[27:28], v27 offset:24440
	s_waitcnt lgkmcnt(0)
	v_fma_f64 v[11:12], v[25:26], v[27:28], v[11:12]
.LBB126_339:
	s_or_b64 exec, exec, s[20:21]
.LBB126_340:
	s_or_b64 exec, exec, s[16:17]
	s_and_saveexec_b64 s[14:15], s[46:47]
	s_cbranch_execz .LBB126_342
; %bb.341:
	v_mov_b32_e32 v25, 0
	ds_read_b64 v[25:26], v25 offset:22360
	s_waitcnt lgkmcnt(0)
	v_mul_f64 v[11:12], v[11:12], v[25:26]
	v_xor_b32_e32 v26, 0x80000000, v12
	v_mov_b32_e32 v25, v11
	ds_write_b64 v18, v[25:26]
.LBB126_342:
	s_or_b64 exec, exec, s[14:15]
	s_waitcnt lgkmcnt(0)
	s_barrier
	s_and_saveexec_b64 s[0:1], s[48:49]
	s_cbranch_execz .LBB126_344
; %bb.343:
	v_lshlrev_b32_e32 v25, 3, v16
	ds_read_b64 v[25:26], v25 offset:22336
	ds_read_b64 v[27:28], v18
	s_waitcnt lgkmcnt(0)
	v_fma_f64 v[11:12], -v[25:26], v[27:28], v[11:12]
.LBB126_344:
	s_or_b64 exec, exec, s[0:1]
	s_barrier
	s_and_saveexec_b64 s[14:15], s[50:51]
	s_cbranch_execz .LBB126_346
; %bb.345:
	v_mov_b32_e32 v25, 0
	ds_read_b64 v[25:26], v25 offset:21840
	s_waitcnt lgkmcnt(0)
	v_mul_f64 v[11:12], v[11:12], v[25:26]
	v_xor_b32_e32 v26, 0x80000000, v12
	v_mov_b32_e32 v25, v11
	ds_write_b64 v18, v[25:26]
.LBB126_346:
	s_or_b64 exec, exec, s[14:15]
	s_waitcnt lgkmcnt(0)
	s_barrier
	s_and_saveexec_b64 s[0:1], s[52:53]
	s_cbranch_execz .LBB126_348
; %bb.347:
	v_lshlrev_b32_e32 v25, 3, v16
	ds_read_b64 v[25:26], v25 offset:21824
	ds_read_b64 v[27:28], v18
	s_waitcnt lgkmcnt(0)
	v_fma_f64 v[11:12], -v[25:26], v[27:28], v[11:12]
.LBB126_348:
	s_or_b64 exec, exec, s[0:1]
	s_barrier
	s_and_saveexec_b64 s[14:15], s[54:55]
	s_cbranch_execz .LBB126_350
; %bb.349:
	v_mov_b32_e32 v25, 0
	ds_read_b64 v[25:26], v25 offset:21320
	s_waitcnt lgkmcnt(0)
	v_mul_f64 v[11:12], v[11:12], v[25:26]
	v_xor_b32_e32 v26, 0x80000000, v12
	v_mov_b32_e32 v25, v11
	ds_write_b64 v18, v[25:26]
.LBB126_350:
	s_or_b64 exec, exec, s[14:15]
	s_waitcnt lgkmcnt(0)
	s_barrier
	s_and_saveexec_b64 s[0:1], s[44:45]
	s_cbranch_execz .LBB126_352
; %bb.351:
	v_mov_b32_e32 v25, 0
	ds_read_b64 v[25:26], v25 offset:21312
	ds_read_b64 v[27:28], v18
	s_waitcnt lgkmcnt(0)
	v_fma_f64 v[11:12], -v[25:26], v[27:28], v[11:12]
.LBB126_352:
	s_or_b64 exec, exec, s[0:1]
	s_barrier
	s_and_saveexec_b64 s[14:15], s[44:45]
	s_cbranch_execz .LBB126_354
; %bb.353:
	v_mov_b32_e32 v25, 0
	ds_read_b64 v[25:26], v25 offset:20800
	s_waitcnt lgkmcnt(0)
	v_mul_f64 v[11:12], v[11:12], v[25:26]
	v_xor_b32_e32 v26, 0x80000000, v12
	v_mov_b32_e32 v25, v11
	ds_write_b64 v18, v[25:26]
.LBB126_354:
	s_or_b64 exec, exec, s[14:15]
	s_waitcnt lgkmcnt(0)
	s_barrier
	s_barrier
	s_and_saveexec_b64 s[0:1], s[18:19]
; %bb.355:
	v_lshlrev_b32_e32 v25, 3, v16
	v_lshl_or_b32 v25, v17, 9, v25
	ds_write_b64 v25, v[11:12] offset:22848
; %bb.356:
	s_or_b64 exec, exec, s[0:1]
	s_waitcnt lgkmcnt(0)
	s_barrier
	s_barrier
	s_and_saveexec_b64 s[14:15], s[56:57]
	s_cbranch_execz .LBB126_358
; %bb.357:
	v_lshlrev_b32_e32 v25, 9, v0
	ds_read_b64 v[11:12], v25 offset:22848
	s_movk_i32 s0, 0xfe08
	v_mad_i32_i24 v26, v0, s0, v25
	s_waitcnt lgkmcnt(0)
	ds_write_b64 v26, v[11:12] offset:20832
	ds_read_b64 v[11:12], v25 offset:22856
	s_waitcnt lgkmcnt(0)
	ds_write_b64 v26, v[11:12] offset:21344
	ds_read_b64 v[11:12], v25 offset:22864
	s_waitcnt lgkmcnt(0)
	ds_write_b64 v26, v[11:12] offset:21856
	ds_read_b64 v[11:12], v25 offset:22872
	s_waitcnt lgkmcnt(0)
	ds_write_b64 v26, v[11:12] offset:22368
.LBB126_358:
	s_or_b64 exec, exec, s[14:15]
	s_waitcnt lgkmcnt(0)
	s_barrier
	s_and_saveexec_b64 s[14:15], vcc
	s_cbranch_execz .LBB126_360
; %bb.359:
	v_mov_b32_e32 v11, 0
	ds_read_b128 v[25:28], v11 offset:22352
	ds_read_b64 v[11:12], v11 offset:21840
	s_movk_i32 s0, 0x5000
	s_waitcnt lgkmcnt(0)
	v_mul_f64 v[11:12], v[11:12], v[27:28]
	v_mul_f64 v[11:12], v[25:26], v[11:12]
	v_add_u32_e64 v25, s0, 0
	ds_write2_b64 v25, v[11:12], v[11:12] offset0:171 offset1:234
.LBB126_360:
	s_or_b64 exec, exec, s[14:15]
	v_mov_b32_e32 v11, 0
	v_mov_b32_e32 v12, 0
	s_waitcnt lgkmcnt(0)
	s_barrier
	buffer_wbinvl1_vol
	s_and_saveexec_b64 s[16:17], s[2:3]
	s_cbranch_execz .LBB126_364
; %bb.361:
	v_lshlrev_b32_e32 v25, 9, v13
	v_lshlrev_b32_e32 v11, 3, v1
	ds_read_b64 v[11:12], v11 offset:21824
	ds_read_b64 v[25:26], v25 offset:21840
	v_cmp_gt_u32_e64 s[14:15], 2, v15
	s_waitcnt lgkmcnt(0)
	v_fma_f64 v[11:12], v[11:12], v[25:26], 0
	s_and_saveexec_b64 s[20:21], s[14:15]
	s_cbranch_execz .LBB126_363
; %bb.362:
	v_lshlrev_b32_e32 v25, 3, v0
	v_mov_b32_e32 v27, 0
	ds_read_b64 v[25:26], v25 offset:22336
	ds_read_b64 v[27:28], v27 offset:22360
	s_waitcnt lgkmcnt(0)
	v_fma_f64 v[11:12], v[25:26], v[27:28], v[11:12]
.LBB126_363:
	s_or_b64 exec, exec, s[20:21]
.LBB126_364:
	s_or_b64 exec, exec, s[16:17]
	s_and_saveexec_b64 s[14:15], s[40:41]
	s_cbranch_execz .LBB126_366
; %bb.365:
	v_mov_b32_e32 v25, 0
	ds_read_b64 v[25:26], v25 offset:21320
	s_waitcnt lgkmcnt(0)
	v_mul_f64 v[11:12], v[11:12], v[25:26]
	v_xor_b32_e32 v26, 0x80000000, v12
	v_mov_b32_e32 v25, v11
	ds_write_b64 v14, v[25:26]
.LBB126_366:
	s_or_b64 exec, exec, s[14:15]
	s_waitcnt lgkmcnt(0)
	s_barrier
	s_and_saveexec_b64 s[0:1], s[38:39]
	s_cbranch_execz .LBB126_368
; %bb.367:
	v_mov_b32_e32 v25, 0
	ds_read_b64 v[25:26], v25 offset:21312
	ds_read_b64 v[27:28], v14
	s_waitcnt lgkmcnt(0)
	v_fma_f64 v[11:12], -v[25:26], v[27:28], v[11:12]
.LBB126_368:
	s_or_b64 exec, exec, s[0:1]
	s_barrier
	s_and_saveexec_b64 s[14:15], s[38:39]
	s_cbranch_execz .LBB126_370
; %bb.369:
	v_mov_b32_e32 v25, 0
	ds_read_b64 v[25:26], v25 offset:20800
	s_waitcnt lgkmcnt(0)
	v_mul_f64 v[11:12], v[11:12], v[25:26]
	v_xor_b32_e32 v26, 0x80000000, v12
	v_mov_b32_e32 v25, v11
	ds_write_b64 v14, v[25:26]
.LBB126_370:
	s_or_b64 exec, exec, s[14:15]
	s_waitcnt lgkmcnt(0)
	s_barrier
	s_barrier
	s_and_saveexec_b64 s[0:1], s[2:3]
; %bb.371:
	v_lshlrev_b32_e32 v25, 3, v1
	v_lshl_or_b32 v25, v13, 9, v25
	ds_write_b64 v25, v[11:12] offset:21824
; %bb.372:
	s_or_b64 exec, exec, s[0:1]
	s_waitcnt lgkmcnt(0)
	s_barrier
	s_barrier
	s_and_saveexec_b64 s[14:15], s[42:43]
	s_cbranch_execz .LBB126_374
; %bb.373:
	v_lshlrev_b32_e32 v25, 3, v0
	s_movk_i32 s0, 0x1f8
	v_mad_u32_u24 v26, v0, s0, v25
	ds_read_b64 v[11:12], v26 offset:21824
	s_waitcnt lgkmcnt(0)
	ds_write_b64 v25, v[11:12] offset:20816
	ds_read_b64 v[11:12], v26 offset:21832
	s_waitcnt lgkmcnt(0)
	ds_write_b64 v25, v[11:12] offset:21328
.LBB126_374:
	s_or_b64 exec, exec, s[14:15]
	s_waitcnt lgkmcnt(0)
	s_barrier
	s_and_saveexec_b64 s[14:15], vcc
	s_cbranch_execz .LBB126_376
; %bb.375:
	v_mov_b32_e32 v11, 0
	ds_read_b128 v[25:28], v11 offset:21312
	ds_read_b64 v[11:12], v11 offset:20800
	s_movk_i32 s0, 0x5000
	s_waitcnt lgkmcnt(0)
	v_mul_f64 v[11:12], v[11:12], v[27:28]
	v_mul_f64 v[11:12], v[25:26], v[11:12]
	v_add_u32_e64 v25, s0, 0
	ds_write2_b64 v25, v[11:12], v[11:12] offset0:41 offset1:104
.LBB126_376:
	s_or_b64 exec, exec, s[14:15]
	v_mov_b32_e32 v11, 0
	v_mov_b32_e32 v12, 0
	s_waitcnt lgkmcnt(0)
	s_barrier
	buffer_wbinvl1_vol
	s_and_saveexec_b64 s[16:17], s[8:9]
	s_cbranch_execz .LBB126_386
; %bb.377:
	v_lshlrev_b32_e32 v26, 3, v19
	v_lshlrev_b32_e32 v25, 9, v20
	ds_read_b64 v[11:12], v26 offset:20736
	ds_read_b64 v[27:28], v25 offset:20800
	v_cmp_gt_u32_e64 s[14:15], 56, v15
	s_waitcnt lgkmcnt(0)
	v_fma_f64 v[11:12], v[11:12], v[27:28], 0
	s_and_saveexec_b64 s[0:1], s[14:15]
	s_cbranch_execnz .LBB126_1114
; %bb.378:
	s_or_b64 exec, exec, s[0:1]
	v_cmp_gt_u32_e64 s[14:15], 48, v15
	s_and_saveexec_b64 s[0:1], s[14:15]
	s_cbranch_execnz .LBB126_1115
.LBB126_379:
	s_or_b64 exec, exec, s[0:1]
	v_cmp_gt_u32_e64 s[14:15], 40, v15
	s_and_saveexec_b64 s[0:1], s[14:15]
	s_cbranch_execnz .LBB126_1116
.LBB126_380:
	s_or_b64 exec, exec, s[0:1]
	v_cmp_gt_u32_e64 s[14:15], 32, v15
	s_and_saveexec_b64 s[0:1], s[14:15]
	s_cbranch_execnz .LBB126_1117
.LBB126_381:
	s_or_b64 exec, exec, s[0:1]
	v_cmp_gt_u32_e64 s[14:15], 24, v15
	s_and_saveexec_b64 s[0:1], s[14:15]
	s_cbranch_execnz .LBB126_1118
.LBB126_382:
	s_or_b64 exec, exec, s[0:1]
	s_and_saveexec_b64 s[0:1], s[18:19]
	s_cbranch_execnz .LBB126_1119
.LBB126_383:
	s_or_b64 exec, exec, s[0:1]
	v_cmp_gt_u32_e64 s[14:15], 8, v15
	s_and_saveexec_b64 s[20:21], s[14:15]
	s_cbranch_execz .LBB126_385
.LBB126_384:
	v_lshlrev_b32_e32 v25, 3, v0
	v_mov_b32_e32 v27, 0
	ds_read_b64 v[25:26], v25 offset:24320
	ds_read_b64 v[27:28], v27 offset:24440
	s_waitcnt lgkmcnt(0)
	v_fma_f64 v[11:12], v[25:26], v[27:28], v[11:12]
.LBB126_385:
	s_or_b64 exec, exec, s[20:21]
.LBB126_386:
	s_or_b64 exec, exec, s[16:17]
	s_and_saveexec_b64 s[14:15], s[58:59]
	s_cbranch_execz .LBB126_388
; %bb.387:
	v_mov_b32_e32 v25, 0
	ds_read_b64 v[25:26], v25 offset:20280
	s_waitcnt lgkmcnt(0)
	v_mul_f64 v[11:12], v[11:12], v[25:26]
	v_xor_b32_e32 v26, 0x80000000, v12
	v_mov_b32_e32 v25, v11
	ds_write_b64 v21, v[25:26]
.LBB126_388:
	s_or_b64 exec, exec, s[14:15]
	s_waitcnt lgkmcnt(0)
	s_barrier
	s_and_saveexec_b64 s[0:1], s[60:61]
	s_cbranch_execz .LBB126_390
; %bb.389:
	v_lshlrev_b32_e32 v25, 3, v19
	ds_read_b64 v[25:26], v25 offset:20224
	ds_read_b64 v[27:28], v21
	s_waitcnt lgkmcnt(0)
	v_fma_f64 v[11:12], -v[25:26], v[27:28], v[11:12]
.LBB126_390:
	s_or_b64 exec, exec, s[0:1]
	s_barrier
	s_and_saveexec_b64 s[14:15], s[62:63]
	s_cbranch_execz .LBB126_392
; %bb.391:
	v_mov_b32_e32 v25, 0
	ds_read_b64 v[25:26], v25 offset:19760
	s_waitcnt lgkmcnt(0)
	v_mul_f64 v[11:12], v[11:12], v[25:26]
	v_xor_b32_e32 v26, 0x80000000, v12
	v_mov_b32_e32 v25, v11
	ds_write_b64 v21, v[25:26]
.LBB126_392:
	s_or_b64 exec, exec, s[14:15]
	s_waitcnt lgkmcnt(0)
	s_barrier
	s_and_saveexec_b64 s[0:1], s[64:65]
	s_cbranch_execz .LBB126_394
; %bb.393:
	v_lshlrev_b32_e32 v25, 3, v19
	ds_read_b64 v[25:26], v25 offset:19712
	ds_read_b64 v[27:28], v21
	s_waitcnt lgkmcnt(0)
	v_fma_f64 v[11:12], -v[25:26], v[27:28], v[11:12]
.LBB126_394:
	s_or_b64 exec, exec, s[0:1]
	s_barrier
	;; [unrolled: 25-line block ×6, first 2 shown]
	s_and_saveexec_b64 s[14:15], s[84:85]
	s_cbranch_execz .LBB126_412
; %bb.411:
	v_mov_b32_e32 v25, 0
	ds_read_b64 v[25:26], v25 offset:17160
	s_waitcnt lgkmcnt(0)
	v_mul_f64 v[11:12], v[11:12], v[25:26]
	v_xor_b32_e32 v26, 0x80000000, v12
	v_mov_b32_e32 v25, v11
	ds_write_b64 v21, v[25:26]
.LBB126_412:
	s_or_b64 exec, exec, s[14:15]
	s_waitcnt lgkmcnt(0)
	s_barrier
	s_and_saveexec_b64 s[0:1], s[68:69]
	s_cbranch_execz .LBB126_414
; %bb.413:
	v_mov_b32_e32 v25, 0
	ds_read_b64 v[25:26], v25 offset:17152
	ds_read_b64 v[27:28], v21
	s_waitcnt lgkmcnt(0)
	v_fma_f64 v[11:12], -v[25:26], v[27:28], v[11:12]
.LBB126_414:
	s_or_b64 exec, exec, s[0:1]
	s_barrier
	s_and_saveexec_b64 s[14:15], s[68:69]
	s_cbranch_execz .LBB126_416
; %bb.415:
	v_mov_b32_e32 v25, 0
	ds_read_b64 v[25:26], v25 offset:16640
	s_waitcnt lgkmcnt(0)
	v_mul_f64 v[11:12], v[11:12], v[25:26]
	v_xor_b32_e32 v26, 0x80000000, v12
	v_mov_b32_e32 v25, v11
	ds_write_b64 v21, v[25:26]
.LBB126_416:
	s_or_b64 exec, exec, s[14:15]
	s_waitcnt lgkmcnt(0)
	s_barrier
	s_barrier
	s_and_saveexec_b64 s[0:1], s[8:9]
; %bb.417:
	v_lshlrev_b32_e32 v25, 3, v19
	v_lshl_or_b32 v25, v20, 9, v25
	ds_write_b64 v25, v[11:12] offset:20736
; %bb.418:
	s_or_b64 exec, exec, s[0:1]
	s_waitcnt lgkmcnt(0)
	s_barrier
	s_barrier
	s_and_saveexec_b64 s[14:15], s[86:87]
	s_cbranch_execz .LBB126_420
; %bb.419:
	v_lshlrev_b32_e32 v25, 9, v0
	ds_read_b64 v[11:12], v25 offset:20736
	s_movk_i32 s0, 0xfe08
	v_mad_i32_i24 v26, v0, s0, v25
	s_waitcnt lgkmcnt(0)
	ds_write_b64 v26, v[11:12] offset:16704
	ds_read_b64 v[11:12], v25 offset:20744
	s_waitcnt lgkmcnt(0)
	ds_write_b64 v26, v[11:12] offset:17216
	ds_read_b64 v[11:12], v25 offset:20752
	;; [unrolled: 3-line block ×7, first 2 shown]
	s_waitcnt lgkmcnt(0)
	ds_write_b64 v26, v[11:12] offset:20288
.LBB126_420:
	s_or_b64 exec, exec, s[14:15]
	s_waitcnt lgkmcnt(0)
	s_barrier
	s_and_saveexec_b64 s[14:15], vcc
	s_cbranch_execz .LBB126_422
; %bb.421:
	v_mov_b32_e32 v11, 0
	ds_read_b128 v[25:28], v11 offset:20272
	ds_read_b64 v[11:12], v11 offset:19760
	s_movk_i32 s0, 0x4800
	s_waitcnt lgkmcnt(0)
	v_mul_f64 v[11:12], v[11:12], v[27:28]
	v_mul_f64 v[11:12], v[25:26], v[11:12]
	v_add_u32_e64 v25, s0, 0
	ds_write2_b64 v25, v[11:12], v[11:12] offset0:167 offset1:230
.LBB126_422:
	s_or_b64 exec, exec, s[14:15]
	v_mov_b32_e32 v11, 0
	v_mov_b32_e32 v12, 0
	s_waitcnt lgkmcnt(0)
	s_barrier
	buffer_wbinvl1_vol
	s_and_saveexec_b64 s[16:17], s[2:3]
	s_cbranch_execz .LBB126_426
; %bb.423:
	v_lshlrev_b32_e32 v25, 9, v13
	v_lshlrev_b32_e32 v11, 3, v1
	ds_read_b64 v[11:12], v11 offset:19744
	ds_read_b64 v[25:26], v25 offset:19760
	v_cmp_gt_u32_e64 s[14:15], 2, v15
	s_waitcnt lgkmcnt(0)
	v_fma_f64 v[11:12], v[11:12], v[25:26], 0
	s_and_saveexec_b64 s[20:21], s[14:15]
	s_cbranch_execz .LBB126_425
; %bb.424:
	v_lshlrev_b32_e32 v25, 3, v0
	v_mov_b32_e32 v27, 0
	ds_read_b64 v[25:26], v25 offset:20256
	ds_read_b64 v[27:28], v27 offset:20280
	s_waitcnt lgkmcnt(0)
	v_fma_f64 v[11:12], v[25:26], v[27:28], v[11:12]
.LBB126_425:
	s_or_b64 exec, exec, s[20:21]
.LBB126_426:
	s_or_b64 exec, exec, s[16:17]
	s_and_saveexec_b64 s[14:15], s[40:41]
	s_cbranch_execz .LBB126_428
; %bb.427:
	v_mov_b32_e32 v25, 0
	ds_read_b64 v[25:26], v25 offset:19240
	s_waitcnt lgkmcnt(0)
	v_mul_f64 v[11:12], v[11:12], v[25:26]
	v_xor_b32_e32 v26, 0x80000000, v12
	v_mov_b32_e32 v25, v11
	ds_write_b64 v14, v[25:26]
.LBB126_428:
	s_or_b64 exec, exec, s[14:15]
	s_waitcnt lgkmcnt(0)
	s_barrier
	s_and_saveexec_b64 s[0:1], s[38:39]
	s_cbranch_execz .LBB126_430
; %bb.429:
	v_mov_b32_e32 v25, 0
	ds_read_b64 v[25:26], v25 offset:19232
	ds_read_b64 v[27:28], v14
	s_waitcnt lgkmcnt(0)
	v_fma_f64 v[11:12], -v[25:26], v[27:28], v[11:12]
.LBB126_430:
	s_or_b64 exec, exec, s[0:1]
	s_barrier
	s_and_saveexec_b64 s[14:15], s[38:39]
	s_cbranch_execz .LBB126_432
; %bb.431:
	v_mov_b32_e32 v25, 0
	ds_read_b64 v[25:26], v25 offset:18720
	s_waitcnt lgkmcnt(0)
	v_mul_f64 v[11:12], v[11:12], v[25:26]
	v_xor_b32_e32 v26, 0x80000000, v12
	v_mov_b32_e32 v25, v11
	ds_write_b64 v14, v[25:26]
.LBB126_432:
	s_or_b64 exec, exec, s[14:15]
	s_waitcnt lgkmcnt(0)
	s_barrier
	s_barrier
	s_and_saveexec_b64 s[0:1], s[2:3]
; %bb.433:
	v_lshlrev_b32_e32 v25, 3, v1
	v_lshl_or_b32 v25, v13, 9, v25
	ds_write_b64 v25, v[11:12] offset:19744
; %bb.434:
	s_or_b64 exec, exec, s[0:1]
	s_waitcnt lgkmcnt(0)
	s_barrier
	s_barrier
	s_and_saveexec_b64 s[14:15], s[42:43]
	s_cbranch_execz .LBB126_436
; %bb.435:
	v_lshlrev_b32_e32 v25, 3, v0
	s_movk_i32 s0, 0x1f8
	v_mad_u32_u24 v26, v0, s0, v25
	ds_read_b64 v[11:12], v26 offset:19744
	s_waitcnt lgkmcnt(0)
	ds_write_b64 v25, v[11:12] offset:18736
	ds_read_b64 v[11:12], v26 offset:19752
	s_waitcnt lgkmcnt(0)
	ds_write_b64 v25, v[11:12] offset:19248
.LBB126_436:
	s_or_b64 exec, exec, s[14:15]
	s_waitcnt lgkmcnt(0)
	s_barrier
	s_and_saveexec_b64 s[14:15], vcc
	s_cbranch_execz .LBB126_438
; %bb.437:
	v_mov_b32_e32 v11, 0
	ds_read_b128 v[25:28], v11 offset:19232
	ds_read_b64 v[11:12], v11 offset:18720
	s_movk_i32 s0, 0x4800
	s_waitcnt lgkmcnt(0)
	v_mul_f64 v[11:12], v[11:12], v[27:28]
	v_mul_f64 v[11:12], v[25:26], v[11:12]
	v_add_u32_e64 v25, s0, 0
	ds_write2_b64 v25, v[11:12], v[11:12] offset0:37 offset1:100
.LBB126_438:
	s_or_b64 exec, exec, s[14:15]
	v_mov_b32_e32 v11, 0
	v_mov_b32_e32 v12, 0
	s_waitcnt lgkmcnt(0)
	s_barrier
	buffer_wbinvl1_vol
	s_and_saveexec_b64 s[16:17], s[18:19]
	s_cbranch_execz .LBB126_444
; %bb.439:
	v_lshlrev_b32_e32 v26, 3, v16
	v_lshlrev_b32_e32 v25, 9, v17
	ds_read_b64 v[11:12], v26 offset:18688
	ds_read_b64 v[27:28], v25 offset:18720
	v_cmp_gt_u32_e64 s[14:15], 12, v15
	s_waitcnt lgkmcnt(0)
	v_fma_f64 v[11:12], v[11:12], v[27:28], 0
	s_and_saveexec_b64 s[0:1], s[14:15]
	s_cbranch_execnz .LBB126_1120
; %bb.440:
	s_or_b64 exec, exec, s[0:1]
	v_cmp_gt_u32_e64 s[14:15], 8, v15
	s_and_saveexec_b64 s[0:1], s[14:15]
	s_cbranch_execnz .LBB126_1121
.LBB126_441:
	s_or_b64 exec, exec, s[0:1]
	v_cmp_gt_u32_e64 s[14:15], 4, v15
	s_and_saveexec_b64 s[20:21], s[14:15]
	s_cbranch_execz .LBB126_443
.LBB126_442:
	v_lshlrev_b32_e32 v25, 3, v0
	v_mov_b32_e32 v27, 0
	ds_read_b64 v[25:26], v25 offset:20224
	ds_read_b64 v[27:28], v27 offset:20280
	s_waitcnt lgkmcnt(0)
	v_fma_f64 v[11:12], v[25:26], v[27:28], v[11:12]
.LBB126_443:
	s_or_b64 exec, exec, s[20:21]
.LBB126_444:
	s_or_b64 exec, exec, s[16:17]
	s_and_saveexec_b64 s[14:15], s[46:47]
	s_cbranch_execz .LBB126_446
; %bb.445:
	v_mov_b32_e32 v25, 0
	ds_read_b64 v[25:26], v25 offset:18200
	s_waitcnt lgkmcnt(0)
	v_mul_f64 v[11:12], v[11:12], v[25:26]
	v_xor_b32_e32 v26, 0x80000000, v12
	v_mov_b32_e32 v25, v11
	ds_write_b64 v18, v[25:26]
.LBB126_446:
	s_or_b64 exec, exec, s[14:15]
	s_waitcnt lgkmcnt(0)
	s_barrier
	s_and_saveexec_b64 s[0:1], s[48:49]
	s_cbranch_execz .LBB126_448
; %bb.447:
	v_lshlrev_b32_e32 v25, 3, v16
	ds_read_b64 v[25:26], v25 offset:18176
	ds_read_b64 v[27:28], v18
	s_waitcnt lgkmcnt(0)
	v_fma_f64 v[11:12], -v[25:26], v[27:28], v[11:12]
.LBB126_448:
	s_or_b64 exec, exec, s[0:1]
	s_barrier
	s_and_saveexec_b64 s[14:15], s[50:51]
	s_cbranch_execz .LBB126_450
; %bb.449:
	v_mov_b32_e32 v25, 0
	ds_read_b64 v[25:26], v25 offset:17680
	s_waitcnt lgkmcnt(0)
	v_mul_f64 v[11:12], v[11:12], v[25:26]
	v_xor_b32_e32 v26, 0x80000000, v12
	v_mov_b32_e32 v25, v11
	ds_write_b64 v18, v[25:26]
.LBB126_450:
	s_or_b64 exec, exec, s[14:15]
	s_waitcnt lgkmcnt(0)
	s_barrier
	s_and_saveexec_b64 s[0:1], s[52:53]
	s_cbranch_execz .LBB126_452
; %bb.451:
	v_lshlrev_b32_e32 v25, 3, v16
	ds_read_b64 v[25:26], v25 offset:17664
	ds_read_b64 v[27:28], v18
	s_waitcnt lgkmcnt(0)
	v_fma_f64 v[11:12], -v[25:26], v[27:28], v[11:12]
.LBB126_452:
	s_or_b64 exec, exec, s[0:1]
	s_barrier
	s_and_saveexec_b64 s[14:15], s[54:55]
	s_cbranch_execz .LBB126_454
; %bb.453:
	v_mov_b32_e32 v25, 0
	ds_read_b64 v[25:26], v25 offset:17160
	s_waitcnt lgkmcnt(0)
	v_mul_f64 v[11:12], v[11:12], v[25:26]
	v_xor_b32_e32 v26, 0x80000000, v12
	v_mov_b32_e32 v25, v11
	ds_write_b64 v18, v[25:26]
.LBB126_454:
	s_or_b64 exec, exec, s[14:15]
	s_waitcnt lgkmcnt(0)
	s_barrier
	s_and_saveexec_b64 s[0:1], s[44:45]
	s_cbranch_execz .LBB126_456
; %bb.455:
	v_mov_b32_e32 v25, 0
	ds_read_b64 v[25:26], v25 offset:17152
	ds_read_b64 v[27:28], v18
	s_waitcnt lgkmcnt(0)
	v_fma_f64 v[11:12], -v[25:26], v[27:28], v[11:12]
.LBB126_456:
	s_or_b64 exec, exec, s[0:1]
	s_barrier
	s_and_saveexec_b64 s[14:15], s[44:45]
	s_cbranch_execz .LBB126_458
; %bb.457:
	v_mov_b32_e32 v25, 0
	ds_read_b64 v[25:26], v25 offset:16640
	s_waitcnt lgkmcnt(0)
	v_mul_f64 v[11:12], v[11:12], v[25:26]
	v_xor_b32_e32 v26, 0x80000000, v12
	v_mov_b32_e32 v25, v11
	ds_write_b64 v18, v[25:26]
.LBB126_458:
	s_or_b64 exec, exec, s[14:15]
	s_waitcnt lgkmcnt(0)
	s_barrier
	s_barrier
	s_and_saveexec_b64 s[0:1], s[18:19]
; %bb.459:
	v_lshlrev_b32_e32 v25, 3, v16
	v_lshl_or_b32 v25, v17, 9, v25
	ds_write_b64 v25, v[11:12] offset:18688
; %bb.460:
	s_or_b64 exec, exec, s[0:1]
	s_waitcnt lgkmcnt(0)
	s_barrier
	s_barrier
	s_and_saveexec_b64 s[14:15], s[56:57]
	s_cbranch_execz .LBB126_462
; %bb.461:
	v_lshlrev_b32_e32 v25, 9, v0
	ds_read_b64 v[11:12], v25 offset:18688
	s_movk_i32 s0, 0xfe08
	v_mad_i32_i24 v26, v0, s0, v25
	s_waitcnt lgkmcnt(0)
	ds_write_b64 v26, v[11:12] offset:16672
	ds_read_b64 v[11:12], v25 offset:18696
	s_waitcnt lgkmcnt(0)
	ds_write_b64 v26, v[11:12] offset:17184
	ds_read_b64 v[11:12], v25 offset:18704
	;; [unrolled: 3-line block ×3, first 2 shown]
	s_waitcnt lgkmcnt(0)
	ds_write_b64 v26, v[11:12] offset:18208
.LBB126_462:
	s_or_b64 exec, exec, s[14:15]
	s_waitcnt lgkmcnt(0)
	s_barrier
	s_and_saveexec_b64 s[14:15], vcc
	s_cbranch_execz .LBB126_464
; %bb.463:
	v_mov_b32_e32 v11, 0
	ds_read_b128 v[25:28], v11 offset:18192
	ds_read_b64 v[11:12], v11 offset:17680
	s_movk_i32 s0, 0x4000
	s_waitcnt lgkmcnt(0)
	v_mul_f64 v[11:12], v[11:12], v[27:28]
	v_mul_f64 v[11:12], v[25:26], v[11:12]
	v_add_u32_e64 v25, s0, 0
	ds_write2_b64 v25, v[11:12], v[11:12] offset0:163 offset1:226
.LBB126_464:
	s_or_b64 exec, exec, s[14:15]
	v_mov_b32_e32 v11, 0
	v_mov_b32_e32 v12, 0
	s_waitcnt lgkmcnt(0)
	s_barrier
	buffer_wbinvl1_vol
	s_and_saveexec_b64 s[16:17], s[2:3]
	s_cbranch_execz .LBB126_468
; %bb.465:
	v_lshlrev_b32_e32 v25, 9, v13
	v_lshlrev_b32_e32 v11, 3, v1
	ds_read_b64 v[11:12], v11 offset:17664
	ds_read_b64 v[25:26], v25 offset:17680
	v_cmp_gt_u32_e64 s[14:15], 2, v15
	s_waitcnt lgkmcnt(0)
	v_fma_f64 v[11:12], v[11:12], v[25:26], 0
	s_and_saveexec_b64 s[20:21], s[14:15]
	s_cbranch_execz .LBB126_467
; %bb.466:
	v_lshlrev_b32_e32 v25, 3, v0
	v_mov_b32_e32 v27, 0
	ds_read_b64 v[25:26], v25 offset:18176
	ds_read_b64 v[27:28], v27 offset:18200
	s_waitcnt lgkmcnt(0)
	v_fma_f64 v[11:12], v[25:26], v[27:28], v[11:12]
.LBB126_467:
	s_or_b64 exec, exec, s[20:21]
.LBB126_468:
	s_or_b64 exec, exec, s[16:17]
	s_and_saveexec_b64 s[14:15], s[40:41]
	s_cbranch_execz .LBB126_470
; %bb.469:
	v_mov_b32_e32 v25, 0
	ds_read_b64 v[25:26], v25 offset:17160
	s_waitcnt lgkmcnt(0)
	v_mul_f64 v[11:12], v[11:12], v[25:26]
	v_xor_b32_e32 v26, 0x80000000, v12
	v_mov_b32_e32 v25, v11
	ds_write_b64 v14, v[25:26]
.LBB126_470:
	s_or_b64 exec, exec, s[14:15]
	s_waitcnt lgkmcnt(0)
	s_barrier
	s_and_saveexec_b64 s[0:1], s[38:39]
	s_cbranch_execz .LBB126_472
; %bb.471:
	v_mov_b32_e32 v25, 0
	ds_read_b64 v[25:26], v25 offset:17152
	ds_read_b64 v[27:28], v14
	s_waitcnt lgkmcnt(0)
	v_fma_f64 v[11:12], -v[25:26], v[27:28], v[11:12]
.LBB126_472:
	s_or_b64 exec, exec, s[0:1]
	s_barrier
	s_and_saveexec_b64 s[14:15], s[38:39]
	s_cbranch_execz .LBB126_474
; %bb.473:
	v_mov_b32_e32 v25, 0
	ds_read_b64 v[25:26], v25 offset:16640
	s_waitcnt lgkmcnt(0)
	v_mul_f64 v[11:12], v[11:12], v[25:26]
	v_xor_b32_e32 v26, 0x80000000, v12
	v_mov_b32_e32 v25, v11
	ds_write_b64 v14, v[25:26]
.LBB126_474:
	s_or_b64 exec, exec, s[14:15]
	s_waitcnt lgkmcnt(0)
	s_barrier
	s_barrier
	s_and_saveexec_b64 s[0:1], s[2:3]
; %bb.475:
	v_lshlrev_b32_e32 v25, 3, v1
	v_lshl_or_b32 v25, v13, 9, v25
	ds_write_b64 v25, v[11:12] offset:17664
; %bb.476:
	s_or_b64 exec, exec, s[0:1]
	s_waitcnt lgkmcnt(0)
	s_barrier
	s_barrier
	s_and_saveexec_b64 s[14:15], s[42:43]
	s_cbranch_execz .LBB126_478
; %bb.477:
	v_lshlrev_b32_e32 v25, 3, v0
	s_movk_i32 s0, 0x1f8
	v_mad_u32_u24 v26, v0, s0, v25
	ds_read_b64 v[11:12], v26 offset:17664
	s_waitcnt lgkmcnt(0)
	ds_write_b64 v25, v[11:12] offset:16656
	ds_read_b64 v[11:12], v26 offset:17672
	s_waitcnt lgkmcnt(0)
	ds_write_b64 v25, v[11:12] offset:17168
.LBB126_478:
	s_or_b64 exec, exec, s[14:15]
	s_waitcnt lgkmcnt(0)
	s_barrier
	s_and_saveexec_b64 s[14:15], vcc
	s_cbranch_execz .LBB126_480
; %bb.479:
	v_mov_b32_e32 v11, 0
	ds_read_b128 v[25:28], v11 offset:17152
	ds_read_b64 v[11:12], v11 offset:16640
	s_movk_i32 s0, 0x4000
	s_waitcnt lgkmcnt(0)
	v_mul_f64 v[11:12], v[11:12], v[27:28]
	v_mul_f64 v[11:12], v[25:26], v[11:12]
	v_add_u32_e64 v25, s0, 0
	ds_write2_b64 v25, v[11:12], v[11:12] offset0:33 offset1:96
.LBB126_480:
	s_or_b64 exec, exec, s[14:15]
	s_movk_i32 s0, 0x3ff
	v_lshrrev_b32_e32 v27, 5, v15
	v_cmp_lt_u32_e64 s[16:17], s0, v15
	s_movk_i32 s0, 0x400
	v_mov_b32_e32 v11, 0
	v_and_b32_e32 v25, 31, v0
	v_sub_u32_e32 v26, 31, v27
	v_mov_b32_e32 v12, 0
	v_cmp_gt_u32_e64 s[14:15], s0, v15
	s_waitcnt lgkmcnt(0)
	s_barrier
	buffer_wbinvl1_vol
	s_and_saveexec_b64 s[34:35], s[14:15]
	s_cbranch_execz .LBB126_542
; %bb.481:
	v_lshlrev_b32_e32 v29, 3, v25
	v_lshlrev_b32_e32 v28, 9, v26
	ds_read_b64 v[11:12], v29 offset:16384
	ds_read_b64 v[30:31], v28 offset:16640
	s_movk_i32 s0, 0x3e0
	v_cmp_gt_u32_e64 s[20:21], s0, v15
	s_waitcnt lgkmcnt(0)
	v_fma_f64 v[11:12], v[11:12], v[30:31], 0
	s_and_saveexec_b64 s[0:1], s[20:21]
	s_cbranch_execz .LBB126_483
; %bb.482:
	ds_read_b64 v[30:31], v29 offset:16896
	ds_read_b64 v[32:33], v28 offset:16648
	s_waitcnt lgkmcnt(0)
	v_fma_f64 v[11:12], v[30:31], v[32:33], v[11:12]
.LBB126_483:
	s_or_b64 exec, exec, s[0:1]
	s_movk_i32 s0, 0x3c0
	v_cmp_gt_u32_e64 s[20:21], s0, v15
	s_and_saveexec_b64 s[0:1], s[20:21]
	s_cbranch_execz .LBB126_485
; %bb.484:
	ds_read_b64 v[30:31], v29 offset:17408
	ds_read_b64 v[32:33], v28 offset:16656
	s_waitcnt lgkmcnt(0)
	v_fma_f64 v[11:12], v[30:31], v[32:33], v[11:12]
.LBB126_485:
	s_or_b64 exec, exec, s[0:1]
	s_movk_i32 s0, 0x3a0
	v_cmp_gt_u32_e64 s[20:21], s0, v15
	;; [unrolled: 11-line block ×22, first 2 shown]
	s_and_saveexec_b64 s[0:1], s[20:21]
	s_cbranch_execz .LBB126_527
; %bb.526:
	ds_read_b64 v[30:31], v29 offset:28160
	ds_read_b64 v[32:33], v28 offset:16824
	s_waitcnt lgkmcnt(0)
	v_fma_f64 v[11:12], v[30:31], v[32:33], v[11:12]
.LBB126_527:
	s_or_b64 exec, exec, s[0:1]
	s_and_saveexec_b64 s[0:1], s[10:11]
	s_cbranch_execz .LBB126_529
; %bb.528:
	ds_read_b64 v[30:31], v29 offset:28672
	ds_read_b64 v[32:33], v28 offset:16832
	s_waitcnt lgkmcnt(0)
	v_fma_f64 v[11:12], v[30:31], v[32:33], v[11:12]
.LBB126_529:
	s_or_b64 exec, exec, s[0:1]
	s_movk_i32 s0, 0xe0
	v_cmp_gt_u32_e64 s[20:21], s0, v15
	s_and_saveexec_b64 s[0:1], s[20:21]
	s_cbranch_execz .LBB126_531
; %bb.530:
	ds_read_b64 v[30:31], v29 offset:29184
	ds_read_b64 v[32:33], v28 offset:16840
	s_waitcnt lgkmcnt(0)
	v_fma_f64 v[11:12], v[30:31], v[32:33], v[11:12]
.LBB126_531:
	s_or_b64 exec, exec, s[0:1]
	s_movk_i32 s0, 0xc0
	v_cmp_gt_u32_e64 s[20:21], s0, v15
	;; [unrolled: 11-line block ×5, first 2 shown]
	s_and_saveexec_b64 s[0:1], s[20:21]
	s_cbranch_execnz .LBB126_1122
; %bb.538:
	s_or_b64 exec, exec, s[0:1]
	s_and_saveexec_b64 s[0:1], s[8:9]
	s_cbranch_execnz .LBB126_1123
.LBB126_539:
	s_or_b64 exec, exec, s[0:1]
	v_cmp_gt_u32_e64 s[20:21], 32, v15
	s_and_saveexec_b64 s[0:1], s[20:21]
	s_cbranch_execz .LBB126_541
.LBB126_540:
	v_lshlrev_b32_e32 v28, 3, v0
	v_mov_b32_e32 v30, 0
	ds_read_b64 v[28:29], v28 offset:32256
	ds_read_b64 v[30:31], v30 offset:32760
	s_waitcnt lgkmcnt(0)
	v_fma_f64 v[11:12], v[28:29], v[30:31], v[11:12]
.LBB126_541:
	s_or_b64 exec, exec, s[0:1]
.LBB126_542:
	s_or_b64 exec, exec, s[34:35]
	v_mov_b32_e32 v28, 0x8000
	s_movk_i32 s0, 0x208
	v_lshlrev_b32_e32 v29, 9, v25
	v_mov_b32_e32 v30, 0x3800
	v_lshl_add_u32 v27, v27, 3, v28
	v_mul_u32_u24_e32 v28, 0x208, v25
	v_sub_u32_e32 v29, 0, v29
	v_mad_u32_u24 v30, v25, s0, v30
	s_mov_b32 s34, 31
	s_xor_b64 s[20:21], s[16:17], -1
	s_branch .LBB126_544
.LBB126_543:                            ;   in Loop: Header=BB126_544 Depth=1
	s_or_b64 exec, exec, s[0:1]
	s_add_i32 s34, s34, -4
	s_cmp_eq_u32 s35, 0
	v_add_u32_e32 v29, 0xfffff800, v29
	s_barrier
	s_cbranch_scc1 .LBB126_560
.LBB126_544:                            ; =>This Inner Loop Header: Depth=1
	s_movk_i32 s0, 0xc200
	v_cmp_eq_u32_e64 s[16:17], s0, v29
	s_and_b64 s[16:17], s[20:21], s[16:17]
	s_and_saveexec_b64 s[0:1], s[16:17]
	s_cbranch_execz .LBB126_546
; %bb.545:                              ;   in Loop: Header=BB126_544 Depth=1
	ds_read_b64 v[31:32], v28
	s_waitcnt lgkmcnt(0)
	v_mul_f64 v[11:12], v[11:12], v[31:32]
	v_xor_b32_e32 v32, 0x80000000, v12
	v_mov_b32_e32 v31, v11
	ds_write_b64 v27, v[31:32]
.LBB126_546:                            ;   in Loop: Header=BB126_544 Depth=1
	s_or_b64 exec, exec, s[0:1]
	v_cmp_gt_u32_e64 s[16:17], s34, v25
	s_and_b64 s[16:17], s[20:21], s[16:17]
	v_add_u32_e32 v31, v30, v29
	s_waitcnt lgkmcnt(0)
	s_barrier
	s_and_saveexec_b64 s[0:1], s[16:17]
	s_cbranch_execz .LBB126_548
; %bb.547:                              ;   in Loop: Header=BB126_544 Depth=1
	ds_read_b64 v[32:33], v31 offset:1536
	ds_read_b64 v[34:35], v27
	s_waitcnt lgkmcnt(0)
	v_fma_f64 v[11:12], -v[32:33], v[34:35], v[11:12]
.LBB126_548:                            ;   in Loop: Header=BB126_544 Depth=1
	s_or_b64 exec, exec, s[0:1]
	s_add_i32 s35, s34, -1
	v_cmp_eq_u32_e64 s[16:17], s35, v25
	s_and_b64 s[16:17], s[20:21], s[16:17]
	s_barrier
	s_and_saveexec_b64 s[0:1], s[16:17]
	s_cbranch_execz .LBB126_550
; %bb.549:                              ;   in Loop: Header=BB126_544 Depth=1
	ds_read_b64 v[32:33], v28
	s_waitcnt lgkmcnt(0)
	v_mul_f64 v[11:12], v[11:12], v[32:33]
	v_xor_b32_e32 v33, 0x80000000, v12
	v_mov_b32_e32 v32, v11
	ds_write_b64 v27, v[32:33]
.LBB126_550:                            ;   in Loop: Header=BB126_544 Depth=1
	s_or_b64 exec, exec, s[0:1]
	v_cmp_gt_u32_e64 s[16:17], s35, v25
	s_and_b64 s[16:17], s[20:21], s[16:17]
	s_waitcnt lgkmcnt(0)
	s_barrier
	s_and_saveexec_b64 s[0:1], s[16:17]
	s_cbranch_execz .LBB126_552
; %bb.551:                              ;   in Loop: Header=BB126_544 Depth=1
	ds_read_b64 v[32:33], v31 offset:1024
	ds_read_b64 v[34:35], v27
	s_waitcnt lgkmcnt(0)
	v_fma_f64 v[11:12], -v[32:33], v[34:35], v[11:12]
.LBB126_552:                            ;   in Loop: Header=BB126_544 Depth=1
	s_or_b64 exec, exec, s[0:1]
	s_add_i32 s35, s34, -2
	v_cmp_eq_u32_e64 s[16:17], s35, v25
	s_and_b64 s[16:17], s[20:21], s[16:17]
	s_barrier
	s_and_saveexec_b64 s[0:1], s[16:17]
	s_cbranch_execz .LBB126_554
; %bb.553:                              ;   in Loop: Header=BB126_544 Depth=1
	ds_read_b64 v[32:33], v28
	s_waitcnt lgkmcnt(0)
	v_mul_f64 v[11:12], v[11:12], v[32:33]
	v_xor_b32_e32 v33, 0x80000000, v12
	v_mov_b32_e32 v32, v11
	ds_write_b64 v27, v[32:33]
.LBB126_554:                            ;   in Loop: Header=BB126_544 Depth=1
	s_or_b64 exec, exec, s[0:1]
	v_cmp_gt_u32_e64 s[16:17], s35, v25
	s_and_b64 s[16:17], s[20:21], s[16:17]
	;; [unrolled: 28-line block ×3, first 2 shown]
	s_waitcnt lgkmcnt(0)
	s_barrier
	s_and_saveexec_b64 s[0:1], s[16:17]
	s_cbranch_execz .LBB126_543
; %bb.559:                              ;   in Loop: Header=BB126_544 Depth=1
	ds_read_b64 v[31:32], v31
	ds_read_b64 v[33:34], v27
	s_waitcnt lgkmcnt(0)
	v_fma_f64 v[11:12], -v[31:32], v[33:34], v[11:12]
	s_branch .LBB126_543
.LBB126_560:
	s_and_saveexec_b64 s[0:1], s[14:15]
; %bb.561:
	v_lshlrev_b32_e32 v25, 3, v25
	v_lshl_or_b32 v25, v26, 9, v25
	ds_write_b64 v25, v[11:12] offset:16384
; %bb.562:
	s_or_b64 exec, exec, s[0:1]
	v_cmp_gt_u32_e64 s[14:15], 32, v0
	s_and_b64 s[0:1], s[12:13], s[14:15]
	s_waitcnt lgkmcnt(0)
	s_barrier
	s_barrier
	s_and_saveexec_b64 s[12:13], s[0:1]
	s_cbranch_execz .LBB126_564
; %bb.563:
	v_lshlrev_b32_e32 v25, 9, v0
	ds_read_b64 v[11:12], v25 offset:16384
	s_movk_i32 s0, 0xfe08
	v_mad_i32_i24 v26, v0, s0, v25
	s_waitcnt lgkmcnt(0)
	ds_write_b64 v26, v[11:12] offset:256
	ds_read_b64 v[11:12], v25 offset:16392
	s_waitcnt lgkmcnt(0)
	ds_write_b64 v26, v[11:12] offset:768
	ds_read_b64 v[11:12], v25 offset:16400
	;; [unrolled: 3-line block ×31, first 2 shown]
	s_waitcnt lgkmcnt(0)
	ds_write_b64 v26, v[11:12] offset:16128
.LBB126_564:
	s_or_b64 exec, exec, s[12:13]
	s_waitcnt lgkmcnt(0)
	s_barrier
	s_and_saveexec_b64 s[12:13], vcc
	s_cbranch_execz .LBB126_566
; %bb.565:
	v_mov_b32_e32 v11, 0
	ds_read_b128 v[25:28], v11 offset:16112
	ds_read_b64 v[11:12], v11 offset:15600
	s_movk_i32 s0, 0x3800
	s_waitcnt lgkmcnt(0)
	v_mul_f64 v[11:12], v[11:12], v[27:28]
	v_mul_f64 v[11:12], v[25:26], v[11:12]
	v_add_u32_e64 v25, s0, 0
	ds_write2_b64 v25, v[11:12], v[11:12] offset0:159 offset1:222
.LBB126_566:
	s_or_b64 exec, exec, s[12:13]
	v_mov_b32_e32 v11, 0
	v_mov_b32_e32 v12, 0
	s_waitcnt lgkmcnt(0)
	s_barrier
	buffer_wbinvl1_vol
	s_and_saveexec_b64 s[14:15], s[2:3]
	s_cbranch_execz .LBB126_570
; %bb.567:
	v_lshlrev_b32_e32 v25, 9, v13
	v_lshlrev_b32_e32 v11, 3, v1
	ds_read_b64 v[11:12], v11 offset:15584
	ds_read_b64 v[25:26], v25 offset:15600
	v_cmp_gt_u32_e64 s[12:13], 2, v15
	s_waitcnt lgkmcnt(0)
	v_fma_f64 v[11:12], v[11:12], v[25:26], 0
	s_and_saveexec_b64 s[0:1], s[12:13]
	s_cbranch_execz .LBB126_569
; %bb.568:
	v_lshlrev_b32_e32 v25, 3, v0
	v_mov_b32_e32 v27, 0
	ds_read_b64 v[25:26], v25 offset:16096
	ds_read_b64 v[27:28], v27 offset:16120
	s_waitcnt lgkmcnt(0)
	v_fma_f64 v[11:12], v[25:26], v[27:28], v[11:12]
.LBB126_569:
	s_or_b64 exec, exec, s[0:1]
.LBB126_570:
	s_or_b64 exec, exec, s[14:15]
	s_and_saveexec_b64 s[12:13], s[40:41]
	s_cbranch_execz .LBB126_572
; %bb.571:
	v_mov_b32_e32 v25, 0
	ds_read_b64 v[25:26], v25 offset:15080
	s_waitcnt lgkmcnt(0)
	v_mul_f64 v[11:12], v[11:12], v[25:26]
	v_xor_b32_e32 v26, 0x80000000, v12
	v_mov_b32_e32 v25, v11
	ds_write_b64 v14, v[25:26]
.LBB126_572:
	s_or_b64 exec, exec, s[12:13]
	s_waitcnt lgkmcnt(0)
	s_barrier
	s_and_saveexec_b64 s[0:1], s[38:39]
	s_cbranch_execz .LBB126_574
; %bb.573:
	v_mov_b32_e32 v25, 0
	ds_read_b64 v[25:26], v25 offset:15072
	ds_read_b64 v[27:28], v14
	s_waitcnt lgkmcnt(0)
	v_fma_f64 v[11:12], -v[25:26], v[27:28], v[11:12]
.LBB126_574:
	s_or_b64 exec, exec, s[0:1]
	s_barrier
	s_and_saveexec_b64 s[12:13], s[38:39]
	s_cbranch_execz .LBB126_576
; %bb.575:
	v_mov_b32_e32 v25, 0
	ds_read_b64 v[25:26], v25 offset:14560
	s_waitcnt lgkmcnt(0)
	v_mul_f64 v[11:12], v[11:12], v[25:26]
	v_xor_b32_e32 v26, 0x80000000, v12
	v_mov_b32_e32 v25, v11
	ds_write_b64 v14, v[25:26]
.LBB126_576:
	s_or_b64 exec, exec, s[12:13]
	s_waitcnt lgkmcnt(0)
	s_barrier
	s_barrier
	s_and_saveexec_b64 s[0:1], s[2:3]
; %bb.577:
	v_lshlrev_b32_e32 v25, 3, v1
	v_lshl_or_b32 v25, v13, 9, v25
	ds_write_b64 v25, v[11:12] offset:15584
; %bb.578:
	s_or_b64 exec, exec, s[0:1]
	s_waitcnt lgkmcnt(0)
	s_barrier
	s_barrier
	s_and_saveexec_b64 s[0:1], s[42:43]
	s_cbranch_execz .LBB126_580
; %bb.579:
	v_lshlrev_b32_e32 v25, 3, v0
	s_movk_i32 s12, 0x1f8
	v_mad_u32_u24 v26, v0, s12, v25
	ds_read_b64 v[11:12], v26 offset:15584
	s_waitcnt lgkmcnt(0)
	ds_write_b64 v25, v[11:12] offset:14576
	ds_read_b64 v[11:12], v26 offset:15592
	s_waitcnt lgkmcnt(0)
	ds_write_b64 v25, v[11:12] offset:15088
.LBB126_580:
	s_or_b64 exec, exec, s[0:1]
	s_waitcnt lgkmcnt(0)
	s_barrier
	s_and_saveexec_b64 s[12:13], vcc
	s_cbranch_execz .LBB126_582
; %bb.581:
	v_mov_b32_e32 v11, 0
	ds_read_b128 v[25:28], v11 offset:15072
	ds_read_b64 v[11:12], v11 offset:14560
	s_movk_i32 s0, 0x3800
	s_waitcnt lgkmcnt(0)
	v_mul_f64 v[11:12], v[11:12], v[27:28]
	v_mul_f64 v[11:12], v[25:26], v[11:12]
	v_add_u32_e64 v25, s0, 0
	ds_write2_b64 v25, v[11:12], v[11:12] offset0:29 offset1:92
.LBB126_582:
	s_or_b64 exec, exec, s[12:13]
	v_mov_b32_e32 v11, 0
	v_mov_b32_e32 v12, 0
	s_waitcnt lgkmcnt(0)
	s_barrier
	buffer_wbinvl1_vol
	s_and_saveexec_b64 s[14:15], s[18:19]
	s_cbranch_execz .LBB126_588
; %bb.583:
	v_lshlrev_b32_e32 v26, 3, v16
	v_lshlrev_b32_e32 v25, 9, v17
	ds_read_b64 v[11:12], v26 offset:14528
	ds_read_b64 v[27:28], v25 offset:14560
	v_cmp_gt_u32_e64 s[12:13], 12, v15
	s_waitcnt lgkmcnt(0)
	v_fma_f64 v[11:12], v[11:12], v[27:28], 0
	s_and_saveexec_b64 s[0:1], s[12:13]
	s_cbranch_execnz .LBB126_1124
; %bb.584:
	s_or_b64 exec, exec, s[0:1]
	v_cmp_gt_u32_e64 s[12:13], 8, v15
	s_and_saveexec_b64 s[0:1], s[12:13]
	s_cbranch_execnz .LBB126_1125
.LBB126_585:
	s_or_b64 exec, exec, s[0:1]
	v_cmp_gt_u32_e64 s[12:13], 4, v15
	s_and_saveexec_b64 s[0:1], s[12:13]
	s_cbranch_execz .LBB126_587
.LBB126_586:
	v_lshlrev_b32_e32 v25, 3, v0
	v_mov_b32_e32 v27, 0
	ds_read_b64 v[25:26], v25 offset:16064
	ds_read_b64 v[27:28], v27 offset:16120
	s_waitcnt lgkmcnt(0)
	v_fma_f64 v[11:12], v[25:26], v[27:28], v[11:12]
.LBB126_587:
	s_or_b64 exec, exec, s[0:1]
.LBB126_588:
	s_or_b64 exec, exec, s[14:15]
	s_and_saveexec_b64 s[12:13], s[46:47]
	s_cbranch_execz .LBB126_590
; %bb.589:
	v_mov_b32_e32 v25, 0
	ds_read_b64 v[25:26], v25 offset:14040
	s_waitcnt lgkmcnt(0)
	v_mul_f64 v[11:12], v[11:12], v[25:26]
	v_xor_b32_e32 v26, 0x80000000, v12
	v_mov_b32_e32 v25, v11
	ds_write_b64 v18, v[25:26]
.LBB126_590:
	s_or_b64 exec, exec, s[12:13]
	s_waitcnt lgkmcnt(0)
	s_barrier
	s_and_saveexec_b64 s[0:1], s[48:49]
	s_cbranch_execz .LBB126_592
; %bb.591:
	v_lshlrev_b32_e32 v25, 3, v16
	ds_read_b64 v[25:26], v25 offset:14016
	ds_read_b64 v[27:28], v18
	s_waitcnt lgkmcnt(0)
	v_fma_f64 v[11:12], -v[25:26], v[27:28], v[11:12]
.LBB126_592:
	s_or_b64 exec, exec, s[0:1]
	s_barrier
	s_and_saveexec_b64 s[12:13], s[50:51]
	s_cbranch_execz .LBB126_594
; %bb.593:
	v_mov_b32_e32 v25, 0
	ds_read_b64 v[25:26], v25 offset:13520
	s_waitcnt lgkmcnt(0)
	v_mul_f64 v[11:12], v[11:12], v[25:26]
	v_xor_b32_e32 v26, 0x80000000, v12
	v_mov_b32_e32 v25, v11
	ds_write_b64 v18, v[25:26]
.LBB126_594:
	s_or_b64 exec, exec, s[12:13]
	s_waitcnt lgkmcnt(0)
	s_barrier
	s_and_saveexec_b64 s[0:1], s[52:53]
	s_cbranch_execz .LBB126_596
; %bb.595:
	v_lshlrev_b32_e32 v25, 3, v16
	ds_read_b64 v[25:26], v25 offset:13504
	ds_read_b64 v[27:28], v18
	s_waitcnt lgkmcnt(0)
	v_fma_f64 v[11:12], -v[25:26], v[27:28], v[11:12]
.LBB126_596:
	s_or_b64 exec, exec, s[0:1]
	s_barrier
	s_and_saveexec_b64 s[12:13], s[54:55]
	s_cbranch_execz .LBB126_598
; %bb.597:
	v_mov_b32_e32 v25, 0
	ds_read_b64 v[25:26], v25 offset:13000
	s_waitcnt lgkmcnt(0)
	v_mul_f64 v[11:12], v[11:12], v[25:26]
	v_xor_b32_e32 v26, 0x80000000, v12
	v_mov_b32_e32 v25, v11
	ds_write_b64 v18, v[25:26]
.LBB126_598:
	s_or_b64 exec, exec, s[12:13]
	s_waitcnt lgkmcnt(0)
	s_barrier
	s_and_saveexec_b64 s[0:1], s[44:45]
	s_cbranch_execz .LBB126_600
; %bb.599:
	v_mov_b32_e32 v25, 0
	ds_read_b64 v[25:26], v25 offset:12992
	ds_read_b64 v[27:28], v18
	s_waitcnt lgkmcnt(0)
	v_fma_f64 v[11:12], -v[25:26], v[27:28], v[11:12]
.LBB126_600:
	s_or_b64 exec, exec, s[0:1]
	s_barrier
	s_and_saveexec_b64 s[12:13], s[44:45]
	s_cbranch_execz .LBB126_602
; %bb.601:
	v_mov_b32_e32 v25, 0
	ds_read_b64 v[25:26], v25 offset:12480
	s_waitcnt lgkmcnt(0)
	v_mul_f64 v[11:12], v[11:12], v[25:26]
	v_xor_b32_e32 v26, 0x80000000, v12
	v_mov_b32_e32 v25, v11
	ds_write_b64 v18, v[25:26]
.LBB126_602:
	s_or_b64 exec, exec, s[12:13]
	s_waitcnt lgkmcnt(0)
	s_barrier
	s_barrier
	s_and_saveexec_b64 s[0:1], s[18:19]
; %bb.603:
	v_lshlrev_b32_e32 v25, 3, v16
	v_lshl_or_b32 v25, v17, 9, v25
	ds_write_b64 v25, v[11:12] offset:14528
; %bb.604:
	s_or_b64 exec, exec, s[0:1]
	s_waitcnt lgkmcnt(0)
	s_barrier
	s_barrier
	s_and_saveexec_b64 s[12:13], s[56:57]
	s_cbranch_execz .LBB126_606
; %bb.605:
	v_lshlrev_b32_e32 v25, 9, v0
	ds_read_b64 v[11:12], v25 offset:14528
	s_movk_i32 s0, 0xfe08
	v_mad_i32_i24 v26, v0, s0, v25
	s_waitcnt lgkmcnt(0)
	ds_write_b64 v26, v[11:12] offset:12512
	ds_read_b64 v[11:12], v25 offset:14536
	s_waitcnt lgkmcnt(0)
	ds_write_b64 v26, v[11:12] offset:13024
	ds_read_b64 v[11:12], v25 offset:14544
	;; [unrolled: 3-line block ×3, first 2 shown]
	s_waitcnt lgkmcnt(0)
	ds_write_b64 v26, v[11:12] offset:14048
.LBB126_606:
	s_or_b64 exec, exec, s[12:13]
	s_waitcnt lgkmcnt(0)
	s_barrier
	s_and_saveexec_b64 s[12:13], vcc
	s_cbranch_execz .LBB126_608
; %bb.607:
	v_mov_b32_e32 v11, 0
	ds_read_b128 v[25:28], v11 offset:14032
	ds_read_b64 v[11:12], v11 offset:13520
	s_movk_i32 s0, 0x3000
	s_waitcnt lgkmcnt(0)
	v_mul_f64 v[11:12], v[11:12], v[27:28]
	v_mul_f64 v[11:12], v[25:26], v[11:12]
	v_add_u32_e64 v25, s0, 0
	ds_write2_b64 v25, v[11:12], v[11:12] offset0:155 offset1:218
.LBB126_608:
	s_or_b64 exec, exec, s[12:13]
	v_mov_b32_e32 v11, 0
	v_mov_b32_e32 v12, 0
	s_waitcnt lgkmcnt(0)
	s_barrier
	buffer_wbinvl1_vol
	s_and_saveexec_b64 s[14:15], s[2:3]
	s_cbranch_execz .LBB126_612
; %bb.609:
	v_lshlrev_b32_e32 v25, 9, v13
	v_lshlrev_b32_e32 v11, 3, v1
	ds_read_b64 v[11:12], v11 offset:13504
	ds_read_b64 v[25:26], v25 offset:13520
	v_cmp_gt_u32_e64 s[12:13], 2, v15
	s_waitcnt lgkmcnt(0)
	v_fma_f64 v[11:12], v[11:12], v[25:26], 0
	s_and_saveexec_b64 s[0:1], s[12:13]
	s_cbranch_execz .LBB126_611
; %bb.610:
	v_lshlrev_b32_e32 v25, 3, v0
	v_mov_b32_e32 v27, 0
	ds_read_b64 v[25:26], v25 offset:14016
	ds_read_b64 v[27:28], v27 offset:14040
	s_waitcnt lgkmcnt(0)
	v_fma_f64 v[11:12], v[25:26], v[27:28], v[11:12]
.LBB126_611:
	s_or_b64 exec, exec, s[0:1]
.LBB126_612:
	s_or_b64 exec, exec, s[14:15]
	s_and_saveexec_b64 s[12:13], s[40:41]
	s_cbranch_execz .LBB126_614
; %bb.613:
	v_mov_b32_e32 v25, 0
	ds_read_b64 v[25:26], v25 offset:13000
	s_waitcnt lgkmcnt(0)
	v_mul_f64 v[11:12], v[11:12], v[25:26]
	v_xor_b32_e32 v26, 0x80000000, v12
	v_mov_b32_e32 v25, v11
	ds_write_b64 v14, v[25:26]
.LBB126_614:
	s_or_b64 exec, exec, s[12:13]
	s_waitcnt lgkmcnt(0)
	s_barrier
	s_and_saveexec_b64 s[0:1], s[38:39]
	s_cbranch_execz .LBB126_616
; %bb.615:
	v_mov_b32_e32 v25, 0
	ds_read_b64 v[25:26], v25 offset:12992
	ds_read_b64 v[27:28], v14
	s_waitcnt lgkmcnt(0)
	v_fma_f64 v[11:12], -v[25:26], v[27:28], v[11:12]
.LBB126_616:
	s_or_b64 exec, exec, s[0:1]
	s_barrier
	s_and_saveexec_b64 s[12:13], s[38:39]
	s_cbranch_execz .LBB126_618
; %bb.617:
	v_mov_b32_e32 v25, 0
	ds_read_b64 v[25:26], v25 offset:12480
	s_waitcnt lgkmcnt(0)
	v_mul_f64 v[11:12], v[11:12], v[25:26]
	v_xor_b32_e32 v26, 0x80000000, v12
	v_mov_b32_e32 v25, v11
	ds_write_b64 v14, v[25:26]
.LBB126_618:
	s_or_b64 exec, exec, s[12:13]
	s_waitcnt lgkmcnt(0)
	s_barrier
	s_barrier
	s_and_saveexec_b64 s[0:1], s[2:3]
; %bb.619:
	v_lshlrev_b32_e32 v25, 3, v1
	v_lshl_or_b32 v25, v13, 9, v25
	ds_write_b64 v25, v[11:12] offset:13504
; %bb.620:
	s_or_b64 exec, exec, s[0:1]
	s_waitcnt lgkmcnt(0)
	s_barrier
	s_barrier
	s_and_saveexec_b64 s[0:1], s[42:43]
	s_cbranch_execz .LBB126_622
; %bb.621:
	v_lshlrev_b32_e32 v25, 3, v0
	s_movk_i32 s12, 0x1f8
	v_mad_u32_u24 v26, v0, s12, v25
	ds_read_b64 v[11:12], v26 offset:13504
	s_waitcnt lgkmcnt(0)
	ds_write_b64 v25, v[11:12] offset:12496
	ds_read_b64 v[11:12], v26 offset:13512
	s_waitcnt lgkmcnt(0)
	ds_write_b64 v25, v[11:12] offset:13008
.LBB126_622:
	s_or_b64 exec, exec, s[0:1]
	s_waitcnt lgkmcnt(0)
	s_barrier
	s_and_saveexec_b64 s[12:13], vcc
	s_cbranch_execz .LBB126_624
; %bb.623:
	v_mov_b32_e32 v11, 0
	ds_read_b128 v[25:28], v11 offset:12992
	ds_read_b64 v[11:12], v11 offset:12480
	s_movk_i32 s0, 0x3000
	s_waitcnt lgkmcnt(0)
	v_mul_f64 v[11:12], v[11:12], v[27:28]
	v_mul_f64 v[11:12], v[25:26], v[11:12]
	v_add_u32_e64 v25, s0, 0
	ds_write2_b64 v25, v[11:12], v[11:12] offset0:25 offset1:88
.LBB126_624:
	s_or_b64 exec, exec, s[12:13]
	v_mov_b32_e32 v11, 0
	v_mov_b32_e32 v12, 0
	s_waitcnt lgkmcnt(0)
	s_barrier
	buffer_wbinvl1_vol
	s_and_saveexec_b64 s[14:15], s[8:9]
	s_cbranch_execz .LBB126_634
; %bb.625:
	v_lshlrev_b32_e32 v26, 3, v19
	v_lshlrev_b32_e32 v25, 9, v20
	ds_read_b64 v[11:12], v26 offset:12416
	ds_read_b64 v[27:28], v25 offset:12480
	v_cmp_gt_u32_e64 s[12:13], 56, v15
	s_waitcnt lgkmcnt(0)
	v_fma_f64 v[11:12], v[11:12], v[27:28], 0
	s_and_saveexec_b64 s[0:1], s[12:13]
	s_cbranch_execnz .LBB126_1126
; %bb.626:
	s_or_b64 exec, exec, s[0:1]
	v_cmp_gt_u32_e64 s[12:13], 48, v15
	s_and_saveexec_b64 s[0:1], s[12:13]
	s_cbranch_execnz .LBB126_1127
.LBB126_627:
	s_or_b64 exec, exec, s[0:1]
	v_cmp_gt_u32_e64 s[12:13], 40, v15
	s_and_saveexec_b64 s[0:1], s[12:13]
	s_cbranch_execnz .LBB126_1128
.LBB126_628:
	s_or_b64 exec, exec, s[0:1]
	v_cmp_gt_u32_e64 s[12:13], 32, v15
	s_and_saveexec_b64 s[0:1], s[12:13]
	s_cbranch_execnz .LBB126_1129
.LBB126_629:
	s_or_b64 exec, exec, s[0:1]
	v_cmp_gt_u32_e64 s[12:13], 24, v15
	s_and_saveexec_b64 s[0:1], s[12:13]
	s_cbranch_execnz .LBB126_1130
.LBB126_630:
	s_or_b64 exec, exec, s[0:1]
	s_and_saveexec_b64 s[0:1], s[18:19]
	s_cbranch_execnz .LBB126_1131
.LBB126_631:
	s_or_b64 exec, exec, s[0:1]
	v_cmp_gt_u32_e64 s[12:13], 8, v15
	s_and_saveexec_b64 s[0:1], s[12:13]
	s_cbranch_execz .LBB126_633
.LBB126_632:
	v_lshlrev_b32_e32 v25, 3, v0
	v_mov_b32_e32 v27, 0
	ds_read_b64 v[25:26], v25 offset:16000
	ds_read_b64 v[27:28], v27 offset:16120
	s_waitcnt lgkmcnt(0)
	v_fma_f64 v[11:12], v[25:26], v[27:28], v[11:12]
.LBB126_633:
	s_or_b64 exec, exec, s[0:1]
.LBB126_634:
	s_or_b64 exec, exec, s[14:15]
	s_and_saveexec_b64 s[12:13], s[58:59]
	s_cbranch_execz .LBB126_636
; %bb.635:
	v_mov_b32_e32 v25, 0
	ds_read_b64 v[25:26], v25 offset:11960
	s_waitcnt lgkmcnt(0)
	v_mul_f64 v[11:12], v[11:12], v[25:26]
	v_xor_b32_e32 v26, 0x80000000, v12
	v_mov_b32_e32 v25, v11
	ds_write_b64 v21, v[25:26]
.LBB126_636:
	s_or_b64 exec, exec, s[12:13]
	s_waitcnt lgkmcnt(0)
	s_barrier
	s_and_saveexec_b64 s[0:1], s[60:61]
	s_cbranch_execz .LBB126_638
; %bb.637:
	v_lshlrev_b32_e32 v25, 3, v19
	ds_read_b64 v[25:26], v25 offset:11904
	ds_read_b64 v[27:28], v21
	s_waitcnt lgkmcnt(0)
	v_fma_f64 v[11:12], -v[25:26], v[27:28], v[11:12]
.LBB126_638:
	s_or_b64 exec, exec, s[0:1]
	s_barrier
	s_and_saveexec_b64 s[12:13], s[62:63]
	s_cbranch_execz .LBB126_640
; %bb.639:
	v_mov_b32_e32 v25, 0
	ds_read_b64 v[25:26], v25 offset:11440
	s_waitcnt lgkmcnt(0)
	v_mul_f64 v[11:12], v[11:12], v[25:26]
	v_xor_b32_e32 v26, 0x80000000, v12
	v_mov_b32_e32 v25, v11
	ds_write_b64 v21, v[25:26]
.LBB126_640:
	s_or_b64 exec, exec, s[12:13]
	s_waitcnt lgkmcnt(0)
	s_barrier
	s_and_saveexec_b64 s[0:1], s[64:65]
	s_cbranch_execz .LBB126_642
; %bb.641:
	v_lshlrev_b32_e32 v25, 3, v19
	ds_read_b64 v[25:26], v25 offset:11392
	ds_read_b64 v[27:28], v21
	s_waitcnt lgkmcnt(0)
	v_fma_f64 v[11:12], -v[25:26], v[27:28], v[11:12]
.LBB126_642:
	s_or_b64 exec, exec, s[0:1]
	s_barrier
	;; [unrolled: 25-line block ×6, first 2 shown]
	s_and_saveexec_b64 s[12:13], s[84:85]
	s_cbranch_execz .LBB126_660
; %bb.659:
	v_mov_b32_e32 v25, 0
	ds_read_b64 v[25:26], v25 offset:8840
	s_waitcnt lgkmcnt(0)
	v_mul_f64 v[11:12], v[11:12], v[25:26]
	v_xor_b32_e32 v26, 0x80000000, v12
	v_mov_b32_e32 v25, v11
	ds_write_b64 v21, v[25:26]
.LBB126_660:
	s_or_b64 exec, exec, s[12:13]
	s_waitcnt lgkmcnt(0)
	s_barrier
	s_and_saveexec_b64 s[0:1], s[68:69]
	s_cbranch_execz .LBB126_662
; %bb.661:
	v_mov_b32_e32 v25, 0
	ds_read_b64 v[25:26], v25 offset:8832
	ds_read_b64 v[27:28], v21
	s_waitcnt lgkmcnt(0)
	v_fma_f64 v[11:12], -v[25:26], v[27:28], v[11:12]
.LBB126_662:
	s_or_b64 exec, exec, s[0:1]
	s_barrier
	s_and_saveexec_b64 s[12:13], s[68:69]
	s_cbranch_execz .LBB126_664
; %bb.663:
	v_mov_b32_e32 v25, 0
	ds_read_b64 v[25:26], v25 offset:8320
	s_waitcnt lgkmcnt(0)
	v_mul_f64 v[11:12], v[11:12], v[25:26]
	v_xor_b32_e32 v26, 0x80000000, v12
	v_mov_b32_e32 v25, v11
	ds_write_b64 v21, v[25:26]
.LBB126_664:
	s_or_b64 exec, exec, s[12:13]
	s_waitcnt lgkmcnt(0)
	s_barrier
	s_barrier
	s_and_saveexec_b64 s[0:1], s[8:9]
; %bb.665:
	v_lshlrev_b32_e32 v25, 3, v19
	v_lshl_or_b32 v25, v20, 9, v25
	ds_write_b64 v25, v[11:12] offset:12416
; %bb.666:
	s_or_b64 exec, exec, s[0:1]
	s_waitcnt lgkmcnt(0)
	s_barrier
	s_barrier
	s_and_saveexec_b64 s[12:13], s[86:87]
	s_cbranch_execz .LBB126_668
; %bb.667:
	v_lshlrev_b32_e32 v25, 9, v0
	ds_read_b64 v[11:12], v25 offset:12416
	s_movk_i32 s0, 0xfe08
	v_mad_i32_i24 v26, v0, s0, v25
	s_waitcnt lgkmcnt(0)
	ds_write_b64 v26, v[11:12] offset:8384
	ds_read_b64 v[11:12], v25 offset:12424
	s_waitcnt lgkmcnt(0)
	ds_write_b64 v26, v[11:12] offset:8896
	ds_read_b64 v[11:12], v25 offset:12432
	;; [unrolled: 3-line block ×7, first 2 shown]
	s_waitcnt lgkmcnt(0)
	ds_write_b64 v26, v[11:12] offset:11968
.LBB126_668:
	s_or_b64 exec, exec, s[12:13]
	s_waitcnt lgkmcnt(0)
	s_barrier
	s_and_saveexec_b64 s[12:13], vcc
	s_cbranch_execz .LBB126_670
; %bb.669:
	v_mov_b32_e32 v11, 0
	ds_read_b128 v[25:28], v11 offset:11952
	ds_read_b64 v[11:12], v11 offset:11440
	s_movk_i32 s0, 0x2800
	s_waitcnt lgkmcnt(0)
	v_mul_f64 v[11:12], v[11:12], v[27:28]
	v_mul_f64 v[11:12], v[25:26], v[11:12]
	v_add_u32_e64 v25, s0, 0
	ds_write2_b64 v25, v[11:12], v[11:12] offset0:151 offset1:214
.LBB126_670:
	s_or_b64 exec, exec, s[12:13]
	v_mov_b32_e32 v11, 0
	v_mov_b32_e32 v12, 0
	s_waitcnt lgkmcnt(0)
	s_barrier
	buffer_wbinvl1_vol
	s_and_saveexec_b64 s[14:15], s[2:3]
	s_cbranch_execz .LBB126_674
; %bb.671:
	v_lshlrev_b32_e32 v25, 9, v13
	v_lshlrev_b32_e32 v11, 3, v1
	ds_read_b64 v[11:12], v11 offset:11424
	ds_read_b64 v[25:26], v25 offset:11440
	v_cmp_gt_u32_e64 s[12:13], 2, v15
	s_waitcnt lgkmcnt(0)
	v_fma_f64 v[11:12], v[11:12], v[25:26], 0
	s_and_saveexec_b64 s[0:1], s[12:13]
	s_cbranch_execz .LBB126_673
; %bb.672:
	v_lshlrev_b32_e32 v25, 3, v0
	v_mov_b32_e32 v27, 0
	ds_read_b64 v[25:26], v25 offset:11936
	ds_read_b64 v[27:28], v27 offset:11960
	s_waitcnt lgkmcnt(0)
	v_fma_f64 v[11:12], v[25:26], v[27:28], v[11:12]
.LBB126_673:
	s_or_b64 exec, exec, s[0:1]
.LBB126_674:
	s_or_b64 exec, exec, s[14:15]
	s_and_saveexec_b64 s[12:13], s[40:41]
	s_cbranch_execz .LBB126_676
; %bb.675:
	v_mov_b32_e32 v25, 0
	ds_read_b64 v[25:26], v25 offset:10920
	s_waitcnt lgkmcnt(0)
	v_mul_f64 v[11:12], v[11:12], v[25:26]
	v_xor_b32_e32 v26, 0x80000000, v12
	v_mov_b32_e32 v25, v11
	ds_write_b64 v14, v[25:26]
.LBB126_676:
	s_or_b64 exec, exec, s[12:13]
	s_waitcnt lgkmcnt(0)
	s_barrier
	s_and_saveexec_b64 s[0:1], s[38:39]
	s_cbranch_execz .LBB126_678
; %bb.677:
	v_mov_b32_e32 v25, 0
	ds_read_b64 v[25:26], v25 offset:10912
	ds_read_b64 v[27:28], v14
	s_waitcnt lgkmcnt(0)
	v_fma_f64 v[11:12], -v[25:26], v[27:28], v[11:12]
.LBB126_678:
	s_or_b64 exec, exec, s[0:1]
	s_barrier
	s_and_saveexec_b64 s[12:13], s[38:39]
	s_cbranch_execz .LBB126_680
; %bb.679:
	v_mov_b32_e32 v25, 0
	ds_read_b64 v[25:26], v25 offset:10400
	s_waitcnt lgkmcnt(0)
	v_mul_f64 v[11:12], v[11:12], v[25:26]
	v_xor_b32_e32 v26, 0x80000000, v12
	v_mov_b32_e32 v25, v11
	ds_write_b64 v14, v[25:26]
.LBB126_680:
	s_or_b64 exec, exec, s[12:13]
	s_waitcnt lgkmcnt(0)
	s_barrier
	s_barrier
	s_and_saveexec_b64 s[0:1], s[2:3]
; %bb.681:
	v_lshlrev_b32_e32 v25, 3, v1
	v_lshl_or_b32 v25, v13, 9, v25
	ds_write_b64 v25, v[11:12] offset:11424
; %bb.682:
	s_or_b64 exec, exec, s[0:1]
	s_waitcnt lgkmcnt(0)
	s_barrier
	s_barrier
	s_and_saveexec_b64 s[0:1], s[42:43]
	s_cbranch_execz .LBB126_684
; %bb.683:
	v_lshlrev_b32_e32 v25, 3, v0
	s_movk_i32 s12, 0x1f8
	v_mad_u32_u24 v26, v0, s12, v25
	ds_read_b64 v[11:12], v26 offset:11424
	s_waitcnt lgkmcnt(0)
	ds_write_b64 v25, v[11:12] offset:10416
	ds_read_b64 v[11:12], v26 offset:11432
	s_waitcnt lgkmcnt(0)
	ds_write_b64 v25, v[11:12] offset:10928
.LBB126_684:
	s_or_b64 exec, exec, s[0:1]
	s_waitcnt lgkmcnt(0)
	s_barrier
	s_and_saveexec_b64 s[12:13], vcc
	s_cbranch_execz .LBB126_686
; %bb.685:
	v_mov_b32_e32 v11, 0
	ds_read_b128 v[25:28], v11 offset:10912
	ds_read_b64 v[11:12], v11 offset:10400
	s_movk_i32 s0, 0x2800
	s_waitcnt lgkmcnt(0)
	v_mul_f64 v[11:12], v[11:12], v[27:28]
	v_mul_f64 v[11:12], v[25:26], v[11:12]
	v_add_u32_e64 v25, s0, 0
	ds_write2_b64 v25, v[11:12], v[11:12] offset0:21 offset1:84
.LBB126_686:
	s_or_b64 exec, exec, s[12:13]
	v_mov_b32_e32 v11, 0
	v_mov_b32_e32 v12, 0
	s_waitcnt lgkmcnt(0)
	s_barrier
	buffer_wbinvl1_vol
	s_and_saveexec_b64 s[14:15], s[18:19]
	s_cbranch_execz .LBB126_692
; %bb.687:
	v_lshlrev_b32_e32 v26, 3, v16
	v_lshlrev_b32_e32 v25, 9, v17
	ds_read_b64 v[11:12], v26 offset:10368
	ds_read_b64 v[27:28], v25 offset:10400
	v_cmp_gt_u32_e64 s[12:13], 12, v15
	s_waitcnt lgkmcnt(0)
	v_fma_f64 v[11:12], v[11:12], v[27:28], 0
	s_and_saveexec_b64 s[0:1], s[12:13]
	s_cbranch_execnz .LBB126_1132
; %bb.688:
	s_or_b64 exec, exec, s[0:1]
	v_cmp_gt_u32_e64 s[12:13], 8, v15
	s_and_saveexec_b64 s[0:1], s[12:13]
	s_cbranch_execnz .LBB126_1133
.LBB126_689:
	s_or_b64 exec, exec, s[0:1]
	v_cmp_gt_u32_e64 s[12:13], 4, v15
	s_and_saveexec_b64 s[0:1], s[12:13]
	s_cbranch_execz .LBB126_691
.LBB126_690:
	v_lshlrev_b32_e32 v25, 3, v0
	v_mov_b32_e32 v27, 0
	ds_read_b64 v[25:26], v25 offset:11904
	ds_read_b64 v[27:28], v27 offset:11960
	s_waitcnt lgkmcnt(0)
	v_fma_f64 v[11:12], v[25:26], v[27:28], v[11:12]
.LBB126_691:
	s_or_b64 exec, exec, s[0:1]
.LBB126_692:
	s_or_b64 exec, exec, s[14:15]
	s_and_saveexec_b64 s[12:13], s[46:47]
	s_cbranch_execz .LBB126_694
; %bb.693:
	v_mov_b32_e32 v25, 0
	ds_read_b64 v[25:26], v25 offset:9880
	s_waitcnt lgkmcnt(0)
	v_mul_f64 v[11:12], v[11:12], v[25:26]
	v_xor_b32_e32 v26, 0x80000000, v12
	v_mov_b32_e32 v25, v11
	ds_write_b64 v18, v[25:26]
.LBB126_694:
	s_or_b64 exec, exec, s[12:13]
	s_waitcnt lgkmcnt(0)
	s_barrier
	s_and_saveexec_b64 s[0:1], s[48:49]
	s_cbranch_execz .LBB126_696
; %bb.695:
	v_lshlrev_b32_e32 v25, 3, v16
	ds_read_b64 v[25:26], v25 offset:9856
	ds_read_b64 v[27:28], v18
	s_waitcnt lgkmcnt(0)
	v_fma_f64 v[11:12], -v[25:26], v[27:28], v[11:12]
.LBB126_696:
	s_or_b64 exec, exec, s[0:1]
	s_barrier
	s_and_saveexec_b64 s[12:13], s[50:51]
	s_cbranch_execz .LBB126_698
; %bb.697:
	v_mov_b32_e32 v25, 0
	ds_read_b64 v[25:26], v25 offset:9360
	s_waitcnt lgkmcnt(0)
	v_mul_f64 v[11:12], v[11:12], v[25:26]
	v_xor_b32_e32 v26, 0x80000000, v12
	v_mov_b32_e32 v25, v11
	ds_write_b64 v18, v[25:26]
.LBB126_698:
	s_or_b64 exec, exec, s[12:13]
	s_waitcnt lgkmcnt(0)
	s_barrier
	s_and_saveexec_b64 s[0:1], s[52:53]
	s_cbranch_execz .LBB126_700
; %bb.699:
	v_lshlrev_b32_e32 v25, 3, v16
	ds_read_b64 v[25:26], v25 offset:9344
	ds_read_b64 v[27:28], v18
	s_waitcnt lgkmcnt(0)
	v_fma_f64 v[11:12], -v[25:26], v[27:28], v[11:12]
.LBB126_700:
	s_or_b64 exec, exec, s[0:1]
	s_barrier
	s_and_saveexec_b64 s[12:13], s[54:55]
	s_cbranch_execz .LBB126_702
; %bb.701:
	v_mov_b32_e32 v25, 0
	ds_read_b64 v[25:26], v25 offset:8840
	s_waitcnt lgkmcnt(0)
	v_mul_f64 v[11:12], v[11:12], v[25:26]
	v_xor_b32_e32 v26, 0x80000000, v12
	v_mov_b32_e32 v25, v11
	ds_write_b64 v18, v[25:26]
.LBB126_702:
	s_or_b64 exec, exec, s[12:13]
	s_waitcnt lgkmcnt(0)
	s_barrier
	s_and_saveexec_b64 s[0:1], s[44:45]
	s_cbranch_execz .LBB126_704
; %bb.703:
	v_mov_b32_e32 v25, 0
	ds_read_b64 v[25:26], v25 offset:8832
	ds_read_b64 v[27:28], v18
	s_waitcnt lgkmcnt(0)
	v_fma_f64 v[11:12], -v[25:26], v[27:28], v[11:12]
.LBB126_704:
	s_or_b64 exec, exec, s[0:1]
	s_barrier
	s_and_saveexec_b64 s[12:13], s[44:45]
	s_cbranch_execz .LBB126_706
; %bb.705:
	v_mov_b32_e32 v25, 0
	ds_read_b64 v[25:26], v25 offset:8320
	s_waitcnt lgkmcnt(0)
	v_mul_f64 v[11:12], v[11:12], v[25:26]
	v_xor_b32_e32 v26, 0x80000000, v12
	v_mov_b32_e32 v25, v11
	ds_write_b64 v18, v[25:26]
.LBB126_706:
	s_or_b64 exec, exec, s[12:13]
	s_waitcnt lgkmcnt(0)
	s_barrier
	s_barrier
	s_and_saveexec_b64 s[0:1], s[18:19]
; %bb.707:
	v_lshlrev_b32_e32 v25, 3, v16
	v_lshl_or_b32 v25, v17, 9, v25
	ds_write_b64 v25, v[11:12] offset:10368
; %bb.708:
	s_or_b64 exec, exec, s[0:1]
	s_waitcnt lgkmcnt(0)
	s_barrier
	s_barrier
	s_and_saveexec_b64 s[12:13], s[56:57]
	s_cbranch_execz .LBB126_710
; %bb.709:
	v_lshlrev_b32_e32 v25, 9, v0
	ds_read_b64 v[11:12], v25 offset:10368
	s_movk_i32 s0, 0xfe08
	v_mad_i32_i24 v26, v0, s0, v25
	s_waitcnt lgkmcnt(0)
	ds_write_b64 v26, v[11:12] offset:8352
	ds_read_b64 v[11:12], v25 offset:10376
	s_waitcnt lgkmcnt(0)
	ds_write_b64 v26, v[11:12] offset:8864
	ds_read_b64 v[11:12], v25 offset:10384
	;; [unrolled: 3-line block ×3, first 2 shown]
	s_waitcnt lgkmcnt(0)
	ds_write_b64 v26, v[11:12] offset:9888
.LBB126_710:
	s_or_b64 exec, exec, s[12:13]
	s_waitcnt lgkmcnt(0)
	s_barrier
	s_and_saveexec_b64 s[12:13], vcc
	s_cbranch_execz .LBB126_712
; %bb.711:
	v_mov_b32_e32 v11, 0
	ds_read_b128 v[25:28], v11 offset:9872
	ds_read_b64 v[11:12], v11 offset:9360
	s_movk_i32 s0, 0x2000
	s_waitcnt lgkmcnt(0)
	v_mul_f64 v[11:12], v[11:12], v[27:28]
	v_mul_f64 v[11:12], v[25:26], v[11:12]
	v_add_u32_e64 v25, s0, 0
	ds_write2_b64 v25, v[11:12], v[11:12] offset0:147 offset1:210
.LBB126_712:
	s_or_b64 exec, exec, s[12:13]
	v_mov_b32_e32 v11, 0
	v_mov_b32_e32 v12, 0
	s_waitcnt lgkmcnt(0)
	s_barrier
	buffer_wbinvl1_vol
	s_and_saveexec_b64 s[14:15], s[2:3]
	s_cbranch_execz .LBB126_716
; %bb.713:
	v_lshlrev_b32_e32 v25, 9, v13
	v_lshlrev_b32_e32 v11, 3, v1
	ds_read_b64 v[11:12], v11 offset:9344
	ds_read_b64 v[25:26], v25 offset:9360
	v_cmp_gt_u32_e64 s[12:13], 2, v15
	s_waitcnt lgkmcnt(0)
	v_fma_f64 v[11:12], v[11:12], v[25:26], 0
	s_and_saveexec_b64 s[0:1], s[12:13]
	s_cbranch_execz .LBB126_715
; %bb.714:
	v_lshlrev_b32_e32 v25, 3, v0
	v_mov_b32_e32 v27, 0
	ds_read_b64 v[25:26], v25 offset:9856
	ds_read_b64 v[27:28], v27 offset:9880
	s_waitcnt lgkmcnt(0)
	v_fma_f64 v[11:12], v[25:26], v[27:28], v[11:12]
.LBB126_715:
	s_or_b64 exec, exec, s[0:1]
.LBB126_716:
	s_or_b64 exec, exec, s[14:15]
	s_and_saveexec_b64 s[12:13], s[40:41]
	s_cbranch_execz .LBB126_718
; %bb.717:
	v_mov_b32_e32 v25, 0
	ds_read_b64 v[25:26], v25 offset:8840
	s_waitcnt lgkmcnt(0)
	v_mul_f64 v[11:12], v[11:12], v[25:26]
	v_xor_b32_e32 v26, 0x80000000, v12
	v_mov_b32_e32 v25, v11
	ds_write_b64 v14, v[25:26]
.LBB126_718:
	s_or_b64 exec, exec, s[12:13]
	s_waitcnt lgkmcnt(0)
	s_barrier
	s_and_saveexec_b64 s[0:1], s[38:39]
	s_cbranch_execz .LBB126_720
; %bb.719:
	v_mov_b32_e32 v25, 0
	ds_read_b64 v[25:26], v25 offset:8832
	ds_read_b64 v[27:28], v14
	s_waitcnt lgkmcnt(0)
	v_fma_f64 v[11:12], -v[25:26], v[27:28], v[11:12]
.LBB126_720:
	s_or_b64 exec, exec, s[0:1]
	s_barrier
	s_and_saveexec_b64 s[12:13], s[38:39]
	s_cbranch_execz .LBB126_722
; %bb.721:
	v_mov_b32_e32 v25, 0
	ds_read_b64 v[25:26], v25 offset:8320
	s_waitcnt lgkmcnt(0)
	v_mul_f64 v[11:12], v[11:12], v[25:26]
	v_xor_b32_e32 v26, 0x80000000, v12
	v_mov_b32_e32 v25, v11
	ds_write_b64 v14, v[25:26]
.LBB126_722:
	s_or_b64 exec, exec, s[12:13]
	s_waitcnt lgkmcnt(0)
	s_barrier
	s_barrier
	s_and_saveexec_b64 s[0:1], s[2:3]
; %bb.723:
	v_lshlrev_b32_e32 v25, 3, v1
	v_lshl_or_b32 v25, v13, 9, v25
	ds_write_b64 v25, v[11:12] offset:9344
; %bb.724:
	s_or_b64 exec, exec, s[0:1]
	s_waitcnt lgkmcnt(0)
	s_barrier
	s_barrier
	s_and_saveexec_b64 s[0:1], s[42:43]
	s_cbranch_execz .LBB126_726
; %bb.725:
	v_lshlrev_b32_e32 v25, 3, v0
	s_movk_i32 s12, 0x1f8
	v_mad_u32_u24 v26, v0, s12, v25
	ds_read_b64 v[11:12], v26 offset:9344
	s_waitcnt lgkmcnt(0)
	ds_write_b64 v25, v[11:12] offset:8336
	ds_read_b64 v[11:12], v26 offset:9352
	s_waitcnt lgkmcnt(0)
	ds_write_b64 v25, v[11:12] offset:8848
.LBB126_726:
	s_or_b64 exec, exec, s[0:1]
	s_waitcnt lgkmcnt(0)
	s_barrier
	s_and_saveexec_b64 s[12:13], vcc
	s_cbranch_execz .LBB126_728
; %bb.727:
	v_mov_b32_e32 v11, 0
	ds_read_b128 v[25:28], v11 offset:8832
	ds_read_b64 v[11:12], v11 offset:8320
	s_movk_i32 s0, 0x2000
	s_waitcnt lgkmcnt(0)
	v_mul_f64 v[11:12], v[11:12], v[27:28]
	v_mul_f64 v[11:12], v[25:26], v[11:12]
	v_add_u32_e64 v25, s0, 0
	ds_write2_b64 v25, v[11:12], v[11:12] offset0:17 offset1:80
.LBB126_728:
	s_or_b64 exec, exec, s[12:13]
	v_mov_b32_e32 v11, 0
	v_mov_b32_e32 v12, 0
	s_waitcnt lgkmcnt(0)
	s_barrier
	buffer_wbinvl1_vol
	s_and_saveexec_b64 s[14:15], s[10:11]
	s_cbranch_execz .LBB126_756
; %bb.729:
	v_lshlrev_b32_e32 v26, 3, v22
	v_lshlrev_b32_e32 v25, 9, v23
	ds_read_b64 v[11:12], v26 offset:8192
	ds_read_b64 v[27:28], v25 offset:8320
	s_movk_i32 s0, 0xf0
	v_cmp_gt_u32_e64 s[12:13], s0, v15
	s_waitcnt lgkmcnt(0)
	v_fma_f64 v[11:12], v[11:12], v[27:28], 0
	s_and_saveexec_b64 s[0:1], s[12:13]
	s_cbranch_execz .LBB126_731
; %bb.730:
	ds_read_b64 v[27:28], v26 offset:8704
	ds_read_b64 v[29:30], v25 offset:8328
	s_waitcnt lgkmcnt(0)
	v_fma_f64 v[11:12], v[27:28], v[29:30], v[11:12]
.LBB126_731:
	s_or_b64 exec, exec, s[0:1]
	s_movk_i32 s0, 0xe0
	v_cmp_gt_u32_e64 s[12:13], s0, v15
	s_and_saveexec_b64 s[0:1], s[12:13]
	s_cbranch_execz .LBB126_733
; %bb.732:
	ds_read_b64 v[27:28], v26 offset:9216
	ds_read_b64 v[29:30], v25 offset:8336
	s_waitcnt lgkmcnt(0)
	v_fma_f64 v[11:12], v[27:28], v[29:30], v[11:12]
.LBB126_733:
	s_or_b64 exec, exec, s[0:1]
	s_movk_i32 s0, 0xd0
	v_cmp_gt_u32_e64 s[12:13], s0, v15
	;; [unrolled: 11-line block ×10, first 2 shown]
	s_and_saveexec_b64 s[0:1], s[12:13]
	s_cbranch_execnz .LBB126_1134
; %bb.750:
	s_or_b64 exec, exec, s[0:1]
	s_and_saveexec_b64 s[0:1], s[8:9]
	s_cbranch_execnz .LBB126_1135
.LBB126_751:
	s_or_b64 exec, exec, s[0:1]
	v_cmp_gt_u32_e64 s[12:13], 48, v15
	s_and_saveexec_b64 s[0:1], s[12:13]
	s_cbranch_execnz .LBB126_1136
.LBB126_752:
	s_or_b64 exec, exec, s[0:1]
	v_cmp_gt_u32_e64 s[12:13], 32, v15
	s_and_saveexec_b64 s[0:1], s[12:13]
	s_cbranch_execnz .LBB126_1137
.LBB126_753:
	s_or_b64 exec, exec, s[0:1]
	v_cmp_gt_u32_e64 s[12:13], 16, v15
	s_and_saveexec_b64 s[0:1], s[12:13]
	s_cbranch_execz .LBB126_755
.LBB126_754:
	v_lshlrev_b32_e32 v25, 3, v0
	v_mov_b32_e32 v27, 0
	ds_read_b64 v[25:26], v25 offset:15872
	ds_read_b64 v[27:28], v27 offset:16120
	s_waitcnt lgkmcnt(0)
	v_fma_f64 v[11:12], v[25:26], v[27:28], v[11:12]
.LBB126_755:
	s_or_b64 exec, exec, s[0:1]
.LBB126_756:
	s_or_b64 exec, exec, s[14:15]
	s_mov_b64 s[12:13], exec
	v_readlane_b32 s0, v36, 7
	v_readlane_b32 s1, v36, 8
	s_and_b64 s[0:1], s[12:13], s[0:1]
	s_mov_b64 exec, s[0:1]
	s_cbranch_execz .LBB126_758
; %bb.757:
	v_mov_b32_e32 v25, 0
	ds_read_b64 v[25:26], v25 offset:7800
	s_waitcnt lgkmcnt(0)
	v_mul_f64 v[11:12], v[11:12], v[25:26]
	v_xor_b32_e32 v26, 0x80000000, v12
	v_mov_b32_e32 v25, v11
	ds_write_b64 v24, v[25:26]
.LBB126_758:
	s_or_b64 exec, exec, s[12:13]
	s_waitcnt lgkmcnt(0)
	s_barrier
	s_mov_b64 s[0:1], exec
	v_readlane_b32 s12, v36, 9
	v_readlane_b32 s13, v36, 10
	s_and_b64 s[12:13], s[0:1], s[12:13]
	s_mov_b64 exec, s[12:13]
	s_cbranch_execz .LBB126_760
; %bb.759:
	v_lshlrev_b32_e32 v25, 3, v22
	ds_read_b64 v[25:26], v25 offset:7680
	ds_read_b64 v[27:28], v24
	s_waitcnt lgkmcnt(0)
	v_fma_f64 v[11:12], -v[25:26], v[27:28], v[11:12]
.LBB126_760:
	s_or_b64 exec, exec, s[0:1]
	s_barrier
	s_mov_b64 s[12:13], exec
	v_readlane_b32 s0, v36, 11
	v_readlane_b32 s1, v36, 12
	s_and_b64 s[0:1], s[12:13], s[0:1]
	s_mov_b64 exec, s[0:1]
	s_cbranch_execz .LBB126_762
; %bb.761:
	v_mov_b32_e32 v25, 0
	ds_read_b64 v[25:26], v25 offset:7280
	s_waitcnt lgkmcnt(0)
	v_mul_f64 v[11:12], v[11:12], v[25:26]
	v_xor_b32_e32 v26, 0x80000000, v12
	v_mov_b32_e32 v25, v11
	ds_write_b64 v24, v[25:26]
.LBB126_762:
	s_or_b64 exec, exec, s[12:13]
	s_waitcnt lgkmcnt(0)
	s_barrier
	s_mov_b64 s[0:1], exec
	v_readlane_b32 s12, v36, 13
	v_readlane_b32 s13, v36, 14
	s_and_b64 s[12:13], s[0:1], s[12:13]
	s_mov_b64 exec, s[12:13]
	s_cbranch_execz .LBB126_764
; %bb.763:
	v_lshlrev_b32_e32 v25, 3, v22
	ds_read_b64 v[25:26], v25 offset:7168
	ds_read_b64 v[27:28], v24
	s_waitcnt lgkmcnt(0)
	v_fma_f64 v[11:12], -v[25:26], v[27:28], v[11:12]
.LBB126_764:
	s_or_b64 exec, exec, s[0:1]
	s_barrier
	;; [unrolled: 33-line block ×14, first 2 shown]
	s_and_saveexec_b64 s[0:1], s[92:93]
	s_cbranch_execz .LBB126_814
; %bb.813:
	v_mov_b32_e32 v25, 0
	ds_read_b64 v[25:26], v25 offset:520
	s_waitcnt lgkmcnt(0)
	v_mul_f64 v[11:12], v[11:12], v[25:26]
	v_xor_b32_e32 v26, 0x80000000, v12
	v_mov_b32_e32 v25, v11
	ds_write_b64 v24, v[25:26]
.LBB126_814:
	s_or_b64 exec, exec, s[0:1]
	s_waitcnt lgkmcnt(0)
	s_barrier
	s_and_saveexec_b64 s[0:1], s[88:89]
	s_cbranch_execz .LBB126_816
; %bb.815:
	v_mov_b32_e32 v25, 0
	ds_read_b64 v[25:26], v25 offset:512
	ds_read_b64 v[27:28], v24
	s_waitcnt lgkmcnt(0)
	v_fma_f64 v[11:12], -v[25:26], v[27:28], v[11:12]
.LBB126_816:
	s_or_b64 exec, exec, s[0:1]
	s_barrier
	s_and_saveexec_b64 s[0:1], s[88:89]
	s_cbranch_execz .LBB126_818
; %bb.817:
	v_mov_b32_e32 v25, 0
	ds_read_b64 v[25:26], v25
	s_waitcnt lgkmcnt(0)
	v_mul_f64 v[11:12], v[11:12], v[25:26]
	v_xor_b32_e32 v26, 0x80000000, v12
	v_mov_b32_e32 v25, v11
	ds_write_b64 v24, v[25:26]
.LBB126_818:
	s_or_b64 exec, exec, s[0:1]
	s_waitcnt lgkmcnt(0)
	s_barrier
	s_barrier
	s_and_saveexec_b64 s[0:1], s[10:11]
; %bb.819:
	v_lshlrev_b32_e32 v22, 3, v22
	v_lshl_or_b32 v22, v23, 9, v22
	ds_write_b64 v22, v[11:12] offset:8192
; %bb.820:
	s_or_b64 exec, exec, s[0:1]
	s_waitcnt lgkmcnt(0)
	s_barrier
	s_barrier
	s_and_saveexec_b64 s[0:1], s[94:95]
	s_cbranch_execz .LBB126_822
; %bb.821:
	v_lshlrev_b32_e32 v22, 9, v0
	ds_read_b64 v[11:12], v22 offset:8192
	s_movk_i32 s10, 0xfe08
	v_mad_i32_i24 v23, v0, s10, v22
	s_waitcnt lgkmcnt(0)
	ds_write_b64 v23, v[11:12] offset:128
	ds_read_b64 v[11:12], v22 offset:8200
	s_waitcnt lgkmcnt(0)
	ds_write_b64 v23, v[11:12] offset:640
	ds_read_b64 v[11:12], v22 offset:8208
	;; [unrolled: 3-line block ×15, first 2 shown]
	s_waitcnt lgkmcnt(0)
	ds_write_b64 v23, v[11:12] offset:7808
.LBB126_822:
	s_or_b64 exec, exec, s[0:1]
	s_waitcnt lgkmcnt(0)
	s_barrier
	s_and_saveexec_b64 s[0:1], vcc
	s_cbranch_execz .LBB126_824
; %bb.823:
	v_mov_b32_e32 v11, 0
	ds_read_b128 v[22:25], v11 offset:7792
	ds_read_b64 v[11:12], v11 offset:7280
	s_movk_i32 s10, 0x1800
	s_waitcnt lgkmcnt(0)
	v_mul_f64 v[11:12], v[11:12], v[24:25]
	v_mul_f64 v[11:12], v[22:23], v[11:12]
	v_add_u32_e64 v22, s10, 0
	ds_write2_b64 v22, v[11:12], v[11:12] offset0:143 offset1:206
.LBB126_824:
	s_or_b64 exec, exec, s[0:1]
	v_mov_b32_e32 v11, 0
	v_mov_b32_e32 v12, 0
	s_waitcnt lgkmcnt(0)
	s_barrier
	buffer_wbinvl1_vol
	s_and_saveexec_b64 s[0:1], s[2:3]
	s_cbranch_execz .LBB126_828
; %bb.825:
	v_lshlrev_b32_e32 v22, 9, v13
	v_lshlrev_b32_e32 v11, 3, v1
	ds_read_b64 v[11:12], v11 offset:7264
	ds_read_b64 v[22:23], v22 offset:7280
	v_cmp_gt_u32_e64 s[10:11], 2, v15
	s_waitcnt lgkmcnt(0)
	v_fma_f64 v[11:12], v[11:12], v[22:23], 0
	s_and_saveexec_b64 s[12:13], s[10:11]
	s_cbranch_execz .LBB126_827
; %bb.826:
	v_lshlrev_b32_e32 v22, 3, v0
	v_mov_b32_e32 v24, 0
	ds_read_b64 v[22:23], v22 offset:7776
	ds_read_b64 v[24:25], v24 offset:7800
	s_waitcnt lgkmcnt(0)
	v_fma_f64 v[11:12], v[22:23], v[24:25], v[11:12]
.LBB126_827:
	s_or_b64 exec, exec, s[12:13]
.LBB126_828:
	s_or_b64 exec, exec, s[0:1]
	s_and_saveexec_b64 s[0:1], s[40:41]
	s_cbranch_execz .LBB126_830
; %bb.829:
	v_mov_b32_e32 v22, 0
	ds_read_b64 v[22:23], v22 offset:6760
	s_waitcnt lgkmcnt(0)
	v_mul_f64 v[11:12], v[11:12], v[22:23]
	v_xor_b32_e32 v23, 0x80000000, v12
	v_mov_b32_e32 v22, v11
	ds_write_b64 v14, v[22:23]
.LBB126_830:
	s_or_b64 exec, exec, s[0:1]
	s_waitcnt lgkmcnt(0)
	s_barrier
	s_and_saveexec_b64 s[0:1], s[38:39]
	s_cbranch_execz .LBB126_832
; %bb.831:
	v_mov_b32_e32 v22, 0
	ds_read_b64 v[22:23], v22 offset:6752
	ds_read_b64 v[24:25], v14
	s_waitcnt lgkmcnt(0)
	v_fma_f64 v[11:12], -v[22:23], v[24:25], v[11:12]
.LBB126_832:
	s_or_b64 exec, exec, s[0:1]
	s_barrier
	s_and_saveexec_b64 s[0:1], s[38:39]
	s_cbranch_execz .LBB126_834
; %bb.833:
	v_mov_b32_e32 v22, 0
	ds_read_b64 v[22:23], v22 offset:6240
	s_waitcnt lgkmcnt(0)
	v_mul_f64 v[11:12], v[11:12], v[22:23]
	v_xor_b32_e32 v23, 0x80000000, v12
	v_mov_b32_e32 v22, v11
	ds_write_b64 v14, v[22:23]
.LBB126_834:
	s_or_b64 exec, exec, s[0:1]
	s_waitcnt lgkmcnt(0)
	s_barrier
	s_barrier
	s_and_saveexec_b64 s[0:1], s[2:3]
; %bb.835:
	v_lshlrev_b32_e32 v22, 3, v1
	v_lshl_or_b32 v22, v13, 9, v22
	ds_write_b64 v22, v[11:12] offset:7264
; %bb.836:
	s_or_b64 exec, exec, s[0:1]
	s_waitcnt lgkmcnt(0)
	s_barrier
	s_barrier
	s_and_saveexec_b64 s[0:1], s[42:43]
	s_cbranch_execz .LBB126_838
; %bb.837:
	v_lshlrev_b32_e32 v22, 3, v0
	s_movk_i32 s10, 0x1f8
	v_mad_u32_u24 v23, v0, s10, v22
	ds_read_b64 v[11:12], v23 offset:7264
	s_waitcnt lgkmcnt(0)
	ds_write_b64 v22, v[11:12] offset:6256
	ds_read_b64 v[11:12], v23 offset:7272
	s_waitcnt lgkmcnt(0)
	ds_write_b64 v22, v[11:12] offset:6768
.LBB126_838:
	s_or_b64 exec, exec, s[0:1]
	s_waitcnt lgkmcnt(0)
	s_barrier
	s_and_saveexec_b64 s[0:1], vcc
	s_cbranch_execz .LBB126_840
; %bb.839:
	v_mov_b32_e32 v11, 0
	ds_read_b128 v[22:25], v11 offset:6752
	ds_read_b64 v[11:12], v11 offset:6240
	s_movk_i32 s10, 0x1800
	s_waitcnt lgkmcnt(0)
	v_mul_f64 v[11:12], v[11:12], v[24:25]
	v_mul_f64 v[11:12], v[22:23], v[11:12]
	v_add_u32_e64 v22, s10, 0
	ds_write2_b64 v22, v[11:12], v[11:12] offset0:13 offset1:76
.LBB126_840:
	s_or_b64 exec, exec, s[0:1]
	v_mov_b32_e32 v11, 0
	v_mov_b32_e32 v12, 0
	s_waitcnt lgkmcnt(0)
	s_barrier
	buffer_wbinvl1_vol
	s_and_saveexec_b64 s[0:1], s[18:19]
	s_cbranch_execz .LBB126_846
; %bb.841:
	v_lshlrev_b32_e32 v23, 3, v16
	v_lshlrev_b32_e32 v22, 9, v17
	ds_read_b64 v[11:12], v23 offset:6208
	ds_read_b64 v[24:25], v22 offset:6240
	v_cmp_gt_u32_e64 s[10:11], 12, v15
	s_waitcnt lgkmcnt(0)
	v_fma_f64 v[11:12], v[11:12], v[24:25], 0
	s_and_saveexec_b64 s[12:13], s[10:11]
	s_cbranch_execnz .LBB126_1138
; %bb.842:
	s_or_b64 exec, exec, s[12:13]
	v_cmp_gt_u32_e64 s[10:11], 8, v15
	s_and_saveexec_b64 s[12:13], s[10:11]
	s_cbranch_execnz .LBB126_1139
.LBB126_843:
	s_or_b64 exec, exec, s[12:13]
	v_cmp_gt_u32_e64 s[10:11], 4, v15
	s_and_saveexec_b64 s[12:13], s[10:11]
	s_cbranch_execz .LBB126_845
.LBB126_844:
	v_lshlrev_b32_e32 v22, 3, v0
	v_mov_b32_e32 v24, 0
	ds_read_b64 v[22:23], v22 offset:7744
	ds_read_b64 v[24:25], v24 offset:7800
	s_waitcnt lgkmcnt(0)
	v_fma_f64 v[11:12], v[22:23], v[24:25], v[11:12]
.LBB126_845:
	s_or_b64 exec, exec, s[12:13]
.LBB126_846:
	s_or_b64 exec, exec, s[0:1]
	s_and_saveexec_b64 s[0:1], s[46:47]
	s_cbranch_execz .LBB126_848
; %bb.847:
	v_mov_b32_e32 v22, 0
	ds_read_b64 v[22:23], v22 offset:5720
	s_waitcnt lgkmcnt(0)
	v_mul_f64 v[11:12], v[11:12], v[22:23]
	v_xor_b32_e32 v23, 0x80000000, v12
	v_mov_b32_e32 v22, v11
	ds_write_b64 v18, v[22:23]
.LBB126_848:
	s_or_b64 exec, exec, s[0:1]
	s_waitcnt lgkmcnt(0)
	s_barrier
	s_and_saveexec_b64 s[0:1], s[48:49]
	s_cbranch_execz .LBB126_850
; %bb.849:
	v_lshlrev_b32_e32 v22, 3, v16
	ds_read_b64 v[22:23], v22 offset:5696
	ds_read_b64 v[24:25], v18
	s_waitcnt lgkmcnt(0)
	v_fma_f64 v[11:12], -v[22:23], v[24:25], v[11:12]
.LBB126_850:
	s_or_b64 exec, exec, s[0:1]
	s_barrier
	s_and_saveexec_b64 s[0:1], s[50:51]
	s_cbranch_execz .LBB126_852
; %bb.851:
	v_mov_b32_e32 v22, 0
	ds_read_b64 v[22:23], v22 offset:5200
	s_waitcnt lgkmcnt(0)
	v_mul_f64 v[11:12], v[11:12], v[22:23]
	v_xor_b32_e32 v23, 0x80000000, v12
	v_mov_b32_e32 v22, v11
	ds_write_b64 v18, v[22:23]
.LBB126_852:
	s_or_b64 exec, exec, s[0:1]
	s_waitcnt lgkmcnt(0)
	s_barrier
	s_and_saveexec_b64 s[0:1], s[52:53]
	s_cbranch_execz .LBB126_854
; %bb.853:
	v_lshlrev_b32_e32 v22, 3, v16
	ds_read_b64 v[22:23], v22 offset:5184
	ds_read_b64 v[24:25], v18
	s_waitcnt lgkmcnt(0)
	v_fma_f64 v[11:12], -v[22:23], v[24:25], v[11:12]
.LBB126_854:
	s_or_b64 exec, exec, s[0:1]
	s_barrier
	s_and_saveexec_b64 s[0:1], s[54:55]
	s_cbranch_execz .LBB126_856
; %bb.855:
	v_mov_b32_e32 v22, 0
	ds_read_b64 v[22:23], v22 offset:4680
	s_waitcnt lgkmcnt(0)
	v_mul_f64 v[11:12], v[11:12], v[22:23]
	v_xor_b32_e32 v23, 0x80000000, v12
	v_mov_b32_e32 v22, v11
	ds_write_b64 v18, v[22:23]
.LBB126_856:
	s_or_b64 exec, exec, s[0:1]
	s_waitcnt lgkmcnt(0)
	s_barrier
	s_and_saveexec_b64 s[0:1], s[44:45]
	s_cbranch_execz .LBB126_858
; %bb.857:
	v_mov_b32_e32 v22, 0
	ds_read_b64 v[22:23], v22 offset:4672
	ds_read_b64 v[24:25], v18
	s_waitcnt lgkmcnt(0)
	v_fma_f64 v[11:12], -v[22:23], v[24:25], v[11:12]
.LBB126_858:
	s_or_b64 exec, exec, s[0:1]
	s_barrier
	s_and_saveexec_b64 s[0:1], s[44:45]
	s_cbranch_execz .LBB126_860
; %bb.859:
	v_mov_b32_e32 v22, 0
	ds_read_b64 v[22:23], v22 offset:4160
	s_waitcnt lgkmcnt(0)
	v_mul_f64 v[11:12], v[11:12], v[22:23]
	v_xor_b32_e32 v23, 0x80000000, v12
	v_mov_b32_e32 v22, v11
	ds_write_b64 v18, v[22:23]
.LBB126_860:
	s_or_b64 exec, exec, s[0:1]
	s_waitcnt lgkmcnt(0)
	s_barrier
	s_barrier
	s_and_saveexec_b64 s[0:1], s[18:19]
; %bb.861:
	v_lshlrev_b32_e32 v22, 3, v16
	v_lshl_or_b32 v22, v17, 9, v22
	ds_write_b64 v22, v[11:12] offset:6208
; %bb.862:
	s_or_b64 exec, exec, s[0:1]
	s_waitcnt lgkmcnt(0)
	s_barrier
	s_barrier
	s_and_saveexec_b64 s[0:1], s[56:57]
	s_cbranch_execz .LBB126_864
; %bb.863:
	v_lshlrev_b32_e32 v22, 9, v0
	ds_read_b64 v[11:12], v22 offset:6208
	s_movk_i32 s10, 0xfe08
	v_mad_i32_i24 v23, v0, s10, v22
	s_waitcnt lgkmcnt(0)
	ds_write_b64 v23, v[11:12] offset:4192
	ds_read_b64 v[11:12], v22 offset:6216
	s_waitcnt lgkmcnt(0)
	ds_write_b64 v23, v[11:12] offset:4704
	ds_read_b64 v[11:12], v22 offset:6224
	;; [unrolled: 3-line block ×3, first 2 shown]
	s_waitcnt lgkmcnt(0)
	ds_write_b64 v23, v[11:12] offset:5728
.LBB126_864:
	s_or_b64 exec, exec, s[0:1]
	s_waitcnt lgkmcnt(0)
	s_barrier
	s_and_saveexec_b64 s[0:1], vcc
	s_cbranch_execz .LBB126_866
; %bb.865:
	v_mov_b32_e32 v11, 0
	ds_read_b128 v[22:25], v11 offset:5712
	ds_read_b64 v[11:12], v11 offset:5200
	s_movk_i32 s10, 0x1000
	s_waitcnt lgkmcnt(0)
	v_mul_f64 v[11:12], v[11:12], v[24:25]
	v_mul_f64 v[11:12], v[22:23], v[11:12]
	v_add_u32_e64 v22, s10, 0
	ds_write2_b64 v22, v[11:12], v[11:12] offset0:139 offset1:202
.LBB126_866:
	s_or_b64 exec, exec, s[0:1]
	v_mov_b32_e32 v11, 0
	v_mov_b32_e32 v12, 0
	s_waitcnt lgkmcnt(0)
	s_barrier
	buffer_wbinvl1_vol
	s_and_saveexec_b64 s[0:1], s[2:3]
	s_cbranch_execz .LBB126_870
; %bb.867:
	v_lshlrev_b32_e32 v22, 9, v13
	v_lshlrev_b32_e32 v11, 3, v1
	ds_read_b64 v[11:12], v11 offset:5184
	ds_read_b64 v[22:23], v22 offset:5200
	v_cmp_gt_u32_e64 s[10:11], 2, v15
	s_waitcnt lgkmcnt(0)
	v_fma_f64 v[11:12], v[11:12], v[22:23], 0
	s_and_saveexec_b64 s[12:13], s[10:11]
	s_cbranch_execz .LBB126_869
; %bb.868:
	v_lshlrev_b32_e32 v22, 3, v0
	v_mov_b32_e32 v24, 0
	ds_read_b64 v[22:23], v22 offset:5696
	ds_read_b64 v[24:25], v24 offset:5720
	s_waitcnt lgkmcnt(0)
	v_fma_f64 v[11:12], v[22:23], v[24:25], v[11:12]
.LBB126_869:
	s_or_b64 exec, exec, s[12:13]
.LBB126_870:
	s_or_b64 exec, exec, s[0:1]
	s_and_saveexec_b64 s[0:1], s[40:41]
	s_cbranch_execz .LBB126_872
; %bb.871:
	v_mov_b32_e32 v22, 0
	ds_read_b64 v[22:23], v22 offset:4680
	s_waitcnt lgkmcnt(0)
	v_mul_f64 v[11:12], v[11:12], v[22:23]
	v_xor_b32_e32 v23, 0x80000000, v12
	v_mov_b32_e32 v22, v11
	ds_write_b64 v14, v[22:23]
.LBB126_872:
	s_or_b64 exec, exec, s[0:1]
	s_waitcnt lgkmcnt(0)
	s_barrier
	s_and_saveexec_b64 s[0:1], s[38:39]
	s_cbranch_execz .LBB126_874
; %bb.873:
	v_mov_b32_e32 v22, 0
	ds_read_b64 v[22:23], v22 offset:4672
	ds_read_b64 v[24:25], v14
	s_waitcnt lgkmcnt(0)
	v_fma_f64 v[11:12], -v[22:23], v[24:25], v[11:12]
.LBB126_874:
	s_or_b64 exec, exec, s[0:1]
	s_barrier
	s_and_saveexec_b64 s[0:1], s[38:39]
	s_cbranch_execz .LBB126_876
; %bb.875:
	v_mov_b32_e32 v22, 0
	ds_read_b64 v[22:23], v22 offset:4160
	s_waitcnt lgkmcnt(0)
	v_mul_f64 v[11:12], v[11:12], v[22:23]
	v_xor_b32_e32 v23, 0x80000000, v12
	v_mov_b32_e32 v22, v11
	ds_write_b64 v14, v[22:23]
.LBB126_876:
	s_or_b64 exec, exec, s[0:1]
	s_waitcnt lgkmcnt(0)
	s_barrier
	s_barrier
	s_and_saveexec_b64 s[0:1], s[2:3]
; %bb.877:
	v_lshlrev_b32_e32 v22, 3, v1
	v_lshl_or_b32 v22, v13, 9, v22
	ds_write_b64 v22, v[11:12] offset:5184
; %bb.878:
	s_or_b64 exec, exec, s[0:1]
	s_waitcnt lgkmcnt(0)
	s_barrier
	s_barrier
	s_and_saveexec_b64 s[0:1], s[42:43]
	s_cbranch_execz .LBB126_880
; %bb.879:
	v_lshlrev_b32_e32 v22, 3, v0
	s_movk_i32 s10, 0x1f8
	v_mad_u32_u24 v23, v0, s10, v22
	ds_read_b64 v[11:12], v23 offset:5184
	s_waitcnt lgkmcnt(0)
	ds_write_b64 v22, v[11:12] offset:4176
	ds_read_b64 v[11:12], v23 offset:5192
	s_waitcnt lgkmcnt(0)
	ds_write_b64 v22, v[11:12] offset:4688
.LBB126_880:
	s_or_b64 exec, exec, s[0:1]
	s_waitcnt lgkmcnt(0)
	s_barrier
	s_and_saveexec_b64 s[0:1], vcc
	s_cbranch_execz .LBB126_882
; %bb.881:
	v_mov_b32_e32 v11, 0
	ds_read_b128 v[22:25], v11 offset:4672
	ds_read_b64 v[11:12], v11 offset:4160
	s_movk_i32 s10, 0x1000
	s_waitcnt lgkmcnt(0)
	v_mul_f64 v[11:12], v[11:12], v[24:25]
	v_mul_f64 v[11:12], v[22:23], v[11:12]
	v_add_u32_e64 v22, s10, 0
	ds_write2_b64 v22, v[11:12], v[11:12] offset0:9 offset1:72
.LBB126_882:
	s_or_b64 exec, exec, s[0:1]
	v_mov_b32_e32 v11, 0
	v_mov_b32_e32 v12, 0
	s_waitcnt lgkmcnt(0)
	s_barrier
	buffer_wbinvl1_vol
	s_and_saveexec_b64 s[0:1], s[8:9]
	s_cbranch_execz .LBB126_892
; %bb.883:
	v_lshlrev_b32_e32 v23, 3, v19
	v_lshlrev_b32_e32 v22, 9, v20
	ds_read_b64 v[11:12], v23 offset:4096
	ds_read_b64 v[24:25], v22 offset:4160
	v_cmp_gt_u32_e64 s[10:11], 56, v15
	s_waitcnt lgkmcnt(0)
	v_fma_f64 v[11:12], v[11:12], v[24:25], 0
	s_and_saveexec_b64 s[12:13], s[10:11]
	s_cbranch_execnz .LBB126_1140
; %bb.884:
	s_or_b64 exec, exec, s[12:13]
	v_cmp_gt_u32_e64 s[10:11], 48, v15
	s_and_saveexec_b64 s[12:13], s[10:11]
	s_cbranch_execnz .LBB126_1141
.LBB126_885:
	s_or_b64 exec, exec, s[12:13]
	v_cmp_gt_u32_e64 s[10:11], 40, v15
	s_and_saveexec_b64 s[12:13], s[10:11]
	s_cbranch_execnz .LBB126_1142
.LBB126_886:
	s_or_b64 exec, exec, s[12:13]
	v_cmp_gt_u32_e64 s[10:11], 32, v15
	s_and_saveexec_b64 s[12:13], s[10:11]
	s_cbranch_execnz .LBB126_1143
.LBB126_887:
	s_or_b64 exec, exec, s[12:13]
	v_cmp_gt_u32_e64 s[10:11], 24, v15
	s_and_saveexec_b64 s[12:13], s[10:11]
	s_cbranch_execnz .LBB126_1144
.LBB126_888:
	s_or_b64 exec, exec, s[12:13]
	s_and_saveexec_b64 s[10:11], s[18:19]
	s_cbranch_execnz .LBB126_1145
.LBB126_889:
	s_or_b64 exec, exec, s[10:11]
	v_cmp_gt_u32_e64 s[10:11], 8, v15
	s_and_saveexec_b64 s[12:13], s[10:11]
	s_cbranch_execz .LBB126_891
.LBB126_890:
	v_lshlrev_b32_e32 v22, 3, v0
	v_mov_b32_e32 v24, 0
	ds_read_b64 v[22:23], v22 offset:7680
	ds_read_b64 v[24:25], v24 offset:7800
	s_waitcnt lgkmcnt(0)
	v_fma_f64 v[11:12], v[22:23], v[24:25], v[11:12]
.LBB126_891:
	s_or_b64 exec, exec, s[12:13]
.LBB126_892:
	s_or_b64 exec, exec, s[0:1]
	s_and_saveexec_b64 s[0:1], s[58:59]
	s_cbranch_execz .LBB126_894
; %bb.893:
	v_mov_b32_e32 v22, 0
	ds_read_b64 v[22:23], v22 offset:3640
	s_waitcnt lgkmcnt(0)
	v_mul_f64 v[11:12], v[11:12], v[22:23]
	v_xor_b32_e32 v23, 0x80000000, v12
	v_mov_b32_e32 v22, v11
	ds_write_b64 v21, v[22:23]
.LBB126_894:
	s_or_b64 exec, exec, s[0:1]
	s_waitcnt lgkmcnt(0)
	s_barrier
	s_and_saveexec_b64 s[0:1], s[60:61]
	v_readlane_b32 s34, v36, 5
	v_readlane_b32 s58, v36, 3
	;; [unrolled: 1-line block ×4, first 2 shown]
	s_cbranch_execz .LBB126_896
; %bb.895:
	v_lshlrev_b32_e32 v22, 3, v19
	ds_read_b64 v[22:23], v22 offset:3584
	ds_read_b64 v[24:25], v21
	s_waitcnt lgkmcnt(0)
	v_fma_f64 v[11:12], -v[22:23], v[24:25], v[11:12]
.LBB126_896:
	s_or_b64 exec, exec, s[0:1]
	s_barrier
	s_and_saveexec_b64 s[0:1], s[62:63]
	s_cbranch_execz .LBB126_898
; %bb.897:
	v_mov_b32_e32 v22, 0
	ds_read_b64 v[22:23], v22 offset:3120
	s_waitcnt lgkmcnt(0)
	v_mul_f64 v[11:12], v[11:12], v[22:23]
	v_xor_b32_e32 v23, 0x80000000, v12
	v_mov_b32_e32 v22, v11
	ds_write_b64 v21, v[22:23]
.LBB126_898:
	s_or_b64 exec, exec, s[0:1]
	s_waitcnt lgkmcnt(0)
	s_barrier
	s_and_saveexec_b64 s[0:1], s[64:65]
	s_cbranch_execz .LBB126_900
; %bb.899:
	v_lshlrev_b32_e32 v22, 3, v19
	ds_read_b64 v[22:23], v22 offset:3072
	ds_read_b64 v[24:25], v21
	s_waitcnt lgkmcnt(0)
	v_fma_f64 v[11:12], -v[22:23], v[24:25], v[11:12]
.LBB126_900:
	s_or_b64 exec, exec, s[0:1]
	s_barrier
	s_and_saveexec_b64 s[0:1], s[66:67]
	s_cbranch_execz .LBB126_902
; %bb.901:
	v_mov_b32_e32 v22, 0
	ds_read_b64 v[22:23], v22 offset:2600
	s_waitcnt lgkmcnt(0)
	v_mul_f64 v[11:12], v[11:12], v[22:23]
	v_xor_b32_e32 v23, 0x80000000, v12
	v_mov_b32_e32 v22, v11
	ds_write_b64 v21, v[22:23]
.LBB126_902:
	s_or_b64 exec, exec, s[0:1]
	s_waitcnt lgkmcnt(0)
	s_barrier
	s_and_saveexec_b64 s[0:1], s[70:71]
	;; [unrolled: 25-line block ×6, first 2 shown]
	s_cbranch_execz .LBB126_920
; %bb.919:
	v_mov_b32_e32 v22, 0
	ds_read_b64 v[22:23], v22 offset:512
	ds_read_b64 v[24:25], v21
	s_waitcnt lgkmcnt(0)
	v_fma_f64 v[11:12], -v[22:23], v[24:25], v[11:12]
.LBB126_920:
	s_or_b64 exec, exec, s[0:1]
	s_barrier
	s_and_saveexec_b64 s[0:1], s[68:69]
	s_cbranch_execz .LBB126_922
; %bb.921:
	v_mov_b32_e32 v22, 0
	ds_read_b64 v[22:23], v22
	s_waitcnt lgkmcnt(0)
	v_mul_f64 v[11:12], v[11:12], v[22:23]
	v_xor_b32_e32 v23, 0x80000000, v12
	v_mov_b32_e32 v22, v11
	ds_write_b64 v21, v[22:23]
.LBB126_922:
	s_or_b64 exec, exec, s[0:1]
	s_waitcnt lgkmcnt(0)
	s_barrier
	s_barrier
	s_and_saveexec_b64 s[0:1], s[8:9]
; %bb.923:
	v_lshlrev_b32_e32 v19, 3, v19
	v_lshl_or_b32 v19, v20, 9, v19
	ds_write_b64 v19, v[11:12] offset:4096
; %bb.924:
	s_or_b64 exec, exec, s[0:1]
	s_waitcnt lgkmcnt(0)
	s_barrier
	s_barrier
	s_and_saveexec_b64 s[0:1], s[86:87]
	s_cbranch_execz .LBB126_926
; %bb.925:
	v_lshlrev_b32_e32 v19, 9, v0
	ds_read_b64 v[11:12], v19 offset:4096
	s_movk_i32 s8, 0xfe08
	v_mad_i32_i24 v20, v0, s8, v19
	s_waitcnt lgkmcnt(0)
	ds_write_b64 v20, v[11:12] offset:64
	ds_read_b64 v[11:12], v19 offset:4104
	s_waitcnt lgkmcnt(0)
	ds_write_b64 v20, v[11:12] offset:576
	ds_read_b64 v[11:12], v19 offset:4112
	;; [unrolled: 3-line block ×7, first 2 shown]
	s_waitcnt lgkmcnt(0)
	ds_write_b64 v20, v[11:12] offset:3648
.LBB126_926:
	s_or_b64 exec, exec, s[0:1]
	s_waitcnt lgkmcnt(0)
	s_barrier
	s_and_saveexec_b64 s[0:1], vcc
	s_cbranch_execz .LBB126_928
; %bb.927:
	v_mov_b32_e32 v11, 0
	ds_read_b128 v[19:22], v11 offset:3632
	ds_read_b64 v[11:12], v11 offset:3120
	s_movk_i32 s8, 0x800
	s_waitcnt lgkmcnt(0)
	v_mul_f64 v[11:12], v[11:12], v[21:22]
	v_mul_f64 v[11:12], v[19:20], v[11:12]
	v_add_u32_e64 v19, s8, 0
	ds_write2_b64 v19, v[11:12], v[11:12] offset0:135 offset1:198
.LBB126_928:
	s_or_b64 exec, exec, s[0:1]
	v_mov_b32_e32 v11, 0
	v_mov_b32_e32 v12, 0
	s_waitcnt lgkmcnt(0)
	s_barrier
	buffer_wbinvl1_vol
	s_and_saveexec_b64 s[0:1], s[2:3]
	s_cbranch_execz .LBB126_932
; %bb.929:
	v_lshlrev_b32_e32 v19, 9, v13
	v_lshlrev_b32_e32 v11, 3, v1
	ds_read_b64 v[11:12], v11 offset:3104
	ds_read_b64 v[19:20], v19 offset:3120
	v_cmp_gt_u32_e64 s[8:9], 2, v15
	s_waitcnt lgkmcnt(0)
	v_fma_f64 v[11:12], v[11:12], v[19:20], 0
	s_and_saveexec_b64 s[10:11], s[8:9]
	s_cbranch_execz .LBB126_931
; %bb.930:
	v_lshlrev_b32_e32 v19, 3, v0
	v_mov_b32_e32 v21, 0
	ds_read_b64 v[19:20], v19 offset:3616
	ds_read_b64 v[21:22], v21 offset:3640
	s_waitcnt lgkmcnt(0)
	v_fma_f64 v[11:12], v[19:20], v[21:22], v[11:12]
.LBB126_931:
	s_or_b64 exec, exec, s[10:11]
.LBB126_932:
	s_or_b64 exec, exec, s[0:1]
	s_and_saveexec_b64 s[0:1], s[40:41]
	s_cbranch_execz .LBB126_934
; %bb.933:
	v_mov_b32_e32 v19, 0
	ds_read_b64 v[19:20], v19 offset:2600
	s_waitcnt lgkmcnt(0)
	v_mul_f64 v[11:12], v[11:12], v[19:20]
	v_xor_b32_e32 v20, 0x80000000, v12
	v_mov_b32_e32 v19, v11
	ds_write_b64 v14, v[19:20]
.LBB126_934:
	s_or_b64 exec, exec, s[0:1]
	s_waitcnt lgkmcnt(0)
	s_barrier
	s_and_saveexec_b64 s[0:1], s[38:39]
	s_cbranch_execz .LBB126_936
; %bb.935:
	v_mov_b32_e32 v19, 0
	ds_read_b64 v[19:20], v19 offset:2592
	ds_read_b64 v[21:22], v14
	s_waitcnt lgkmcnt(0)
	v_fma_f64 v[11:12], -v[19:20], v[21:22], v[11:12]
.LBB126_936:
	s_or_b64 exec, exec, s[0:1]
	s_barrier
	s_and_saveexec_b64 s[0:1], s[38:39]
	s_cbranch_execz .LBB126_938
; %bb.937:
	v_mov_b32_e32 v19, 0
	ds_read_b64 v[19:20], v19 offset:2080
	s_waitcnt lgkmcnt(0)
	v_mul_f64 v[11:12], v[11:12], v[19:20]
	v_xor_b32_e32 v20, 0x80000000, v12
	v_mov_b32_e32 v19, v11
	ds_write_b64 v14, v[19:20]
.LBB126_938:
	s_or_b64 exec, exec, s[0:1]
	s_waitcnt lgkmcnt(0)
	s_barrier
	s_barrier
	s_and_saveexec_b64 s[0:1], s[2:3]
; %bb.939:
	v_lshlrev_b32_e32 v19, 3, v1
	v_lshl_or_b32 v19, v13, 9, v19
	ds_write_b64 v19, v[11:12] offset:3104
; %bb.940:
	s_or_b64 exec, exec, s[0:1]
	s_waitcnt lgkmcnt(0)
	s_barrier
	s_barrier
	s_and_saveexec_b64 s[0:1], s[42:43]
	s_cbranch_execz .LBB126_942
; %bb.941:
	v_lshlrev_b32_e32 v19, 3, v0
	s_movk_i32 s8, 0x1f8
	v_mad_u32_u24 v20, v0, s8, v19
	ds_read_b64 v[11:12], v20 offset:3104
	s_waitcnt lgkmcnt(0)
	ds_write_b64 v19, v[11:12] offset:2096
	ds_read_b64 v[11:12], v20 offset:3112
	s_waitcnt lgkmcnt(0)
	ds_write_b64 v19, v[11:12] offset:2608
.LBB126_942:
	s_or_b64 exec, exec, s[0:1]
	s_waitcnt lgkmcnt(0)
	s_barrier
	s_and_saveexec_b64 s[0:1], vcc
	s_cbranch_execz .LBB126_944
; %bb.943:
	v_mov_b32_e32 v11, 0
	ds_read_b128 v[19:22], v11 offset:2592
	ds_read_b64 v[11:12], v11 offset:2080
	s_movk_i32 s8, 0x800
	s_waitcnt lgkmcnt(0)
	v_mul_f64 v[11:12], v[11:12], v[21:22]
	v_mul_f64 v[11:12], v[19:20], v[11:12]
	v_add_u32_e64 v19, s8, 0
	ds_write2_b64 v19, v[11:12], v[11:12] offset0:5 offset1:68
.LBB126_944:
	s_or_b64 exec, exec, s[0:1]
	v_mov_b32_e32 v11, 0
	v_mov_b32_e32 v12, 0
	s_waitcnt lgkmcnt(0)
	s_barrier
	buffer_wbinvl1_vol
	s_and_saveexec_b64 s[0:1], s[18:19]
	s_cbranch_execz .LBB126_950
; %bb.945:
	v_lshlrev_b32_e32 v20, 3, v16
	v_lshlrev_b32_e32 v19, 9, v17
	ds_read_b64 v[11:12], v20 offset:2048
	ds_read_b64 v[21:22], v19 offset:2080
	v_cmp_gt_u32_e64 s[8:9], 12, v15
	s_waitcnt lgkmcnt(0)
	v_fma_f64 v[11:12], v[11:12], v[21:22], 0
	s_and_saveexec_b64 s[10:11], s[8:9]
	s_cbranch_execnz .LBB126_1146
; %bb.946:
	s_or_b64 exec, exec, s[10:11]
	v_cmp_gt_u32_e64 s[8:9], 8, v15
	s_and_saveexec_b64 s[10:11], s[8:9]
	s_cbranch_execnz .LBB126_1147
.LBB126_947:
	s_or_b64 exec, exec, s[10:11]
	v_cmp_gt_u32_e64 s[8:9], 4, v15
	s_and_saveexec_b64 s[10:11], s[8:9]
	s_cbranch_execz .LBB126_949
.LBB126_948:
	v_lshlrev_b32_e32 v19, 3, v0
	v_mov_b32_e32 v21, 0
	ds_read_b64 v[19:20], v19 offset:3584
	ds_read_b64 v[21:22], v21 offset:3640
	s_waitcnt lgkmcnt(0)
	v_fma_f64 v[11:12], v[19:20], v[21:22], v[11:12]
.LBB126_949:
	s_or_b64 exec, exec, s[10:11]
.LBB126_950:
	s_or_b64 exec, exec, s[0:1]
	s_and_saveexec_b64 s[0:1], s[46:47]
	s_cbranch_execz .LBB126_952
; %bb.951:
	v_mov_b32_e32 v19, 0
	ds_read_b64 v[19:20], v19 offset:1560
	s_waitcnt lgkmcnt(0)
	v_mul_f64 v[11:12], v[11:12], v[19:20]
	v_xor_b32_e32 v20, 0x80000000, v12
	v_mov_b32_e32 v19, v11
	ds_write_b64 v18, v[19:20]
.LBB126_952:
	s_or_b64 exec, exec, s[0:1]
	s_waitcnt lgkmcnt(0)
	s_barrier
	s_and_saveexec_b64 s[0:1], s[48:49]
	v_readlane_b32 s46, v36, 2
	s_cbranch_execz .LBB126_954
; %bb.953:
	v_lshlrev_b32_e32 v19, 3, v16
	ds_read_b64 v[19:20], v19 offset:1536
	ds_read_b64 v[21:22], v18
	s_waitcnt lgkmcnt(0)
	v_fma_f64 v[11:12], -v[19:20], v[21:22], v[11:12]
.LBB126_954:
	s_or_b64 exec, exec, s[0:1]
	s_barrier
	s_and_saveexec_b64 s[0:1], s[50:51]
	s_cbranch_execz .LBB126_956
; %bb.955:
	v_mov_b32_e32 v19, 0
	ds_read_b64 v[19:20], v19 offset:1040
	s_waitcnt lgkmcnt(0)
	v_mul_f64 v[11:12], v[11:12], v[19:20]
	v_xor_b32_e32 v20, 0x80000000, v12
	v_mov_b32_e32 v19, v11
	ds_write_b64 v18, v[19:20]
.LBB126_956:
	s_or_b64 exec, exec, s[0:1]
	s_waitcnt lgkmcnt(0)
	s_barrier
	s_and_saveexec_b64 s[0:1], s[52:53]
	s_cbranch_execz .LBB126_958
; %bb.957:
	v_lshlrev_b32_e32 v19, 3, v16
	ds_read_b64 v[19:20], v19 offset:1024
	ds_read_b64 v[21:22], v18
	s_waitcnt lgkmcnt(0)
	v_fma_f64 v[11:12], -v[19:20], v[21:22], v[11:12]
.LBB126_958:
	s_or_b64 exec, exec, s[0:1]
	s_barrier
	s_and_saveexec_b64 s[0:1], s[54:55]
	s_cbranch_execz .LBB126_960
; %bb.959:
	v_mov_b32_e32 v19, 0
	ds_read_b64 v[19:20], v19 offset:520
	s_waitcnt lgkmcnt(0)
	v_mul_f64 v[11:12], v[11:12], v[19:20]
	v_xor_b32_e32 v20, 0x80000000, v12
	v_mov_b32_e32 v19, v11
	ds_write_b64 v18, v[19:20]
.LBB126_960:
	s_or_b64 exec, exec, s[0:1]
	s_waitcnt lgkmcnt(0)
	s_barrier
	s_and_saveexec_b64 s[0:1], s[44:45]
	s_cbranch_execz .LBB126_962
; %bb.961:
	v_mov_b32_e32 v19, 0
	ds_read_b64 v[19:20], v19 offset:512
	ds_read_b64 v[21:22], v18
	s_waitcnt lgkmcnt(0)
	v_fma_f64 v[11:12], -v[19:20], v[21:22], v[11:12]
.LBB126_962:
	s_or_b64 exec, exec, s[0:1]
	s_barrier
	s_and_saveexec_b64 s[0:1], s[44:45]
	s_cbranch_execz .LBB126_964
; %bb.963:
	v_mov_b32_e32 v19, 0
	ds_read_b64 v[19:20], v19
	s_waitcnt lgkmcnt(0)
	v_mul_f64 v[11:12], v[11:12], v[19:20]
	v_xor_b32_e32 v20, 0x80000000, v12
	v_mov_b32_e32 v19, v11
	ds_write_b64 v18, v[19:20]
.LBB126_964:
	s_or_b64 exec, exec, s[0:1]
	s_waitcnt lgkmcnt(0)
	s_barrier
	s_barrier
	s_and_saveexec_b64 s[0:1], s[18:19]
; %bb.965:
	v_lshlrev_b32_e32 v16, 3, v16
	v_lshl_or_b32 v16, v17, 9, v16
	ds_write_b64 v16, v[11:12] offset:2048
; %bb.966:
	s_or_b64 exec, exec, s[0:1]
	s_waitcnt lgkmcnt(0)
	s_barrier
	s_barrier
	s_and_saveexec_b64 s[0:1], s[56:57]
	s_cbranch_execz .LBB126_968
; %bb.967:
	v_lshlrev_b32_e32 v16, 9, v0
	ds_read_b64 v[11:12], v16 offset:2048
	s_movk_i32 s8, 0xfe08
	v_mad_i32_i24 v17, v0, s8, v16
	s_waitcnt lgkmcnt(0)
	ds_write_b64 v17, v[11:12] offset:32
	ds_read_b64 v[11:12], v16 offset:2056
	s_waitcnt lgkmcnt(0)
	ds_write_b64 v17, v[11:12] offset:544
	ds_read_b64 v[11:12], v16 offset:2064
	;; [unrolled: 3-line block ×3, first 2 shown]
	s_waitcnt lgkmcnt(0)
	ds_write_b64 v17, v[11:12] offset:1568
.LBB126_968:
	s_or_b64 exec, exec, s[0:1]
	s_waitcnt lgkmcnt(0)
	s_barrier
	s_and_saveexec_b64 s[0:1], vcc
	s_cbranch_execz .LBB126_970
; %bb.969:
	v_mov_b32_e32 v20, 0
	ds_read_b128 v[16:19], v20 offset:1552
	ds_read_b64 v[11:12], v20 offset:1040
	s_waitcnt lgkmcnt(0)
	v_mul_f64 v[11:12], v[11:12], v[18:19]
	v_mul_f64 v[11:12], v[16:17], v[11:12]
	ds_write2_b64 v20, v[11:12], v[11:12] offset0:131 offset1:194
.LBB126_970:
	s_or_b64 exec, exec, s[0:1]
	v_mov_b32_e32 v11, 0
	v_mov_b32_e32 v12, 0
	s_waitcnt lgkmcnt(0)
	s_barrier
	buffer_wbinvl1_vol
	s_and_saveexec_b64 s[0:1], s[2:3]
	s_cbranch_execz .LBB126_974
; %bb.971:
	v_lshlrev_b32_e32 v16, 9, v13
	v_lshlrev_b32_e32 v11, 3, v1
	ds_read_b64 v[11:12], v11 offset:1024
	ds_read_b64 v[16:17], v16 offset:1040
	v_cmp_gt_u32_e64 s[8:9], 2, v15
	s_waitcnt lgkmcnt(0)
	v_fma_f64 v[11:12], v[11:12], v[16:17], 0
	s_and_saveexec_b64 s[10:11], s[8:9]
	s_cbranch_execz .LBB126_973
; %bb.972:
	v_lshlrev_b32_e32 v15, 3, v0
	v_mov_b32_e32 v17, 0
	ds_read_b64 v[15:16], v15 offset:1536
	ds_read_b64 v[17:18], v17 offset:1560
	s_waitcnt lgkmcnt(0)
	v_fma_f64 v[11:12], v[15:16], v[17:18], v[11:12]
.LBB126_973:
	s_or_b64 exec, exec, s[10:11]
.LBB126_974:
	s_or_b64 exec, exec, s[0:1]
	s_and_saveexec_b64 s[0:1], s[40:41]
	s_cbranch_execz .LBB126_976
; %bb.975:
	v_mov_b32_e32 v15, 0
	ds_read_b64 v[15:16], v15 offset:520
	s_waitcnt lgkmcnt(0)
	v_mul_f64 v[11:12], v[11:12], v[15:16]
	v_xor_b32_e32 v16, 0x80000000, v12
	v_mov_b32_e32 v15, v11
	ds_write_b64 v14, v[15:16]
.LBB126_976:
	s_or_b64 exec, exec, s[0:1]
	s_waitcnt lgkmcnt(0)
	s_barrier
	s_and_saveexec_b64 s[0:1], s[38:39]
	s_cbranch_execz .LBB126_978
; %bb.977:
	v_mov_b32_e32 v15, 0
	ds_read_b64 v[15:16], v15 offset:512
	ds_read_b64 v[17:18], v14
	s_waitcnt lgkmcnt(0)
	v_fma_f64 v[11:12], -v[15:16], v[17:18], v[11:12]
.LBB126_978:
	s_or_b64 exec, exec, s[0:1]
	s_barrier
	s_and_saveexec_b64 s[0:1], s[38:39]
	s_cbranch_execz .LBB126_980
; %bb.979:
	v_mov_b32_e32 v15, 0
	ds_read_b64 v[15:16], v15
	s_waitcnt lgkmcnt(0)
	v_mul_f64 v[11:12], v[11:12], v[15:16]
	v_xor_b32_e32 v16, 0x80000000, v12
	v_mov_b32_e32 v15, v11
	ds_write_b64 v14, v[15:16]
.LBB126_980:
	s_or_b64 exec, exec, s[0:1]
	s_waitcnt lgkmcnt(0)
	s_barrier
	s_barrier
	s_and_saveexec_b64 s[0:1], s[2:3]
; %bb.981:
	v_lshlrev_b32_e32 v1, 3, v1
	v_lshl_or_b32 v1, v13, 9, v1
	ds_write_b64 v1, v[11:12] offset:1024
; %bb.982:
	s_or_b64 exec, exec, s[0:1]
	s_waitcnt lgkmcnt(0)
	s_barrier
	s_barrier
	s_and_saveexec_b64 s[0:1], s[42:43]
	s_cbranch_execz .LBB126_984
; %bb.983:
	v_lshlrev_b32_e32 v1, 3, v0
	s_movk_i32 s2, 0x1f8
	v_mad_u32_u24 v13, v0, s2, v1
	ds_read_b64 v[11:12], v13 offset:1024
	s_waitcnt lgkmcnt(0)
	ds_write_b64 v1, v[11:12] offset:16
	ds_read_b64 v[11:12], v13 offset:1032
	s_waitcnt lgkmcnt(0)
	ds_write_b64 v1, v[11:12] offset:528
.LBB126_984:
	s_or_b64 exec, exec, s[0:1]
	s_waitcnt lgkmcnt(0)
	s_barrier
	s_and_saveexec_b64 s[0:1], vcc
	s_cbranch_execz .LBB126_986
; %bb.985:
	v_mov_b32_e32 v1, 0
	ds_read_b128 v[11:14], v1 offset:512
	ds_read_b64 v[15:16], v1
	s_waitcnt lgkmcnt(0)
	v_mul_f64 v[13:14], v[15:16], v[13:14]
	v_mul_f64 v[11:12], v[11:12], v[13:14]
	ds_write2_b64 v1, v[11:12], v[11:12] offset0:1 offset1:64
.LBB126_986:
	s_or_b64 exec, exec, s[0:1]
.LBB126_987:
	s_lshl_b64 s[0:1], s[24:25], 3
	s_add_u32 s20, s58, s0
	v_cmp_le_i32_e32 vcc, s36, v0
	s_addc_u32 s21, s59, s1
	s_and_b64 s[14:15], vcc, s[22:23]
	v_cmp_eq_u32_e64 s[2:3], 0, v2
	s_xor_b64 s[0:1], s[14:15], -1
	v_mov_b32_e32 v11, 0
	s_and_b64 s[8:9], s[2:3], s[0:1]
	v_mov_b32_e32 v12, 0
	v_add_u32_e32 v13, s33, v0
	s_waitcnt lgkmcnt(0)
	s_barrier
	s_and_saveexec_b64 s[0:1], s[8:9]
	s_cbranch_execz .LBB126_989
; %bb.988:
	v_ashrrev_i32_e32 v1, 31, v13
	v_mul_lo_u32 v14, s27, v13
	v_mad_u64_u32 v[11:12], s[8:9], s26, v13, 0
	v_mul_lo_u32 v1, s26, v1
	v_add3_u32 v12, v12, v1, v14
	v_lshlrev_b64 v[11:12], 3, v[11:12]
	v_mov_b32_e32 v1, s21
	v_add_co_u32_e32 v11, vcc, s20, v11
	v_addc_co_u32_e32 v12, vcc, v1, v12, vcc
	flat_load_dwordx2 v[11:12], v[11:12]
	s_waitcnt vmcnt(0) lgkmcnt(0)
	v_mul_f64 v[11:12], v[11:12], -s[34:35]
.LBB126_989:
	s_or_b64 exec, exec, s[0:1]
	s_load_dwordx2 s[0:1], s[4:5], 0x50
	s_and_b32 s4, 0xffff, s91
	v_mad_u32_u24 v19, v2, s4, v0
	v_mov_b32_e32 v14, 0
	s_cmp_lt_i32 s6, 1
	v_cmp_eq_u32_e64 s[4:5], 0, v19
	s_cbranch_scc1 .LBB126_1015
; %bb.990:
	v_mad_u64_u32 v[15:16], s[8:9], s30, v13, 0
	s_mov_b32 s24, 0
	v_cmp_gt_u32_e64 s[12:13], 64, v19
	v_mov_b32_e32 v1, v16
	v_mad_u64_u32 v[16:17], s[8:9], s31, v13, v[1:2]
	s_lshl_b64 s[8:9], s[28:29], 2
	s_waitcnt lgkmcnt(0)
	s_add_u32 s16, s0, s8
	v_lshlrev_b64 v[15:16], 3, v[15:16]
	s_addc_u32 s17, s1, s9
	v_mov_b32_e32 v17, 0xa000
	v_cmp_gt_i32_e64 s[8:9], s7, v13
	v_mov_b32_e32 v13, s90
	v_add_co_u32_e32 v21, vcc, s37, v15
	v_lshl_add_u32 v1, v19, 3, v17
	v_lshl_or_b32 v20, v2, 3, v17
	s_add_i32 s25, s6, -1
	v_addc_co_u32_e32 v22, vcc, v13, v16, vcc
	v_mov_b32_e32 v23, -1
	s_branch .LBB126_993
.LBB126_991:                            ;   in Loop: Header=BB126_993 Depth=1
	ds_read_b64 v[15:16], v20 offset:384
	s_waitcnt vmcnt(0) lgkmcnt(0)
	v_fma_f64 v[11:12], v[17:18], v[15:16], v[11:12]
.LBB126_992:                            ;   in Loop: Header=BB126_993 Depth=1
	s_or_b64 exec, exec, s[18:19]
	s_add_i32 s24, s24, 1
	s_cmp_eq_u32 s24, s6
	s_cbranch_scc1 .LBB126_1015
.LBB126_993:                            ; =>This Loop Header: Depth=1
                                        ;     Child Loop BB126_995 Depth 2
	v_cmp_gt_i32_e32 vcc, s24, v23
	s_and_b64 s[18:19], s[4:5], vcc
	s_and_saveexec_b64 s[10:11], s[18:19]
	s_cbranch_execz .LBB126_996
; %bb.994:                              ;   in Loop: Header=BB126_993 Depth=1
	global_load_dword v23, v14, s[16:17]
	s_waitcnt vmcnt(0)
	v_cmp_le_i32_e32 vcc, s24, v23
	s_cbranch_vccnz .LBB126_996
.LBB126_995:                            ;   Parent Loop BB126_993 Depth=1
                                        ; =>  This Inner Loop Header: Depth=2
	buffer_wbinvl1_vol
	global_load_dword v23, v14, s[16:17]
	s_waitcnt vmcnt(0)
	v_cmp_gt_i32_e32 vcc, s24, v23
	s_cbranch_vccnz .LBB126_995
.LBB126_996:                            ;   in Loop: Header=BB126_993 Depth=1
	s_or_b64 exec, exec, s[10:11]
	s_lshl_b32 s30, s24, 6
	buffer_wbinvl1_vol
	s_barrier
	s_and_saveexec_b64 s[10:11], s[12:13]
	s_cbranch_execz .LBB126_1000
; %bb.997:                              ;   in Loop: Header=BB126_993 Depth=1
	v_or_b32_e32 v13, s30, v19
	v_mov_b32_e32 v15, 0
	v_mov_b32_e32 v16, 0
	v_cmp_gt_i32_e32 vcc, s7, v13
	s_and_saveexec_b64 s[18:19], vcc
	s_cbranch_execz .LBB126_999
; %bb.998:                              ;   in Loop: Header=BB126_993 Depth=1
	v_mad_u64_u32 v[15:16], s[34:35], s26, v13, 0
	v_mad_u64_u32 v[16:17], s[34:35], s27, v13, v[16:17]
	v_mov_b32_e32 v13, s21
	v_lshlrev_b64 v[15:16], 3, v[15:16]
	v_add_co_u32_e32 v15, vcc, s20, v15
	v_addc_co_u32_e32 v16, vcc, v13, v16, vcc
	flat_load_dwordx2 v[15:16], v[15:16]
.LBB126_999:                            ;   in Loop: Header=BB126_993 Depth=1
	s_or_b64 exec, exec, s[18:19]
	s_waitcnt vmcnt(0) lgkmcnt(0)
	ds_write_b64 v1, v[15:16]
.LBB126_1000:                           ;   in Loop: Header=BB126_993 Depth=1
	s_or_b64 exec, exec, s[10:11]
	v_add_u32_e32 v13, s30, v2
	v_lshlrev_b64 v[15:16], 3, v[13:14]
	s_cmp_lg_u32 s24, s25
	v_add_co_u32_e32 v15, vcc, v21, v15
	s_cselect_b64 s[10:11], -1, 0
	v_addc_co_u32_e32 v16, vcc, v22, v16, vcc
	v_cmp_gt_i32_e32 vcc, s7, v13
	v_cndmask_b32_e64 v17, 0, 1, s[10:11]
	s_and_b64 s[30:31], vcc, s[8:9]
	v_cmp_ne_u32_e64 s[10:11], 1, v17
	s_waitcnt lgkmcnt(0)
	s_barrier
	s_and_saveexec_b64 s[18:19], s[30:31]
	s_cbranch_execz .LBB126_1004
; %bb.1001:                             ;   in Loop: Header=BB126_993 Depth=1
	v_mov_b32_e32 v18, v6
	s_and_b64 vcc, exec, s[10:11]
	v_mov_b32_e32 v17, v5
	s_cbranch_vccnz .LBB126_1003
; %bb.1002:                             ;   in Loop: Header=BB126_993 Depth=1
	flat_load_dwordx2 v[17:18], v[15:16]
.LBB126_1003:                           ;   in Loop: Header=BB126_993 Depth=1
	ds_read_b64 v[24:25], v20
	s_waitcnt vmcnt(0) lgkmcnt(0)
	v_fma_f64 v[11:12], v[17:18], v[24:25], v[11:12]
.LBB126_1004:                           ;   in Loop: Header=BB126_993 Depth=1
	s_or_b64 exec, exec, s[18:19]
	v_add_u32_e32 v17, 16, v13
	v_cmp_gt_i32_e32 vcc, s7, v17
	s_and_b64 s[30:31], vcc, s[8:9]
	s_and_saveexec_b64 s[18:19], s[30:31]
	s_cbranch_execz .LBB126_1008
; %bb.1005:                             ;   in Loop: Header=BB126_993 Depth=1
	v_mov_b32_e32 v18, v4
	s_and_b64 vcc, exec, s[10:11]
	v_mov_b32_e32 v17, v3
	s_cbranch_vccnz .LBB126_1007
; %bb.1006:                             ;   in Loop: Header=BB126_993 Depth=1
	flat_load_dwordx2 v[17:18], v[15:16] offset:128
.LBB126_1007:                           ;   in Loop: Header=BB126_993 Depth=1
	ds_read_b64 v[24:25], v20 offset:128
	s_waitcnt vmcnt(0) lgkmcnt(0)
	v_fma_f64 v[11:12], v[17:18], v[24:25], v[11:12]
.LBB126_1008:                           ;   in Loop: Header=BB126_993 Depth=1
	s_or_b64 exec, exec, s[18:19]
	v_add_u32_e32 v17, 32, v13
	v_cmp_gt_i32_e32 vcc, s7, v17
	s_and_b64 s[30:31], vcc, s[8:9]
	s_and_saveexec_b64 s[18:19], s[30:31]
	s_cbranch_execz .LBB126_1012
; %bb.1009:                             ;   in Loop: Header=BB126_993 Depth=1
	v_mov_b32_e32 v18, v10
	s_and_b64 vcc, exec, s[10:11]
	v_mov_b32_e32 v17, v9
	s_cbranch_vccnz .LBB126_1011
; %bb.1010:                             ;   in Loop: Header=BB126_993 Depth=1
	flat_load_dwordx2 v[17:18], v[15:16] offset:256
.LBB126_1011:                           ;   in Loop: Header=BB126_993 Depth=1
	ds_read_b64 v[24:25], v20 offset:256
	s_waitcnt vmcnt(0) lgkmcnt(0)
	v_fma_f64 v[11:12], v[17:18], v[24:25], v[11:12]
.LBB126_1012:                           ;   in Loop: Header=BB126_993 Depth=1
	s_or_b64 exec, exec, s[18:19]
	v_add_u32_e32 v13, 48, v13
	v_cmp_gt_i32_e32 vcc, s7, v13
	s_and_b64 s[30:31], vcc, s[8:9]
	s_and_saveexec_b64 s[18:19], s[30:31]
	s_cbranch_execz .LBB126_992
; %bb.1013:                             ;   in Loop: Header=BB126_993 Depth=1
	v_mov_b32_e32 v18, v8
	s_and_b64 vcc, exec, s[10:11]
	v_mov_b32_e32 v17, v7
	s_cbranch_vccnz .LBB126_991
; %bb.1014:                             ;   in Loop: Header=BB126_993 Depth=1
	flat_load_dwordx2 v[17:18], v[15:16] offset:384
	s_branch .LBB126_991
.LBB126_1015:
	v_lshl_add_u32 v1, v2, 6, v0
	s_xor_b64 s[4:5], s[22:23], -1
	v_lshlrev_b32_e32 v1, 3, v1
	ds_write_b64 v1, v[11:12] offset:32768
	s_waitcnt lgkmcnt(0)
	s_barrier
	s_and_saveexec_b64 s[6:7], s[2:3]
	s_cbranch_execz .LBB126_1017
; %bb.1016:
	v_lshlrev_b32_e32 v15, 3, v0
	ds_read2st64_b64 v[3:6], v15 offset0:65 offset1:66
	ds_read_b64 v[13:14], v15 offset:40448
	s_waitcnt lgkmcnt(1)
	v_add_f64 v[3:4], v[11:12], v[3:4]
	v_add_f64 v[11:12], v[3:4], v[5:6]
	ds_read2st64_b64 v[3:6], v15 offset0:67 offset1:68
	ds_read2st64_b64 v[7:10], v15 offset0:69 offset1:70
	s_waitcnt lgkmcnt(1)
	v_add_f64 v[3:4], v[11:12], v[3:4]
	v_add_f64 v[3:4], v[3:4], v[5:6]
	s_waitcnt lgkmcnt(0)
	v_add_f64 v[3:4], v[3:4], v[7:8]
	v_add_f64 v[11:12], v[3:4], v[9:10]
	ds_read2st64_b64 v[3:6], v15 offset0:71 offset1:72
	ds_read2st64_b64 v[7:10], v15 offset0:73 offset1:74
	s_waitcnt lgkmcnt(1)
	v_add_f64 v[3:4], v[11:12], v[3:4]
	v_add_f64 v[3:4], v[3:4], v[5:6]
	;; [unrolled: 8-line block ×3, first 2 shown]
	s_waitcnt lgkmcnt(0)
	v_add_f64 v[3:4], v[3:4], v[7:8]
	v_add_f64 v[3:4], v[3:4], v[9:10]
	;; [unrolled: 1-line block ×3, first 2 shown]
	v_xor_b32_e32 v4, 0x80000000, v4
	v_cndmask_b32_e64 v12, v4, 0, s[14:15]
	v_cndmask_b32_e64 v11, v3, 0, s[14:15]
.LBB126_1017:
	s_or_b64 exec, exec, s[6:7]
	v_readlane_b32 s6, v36, 0
	v_readlane_b32 s7, v36, 1
	s_and_b64 vcc, exec, s[6:7]
	s_cbranch_vccnz .LBB126_1030
; %bb.1018:
	v_mov_b32_e32 v3, 0xa000
	v_lshl_or_b32 v5, v2, 3, v3
	s_and_saveexec_b64 s[6:7], s[2:3]
; %bb.1019:
	v_lshl_add_u32 v3, v0, 3, v5
	ds_write_b64 v3, v[11:12]
; %bb.1020:
	s_or_b64 exec, exec, s[6:7]
	v_mov_b32_e32 v3, 0
	v_mov_b32_e32 v4, 0
	v_cmp_le_u32_e32 vcc, v2, v0
	s_waitcnt lgkmcnt(0)
	s_barrier
	s_and_saveexec_b64 s[6:7], vcc
	s_cbranch_execz .LBB126_1022
; %bb.1021:
	ds_read_b64 v[3:4], v1
	ds_read_b64 v[6:7], v5
	s_waitcnt lgkmcnt(0)
	v_fma_f64 v[3:4], v[3:4], v[6:7], 0
.LBB126_1022:
	s_or_b64 exec, exec, s[6:7]
	v_add_u32_e32 v6, 16, v2
	v_cmp_ge_u32_e32 vcc, v0, v6
	s_and_saveexec_b64 s[6:7], vcc
	s_cbranch_execz .LBB126_1024
; %bb.1023:
	ds_read_b64 v[6:7], v1 offset:8192
	ds_read_b64 v[8:9], v5 offset:128
	s_waitcnt lgkmcnt(0)
	v_fma_f64 v[3:4], v[6:7], v[8:9], v[3:4]
.LBB126_1024:
	s_or_b64 exec, exec, s[6:7]
	v_add_u32_e32 v6, 32, v2
	v_cmp_ge_u32_e32 vcc, v0, v6
	s_and_saveexec_b64 s[6:7], vcc
	s_cbranch_execz .LBB126_1026
; %bb.1025:
	ds_read_b64 v[6:7], v1 offset:16384
	ds_read_b64 v[8:9], v5 offset:256
	s_waitcnt lgkmcnt(0)
	v_fma_f64 v[3:4], v[6:7], v[8:9], v[3:4]
.LBB126_1026:
	s_or_b64 exec, exec, s[6:7]
	v_add_u32_e32 v2, 48, v2
	v_add_u32_e32 v6, 0x8000, v1
	v_cmp_ge_u32_e32 vcc, v0, v2
	s_and_saveexec_b64 s[6:7], vcc
	s_cbranch_execz .LBB126_1028
; %bb.1027:
	ds_read_b64 v[1:2], v1 offset:24576
	ds_read_b64 v[7:8], v5 offset:384
	s_waitcnt lgkmcnt(0)
	v_fma_f64 v[3:4], v[1:2], v[7:8], v[3:4]
.LBB126_1028:
	s_or_b64 exec, exec, s[6:7]
	s_mov_b64 s[8:9], 0
	s_mov_b64 s[6:7], 0
	ds_write_b64 v6, v[3:4]
	s_waitcnt lgkmcnt(0)
	s_barrier
                                        ; implicit-def: $vgpr5_vgpr6
                                        ; implicit-def: $vgpr1_vgpr2
	s_and_saveexec_b64 s[10:11], s[2:3]
	s_cbranch_execz .LBB126_1087
; %bb.1029:
	v_lshlrev_b32_e32 v15, 3, v0
	ds_read2st64_b64 v[5:8], v15 offset0:65 offset1:66
	ds_read_b64 v[9:10], v15 offset:40448
	s_mov_b64 s[6:7], exec
	s_waitcnt lgkmcnt(1)
	v_add_f64 v[1:2], v[3:4], v[5:6]
	v_add_f64 v[13:14], v[7:8], v[1:2]
	ds_read2st64_b64 v[1:4], v15 offset0:67 offset1:68
	ds_read2st64_b64 v[5:8], v15 offset0:69 offset1:70
	s_waitcnt lgkmcnt(1)
	v_add_f64 v[1:2], v[1:2], v[13:14]
	v_add_f64 v[1:2], v[3:4], v[1:2]
	s_waitcnt lgkmcnt(0)
	v_add_f64 v[1:2], v[5:6], v[1:2]
	v_add_f64 v[13:14], v[7:8], v[1:2]
	ds_read2st64_b64 v[1:4], v15 offset0:71 offset1:72
	ds_read2st64_b64 v[5:8], v15 offset0:73 offset1:74
	s_waitcnt lgkmcnt(1)
	v_add_f64 v[1:2], v[1:2], v[13:14]
	v_add_f64 v[1:2], v[3:4], v[1:2]
	;; [unrolled: 8-line block ×3, first 2 shown]
	s_waitcnt lgkmcnt(0)
	v_add_f64 v[1:2], v[5:6], v[1:2]
	v_add_f64 v[3:4], v[7:8], v[1:2]
	v_add_u32_e32 v7, s33, v19
	v_mad_u64_u32 v[1:2], s[12:13], s26, v7, 0
	v_add_f64 v[5:6], v[9:10], v[3:4]
	v_mad_u64_u32 v[2:3], s[12:13], s27, v7, v[2:3]
	s_or_b64 exec, exec, s[10:11]
	s_and_b64 vcc, exec, s[8:9]
	s_cbranch_vccnz .LBB126_1031
	s_branch .LBB126_1088
.LBB126_1030:
	s_mov_b64 s[6:7], 0
                                        ; implicit-def: $vgpr5_vgpr6
                                        ; implicit-def: $vgpr1_vgpr2
	s_cbranch_execz .LBB126_1088
.LBB126_1031:
	v_mul_u32_u24_e32 v1, 0x208, v0
	v_lshlrev_b32_e32 v2, 9, v0
	v_sub_u32_e32 v2, v1, v2
	s_mov_b32 s10, 0
	v_mov_b32_e32 v3, 0
	v_mov_b32_e32 v4, v0
	s_branch .LBB126_1033
.LBB126_1032:                           ;   in Loop: Header=BB126_1033 Depth=1
	s_or_b64 exec, exec, s[8:9]
	s_add_i32 s10, s10, 4
	v_add_u32_e32 v2, 0x800, v2
	s_cmp_lg_u32 s10, 64
	v_add_u32_e32 v4, -4, v4
	s_barrier
	s_cbranch_scc0 .LBB126_1049
.LBB126_1033:                           ; =>This Inner Loop Header: Depth=1
	v_cmp_eq_u32_e32 vcc, 0, v4
	s_and_b64 s[12:13], s[2:3], vcc
	s_and_saveexec_b64 s[8:9], s[12:13]
	s_cbranch_execz .LBB126_1035
; %bb.1034:                             ;   in Loop: Header=BB126_1033 Depth=1
	ds_read_b64 v[5:6], v1
	s_waitcnt lgkmcnt(0)
	v_mul_f64 v[11:12], v[11:12], v[5:6]
	ds_write_b64 v3, v[11:12] offset:41472
.LBB126_1035:                           ;   in Loop: Header=BB126_1033 Depth=1
	s_or_b64 exec, exec, s[8:9]
	v_cmp_lt_u32_e32 vcc, s10, v0
	s_and_b64 s[12:13], s[2:3], vcc
	s_waitcnt lgkmcnt(0)
	s_barrier
	s_and_saveexec_b64 s[8:9], s[12:13]
	s_cbranch_execz .LBB126_1037
; %bb.1036:                             ;   in Loop: Header=BB126_1033 Depth=1
	ds_read_b64 v[5:6], v2
	ds_read_b64 v[7:8], v3 offset:41472
	s_waitcnt lgkmcnt(0)
	v_fma_f64 v[11:12], v[5:6], v[7:8], v[11:12]
.LBB126_1037:                           ;   in Loop: Header=BB126_1033 Depth=1
	s_or_b64 exec, exec, s[8:9]
	s_or_b32 s11, s10, 1
	v_cmp_eq_u32_e32 vcc, s11, v0
	s_and_b64 s[12:13], s[2:3], vcc
	s_barrier
	s_and_saveexec_b64 s[8:9], s[12:13]
	s_cbranch_execz .LBB126_1039
; %bb.1038:                             ;   in Loop: Header=BB126_1033 Depth=1
	ds_read_b64 v[5:6], v1
	s_waitcnt lgkmcnt(0)
	v_mul_f64 v[11:12], v[11:12], v[5:6]
	ds_write_b64 v3, v[11:12] offset:41472
.LBB126_1039:                           ;   in Loop: Header=BB126_1033 Depth=1
	s_or_b64 exec, exec, s[8:9]
	v_cmp_lt_u32_e32 vcc, s11, v0
	s_and_b64 s[12:13], s[2:3], vcc
	s_waitcnt lgkmcnt(0)
	s_barrier
	s_and_saveexec_b64 s[8:9], s[12:13]
	s_cbranch_execz .LBB126_1041
; %bb.1040:                             ;   in Loop: Header=BB126_1033 Depth=1
	ds_read_b64 v[5:6], v2 offset:512
	ds_read_b64 v[7:8], v3 offset:41472
	s_waitcnt lgkmcnt(0)
	v_fma_f64 v[11:12], v[5:6], v[7:8], v[11:12]
.LBB126_1041:                           ;   in Loop: Header=BB126_1033 Depth=1
	s_or_b64 exec, exec, s[8:9]
	s_or_b32 s11, s10, 2
	v_cmp_eq_u32_e32 vcc, s11, v0
	s_and_b64 s[12:13], s[2:3], vcc
	s_barrier
	s_and_saveexec_b64 s[8:9], s[12:13]
	s_cbranch_execz .LBB126_1043
; %bb.1042:                             ;   in Loop: Header=BB126_1033 Depth=1
	ds_read_b64 v[5:6], v1
	s_waitcnt lgkmcnt(0)
	v_mul_f64 v[11:12], v[11:12], v[5:6]
	ds_write_b64 v3, v[11:12] offset:41472
.LBB126_1043:                           ;   in Loop: Header=BB126_1033 Depth=1
	s_or_b64 exec, exec, s[8:9]
	v_cmp_lt_u32_e32 vcc, s11, v0
	s_and_b64 s[12:13], s[2:3], vcc
	s_waitcnt lgkmcnt(0)
	s_barrier
	s_and_saveexec_b64 s[8:9], s[12:13]
	s_cbranch_execz .LBB126_1045
; %bb.1044:                             ;   in Loop: Header=BB126_1033 Depth=1
	ds_read_b64 v[5:6], v2 offset:1024
	ds_read_b64 v[7:8], v3 offset:41472
	s_waitcnt lgkmcnt(0)
	v_fma_f64 v[11:12], v[5:6], v[7:8], v[11:12]
.LBB126_1045:                           ;   in Loop: Header=BB126_1033 Depth=1
	s_or_b64 exec, exec, s[8:9]
	s_or_b32 s11, s10, 3
	v_cmp_eq_u32_e32 vcc, s11, v0
	s_and_b64 s[12:13], s[2:3], vcc
	s_barrier
	s_and_saveexec_b64 s[8:9], s[12:13]
	s_cbranch_execz .LBB126_1047
; %bb.1046:                             ;   in Loop: Header=BB126_1033 Depth=1
	ds_read_b64 v[5:6], v1
	s_waitcnt lgkmcnt(0)
	v_mul_f64 v[11:12], v[11:12], v[5:6]
	ds_write_b64 v3, v[11:12] offset:41472
.LBB126_1047:                           ;   in Loop: Header=BB126_1033 Depth=1
	s_or_b64 exec, exec, s[8:9]
	v_cmp_lt_u32_e32 vcc, s11, v0
	s_and_b64 s[12:13], s[2:3], vcc
	s_waitcnt lgkmcnt(0)
	s_barrier
	s_and_saveexec_b64 s[8:9], s[12:13]
	s_cbranch_execz .LBB126_1032
; %bb.1048:                             ;   in Loop: Header=BB126_1033 Depth=1
	ds_read_b64 v[5:6], v2 offset:1536
	ds_read_b64 v[7:8], v3 offset:41472
	s_waitcnt lgkmcnt(0)
	v_fma_f64 v[11:12], v[5:6], v[7:8], v[11:12]
	s_branch .LBB126_1032
.LBB126_1049:
	s_and_b64 vcc, exec, s[4:5]
	s_cbranch_vccz .LBB126_1089
; %bb.1050:
	s_and_b64 s[4:5], s[2:3], exec
	s_cbranch_execz .LBB126_1090
	s_branch .LBB126_1091
.LBB126_1051:
	v_cmp_ne_u32_e32 vcc, v0, v2
	s_and_saveexec_b64 s[12:13], vcc
	s_xor_b64 s[12:13], exec, s[12:13]
; %bb.1052:
	v_or_b32_e32 v1, v2, v0
	v_cmp_gt_u32_e32 vcc, 64, v1
	s_and_b64 s[10:11], vcc, exec
                                        ; implicit-def: $vgpr15_vgpr16
; %bb.1053:
	s_or_saveexec_b64 s[12:13], s[12:13]
	v_mov_b32_e32 v13, 0
	v_mov_b32_e32 v14, 0
	s_xor_b64 exec, exec, s[12:13]
	s_cbranch_execz .LBB126_1055
; %bb.1054:
	v_lshlrev_b64 v[13:14], 3, v[15:16]
	v_mov_b32_e32 v1, s90
	v_add_co_u32_e32 v13, vcc, s37, v13
	v_addc_co_u32_e32 v14, vcc, v1, v14, vcc
	flat_load_dwordx2 v[13:14], v[13:14]
	s_or_b64 s[10:11], s[10:11], exec
	s_waitcnt vmcnt(0) lgkmcnt(0)
	v_div_scale_f64 v[15:16], s[14:15], v[13:14], v[13:14], 1.0
	v_div_scale_f64 v[22:23], vcc, 1.0, v[13:14], 1.0
	v_rcp_f64_e32 v[18:19], v[15:16]
	v_fma_f64 v[20:21], -v[15:16], v[18:19], 1.0
	v_fma_f64 v[18:19], v[18:19], v[20:21], v[18:19]
	v_fma_f64 v[20:21], -v[15:16], v[18:19], 1.0
	v_fma_f64 v[18:19], v[18:19], v[20:21], v[18:19]
	v_mul_f64 v[20:21], v[22:23], v[18:19]
	v_fma_f64 v[15:16], -v[15:16], v[20:21], v[22:23]
	v_div_fmas_f64 v[15:16], v[15:16], v[18:19], v[20:21]
	v_div_fixup_f64 v[13:14], v[15:16], v[13:14], 1.0
.LBB126_1055:
	s_or_b64 exec, exec, s[12:13]
	s_and_b64 s[10:11], s[10:11], exec
                                        ; implicit-def: $vgpr15_vgpr16
	s_andn2_saveexec_b64 s[8:9], s[8:9]
	s_cbranch_execz .LBB126_14
.LBB126_1056:
	v_lshlrev_b64 v[13:14], 3, v[15:16]
	v_mov_b32_e32 v1, s90
	v_add_co_u32_e32 v13, vcc, s37, v13
	v_addc_co_u32_e32 v14, vcc, v1, v14, vcc
	flat_load_dwordx2 v[13:14], v[13:14]
	s_or_b64 s[10:11], s[10:11], exec
	s_waitcnt vmcnt(0) lgkmcnt(0)
	v_xor_b32_e32 v14, 0x80000000, v14
	s_or_b64 exec, exec, s[8:9]
	s_and_saveexec_b64 s[8:9], s[10:11]
	s_cbranch_execnz .LBB126_15
	s_branch .LBB126_16
.LBB126_1057:
	v_cmp_ne_u32_e32 vcc, v0, v1
	s_and_saveexec_b64 s[10:11], vcc
	s_xor_b64 s[10:11], exec, s[10:11]
; %bb.1058:
	v_or_b32_e32 v13, v1, v0
	v_cmp_gt_u32_e32 vcc, 64, v13
	s_and_b64 s[8:9], vcc, exec
                                        ; implicit-def: $vgpr15_vgpr16
; %bb.1059:
	s_or_saveexec_b64 s[10:11], s[10:11]
	v_mov_b32_e32 v13, 0
	v_mov_b32_e32 v14, 0
	s_xor_b64 exec, exec, s[10:11]
	s_cbranch_execz .LBB126_1061
; %bb.1060:
	v_lshlrev_b64 v[13:14], 3, v[15:16]
	v_mov_b32_e32 v15, s90
	v_add_co_u32_e32 v13, vcc, s37, v13
	v_addc_co_u32_e32 v14, vcc, v15, v14, vcc
	flat_load_dwordx2 v[13:14], v[13:14]
	s_or_b64 s[8:9], s[8:9], exec
	s_waitcnt vmcnt(0) lgkmcnt(0)
	v_div_scale_f64 v[15:16], s[12:13], v[13:14], v[13:14], 1.0
	v_div_scale_f64 v[22:23], vcc, 1.0, v[13:14], 1.0
	v_rcp_f64_e32 v[18:19], v[15:16]
	v_fma_f64 v[20:21], -v[15:16], v[18:19], 1.0
	v_fma_f64 v[18:19], v[18:19], v[20:21], v[18:19]
	v_fma_f64 v[20:21], -v[15:16], v[18:19], 1.0
	v_fma_f64 v[18:19], v[18:19], v[20:21], v[18:19]
	v_mul_f64 v[20:21], v[22:23], v[18:19]
	v_fma_f64 v[15:16], -v[15:16], v[20:21], v[22:23]
	v_div_fmas_f64 v[15:16], v[15:16], v[18:19], v[20:21]
	v_div_fixup_f64 v[13:14], v[15:16], v[13:14], 1.0
.LBB126_1061:
	s_or_b64 exec, exec, s[10:11]
	s_and_b64 s[8:9], s[8:9], exec
                                        ; implicit-def: $vgpr15_vgpr16
	s_andn2_saveexec_b64 s[2:3], s[2:3]
	s_cbranch_execz .LBB126_18
.LBB126_1062:
	v_lshlrev_b64 v[13:14], 3, v[15:16]
	v_mov_b32_e32 v15, s90
	v_add_co_u32_e32 v13, vcc, s37, v13
	v_addc_co_u32_e32 v14, vcc, v15, v14, vcc
	flat_load_dwordx2 v[13:14], v[13:14]
	s_or_b64 s[8:9], s[8:9], exec
	s_waitcnt vmcnt(0) lgkmcnt(0)
	v_xor_b32_e32 v14, 0x80000000, v14
	s_or_b64 exec, exec, s[2:3]
	s_and_saveexec_b64 s[2:3], s[8:9]
	s_cbranch_execnz .LBB126_19
	s_branch .LBB126_20
.LBB126_1063:
	v_cmp_ne_u32_e32 vcc, v0, v1
	s_and_saveexec_b64 s[10:11], vcc
	s_xor_b64 s[10:11], exec, s[10:11]
; %bb.1064:
	v_or_b32_e32 v13, v1, v0
	v_cmp_gt_u32_e32 vcc, 64, v13
	s_and_b64 s[8:9], vcc, exec
                                        ; implicit-def: $vgpr15_vgpr16
; %bb.1065:
	s_or_saveexec_b64 s[10:11], s[10:11]
	v_mov_b32_e32 v13, 0
	v_mov_b32_e32 v14, 0
	s_xor_b64 exec, exec, s[10:11]
	s_cbranch_execz .LBB126_1067
; %bb.1066:
	v_lshlrev_b64 v[13:14], 3, v[15:16]
	v_mov_b32_e32 v15, s90
	v_add_co_u32_e32 v13, vcc, s37, v13
	v_addc_co_u32_e32 v14, vcc, v15, v14, vcc
	flat_load_dwordx2 v[13:14], v[13:14]
	s_or_b64 s[8:9], s[8:9], exec
	s_waitcnt vmcnt(0) lgkmcnt(0)
	v_div_scale_f64 v[15:16], s[12:13], v[13:14], v[13:14], 1.0
	v_div_scale_f64 v[22:23], vcc, 1.0, v[13:14], 1.0
	v_rcp_f64_e32 v[18:19], v[15:16]
	v_fma_f64 v[20:21], -v[15:16], v[18:19], 1.0
	v_fma_f64 v[18:19], v[18:19], v[20:21], v[18:19]
	v_fma_f64 v[20:21], -v[15:16], v[18:19], 1.0
	v_fma_f64 v[18:19], v[18:19], v[20:21], v[18:19]
	v_mul_f64 v[20:21], v[22:23], v[18:19]
	v_fma_f64 v[15:16], -v[15:16], v[20:21], v[22:23]
	v_div_fmas_f64 v[15:16], v[15:16], v[18:19], v[20:21]
	v_div_fixup_f64 v[13:14], v[15:16], v[13:14], 1.0
.LBB126_1067:
	s_or_b64 exec, exec, s[10:11]
	s_and_b64 s[8:9], s[8:9], exec
                                        ; implicit-def: $vgpr15_vgpr16
	s_andn2_saveexec_b64 s[2:3], s[2:3]
	s_cbranch_execz .LBB126_22
.LBB126_1068:
	v_lshlrev_b64 v[13:14], 3, v[15:16]
	v_mov_b32_e32 v15, s90
	v_add_co_u32_e32 v13, vcc, s37, v13
	v_addc_co_u32_e32 v14, vcc, v15, v14, vcc
	flat_load_dwordx2 v[13:14], v[13:14]
	s_or_b64 s[8:9], s[8:9], exec
	s_waitcnt vmcnt(0) lgkmcnt(0)
	v_xor_b32_e32 v14, 0x80000000, v14
	s_or_b64 exec, exec, s[2:3]
	s_and_saveexec_b64 s[2:3], s[8:9]
	s_cbranch_execnz .LBB126_23
	s_branch .LBB126_24
.LBB126_1069:
	v_cmp_ne_u32_e32 vcc, v0, v2
	s_xor_b64 s[12:13], s[2:3], -1
	s_or_b64 s[14:15], s[12:13], vcc
	s_mov_b64 s[12:13], 0
	s_and_saveexec_b64 s[16:17], s[14:15]
	s_xor_b64 s[14:15], exec, s[16:17]
; %bb.1070:
	v_or_b32_e32 v1, v2, v0
	v_cmp_gt_u32_e32 vcc, 64, v1
	s_and_b64 s[12:13], vcc, exec
                                        ; implicit-def: $vgpr13_vgpr14
; %bb.1071:
	s_or_saveexec_b64 s[14:15], s[14:15]
	v_mov_b32_e32 v15, 0
	v_mov_b32_e32 v16, 0
	s_xor_b64 exec, exec, s[14:15]
	s_cbranch_execz .LBB126_1073
; %bb.1072:
	v_lshlrev_b64 v[13:14], 3, v[13:14]
	v_mov_b32_e32 v1, s90
	v_add_co_u32_e32 v13, vcc, s37, v13
	v_addc_co_u32_e32 v14, vcc, v1, v14, vcc
	flat_load_dwordx2 v[13:14], v[13:14]
	s_or_b64 s[12:13], s[12:13], exec
	s_waitcnt vmcnt(0) lgkmcnt(0)
	v_div_scale_f64 v[15:16], s[16:17], v[13:14], v[13:14], 1.0
	v_div_scale_f64 v[22:23], vcc, 1.0, v[13:14], 1.0
	v_rcp_f64_e32 v[18:19], v[15:16]
	v_fma_f64 v[20:21], -v[15:16], v[18:19], 1.0
	v_fma_f64 v[18:19], v[18:19], v[20:21], v[18:19]
	v_fma_f64 v[20:21], -v[15:16], v[18:19], 1.0
	v_fma_f64 v[18:19], v[18:19], v[20:21], v[18:19]
	v_mul_f64 v[20:21], v[22:23], v[18:19]
	v_fma_f64 v[15:16], -v[15:16], v[20:21], v[22:23]
	v_div_fmas_f64 v[15:16], v[15:16], v[18:19], v[20:21]
	v_div_fixup_f64 v[15:16], v[15:16], v[13:14], 1.0
.LBB126_1073:
	s_or_b64 exec, exec, s[14:15]
	s_and_b64 s[12:13], s[12:13], exec
                                        ; implicit-def: $vgpr13_vgpr14
	s_andn2_saveexec_b64 s[8:9], s[8:9]
	s_cbranch_execz .LBB126_36
.LBB126_1074:
	v_lshlrev_b64 v[13:14], 3, v[13:14]
	v_mov_b32_e32 v1, s90
	v_add_co_u32_e32 v13, vcc, s37, v13
	v_addc_co_u32_e32 v14, vcc, v1, v14, vcc
	flat_load_dwordx2 v[15:16], v[13:14]
	s_or_b64 s[12:13], s[12:13], exec
	s_waitcnt vmcnt(0) lgkmcnt(0)
	v_xor_b32_e32 v16, 0x80000000, v16
	s_or_b64 exec, exec, s[8:9]
	s_and_saveexec_b64 s[8:9], s[12:13]
	s_cbranch_execnz .LBB126_37
	s_branch .LBB126_38
.LBB126_1075:
	v_cmp_ne_u32_e32 vcc, v0, v1
	s_xor_b64 s[12:13], s[2:3], -1
	s_or_b64 s[14:15], s[12:13], vcc
	s_mov_b64 s[12:13], 0
	s_and_saveexec_b64 s[16:17], s[14:15]
	s_xor_b64 s[14:15], exec, s[16:17]
; %bb.1076:
	v_or_b32_e32 v13, v1, v0
	v_cmp_gt_u32_e32 vcc, 64, v13
	s_and_b64 s[12:13], vcc, exec
                                        ; implicit-def: $vgpr13_vgpr14
; %bb.1077:
	s_or_saveexec_b64 s[14:15], s[14:15]
	v_mov_b32_e32 v15, 0
	v_mov_b32_e32 v16, 0
	s_xor_b64 exec, exec, s[14:15]
	s_cbranch_execz .LBB126_1079
; %bb.1078:
	v_lshlrev_b64 v[13:14], 3, v[13:14]
	v_mov_b32_e32 v15, s90
	v_add_co_u32_e32 v13, vcc, s37, v13
	v_addc_co_u32_e32 v14, vcc, v15, v14, vcc
	flat_load_dwordx2 v[13:14], v[13:14]
	s_or_b64 s[12:13], s[12:13], exec
	s_waitcnt vmcnt(0) lgkmcnt(0)
	v_div_scale_f64 v[15:16], s[16:17], v[13:14], v[13:14], 1.0
	v_div_scale_f64 v[22:23], vcc, 1.0, v[13:14], 1.0
	v_rcp_f64_e32 v[18:19], v[15:16]
	v_fma_f64 v[20:21], -v[15:16], v[18:19], 1.0
	v_fma_f64 v[18:19], v[18:19], v[20:21], v[18:19]
	v_fma_f64 v[20:21], -v[15:16], v[18:19], 1.0
	v_fma_f64 v[18:19], v[18:19], v[20:21], v[18:19]
	v_mul_f64 v[20:21], v[22:23], v[18:19]
	v_fma_f64 v[15:16], -v[15:16], v[20:21], v[22:23]
	v_div_fmas_f64 v[15:16], v[15:16], v[18:19], v[20:21]
	v_div_fixup_f64 v[15:16], v[15:16], v[13:14], 1.0
.LBB126_1079:
	s_or_b64 exec, exec, s[14:15]
	s_and_b64 s[12:13], s[12:13], exec
                                        ; implicit-def: $vgpr13_vgpr14
	s_andn2_saveexec_b64 s[8:9], s[8:9]
	s_cbranch_execz .LBB126_40
.LBB126_1080:
	v_lshlrev_b64 v[13:14], 3, v[13:14]
	v_mov_b32_e32 v15, s90
	v_add_co_u32_e32 v13, vcc, s37, v13
	v_addc_co_u32_e32 v14, vcc, v15, v14, vcc
	flat_load_dwordx2 v[15:16], v[13:14]
	s_or_b64 s[12:13], s[12:13], exec
	s_waitcnt vmcnt(0) lgkmcnt(0)
	v_xor_b32_e32 v16, 0x80000000, v16
	s_or_b64 exec, exec, s[8:9]
	s_and_saveexec_b64 s[8:9], s[12:13]
	s_cbranch_execnz .LBB126_41
	s_branch .LBB126_42
.LBB126_1081:
	v_cmp_ne_u32_e32 vcc, v0, v1
	s_xor_b64 s[12:13], s[2:3], -1
	s_or_b64 s[14:15], s[12:13], vcc
	s_mov_b64 s[12:13], 0
	s_and_saveexec_b64 s[16:17], s[14:15]
	s_xor_b64 s[14:15], exec, s[16:17]
; %bb.1082:
	v_or_b32_e32 v13, v1, v0
	v_cmp_gt_u32_e32 vcc, 64, v13
	s_and_b64 s[12:13], vcc, exec
                                        ; implicit-def: $vgpr13_vgpr14
; %bb.1083:
	s_or_saveexec_b64 s[14:15], s[14:15]
	v_mov_b32_e32 v15, 0
	v_mov_b32_e32 v16, 0
	s_xor_b64 exec, exec, s[14:15]
	s_cbranch_execz .LBB126_1085
; %bb.1084:
	v_lshlrev_b64 v[13:14], 3, v[13:14]
	v_mov_b32_e32 v15, s90
	v_add_co_u32_e32 v13, vcc, s37, v13
	v_addc_co_u32_e32 v14, vcc, v15, v14, vcc
	flat_load_dwordx2 v[13:14], v[13:14]
	s_or_b64 s[12:13], s[12:13], exec
	s_waitcnt vmcnt(0) lgkmcnt(0)
	v_div_scale_f64 v[15:16], s[16:17], v[13:14], v[13:14], 1.0
	v_div_scale_f64 v[22:23], vcc, 1.0, v[13:14], 1.0
	v_rcp_f64_e32 v[18:19], v[15:16]
	v_fma_f64 v[20:21], -v[15:16], v[18:19], 1.0
	v_fma_f64 v[18:19], v[18:19], v[20:21], v[18:19]
	v_fma_f64 v[20:21], -v[15:16], v[18:19], 1.0
	v_fma_f64 v[18:19], v[18:19], v[20:21], v[18:19]
	v_mul_f64 v[20:21], v[22:23], v[18:19]
	v_fma_f64 v[15:16], -v[15:16], v[20:21], v[22:23]
	v_div_fmas_f64 v[15:16], v[15:16], v[18:19], v[20:21]
	v_div_fixup_f64 v[15:16], v[15:16], v[13:14], 1.0
.LBB126_1085:
	s_or_b64 exec, exec, s[14:15]
	s_and_b64 s[12:13], s[12:13], exec
                                        ; implicit-def: $vgpr13_vgpr14
	s_andn2_saveexec_b64 s[8:9], s[8:9]
	s_cbranch_execz .LBB126_44
.LBB126_1086:
	v_lshlrev_b64 v[13:14], 3, v[13:14]
	v_mov_b32_e32 v15, s90
	v_add_co_u32_e32 v13, vcc, s37, v13
	v_addc_co_u32_e32 v14, vcc, v15, v14, vcc
	flat_load_dwordx2 v[15:16], v[13:14]
	s_or_b64 s[12:13], s[12:13], exec
	s_waitcnt vmcnt(0) lgkmcnt(0)
	v_xor_b32_e32 v16, 0x80000000, v16
	s_or_b64 exec, exec, s[8:9]
	s_and_saveexec_b64 s[8:9], s[12:13]
	s_cbranch_execnz .LBB126_45
	s_branch .LBB126_46
.LBB126_1087:
	s_or_b64 exec, exec, s[10:11]
	s_and_b64 vcc, exec, s[8:9]
	s_cbranch_vccnz .LBB126_1031
.LBB126_1088:
	v_mov_b32_e32 v12, v6
	v_mov_b32_e32 v11, v5
	s_and_saveexec_b64 s[2:3], s[6:7]
	s_cbranch_execnz .LBB126_1094
	s_branch .LBB126_1095
.LBB126_1089:
	s_mov_b64 s[4:5], 0
.LBB126_1090:
	v_cmp_gt_i32_e32 vcc, s36, v0
	s_and_b64 s[2:3], s[2:3], vcc
	s_andn2_b64 s[4:5], s[4:5], exec
	s_and_b64 s[2:3], s[2:3], exec
	s_or_b64 s[4:5], s[4:5], s[2:3]
.LBB126_1091:
                                        ; implicit-def: $vgpr1_vgpr2
	s_and_saveexec_b64 s[2:3], s[4:5]
	s_cbranch_execz .LBB126_1093
; %bb.1092:
	v_mov_b32_e32 v0, s46
	v_add_co_u32_e32 v1, vcc, s33, v19
	v_addc_co_u32_e32 v0, vcc, 0, v0, vcc
	v_mul_lo_u32 v0, v0, s26
	v_mul_lo_u32 v3, v1, s27
	v_mad_u64_u32 v[1:2], s[4:5], v1, s26, 0
	s_or_b64 s[6:7], s[6:7], exec
	v_add3_u32 v2, v2, v3, v0
.LBB126_1093:
	s_or_b64 exec, exec, s[2:3]
	s_and_saveexec_b64 s[2:3], s[6:7]
	s_cbranch_execz .LBB126_1095
.LBB126_1094:
	v_lshlrev_b64 v[0:1], 3, v[1:2]
	v_mov_b32_e32 v2, s21
	v_add_co_u32_e32 v0, vcc, s20, v0
	v_addc_co_u32_e32 v1, vcc, v2, v1, vcc
	flat_store_dwordx2 v[0:1], v[11:12]
.LBB126_1095:
	s_or_b64 exec, exec, s[2:3]
	v_cmp_eq_u32_e32 vcc, 0, v19
	s_waitcnt vmcnt(0) lgkmcnt(0)
	buffer_wbinvl1_vol
	s_barrier
	s_and_saveexec_b64 s[2:3], vcc
	s_cbranch_execz .LBB126_1097
; %bb.1096:
	s_lshl_b64 s[4:5], s[28:29], 2
	s_add_u32 s0, s0, s4
	s_addc_u32 s1, s1, s5
	v_mov_b32_e32 v0, 0
	global_load_dword v1, v0, s[0:1]
	s_waitcnt vmcnt(0)
	v_add_u32_e32 v1, 1, v1
	global_store_dword v0, v1, s[0:1]
.LBB126_1097:
	s_or_b64 exec, exec, s[2:3]
	s_waitcnt vmcnt(0)
	buffer_wbinvl1_vol
	s_endpgm
.LBB126_1098:
	ds_read_b64 v[21:22], v20 offset:31680
	ds_read_b64 v[23:24], v19 offset:31208
	s_waitcnt lgkmcnt(0)
	v_fma_f64 v[11:12], v[21:22], v[23:24], v[11:12]
	s_or_b64 exec, exec, s[14:15]
	v_cmp_gt_u32_e64 s[10:11], 8, v15
	s_and_saveexec_b64 s[14:15], s[10:11]
	s_cbranch_execz .LBB126_79
.LBB126_1099:
	ds_read_b64 v[20:21], v20 offset:32192
	ds_read_b64 v[22:23], v19 offset:31216
	s_waitcnt lgkmcnt(0)
	v_fma_f64 v[11:12], v[20:21], v[22:23], v[11:12]
	s_or_b64 exec, exec, s[14:15]
	v_cmp_gt_u32_e64 s[10:11], 4, v15
	s_and_saveexec_b64 s[14:15], s[10:11]
	s_cbranch_execnz .LBB126_80
	s_branch .LBB126_81
.LBB126_1100:
	ds_read_b64 v[24:25], v23 offset:29568
	ds_read_b64 v[26:27], v22 offset:29128
	s_waitcnt lgkmcnt(0)
	v_fma_f64 v[11:12], v[24:25], v[26:27], v[11:12]
	s_or_b64 exec, exec, s[16:17]
	v_cmp_gt_u32_e64 s[14:15], 48, v15
	s_and_saveexec_b64 s[16:17], s[14:15]
	s_cbranch_execz .LBB126_121
.LBB126_1101:
	ds_read_b64 v[24:25], v23 offset:30080
	ds_read_b64 v[26:27], v22 offset:29136
	s_waitcnt lgkmcnt(0)
	v_fma_f64 v[11:12], v[24:25], v[26:27], v[11:12]
	s_or_b64 exec, exec, s[16:17]
	v_cmp_gt_u32_e64 s[14:15], 40, v15
	s_and_saveexec_b64 s[16:17], s[14:15]
	s_cbranch_execz .LBB126_122
.LBB126_1102:
	ds_read_b64 v[24:25], v23 offset:30592
	ds_read_b64 v[26:27], v22 offset:29144
	s_waitcnt lgkmcnt(0)
	v_fma_f64 v[11:12], v[24:25], v[26:27], v[11:12]
	s_or_b64 exec, exec, s[16:17]
	v_cmp_gt_u32_e64 s[14:15], 32, v15
	s_and_saveexec_b64 s[16:17], s[14:15]
	s_cbranch_execz .LBB126_123
.LBB126_1103:
	ds_read_b64 v[24:25], v23 offset:31104
	ds_read_b64 v[26:27], v22 offset:29152
	s_waitcnt lgkmcnt(0)
	v_fma_f64 v[11:12], v[24:25], v[26:27], v[11:12]
	s_or_b64 exec, exec, s[16:17]
	v_cmp_gt_u32_e64 s[14:15], 24, v15
	s_and_saveexec_b64 s[16:17], s[14:15]
	s_cbranch_execz .LBB126_124
.LBB126_1104:
	ds_read_b64 v[24:25], v23 offset:31616
	ds_read_b64 v[26:27], v22 offset:29160
	s_waitcnt lgkmcnt(0)
	v_fma_f64 v[11:12], v[24:25], v[26:27], v[11:12]
	s_or_b64 exec, exec, s[16:17]
	s_and_saveexec_b64 s[14:15], s[18:19]
	s_cbranch_execz .LBB126_125
.LBB126_1105:
	ds_read_b64 v[23:24], v23 offset:32128
	ds_read_b64 v[25:26], v22 offset:29168
	s_waitcnt lgkmcnt(0)
	v_fma_f64 v[11:12], v[23:24], v[25:26], v[11:12]
	s_or_b64 exec, exec, s[14:15]
	v_cmp_gt_u32_e64 s[14:15], 8, v15
	s_and_saveexec_b64 s[16:17], s[14:15]
	s_cbranch_execnz .LBB126_126
	s_branch .LBB126_127
.LBB126_1106:
	ds_read_b64 v[24:25], v23 offset:27520
	ds_read_b64 v[26:27], v22 offset:27048
	s_waitcnt lgkmcnt(0)
	v_fma_f64 v[11:12], v[24:25], v[26:27], v[11:12]
	s_or_b64 exec, exec, s[14:15]
	v_cmp_gt_u32_e64 s[10:11], 8, v15
	s_and_saveexec_b64 s[14:15], s[10:11]
	s_cbranch_execz .LBB126_183
.LBB126_1107:
	ds_read_b64 v[23:24], v23 offset:28032
	ds_read_b64 v[25:26], v22 offset:27056
	s_waitcnt lgkmcnt(0)
	v_fma_f64 v[11:12], v[23:24], v[25:26], v[11:12]
	s_or_b64 exec, exec, s[14:15]
	v_cmp_gt_u32_e64 s[10:11], 4, v15
	s_and_saveexec_b64 s[14:15], s[10:11]
	s_cbranch_execnz .LBB126_184
	s_branch .LBB126_185
.LBB126_1108:
	ds_read_b64 v[27:28], v26 offset:30464
	ds_read_b64 v[29:30], v25 offset:25048
	s_waitcnt lgkmcnt(0)
	v_fma_f64 v[11:12], v[27:28], v[29:30], v[11:12]
	s_or_b64 exec, exec, s[20:21]
	s_and_saveexec_b64 s[16:17], s[8:9]
	s_cbranch_execz .LBB126_245
.LBB126_1109:
	ds_read_b64 v[27:28], v26 offset:30976
	ds_read_b64 v[29:30], v25 offset:25056
	s_waitcnt lgkmcnt(0)
	v_fma_f64 v[11:12], v[27:28], v[29:30], v[11:12]
	s_or_b64 exec, exec, s[16:17]
	v_cmp_gt_u32_e64 s[16:17], 48, v15
	s_and_saveexec_b64 s[20:21], s[16:17]
	s_cbranch_execz .LBB126_246
.LBB126_1110:
	ds_read_b64 v[27:28], v26 offset:31488
	ds_read_b64 v[29:30], v25 offset:25064
	s_waitcnt lgkmcnt(0)
	v_fma_f64 v[11:12], v[27:28], v[29:30], v[11:12]
	s_or_b64 exec, exec, s[20:21]
	v_cmp_gt_u32_e64 s[16:17], 32, v15
	s_and_saveexec_b64 s[20:21], s[16:17]
	s_cbranch_execz .LBB126_247
.LBB126_1111:
	ds_read_b64 v[26:27], v26 offset:32000
	ds_read_b64 v[28:29], v25 offset:25072
	s_waitcnt lgkmcnt(0)
	v_fma_f64 v[11:12], v[26:27], v[28:29], v[11:12]
	s_or_b64 exec, exec, s[20:21]
	v_cmp_gt_u32_e64 s[16:17], 16, v15
	s_and_saveexec_b64 s[20:21], s[16:17]
	s_cbranch_execnz .LBB126_248
	s_branch .LBB126_249
.LBB126_1112:
	ds_read_b64 v[27:28], v26 offset:23360
	ds_read_b64 v[29:30], v25 offset:22888
	s_waitcnt lgkmcnt(0)
	v_fma_f64 v[11:12], v[27:28], v[29:30], v[11:12]
	s_or_b64 exec, exec, s[0:1]
	v_cmp_gt_u32_e64 s[14:15], 8, v15
	s_and_saveexec_b64 s[0:1], s[14:15]
	s_cbranch_execz .LBB126_337
.LBB126_1113:
	ds_read_b64 v[26:27], v26 offset:23872
	ds_read_b64 v[28:29], v25 offset:22896
	s_waitcnt lgkmcnt(0)
	v_fma_f64 v[11:12], v[26:27], v[28:29], v[11:12]
	s_or_b64 exec, exec, s[0:1]
	v_cmp_gt_u32_e64 s[14:15], 4, v15
	s_and_saveexec_b64 s[20:21], s[14:15]
	s_cbranch_execnz .LBB126_338
	s_branch .LBB126_339
.LBB126_1114:
	ds_read_b64 v[27:28], v26 offset:21248
	ds_read_b64 v[29:30], v25 offset:20808
	s_waitcnt lgkmcnt(0)
	v_fma_f64 v[11:12], v[27:28], v[29:30], v[11:12]
	s_or_b64 exec, exec, s[0:1]
	v_cmp_gt_u32_e64 s[14:15], 48, v15
	s_and_saveexec_b64 s[0:1], s[14:15]
	s_cbranch_execz .LBB126_379
.LBB126_1115:
	ds_read_b64 v[27:28], v26 offset:21760
	ds_read_b64 v[29:30], v25 offset:20816
	s_waitcnt lgkmcnt(0)
	v_fma_f64 v[11:12], v[27:28], v[29:30], v[11:12]
	s_or_b64 exec, exec, s[0:1]
	v_cmp_gt_u32_e64 s[14:15], 40, v15
	s_and_saveexec_b64 s[0:1], s[14:15]
	s_cbranch_execz .LBB126_380
.LBB126_1116:
	ds_read_b64 v[27:28], v26 offset:22272
	ds_read_b64 v[29:30], v25 offset:20824
	s_waitcnt lgkmcnt(0)
	v_fma_f64 v[11:12], v[27:28], v[29:30], v[11:12]
	s_or_b64 exec, exec, s[0:1]
	v_cmp_gt_u32_e64 s[14:15], 32, v15
	s_and_saveexec_b64 s[0:1], s[14:15]
	s_cbranch_execz .LBB126_381
.LBB126_1117:
	ds_read_b64 v[27:28], v26 offset:22784
	ds_read_b64 v[29:30], v25 offset:20832
	s_waitcnt lgkmcnt(0)
	v_fma_f64 v[11:12], v[27:28], v[29:30], v[11:12]
	s_or_b64 exec, exec, s[0:1]
	v_cmp_gt_u32_e64 s[14:15], 24, v15
	s_and_saveexec_b64 s[0:1], s[14:15]
	s_cbranch_execz .LBB126_382
.LBB126_1118:
	ds_read_b64 v[27:28], v26 offset:23296
	ds_read_b64 v[29:30], v25 offset:20840
	s_waitcnt lgkmcnt(0)
	v_fma_f64 v[11:12], v[27:28], v[29:30], v[11:12]
	s_or_b64 exec, exec, s[0:1]
	s_and_saveexec_b64 s[0:1], s[18:19]
	s_cbranch_execz .LBB126_383
.LBB126_1119:
	ds_read_b64 v[26:27], v26 offset:23808
	ds_read_b64 v[28:29], v25 offset:20848
	s_waitcnt lgkmcnt(0)
	v_fma_f64 v[11:12], v[26:27], v[28:29], v[11:12]
	s_or_b64 exec, exec, s[0:1]
	v_cmp_gt_u32_e64 s[14:15], 8, v15
	s_and_saveexec_b64 s[20:21], s[14:15]
	s_cbranch_execnz .LBB126_384
	s_branch .LBB126_385
.LBB126_1120:
	ds_read_b64 v[27:28], v26 offset:19200
	ds_read_b64 v[29:30], v25 offset:18728
	s_waitcnt lgkmcnt(0)
	v_fma_f64 v[11:12], v[27:28], v[29:30], v[11:12]
	s_or_b64 exec, exec, s[0:1]
	v_cmp_gt_u32_e64 s[14:15], 8, v15
	s_and_saveexec_b64 s[0:1], s[14:15]
	s_cbranch_execz .LBB126_441
.LBB126_1121:
	ds_read_b64 v[26:27], v26 offset:19712
	ds_read_b64 v[28:29], v25 offset:18736
	s_waitcnt lgkmcnt(0)
	v_fma_f64 v[11:12], v[26:27], v[28:29], v[11:12]
	s_or_b64 exec, exec, s[0:1]
	v_cmp_gt_u32_e64 s[14:15], 4, v15
	s_and_saveexec_b64 s[20:21], s[14:15]
	s_cbranch_execnz .LBB126_442
	s_branch .LBB126_443
.LBB126_1122:
	ds_read_b64 v[30:31], v29 offset:31232
	ds_read_b64 v[32:33], v28 offset:16872
	s_waitcnt lgkmcnt(0)
	v_fma_f64 v[11:12], v[30:31], v[32:33], v[11:12]
	s_or_b64 exec, exec, s[0:1]
	s_and_saveexec_b64 s[0:1], s[8:9]
	s_cbranch_execz .LBB126_539
.LBB126_1123:
	ds_read_b64 v[29:30], v29 offset:31744
	ds_read_b64 v[31:32], v28 offset:16880
	s_waitcnt lgkmcnt(0)
	v_fma_f64 v[11:12], v[29:30], v[31:32], v[11:12]
	s_or_b64 exec, exec, s[0:1]
	v_cmp_gt_u32_e64 s[20:21], 32, v15
	s_and_saveexec_b64 s[0:1], s[20:21]
	s_cbranch_execnz .LBB126_540
	s_branch .LBB126_541
.LBB126_1124:
	ds_read_b64 v[27:28], v26 offset:15040
	ds_read_b64 v[29:30], v25 offset:14568
	s_waitcnt lgkmcnt(0)
	v_fma_f64 v[11:12], v[27:28], v[29:30], v[11:12]
	s_or_b64 exec, exec, s[0:1]
	v_cmp_gt_u32_e64 s[12:13], 8, v15
	s_and_saveexec_b64 s[0:1], s[12:13]
	s_cbranch_execz .LBB126_585
.LBB126_1125:
	ds_read_b64 v[26:27], v26 offset:15552
	ds_read_b64 v[28:29], v25 offset:14576
	s_waitcnt lgkmcnt(0)
	v_fma_f64 v[11:12], v[26:27], v[28:29], v[11:12]
	s_or_b64 exec, exec, s[0:1]
	v_cmp_gt_u32_e64 s[12:13], 4, v15
	s_and_saveexec_b64 s[0:1], s[12:13]
	s_cbranch_execnz .LBB126_586
	s_branch .LBB126_587
.LBB126_1126:
	ds_read_b64 v[27:28], v26 offset:12928
	ds_read_b64 v[29:30], v25 offset:12488
	s_waitcnt lgkmcnt(0)
	v_fma_f64 v[11:12], v[27:28], v[29:30], v[11:12]
	s_or_b64 exec, exec, s[0:1]
	v_cmp_gt_u32_e64 s[12:13], 48, v15
	s_and_saveexec_b64 s[0:1], s[12:13]
	s_cbranch_execz .LBB126_627
.LBB126_1127:
	ds_read_b64 v[27:28], v26 offset:13440
	ds_read_b64 v[29:30], v25 offset:12496
	s_waitcnt lgkmcnt(0)
	v_fma_f64 v[11:12], v[27:28], v[29:30], v[11:12]
	s_or_b64 exec, exec, s[0:1]
	v_cmp_gt_u32_e64 s[12:13], 40, v15
	s_and_saveexec_b64 s[0:1], s[12:13]
	s_cbranch_execz .LBB126_628
.LBB126_1128:
	ds_read_b64 v[27:28], v26 offset:13952
	ds_read_b64 v[29:30], v25 offset:12504
	s_waitcnt lgkmcnt(0)
	v_fma_f64 v[11:12], v[27:28], v[29:30], v[11:12]
	s_or_b64 exec, exec, s[0:1]
	v_cmp_gt_u32_e64 s[12:13], 32, v15
	s_and_saveexec_b64 s[0:1], s[12:13]
	s_cbranch_execz .LBB126_629
.LBB126_1129:
	ds_read_b64 v[27:28], v26 offset:14464
	ds_read_b64 v[29:30], v25 offset:12512
	s_waitcnt lgkmcnt(0)
	v_fma_f64 v[11:12], v[27:28], v[29:30], v[11:12]
	s_or_b64 exec, exec, s[0:1]
	v_cmp_gt_u32_e64 s[12:13], 24, v15
	s_and_saveexec_b64 s[0:1], s[12:13]
	s_cbranch_execz .LBB126_630
.LBB126_1130:
	ds_read_b64 v[27:28], v26 offset:14976
	ds_read_b64 v[29:30], v25 offset:12520
	s_waitcnt lgkmcnt(0)
	v_fma_f64 v[11:12], v[27:28], v[29:30], v[11:12]
	s_or_b64 exec, exec, s[0:1]
	s_and_saveexec_b64 s[0:1], s[18:19]
	s_cbranch_execz .LBB126_631
.LBB126_1131:
	ds_read_b64 v[26:27], v26 offset:15488
	ds_read_b64 v[28:29], v25 offset:12528
	s_waitcnt lgkmcnt(0)
	v_fma_f64 v[11:12], v[26:27], v[28:29], v[11:12]
	s_or_b64 exec, exec, s[0:1]
	v_cmp_gt_u32_e64 s[12:13], 8, v15
	s_and_saveexec_b64 s[0:1], s[12:13]
	s_cbranch_execnz .LBB126_632
	s_branch .LBB126_633
.LBB126_1132:
	ds_read_b64 v[27:28], v26 offset:10880
	ds_read_b64 v[29:30], v25 offset:10408
	s_waitcnt lgkmcnt(0)
	v_fma_f64 v[11:12], v[27:28], v[29:30], v[11:12]
	s_or_b64 exec, exec, s[0:1]
	v_cmp_gt_u32_e64 s[12:13], 8, v15
	s_and_saveexec_b64 s[0:1], s[12:13]
	s_cbranch_execz .LBB126_689
.LBB126_1133:
	ds_read_b64 v[26:27], v26 offset:11392
	ds_read_b64 v[28:29], v25 offset:10416
	s_waitcnt lgkmcnt(0)
	v_fma_f64 v[11:12], v[26:27], v[28:29], v[11:12]
	s_or_b64 exec, exec, s[0:1]
	v_cmp_gt_u32_e64 s[12:13], 4, v15
	s_and_saveexec_b64 s[0:1], s[12:13]
	s_cbranch_execnz .LBB126_690
	s_branch .LBB126_691
.LBB126_1134:
	ds_read_b64 v[27:28], v26 offset:13824
	ds_read_b64 v[29:30], v25 offset:8408
	s_waitcnt lgkmcnt(0)
	v_fma_f64 v[11:12], v[27:28], v[29:30], v[11:12]
	s_or_b64 exec, exec, s[0:1]
	s_and_saveexec_b64 s[0:1], s[8:9]
	s_cbranch_execz .LBB126_751
.LBB126_1135:
	ds_read_b64 v[27:28], v26 offset:14336
	ds_read_b64 v[29:30], v25 offset:8416
	s_waitcnt lgkmcnt(0)
	v_fma_f64 v[11:12], v[27:28], v[29:30], v[11:12]
	s_or_b64 exec, exec, s[0:1]
	v_cmp_gt_u32_e64 s[12:13], 48, v15
	s_and_saveexec_b64 s[0:1], s[12:13]
	s_cbranch_execz .LBB126_752
.LBB126_1136:
	ds_read_b64 v[27:28], v26 offset:14848
	ds_read_b64 v[29:30], v25 offset:8424
	s_waitcnt lgkmcnt(0)
	v_fma_f64 v[11:12], v[27:28], v[29:30], v[11:12]
	s_or_b64 exec, exec, s[0:1]
	v_cmp_gt_u32_e64 s[12:13], 32, v15
	s_and_saveexec_b64 s[0:1], s[12:13]
	s_cbranch_execz .LBB126_753
.LBB126_1137:
	ds_read_b64 v[26:27], v26 offset:15360
	ds_read_b64 v[28:29], v25 offset:8432
	s_waitcnt lgkmcnt(0)
	v_fma_f64 v[11:12], v[26:27], v[28:29], v[11:12]
	s_or_b64 exec, exec, s[0:1]
	v_cmp_gt_u32_e64 s[12:13], 16, v15
	s_and_saveexec_b64 s[0:1], s[12:13]
	s_cbranch_execnz .LBB126_754
	s_branch .LBB126_755
.LBB126_1138:
	ds_read_b64 v[24:25], v23 offset:6720
	ds_read_b64 v[26:27], v22 offset:6248
	s_waitcnt lgkmcnt(0)
	v_fma_f64 v[11:12], v[24:25], v[26:27], v[11:12]
	s_or_b64 exec, exec, s[12:13]
	v_cmp_gt_u32_e64 s[10:11], 8, v15
	s_and_saveexec_b64 s[12:13], s[10:11]
	s_cbranch_execz .LBB126_843
.LBB126_1139:
	ds_read_b64 v[23:24], v23 offset:7232
	ds_read_b64 v[25:26], v22 offset:6256
	s_waitcnt lgkmcnt(0)
	v_fma_f64 v[11:12], v[23:24], v[25:26], v[11:12]
	s_or_b64 exec, exec, s[12:13]
	v_cmp_gt_u32_e64 s[10:11], 4, v15
	s_and_saveexec_b64 s[12:13], s[10:11]
	s_cbranch_execnz .LBB126_844
	s_branch .LBB126_845
.LBB126_1140:
	ds_read_b64 v[24:25], v23 offset:4608
	ds_read_b64 v[26:27], v22 offset:4168
	s_waitcnt lgkmcnt(0)
	v_fma_f64 v[11:12], v[24:25], v[26:27], v[11:12]
	s_or_b64 exec, exec, s[12:13]
	v_cmp_gt_u32_e64 s[10:11], 48, v15
	s_and_saveexec_b64 s[12:13], s[10:11]
	s_cbranch_execz .LBB126_885
.LBB126_1141:
	ds_read_b64 v[24:25], v23 offset:5120
	ds_read_b64 v[26:27], v22 offset:4176
	s_waitcnt lgkmcnt(0)
	v_fma_f64 v[11:12], v[24:25], v[26:27], v[11:12]
	s_or_b64 exec, exec, s[12:13]
	v_cmp_gt_u32_e64 s[10:11], 40, v15
	s_and_saveexec_b64 s[12:13], s[10:11]
	s_cbranch_execz .LBB126_886
.LBB126_1142:
	ds_read_b64 v[24:25], v23 offset:5632
	ds_read_b64 v[26:27], v22 offset:4184
	s_waitcnt lgkmcnt(0)
	v_fma_f64 v[11:12], v[24:25], v[26:27], v[11:12]
	s_or_b64 exec, exec, s[12:13]
	v_cmp_gt_u32_e64 s[10:11], 32, v15
	s_and_saveexec_b64 s[12:13], s[10:11]
	s_cbranch_execz .LBB126_887
.LBB126_1143:
	ds_read_b64 v[24:25], v23 offset:6144
	ds_read_b64 v[26:27], v22 offset:4192
	s_waitcnt lgkmcnt(0)
	v_fma_f64 v[11:12], v[24:25], v[26:27], v[11:12]
	s_or_b64 exec, exec, s[12:13]
	v_cmp_gt_u32_e64 s[10:11], 24, v15
	s_and_saveexec_b64 s[12:13], s[10:11]
	s_cbranch_execz .LBB126_888
.LBB126_1144:
	ds_read_b64 v[24:25], v23 offset:6656
	ds_read_b64 v[26:27], v22 offset:4200
	s_waitcnt lgkmcnt(0)
	v_fma_f64 v[11:12], v[24:25], v[26:27], v[11:12]
	s_or_b64 exec, exec, s[12:13]
	s_and_saveexec_b64 s[10:11], s[18:19]
	s_cbranch_execz .LBB126_889
.LBB126_1145:
	ds_read_b64 v[23:24], v23 offset:7168
	ds_read_b64 v[25:26], v22 offset:4208
	s_waitcnt lgkmcnt(0)
	v_fma_f64 v[11:12], v[23:24], v[25:26], v[11:12]
	s_or_b64 exec, exec, s[10:11]
	v_cmp_gt_u32_e64 s[10:11], 8, v15
	s_and_saveexec_b64 s[12:13], s[10:11]
	s_cbranch_execnz .LBB126_890
	s_branch .LBB126_891
.LBB126_1146:
	ds_read_b64 v[21:22], v20 offset:2560
	ds_read_b64 v[23:24], v19 offset:2088
	s_waitcnt lgkmcnt(0)
	v_fma_f64 v[11:12], v[21:22], v[23:24], v[11:12]
	s_or_b64 exec, exec, s[10:11]
	v_cmp_gt_u32_e64 s[8:9], 8, v15
	s_and_saveexec_b64 s[10:11], s[8:9]
	s_cbranch_execz .LBB126_947
.LBB126_1147:
	ds_read_b64 v[20:21], v20 offset:3072
	ds_read_b64 v[22:23], v19 offset:2096
	s_waitcnt lgkmcnt(0)
	v_fma_f64 v[11:12], v[20:21], v[22:23], v[11:12]
	s_or_b64 exec, exec, s[10:11]
	v_cmp_gt_u32_e64 s[8:9], 4, v15
	s_and_saveexec_b64 s[10:11], s[8:9]
	s_cbranch_execnz .LBB126_948
	s_branch .LBB126_949
	.section	.rodata,"a",@progbits
	.p2align	6, 0x0
	.amdhsa_kernel _ZL19rocblas_trsv_deviceILi64ELi16ELb0ELb1ELb1ELb0EdPKdPKS1_PKPdEviT7_lllT6_T8_lllPii
		.amdhsa_group_segment_fixed_size 41480
		.amdhsa_private_segment_fixed_size 0
		.amdhsa_kernarg_size 352
		.amdhsa_user_sgpr_count 6
		.amdhsa_user_sgpr_private_segment_buffer 1
		.amdhsa_user_sgpr_dispatch_ptr 0
		.amdhsa_user_sgpr_queue_ptr 0
		.amdhsa_user_sgpr_kernarg_segment_ptr 1
		.amdhsa_user_sgpr_dispatch_id 0
		.amdhsa_user_sgpr_flat_scratch_init 0
		.amdhsa_user_sgpr_private_segment_size 0
		.amdhsa_uses_dynamic_stack 0
		.amdhsa_system_sgpr_private_segment_wavefront_offset 0
		.amdhsa_system_sgpr_workgroup_id_x 1
		.amdhsa_system_sgpr_workgroup_id_y 0
		.amdhsa_system_sgpr_workgroup_id_z 1
		.amdhsa_system_sgpr_workgroup_info 0
		.amdhsa_system_vgpr_workitem_id 1
		.amdhsa_next_free_vgpr 49
		.amdhsa_next_free_sgpr 98
		.amdhsa_reserve_vcc 1
		.amdhsa_reserve_flat_scratch 0
		.amdhsa_float_round_mode_32 0
		.amdhsa_float_round_mode_16_64 0
		.amdhsa_float_denorm_mode_32 3
		.amdhsa_float_denorm_mode_16_64 3
		.amdhsa_dx10_clamp 1
		.amdhsa_ieee_mode 1
		.amdhsa_fp16_overflow 0
		.amdhsa_exception_fp_ieee_invalid_op 0
		.amdhsa_exception_fp_denorm_src 0
		.amdhsa_exception_fp_ieee_div_zero 0
		.amdhsa_exception_fp_ieee_overflow 0
		.amdhsa_exception_fp_ieee_underflow 0
		.amdhsa_exception_fp_ieee_inexact 0
		.amdhsa_exception_int_div_zero 0
	.end_amdhsa_kernel
	.section	.text._ZL19rocblas_trsv_deviceILi64ELi16ELb0ELb1ELb1ELb0EdPKdPKS1_PKPdEviT7_lllT6_T8_lllPii,"axG",@progbits,_ZL19rocblas_trsv_deviceILi64ELi16ELb0ELb1ELb1ELb0EdPKdPKS1_PKPdEviT7_lllT6_T8_lllPii,comdat
.Lfunc_end126:
	.size	_ZL19rocblas_trsv_deviceILi64ELi16ELb0ELb1ELb1ELb0EdPKdPKS1_PKPdEviT7_lllT6_T8_lllPii, .Lfunc_end126-_ZL19rocblas_trsv_deviceILi64ELi16ELb0ELb1ELb1ELb0EdPKdPKS1_PKPdEviT7_lllT6_T8_lllPii
                                        ; -- End function
	.set _ZL19rocblas_trsv_deviceILi64ELi16ELb0ELb1ELb1ELb0EdPKdPKS1_PKPdEviT7_lllT6_T8_lllPii.num_vgpr, 37
	.set _ZL19rocblas_trsv_deviceILi64ELi16ELb0ELb1ELb1ELb0EdPKdPKS1_PKPdEviT7_lllT6_T8_lllPii.num_agpr, 0
	.set _ZL19rocblas_trsv_deviceILi64ELi16ELb0ELb1ELb1ELb0EdPKdPKS1_PKPdEviT7_lllT6_T8_lllPii.numbered_sgpr, 96
	.set _ZL19rocblas_trsv_deviceILi64ELi16ELb0ELb1ELb1ELb0EdPKdPKS1_PKPdEviT7_lllT6_T8_lllPii.num_named_barrier, 0
	.set _ZL19rocblas_trsv_deviceILi64ELi16ELb0ELb1ELb1ELb0EdPKdPKS1_PKPdEviT7_lllT6_T8_lllPii.private_seg_size, 0
	.set _ZL19rocblas_trsv_deviceILi64ELi16ELb0ELb1ELb1ELb0EdPKdPKS1_PKPdEviT7_lllT6_T8_lllPii.uses_vcc, 1
	.set _ZL19rocblas_trsv_deviceILi64ELi16ELb0ELb1ELb1ELb0EdPKdPKS1_PKPdEviT7_lllT6_T8_lllPii.uses_flat_scratch, 0
	.set _ZL19rocblas_trsv_deviceILi64ELi16ELb0ELb1ELb1ELb0EdPKdPKS1_PKPdEviT7_lllT6_T8_lllPii.has_dyn_sized_stack, 0
	.set _ZL19rocblas_trsv_deviceILi64ELi16ELb0ELb1ELb1ELb0EdPKdPKS1_PKPdEviT7_lllT6_T8_lllPii.has_recursion, 0
	.set _ZL19rocblas_trsv_deviceILi64ELi16ELb0ELb1ELb1ELb0EdPKdPKS1_PKPdEviT7_lllT6_T8_lllPii.has_indirect_call, 0
	.section	.AMDGPU.csdata,"",@progbits
; Kernel info:
; codeLenInByte = 39516
; TotalNumSgprs: 100
; NumVgprs: 37
; ScratchSize: 0
; MemoryBound: 0
; FloatMode: 240
; IeeeMode: 1
; LDSByteSize: 41480 bytes/workgroup (compile time only)
; SGPRBlocks: 12
; VGPRBlocks: 12
; NumSGPRsForWavesPerEU: 102
; NumVGPRsForWavesPerEU: 49
; Occupancy: 4
; WaveLimiterHint : 1
; COMPUTE_PGM_RSRC2:SCRATCH_EN: 0
; COMPUTE_PGM_RSRC2:USER_SGPR: 6
; COMPUTE_PGM_RSRC2:TRAP_HANDLER: 0
; COMPUTE_PGM_RSRC2:TGID_X_EN: 1
; COMPUTE_PGM_RSRC2:TGID_Y_EN: 0
; COMPUTE_PGM_RSRC2:TGID_Z_EN: 1
; COMPUTE_PGM_RSRC2:TIDIG_COMP_CNT: 1
	.section	.text._ZL19rocblas_trsv_deviceILi64ELi16ELb1ELb0ELb0ELb1EdPKdPKS1_PKPdEviT7_lllT6_T8_lllPii,"axG",@progbits,_ZL19rocblas_trsv_deviceILi64ELi16ELb1ELb0ELb0ELb1EdPKdPKS1_PKPdEviT7_lllT6_T8_lllPii,comdat
	.globl	_ZL19rocblas_trsv_deviceILi64ELi16ELb1ELb0ELb0ELb1EdPKdPKS1_PKPdEviT7_lllT6_T8_lllPii ; -- Begin function _ZL19rocblas_trsv_deviceILi64ELi16ELb1ELb0ELb0ELb1EdPKdPKS1_PKPdEviT7_lllT6_T8_lllPii
	.p2align	8
	.type	_ZL19rocblas_trsv_deviceILi64ELi16ELb1ELb0ELb0ELb1EdPKdPKS1_PKPdEviT7_lllT6_T8_lllPii,@function
_ZL19rocblas_trsv_deviceILi64ELi16ELb1ELb0ELb0ELb1EdPKdPKS1_PKPdEviT7_lllT6_T8_lllPii: ; @_ZL19rocblas_trsv_deviceILi64ELi16ELb1ELb0ELb0ELb1EdPKdPKS1_PKPdEviT7_lllT6_T8_lllPii
; %bb.0:
	s_load_dwordx4 s[0:3], s[4:5], 0x8
	s_mov_b32 s24, s7
	s_mov_b32 s25, 0
	s_lshl_b64 s[8:9], s[24:25], 3
	s_waitcnt lgkmcnt(0)
	s_add_u32 s0, s0, s8
	s_addc_u32 s1, s1, s9
	s_load_dwordx2 s[10:11], s[0:1], 0x0
	s_load_dword s33, s[4:5], 0x0
	s_load_dwordx8 s[16:23], s[4:5], 0x28
	s_load_dwordx2 s[26:27], s[4:5], 0x18
	s_lshl_b64 s[0:1], s[2:3], 3
	s_waitcnt lgkmcnt(0)
	s_add_u32 s92, s10, s0
	s_addc_u32 s93, s11, s1
	s_add_u32 s0, s18, s8
	s_addc_u32 s1, s19, s9
	s_load_dwordx2 s[30:31], s[0:1], 0x0
	s_load_dwordx2 s[38:39], s[16:17], 0x0
	s_load_dword s28, s[4:5], 0x6c
	s_cmp_eq_u32 s6, 0
	s_cbranch_scc1 .LBB127_10
; %bb.1:
	s_lshl_b32 s2, s6, 6
	v_add_u32_e32 v2, s2, v1
	v_subrev_u32_e32 v12, 64, v2
	v_ashrrev_i32_e32 v2, 31, v12
	v_mul_lo_u32 v6, s26, v2
	v_mul_lo_u32 v7, s27, v12
	v_mad_u64_u32 v[2:3], s[0:1], s26, v12, 0
	v_add_u32_e32 v4, s2, v0
	v_ashrrev_i32_e32 v5, 31, v4
	v_add3_u32 v3, v3, v6, v7
	v_lshlrev_b64 v[2:3], 3, v[2:3]
	v_mov_b32_e32 v6, s93
	v_add_co_u32_e64 v7, s[0:1], s92, v2
	v_addc_co_u32_e64 v6, s[0:1], v6, v3, s[0:1]
	v_lshlrev_b64 v[2:3], 3, v[4:5]
	v_cmp_gt_i32_e32 vcc, s33, v4
	v_add_co_u32_e64 v10, s[0:1], v7, v2
	v_addc_co_u32_e64 v11, s[0:1], v6, v3, s[0:1]
	v_cmp_gt_i32_e64 s[0:1], s33, v12
	v_mov_b32_e32 v4, 0
	v_mov_b32_e32 v2, 0
	;; [unrolled: 1-line block ×4, first 2 shown]
	s_and_b64 s[2:3], vcc, s[0:1]
	s_waitcnt lgkmcnt(0)
	s_barrier
	s_and_saveexec_b64 s[0:1], s[2:3]
	s_cbranch_execz .LBB127_3
; %bb.2:
	flat_load_dwordx2 v[2:3], v[10:11]
.LBB127_3:
	s_or_b64 exec, exec, s[0:1]
	v_add_u32_e32 v6, 16, v12
	v_cmp_gt_i32_e64 s[0:1], s33, v6
	s_and_b64 s[0:1], vcc, s[0:1]
	s_waitcnt vmcnt(0) lgkmcnt(0)
	s_barrier
	s_and_saveexec_b64 s[2:3], s[0:1]
	s_cbranch_execz .LBB127_5
; %bb.4:
	s_lshl_b64 s[0:1], s[26:27], 7
	v_mov_b32_e32 v5, s1
	v_add_co_u32_e64 v4, s[0:1], s0, v10
	v_addc_co_u32_e64 v5, s[0:1], v11, v5, s[0:1]
	flat_load_dwordx2 v[4:5], v[4:5]
.LBB127_5:
	s_or_b64 exec, exec, s[2:3]
	v_add_u32_e32 v6, 32, v12
	v_cmp_gt_i32_e64 s[0:1], s33, v6
	v_mov_b32_e32 v6, 0
	v_mov_b32_e32 v8, 0
	;; [unrolled: 1-line block ×4, first 2 shown]
	s_and_b64 s[0:1], vcc, s[0:1]
	s_waitcnt vmcnt(0) lgkmcnt(0)
	s_barrier
	s_and_saveexec_b64 s[2:3], s[0:1]
	s_cbranch_execz .LBB127_7
; %bb.6:
	s_lshl_b64 s[0:1], s[26:27], 8
	v_mov_b32_e32 v9, s1
	v_add_co_u32_e64 v8, s[0:1], s0, v10
	v_addc_co_u32_e64 v9, s[0:1], v11, v9, s[0:1]
	flat_load_dwordx2 v[8:9], v[8:9]
.LBB127_7:
	s_or_b64 exec, exec, s[2:3]
	v_add_u32_e32 v12, 48, v12
	v_cmp_gt_i32_e64 s[0:1], s33, v12
	s_and_b64 s[2:3], vcc, s[0:1]
	s_waitcnt vmcnt(0) lgkmcnt(0)
	s_barrier
	s_and_saveexec_b64 s[0:1], s[2:3]
	s_cbranch_execz .LBB127_9
; %bb.8:
	v_mov_b32_e32 v6, 0x180
	v_mad_u64_u32 v[6:7], s[2:3], s26, v6, v[10:11]
	s_mul_i32 s2, s27, 0x180
	v_add_u32_e32 v7, s2, v7
	flat_load_dwordx2 v[6:7], v[6:7]
.LBB127_9:
	s_or_b64 exec, exec, s[0:1]
	s_branch .LBB127_11
.LBB127_10:
                                        ; implicit-def: $vgpr6_vgpr7
                                        ; implicit-def: $vgpr8_vgpr9
                                        ; implicit-def: $vgpr4_vgpr5
                                        ; implicit-def: $vgpr2_vgpr3
.LBB127_11:
	s_ashr_i32 s0, s33, 31
	s_lshr_b32 s0, s0, 26
	s_add_i32 s0, s33, s0
	s_andn2_b32 s0, s0, 63
	s_sub_i32 s7, s33, s0
	s_add_i32 s0, s33, -1
	s_ashr_i32 s1, s0, 31
	s_lshr_b32 s1, s1, 26
	s_add_i32 s0, s0, s1
	s_ashr_i32 s0, s0, 6
	s_cmp_eq_u32 s0, s6
	s_cselect_b64 s[0:1], -1, 0
	s_cmp_lg_u32 s7, 0
	s_cselect_b64 s[2:3], -1, 0
	s_and_b64 s[18:19], s[2:3], s[0:1]
	s_mov_b64 s[2:3], -1
	s_and_b64 vcc, exec, s[18:19]
	v_cmp_le_u32_e64 s[0:1], v0, v1
	v_lshlrev_b32_e32 v18, 3, v0
	s_cbranch_vccnz .LBB127_33
; %bb.12:
	s_add_u32 s2, s26, 1
	s_addc_u32 s3, s27, 0
	s_lshl_b32 s8, s6, 6
	s_ashr_i32 s9, s8, 31
	s_mul_hi_u32 s10, s2, s8
	s_mul_i32 s9, s2, s9
	s_add_i32 s9, s10, s9
	s_mul_i32 s3, s3, s8
	s_add_i32 s3, s9, s3
	s_mul_i32 s2, s2, s8
	s_lshl_b64 s[2:3], s[2:3], 3
	s_add_u32 s2, s92, s2
	s_addc_u32 s3, s93, s3
	v_lshlrev_b32_e32 v14, 3, v0
	v_mov_b32_e32 v11, s3
	v_add_co_u32_e32 v10, vcc, s2, v14
	v_addc_co_u32_e32 v11, vcc, 0, v11, vcc
	s_mov_b64 s[2:3], 0
	s_and_saveexec_b64 s[8:9], s[0:1]
	s_xor_b64 s[0:1], exec, s[8:9]
; %bb.13:
	v_or_b32_e32 v12, v1, v0
	v_cmp_gt_u32_e32 vcc, 64, v12
	s_and_b64 s[2:3], vcc, exec
; %bb.14:
	s_or_saveexec_b64 s[0:1], s[0:1]
	v_mov_b32_e32 v12, 0
	v_mov_b32_e32 v13, 0
	s_xor_b64 exec, exec, s[0:1]
	s_cbranch_execz .LBB127_16
; %bb.15:
	v_mad_u64_u32 v[12:13], s[8:9], s26, v1, 0
	s_or_b64 s[2:3], s[2:3], exec
	v_mad_u64_u32 v[15:16], s[8:9], s27, v1, v[13:14]
	v_mov_b32_e32 v13, v15
	v_lshlrev_b64 v[12:13], 3, v[12:13]
	v_add_co_u32_e32 v12, vcc, v10, v12
	v_addc_co_u32_e32 v13, vcc, v11, v13, vcc
	flat_load_dwordx2 v[12:13], v[12:13]
	s_waitcnt vmcnt(0) lgkmcnt(0)
	v_xor_b32_e32 v13, 0x80000000, v13
.LBB127_16:
	s_or_b64 exec, exec, s[0:1]
	s_and_saveexec_b64 s[0:1], s[2:3]
; %bb.17:
	v_lshl_add_u32 v15, v1, 9, v14
	ds_write_b64 v15, v[12:13]
; %bb.18:
	s_or_b64 exec, exec, s[0:1]
	v_add_u32_e32 v15, 16, v1
	v_cmp_le_u32_e32 vcc, v0, v15
	s_mov_b64 s[0:1], 0
	s_and_saveexec_b64 s[2:3], vcc
	s_xor_b64 s[2:3], exec, s[2:3]
; %bb.19:
	v_or_b32_e32 v12, v15, v0
	v_cmp_gt_u32_e32 vcc, 64, v12
	s_and_b64 s[0:1], vcc, exec
; %bb.20:
	s_or_saveexec_b64 s[2:3], s[2:3]
	v_mov_b32_e32 v12, 0
	v_mov_b32_e32 v13, 0
	s_xor_b64 exec, exec, s[2:3]
	s_cbranch_execz .LBB127_22
; %bb.21:
	v_mad_u64_u32 v[12:13], s[8:9], s26, v15, 0
	s_or_b64 s[0:1], s[0:1], exec
	v_mad_u64_u32 v[16:17], s[8:9], s27, v15, v[13:14]
	v_mov_b32_e32 v13, v16
	v_lshlrev_b64 v[12:13], 3, v[12:13]
	v_add_co_u32_e32 v12, vcc, v10, v12
	v_addc_co_u32_e32 v13, vcc, v11, v13, vcc
	flat_load_dwordx2 v[12:13], v[12:13]
	s_waitcnt vmcnt(0) lgkmcnt(0)
	v_xor_b32_e32 v13, 0x80000000, v13
.LBB127_22:
	s_or_b64 exec, exec, s[2:3]
	s_and_saveexec_b64 s[2:3], s[0:1]
; %bb.23:
	v_lshl_add_u32 v15, v15, 9, v14
	ds_write_b64 v15, v[12:13]
; %bb.24:
	s_or_b64 exec, exec, s[2:3]
	v_add_u32_e32 v15, 32, v1
	v_cmp_le_u32_e32 vcc, v0, v15
	s_mov_b64 s[0:1], 0
	s_and_saveexec_b64 s[2:3], vcc
	s_xor_b64 s[2:3], exec, s[2:3]
; %bb.25:
	v_or_b32_e32 v12, v15, v0
	v_cmp_gt_u32_e32 vcc, 64, v12
	s_and_b64 s[0:1], vcc, exec
; %bb.26:
	s_or_saveexec_b64 s[2:3], s[2:3]
	v_mov_b32_e32 v12, 0
	v_mov_b32_e32 v13, 0
	s_xor_b64 exec, exec, s[2:3]
	s_cbranch_execz .LBB127_28
; %bb.27:
	v_mad_u64_u32 v[12:13], s[8:9], s26, v15, 0
	s_or_b64 s[0:1], s[0:1], exec
	v_mad_u64_u32 v[16:17], s[8:9], s27, v15, v[13:14]
	v_mov_b32_e32 v13, v16
	v_lshlrev_b64 v[12:13], 3, v[12:13]
	v_add_co_u32_e32 v12, vcc, v10, v12
	v_addc_co_u32_e32 v13, vcc, v11, v13, vcc
	flat_load_dwordx2 v[12:13], v[12:13]
	s_waitcnt vmcnt(0) lgkmcnt(0)
	v_xor_b32_e32 v13, 0x80000000, v13
.LBB127_28:
	s_or_b64 exec, exec, s[2:3]
	s_and_saveexec_b64 s[2:3], s[0:1]
; %bb.29:
	v_lshl_add_u32 v14, v15, 9, v14
	ds_write_b64 v14, v[12:13]
; %bb.30:
	s_or_b64 exec, exec, s[2:3]
	v_add_u32_e32 v14, 48, v1
	v_cmp_le_u32_e32 vcc, v0, v14
	s_mov_b64 s[0:1], -1
	s_mov_b64 s[2:3], 0
	s_mov_b64 s[8:9], 0
	s_and_saveexec_b64 s[10:11], vcc
	s_xor_b64 s[10:11], exec, s[10:11]
; %bb.31:
	v_or_b32_e32 v12, v14, v0
	v_cmp_gt_u32_e32 vcc, 64, v12
	s_and_b64 s[8:9], vcc, exec
	s_xor_b64 s[0:1], exec, -1
; %bb.32:
	s_or_b64 exec, exec, s[10:11]
	v_lshl_add_u32 v15, v14, 6, v0
	s_and_b64 vcc, exec, s[2:3]
	s_cbranch_vccnz .LBB127_34
	s_branch .LBB127_55
.LBB127_33:
	s_mov_b64 s[0:1], 0
	s_mov_b64 s[8:9], 0
                                        ; implicit-def: $vgpr15
                                        ; implicit-def: $vgpr10_vgpr11
                                        ; implicit-def: $vgpr14
	s_and_b64 vcc, exec, s[2:3]
	s_cbranch_vccz .LBB127_55
.LBB127_34:
	s_add_u32 s0, s26, 1
	s_addc_u32 s1, s27, 0
	s_lshl_b32 s2, s6, 6
	s_ashr_i32 s3, s2, 31
	s_mul_hi_u32 s10, s0, s2
	s_mul_i32 s3, s0, s3
	s_add_i32 s3, s10, s3
	s_mul_i32 s1, s1, s2
	s_add_i32 s1, s3, s1
	s_mul_i32 s0, s0, s2
	s_lshl_b64 s[0:1], s[0:1], 3
	s_add_u32 s0, s92, s0
	s_addc_u32 s1, s93, s1
	v_lshlrev_b32_e32 v14, 3, v0
	v_mov_b32_e32 v11, s1
	v_add_co_u32_e64 v10, s[0:1], s0, v14
	v_addc_co_u32_e64 v11, s[0:1], 0, v11, s[0:1]
	v_max_i32_e32 v12, v1, v0
	v_cmp_le_u32_e64 s[0:1], v0, v1
	v_cmp_le_i32_e64 s[2:3], s7, v12
	v_cmp_gt_i32_e32 vcc, s7, v0
	s_or_b64 s[0:1], s[2:3], s[0:1]
	s_mov_b64 s[2:3], 0
	s_and_saveexec_b64 s[10:11], s[0:1]
	s_xor_b64 s[10:11], exec, s[10:11]
; %bb.35:
	v_or_b32_e32 v12, v1, v0
	v_cmp_gt_u32_e64 s[0:1], 64, v12
	s_and_b64 s[2:3], s[0:1], exec
; %bb.36:
	s_or_saveexec_b64 s[10:11], s[10:11]
	v_mov_b32_e32 v12, 0
	v_mov_b32_e32 v13, 0
	s_xor_b64 exec, exec, s[10:11]
	s_cbranch_execz .LBB127_38
; %bb.37:
	v_mad_u64_u32 v[12:13], s[0:1], s26, v1, 0
	s_or_b64 s[2:3], s[2:3], exec
	v_mad_u64_u32 v[15:16], s[0:1], s27, v1, v[13:14]
	v_mov_b32_e32 v13, v15
	v_lshlrev_b64 v[12:13], 3, v[12:13]
	v_add_co_u32_e64 v12, s[0:1], v10, v12
	v_addc_co_u32_e64 v13, s[0:1], v11, v13, s[0:1]
	flat_load_dwordx2 v[12:13], v[12:13]
	s_waitcnt vmcnt(0) lgkmcnt(0)
	v_xor_b32_e32 v13, 0x80000000, v13
.LBB127_38:
	s_or_b64 exec, exec, s[10:11]
	s_and_saveexec_b64 s[0:1], s[2:3]
; %bb.39:
	v_lshl_add_u32 v15, v1, 9, v14
	ds_write_b64 v15, v[12:13]
; %bb.40:
	s_or_b64 exec, exec, s[0:1]
	v_add_u32_e32 v15, 16, v1
	v_cmp_gt_u32_e64 s[0:1], v0, v15
	v_cmp_gt_i32_e64 s[2:3], s7, v15
	s_and_b64 s[0:1], s[0:1], s[2:3]
	s_and_b64 s[0:1], s[0:1], vcc
	s_xor_b64 s[0:1], s[0:1], -1
	s_mov_b64 s[2:3], 0
	s_and_saveexec_b64 s[10:11], s[0:1]
	s_xor_b64 s[10:11], exec, s[10:11]
; %bb.41:
	v_or_b32_e32 v12, v15, v0
	v_cmp_gt_u32_e64 s[0:1], 64, v12
	s_and_b64 s[2:3], s[0:1], exec
; %bb.42:
	s_or_saveexec_b64 s[10:11], s[10:11]
	v_mov_b32_e32 v12, 0
	v_mov_b32_e32 v13, 0
	s_xor_b64 exec, exec, s[10:11]
	s_cbranch_execz .LBB127_44
; %bb.43:
	v_mad_u64_u32 v[12:13], s[0:1], s26, v15, 0
	s_or_b64 s[2:3], s[2:3], exec
	v_mad_u64_u32 v[16:17], s[0:1], s27, v15, v[13:14]
	v_mov_b32_e32 v13, v16
	v_lshlrev_b64 v[12:13], 3, v[12:13]
	v_add_co_u32_e64 v12, s[0:1], v10, v12
	v_addc_co_u32_e64 v13, s[0:1], v11, v13, s[0:1]
	flat_load_dwordx2 v[12:13], v[12:13]
	s_waitcnt vmcnt(0) lgkmcnt(0)
	v_xor_b32_e32 v13, 0x80000000, v13
.LBB127_44:
	s_or_b64 exec, exec, s[10:11]
	s_and_saveexec_b64 s[0:1], s[2:3]
; %bb.45:
	v_lshl_add_u32 v15, v15, 9, v14
	ds_write_b64 v15, v[12:13]
; %bb.46:
	s_or_b64 exec, exec, s[0:1]
	v_add_u32_e32 v15, 32, v1
	v_cmp_gt_u32_e64 s[0:1], v0, v15
	v_cmp_gt_i32_e64 s[2:3], s7, v15
	s_and_b64 s[0:1], s[0:1], s[2:3]
	s_and_b64 s[0:1], s[0:1], vcc
	s_xor_b64 s[0:1], s[0:1], -1
	s_mov_b64 s[2:3], 0
	s_and_saveexec_b64 s[10:11], s[0:1]
	s_xor_b64 s[10:11], exec, s[10:11]
; %bb.47:
	v_or_b32_e32 v12, v15, v0
	v_cmp_gt_u32_e64 s[0:1], 64, v12
	s_and_b64 s[2:3], s[0:1], exec
; %bb.48:
	s_or_saveexec_b64 s[10:11], s[10:11]
	v_mov_b32_e32 v12, 0
	v_mov_b32_e32 v13, 0
	s_xor_b64 exec, exec, s[10:11]
	s_cbranch_execz .LBB127_50
; %bb.49:
	v_mad_u64_u32 v[12:13], s[0:1], s26, v15, 0
	s_or_b64 s[2:3], s[2:3], exec
	v_mad_u64_u32 v[16:17], s[0:1], s27, v15, v[13:14]
	v_mov_b32_e32 v13, v16
	v_lshlrev_b64 v[12:13], 3, v[12:13]
	v_add_co_u32_e64 v12, s[0:1], v10, v12
	v_addc_co_u32_e64 v13, s[0:1], v11, v13, s[0:1]
	flat_load_dwordx2 v[12:13], v[12:13]
	s_waitcnt vmcnt(0) lgkmcnt(0)
	v_xor_b32_e32 v13, 0x80000000, v13
.LBB127_50:
	s_or_b64 exec, exec, s[10:11]
	s_and_saveexec_b64 s[0:1], s[2:3]
; %bb.51:
	v_lshl_add_u32 v14, v15, 9, v14
	ds_write_b64 v14, v[12:13]
; %bb.52:
	s_or_b64 exec, exec, s[0:1]
	v_add_u32_e32 v14, 48, v1
	v_cmp_gt_u32_e64 s[0:1], v0, v14
	v_cmp_gt_i32_e64 s[2:3], s7, v14
	s_and_b64 s[0:1], s[0:1], s[2:3]
	s_and_b64 s[2:3], s[0:1], vcc
	s_mov_b64 s[0:1], -1
	s_xor_b64 s[10:11], s[2:3], -1
	s_and_saveexec_b64 s[2:3], s[10:11]
; %bb.53:
	v_or_b32_e32 v12, v14, v0
	v_cmp_gt_u32_e32 vcc, 64, v12
	s_andn2_b64 s[0:1], s[8:9], exec
	s_and_b64 s[8:9], vcc, exec
	s_or_b64 s[8:9], s[0:1], s[8:9]
	s_xor_b64 s[0:1], exec, -1
; %bb.54:
	s_or_b64 exec, exec, s[2:3]
	v_lshl_add_u32 v15, v14, 6, v0
.LBB127_55:
	v_mov_b32_e32 v12, 0
	v_mov_b32_e32 v13, 0
	s_and_saveexec_b64 s[2:3], s[0:1]
	s_cbranch_execnz .LBB127_1077
; %bb.56:
	s_or_b64 exec, exec, s[2:3]
	s_and_saveexec_b64 s[0:1], s[8:9]
.LBB127_57:
	v_lshlrev_b32_e32 v10, 3, v15
	ds_write_b64 v10, v[12:13]
.LBB127_58:
	s_or_b64 exec, exec, s[0:1]
	s_cmp_lt_i32 s6, 5
	s_cselect_b64 s[0:1], -1, 0
	s_or_b64 s[34:35], s[0:1], s[18:19]
	s_and_b64 vcc, exec, s[34:35]
	s_waitcnt vmcnt(0) lgkmcnt(0)
	s_barrier
	s_cbranch_vccnz .LBB127_1034
; %bb.59:
	v_or_b32_e32 v10, v0, v1
	s_mov_b32 s2, 0
	v_cmp_eq_u32_e32 vcc, 0, v10
	s_and_saveexec_b64 s[0:1], vcc
; %bb.60:
	s_mov_b32 s3, 0x3ff00000
	v_mov_b32_e32 v11, s3
	v_mov_b32_e32 v12, 0
	;; [unrolled: 1-line block ×3, first 2 shown]
	ds_write2_b64 v12, v[10:11], v[10:11] offset1:65
; %bb.61:
	s_or_b64 exec, exec, s[0:1]
	v_lshl_add_u32 v14, v1, 6, v0
	v_and_b32_e32 v16, 1, v0
	v_lshrrev_b32_e32 v15, 1, v14
	v_lshlrev_b32_e32 v12, 3, v16
	v_mov_b32_e32 v10, 0
	v_cmp_lt_u32_e64 s[2:3], 3, v14
	v_cmp_gt_u32_e64 s[0:1], 4, v14
	v_mov_b32_e32 v11, 0
	v_lshl_or_b32 v12, v15, 9, v12
	s_waitcnt lgkmcnt(0)
	s_barrier
	s_and_saveexec_b64 s[10:11], s[0:1]
	s_cbranch_execz .LBB127_65
; %bb.62:
	v_mul_u32_u24_e32 v13, 0x208, v15
	ds_read_b64 v[10:11], v12 offset:16
	ds_read_b64 v[19:20], v13
	v_cmp_gt_u32_e64 s[8:9], 2, v14
	s_waitcnt lgkmcnt(0)
	v_fma_f64 v[10:11], v[10:11], v[19:20], 0
	s_and_saveexec_b64 s[12:13], s[8:9]
	s_cbranch_execz .LBB127_64
; %bb.63:
	v_lshlrev_b32_e32 v13, 3, v0
	v_mov_b32_e32 v17, 0
	ds_read_b64 v[19:20], v13 offset:528
	ds_read_b64 v[21:22], v17 offset:8
	s_waitcnt lgkmcnt(0)
	v_fma_f64 v[10:11], v[19:20], v[21:22], v[10:11]
.LBB127_64:
	s_or_b64 exec, exec, s[12:13]
	v_xor_b32_e32 v11, 0x80000000, v11
.LBB127_65:
                                        ; implicit-def: $vgpr41 : SGPR spill to VGPR lane
	v_writelane_b32 v41, s38, 0
	v_writelane_b32 v41, s39, 1
	s_or_b64 exec, exec, s[10:11]
	v_mov_b32_e32 v13, 0x8000
	v_cmp_eq_u32_e64 s[8:9], 0, v16
	s_xor_b64 s[10:11], s[2:3], -1
	v_lshl_add_u32 v13, v15, 3, v13
	s_and_b64 s[38:39], s[8:9], s[10:11]
	s_and_saveexec_b64 s[2:3], s[38:39]
; %bb.66:
	ds_write_b64 v13, v[10:11]
; %bb.67:
	s_or_b64 exec, exec, s[2:3]
	v_cmp_ne_u32_e64 s[2:3], 0, v16
	s_and_b64 s[36:37], s[2:3], s[10:11]
	s_waitcnt lgkmcnt(0)
	s_barrier
	s_and_saveexec_b64 s[2:3], s[36:37]
	s_cbranch_execz .LBB127_69
; %bb.68:
	v_mov_b32_e32 v16, 0
	ds_read_b64 v[16:17], v16 offset:1048
	ds_read_b64 v[19:20], v13
	s_waitcnt lgkmcnt(0)
	v_fma_f64 v[10:11], v[16:17], v[19:20], v[10:11]
.LBB127_69:
	s_or_b64 exec, exec, s[2:3]
	s_barrier
	s_and_saveexec_b64 s[2:3], s[36:37]
; %bb.70:
	ds_write_b64 v13, v[10:11]
; %bb.71:
	s_or_b64 exec, exec, s[2:3]
	s_waitcnt lgkmcnt(0)
	s_barrier
	s_barrier
	s_and_saveexec_b64 s[2:3], s[0:1]
; %bb.72:
	v_xor_b32_e32 v11, 0x80000000, v11
	ds_write_b64 v12, v[10:11] offset:16
; %bb.73:
	s_or_b64 exec, exec, s[2:3]
	s_waitcnt lgkmcnt(0)
	s_barrier
	s_barrier
	s_and_saveexec_b64 s[2:3], vcc
; %bb.74:
	s_mov_b64 s[8:9], 1.0
	v_mov_b32_e32 v11, s9
	v_mov_b32_e32 v16, 0
	;; [unrolled: 1-line block ×3, first 2 shown]
	ds_write2_b64 v16, v[10:11], v[10:11] offset0:130 offset1:195
; %bb.75:
	s_or_b64 exec, exec, s[2:3]
	v_and_b32_e32 v20, 3, v0
	v_lshrrev_b32_e32 v21, 2, v14
	v_lshlrev_b32_e32 v17, 3, v20
	v_mov_b32_e32 v10, 0
	v_cmp_lt_u32_e64 s[8:9], 15, v14
	v_cmp_gt_u32_e64 s[2:3], 16, v14
	v_mov_b32_e32 v11, 0
	v_lshl_or_b32 v16, v21, 9, v17
	s_waitcnt lgkmcnt(0)
	s_barrier
	s_and_saveexec_b64 s[12:13], s[2:3]
	s_cbranch_execz .LBB127_81
; %bb.76:
	v_mul_u32_u24_e32 v19, 0x208, v21
	ds_read_b64 v[10:11], v16 offset:32
	ds_read_b64 v[22:23], v19
	v_cmp_gt_u32_e64 s[10:11], 12, v14
	s_waitcnt lgkmcnt(0)
	v_fma_f64 v[10:11], v[10:11], v[22:23], 0
	s_and_saveexec_b64 s[14:15], s[10:11]
	s_cbranch_execnz .LBB127_1110
; %bb.77:
	s_or_b64 exec, exec, s[14:15]
	v_cmp_gt_u32_e64 s[10:11], 8, v14
	s_and_saveexec_b64 s[14:15], s[10:11]
	s_cbranch_execnz .LBB127_1111
.LBB127_78:
	s_or_b64 exec, exec, s[14:15]
	v_cmp_gt_u32_e64 s[10:11], 4, v14
	s_and_saveexec_b64 s[14:15], s[10:11]
	s_cbranch_execz .LBB127_80
.LBB127_79:
	v_lshlrev_b32_e32 v19, 3, v0
	v_mov_b32_e32 v24, 0
	ds_read_b64 v[22:23], v19 offset:1568
	ds_read_b64 v[24:25], v24 offset:24
	s_waitcnt lgkmcnt(0)
	v_fma_f64 v[10:11], v[22:23], v[24:25], v[10:11]
.LBB127_80:
	s_or_b64 exec, exec, s[14:15]
	v_xor_b32_e32 v11, 0x80000000, v11
.LBB127_81:
	s_or_b64 exec, exec, s[12:13]
	v_mov_b32_e32 v19, 0x8000
	v_cmp_eq_u32_e64 s[10:11], 0, v20
	s_xor_b64 s[12:13], s[8:9], -1
	v_lshl_add_u32 v19, v21, 3, v19
	s_and_b64 s[42:43], s[10:11], s[12:13]
	s_and_saveexec_b64 s[8:9], s[42:43]
; %bb.82:
	ds_write_b64 v19, v[10:11]
; %bb.83:
	s_or_b64 exec, exec, s[8:9]
	v_cmp_ne_u32_e64 s[8:9], 0, v20
	s_and_b64 s[44:45], s[8:9], s[12:13]
	s_waitcnt lgkmcnt(0)
	s_barrier
	s_and_saveexec_b64 s[8:9], s[44:45]
	s_cbranch_execz .LBB127_85
; %bb.84:
	ds_read_b64 v[22:23], v17 offset:2080
	ds_read_b64 v[24:25], v19
	s_waitcnt lgkmcnt(0)
	v_fma_f64 v[10:11], v[22:23], v[24:25], v[10:11]
.LBB127_85:
	s_or_b64 exec, exec, s[8:9]
	v_cmp_eq_u32_e64 s[8:9], 1, v20
	s_and_b64 s[46:47], s[8:9], s[12:13]
	s_barrier
	s_and_saveexec_b64 s[8:9], s[46:47]
; %bb.86:
	ds_write_b64 v19, v[10:11]
; %bb.87:
	s_or_b64 exec, exec, s[8:9]
	v_cmp_lt_u32_e64 s[8:9], 1, v20
	s_and_b64 s[48:49], s[8:9], s[12:13]
	s_waitcnt lgkmcnt(0)
	s_barrier
	s_and_saveexec_b64 s[8:9], s[48:49]
	s_cbranch_execz .LBB127_89
; %bb.88:
	ds_read_b64 v[22:23], v17 offset:2592
	ds_read_b64 v[24:25], v19
	s_waitcnt lgkmcnt(0)
	v_fma_f64 v[10:11], v[22:23], v[24:25], v[10:11]
.LBB127_89:
	s_or_b64 exec, exec, s[8:9]
	v_cmp_eq_u32_e64 s[8:9], 2, v20
	s_and_b64 s[50:51], s[8:9], s[12:13]
	s_barrier
	s_and_saveexec_b64 s[8:9], s[50:51]
; %bb.90:
	ds_write_b64 v19, v[10:11]
; %bb.91:
	s_or_b64 exec, exec, s[8:9]
	v_cmp_eq_u32_e64 s[8:9], 3, v20
	s_and_b64 s[40:41], s[8:9], s[12:13]
	s_waitcnt lgkmcnt(0)
	s_barrier
	s_and_saveexec_b64 s[8:9], s[40:41]
	s_cbranch_execz .LBB127_93
; %bb.92:
	v_mov_b32_e32 v22, 0
	ds_read_b64 v[22:23], v22 offset:3128
	ds_read_b64 v[24:25], v19
	s_waitcnt lgkmcnt(0)
	v_fma_f64 v[10:11], v[22:23], v[24:25], v[10:11]
.LBB127_93:
	s_or_b64 exec, exec, s[8:9]
	s_barrier
	s_and_saveexec_b64 s[8:9], s[40:41]
; %bb.94:
	ds_write_b64 v19, v[10:11]
; %bb.95:
	s_or_b64 exec, exec, s[8:9]
	s_waitcnt lgkmcnt(0)
	s_barrier
	s_barrier
	s_and_saveexec_b64 s[8:9], s[2:3]
; %bb.96:
	v_xor_b32_e32 v11, 0x80000000, v11
	ds_write_b64 v16, v[10:11] offset:32
; %bb.97:
	s_or_b64 exec, exec, s[8:9]
	s_waitcnt lgkmcnt(0)
	s_barrier
	s_barrier
	s_and_saveexec_b64 s[8:9], vcc
	s_cbranch_execz .LBB127_99
; %bb.98:
	s_mov_b64 s[10:11], 1.0
	v_mov_b32_e32 v10, s10
	v_mov_b32_e32 v11, s11
	s_movk_i32 s10, 0x800
	v_add_u32_e64 v22, s10, 0
	ds_write2_b64 v22, v[10:11], v[10:11] offset0:4 offset1:69
.LBB127_99:
	s_or_b64 exec, exec, s[8:9]
	v_mov_b32_e32 v10, 0
	v_mov_b32_e32 v11, 0
	s_waitcnt lgkmcnt(0)
	s_barrier
	s_and_saveexec_b64 s[10:11], s[0:1]
	s_cbranch_execz .LBB127_103
; %bb.100:
	v_mul_u32_u24_e32 v22, 0x208, v15
	ds_read_b64 v[10:11], v12 offset:2096
	ds_read_b64 v[22:23], v22 offset:2080
	v_cmp_gt_u32_e64 s[8:9], 2, v14
	s_waitcnt lgkmcnt(0)
	v_fma_f64 v[10:11], v[10:11], v[22:23], 0
	s_and_saveexec_b64 s[12:13], s[8:9]
	s_cbranch_execz .LBB127_102
; %bb.101:
	v_lshlrev_b32_e32 v22, 3, v0
	v_mov_b32_e32 v24, 0
	ds_read_b64 v[22:23], v22 offset:2608
	ds_read_b64 v[24:25], v24 offset:2088
	s_waitcnt lgkmcnt(0)
	v_fma_f64 v[10:11], v[22:23], v[24:25], v[10:11]
.LBB127_102:
	s_or_b64 exec, exec, s[12:13]
	v_xor_b32_e32 v11, 0x80000000, v11
.LBB127_103:
	s_or_b64 exec, exec, s[10:11]
	s_and_saveexec_b64 s[8:9], s[38:39]
; %bb.104:
	ds_write_b64 v13, v[10:11]
; %bb.105:
	s_or_b64 exec, exec, s[8:9]
	s_waitcnt lgkmcnt(0)
	s_barrier
	s_and_saveexec_b64 s[8:9], s[36:37]
	s_cbranch_execz .LBB127_107
; %bb.106:
	v_mov_b32_e32 v22, 0
	ds_read_b64 v[22:23], v22 offset:3128
	ds_read_b64 v[24:25], v13
	s_waitcnt lgkmcnt(0)
	v_fma_f64 v[10:11], v[22:23], v[24:25], v[10:11]
.LBB127_107:
	s_or_b64 exec, exec, s[8:9]
	s_barrier
	s_and_saveexec_b64 s[8:9], s[36:37]
; %bb.108:
	ds_write_b64 v13, v[10:11]
; %bb.109:
	s_or_b64 exec, exec, s[8:9]
	s_waitcnt lgkmcnt(0)
	s_barrier
	s_barrier
	s_and_saveexec_b64 s[8:9], s[0:1]
; %bb.110:
	v_xor_b32_e32 v11, 0x80000000, v11
	ds_write_b64 v12, v[10:11] offset:2096
; %bb.111:
	s_or_b64 exec, exec, s[8:9]
	s_waitcnt lgkmcnt(0)
	s_barrier
	s_barrier
	s_and_saveexec_b64 s[8:9], vcc
	s_cbranch_execz .LBB127_113
; %bb.112:
	s_mov_b64 s[10:11], 1.0
	v_mov_b32_e32 v10, s10
	v_mov_b32_e32 v11, s11
	s_movk_i32 s10, 0x800
	v_add_u32_e64 v22, s10, 0
	ds_write2_b64 v22, v[10:11], v[10:11] offset0:134 offset1:199
.LBB127_113:
	s_or_b64 exec, exec, s[8:9]
	v_and_b32_e32 v25, 7, v0
	v_lshrrev_b32_e32 v26, 3, v14
	v_lshlrev_b32_e32 v23, 3, v25
	v_mov_b32_e32 v10, 0
	v_cmp_lt_u32_e64 s[8:9], 63, v14
	v_cmp_gt_u32_e64 s[14:15], 64, v14
	v_mov_b32_e32 v11, 0
	v_lshl_or_b32 v22, v26, 9, v23
	s_waitcnt lgkmcnt(0)
	s_barrier
	s_and_saveexec_b64 s[12:13], s[14:15]
	s_cbranch_execz .LBB127_123
; %bb.114:
	v_mul_u32_u24_e32 v24, 0x208, v26
	ds_read_b64 v[10:11], v22 offset:64
	ds_read_b64 v[27:28], v24
	v_cmp_gt_u32_e64 s[10:11], 56, v14
	s_waitcnt lgkmcnt(0)
	v_fma_f64 v[10:11], v[10:11], v[27:28], 0
	s_and_saveexec_b64 s[16:17], s[10:11]
	s_cbranch_execnz .LBB127_1112
; %bb.115:
	s_or_b64 exec, exec, s[16:17]
	v_cmp_gt_u32_e64 s[10:11], 48, v14
	s_and_saveexec_b64 s[16:17], s[10:11]
	s_cbranch_execnz .LBB127_1113
.LBB127_116:
	s_or_b64 exec, exec, s[16:17]
	v_cmp_gt_u32_e64 s[10:11], 40, v14
	s_and_saveexec_b64 s[16:17], s[10:11]
	s_cbranch_execnz .LBB127_1114
.LBB127_117:
	s_or_b64 exec, exec, s[16:17]
	v_cmp_gt_u32_e64 s[10:11], 32, v14
	s_and_saveexec_b64 s[16:17], s[10:11]
	s_cbranch_execnz .LBB127_1115
.LBB127_118:
	s_or_b64 exec, exec, s[16:17]
	v_cmp_gt_u32_e64 s[10:11], 24, v14
	s_and_saveexec_b64 s[16:17], s[10:11]
	s_cbranch_execnz .LBB127_1116
.LBB127_119:
	s_or_b64 exec, exec, s[16:17]
	v_cmp_gt_u32_e64 s[10:11], 16, v14
	s_and_saveexec_b64 s[16:17], s[10:11]
	s_cbranch_execnz .LBB127_1117
.LBB127_120:
	s_or_b64 exec, exec, s[16:17]
	v_cmp_gt_u32_e64 s[10:11], 8, v14
	s_and_saveexec_b64 s[16:17], s[10:11]
	s_cbranch_execz .LBB127_122
.LBB127_121:
	v_lshlrev_b32_e32 v24, 3, v0
	v_mov_b32_e32 v29, 0
	ds_read_b64 v[27:28], v24 offset:3648
	ds_read_b64 v[29:30], v29 offset:56
	s_waitcnt lgkmcnt(0)
	v_fma_f64 v[10:11], v[27:28], v[29:30], v[10:11]
.LBB127_122:
	s_or_b64 exec, exec, s[16:17]
	v_xor_b32_e32 v11, 0x80000000, v11
.LBB127_123:
	s_or_b64 exec, exec, s[12:13]
	v_mov_b32_e32 v24, 0x8000
	v_cmp_eq_u32_e64 s[10:11], 0, v25
	s_xor_b64 s[12:13], s[8:9], -1
	v_lshl_add_u32 v24, v26, 3, v24
	s_and_b64 s[52:53], s[10:11], s[12:13]
	s_and_saveexec_b64 s[8:9], s[52:53]
; %bb.124:
	ds_write_b64 v24, v[10:11]
; %bb.125:
	s_or_b64 exec, exec, s[8:9]
	v_cmp_ne_u32_e64 s[8:9], 0, v25
	s_and_b64 s[54:55], s[8:9], s[12:13]
	s_waitcnt lgkmcnt(0)
	s_barrier
	s_and_saveexec_b64 s[8:9], s[54:55]
	s_cbranch_execz .LBB127_127
; %bb.126:
	ds_read_b64 v[27:28], v23 offset:4160
	ds_read_b64 v[29:30], v24
	s_waitcnt lgkmcnt(0)
	v_fma_f64 v[10:11], v[27:28], v[29:30], v[10:11]
.LBB127_127:
	s_or_b64 exec, exec, s[8:9]
	v_cmp_eq_u32_e64 s[8:9], 1, v25
	s_and_b64 s[56:57], s[8:9], s[12:13]
	s_barrier
	s_and_saveexec_b64 s[8:9], s[56:57]
; %bb.128:
	ds_write_b64 v24, v[10:11]
; %bb.129:
	s_or_b64 exec, exec, s[8:9]
	v_cmp_lt_u32_e64 s[8:9], 1, v25
	s_and_b64 s[58:59], s[8:9], s[12:13]
	s_waitcnt lgkmcnt(0)
	s_barrier
	s_and_saveexec_b64 s[8:9], s[58:59]
	s_cbranch_execz .LBB127_131
; %bb.130:
	ds_read_b64 v[27:28], v23 offset:4672
	ds_read_b64 v[29:30], v24
	s_waitcnt lgkmcnt(0)
	v_fma_f64 v[10:11], v[27:28], v[29:30], v[10:11]
.LBB127_131:
	s_or_b64 exec, exec, s[8:9]
	v_cmp_eq_u32_e64 s[8:9], 2, v25
	s_and_b64 s[60:61], s[8:9], s[12:13]
	s_barrier
	s_and_saveexec_b64 s[8:9], s[60:61]
; %bb.132:
	ds_write_b64 v24, v[10:11]
; %bb.133:
	s_or_b64 exec, exec, s[8:9]
	v_cmp_lt_u32_e64 s[8:9], 2, v25
	;; [unrolled: 21-line block ×5, first 2 shown]
	s_and_b64 s[76:77], s[8:9], s[12:13]
	s_waitcnt lgkmcnt(0)
	s_barrier
	s_and_saveexec_b64 s[8:9], s[76:77]
	s_cbranch_execz .LBB127_147
; %bb.146:
	ds_read_b64 v[27:28], v23 offset:6720
	ds_read_b64 v[29:30], v24
	s_waitcnt lgkmcnt(0)
	v_fma_f64 v[10:11], v[27:28], v[29:30], v[10:11]
.LBB127_147:
	s_or_b64 exec, exec, s[8:9]
	v_cmp_eq_u32_e64 s[8:9], 6, v25
	s_and_b64 s[78:79], s[8:9], s[12:13]
	s_barrier
	s_and_saveexec_b64 s[8:9], s[78:79]
; %bb.148:
	ds_write_b64 v24, v[10:11]
; %bb.149:
	s_or_b64 exec, exec, s[8:9]
	v_cmp_eq_u32_e64 s[8:9], 7, v25
	s_and_b64 s[62:63], s[8:9], s[12:13]
	s_waitcnt lgkmcnt(0)
	s_barrier
	s_and_saveexec_b64 s[8:9], s[62:63]
	s_cbranch_execz .LBB127_151
; %bb.150:
	v_mov_b32_e32 v27, 0
	ds_read_b64 v[27:28], v27 offset:7288
	ds_read_b64 v[29:30], v24
	s_waitcnt lgkmcnt(0)
	v_fma_f64 v[10:11], v[27:28], v[29:30], v[10:11]
.LBB127_151:
	s_or_b64 exec, exec, s[8:9]
	s_barrier
	s_and_saveexec_b64 s[8:9], s[62:63]
; %bb.152:
	ds_write_b64 v24, v[10:11]
; %bb.153:
	s_or_b64 exec, exec, s[8:9]
	s_waitcnt lgkmcnt(0)
	s_barrier
	s_barrier
	s_and_saveexec_b64 s[8:9], s[14:15]
; %bb.154:
	v_xor_b32_e32 v11, 0x80000000, v11
	ds_write_b64 v22, v[10:11] offset:64
; %bb.155:
	s_or_b64 exec, exec, s[8:9]
	s_waitcnt lgkmcnt(0)
	s_barrier
	s_barrier
	s_and_saveexec_b64 s[8:9], vcc
	s_cbranch_execz .LBB127_157
; %bb.156:
	s_mov_b64 s[10:11], 1.0
	v_mov_b32_e32 v10, s10
	v_mov_b32_e32 v11, s11
	s_movk_i32 s10, 0x1000
	v_add_u32_e64 v27, s10, 0
	ds_write2_b64 v27, v[10:11], v[10:11] offset0:8 offset1:73
.LBB127_157:
	s_or_b64 exec, exec, s[8:9]
	v_mov_b32_e32 v10, 0
	v_mov_b32_e32 v11, 0
	s_waitcnt lgkmcnt(0)
	s_barrier
	s_and_saveexec_b64 s[10:11], s[0:1]
	s_cbranch_execz .LBB127_161
; %bb.158:
	v_mul_u32_u24_e32 v27, 0x208, v15
	ds_read_b64 v[10:11], v12 offset:4176
	ds_read_b64 v[27:28], v27 offset:4160
	v_cmp_gt_u32_e64 s[8:9], 2, v14
	s_waitcnt lgkmcnt(0)
	v_fma_f64 v[10:11], v[10:11], v[27:28], 0
	s_and_saveexec_b64 s[12:13], s[8:9]
	s_cbranch_execz .LBB127_160
; %bb.159:
	v_lshlrev_b32_e32 v27, 3, v0
	v_mov_b32_e32 v29, 0
	ds_read_b64 v[27:28], v27 offset:4688
	ds_read_b64 v[29:30], v29 offset:4168
	s_waitcnt lgkmcnt(0)
	v_fma_f64 v[10:11], v[27:28], v[29:30], v[10:11]
.LBB127_160:
	s_or_b64 exec, exec, s[12:13]
	v_xor_b32_e32 v11, 0x80000000, v11
.LBB127_161:
	s_or_b64 exec, exec, s[10:11]
	s_and_saveexec_b64 s[8:9], s[38:39]
; %bb.162:
	ds_write_b64 v13, v[10:11]
; %bb.163:
	s_or_b64 exec, exec, s[8:9]
	s_waitcnt lgkmcnt(0)
	s_barrier
	s_and_saveexec_b64 s[8:9], s[36:37]
	s_cbranch_execz .LBB127_165
; %bb.164:
	v_mov_b32_e32 v27, 0
	ds_read_b64 v[27:28], v27 offset:5208
	ds_read_b64 v[29:30], v13
	s_waitcnt lgkmcnt(0)
	v_fma_f64 v[10:11], v[27:28], v[29:30], v[10:11]
.LBB127_165:
	s_or_b64 exec, exec, s[8:9]
	s_barrier
	s_and_saveexec_b64 s[8:9], s[36:37]
; %bb.166:
	ds_write_b64 v13, v[10:11]
; %bb.167:
	s_or_b64 exec, exec, s[8:9]
	s_waitcnt lgkmcnt(0)
	s_barrier
	s_barrier
	s_and_saveexec_b64 s[8:9], s[0:1]
; %bb.168:
	v_xor_b32_e32 v11, 0x80000000, v11
	ds_write_b64 v12, v[10:11] offset:4176
; %bb.169:
	s_or_b64 exec, exec, s[8:9]
	s_waitcnt lgkmcnt(0)
	s_barrier
	s_barrier
	s_and_saveexec_b64 s[8:9], vcc
	s_cbranch_execz .LBB127_171
; %bb.170:
	s_mov_b64 s[10:11], 1.0
	v_mov_b32_e32 v10, s10
	v_mov_b32_e32 v11, s11
	s_movk_i32 s10, 0x1000
	v_add_u32_e64 v27, s10, 0
	ds_write2_b64 v27, v[10:11], v[10:11] offset0:138 offset1:203
.LBB127_171:
	s_or_b64 exec, exec, s[8:9]
	v_mov_b32_e32 v10, 0
	v_mov_b32_e32 v11, 0
	s_waitcnt lgkmcnt(0)
	s_barrier
	s_and_saveexec_b64 s[10:11], s[2:3]
	s_cbranch_execz .LBB127_177
; %bb.172:
	v_mul_u32_u24_e32 v27, 0x208, v21
	ds_read_b64 v[10:11], v16 offset:4192
	ds_read_b64 v[28:29], v27 offset:4160
	v_cmp_gt_u32_e64 s[8:9], 12, v14
	s_waitcnt lgkmcnt(0)
	v_fma_f64 v[10:11], v[10:11], v[28:29], 0
	s_and_saveexec_b64 s[12:13], s[8:9]
	s_cbranch_execnz .LBB127_1118
; %bb.173:
	s_or_b64 exec, exec, s[12:13]
	v_cmp_gt_u32_e64 s[8:9], 8, v14
	s_and_saveexec_b64 s[12:13], s[8:9]
	s_cbranch_execnz .LBB127_1119
.LBB127_174:
	s_or_b64 exec, exec, s[12:13]
	v_cmp_gt_u32_e64 s[8:9], 4, v14
	s_and_saveexec_b64 s[12:13], s[8:9]
	s_cbranch_execz .LBB127_176
.LBB127_175:
	v_lshlrev_b32_e32 v27, 3, v0
	v_mov_b32_e32 v29, 0
	ds_read_b64 v[27:28], v27 offset:5728
	ds_read_b64 v[29:30], v29 offset:4184
	s_waitcnt lgkmcnt(0)
	v_fma_f64 v[10:11], v[27:28], v[29:30], v[10:11]
.LBB127_176:
	s_or_b64 exec, exec, s[12:13]
	v_xor_b32_e32 v11, 0x80000000, v11
.LBB127_177:
	s_or_b64 exec, exec, s[10:11]
	s_and_saveexec_b64 s[8:9], s[42:43]
; %bb.178:
	ds_write_b64 v19, v[10:11]
; %bb.179:
	s_or_b64 exec, exec, s[8:9]
	s_waitcnt lgkmcnt(0)
	s_barrier
	s_and_saveexec_b64 s[8:9], s[44:45]
	s_cbranch_execz .LBB127_181
; %bb.180:
	ds_read_b64 v[27:28], v17 offset:6240
	ds_read_b64 v[29:30], v19
	s_waitcnt lgkmcnt(0)
	v_fma_f64 v[10:11], v[27:28], v[29:30], v[10:11]
.LBB127_181:
	s_or_b64 exec, exec, s[8:9]
	s_barrier
	s_and_saveexec_b64 s[8:9], s[46:47]
; %bb.182:
	ds_write_b64 v19, v[10:11]
; %bb.183:
	s_or_b64 exec, exec, s[8:9]
	s_waitcnt lgkmcnt(0)
	s_barrier
	s_and_saveexec_b64 s[8:9], s[48:49]
	s_cbranch_execz .LBB127_185
; %bb.184:
	ds_read_b64 v[27:28], v17 offset:6752
	ds_read_b64 v[29:30], v19
	s_waitcnt lgkmcnt(0)
	v_fma_f64 v[10:11], v[27:28], v[29:30], v[10:11]
.LBB127_185:
	s_or_b64 exec, exec, s[8:9]
	s_barrier
	s_and_saveexec_b64 s[8:9], s[50:51]
; %bb.186:
	ds_write_b64 v19, v[10:11]
; %bb.187:
	s_or_b64 exec, exec, s[8:9]
	s_waitcnt lgkmcnt(0)
	s_barrier
	s_and_saveexec_b64 s[8:9], s[40:41]
	s_cbranch_execz .LBB127_189
; %bb.188:
	v_mov_b32_e32 v27, 0
	ds_read_b64 v[27:28], v27 offset:7288
	ds_read_b64 v[29:30], v19
	s_waitcnt lgkmcnt(0)
	v_fma_f64 v[10:11], v[27:28], v[29:30], v[10:11]
.LBB127_189:
	s_or_b64 exec, exec, s[8:9]
	s_barrier
	s_and_saveexec_b64 s[8:9], s[40:41]
; %bb.190:
	ds_write_b64 v19, v[10:11]
; %bb.191:
	s_or_b64 exec, exec, s[8:9]
	s_waitcnt lgkmcnt(0)
	s_barrier
	s_barrier
	s_and_saveexec_b64 s[8:9], s[2:3]
; %bb.192:
	v_xor_b32_e32 v11, 0x80000000, v11
	ds_write_b64 v16, v[10:11] offset:4192
; %bb.193:
	s_or_b64 exec, exec, s[8:9]
	s_waitcnt lgkmcnt(0)
	s_barrier
	s_barrier
	s_and_saveexec_b64 s[8:9], vcc
	s_cbranch_execz .LBB127_195
; %bb.194:
	s_mov_b64 s[10:11], 1.0
	v_mov_b32_e32 v10, s10
	v_mov_b32_e32 v11, s11
	s_movk_i32 s10, 0x1800
	v_add_u32_e64 v27, s10, 0
	ds_write2_b64 v27, v[10:11], v[10:11] offset0:12 offset1:77
.LBB127_195:
	s_or_b64 exec, exec, s[8:9]
	v_mov_b32_e32 v10, 0
	v_mov_b32_e32 v11, 0
	s_waitcnt lgkmcnt(0)
	s_barrier
	s_and_saveexec_b64 s[10:11], s[0:1]
	s_cbranch_execz .LBB127_199
; %bb.196:
	v_mul_u32_u24_e32 v27, 0x208, v15
	ds_read_b64 v[10:11], v12 offset:6256
	ds_read_b64 v[27:28], v27 offset:6240
	v_cmp_gt_u32_e64 s[8:9], 2, v14
	s_waitcnt lgkmcnt(0)
	v_fma_f64 v[10:11], v[10:11], v[27:28], 0
	s_and_saveexec_b64 s[12:13], s[8:9]
	s_cbranch_execz .LBB127_198
; %bb.197:
	v_lshlrev_b32_e32 v27, 3, v0
	v_mov_b32_e32 v29, 0
	ds_read_b64 v[27:28], v27 offset:6768
	ds_read_b64 v[29:30], v29 offset:6248
	s_waitcnt lgkmcnt(0)
	v_fma_f64 v[10:11], v[27:28], v[29:30], v[10:11]
.LBB127_198:
	s_or_b64 exec, exec, s[12:13]
	v_xor_b32_e32 v11, 0x80000000, v11
.LBB127_199:
	s_or_b64 exec, exec, s[10:11]
	s_and_saveexec_b64 s[8:9], s[38:39]
; %bb.200:
	ds_write_b64 v13, v[10:11]
; %bb.201:
	s_or_b64 exec, exec, s[8:9]
	s_waitcnt lgkmcnt(0)
	s_barrier
	s_and_saveexec_b64 s[8:9], s[36:37]
	s_cbranch_execz .LBB127_203
; %bb.202:
	v_mov_b32_e32 v27, 0
	ds_read_b64 v[27:28], v27 offset:7288
	ds_read_b64 v[29:30], v13
	s_waitcnt lgkmcnt(0)
	v_fma_f64 v[10:11], v[27:28], v[29:30], v[10:11]
.LBB127_203:
	s_or_b64 exec, exec, s[8:9]
	s_barrier
	s_and_saveexec_b64 s[8:9], s[36:37]
; %bb.204:
	ds_write_b64 v13, v[10:11]
; %bb.205:
	s_or_b64 exec, exec, s[8:9]
	s_waitcnt lgkmcnt(0)
	s_barrier
	s_barrier
	s_and_saveexec_b64 s[8:9], s[0:1]
; %bb.206:
	v_xor_b32_e32 v11, 0x80000000, v11
	ds_write_b64 v12, v[10:11] offset:6256
; %bb.207:
	s_or_b64 exec, exec, s[8:9]
	s_waitcnt lgkmcnt(0)
	s_barrier
	s_barrier
	s_and_saveexec_b64 s[8:9], vcc
	s_cbranch_execz .LBB127_209
; %bb.208:
	s_mov_b64 s[10:11], 1.0
	v_mov_b32_e32 v10, s10
	v_mov_b32_e32 v11, s11
	s_movk_i32 s10, 0x1800
	v_add_u32_e64 v27, s10, 0
	ds_write2_b64 v27, v[10:11], v[10:11] offset0:142 offset1:207
.LBB127_209:
	s_or_b64 exec, exec, s[8:9]
	v_lshrrev_b32_e32 v31, 4, v14
	v_and_b32_e32 v28, 15, v0
	s_movk_i32 s8, 0xff
	v_lshlrev_b32_e32 v30, 6, v31
	v_cmp_lt_u32_e64 s[10:11], s8, v14
	s_movk_i32 s8, 0x100
	v_or_b32_e32 v27, v30, v28
	v_mov_b32_e32 v10, 0
	v_cmp_gt_u32_e64 s[8:9], s8, v14
	v_mov_b32_e32 v11, 0
	v_lshlrev_b32_e32 v27, 3, v27
	s_waitcnt lgkmcnt(0)
	s_barrier
	s_and_saveexec_b64 s[16:17], s[8:9]
	s_cbranch_execz .LBB127_237
; %bb.210:
	v_mul_u32_u24_e32 v29, 0x208, v31
	ds_read_b64 v[10:11], v27 offset:128
	ds_read_b64 v[32:33], v29
	s_movk_i32 s12, 0xf0
	v_cmp_gt_u32_e64 s[12:13], s12, v14
	s_waitcnt lgkmcnt(0)
	v_fma_f64 v[10:11], v[10:11], v[32:33], 0
	s_and_saveexec_b64 s[28:29], s[12:13]
	s_cbranch_execz .LBB127_212
; %bb.211:
	v_lshlrev_b32_e32 v32, 3, v31
	v_sub_u32_e32 v32, v29, v32
	v_lshl_add_u32 v32, v28, 3, v32
	ds_read_b64 v[32:33], v32 offset:640
	ds_read_b64 v[34:35], v29 offset:8
	s_waitcnt lgkmcnt(0)
	v_fma_f64 v[10:11], v[32:33], v[34:35], v[10:11]
.LBB127_212:
	s_or_b64 exec, exec, s[28:29]
	s_movk_i32 s12, 0xe0
	v_cmp_gt_u32_e64 s[12:13], s12, v14
	s_and_saveexec_b64 s[28:29], s[12:13]
	s_cbranch_execz .LBB127_214
; %bb.213:
	v_lshlrev_b32_e32 v32, 3, v31
	v_sub_u32_e32 v32, v29, v32
	v_lshl_add_u32 v32, v28, 3, v32
	ds_read_b64 v[32:33], v32 offset:1152
	ds_read_b64 v[34:35], v29 offset:16
	s_waitcnt lgkmcnt(0)
	v_fma_f64 v[10:11], v[32:33], v[34:35], v[10:11]
.LBB127_214:
	s_or_b64 exec, exec, s[28:29]
	s_movk_i32 s12, 0xd0
	v_cmp_gt_u32_e64 s[12:13], s12, v14
	s_and_saveexec_b64 s[28:29], s[12:13]
	s_cbranch_execz .LBB127_216
; %bb.215:
	v_lshlrev_b32_e32 v32, 3, v31
	v_sub_u32_e32 v32, v29, v32
	v_lshl_add_u32 v32, v28, 3, v32
	ds_read_b64 v[32:33], v32 offset:1664
	ds_read_b64 v[34:35], v29 offset:24
	s_waitcnt lgkmcnt(0)
	v_fma_f64 v[10:11], v[32:33], v[34:35], v[10:11]
.LBB127_216:
	s_or_b64 exec, exec, s[28:29]
	s_movk_i32 s12, 0xc0
	v_cmp_gt_u32_e64 s[12:13], s12, v14
	s_and_saveexec_b64 s[28:29], s[12:13]
	s_cbranch_execz .LBB127_218
; %bb.217:
	v_lshlrev_b32_e32 v32, 3, v31
	v_sub_u32_e32 v32, v29, v32
	v_lshl_add_u32 v32, v28, 3, v32
	ds_read_b64 v[32:33], v32 offset:2176
	ds_read_b64 v[34:35], v29 offset:32
	s_waitcnt lgkmcnt(0)
	v_fma_f64 v[10:11], v[32:33], v[34:35], v[10:11]
.LBB127_218:
	s_or_b64 exec, exec, s[28:29]
	s_movk_i32 s12, 0xb0
	v_cmp_gt_u32_e64 s[12:13], s12, v14
	s_and_saveexec_b64 s[28:29], s[12:13]
	s_cbranch_execz .LBB127_220
; %bb.219:
	v_lshlrev_b32_e32 v32, 3, v31
	v_sub_u32_e32 v32, v29, v32
	v_lshl_add_u32 v32, v28, 3, v32
	ds_read_b64 v[32:33], v32 offset:2688
	ds_read_b64 v[34:35], v29 offset:40
	s_waitcnt lgkmcnt(0)
	v_fma_f64 v[10:11], v[32:33], v[34:35], v[10:11]
.LBB127_220:
	s_or_b64 exec, exec, s[28:29]
	s_movk_i32 s12, 0xa0
	v_cmp_gt_u32_e64 s[12:13], s12, v14
	s_and_saveexec_b64 s[28:29], s[12:13]
	s_cbranch_execz .LBB127_222
; %bb.221:
	v_lshlrev_b32_e32 v32, 3, v31
	v_sub_u32_e32 v32, v29, v32
	v_lshl_add_u32 v32, v28, 3, v32
	ds_read_b64 v[32:33], v32 offset:3200
	ds_read_b64 v[34:35], v29 offset:48
	s_waitcnt lgkmcnt(0)
	v_fma_f64 v[10:11], v[32:33], v[34:35], v[10:11]
.LBB127_222:
	s_or_b64 exec, exec, s[28:29]
	s_movk_i32 s12, 0x90
	v_cmp_gt_u32_e64 s[12:13], s12, v14
	s_and_saveexec_b64 s[28:29], s[12:13]
	s_cbranch_execz .LBB127_224
; %bb.223:
	v_lshlrev_b32_e32 v32, 3, v31
	v_sub_u32_e32 v32, v29, v32
	v_lshl_add_u32 v32, v28, 3, v32
	ds_read_b64 v[32:33], v32 offset:3712
	ds_read_b64 v[34:35], v29 offset:56
	s_waitcnt lgkmcnt(0)
	v_fma_f64 v[10:11], v[32:33], v[34:35], v[10:11]
.LBB127_224:
	s_or_b64 exec, exec, s[28:29]
	s_movk_i32 s12, 0x80
	v_cmp_gt_u32_e64 s[12:13], s12, v14
	s_and_saveexec_b64 s[28:29], s[12:13]
	s_cbranch_execz .LBB127_226
; %bb.225:
	ds_read_b64 v[32:33], v27 offset:4224
	ds_read_b64 v[34:35], v29 offset:64
	s_waitcnt lgkmcnt(0)
	v_fma_f64 v[10:11], v[32:33], v[34:35], v[10:11]
.LBB127_226:
	s_or_b64 exec, exec, s[28:29]
	s_movk_i32 s12, 0x70
	v_cmp_gt_u32_e64 s[12:13], s12, v14
	s_and_saveexec_b64 s[28:29], s[12:13]
	s_cbranch_execz .LBB127_228
; %bb.227:
	v_lshlrev_b32_e32 v32, 3, v31
	v_sub_u32_e32 v32, v29, v32
	v_lshl_add_u32 v32, v28, 3, v32
	ds_read_b64 v[32:33], v32 offset:4736
	ds_read_b64 v[34:35], v29 offset:72
	s_waitcnt lgkmcnt(0)
	v_fma_f64 v[10:11], v[32:33], v[34:35], v[10:11]
.LBB127_228:
	s_or_b64 exec, exec, s[28:29]
	s_movk_i32 s12, 0x60
	v_cmp_gt_u32_e64 s[12:13], s12, v14
	s_and_saveexec_b64 s[28:29], s[12:13]
	s_cbranch_execz .LBB127_230
; %bb.229:
	v_lshlrev_b32_e32 v32, 3, v28
	v_lshl_add_u32 v32, v30, 3, v32
	ds_read_b64 v[32:33], v32 offset:5248
	ds_read_b64 v[34:35], v29 offset:80
	s_waitcnt lgkmcnt(0)
	v_fma_f64 v[10:11], v[32:33], v[34:35], v[10:11]
.LBB127_230:
	s_or_b64 exec, exec, s[28:29]
	s_movk_i32 s12, 0x50
	v_cmp_gt_u32_e64 s[12:13], s12, v14
	s_and_saveexec_b64 s[28:29], s[12:13]
	s_cbranch_execnz .LBB127_1120
; %bb.231:
	s_or_b64 exec, exec, s[28:29]
	v_cmp_gt_u32_e64 s[12:13], 64, v14
	s_and_saveexec_b64 s[28:29], s[12:13]
	s_cbranch_execnz .LBB127_1121
.LBB127_232:
	s_or_b64 exec, exec, s[28:29]
	v_cmp_gt_u32_e64 s[12:13], 48, v14
	s_and_saveexec_b64 s[28:29], s[12:13]
	s_cbranch_execnz .LBB127_1122
.LBB127_233:
	s_or_b64 exec, exec, s[28:29]
	v_cmp_gt_u32_e64 s[12:13], 32, v14
	s_and_saveexec_b64 s[28:29], s[12:13]
	s_cbranch_execnz .LBB127_1123
.LBB127_234:
	s_or_b64 exec, exec, s[28:29]
	v_cmp_gt_u32_e64 s[12:13], 16, v14
	s_and_saveexec_b64 s[28:29], s[12:13]
	s_cbranch_execz .LBB127_236
.LBB127_235:
	v_lshlrev_b32_e32 v29, 3, v0
	v_mov_b32_e32 v34, 0
	ds_read_b64 v[32:33], v29 offset:7808
	ds_read_b64 v[34:35], v34 offset:120
	s_waitcnt lgkmcnt(0)
	v_fma_f64 v[10:11], v[32:33], v[34:35], v[10:11]
.LBB127_236:
	s_or_b64 exec, exec, s[28:29]
	v_xor_b32_e32 v11, 0x80000000, v11
.LBB127_237:
	s_or_b64 exec, exec, s[16:17]
	v_mov_b32_e32 v29, 0x8000
	v_lshl_add_u32 v29, v31, 3, v29
	v_cmp_eq_u32_e64 s[12:13], 0, v28
	s_xor_b64 s[16:17], s[10:11], -1
	s_and_b64 s[12:13], s[12:13], s[16:17]
	s_mov_b64 s[10:11], exec
	v_writelane_b32 v41, s12, 2
	v_writelane_b32 v41, s13, 3
	s_and_b64 s[12:13], s[10:11], s[12:13]
	s_mov_b64 exec, s[12:13]
; %bb.238:
	ds_write_b64 v29, v[10:11]
; %bb.239:
	s_or_b64 exec, exec, s[10:11]
	v_cmp_ne_u32_e64 s[10:11], 0, v28
	s_waitcnt lgkmcnt(0)
	s_barrier
	s_and_b64 s[12:13], s[10:11], s[16:17]
	s_mov_b64 s[10:11], exec
	v_writelane_b32 v41, s12, 4
	v_writelane_b32 v41, s13, 5
	s_and_b64 s[12:13], s[10:11], s[12:13]
	s_mov_b64 exec, s[12:13]
	s_cbranch_execz .LBB127_241
; %bb.240:
	v_lshlrev_b32_e32 v32, 3, v28
	ds_read_b64 v[32:33], v32 offset:8320
	ds_read_b64 v[34:35], v29
	s_waitcnt lgkmcnt(0)
	v_fma_f64 v[10:11], v[32:33], v[34:35], v[10:11]
.LBB127_241:
	s_or_b64 exec, exec, s[10:11]
	v_cmp_eq_u32_e64 s[10:11], 1, v28
	s_barrier
	s_and_b64 s[12:13], s[10:11], s[16:17]
	s_mov_b64 s[10:11], exec
	v_writelane_b32 v41, s12, 6
	v_writelane_b32 v41, s13, 7
	s_and_b64 s[12:13], s[10:11], s[12:13]
	s_mov_b64 exec, s[12:13]
; %bb.242:
	ds_write_b64 v29, v[10:11]
; %bb.243:
	s_or_b64 exec, exec, s[10:11]
	v_cmp_lt_u32_e64 s[10:11], 1, v28
	s_waitcnt lgkmcnt(0)
	s_barrier
	s_and_b64 s[12:13], s[10:11], s[16:17]
	s_mov_b64 s[10:11], exec
	v_writelane_b32 v41, s12, 8
	v_writelane_b32 v41, s13, 9
	s_and_b64 s[12:13], s[10:11], s[12:13]
	s_mov_b64 exec, s[12:13]
	s_cbranch_execz .LBB127_245
; %bb.244:
	v_lshlrev_b32_e32 v32, 3, v28
	ds_read_b64 v[32:33], v32 offset:8832
	ds_read_b64 v[34:35], v29
	s_waitcnt lgkmcnt(0)
	v_fma_f64 v[10:11], v[32:33], v[34:35], v[10:11]
.LBB127_245:
	s_or_b64 exec, exec, s[10:11]
	v_cmp_eq_u32_e64 s[10:11], 2, v28
	s_barrier
	s_and_b64 s[12:13], s[10:11], s[16:17]
	s_mov_b64 s[10:11], exec
	v_writelane_b32 v41, s12, 10
	v_writelane_b32 v41, s13, 11
	s_and_b64 s[12:13], s[10:11], s[12:13]
	s_mov_b64 exec, s[12:13]
; %bb.246:
	ds_write_b64 v29, v[10:11]
; %bb.247:
	s_or_b64 exec, exec, s[10:11]
	v_cmp_lt_u32_e64 s[10:11], 2, v28
	;; [unrolled: 30-line block ×11, first 2 shown]
	s_waitcnt lgkmcnt(0)
	s_barrier
	s_and_b64 s[12:13], s[10:11], s[16:17]
	s_mov_b64 s[10:11], exec
	v_writelane_b32 v41, s12, 48
	v_writelane_b32 v41, s13, 49
	s_and_b64 s[12:13], s[10:11], s[12:13]
	s_mov_b64 exec, s[12:13]
	s_cbranch_execz .LBB127_285
; %bb.284:
	v_lshlrev_b32_e32 v32, 3, v28
	ds_read_b64 v[32:33], v32 offset:13952
	ds_read_b64 v[34:35], v29
	s_waitcnt lgkmcnt(0)
	v_fma_f64 v[10:11], v[32:33], v[34:35], v[10:11]
.LBB127_285:
	s_or_b64 exec, exec, s[10:11]
	v_cmp_eq_u32_e64 s[10:11], 12, v28
	s_and_b64 s[94:95], s[10:11], s[16:17]
	s_barrier
	s_and_saveexec_b64 s[10:11], s[94:95]
; %bb.286:
	ds_write_b64 v29, v[10:11]
; %bb.287:
	s_or_b64 exec, exec, s[10:11]
	v_cmp_lt_u32_e64 s[10:11], 12, v28
	s_and_b64 s[28:29], s[10:11], s[16:17]
	s_waitcnt lgkmcnt(0)
	s_barrier
	s_and_saveexec_b64 s[10:11], s[28:29]
	s_cbranch_execz .LBB127_289
; %bb.288:
	v_lshlrev_b32_e32 v32, 3, v28
	ds_read_b64 v[32:33], v32 offset:14464
	ds_read_b64 v[34:35], v29
	s_waitcnt lgkmcnt(0)
	v_fma_f64 v[10:11], v[32:33], v[34:35], v[10:11]
.LBB127_289:
	s_or_b64 exec, exec, s[10:11]
	v_cmp_eq_u32_e64 s[10:11], 13, v28
	s_and_b64 s[80:81], s[10:11], s[16:17]
	s_barrier
	s_and_saveexec_b64 s[10:11], s[80:81]
; %bb.290:
	ds_write_b64 v29, v[10:11]
; %bb.291:
	s_or_b64 exec, exec, s[10:11]
	v_cmp_lt_u32_e64 s[10:11], 13, v28
	s_and_b64 s[82:83], s[10:11], s[16:17]
	s_waitcnt lgkmcnt(0)
	s_barrier
	s_and_saveexec_b64 s[10:11], s[82:83]
	s_cbranch_execz .LBB127_293
; %bb.292:
	v_lshlrev_b32_e32 v32, 3, v28
	ds_read_b64 v[32:33], v32 offset:14976
	ds_read_b64 v[34:35], v29
	s_waitcnt lgkmcnt(0)
	v_fma_f64 v[10:11], v[32:33], v[34:35], v[10:11]
.LBB127_293:
	s_or_b64 exec, exec, s[10:11]
	v_cmp_eq_u32_e64 s[10:11], 14, v28
	s_and_b64 s[84:85], s[10:11], s[16:17]
	s_barrier
	s_and_saveexec_b64 s[10:11], s[84:85]
; %bb.294:
	ds_write_b64 v29, v[10:11]
; %bb.295:
	s_or_b64 exec, exec, s[10:11]
	v_cmp_eq_u32_e64 s[10:11], 15, v28
	s_and_b64 s[86:87], s[10:11], s[16:17]
	s_waitcnt lgkmcnt(0)
	s_barrier
	s_and_saveexec_b64 s[10:11], s[86:87]
	s_cbranch_execz .LBB127_297
; %bb.296:
	v_mov_b32_e32 v32, 0
	ds_read_b64 v[32:33], v32 offset:15608
	ds_read_b64 v[34:35], v29
	s_waitcnt lgkmcnt(0)
	v_fma_f64 v[10:11], v[32:33], v[34:35], v[10:11]
.LBB127_297:
	s_or_b64 exec, exec, s[10:11]
	s_barrier
	s_and_saveexec_b64 s[10:11], s[86:87]
; %bb.298:
	ds_write_b64 v29, v[10:11]
; %bb.299:
	s_or_b64 exec, exec, s[10:11]
	s_waitcnt lgkmcnt(0)
	s_barrier
	s_barrier
	s_and_saveexec_b64 s[10:11], s[8:9]
; %bb.300:
	v_xor_b32_e32 v11, 0x80000000, v11
	ds_write_b64 v27, v[10:11] offset:128
; %bb.301:
	s_or_b64 exec, exec, s[10:11]
	s_waitcnt lgkmcnt(0)
	s_barrier
	s_barrier
	s_and_saveexec_b64 s[10:11], vcc
	s_cbranch_execz .LBB127_303
; %bb.302:
	s_mov_b64 s[12:13], 1.0
	v_mov_b32_e32 v10, s12
	v_mov_b32_e32 v11, s13
	s_movk_i32 s12, 0x2000
	v_add_u32_e64 v32, s12, 0
	ds_write2_b64 v32, v[10:11], v[10:11] offset0:16 offset1:81
.LBB127_303:
	s_or_b64 exec, exec, s[10:11]
	v_mov_b32_e32 v10, 0
	v_mov_b32_e32 v11, 0
	s_waitcnt lgkmcnt(0)
	s_barrier
	s_and_saveexec_b64 s[12:13], s[0:1]
	s_cbranch_execz .LBB127_307
; %bb.304:
	v_mul_u32_u24_e32 v32, 0x208, v15
	ds_read_b64 v[10:11], v12 offset:8336
	ds_read_b64 v[32:33], v32 offset:8320
	v_cmp_gt_u32_e64 s[10:11], 2, v14
	s_waitcnt lgkmcnt(0)
	v_fma_f64 v[10:11], v[10:11], v[32:33], 0
	s_and_saveexec_b64 s[16:17], s[10:11]
	s_cbranch_execz .LBB127_306
; %bb.305:
	v_lshlrev_b32_e32 v32, 3, v0
	v_mov_b32_e32 v34, 0
	ds_read_b64 v[32:33], v32 offset:8848
	ds_read_b64 v[34:35], v34 offset:8328
	s_waitcnt lgkmcnt(0)
	v_fma_f64 v[10:11], v[32:33], v[34:35], v[10:11]
.LBB127_306:
	s_or_b64 exec, exec, s[16:17]
	v_xor_b32_e32 v11, 0x80000000, v11
.LBB127_307:
	s_or_b64 exec, exec, s[12:13]
	s_and_saveexec_b64 s[10:11], s[38:39]
; %bb.308:
	ds_write_b64 v13, v[10:11]
; %bb.309:
	s_or_b64 exec, exec, s[10:11]
	s_waitcnt lgkmcnt(0)
	s_barrier
	s_and_saveexec_b64 s[10:11], s[36:37]
	s_cbranch_execz .LBB127_311
; %bb.310:
	v_mov_b32_e32 v32, 0
	ds_read_b64 v[32:33], v32 offset:9368
	ds_read_b64 v[34:35], v13
	s_waitcnt lgkmcnt(0)
	v_fma_f64 v[10:11], v[32:33], v[34:35], v[10:11]
.LBB127_311:
	s_or_b64 exec, exec, s[10:11]
	s_barrier
	s_and_saveexec_b64 s[10:11], s[36:37]
; %bb.312:
	ds_write_b64 v13, v[10:11]
; %bb.313:
	s_or_b64 exec, exec, s[10:11]
	s_waitcnt lgkmcnt(0)
	s_barrier
	s_barrier
	s_and_saveexec_b64 s[10:11], s[0:1]
; %bb.314:
	v_xor_b32_e32 v11, 0x80000000, v11
	ds_write_b64 v12, v[10:11] offset:8336
; %bb.315:
	s_or_b64 exec, exec, s[10:11]
	s_waitcnt lgkmcnt(0)
	s_barrier
	s_barrier
	s_and_saveexec_b64 s[10:11], vcc
	s_cbranch_execz .LBB127_317
; %bb.316:
	s_mov_b64 s[12:13], 1.0
	v_mov_b32_e32 v10, s12
	v_mov_b32_e32 v11, s13
	s_movk_i32 s12, 0x2000
	v_add_u32_e64 v32, s12, 0
	ds_write2_b64 v32, v[10:11], v[10:11] offset0:146 offset1:211
.LBB127_317:
	s_or_b64 exec, exec, s[10:11]
	v_mov_b32_e32 v10, 0
	v_mov_b32_e32 v11, 0
	s_waitcnt lgkmcnt(0)
	s_barrier
	s_and_saveexec_b64 s[12:13], s[2:3]
	s_cbranch_execz .LBB127_323
; %bb.318:
	v_mul_u32_u24_e32 v32, 0x208, v21
	ds_read_b64 v[10:11], v16 offset:8352
	ds_read_b64 v[33:34], v32 offset:8320
	v_cmp_gt_u32_e64 s[10:11], 12, v14
	s_waitcnt lgkmcnt(0)
	v_fma_f64 v[10:11], v[10:11], v[33:34], 0
	s_and_saveexec_b64 s[16:17], s[10:11]
	s_cbranch_execnz .LBB127_1124
; %bb.319:
	s_or_b64 exec, exec, s[16:17]
	v_cmp_gt_u32_e64 s[10:11], 8, v14
	s_and_saveexec_b64 s[16:17], s[10:11]
	s_cbranch_execnz .LBB127_1125
.LBB127_320:
	s_or_b64 exec, exec, s[16:17]
	v_cmp_gt_u32_e64 s[10:11], 4, v14
	s_and_saveexec_b64 s[16:17], s[10:11]
	s_cbranch_execz .LBB127_322
.LBB127_321:
	v_lshlrev_b32_e32 v32, 3, v0
	v_mov_b32_e32 v34, 0
	ds_read_b64 v[32:33], v32 offset:9888
	ds_read_b64 v[34:35], v34 offset:8344
	s_waitcnt lgkmcnt(0)
	v_fma_f64 v[10:11], v[32:33], v[34:35], v[10:11]
.LBB127_322:
	s_or_b64 exec, exec, s[16:17]
	v_xor_b32_e32 v11, 0x80000000, v11
.LBB127_323:
	s_or_b64 exec, exec, s[12:13]
	s_and_saveexec_b64 s[10:11], s[42:43]
; %bb.324:
	ds_write_b64 v19, v[10:11]
; %bb.325:
	s_or_b64 exec, exec, s[10:11]
	s_waitcnt lgkmcnt(0)
	s_barrier
	s_and_saveexec_b64 s[10:11], s[44:45]
	s_cbranch_execz .LBB127_327
; %bb.326:
	ds_read_b64 v[32:33], v17 offset:10400
	ds_read_b64 v[34:35], v19
	s_waitcnt lgkmcnt(0)
	v_fma_f64 v[10:11], v[32:33], v[34:35], v[10:11]
.LBB127_327:
	s_or_b64 exec, exec, s[10:11]
	s_barrier
	s_and_saveexec_b64 s[10:11], s[46:47]
; %bb.328:
	ds_write_b64 v19, v[10:11]
; %bb.329:
	s_or_b64 exec, exec, s[10:11]
	s_waitcnt lgkmcnt(0)
	s_barrier
	s_and_saveexec_b64 s[10:11], s[48:49]
	s_cbranch_execz .LBB127_331
; %bb.330:
	ds_read_b64 v[32:33], v17 offset:10912
	ds_read_b64 v[34:35], v19
	s_waitcnt lgkmcnt(0)
	v_fma_f64 v[10:11], v[32:33], v[34:35], v[10:11]
.LBB127_331:
	s_or_b64 exec, exec, s[10:11]
	s_barrier
	s_and_saveexec_b64 s[10:11], s[50:51]
; %bb.332:
	ds_write_b64 v19, v[10:11]
; %bb.333:
	s_or_b64 exec, exec, s[10:11]
	s_waitcnt lgkmcnt(0)
	s_barrier
	s_and_saveexec_b64 s[10:11], s[40:41]
	s_cbranch_execz .LBB127_335
; %bb.334:
	v_mov_b32_e32 v32, 0
	ds_read_b64 v[32:33], v32 offset:11448
	ds_read_b64 v[34:35], v19
	s_waitcnt lgkmcnt(0)
	v_fma_f64 v[10:11], v[32:33], v[34:35], v[10:11]
.LBB127_335:
	s_or_b64 exec, exec, s[10:11]
	s_barrier
	s_and_saveexec_b64 s[10:11], s[40:41]
; %bb.336:
	ds_write_b64 v19, v[10:11]
; %bb.337:
	s_or_b64 exec, exec, s[10:11]
	s_waitcnt lgkmcnt(0)
	s_barrier
	s_barrier
	s_and_saveexec_b64 s[10:11], s[2:3]
; %bb.338:
	v_xor_b32_e32 v11, 0x80000000, v11
	ds_write_b64 v16, v[10:11] offset:8352
; %bb.339:
	s_or_b64 exec, exec, s[10:11]
	s_waitcnt lgkmcnt(0)
	s_barrier
	s_barrier
	s_and_saveexec_b64 s[10:11], vcc
	s_cbranch_execz .LBB127_341
; %bb.340:
	s_mov_b64 s[12:13], 1.0
	v_mov_b32_e32 v10, s12
	v_mov_b32_e32 v11, s13
	s_movk_i32 s12, 0x2800
	v_add_u32_e64 v32, s12, 0
	ds_write2_b64 v32, v[10:11], v[10:11] offset0:20 offset1:85
.LBB127_341:
	s_or_b64 exec, exec, s[10:11]
	v_mov_b32_e32 v10, 0
	v_mov_b32_e32 v11, 0
	s_waitcnt lgkmcnt(0)
	s_barrier
	s_and_saveexec_b64 s[12:13], s[0:1]
	s_cbranch_execz .LBB127_345
; %bb.342:
	v_mul_u32_u24_e32 v32, 0x208, v15
	ds_read_b64 v[10:11], v12 offset:10416
	ds_read_b64 v[32:33], v32 offset:10400
	v_cmp_gt_u32_e64 s[10:11], 2, v14
	s_waitcnt lgkmcnt(0)
	v_fma_f64 v[10:11], v[10:11], v[32:33], 0
	s_and_saveexec_b64 s[16:17], s[10:11]
	s_cbranch_execz .LBB127_344
; %bb.343:
	v_lshlrev_b32_e32 v32, 3, v0
	v_mov_b32_e32 v34, 0
	ds_read_b64 v[32:33], v32 offset:10928
	ds_read_b64 v[34:35], v34 offset:10408
	s_waitcnt lgkmcnt(0)
	v_fma_f64 v[10:11], v[32:33], v[34:35], v[10:11]
.LBB127_344:
	s_or_b64 exec, exec, s[16:17]
	v_xor_b32_e32 v11, 0x80000000, v11
.LBB127_345:
	s_or_b64 exec, exec, s[12:13]
	s_and_saveexec_b64 s[10:11], s[38:39]
; %bb.346:
	ds_write_b64 v13, v[10:11]
; %bb.347:
	s_or_b64 exec, exec, s[10:11]
	s_waitcnt lgkmcnt(0)
	s_barrier
	s_and_saveexec_b64 s[10:11], s[36:37]
	s_cbranch_execz .LBB127_349
; %bb.348:
	v_mov_b32_e32 v32, 0
	ds_read_b64 v[32:33], v32 offset:11448
	ds_read_b64 v[34:35], v13
	s_waitcnt lgkmcnt(0)
	v_fma_f64 v[10:11], v[32:33], v[34:35], v[10:11]
.LBB127_349:
	s_or_b64 exec, exec, s[10:11]
	s_barrier
	s_and_saveexec_b64 s[10:11], s[36:37]
; %bb.350:
	ds_write_b64 v13, v[10:11]
; %bb.351:
	s_or_b64 exec, exec, s[10:11]
	s_waitcnt lgkmcnt(0)
	s_barrier
	s_barrier
	s_and_saveexec_b64 s[10:11], s[0:1]
; %bb.352:
	v_xor_b32_e32 v11, 0x80000000, v11
	ds_write_b64 v12, v[10:11] offset:10416
; %bb.353:
	s_or_b64 exec, exec, s[10:11]
	s_waitcnt lgkmcnt(0)
	s_barrier
	s_barrier
	s_and_saveexec_b64 s[10:11], vcc
	s_cbranch_execz .LBB127_355
; %bb.354:
	s_mov_b64 s[12:13], 1.0
	v_mov_b32_e32 v10, s12
	v_mov_b32_e32 v11, s13
	s_movk_i32 s12, 0x2800
	v_add_u32_e64 v32, s12, 0
	ds_write2_b64 v32, v[10:11], v[10:11] offset0:150 offset1:215
.LBB127_355:
	s_or_b64 exec, exec, s[10:11]
	v_mov_b32_e32 v10, 0
	v_mov_b32_e32 v11, 0
	s_waitcnt lgkmcnt(0)
	s_barrier
	s_and_saveexec_b64 s[12:13], s[14:15]
	s_cbranch_execz .LBB127_365
; %bb.356:
	v_mul_u32_u24_e32 v32, 0x208, v26
	ds_read_b64 v[10:11], v22 offset:8384
	ds_read_b64 v[33:34], v32 offset:8320
	v_cmp_gt_u32_e64 s[10:11], 56, v14
	s_waitcnt lgkmcnt(0)
	v_fma_f64 v[10:11], v[10:11], v[33:34], 0
	s_and_saveexec_b64 s[16:17], s[10:11]
	s_cbranch_execnz .LBB127_1126
; %bb.357:
	s_or_b64 exec, exec, s[16:17]
	v_cmp_gt_u32_e64 s[10:11], 48, v14
	s_and_saveexec_b64 s[16:17], s[10:11]
	s_cbranch_execnz .LBB127_1127
.LBB127_358:
	s_or_b64 exec, exec, s[16:17]
	v_cmp_gt_u32_e64 s[10:11], 40, v14
	s_and_saveexec_b64 s[16:17], s[10:11]
	s_cbranch_execnz .LBB127_1128
.LBB127_359:
	s_or_b64 exec, exec, s[16:17]
	v_cmp_gt_u32_e64 s[10:11], 32, v14
	s_and_saveexec_b64 s[16:17], s[10:11]
	s_cbranch_execnz .LBB127_1129
.LBB127_360:
	s_or_b64 exec, exec, s[16:17]
	v_cmp_gt_u32_e64 s[10:11], 24, v14
	s_and_saveexec_b64 s[16:17], s[10:11]
	s_cbranch_execnz .LBB127_1130
.LBB127_361:
	s_or_b64 exec, exec, s[16:17]
	v_cmp_gt_u32_e64 s[10:11], 16, v14
	s_and_saveexec_b64 s[16:17], s[10:11]
	s_cbranch_execnz .LBB127_1131
.LBB127_362:
	s_or_b64 exec, exec, s[16:17]
	v_cmp_gt_u32_e64 s[10:11], 8, v14
	s_and_saveexec_b64 s[16:17], s[10:11]
	s_cbranch_execz .LBB127_364
.LBB127_363:
	v_lshlrev_b32_e32 v32, 3, v0
	v_mov_b32_e32 v34, 0
	ds_read_b64 v[32:33], v32 offset:11968
	ds_read_b64 v[34:35], v34 offset:8376
	s_waitcnt lgkmcnt(0)
	v_fma_f64 v[10:11], v[32:33], v[34:35], v[10:11]
.LBB127_364:
	s_or_b64 exec, exec, s[16:17]
	v_xor_b32_e32 v11, 0x80000000, v11
.LBB127_365:
	s_or_b64 exec, exec, s[12:13]
	s_and_saveexec_b64 s[10:11], s[52:53]
; %bb.366:
	ds_write_b64 v24, v[10:11]
; %bb.367:
	s_or_b64 exec, exec, s[10:11]
	s_waitcnt lgkmcnt(0)
	s_barrier
	s_and_saveexec_b64 s[10:11], s[54:55]
	s_cbranch_execz .LBB127_369
; %bb.368:
	ds_read_b64 v[32:33], v23 offset:12480
	ds_read_b64 v[34:35], v24
	s_waitcnt lgkmcnt(0)
	v_fma_f64 v[10:11], v[32:33], v[34:35], v[10:11]
.LBB127_369:
	s_or_b64 exec, exec, s[10:11]
	s_barrier
	s_and_saveexec_b64 s[10:11], s[56:57]
; %bb.370:
	ds_write_b64 v24, v[10:11]
; %bb.371:
	s_or_b64 exec, exec, s[10:11]
	s_waitcnt lgkmcnt(0)
	s_barrier
	s_and_saveexec_b64 s[10:11], s[58:59]
	s_cbranch_execz .LBB127_373
; %bb.372:
	ds_read_b64 v[32:33], v23 offset:12992
	ds_read_b64 v[34:35], v24
	s_waitcnt lgkmcnt(0)
	v_fma_f64 v[10:11], v[32:33], v[34:35], v[10:11]
.LBB127_373:
	s_or_b64 exec, exec, s[10:11]
	s_barrier
	;; [unrolled: 17-line block ×6, first 2 shown]
	s_and_saveexec_b64 s[10:11], s[78:79]
; %bb.390:
	ds_write_b64 v24, v[10:11]
; %bb.391:
	s_or_b64 exec, exec, s[10:11]
	s_waitcnt lgkmcnt(0)
	s_barrier
	s_and_saveexec_b64 s[10:11], s[62:63]
	s_cbranch_execz .LBB127_393
; %bb.392:
	v_mov_b32_e32 v32, 0
	ds_read_b64 v[32:33], v32 offset:15608
	ds_read_b64 v[34:35], v24
	s_waitcnt lgkmcnt(0)
	v_fma_f64 v[10:11], v[32:33], v[34:35], v[10:11]
.LBB127_393:
	s_or_b64 exec, exec, s[10:11]
	s_barrier
	s_and_saveexec_b64 s[10:11], s[62:63]
; %bb.394:
	ds_write_b64 v24, v[10:11]
; %bb.395:
	s_or_b64 exec, exec, s[10:11]
	s_waitcnt lgkmcnt(0)
	s_barrier
	s_barrier
	s_and_saveexec_b64 s[10:11], s[14:15]
; %bb.396:
	v_xor_b32_e32 v11, 0x80000000, v11
	ds_write_b64 v22, v[10:11] offset:8384
; %bb.397:
	s_or_b64 exec, exec, s[10:11]
	s_waitcnt lgkmcnt(0)
	s_barrier
	s_barrier
	s_and_saveexec_b64 s[10:11], vcc
	s_cbranch_execz .LBB127_399
; %bb.398:
	s_mov_b64 s[12:13], 1.0
	v_mov_b32_e32 v10, s12
	v_mov_b32_e32 v11, s13
	s_movk_i32 s12, 0x3000
	v_add_u32_e64 v32, s12, 0
	ds_write2_b64 v32, v[10:11], v[10:11] offset0:24 offset1:89
.LBB127_399:
	s_or_b64 exec, exec, s[10:11]
	v_mov_b32_e32 v10, 0
	v_mov_b32_e32 v11, 0
	s_waitcnt lgkmcnt(0)
	s_barrier
	s_and_saveexec_b64 s[12:13], s[0:1]
	s_cbranch_execz .LBB127_403
; %bb.400:
	v_mul_u32_u24_e32 v32, 0x208, v15
	ds_read_b64 v[10:11], v12 offset:12496
	ds_read_b64 v[32:33], v32 offset:12480
	v_cmp_gt_u32_e64 s[10:11], 2, v14
	s_waitcnt lgkmcnt(0)
	v_fma_f64 v[10:11], v[10:11], v[32:33], 0
	s_and_saveexec_b64 s[16:17], s[10:11]
	s_cbranch_execz .LBB127_402
; %bb.401:
	v_lshlrev_b32_e32 v32, 3, v0
	v_mov_b32_e32 v34, 0
	ds_read_b64 v[32:33], v32 offset:13008
	ds_read_b64 v[34:35], v34 offset:12488
	s_waitcnt lgkmcnt(0)
	v_fma_f64 v[10:11], v[32:33], v[34:35], v[10:11]
.LBB127_402:
	s_or_b64 exec, exec, s[16:17]
	v_xor_b32_e32 v11, 0x80000000, v11
.LBB127_403:
	s_or_b64 exec, exec, s[12:13]
	s_and_saveexec_b64 s[10:11], s[38:39]
; %bb.404:
	ds_write_b64 v13, v[10:11]
; %bb.405:
	s_or_b64 exec, exec, s[10:11]
	s_waitcnt lgkmcnt(0)
	s_barrier
	s_and_saveexec_b64 s[10:11], s[36:37]
	s_cbranch_execz .LBB127_407
; %bb.406:
	v_mov_b32_e32 v32, 0
	ds_read_b64 v[32:33], v32 offset:13528
	ds_read_b64 v[34:35], v13
	s_waitcnt lgkmcnt(0)
	v_fma_f64 v[10:11], v[32:33], v[34:35], v[10:11]
.LBB127_407:
	s_or_b64 exec, exec, s[10:11]
	s_barrier
	s_and_saveexec_b64 s[10:11], s[36:37]
; %bb.408:
	ds_write_b64 v13, v[10:11]
; %bb.409:
	s_or_b64 exec, exec, s[10:11]
	s_waitcnt lgkmcnt(0)
	s_barrier
	s_barrier
	s_and_saveexec_b64 s[10:11], s[0:1]
; %bb.410:
	v_xor_b32_e32 v11, 0x80000000, v11
	ds_write_b64 v12, v[10:11] offset:12496
; %bb.411:
	s_or_b64 exec, exec, s[10:11]
	s_waitcnt lgkmcnt(0)
	s_barrier
	s_barrier
	s_and_saveexec_b64 s[10:11], vcc
	s_cbranch_execz .LBB127_413
; %bb.412:
	s_mov_b64 s[12:13], 1.0
	v_mov_b32_e32 v10, s12
	v_mov_b32_e32 v11, s13
	s_movk_i32 s12, 0x3000
	v_add_u32_e64 v32, s12, 0
	ds_write2_b64 v32, v[10:11], v[10:11] offset0:154 offset1:219
.LBB127_413:
	s_or_b64 exec, exec, s[10:11]
	v_mov_b32_e32 v10, 0
	v_mov_b32_e32 v11, 0
	s_waitcnt lgkmcnt(0)
	s_barrier
	s_and_saveexec_b64 s[12:13], s[2:3]
	s_cbranch_execz .LBB127_419
; %bb.414:
	v_mul_u32_u24_e32 v32, 0x208, v21
	ds_read_b64 v[10:11], v16 offset:12512
	ds_read_b64 v[33:34], v32 offset:12480
	v_cmp_gt_u32_e64 s[10:11], 12, v14
	s_waitcnt lgkmcnt(0)
	v_fma_f64 v[10:11], v[10:11], v[33:34], 0
	s_and_saveexec_b64 s[16:17], s[10:11]
	s_cbranch_execnz .LBB127_1132
; %bb.415:
	s_or_b64 exec, exec, s[16:17]
	v_cmp_gt_u32_e64 s[10:11], 8, v14
	s_and_saveexec_b64 s[16:17], s[10:11]
	s_cbranch_execnz .LBB127_1133
.LBB127_416:
	s_or_b64 exec, exec, s[16:17]
	v_cmp_gt_u32_e64 s[10:11], 4, v14
	s_and_saveexec_b64 s[16:17], s[10:11]
	s_cbranch_execz .LBB127_418
.LBB127_417:
	v_lshlrev_b32_e32 v32, 3, v0
	v_mov_b32_e32 v34, 0
	ds_read_b64 v[32:33], v32 offset:14048
	ds_read_b64 v[34:35], v34 offset:12504
	s_waitcnt lgkmcnt(0)
	v_fma_f64 v[10:11], v[32:33], v[34:35], v[10:11]
.LBB127_418:
	s_or_b64 exec, exec, s[16:17]
	v_xor_b32_e32 v11, 0x80000000, v11
.LBB127_419:
	s_or_b64 exec, exec, s[12:13]
	s_and_saveexec_b64 s[10:11], s[42:43]
; %bb.420:
	ds_write_b64 v19, v[10:11]
; %bb.421:
	s_or_b64 exec, exec, s[10:11]
	s_waitcnt lgkmcnt(0)
	s_barrier
	s_and_saveexec_b64 s[10:11], s[44:45]
	s_cbranch_execz .LBB127_423
; %bb.422:
	ds_read_b64 v[32:33], v17 offset:14560
	ds_read_b64 v[34:35], v19
	s_waitcnt lgkmcnt(0)
	v_fma_f64 v[10:11], v[32:33], v[34:35], v[10:11]
.LBB127_423:
	s_or_b64 exec, exec, s[10:11]
	s_barrier
	s_and_saveexec_b64 s[10:11], s[46:47]
; %bb.424:
	ds_write_b64 v19, v[10:11]
; %bb.425:
	s_or_b64 exec, exec, s[10:11]
	s_waitcnt lgkmcnt(0)
	s_barrier
	s_and_saveexec_b64 s[10:11], s[48:49]
	s_cbranch_execz .LBB127_427
; %bb.426:
	ds_read_b64 v[32:33], v17 offset:15072
	ds_read_b64 v[34:35], v19
	s_waitcnt lgkmcnt(0)
	v_fma_f64 v[10:11], v[32:33], v[34:35], v[10:11]
.LBB127_427:
	s_or_b64 exec, exec, s[10:11]
	s_barrier
	s_and_saveexec_b64 s[10:11], s[50:51]
; %bb.428:
	ds_write_b64 v19, v[10:11]
; %bb.429:
	s_or_b64 exec, exec, s[10:11]
	s_waitcnt lgkmcnt(0)
	s_barrier
	s_and_saveexec_b64 s[10:11], s[40:41]
	s_cbranch_execz .LBB127_431
; %bb.430:
	v_mov_b32_e32 v32, 0
	ds_read_b64 v[32:33], v32 offset:15608
	ds_read_b64 v[34:35], v19
	s_waitcnt lgkmcnt(0)
	v_fma_f64 v[10:11], v[32:33], v[34:35], v[10:11]
.LBB127_431:
	s_or_b64 exec, exec, s[10:11]
	s_barrier
	s_and_saveexec_b64 s[10:11], s[40:41]
; %bb.432:
	ds_write_b64 v19, v[10:11]
; %bb.433:
	s_or_b64 exec, exec, s[10:11]
	s_waitcnt lgkmcnt(0)
	s_barrier
	s_barrier
	s_and_saveexec_b64 s[10:11], s[2:3]
; %bb.434:
	v_xor_b32_e32 v11, 0x80000000, v11
	ds_write_b64 v16, v[10:11] offset:12512
; %bb.435:
	s_or_b64 exec, exec, s[10:11]
	s_waitcnt lgkmcnt(0)
	s_barrier
	s_barrier
	s_and_saveexec_b64 s[10:11], vcc
	s_cbranch_execz .LBB127_437
; %bb.436:
	s_mov_b64 s[12:13], 1.0
	v_mov_b32_e32 v10, s12
	v_mov_b32_e32 v11, s13
	s_movk_i32 s12, 0x3800
	v_add_u32_e64 v32, s12, 0
	ds_write2_b64 v32, v[10:11], v[10:11] offset0:28 offset1:93
.LBB127_437:
	s_or_b64 exec, exec, s[10:11]
	v_mov_b32_e32 v10, 0
	v_mov_b32_e32 v11, 0
	s_waitcnt lgkmcnt(0)
	s_barrier
	s_and_saveexec_b64 s[12:13], s[0:1]
	s_cbranch_execz .LBB127_441
; %bb.438:
	v_mul_u32_u24_e32 v32, 0x208, v15
	ds_read_b64 v[10:11], v12 offset:14576
	ds_read_b64 v[32:33], v32 offset:14560
	v_cmp_gt_u32_e64 s[10:11], 2, v14
	s_waitcnt lgkmcnt(0)
	v_fma_f64 v[10:11], v[10:11], v[32:33], 0
	s_and_saveexec_b64 s[16:17], s[10:11]
	s_cbranch_execz .LBB127_440
; %bb.439:
	v_lshlrev_b32_e32 v32, 3, v0
	v_mov_b32_e32 v34, 0
	ds_read_b64 v[32:33], v32 offset:15088
	ds_read_b64 v[34:35], v34 offset:14568
	s_waitcnt lgkmcnt(0)
	v_fma_f64 v[10:11], v[32:33], v[34:35], v[10:11]
.LBB127_440:
	s_or_b64 exec, exec, s[16:17]
	v_xor_b32_e32 v11, 0x80000000, v11
.LBB127_441:
	s_or_b64 exec, exec, s[12:13]
	s_and_saveexec_b64 s[10:11], s[38:39]
; %bb.442:
	ds_write_b64 v13, v[10:11]
; %bb.443:
	s_or_b64 exec, exec, s[10:11]
	s_waitcnt lgkmcnt(0)
	s_barrier
	s_and_saveexec_b64 s[10:11], s[36:37]
	s_cbranch_execz .LBB127_445
; %bb.444:
	v_mov_b32_e32 v32, 0
	ds_read_b64 v[32:33], v32 offset:15608
	ds_read_b64 v[34:35], v13
	s_waitcnt lgkmcnt(0)
	v_fma_f64 v[10:11], v[32:33], v[34:35], v[10:11]
.LBB127_445:
	s_or_b64 exec, exec, s[10:11]
	s_barrier
	s_and_saveexec_b64 s[10:11], s[36:37]
; %bb.446:
	ds_write_b64 v13, v[10:11]
; %bb.447:
	s_or_b64 exec, exec, s[10:11]
	s_waitcnt lgkmcnt(0)
	s_barrier
	s_barrier
	s_and_saveexec_b64 s[10:11], s[0:1]
; %bb.448:
	v_xor_b32_e32 v11, 0x80000000, v11
	ds_write_b64 v12, v[10:11] offset:14576
; %bb.449:
	s_or_b64 exec, exec, s[10:11]
	s_waitcnt lgkmcnt(0)
	s_barrier
	s_barrier
	s_and_saveexec_b64 s[10:11], vcc
	s_cbranch_execz .LBB127_451
; %bb.450:
	s_mov_b64 s[12:13], 1.0
	v_mov_b32_e32 v10, s12
	v_mov_b32_e32 v11, s13
	s_movk_i32 s12, 0x3800
	v_add_u32_e64 v32, s12, 0
	ds_write2_b64 v32, v[10:11], v[10:11] offset0:158 offset1:223
.LBB127_451:
	s_or_b64 exec, exec, s[10:11]
	v_and_b32_e32 v34, 31, v0
	s_movk_i32 s10, 0x3ff
	v_lshrrev_b32_e32 v35, 5, v14
	v_cmp_lt_u32_e64 s[12:13], s10, v14
	s_movk_i32 s10, 0x400
	v_lshlrev_b32_e32 v33, 3, v34
	v_mov_b32_e32 v10, 0
	v_cmp_gt_u32_e64 s[10:11], s10, v14
	v_mov_b32_e32 v11, 0
	v_lshl_or_b32 v32, v35, 9, v33
	s_waitcnt lgkmcnt(0)
	s_barrier
	s_and_saveexec_b64 s[88:89], s[10:11]
	s_cbranch_execz .LBB127_513
; %bb.452:
	v_mul_u32_u24_e32 v36, 0x208, v35
	ds_read_b64 v[10:11], v32 offset:256
	ds_read_b64 v[37:38], v36
	s_movk_i32 s16, 0x3e0
	v_cmp_gt_u32_e64 s[16:17], s16, v14
	s_waitcnt lgkmcnt(0)
	v_fma_f64 v[10:11], v[10:11], v[37:38], 0
	s_and_saveexec_b64 s[90:91], s[16:17]
	s_cbranch_execz .LBB127_454
; %bb.453:
	ds_read_b64 v[37:38], v32 offset:768
	ds_read_b64 v[39:40], v36 offset:8
	s_waitcnt lgkmcnt(0)
	v_fma_f64 v[10:11], v[37:38], v[39:40], v[10:11]
.LBB127_454:
	s_or_b64 exec, exec, s[90:91]
	s_movk_i32 s16, 0x3c0
	v_cmp_gt_u32_e64 s[16:17], s16, v14
	s_and_saveexec_b64 s[90:91], s[16:17]
	s_cbranch_execz .LBB127_456
; %bb.455:
	ds_read_b64 v[37:38], v32 offset:1280
	ds_read_b64 v[39:40], v36 offset:16
	s_waitcnt lgkmcnt(0)
	v_fma_f64 v[10:11], v[37:38], v[39:40], v[10:11]
.LBB127_456:
	s_or_b64 exec, exec, s[90:91]
	s_movk_i32 s16, 0x3a0
	v_cmp_gt_u32_e64 s[16:17], s16, v14
	;; [unrolled: 11-line block ×28, first 2 shown]
	s_and_saveexec_b64 s[90:91], s[16:17]
	s_cbranch_execnz .LBB127_1134
; %bb.509:
	s_or_b64 exec, exec, s[90:91]
	v_cmp_gt_u32_e64 s[16:17], 64, v14
	s_and_saveexec_b64 s[90:91], s[16:17]
	s_cbranch_execnz .LBB127_1135
.LBB127_510:
	s_or_b64 exec, exec, s[90:91]
	v_cmp_gt_u32_e64 s[16:17], 32, v14
	s_and_saveexec_b64 s[90:91], s[16:17]
	s_cbranch_execz .LBB127_512
.LBB127_511:
	v_lshlrev_b32_e32 v36, 3, v0
	v_mov_b32_e32 v38, 0
	ds_read_b64 v[36:37], v36 offset:16128
	ds_read_b64 v[38:39], v38 offset:248
	s_waitcnt lgkmcnt(0)
	v_fma_f64 v[10:11], v[36:37], v[38:39], v[10:11]
.LBB127_512:
	s_or_b64 exec, exec, s[90:91]
	v_xor_b32_e32 v11, 0x80000000, v11
.LBB127_513:
	s_or_b64 exec, exec, s[88:89]
	v_mov_b32_e32 v36, 0x8000
	v_cmp_eq_u32_e64 s[16:17], 0, v34
	s_xor_b64 s[88:89], s[12:13], -1
	v_lshl_or_b32 v35, v35, 3, v36
	s_and_b64 s[16:17], s[88:89], s[16:17]
	s_and_saveexec_b64 s[12:13], s[16:17]
; %bb.514:
	ds_write_b64 v35, v[10:11]
; %bb.515:
	s_or_b64 exec, exec, s[12:13]
	v_cmp_ne_u32_e64 s[12:13], 0, v34
	s_and_b64 s[16:17], s[88:89], s[12:13]
	s_waitcnt lgkmcnt(0)
	s_barrier
	s_and_saveexec_b64 s[12:13], s[16:17]
	s_cbranch_execz .LBB127_517
; %bb.516:
	ds_read_b64 v[36:37], v33 offset:16640
	ds_read_b64 v[38:39], v35
	s_waitcnt lgkmcnt(0)
	v_fma_f64 v[10:11], v[36:37], v[38:39], v[10:11]
.LBB127_517:
	s_or_b64 exec, exec, s[12:13]
	v_cmp_eq_u32_e64 s[12:13], 1, v34
	s_and_b64 s[16:17], s[88:89], s[12:13]
	s_barrier
	s_and_saveexec_b64 s[12:13], s[16:17]
; %bb.518:
	ds_write_b64 v35, v[10:11]
; %bb.519:
	s_or_b64 exec, exec, s[12:13]
	v_cmp_lt_u32_e64 s[12:13], 1, v34
	s_and_b64 s[16:17], s[88:89], s[12:13]
	s_waitcnt lgkmcnt(0)
	s_barrier
	s_and_saveexec_b64 s[12:13], s[16:17]
	s_cbranch_execz .LBB127_521
; %bb.520:
	ds_read_b64 v[36:37], v33 offset:17152
	ds_read_b64 v[38:39], v35
	s_waitcnt lgkmcnt(0)
	v_fma_f64 v[10:11], v[36:37], v[38:39], v[10:11]
.LBB127_521:
	s_or_b64 exec, exec, s[12:13]
	v_cmp_eq_u32_e64 s[12:13], 2, v34
	s_and_b64 s[16:17], s[88:89], s[12:13]
	s_barrier
	s_and_saveexec_b64 s[12:13], s[16:17]
; %bb.522:
	ds_write_b64 v35, v[10:11]
; %bb.523:
	s_or_b64 exec, exec, s[12:13]
	v_cmp_lt_u32_e64 s[12:13], 2, v34
	;; [unrolled: 21-line block ×29, first 2 shown]
	s_and_b64 s[16:17], s[88:89], s[12:13]
	s_waitcnt lgkmcnt(0)
	s_barrier
	s_and_saveexec_b64 s[12:13], s[16:17]
	s_cbranch_execz .LBB127_633
; %bb.632:
	ds_read_b64 v[36:37], v33 offset:31488
	ds_read_b64 v[38:39], v35
	s_waitcnt lgkmcnt(0)
	v_fma_f64 v[10:11], v[36:37], v[38:39], v[10:11]
.LBB127_633:
	s_or_b64 exec, exec, s[12:13]
	v_cmp_eq_u32_e64 s[12:13], 30, v34
	s_and_b64 s[16:17], s[88:89], s[12:13]
	s_barrier
	s_and_saveexec_b64 s[12:13], s[16:17]
; %bb.634:
	ds_write_b64 v35, v[10:11]
; %bb.635:
	s_or_b64 exec, exec, s[12:13]
	v_cmp_eq_u32_e64 s[12:13], 31, v34
	s_and_b64 s[12:13], s[88:89], s[12:13]
	s_waitcnt lgkmcnt(0)
	s_barrier
	s_and_saveexec_b64 s[16:17], s[12:13]
	s_cbranch_execz .LBB127_637
; %bb.636:
	ds_read_b64 v[33:34], v33 offset:32000
	ds_read_b64 v[36:37], v35
	s_waitcnt lgkmcnt(0)
	v_fma_f64 v[10:11], v[33:34], v[36:37], v[10:11]
.LBB127_637:
	s_or_b64 exec, exec, s[16:17]
	s_barrier
	s_and_saveexec_b64 s[16:17], s[12:13]
; %bb.638:
	ds_write_b64 v35, v[10:11]
; %bb.639:
	s_or_b64 exec, exec, s[16:17]
	s_waitcnt lgkmcnt(0)
	s_barrier
	s_barrier
	s_and_saveexec_b64 s[12:13], s[10:11]
; %bb.640:
	v_xor_b32_e32 v11, 0x80000000, v11
	ds_write_b64 v32, v[10:11] offset:256
; %bb.641:
	s_or_b64 exec, exec, s[12:13]
	s_waitcnt lgkmcnt(0)
	s_barrier
	s_barrier
	s_and_saveexec_b64 s[10:11], vcc
	s_cbranch_execz .LBB127_643
; %bb.642:
	s_mov_b64 s[12:13], 1.0
	v_mov_b32_e32 v10, s12
	v_mov_b32_e32 v11, s13
	s_movk_i32 s12, 0x4000
	v_add_u32_e64 v32, s12, 0
	ds_write2_b64 v32, v[10:11], v[10:11] offset0:32 offset1:97
.LBB127_643:
	s_or_b64 exec, exec, s[10:11]
	v_mov_b32_e32 v10, 0
	v_mov_b32_e32 v11, 0
	s_waitcnt lgkmcnt(0)
	s_barrier
	s_and_saveexec_b64 s[12:13], s[0:1]
	s_cbranch_execz .LBB127_647
; %bb.644:
	v_mul_u32_u24_e32 v32, 0x208, v15
	ds_read_b64 v[10:11], v12 offset:16656
	ds_read_b64 v[32:33], v32 offset:16640
	v_cmp_gt_u32_e64 s[10:11], 2, v14
	s_waitcnt lgkmcnt(0)
	v_fma_f64 v[10:11], v[10:11], v[32:33], 0
	s_and_saveexec_b64 s[16:17], s[10:11]
	s_cbranch_execz .LBB127_646
; %bb.645:
	v_lshlrev_b32_e32 v32, 3, v0
	v_mov_b32_e32 v34, 0
	ds_read_b64 v[32:33], v32 offset:17168
	ds_read_b64 v[34:35], v34 offset:16648
	s_waitcnt lgkmcnt(0)
	v_fma_f64 v[10:11], v[32:33], v[34:35], v[10:11]
.LBB127_646:
	s_or_b64 exec, exec, s[16:17]
	v_xor_b32_e32 v11, 0x80000000, v11
.LBB127_647:
	s_or_b64 exec, exec, s[12:13]
	s_and_saveexec_b64 s[10:11], s[38:39]
; %bb.648:
	ds_write_b64 v13, v[10:11]
; %bb.649:
	s_or_b64 exec, exec, s[10:11]
	s_waitcnt lgkmcnt(0)
	s_barrier
	s_and_saveexec_b64 s[10:11], s[36:37]
	s_cbranch_execz .LBB127_651
; %bb.650:
	v_mov_b32_e32 v32, 0
	ds_read_b64 v[32:33], v32 offset:17688
	ds_read_b64 v[34:35], v13
	s_waitcnt lgkmcnt(0)
	v_fma_f64 v[10:11], v[32:33], v[34:35], v[10:11]
.LBB127_651:
	s_or_b64 exec, exec, s[10:11]
	s_barrier
	s_and_saveexec_b64 s[10:11], s[36:37]
; %bb.652:
	ds_write_b64 v13, v[10:11]
; %bb.653:
	s_or_b64 exec, exec, s[10:11]
	s_waitcnt lgkmcnt(0)
	s_barrier
	s_barrier
	s_and_saveexec_b64 s[10:11], s[0:1]
; %bb.654:
	v_xor_b32_e32 v11, 0x80000000, v11
	ds_write_b64 v12, v[10:11] offset:16656
; %bb.655:
	s_or_b64 exec, exec, s[10:11]
	s_waitcnt lgkmcnt(0)
	s_barrier
	s_barrier
	s_and_saveexec_b64 s[10:11], vcc
	s_cbranch_execz .LBB127_657
; %bb.656:
	s_mov_b64 s[12:13], 1.0
	v_mov_b32_e32 v10, s12
	v_mov_b32_e32 v11, s13
	s_movk_i32 s12, 0x4000
	v_add_u32_e64 v32, s12, 0
	ds_write2_b64 v32, v[10:11], v[10:11] offset0:162 offset1:227
.LBB127_657:
	s_or_b64 exec, exec, s[10:11]
	v_mov_b32_e32 v10, 0
	v_mov_b32_e32 v11, 0
	s_waitcnt lgkmcnt(0)
	s_barrier
	s_and_saveexec_b64 s[12:13], s[2:3]
	s_cbranch_execz .LBB127_663
; %bb.658:
	v_mul_u32_u24_e32 v32, 0x208, v21
	ds_read_b64 v[10:11], v16 offset:16672
	ds_read_b64 v[33:34], v32 offset:16640
	v_cmp_gt_u32_e64 s[10:11], 12, v14
	s_waitcnt lgkmcnt(0)
	v_fma_f64 v[10:11], v[10:11], v[33:34], 0
	s_and_saveexec_b64 s[16:17], s[10:11]
	s_cbranch_execnz .LBB127_1136
; %bb.659:
	s_or_b64 exec, exec, s[16:17]
	v_cmp_gt_u32_e64 s[10:11], 8, v14
	s_and_saveexec_b64 s[16:17], s[10:11]
	s_cbranch_execnz .LBB127_1137
.LBB127_660:
	s_or_b64 exec, exec, s[16:17]
	v_cmp_gt_u32_e64 s[10:11], 4, v14
	s_and_saveexec_b64 s[16:17], s[10:11]
	s_cbranch_execz .LBB127_662
.LBB127_661:
	v_lshlrev_b32_e32 v32, 3, v0
	v_mov_b32_e32 v34, 0
	ds_read_b64 v[32:33], v32 offset:18208
	ds_read_b64 v[34:35], v34 offset:16664
	s_waitcnt lgkmcnt(0)
	v_fma_f64 v[10:11], v[32:33], v[34:35], v[10:11]
.LBB127_662:
	s_or_b64 exec, exec, s[16:17]
	v_xor_b32_e32 v11, 0x80000000, v11
.LBB127_663:
	s_or_b64 exec, exec, s[12:13]
	s_and_saveexec_b64 s[10:11], s[42:43]
; %bb.664:
	ds_write_b64 v19, v[10:11]
; %bb.665:
	s_or_b64 exec, exec, s[10:11]
	s_waitcnt lgkmcnt(0)
	s_barrier
	s_and_saveexec_b64 s[10:11], s[44:45]
	s_cbranch_execz .LBB127_667
; %bb.666:
	ds_read_b64 v[32:33], v17 offset:18720
	ds_read_b64 v[34:35], v19
	s_waitcnt lgkmcnt(0)
	v_fma_f64 v[10:11], v[32:33], v[34:35], v[10:11]
.LBB127_667:
	s_or_b64 exec, exec, s[10:11]
	s_barrier
	s_and_saveexec_b64 s[10:11], s[46:47]
; %bb.668:
	ds_write_b64 v19, v[10:11]
; %bb.669:
	s_or_b64 exec, exec, s[10:11]
	s_waitcnt lgkmcnt(0)
	s_barrier
	s_and_saveexec_b64 s[10:11], s[48:49]
	s_cbranch_execz .LBB127_671
; %bb.670:
	ds_read_b64 v[32:33], v17 offset:19232
	ds_read_b64 v[34:35], v19
	s_waitcnt lgkmcnt(0)
	v_fma_f64 v[10:11], v[32:33], v[34:35], v[10:11]
.LBB127_671:
	s_or_b64 exec, exec, s[10:11]
	s_barrier
	s_and_saveexec_b64 s[10:11], s[50:51]
; %bb.672:
	ds_write_b64 v19, v[10:11]
; %bb.673:
	s_or_b64 exec, exec, s[10:11]
	s_waitcnt lgkmcnt(0)
	s_barrier
	s_and_saveexec_b64 s[10:11], s[40:41]
	s_cbranch_execz .LBB127_675
; %bb.674:
	v_mov_b32_e32 v32, 0
	ds_read_b64 v[32:33], v32 offset:19768
	ds_read_b64 v[34:35], v19
	s_waitcnt lgkmcnt(0)
	v_fma_f64 v[10:11], v[32:33], v[34:35], v[10:11]
.LBB127_675:
	s_or_b64 exec, exec, s[10:11]
	s_barrier
	s_and_saveexec_b64 s[10:11], s[40:41]
; %bb.676:
	ds_write_b64 v19, v[10:11]
; %bb.677:
	s_or_b64 exec, exec, s[10:11]
	s_waitcnt lgkmcnt(0)
	s_barrier
	s_barrier
	s_and_saveexec_b64 s[10:11], s[2:3]
; %bb.678:
	v_xor_b32_e32 v11, 0x80000000, v11
	ds_write_b64 v16, v[10:11] offset:16672
; %bb.679:
	s_or_b64 exec, exec, s[10:11]
	s_waitcnt lgkmcnt(0)
	s_barrier
	s_barrier
	s_and_saveexec_b64 s[10:11], vcc
	s_cbranch_execz .LBB127_681
; %bb.680:
	s_mov_b64 s[12:13], 1.0
	v_mov_b32_e32 v10, s12
	v_mov_b32_e32 v11, s13
	s_movk_i32 s12, 0x4800
	v_add_u32_e64 v32, s12, 0
	ds_write2_b64 v32, v[10:11], v[10:11] offset0:36 offset1:101
.LBB127_681:
	s_or_b64 exec, exec, s[10:11]
	v_mov_b32_e32 v10, 0
	v_mov_b32_e32 v11, 0
	s_waitcnt lgkmcnt(0)
	s_barrier
	s_and_saveexec_b64 s[12:13], s[0:1]
	s_cbranch_execz .LBB127_685
; %bb.682:
	v_mul_u32_u24_e32 v32, 0x208, v15
	ds_read_b64 v[10:11], v12 offset:18736
	ds_read_b64 v[32:33], v32 offset:18720
	v_cmp_gt_u32_e64 s[10:11], 2, v14
	s_waitcnt lgkmcnt(0)
	v_fma_f64 v[10:11], v[10:11], v[32:33], 0
	s_and_saveexec_b64 s[16:17], s[10:11]
	s_cbranch_execz .LBB127_684
; %bb.683:
	v_lshlrev_b32_e32 v32, 3, v0
	v_mov_b32_e32 v34, 0
	ds_read_b64 v[32:33], v32 offset:19248
	ds_read_b64 v[34:35], v34 offset:18728
	s_waitcnt lgkmcnt(0)
	v_fma_f64 v[10:11], v[32:33], v[34:35], v[10:11]
.LBB127_684:
	s_or_b64 exec, exec, s[16:17]
	v_xor_b32_e32 v11, 0x80000000, v11
.LBB127_685:
	s_or_b64 exec, exec, s[12:13]
	s_and_saveexec_b64 s[10:11], s[38:39]
; %bb.686:
	ds_write_b64 v13, v[10:11]
; %bb.687:
	s_or_b64 exec, exec, s[10:11]
	s_waitcnt lgkmcnt(0)
	s_barrier
	s_and_saveexec_b64 s[10:11], s[36:37]
	s_cbranch_execz .LBB127_689
; %bb.688:
	v_mov_b32_e32 v32, 0
	ds_read_b64 v[32:33], v32 offset:19768
	ds_read_b64 v[34:35], v13
	s_waitcnt lgkmcnt(0)
	v_fma_f64 v[10:11], v[32:33], v[34:35], v[10:11]
.LBB127_689:
	s_or_b64 exec, exec, s[10:11]
	s_barrier
	s_and_saveexec_b64 s[10:11], s[36:37]
; %bb.690:
	ds_write_b64 v13, v[10:11]
; %bb.691:
	s_or_b64 exec, exec, s[10:11]
	s_waitcnt lgkmcnt(0)
	s_barrier
	s_barrier
	s_and_saveexec_b64 s[10:11], s[0:1]
; %bb.692:
	v_xor_b32_e32 v11, 0x80000000, v11
	ds_write_b64 v12, v[10:11] offset:18736
; %bb.693:
	s_or_b64 exec, exec, s[10:11]
	s_waitcnt lgkmcnt(0)
	s_barrier
	s_barrier
	s_and_saveexec_b64 s[10:11], vcc
	s_cbranch_execz .LBB127_695
; %bb.694:
	s_mov_b64 s[12:13], 1.0
	v_mov_b32_e32 v10, s12
	v_mov_b32_e32 v11, s13
	s_movk_i32 s12, 0x4800
	v_add_u32_e64 v32, s12, 0
	ds_write2_b64 v32, v[10:11], v[10:11] offset0:166 offset1:231
.LBB127_695:
	s_or_b64 exec, exec, s[10:11]
	v_mov_b32_e32 v10, 0
	v_mov_b32_e32 v11, 0
	s_waitcnt lgkmcnt(0)
	s_barrier
	s_and_saveexec_b64 s[12:13], s[14:15]
	s_cbranch_execz .LBB127_705
; %bb.696:
	v_mul_u32_u24_e32 v32, 0x208, v26
	ds_read_b64 v[10:11], v22 offset:16704
	ds_read_b64 v[33:34], v32 offset:16640
	v_cmp_gt_u32_e64 s[10:11], 56, v14
	s_waitcnt lgkmcnt(0)
	v_fma_f64 v[10:11], v[10:11], v[33:34], 0
	s_and_saveexec_b64 s[16:17], s[10:11]
	s_cbranch_execnz .LBB127_1138
; %bb.697:
	s_or_b64 exec, exec, s[16:17]
	v_cmp_gt_u32_e64 s[10:11], 48, v14
	s_and_saveexec_b64 s[16:17], s[10:11]
	s_cbranch_execnz .LBB127_1139
.LBB127_698:
	s_or_b64 exec, exec, s[16:17]
	v_cmp_gt_u32_e64 s[10:11], 40, v14
	s_and_saveexec_b64 s[16:17], s[10:11]
	s_cbranch_execnz .LBB127_1140
.LBB127_699:
	s_or_b64 exec, exec, s[16:17]
	v_cmp_gt_u32_e64 s[10:11], 32, v14
	s_and_saveexec_b64 s[16:17], s[10:11]
	s_cbranch_execnz .LBB127_1141
.LBB127_700:
	s_or_b64 exec, exec, s[16:17]
	v_cmp_gt_u32_e64 s[10:11], 24, v14
	s_and_saveexec_b64 s[16:17], s[10:11]
	s_cbranch_execnz .LBB127_1142
.LBB127_701:
	s_or_b64 exec, exec, s[16:17]
	v_cmp_gt_u32_e64 s[10:11], 16, v14
	s_and_saveexec_b64 s[16:17], s[10:11]
	s_cbranch_execnz .LBB127_1143
.LBB127_702:
	s_or_b64 exec, exec, s[16:17]
	v_cmp_gt_u32_e64 s[10:11], 8, v14
	s_and_saveexec_b64 s[16:17], s[10:11]
	s_cbranch_execz .LBB127_704
.LBB127_703:
	v_lshlrev_b32_e32 v32, 3, v0
	v_mov_b32_e32 v34, 0
	ds_read_b64 v[32:33], v32 offset:20288
	ds_read_b64 v[34:35], v34 offset:16696
	s_waitcnt lgkmcnt(0)
	v_fma_f64 v[10:11], v[32:33], v[34:35], v[10:11]
.LBB127_704:
	s_or_b64 exec, exec, s[16:17]
	v_xor_b32_e32 v11, 0x80000000, v11
.LBB127_705:
	s_or_b64 exec, exec, s[12:13]
	s_and_saveexec_b64 s[10:11], s[52:53]
; %bb.706:
	ds_write_b64 v24, v[10:11]
; %bb.707:
	s_or_b64 exec, exec, s[10:11]
	s_waitcnt lgkmcnt(0)
	s_barrier
	s_and_saveexec_b64 s[10:11], s[54:55]
	s_cbranch_execz .LBB127_709
; %bb.708:
	ds_read_b64 v[32:33], v23 offset:20800
	ds_read_b64 v[34:35], v24
	s_waitcnt lgkmcnt(0)
	v_fma_f64 v[10:11], v[32:33], v[34:35], v[10:11]
.LBB127_709:
	s_or_b64 exec, exec, s[10:11]
	s_barrier
	s_and_saveexec_b64 s[10:11], s[56:57]
; %bb.710:
	ds_write_b64 v24, v[10:11]
; %bb.711:
	s_or_b64 exec, exec, s[10:11]
	s_waitcnt lgkmcnt(0)
	s_barrier
	s_and_saveexec_b64 s[10:11], s[58:59]
	s_cbranch_execz .LBB127_713
; %bb.712:
	ds_read_b64 v[32:33], v23 offset:21312
	ds_read_b64 v[34:35], v24
	s_waitcnt lgkmcnt(0)
	v_fma_f64 v[10:11], v[32:33], v[34:35], v[10:11]
.LBB127_713:
	s_or_b64 exec, exec, s[10:11]
	s_barrier
	s_and_saveexec_b64 s[10:11], s[60:61]
; %bb.714:
	ds_write_b64 v24, v[10:11]
; %bb.715:
	s_or_b64 exec, exec, s[10:11]
	s_waitcnt lgkmcnt(0)
	s_barrier
	s_and_saveexec_b64 s[10:11], s[64:65]
	s_cbranch_execz .LBB127_717
; %bb.716:
	ds_read_b64 v[32:33], v23 offset:21824
	ds_read_b64 v[34:35], v24
	s_waitcnt lgkmcnt(0)
	v_fma_f64 v[10:11], v[32:33], v[34:35], v[10:11]
.LBB127_717:
	s_or_b64 exec, exec, s[10:11]
	s_barrier
	s_and_saveexec_b64 s[10:11], s[66:67]
; %bb.718:
	ds_write_b64 v24, v[10:11]
; %bb.719:
	s_or_b64 exec, exec, s[10:11]
	s_waitcnt lgkmcnt(0)
	s_barrier
	s_and_saveexec_b64 s[10:11], s[68:69]
	s_cbranch_execz .LBB127_721
; %bb.720:
	ds_read_b64 v[32:33], v23 offset:22336
	ds_read_b64 v[34:35], v24
	s_waitcnt lgkmcnt(0)
	v_fma_f64 v[10:11], v[32:33], v[34:35], v[10:11]
.LBB127_721:
	s_or_b64 exec, exec, s[10:11]
	s_barrier
	s_and_saveexec_b64 s[10:11], s[70:71]
; %bb.722:
	ds_write_b64 v24, v[10:11]
; %bb.723:
	s_or_b64 exec, exec, s[10:11]
	s_waitcnt lgkmcnt(0)
	s_barrier
	s_and_saveexec_b64 s[10:11], s[72:73]
	s_cbranch_execz .LBB127_725
; %bb.724:
	ds_read_b64 v[32:33], v23 offset:22848
	ds_read_b64 v[34:35], v24
	s_waitcnt lgkmcnt(0)
	v_fma_f64 v[10:11], v[32:33], v[34:35], v[10:11]
.LBB127_725:
	s_or_b64 exec, exec, s[10:11]
	s_barrier
	s_and_saveexec_b64 s[10:11], s[74:75]
; %bb.726:
	ds_write_b64 v24, v[10:11]
; %bb.727:
	s_or_b64 exec, exec, s[10:11]
	s_waitcnt lgkmcnt(0)
	s_barrier
	s_and_saveexec_b64 s[10:11], s[76:77]
	s_cbranch_execz .LBB127_729
; %bb.728:
	ds_read_b64 v[32:33], v23 offset:23360
	ds_read_b64 v[34:35], v24
	s_waitcnt lgkmcnt(0)
	v_fma_f64 v[10:11], v[32:33], v[34:35], v[10:11]
.LBB127_729:
	s_or_b64 exec, exec, s[10:11]
	s_barrier
	s_and_saveexec_b64 s[10:11], s[78:79]
; %bb.730:
	ds_write_b64 v24, v[10:11]
; %bb.731:
	s_or_b64 exec, exec, s[10:11]
	s_waitcnt lgkmcnt(0)
	s_barrier
	s_and_saveexec_b64 s[10:11], s[62:63]
	s_cbranch_execz .LBB127_733
; %bb.732:
	v_mov_b32_e32 v32, 0
	ds_read_b64 v[32:33], v32 offset:23928
	ds_read_b64 v[34:35], v24
	s_waitcnt lgkmcnt(0)
	v_fma_f64 v[10:11], v[32:33], v[34:35], v[10:11]
.LBB127_733:
	s_or_b64 exec, exec, s[10:11]
	s_barrier
	s_and_saveexec_b64 s[10:11], s[62:63]
; %bb.734:
	ds_write_b64 v24, v[10:11]
; %bb.735:
	s_or_b64 exec, exec, s[10:11]
	s_waitcnt lgkmcnt(0)
	s_barrier
	s_barrier
	s_and_saveexec_b64 s[10:11], s[14:15]
; %bb.736:
	v_xor_b32_e32 v11, 0x80000000, v11
	ds_write_b64 v22, v[10:11] offset:16704
; %bb.737:
	s_or_b64 exec, exec, s[10:11]
	s_waitcnt lgkmcnt(0)
	s_barrier
	s_barrier
	s_and_saveexec_b64 s[10:11], vcc
	s_cbranch_execz .LBB127_739
; %bb.738:
	s_mov_b64 s[12:13], 1.0
	v_mov_b32_e32 v10, s12
	v_mov_b32_e32 v11, s13
	s_movk_i32 s12, 0x5000
	v_add_u32_e64 v32, s12, 0
	ds_write2_b64 v32, v[10:11], v[10:11] offset0:40 offset1:105
.LBB127_739:
	s_or_b64 exec, exec, s[10:11]
	v_mov_b32_e32 v10, 0
	v_mov_b32_e32 v11, 0
	s_waitcnt lgkmcnt(0)
	s_barrier
	s_and_saveexec_b64 s[12:13], s[0:1]
	s_cbranch_execz .LBB127_743
; %bb.740:
	v_mul_u32_u24_e32 v32, 0x208, v15
	ds_read_b64 v[10:11], v12 offset:20816
	ds_read_b64 v[32:33], v32 offset:20800
	v_cmp_gt_u32_e64 s[10:11], 2, v14
	s_waitcnt lgkmcnt(0)
	v_fma_f64 v[10:11], v[10:11], v[32:33], 0
	s_and_saveexec_b64 s[16:17], s[10:11]
	s_cbranch_execz .LBB127_742
; %bb.741:
	v_lshlrev_b32_e32 v32, 3, v0
	v_mov_b32_e32 v34, 0
	ds_read_b64 v[32:33], v32 offset:21328
	ds_read_b64 v[34:35], v34 offset:20808
	s_waitcnt lgkmcnt(0)
	v_fma_f64 v[10:11], v[32:33], v[34:35], v[10:11]
.LBB127_742:
	s_or_b64 exec, exec, s[16:17]
	v_xor_b32_e32 v11, 0x80000000, v11
.LBB127_743:
	s_or_b64 exec, exec, s[12:13]
	s_and_saveexec_b64 s[10:11], s[38:39]
; %bb.744:
	ds_write_b64 v13, v[10:11]
; %bb.745:
	s_or_b64 exec, exec, s[10:11]
	s_waitcnt lgkmcnt(0)
	s_barrier
	s_and_saveexec_b64 s[10:11], s[36:37]
	s_cbranch_execz .LBB127_747
; %bb.746:
	v_mov_b32_e32 v32, 0
	ds_read_b64 v[32:33], v32 offset:21848
	ds_read_b64 v[34:35], v13
	s_waitcnt lgkmcnt(0)
	v_fma_f64 v[10:11], v[32:33], v[34:35], v[10:11]
.LBB127_747:
	s_or_b64 exec, exec, s[10:11]
	s_barrier
	s_and_saveexec_b64 s[10:11], s[36:37]
; %bb.748:
	ds_write_b64 v13, v[10:11]
; %bb.749:
	s_or_b64 exec, exec, s[10:11]
	s_waitcnt lgkmcnt(0)
	s_barrier
	s_barrier
	s_and_saveexec_b64 s[10:11], s[0:1]
; %bb.750:
	v_xor_b32_e32 v11, 0x80000000, v11
	ds_write_b64 v12, v[10:11] offset:20816
; %bb.751:
	s_or_b64 exec, exec, s[10:11]
	s_waitcnt lgkmcnt(0)
	s_barrier
	s_barrier
	s_and_saveexec_b64 s[10:11], vcc
	s_cbranch_execz .LBB127_753
; %bb.752:
	s_mov_b64 s[12:13], 1.0
	v_mov_b32_e32 v10, s12
	v_mov_b32_e32 v11, s13
	s_movk_i32 s12, 0x5000
	v_add_u32_e64 v32, s12, 0
	ds_write2_b64 v32, v[10:11], v[10:11] offset0:170 offset1:235
.LBB127_753:
	s_or_b64 exec, exec, s[10:11]
	v_mov_b32_e32 v10, 0
	v_mov_b32_e32 v11, 0
	s_waitcnt lgkmcnt(0)
	s_barrier
	s_and_saveexec_b64 s[12:13], s[2:3]
	s_cbranch_execz .LBB127_759
; %bb.754:
	v_mul_u32_u24_e32 v32, 0x208, v21
	ds_read_b64 v[10:11], v16 offset:20832
	ds_read_b64 v[33:34], v32 offset:20800
	v_cmp_gt_u32_e64 s[10:11], 12, v14
	s_waitcnt lgkmcnt(0)
	v_fma_f64 v[10:11], v[10:11], v[33:34], 0
	s_and_saveexec_b64 s[16:17], s[10:11]
	s_cbranch_execnz .LBB127_1144
; %bb.755:
	s_or_b64 exec, exec, s[16:17]
	v_cmp_gt_u32_e64 s[10:11], 8, v14
	s_and_saveexec_b64 s[16:17], s[10:11]
	s_cbranch_execnz .LBB127_1145
.LBB127_756:
	s_or_b64 exec, exec, s[16:17]
	v_cmp_gt_u32_e64 s[10:11], 4, v14
	s_and_saveexec_b64 s[16:17], s[10:11]
	s_cbranch_execz .LBB127_758
.LBB127_757:
	v_lshlrev_b32_e32 v32, 3, v0
	v_mov_b32_e32 v34, 0
	ds_read_b64 v[32:33], v32 offset:22368
	ds_read_b64 v[34:35], v34 offset:20824
	s_waitcnt lgkmcnt(0)
	v_fma_f64 v[10:11], v[32:33], v[34:35], v[10:11]
.LBB127_758:
	s_or_b64 exec, exec, s[16:17]
	v_xor_b32_e32 v11, 0x80000000, v11
.LBB127_759:
	s_or_b64 exec, exec, s[12:13]
	s_and_saveexec_b64 s[10:11], s[42:43]
; %bb.760:
	ds_write_b64 v19, v[10:11]
; %bb.761:
	s_or_b64 exec, exec, s[10:11]
	s_waitcnt lgkmcnt(0)
	s_barrier
	s_and_saveexec_b64 s[10:11], s[44:45]
	s_cbranch_execz .LBB127_763
; %bb.762:
	ds_read_b64 v[32:33], v17 offset:22880
	ds_read_b64 v[34:35], v19
	s_waitcnt lgkmcnt(0)
	v_fma_f64 v[10:11], v[32:33], v[34:35], v[10:11]
.LBB127_763:
	s_or_b64 exec, exec, s[10:11]
	s_barrier
	s_and_saveexec_b64 s[10:11], s[46:47]
; %bb.764:
	ds_write_b64 v19, v[10:11]
; %bb.765:
	s_or_b64 exec, exec, s[10:11]
	s_waitcnt lgkmcnt(0)
	s_barrier
	s_and_saveexec_b64 s[10:11], s[48:49]
	s_cbranch_execz .LBB127_767
; %bb.766:
	ds_read_b64 v[32:33], v17 offset:23392
	ds_read_b64 v[34:35], v19
	s_waitcnt lgkmcnt(0)
	v_fma_f64 v[10:11], v[32:33], v[34:35], v[10:11]
.LBB127_767:
	s_or_b64 exec, exec, s[10:11]
	s_barrier
	s_and_saveexec_b64 s[10:11], s[50:51]
; %bb.768:
	ds_write_b64 v19, v[10:11]
; %bb.769:
	s_or_b64 exec, exec, s[10:11]
	s_waitcnt lgkmcnt(0)
	s_barrier
	s_and_saveexec_b64 s[10:11], s[40:41]
	s_cbranch_execz .LBB127_771
; %bb.770:
	v_mov_b32_e32 v32, 0
	ds_read_b64 v[32:33], v32 offset:23928
	ds_read_b64 v[34:35], v19
	s_waitcnt lgkmcnt(0)
	v_fma_f64 v[10:11], v[32:33], v[34:35], v[10:11]
.LBB127_771:
	s_or_b64 exec, exec, s[10:11]
	s_barrier
	s_and_saveexec_b64 s[10:11], s[40:41]
; %bb.772:
	ds_write_b64 v19, v[10:11]
; %bb.773:
	s_or_b64 exec, exec, s[10:11]
	s_waitcnt lgkmcnt(0)
	s_barrier
	s_barrier
	s_and_saveexec_b64 s[10:11], s[2:3]
; %bb.774:
	v_xor_b32_e32 v11, 0x80000000, v11
	ds_write_b64 v16, v[10:11] offset:20832
; %bb.775:
	s_or_b64 exec, exec, s[10:11]
	s_waitcnt lgkmcnt(0)
	s_barrier
	s_barrier
	s_and_saveexec_b64 s[10:11], vcc
	s_cbranch_execz .LBB127_777
; %bb.776:
	s_mov_b64 s[12:13], 1.0
	v_mov_b32_e32 v10, s12
	v_mov_b32_e32 v11, s13
	s_movk_i32 s12, 0x5800
	v_add_u32_e64 v32, s12, 0
	ds_write2_b64 v32, v[10:11], v[10:11] offset0:44 offset1:109
.LBB127_777:
	s_or_b64 exec, exec, s[10:11]
	v_mov_b32_e32 v10, 0
	v_mov_b32_e32 v11, 0
	s_waitcnt lgkmcnt(0)
	s_barrier
	s_and_saveexec_b64 s[12:13], s[0:1]
	s_cbranch_execz .LBB127_781
; %bb.778:
	v_mul_u32_u24_e32 v32, 0x208, v15
	ds_read_b64 v[10:11], v12 offset:22896
	ds_read_b64 v[32:33], v32 offset:22880
	v_cmp_gt_u32_e64 s[10:11], 2, v14
	s_waitcnt lgkmcnt(0)
	v_fma_f64 v[10:11], v[10:11], v[32:33], 0
	s_and_saveexec_b64 s[16:17], s[10:11]
	s_cbranch_execz .LBB127_780
; %bb.779:
	v_lshlrev_b32_e32 v32, 3, v0
	v_mov_b32_e32 v34, 0
	ds_read_b64 v[32:33], v32 offset:23408
	ds_read_b64 v[34:35], v34 offset:22888
	s_waitcnt lgkmcnt(0)
	v_fma_f64 v[10:11], v[32:33], v[34:35], v[10:11]
.LBB127_780:
	s_or_b64 exec, exec, s[16:17]
	v_xor_b32_e32 v11, 0x80000000, v11
.LBB127_781:
	s_or_b64 exec, exec, s[12:13]
	s_and_saveexec_b64 s[10:11], s[38:39]
; %bb.782:
	ds_write_b64 v13, v[10:11]
; %bb.783:
	s_or_b64 exec, exec, s[10:11]
	s_waitcnt lgkmcnt(0)
	s_barrier
	s_and_saveexec_b64 s[10:11], s[36:37]
	s_cbranch_execz .LBB127_785
; %bb.784:
	v_mov_b32_e32 v32, 0
	ds_read_b64 v[32:33], v32 offset:23928
	ds_read_b64 v[34:35], v13
	s_waitcnt lgkmcnt(0)
	v_fma_f64 v[10:11], v[32:33], v[34:35], v[10:11]
.LBB127_785:
	s_or_b64 exec, exec, s[10:11]
	s_barrier
	s_and_saveexec_b64 s[10:11], s[36:37]
; %bb.786:
	ds_write_b64 v13, v[10:11]
; %bb.787:
	s_or_b64 exec, exec, s[10:11]
	s_waitcnt lgkmcnt(0)
	s_barrier
	s_barrier
	s_and_saveexec_b64 s[10:11], s[0:1]
; %bb.788:
	v_xor_b32_e32 v11, 0x80000000, v11
	ds_write_b64 v12, v[10:11] offset:22896
; %bb.789:
	s_or_b64 exec, exec, s[10:11]
	s_waitcnt lgkmcnt(0)
	s_barrier
	s_barrier
	s_and_saveexec_b64 s[10:11], vcc
	s_cbranch_execz .LBB127_791
; %bb.790:
	s_mov_b64 s[12:13], 1.0
	v_mov_b32_e32 v10, s12
	v_mov_b32_e32 v11, s13
	s_movk_i32 s12, 0x5800
	v_add_u32_e64 v32, s12, 0
	ds_write2_b64 v32, v[10:11], v[10:11] offset0:174 offset1:239
.LBB127_791:
	s_or_b64 exec, exec, s[10:11]
	v_mov_b32_e32 v10, 0
	v_mov_b32_e32 v11, 0
	s_waitcnt lgkmcnt(0)
	s_barrier
	s_and_saveexec_b64 s[12:13], s[8:9]
	s_cbranch_execz .LBB127_819
; %bb.792:
	v_mul_u32_u24_e32 v32, 0x208, v31
	ds_read_b64 v[10:11], v27 offset:16768
	ds_read_b64 v[33:34], v32 offset:16640
	s_movk_i32 s10, 0xf0
	v_cmp_gt_u32_e64 s[10:11], s10, v14
	s_waitcnt lgkmcnt(0)
	v_fma_f64 v[10:11], v[10:11], v[33:34], 0
	s_and_saveexec_b64 s[16:17], s[10:11]
	s_cbranch_execz .LBB127_794
; %bb.793:
	v_lshlrev_b32_e32 v33, 3, v31
	v_sub_u32_e32 v33, v32, v33
	v_lshl_add_u32 v33, v28, 3, v33
	ds_read_b64 v[33:34], v33 offset:17280
	ds_read_b64 v[35:36], v32 offset:16648
	s_waitcnt lgkmcnt(0)
	v_fma_f64 v[10:11], v[33:34], v[35:36], v[10:11]
.LBB127_794:
	s_or_b64 exec, exec, s[16:17]
	s_movk_i32 s10, 0xe0
	v_cmp_gt_u32_e64 s[10:11], s10, v14
	s_and_saveexec_b64 s[16:17], s[10:11]
	s_cbranch_execz .LBB127_796
; %bb.795:
	v_lshlrev_b32_e32 v33, 3, v31
	v_sub_u32_e32 v33, v32, v33
	v_lshl_add_u32 v33, v28, 3, v33
	ds_read_b64 v[33:34], v33 offset:17792
	ds_read_b64 v[35:36], v32 offset:16656
	s_waitcnt lgkmcnt(0)
	v_fma_f64 v[10:11], v[33:34], v[35:36], v[10:11]
.LBB127_796:
	s_or_b64 exec, exec, s[16:17]
	s_movk_i32 s10, 0xd0
	v_cmp_gt_u32_e64 s[10:11], s10, v14
	;; [unrolled: 14-line block ×7, first 2 shown]
	s_and_saveexec_b64 s[16:17], s[10:11]
	s_cbranch_execz .LBB127_808
; %bb.807:
	ds_read_b64 v[33:34], v27 offset:20864
	ds_read_b64 v[35:36], v32 offset:16704
	s_waitcnt lgkmcnt(0)
	v_fma_f64 v[10:11], v[33:34], v[35:36], v[10:11]
.LBB127_808:
	s_or_b64 exec, exec, s[16:17]
	s_movk_i32 s10, 0x70
	v_cmp_gt_u32_e64 s[10:11], s10, v14
	s_and_saveexec_b64 s[16:17], s[10:11]
	s_cbranch_execz .LBB127_810
; %bb.809:
	v_lshlrev_b32_e32 v31, 3, v28
	v_lshl_add_u32 v31, v30, 3, v31
	ds_read_b64 v[33:34], v31 offset:21376
	ds_read_b64 v[35:36], v32 offset:16712
	s_waitcnt lgkmcnt(0)
	v_fma_f64 v[10:11], v[33:34], v[35:36], v[10:11]
.LBB127_810:
	s_or_b64 exec, exec, s[16:17]
	s_movk_i32 s10, 0x60
	v_cmp_gt_u32_e64 s[10:11], s10, v14
	s_and_saveexec_b64 s[16:17], s[10:11]
	s_cbranch_execz .LBB127_812
; %bb.811:
	v_lshlrev_b32_e32 v31, 3, v28
	v_lshl_add_u32 v31, v30, 3, v31
	ds_read_b64 v[33:34], v31 offset:21888
	ds_read_b64 v[35:36], v32 offset:16720
	s_waitcnt lgkmcnt(0)
	v_fma_f64 v[10:11], v[33:34], v[35:36], v[10:11]
.LBB127_812:
	s_or_b64 exec, exec, s[16:17]
	s_movk_i32 s10, 0x50
	v_cmp_gt_u32_e64 s[10:11], s10, v14
	s_and_saveexec_b64 s[16:17], s[10:11]
	s_cbranch_execnz .LBB127_1146
; %bb.813:
	s_or_b64 exec, exec, s[16:17]
	v_cmp_gt_u32_e64 s[10:11], 64, v14
	s_and_saveexec_b64 s[16:17], s[10:11]
	s_cbranch_execnz .LBB127_1147
.LBB127_814:
	s_or_b64 exec, exec, s[16:17]
	v_cmp_gt_u32_e64 s[10:11], 48, v14
	s_and_saveexec_b64 s[16:17], s[10:11]
	s_cbranch_execnz .LBB127_1148
.LBB127_815:
	s_or_b64 exec, exec, s[16:17]
	v_cmp_gt_u32_e64 s[10:11], 32, v14
	s_and_saveexec_b64 s[16:17], s[10:11]
	s_cbranch_execnz .LBB127_1149
.LBB127_816:
	s_or_b64 exec, exec, s[16:17]
	v_cmp_gt_u32_e64 s[10:11], 16, v14
	s_and_saveexec_b64 s[16:17], s[10:11]
	s_cbranch_execz .LBB127_818
.LBB127_817:
	v_lshlrev_b32_e32 v30, 3, v0
	v_mov_b32_e32 v32, 0
	ds_read_b64 v[30:31], v30 offset:24448
	ds_read_b64 v[32:33], v32 offset:16760
	s_waitcnt lgkmcnt(0)
	v_fma_f64 v[10:11], v[30:31], v[32:33], v[10:11]
.LBB127_818:
	s_or_b64 exec, exec, s[16:17]
	v_xor_b32_e32 v11, 0x80000000, v11
.LBB127_819:
	s_or_b64 exec, exec, s[12:13]
	s_mov_b64 s[10:11], exec
	v_readlane_b32 s12, v41, 2
	v_readlane_b32 s13, v41, 3
	s_and_b64 s[12:13], s[10:11], s[12:13]
	s_mov_b64 exec, s[12:13]
; %bb.820:
	ds_write_b64 v29, v[10:11]
; %bb.821:
	s_or_b64 exec, exec, s[10:11]
	s_waitcnt lgkmcnt(0)
	s_barrier
	s_mov_b64 s[10:11], exec
	v_readlane_b32 s12, v41, 4
	v_readlane_b32 s13, v41, 5
	s_and_b64 s[12:13], s[10:11], s[12:13]
	s_mov_b64 exec, s[12:13]
	s_cbranch_execz .LBB127_823
; %bb.822:
	v_lshlrev_b32_e32 v30, 3, v28
	ds_read_b64 v[30:31], v30 offset:24960
	ds_read_b64 v[32:33], v29
	s_waitcnt lgkmcnt(0)
	v_fma_f64 v[10:11], v[30:31], v[32:33], v[10:11]
.LBB127_823:
	s_or_b64 exec, exec, s[10:11]
	s_barrier
	s_mov_b64 s[10:11], exec
	v_readlane_b32 s12, v41, 6
	v_readlane_b32 s13, v41, 7
	s_and_b64 s[12:13], s[10:11], s[12:13]
	s_mov_b64 exec, s[12:13]
; %bb.824:
	ds_write_b64 v29, v[10:11]
; %bb.825:
	s_or_b64 exec, exec, s[10:11]
	s_waitcnt lgkmcnt(0)
	s_barrier
	s_mov_b64 s[10:11], exec
	v_readlane_b32 s12, v41, 8
	v_readlane_b32 s13, v41, 9
	s_and_b64 s[12:13], s[10:11], s[12:13]
	s_mov_b64 exec, s[12:13]
	s_cbranch_execz .LBB127_827
; %bb.826:
	v_lshlrev_b32_e32 v30, 3, v28
	ds_read_b64 v[30:31], v30 offset:25472
	ds_read_b64 v[32:33], v29
	s_waitcnt lgkmcnt(0)
	v_fma_f64 v[10:11], v[30:31], v[32:33], v[10:11]
.LBB127_827:
	s_or_b64 exec, exec, s[10:11]
	s_barrier
	;; [unrolled: 26-line block ×12, first 2 shown]
	s_and_saveexec_b64 s[10:11], s[94:95]
; %bb.868:
	ds_write_b64 v29, v[10:11]
; %bb.869:
	s_or_b64 exec, exec, s[10:11]
	s_waitcnt lgkmcnt(0)
	s_barrier
	s_and_saveexec_b64 s[10:11], s[28:29]
	s_cbranch_execz .LBB127_871
; %bb.870:
	v_lshlrev_b32_e32 v30, 3, v28
	ds_read_b64 v[30:31], v30 offset:31104
	ds_read_b64 v[32:33], v29
	s_waitcnt lgkmcnt(0)
	v_fma_f64 v[10:11], v[30:31], v[32:33], v[10:11]
.LBB127_871:
	s_or_b64 exec, exec, s[10:11]
	s_barrier
	s_and_saveexec_b64 s[10:11], s[80:81]
; %bb.872:
	ds_write_b64 v29, v[10:11]
; %bb.873:
	s_or_b64 exec, exec, s[10:11]
	s_waitcnt lgkmcnt(0)
	s_barrier
	s_and_saveexec_b64 s[10:11], s[82:83]
	s_cbranch_execz .LBB127_875
; %bb.874:
	v_lshlrev_b32_e32 v28, 3, v28
	ds_read_b64 v[30:31], v28 offset:31616
	ds_read_b64 v[32:33], v29
	s_waitcnt lgkmcnt(0)
	v_fma_f64 v[10:11], v[30:31], v[32:33], v[10:11]
.LBB127_875:
	s_or_b64 exec, exec, s[10:11]
	s_barrier
	s_and_saveexec_b64 s[10:11], s[84:85]
; %bb.876:
	ds_write_b64 v29, v[10:11]
; %bb.877:
	s_or_b64 exec, exec, s[10:11]
	s_waitcnt lgkmcnt(0)
	s_barrier
	s_and_saveexec_b64 s[10:11], s[86:87]
	s_cbranch_execz .LBB127_879
; %bb.878:
	v_mov_b32_e32 v28, 0
	ds_read_b64 v[30:31], v28 offset:32248
	ds_read_b64 v[32:33], v29
	s_waitcnt lgkmcnt(0)
	v_fma_f64 v[10:11], v[30:31], v[32:33], v[10:11]
.LBB127_879:
	s_or_b64 exec, exec, s[10:11]
	s_barrier
	s_and_saveexec_b64 s[10:11], s[86:87]
; %bb.880:
	ds_write_b64 v29, v[10:11]
; %bb.881:
	s_or_b64 exec, exec, s[10:11]
	s_waitcnt lgkmcnt(0)
	s_barrier
	s_barrier
	s_and_saveexec_b64 s[10:11], s[8:9]
; %bb.882:
	v_xor_b32_e32 v11, 0x80000000, v11
	ds_write_b64 v27, v[10:11] offset:16768
; %bb.883:
	s_or_b64 exec, exec, s[10:11]
	s_waitcnt lgkmcnt(0)
	s_barrier
	s_barrier
	s_and_saveexec_b64 s[8:9], vcc
	s_cbranch_execz .LBB127_885
; %bb.884:
	s_mov_b64 s[10:11], 1.0
	v_mov_b32_e32 v10, s10
	v_mov_b32_e32 v11, s11
	s_movk_i32 s10, 0x6000
	v_add_u32_e64 v27, s10, 0
	ds_write2_b64 v27, v[10:11], v[10:11] offset0:48 offset1:113
.LBB127_885:
	s_or_b64 exec, exec, s[8:9]
	v_mov_b32_e32 v10, 0
	v_mov_b32_e32 v11, 0
	s_waitcnt lgkmcnt(0)
	s_barrier
	s_and_saveexec_b64 s[10:11], s[0:1]
	s_cbranch_execz .LBB127_889
; %bb.886:
	v_mul_u32_u24_e32 v27, 0x208, v15
	ds_read_b64 v[10:11], v12 offset:24976
	ds_read_b64 v[27:28], v27 offset:24960
	v_cmp_gt_u32_e64 s[8:9], 2, v14
	s_waitcnt lgkmcnt(0)
	v_fma_f64 v[10:11], v[10:11], v[27:28], 0
	s_and_saveexec_b64 s[12:13], s[8:9]
	s_cbranch_execz .LBB127_888
; %bb.887:
	v_lshlrev_b32_e32 v27, 3, v0
	v_mov_b32_e32 v29, 0
	ds_read_b64 v[27:28], v27 offset:25488
	ds_read_b64 v[29:30], v29 offset:24968
	s_waitcnt lgkmcnt(0)
	v_fma_f64 v[10:11], v[27:28], v[29:30], v[10:11]
.LBB127_888:
	s_or_b64 exec, exec, s[12:13]
	v_xor_b32_e32 v11, 0x80000000, v11
.LBB127_889:
	s_or_b64 exec, exec, s[10:11]
	s_and_saveexec_b64 s[8:9], s[38:39]
; %bb.890:
	ds_write_b64 v13, v[10:11]
; %bb.891:
	s_or_b64 exec, exec, s[8:9]
	s_waitcnt lgkmcnt(0)
	s_barrier
	s_and_saveexec_b64 s[8:9], s[36:37]
	s_cbranch_execz .LBB127_893
; %bb.892:
	v_mov_b32_e32 v27, 0
	ds_read_b64 v[27:28], v27 offset:26008
	ds_read_b64 v[29:30], v13
	s_waitcnt lgkmcnt(0)
	v_fma_f64 v[10:11], v[27:28], v[29:30], v[10:11]
.LBB127_893:
	s_or_b64 exec, exec, s[8:9]
	s_barrier
	s_and_saveexec_b64 s[8:9], s[36:37]
; %bb.894:
	ds_write_b64 v13, v[10:11]
; %bb.895:
	s_or_b64 exec, exec, s[8:9]
	s_waitcnt lgkmcnt(0)
	s_barrier
	s_barrier
	s_and_saveexec_b64 s[8:9], s[0:1]
; %bb.896:
	v_xor_b32_e32 v11, 0x80000000, v11
	ds_write_b64 v12, v[10:11] offset:24976
; %bb.897:
	s_or_b64 exec, exec, s[8:9]
	s_waitcnt lgkmcnt(0)
	s_barrier
	s_barrier
	s_and_saveexec_b64 s[8:9], vcc
	s_cbranch_execz .LBB127_899
; %bb.898:
	s_mov_b64 s[10:11], 1.0
	v_mov_b32_e32 v10, s10
	v_mov_b32_e32 v11, s11
	s_movk_i32 s10, 0x6000
	v_add_u32_e64 v27, s10, 0
	ds_write2_b64 v27, v[10:11], v[10:11] offset0:178 offset1:243
.LBB127_899:
	s_or_b64 exec, exec, s[8:9]
	v_mov_b32_e32 v10, 0
	v_mov_b32_e32 v11, 0
	s_waitcnt lgkmcnt(0)
	s_barrier
	s_and_saveexec_b64 s[10:11], s[2:3]
	s_cbranch_execz .LBB127_905
; %bb.900:
	v_mul_u32_u24_e32 v27, 0x208, v21
	ds_read_b64 v[10:11], v16 offset:24992
	ds_read_b64 v[28:29], v27 offset:24960
	v_cmp_gt_u32_e64 s[8:9], 12, v14
	s_waitcnt lgkmcnt(0)
	v_fma_f64 v[10:11], v[10:11], v[28:29], 0
	s_and_saveexec_b64 s[12:13], s[8:9]
	s_cbranch_execnz .LBB127_1150
; %bb.901:
	s_or_b64 exec, exec, s[12:13]
	v_cmp_gt_u32_e64 s[8:9], 8, v14
	s_and_saveexec_b64 s[12:13], s[8:9]
	s_cbranch_execnz .LBB127_1151
.LBB127_902:
	s_or_b64 exec, exec, s[12:13]
	v_cmp_gt_u32_e64 s[8:9], 4, v14
	s_and_saveexec_b64 s[12:13], s[8:9]
	s_cbranch_execz .LBB127_904
.LBB127_903:
	v_lshlrev_b32_e32 v27, 3, v0
	v_mov_b32_e32 v29, 0
	ds_read_b64 v[27:28], v27 offset:26528
	ds_read_b64 v[29:30], v29 offset:24984
	s_waitcnt lgkmcnt(0)
	v_fma_f64 v[10:11], v[27:28], v[29:30], v[10:11]
.LBB127_904:
	s_or_b64 exec, exec, s[12:13]
	v_xor_b32_e32 v11, 0x80000000, v11
.LBB127_905:
	s_or_b64 exec, exec, s[10:11]
	s_and_saveexec_b64 s[8:9], s[42:43]
; %bb.906:
	ds_write_b64 v19, v[10:11]
; %bb.907:
	s_or_b64 exec, exec, s[8:9]
	s_waitcnt lgkmcnt(0)
	s_barrier
	s_and_saveexec_b64 s[8:9], s[44:45]
	s_cbranch_execz .LBB127_909
; %bb.908:
	ds_read_b64 v[27:28], v17 offset:27040
	ds_read_b64 v[29:30], v19
	s_waitcnt lgkmcnt(0)
	v_fma_f64 v[10:11], v[27:28], v[29:30], v[10:11]
.LBB127_909:
	s_or_b64 exec, exec, s[8:9]
	s_barrier
	s_and_saveexec_b64 s[8:9], s[46:47]
; %bb.910:
	ds_write_b64 v19, v[10:11]
; %bb.911:
	s_or_b64 exec, exec, s[8:9]
	s_waitcnt lgkmcnt(0)
	s_barrier
	s_and_saveexec_b64 s[8:9], s[48:49]
	s_cbranch_execz .LBB127_913
; %bb.912:
	ds_read_b64 v[27:28], v17 offset:27552
	ds_read_b64 v[29:30], v19
	s_waitcnt lgkmcnt(0)
	v_fma_f64 v[10:11], v[27:28], v[29:30], v[10:11]
.LBB127_913:
	s_or_b64 exec, exec, s[8:9]
	s_barrier
	s_and_saveexec_b64 s[8:9], s[50:51]
; %bb.914:
	ds_write_b64 v19, v[10:11]
; %bb.915:
	s_or_b64 exec, exec, s[8:9]
	s_waitcnt lgkmcnt(0)
	s_barrier
	s_and_saveexec_b64 s[8:9], s[40:41]
	s_cbranch_execz .LBB127_917
; %bb.916:
	v_mov_b32_e32 v27, 0
	ds_read_b64 v[27:28], v27 offset:28088
	ds_read_b64 v[29:30], v19
	s_waitcnt lgkmcnt(0)
	v_fma_f64 v[10:11], v[27:28], v[29:30], v[10:11]
.LBB127_917:
	s_or_b64 exec, exec, s[8:9]
	s_barrier
	s_and_saveexec_b64 s[8:9], s[40:41]
; %bb.918:
	ds_write_b64 v19, v[10:11]
; %bb.919:
	s_or_b64 exec, exec, s[8:9]
	s_waitcnt lgkmcnt(0)
	s_barrier
	s_barrier
	s_and_saveexec_b64 s[8:9], s[2:3]
; %bb.920:
	v_xor_b32_e32 v11, 0x80000000, v11
	ds_write_b64 v16, v[10:11] offset:24992
; %bb.921:
	s_or_b64 exec, exec, s[8:9]
	s_waitcnt lgkmcnt(0)
	s_barrier
	s_barrier
	s_and_saveexec_b64 s[8:9], vcc
	s_cbranch_execz .LBB127_923
; %bb.922:
	s_mov_b64 s[10:11], 1.0
	v_mov_b32_e32 v10, s10
	v_mov_b32_e32 v11, s11
	s_movk_i32 s10, 0x6800
	v_add_u32_e64 v27, s10, 0
	ds_write2_b64 v27, v[10:11], v[10:11] offset0:52 offset1:117
.LBB127_923:
	s_or_b64 exec, exec, s[8:9]
	v_mov_b32_e32 v10, 0
	v_mov_b32_e32 v11, 0
	s_waitcnt lgkmcnt(0)
	s_barrier
	s_and_saveexec_b64 s[10:11], s[0:1]
	s_cbranch_execz .LBB127_927
; %bb.924:
	v_mul_u32_u24_e32 v27, 0x208, v15
	ds_read_b64 v[10:11], v12 offset:27056
	ds_read_b64 v[27:28], v27 offset:27040
	v_cmp_gt_u32_e64 s[8:9], 2, v14
	s_waitcnt lgkmcnt(0)
	v_fma_f64 v[10:11], v[10:11], v[27:28], 0
	s_and_saveexec_b64 s[12:13], s[8:9]
	s_cbranch_execz .LBB127_926
; %bb.925:
	v_lshlrev_b32_e32 v27, 3, v0
	v_mov_b32_e32 v29, 0
	ds_read_b64 v[27:28], v27 offset:27568
	ds_read_b64 v[29:30], v29 offset:27048
	s_waitcnt lgkmcnt(0)
	v_fma_f64 v[10:11], v[27:28], v[29:30], v[10:11]
.LBB127_926:
	s_or_b64 exec, exec, s[12:13]
	v_xor_b32_e32 v11, 0x80000000, v11
.LBB127_927:
	s_or_b64 exec, exec, s[10:11]
	s_and_saveexec_b64 s[8:9], s[38:39]
; %bb.928:
	ds_write_b64 v13, v[10:11]
; %bb.929:
	s_or_b64 exec, exec, s[8:9]
	s_waitcnt lgkmcnt(0)
	s_barrier
	s_and_saveexec_b64 s[8:9], s[36:37]
	s_cbranch_execz .LBB127_931
; %bb.930:
	v_mov_b32_e32 v27, 0
	ds_read_b64 v[27:28], v27 offset:28088
	ds_read_b64 v[29:30], v13
	s_waitcnt lgkmcnt(0)
	v_fma_f64 v[10:11], v[27:28], v[29:30], v[10:11]
.LBB127_931:
	s_or_b64 exec, exec, s[8:9]
	s_barrier
	s_and_saveexec_b64 s[8:9], s[36:37]
; %bb.932:
	ds_write_b64 v13, v[10:11]
; %bb.933:
	s_or_b64 exec, exec, s[8:9]
	s_waitcnt lgkmcnt(0)
	s_barrier
	s_barrier
	s_and_saveexec_b64 s[8:9], s[0:1]
; %bb.934:
	v_xor_b32_e32 v11, 0x80000000, v11
	ds_write_b64 v12, v[10:11] offset:27056
; %bb.935:
	s_or_b64 exec, exec, s[8:9]
	s_waitcnt lgkmcnt(0)
	s_barrier
	s_barrier
	s_and_saveexec_b64 s[8:9], vcc
	s_cbranch_execz .LBB127_937
; %bb.936:
	s_mov_b64 s[10:11], 1.0
	v_mov_b32_e32 v10, s10
	v_mov_b32_e32 v11, s11
	s_movk_i32 s10, 0x6800
	v_add_u32_e64 v27, s10, 0
	ds_write2_b64 v27, v[10:11], v[10:11] offset0:182 offset1:247
.LBB127_937:
	s_or_b64 exec, exec, s[8:9]
	v_mov_b32_e32 v10, 0
	v_mov_b32_e32 v11, 0
	s_waitcnt lgkmcnt(0)
	s_barrier
	s_and_saveexec_b64 s[10:11], s[14:15]
	s_cbranch_execz .LBB127_947
; %bb.938:
	v_mul_u32_u24_e32 v27, 0x208, v26
	ds_read_b64 v[10:11], v22 offset:25024
	ds_read_b64 v[28:29], v27 offset:24960
	v_cmp_gt_u32_e64 s[8:9], 56, v14
	s_waitcnt lgkmcnt(0)
	v_fma_f64 v[10:11], v[10:11], v[28:29], 0
	s_and_saveexec_b64 s[12:13], s[8:9]
	s_cbranch_execnz .LBB127_1152
; %bb.939:
	s_or_b64 exec, exec, s[12:13]
	v_cmp_gt_u32_e64 s[8:9], 48, v14
	s_and_saveexec_b64 s[12:13], s[8:9]
	s_cbranch_execnz .LBB127_1153
.LBB127_940:
	s_or_b64 exec, exec, s[12:13]
	v_cmp_gt_u32_e64 s[8:9], 40, v14
	s_and_saveexec_b64 s[12:13], s[8:9]
	s_cbranch_execnz .LBB127_1154
.LBB127_941:
	s_or_b64 exec, exec, s[12:13]
	v_cmp_gt_u32_e64 s[8:9], 32, v14
	s_and_saveexec_b64 s[12:13], s[8:9]
	s_cbranch_execnz .LBB127_1155
.LBB127_942:
	s_or_b64 exec, exec, s[12:13]
	v_cmp_gt_u32_e64 s[8:9], 24, v14
	s_and_saveexec_b64 s[12:13], s[8:9]
	s_cbranch_execnz .LBB127_1156
.LBB127_943:
	s_or_b64 exec, exec, s[12:13]
	v_cmp_gt_u32_e64 s[8:9], 16, v14
	s_and_saveexec_b64 s[12:13], s[8:9]
	s_cbranch_execnz .LBB127_1157
.LBB127_944:
	s_or_b64 exec, exec, s[12:13]
	v_cmp_gt_u32_e64 s[8:9], 8, v14
	s_and_saveexec_b64 s[12:13], s[8:9]
	s_cbranch_execz .LBB127_946
.LBB127_945:
	v_lshlrev_b32_e32 v25, 3, v0
	v_mov_b32_e32 v27, 0
	ds_read_b64 v[25:26], v25 offset:28608
	ds_read_b64 v[27:28], v27 offset:25016
	s_waitcnt lgkmcnt(0)
	v_fma_f64 v[10:11], v[25:26], v[27:28], v[10:11]
.LBB127_946:
	s_or_b64 exec, exec, s[12:13]
	v_xor_b32_e32 v11, 0x80000000, v11
.LBB127_947:
	s_or_b64 exec, exec, s[10:11]
	s_and_saveexec_b64 s[8:9], s[52:53]
; %bb.948:
	ds_write_b64 v24, v[10:11]
; %bb.949:
	s_or_b64 exec, exec, s[8:9]
	s_waitcnt lgkmcnt(0)
	s_barrier
	s_and_saveexec_b64 s[8:9], s[54:55]
	s_cbranch_execz .LBB127_951
; %bb.950:
	ds_read_b64 v[25:26], v23 offset:29120
	ds_read_b64 v[27:28], v24
	s_waitcnt lgkmcnt(0)
	v_fma_f64 v[10:11], v[25:26], v[27:28], v[10:11]
.LBB127_951:
	s_or_b64 exec, exec, s[8:9]
	s_barrier
	s_and_saveexec_b64 s[8:9], s[56:57]
; %bb.952:
	ds_write_b64 v24, v[10:11]
; %bb.953:
	s_or_b64 exec, exec, s[8:9]
	s_waitcnt lgkmcnt(0)
	s_barrier
	s_and_saveexec_b64 s[8:9], s[58:59]
	s_cbranch_execz .LBB127_955
; %bb.954:
	ds_read_b64 v[25:26], v23 offset:29632
	ds_read_b64 v[27:28], v24
	s_waitcnt lgkmcnt(0)
	v_fma_f64 v[10:11], v[25:26], v[27:28], v[10:11]
.LBB127_955:
	s_or_b64 exec, exec, s[8:9]
	s_barrier
	;; [unrolled: 17-line block ×6, first 2 shown]
	s_and_saveexec_b64 s[8:9], s[78:79]
; %bb.972:
	ds_write_b64 v24, v[10:11]
; %bb.973:
	s_or_b64 exec, exec, s[8:9]
	s_waitcnt lgkmcnt(0)
	s_barrier
	s_and_saveexec_b64 s[8:9], s[62:63]
	s_cbranch_execz .LBB127_975
; %bb.974:
	v_mov_b32_e32 v23, 0
	ds_read_b64 v[25:26], v23 offset:32248
	ds_read_b64 v[27:28], v24
	s_waitcnt lgkmcnt(0)
	v_fma_f64 v[10:11], v[25:26], v[27:28], v[10:11]
.LBB127_975:
	s_or_b64 exec, exec, s[8:9]
	s_barrier
	s_and_saveexec_b64 s[8:9], s[62:63]
; %bb.976:
	ds_write_b64 v24, v[10:11]
; %bb.977:
	s_or_b64 exec, exec, s[8:9]
	s_waitcnt lgkmcnt(0)
	s_barrier
	s_barrier
	s_and_saveexec_b64 s[8:9], s[14:15]
; %bb.978:
	v_xor_b32_e32 v11, 0x80000000, v11
	ds_write_b64 v22, v[10:11] offset:25024
; %bb.979:
	s_or_b64 exec, exec, s[8:9]
	s_waitcnt lgkmcnt(0)
	s_barrier
	s_barrier
	s_and_saveexec_b64 s[8:9], vcc
	s_cbranch_execz .LBB127_981
; %bb.980:
	s_mov_b64 s[10:11], 1.0
	v_mov_b32_e32 v10, s10
	v_mov_b32_e32 v11, s11
	s_movk_i32 s10, 0x7000
	v_add_u32_e64 v22, s10, 0
	ds_write2_b64 v22, v[10:11], v[10:11] offset0:56 offset1:121
.LBB127_981:
	s_or_b64 exec, exec, s[8:9]
	v_mov_b32_e32 v10, 0
	v_mov_b32_e32 v11, 0
	s_waitcnt lgkmcnt(0)
	s_barrier
	s_and_saveexec_b64 s[10:11], s[0:1]
	s_cbranch_execz .LBB127_985
; %bb.982:
	v_mul_u32_u24_e32 v22, 0x208, v15
	ds_read_b64 v[10:11], v12 offset:29136
	ds_read_b64 v[22:23], v22 offset:29120
	v_cmp_gt_u32_e64 s[8:9], 2, v14
	s_waitcnt lgkmcnt(0)
	v_fma_f64 v[10:11], v[10:11], v[22:23], 0
	s_and_saveexec_b64 s[12:13], s[8:9]
	s_cbranch_execz .LBB127_984
; %bb.983:
	v_lshlrev_b32_e32 v22, 3, v0
	v_mov_b32_e32 v24, 0
	ds_read_b64 v[22:23], v22 offset:29648
	ds_read_b64 v[24:25], v24 offset:29128
	s_waitcnt lgkmcnt(0)
	v_fma_f64 v[10:11], v[22:23], v[24:25], v[10:11]
.LBB127_984:
	s_or_b64 exec, exec, s[12:13]
	v_xor_b32_e32 v11, 0x80000000, v11
.LBB127_985:
	s_or_b64 exec, exec, s[10:11]
	s_and_saveexec_b64 s[8:9], s[38:39]
; %bb.986:
	ds_write_b64 v13, v[10:11]
; %bb.987:
	s_or_b64 exec, exec, s[8:9]
	s_waitcnt lgkmcnt(0)
	s_barrier
	s_and_saveexec_b64 s[8:9], s[36:37]
	s_cbranch_execz .LBB127_989
; %bb.988:
	v_mov_b32_e32 v22, 0
	ds_read_b64 v[22:23], v22 offset:30168
	ds_read_b64 v[24:25], v13
	s_waitcnt lgkmcnt(0)
	v_fma_f64 v[10:11], v[22:23], v[24:25], v[10:11]
.LBB127_989:
	s_or_b64 exec, exec, s[8:9]
	s_barrier
	s_and_saveexec_b64 s[8:9], s[36:37]
; %bb.990:
	ds_write_b64 v13, v[10:11]
; %bb.991:
	s_or_b64 exec, exec, s[8:9]
	s_waitcnt lgkmcnt(0)
	s_barrier
	s_barrier
	s_and_saveexec_b64 s[8:9], s[0:1]
; %bb.992:
	v_xor_b32_e32 v11, 0x80000000, v11
	ds_write_b64 v12, v[10:11] offset:29136
; %bb.993:
	s_or_b64 exec, exec, s[8:9]
	s_waitcnt lgkmcnt(0)
	s_barrier
	s_barrier
	s_and_saveexec_b64 s[8:9], vcc
	s_cbranch_execz .LBB127_995
; %bb.994:
	s_mov_b64 s[10:11], 1.0
	v_mov_b32_e32 v10, s10
	v_mov_b32_e32 v11, s11
	s_movk_i32 s10, 0x7000
	v_add_u32_e64 v22, s10, 0
	ds_write2_b64 v22, v[10:11], v[10:11] offset0:186 offset1:251
.LBB127_995:
	s_or_b64 exec, exec, s[8:9]
	v_mov_b32_e32 v10, 0
	v_mov_b32_e32 v11, 0
	s_waitcnt lgkmcnt(0)
	s_barrier
	s_and_saveexec_b64 s[10:11], s[2:3]
	s_cbranch_execz .LBB127_1001
; %bb.996:
	v_mul_u32_u24_e32 v22, 0x208, v21
	ds_read_b64 v[10:11], v16 offset:29152
	ds_read_b64 v[23:24], v22 offset:29120
	v_cmp_gt_u32_e64 s[8:9], 12, v14
	s_waitcnt lgkmcnt(0)
	v_fma_f64 v[10:11], v[10:11], v[23:24], 0
	s_and_saveexec_b64 s[12:13], s[8:9]
	s_cbranch_execnz .LBB127_1158
; %bb.997:
	s_or_b64 exec, exec, s[12:13]
	v_cmp_gt_u32_e64 s[8:9], 8, v14
	s_and_saveexec_b64 s[12:13], s[8:9]
	s_cbranch_execnz .LBB127_1159
.LBB127_998:
	s_or_b64 exec, exec, s[12:13]
	v_cmp_gt_u32_e64 s[8:9], 4, v14
	s_and_saveexec_b64 s[12:13], s[8:9]
	s_cbranch_execz .LBB127_1000
.LBB127_999:
	v_lshlrev_b32_e32 v20, 3, v0
	v_mov_b32_e32 v22, 0
	ds_read_b64 v[20:21], v20 offset:30688
	ds_read_b64 v[22:23], v22 offset:29144
	s_waitcnt lgkmcnt(0)
	v_fma_f64 v[10:11], v[20:21], v[22:23], v[10:11]
.LBB127_1000:
	s_or_b64 exec, exec, s[12:13]
	v_xor_b32_e32 v11, 0x80000000, v11
.LBB127_1001:
	s_or_b64 exec, exec, s[10:11]
	s_and_saveexec_b64 s[8:9], s[42:43]
; %bb.1002:
	ds_write_b64 v19, v[10:11]
; %bb.1003:
	s_or_b64 exec, exec, s[8:9]
	s_waitcnt lgkmcnt(0)
	s_barrier
	s_and_saveexec_b64 s[8:9], s[44:45]
	s_cbranch_execz .LBB127_1005
; %bb.1004:
	ds_read_b64 v[20:21], v17 offset:31200
	ds_read_b64 v[22:23], v19
	s_waitcnt lgkmcnt(0)
	v_fma_f64 v[10:11], v[20:21], v[22:23], v[10:11]
.LBB127_1005:
	s_or_b64 exec, exec, s[8:9]
	s_barrier
	s_and_saveexec_b64 s[8:9], s[46:47]
; %bb.1006:
	ds_write_b64 v19, v[10:11]
; %bb.1007:
	s_or_b64 exec, exec, s[8:9]
	s_waitcnt lgkmcnt(0)
	s_barrier
	s_and_saveexec_b64 s[8:9], s[48:49]
	s_cbranch_execz .LBB127_1009
; %bb.1008:
	ds_read_b64 v[20:21], v17 offset:31712
	ds_read_b64 v[22:23], v19
	s_waitcnt lgkmcnt(0)
	v_fma_f64 v[10:11], v[20:21], v[22:23], v[10:11]
.LBB127_1009:
	s_or_b64 exec, exec, s[8:9]
	s_barrier
	s_and_saveexec_b64 s[8:9], s[50:51]
; %bb.1010:
	ds_write_b64 v19, v[10:11]
; %bb.1011:
	s_or_b64 exec, exec, s[8:9]
	s_waitcnt lgkmcnt(0)
	s_barrier
	s_and_saveexec_b64 s[8:9], s[40:41]
	s_cbranch_execz .LBB127_1013
; %bb.1012:
	v_mov_b32_e32 v17, 0
	ds_read_b64 v[20:21], v17 offset:32248
	ds_read_b64 v[22:23], v19
	s_waitcnt lgkmcnt(0)
	v_fma_f64 v[10:11], v[20:21], v[22:23], v[10:11]
.LBB127_1013:
	s_or_b64 exec, exec, s[8:9]
	s_barrier
	s_and_saveexec_b64 s[8:9], s[40:41]
; %bb.1014:
	ds_write_b64 v19, v[10:11]
; %bb.1015:
	s_or_b64 exec, exec, s[8:9]
	s_waitcnt lgkmcnt(0)
	s_barrier
	s_barrier
	s_and_saveexec_b64 s[8:9], s[2:3]
; %bb.1016:
	v_xor_b32_e32 v11, 0x80000000, v11
	ds_write_b64 v16, v[10:11] offset:29152
; %bb.1017:
	s_or_b64 exec, exec, s[8:9]
	s_waitcnt lgkmcnt(0)
	s_barrier
	s_barrier
	s_and_saveexec_b64 s[2:3], vcc
	s_cbranch_execz .LBB127_1019
; %bb.1018:
	s_mov_b64 s[8:9], 1.0
	v_mov_b32_e32 v11, s9
	v_mov_b32_e32 v10, s8
	s_movk_i32 s8, 0x7800
	v_add_u32_e64 v16, s8, 0
	ds_write2_b64 v16, v[10:11], v[10:11] offset0:60 offset1:125
.LBB127_1019:
	s_or_b64 exec, exec, s[2:3]
	v_mov_b32_e32 v10, 0
	v_mov_b32_e32 v11, 0
	s_waitcnt lgkmcnt(0)
	s_barrier
	s_and_saveexec_b64 s[8:9], s[0:1]
	s_cbranch_execz .LBB127_1023
; %bb.1020:
	v_mul_u32_u24_e32 v15, 0x208, v15
	ds_read_b64 v[10:11], v12 offset:31216
	ds_read_b64 v[15:16], v15 offset:31200
	v_cmp_gt_u32_e64 s[2:3], 2, v14
	s_waitcnt lgkmcnt(0)
	v_fma_f64 v[10:11], v[10:11], v[15:16], 0
	s_and_saveexec_b64 s[10:11], s[2:3]
	s_cbranch_execz .LBB127_1022
; %bb.1021:
	v_lshlrev_b32_e32 v14, 3, v0
	v_mov_b32_e32 v16, 0
	ds_read_b64 v[14:15], v14 offset:31728
	ds_read_b64 v[16:17], v16 offset:31208
	s_waitcnt lgkmcnt(0)
	v_fma_f64 v[10:11], v[14:15], v[16:17], v[10:11]
.LBB127_1022:
	s_or_b64 exec, exec, s[10:11]
	v_xor_b32_e32 v11, 0x80000000, v11
.LBB127_1023:
	s_or_b64 exec, exec, s[8:9]
	s_and_saveexec_b64 s[2:3], s[38:39]
; %bb.1024:
	ds_write_b64 v13, v[10:11]
; %bb.1025:
	s_or_b64 exec, exec, s[2:3]
	s_waitcnt lgkmcnt(0)
	s_barrier
	s_and_saveexec_b64 s[2:3], s[36:37]
	s_load_dword s28, s[4:5], 0x6c
	v_readlane_b32 s38, v41, 0
	v_readlane_b32 s39, v41, 1
	s_cbranch_execz .LBB127_1027
; %bb.1026:
	v_mov_b32_e32 v14, 0
	ds_read_b64 v[14:15], v14 offset:32248
	ds_read_b64 v[16:17], v13
	s_waitcnt lgkmcnt(0)
	v_fma_f64 v[10:11], v[14:15], v[16:17], v[10:11]
.LBB127_1027:
	s_or_b64 exec, exec, s[2:3]
	s_waitcnt lgkmcnt(0)
	s_barrier
	s_and_saveexec_b64 s[2:3], s[36:37]
; %bb.1028:
	ds_write_b64 v13, v[10:11]
; %bb.1029:
	s_or_b64 exec, exec, s[2:3]
	s_waitcnt lgkmcnt(0)
	s_barrier
	s_barrier
	s_and_saveexec_b64 s[2:3], s[0:1]
; %bb.1030:
	v_xor_b32_e32 v11, 0x80000000, v11
	ds_write_b64 v12, v[10:11] offset:31216
; %bb.1031:
	s_or_b64 exec, exec, s[2:3]
	s_waitcnt lgkmcnt(0)
	s_barrier
	s_barrier
	s_and_saveexec_b64 s[0:1], vcc
	s_cbranch_execz .LBB127_1033
; %bb.1032:
	s_mov_b64 s[2:3], 1.0
	v_mov_b32_e32 v11, s3
	v_mov_b32_e32 v10, s2
	s_movk_i32 s2, 0x7800
	v_add_u32_e64 v12, s2, 0
	ds_write2_b64 v12, v[10:11], v[10:11] offset0:190 offset1:255
.LBB127_1033:
	s_or_b64 exec, exec, s[0:1]
.LBB127_1034:
	s_lshl_b64 s[0:1], s[20:21], 3
	s_add_u32 s36, s30, s0
	v_cmp_le_i32_e32 vcc, s7, v0
	s_addc_u32 s37, s31, s1
	s_and_b64 s[14:15], vcc, s[18:19]
	v_cmp_eq_u32_e64 s[0:1], 0, v1
	s_xor_b64 s[2:3], s[14:15], -1
	v_mov_b32_e32 v10, 0
	s_and_b64 s[8:9], s[0:1], s[2:3]
	v_mov_b32_e32 v11, 0
	v_lshl_add_u32 v12, s6, 6, v0
	s_waitcnt lgkmcnt(0)
	s_barrier
	s_and_saveexec_b64 s[2:3], s[8:9]
	s_cbranch_execz .LBB127_1036
; %bb.1035:
	v_ashrrev_i32_e32 v13, 31, v12
	v_mul_lo_u32 v14, s23, v12
	v_mad_u64_u32 v[10:11], s[8:9], s22, v12, 0
	v_mul_lo_u32 v13, s22, v13
	v_add3_u32 v11, v11, v13, v14
	v_lshlrev_b64 v[10:11], 3, v[10:11]
	v_mov_b32_e32 v13, s37
	v_add_co_u32_e32 v10, vcc, s36, v10
	v_addc_co_u32_e32 v11, vcc, v13, v11, vcc
	flat_load_dwordx2 v[10:11], v[10:11]
	s_waitcnt vmcnt(0) lgkmcnt(0)
	v_mul_f64 v[10:11], v[10:11], -s[38:39]
.LBB127_1036:
	s_or_b64 exec, exec, s[2:3]
	s_load_dwordx2 s[12:13], s[4:5], 0x50
	s_and_b32 s2, 0xffff, s28
	v_mad_u32_u24 v19, v1, s2, v0
	v_mov_b32_e32 v13, 0
	s_cmp_lt_i32 s6, 1
	v_cmp_eq_u32_e64 s[2:3], 0, v19
	s_cbranch_scc1 .LBB127_1062
; %bb.1037:
	v_mov_b32_e32 v14, 0xa000
	v_lshl_add_u32 v20, v19, 3, v14
	v_lshl_or_b32 v21, v1, 3, v14
	v_lshlrev_b64 v[14:15], 3, v[12:13]
	s_lshl_b64 s[4:5], s[24:25], 2
	s_waitcnt lgkmcnt(0)
	s_add_u32 s16, s12, s4
	v_cmp_gt_i32_e64 s[10:11], s33, v12
	v_mov_b32_e32 v16, s93
	v_add_co_u32_e32 v12, vcc, s92, v14
	s_mul_i32 s8, s27, 0x180
	s_mul_hi_u32 s9, s26, 0x180
	s_mov_b32 s38, 0
	s_addc_u32 s17, s13, s5
	v_cmp_gt_u32_e64 s[4:5], 64, v19
	s_add_i32 s39, s6, -1
	v_addc_co_u32_e32 v22, vcc, v16, v15, vcc
	s_lshl_b64 s[20:21], s[26:27], 7
	s_lshl_b64 s[28:29], s[26:27], 8
	s_add_i32 s40, s9, s8
	s_mul_i32 s41, s26, 0x180
	v_mov_b32_e32 v23, -1
	s_branch .LBB127_1040
.LBB127_1038:                           ;   in Loop: Header=BB127_1040 Depth=1
	ds_read_b64 v[14:15], v21 offset:384
	s_waitcnt vmcnt(0) lgkmcnt(0)
	v_fma_f64 v[10:11], v[16:17], v[14:15], v[10:11]
.LBB127_1039:                           ;   in Loop: Header=BB127_1040 Depth=1
	s_or_b64 exec, exec, s[30:31]
	s_add_i32 s38, s38, 1
	s_cmp_eq_u32 s38, s6
	s_cbranch_scc1 .LBB127_1062
.LBB127_1040:                           ; =>This Loop Header: Depth=1
                                        ;     Child Loop BB127_1042 Depth 2
	v_cmp_gt_i32_e32 vcc, s38, v23
	s_and_b64 s[30:31], s[2:3], vcc
	s_and_saveexec_b64 s[8:9], s[30:31]
	s_cbranch_execz .LBB127_1043
; %bb.1041:                             ;   in Loop: Header=BB127_1040 Depth=1
	global_load_dword v23, v13, s[16:17]
	s_waitcnt vmcnt(0)
	v_cmp_le_i32_e32 vcc, s38, v23
	s_cbranch_vccnz .LBB127_1043
.LBB127_1042:                           ;   Parent Loop BB127_1040 Depth=1
                                        ; =>  This Inner Loop Header: Depth=2
	buffer_wbinvl1_vol
	global_load_dword v23, v13, s[16:17]
	s_waitcnt vmcnt(0)
	v_cmp_gt_i32_e32 vcc, s38, v23
	s_cbranch_vccnz .LBB127_1042
.LBB127_1043:                           ;   in Loop: Header=BB127_1040 Depth=1
	s_or_b64 exec, exec, s[8:9]
	s_lshl_b32 s42, s38, 6
	buffer_wbinvl1_vol
	s_barrier
	s_and_saveexec_b64 s[8:9], s[4:5]
	s_cbranch_execz .LBB127_1047
; %bb.1044:                             ;   in Loop: Header=BB127_1040 Depth=1
	v_or_b32_e32 v16, s42, v19
	v_mov_b32_e32 v14, 0
	v_mov_b32_e32 v15, 0
	v_cmp_gt_i32_e32 vcc, s33, v16
	s_and_saveexec_b64 s[30:31], vcc
	s_cbranch_execz .LBB127_1046
; %bb.1045:                             ;   in Loop: Header=BB127_1040 Depth=1
	v_mad_u64_u32 v[14:15], s[44:45], s22, v16, 0
	v_mad_u64_u32 v[15:16], s[44:45], s23, v16, v[15:16]
	v_mov_b32_e32 v16, s37
	v_lshlrev_b64 v[14:15], 3, v[14:15]
	v_add_co_u32_e32 v14, vcc, s36, v14
	v_addc_co_u32_e32 v15, vcc, v16, v15, vcc
	flat_load_dwordx2 v[14:15], v[14:15]
.LBB127_1046:                           ;   in Loop: Header=BB127_1040 Depth=1
	s_or_b64 exec, exec, s[30:31]
	s_waitcnt vmcnt(0) lgkmcnt(0)
	ds_write_b64 v20, v[14:15]
.LBB127_1047:                           ;   in Loop: Header=BB127_1040 Depth=1
	s_or_b64 exec, exec, s[8:9]
	v_add_u32_e32 v24, s42, v1
	v_mad_u64_u32 v[14:15], s[8:9], s26, v24, 0
	s_cmp_lg_u32 s38, s39
	s_waitcnt lgkmcnt(0)
	v_mad_u64_u32 v[15:16], s[8:9], s27, v24, v[15:16]
	s_cselect_b64 s[8:9], -1, 0
	v_cndmask_b32_e64 v16, 0, 1, s[8:9]
	v_lshlrev_b64 v[14:15], 3, v[14:15]
	v_cmp_ne_u32_e64 s[8:9], 1, v16
	v_add_co_u32_e32 v14, vcc, v12, v14
	v_addc_co_u32_e32 v15, vcc, v22, v15, vcc
	v_cmp_gt_i32_e32 vcc, s33, v24
	s_and_b64 s[42:43], s[10:11], vcc
	s_barrier
	s_and_saveexec_b64 s[30:31], s[42:43]
	s_cbranch_execz .LBB127_1051
; %bb.1048:                             ;   in Loop: Header=BB127_1040 Depth=1
	v_mov_b32_e32 v17, v3
	s_and_b64 vcc, exec, s[8:9]
	v_mov_b32_e32 v16, v2
	s_cbranch_vccnz .LBB127_1050
; %bb.1049:                             ;   in Loop: Header=BB127_1040 Depth=1
	flat_load_dwordx2 v[16:17], v[14:15]
.LBB127_1050:                           ;   in Loop: Header=BB127_1040 Depth=1
	ds_read_b64 v[25:26], v21
	s_waitcnt vmcnt(0) lgkmcnt(0)
	v_fma_f64 v[10:11], v[16:17], v[25:26], v[10:11]
.LBB127_1051:                           ;   in Loop: Header=BB127_1040 Depth=1
	s_or_b64 exec, exec, s[30:31]
	v_add_u32_e32 v16, 16, v24
	v_cmp_gt_i32_e32 vcc, s33, v16
	s_and_b64 s[42:43], s[10:11], vcc
	s_and_saveexec_b64 s[30:31], s[42:43]
	s_cbranch_execz .LBB127_1055
; %bb.1052:                             ;   in Loop: Header=BB127_1040 Depth=1
	v_mov_b32_e32 v17, v5
	s_and_b64 vcc, exec, s[8:9]
	v_mov_b32_e32 v16, v4
	s_cbranch_vccnz .LBB127_1054
; %bb.1053:                             ;   in Loop: Header=BB127_1040 Depth=1
	v_mov_b32_e32 v17, s21
	v_add_co_u32_e32 v16, vcc, s20, v14
	v_addc_co_u32_e32 v17, vcc, v15, v17, vcc
	flat_load_dwordx2 v[16:17], v[16:17]
.LBB127_1054:                           ;   in Loop: Header=BB127_1040 Depth=1
	ds_read_b64 v[25:26], v21 offset:128
	s_waitcnt vmcnt(0) lgkmcnt(0)
	v_fma_f64 v[10:11], v[16:17], v[25:26], v[10:11]
.LBB127_1055:                           ;   in Loop: Header=BB127_1040 Depth=1
	s_or_b64 exec, exec, s[30:31]
	v_add_u32_e32 v16, 32, v24
	v_cmp_gt_i32_e32 vcc, s33, v16
	s_and_b64 s[42:43], s[10:11], vcc
	s_and_saveexec_b64 s[30:31], s[42:43]
	s_cbranch_execz .LBB127_1059
; %bb.1056:                             ;   in Loop: Header=BB127_1040 Depth=1
	v_mov_b32_e32 v17, v9
	s_and_b64 vcc, exec, s[8:9]
	v_mov_b32_e32 v16, v8
	s_cbranch_vccnz .LBB127_1058
; %bb.1057:                             ;   in Loop: Header=BB127_1040 Depth=1
	v_mov_b32_e32 v17, s29
	v_add_co_u32_e32 v16, vcc, s28, v14
	v_addc_co_u32_e32 v17, vcc, v15, v17, vcc
	flat_load_dwordx2 v[16:17], v[16:17]
.LBB127_1058:                           ;   in Loop: Header=BB127_1040 Depth=1
	ds_read_b64 v[25:26], v21 offset:256
	s_waitcnt vmcnt(0) lgkmcnt(0)
	v_fma_f64 v[10:11], v[16:17], v[25:26], v[10:11]
.LBB127_1059:                           ;   in Loop: Header=BB127_1040 Depth=1
	s_or_b64 exec, exec, s[30:31]
	v_add_u32_e32 v16, 48, v24
	v_cmp_gt_i32_e32 vcc, s33, v16
	s_and_b64 s[42:43], s[10:11], vcc
	s_and_saveexec_b64 s[30:31], s[42:43]
	s_cbranch_execz .LBB127_1039
; %bb.1060:                             ;   in Loop: Header=BB127_1040 Depth=1
	v_mov_b32_e32 v17, v7
	s_and_b64 vcc, exec, s[8:9]
	v_mov_b32_e32 v16, v6
	s_cbranch_vccnz .LBB127_1038
; %bb.1061:                             ;   in Loop: Header=BB127_1040 Depth=1
	v_mov_b32_e32 v16, s40
	v_add_co_u32_e32 v14, vcc, s41, v14
	v_addc_co_u32_e32 v15, vcc, v15, v16, vcc
	flat_load_dwordx2 v[16:17], v[14:15]
	s_branch .LBB127_1038
.LBB127_1062:
	v_lshl_add_u32 v2, v1, 6, v0
	s_xor_b64 s[2:3], s[18:19], -1
	s_xor_b64 s[4:5], s[34:35], -1
	v_lshlrev_b32_e32 v4, 3, v2
	ds_write_b64 v4, v[10:11] offset:32768
	s_waitcnt lgkmcnt(0)
	s_barrier
	s_and_saveexec_b64 s[8:9], s[0:1]
	s_cbranch_execz .LBB127_1064
; %bb.1063:
	v_lshlrev_b32_e32 v15, 3, v0
	ds_read2st64_b64 v[5:8], v15 offset0:65 offset1:66
	ds_read_b64 v[2:3], v15 offset:40448
	s_waitcnt lgkmcnt(1)
	v_add_f64 v[5:6], v[10:11], v[5:6]
	v_add_f64 v[13:14], v[5:6], v[7:8]
	ds_read2st64_b64 v[5:8], v15 offset0:67 offset1:68
	ds_read2st64_b64 v[9:12], v15 offset0:69 offset1:70
	s_waitcnt lgkmcnt(1)
	v_add_f64 v[5:6], v[13:14], v[5:6]
	v_add_f64 v[5:6], v[5:6], v[7:8]
	s_waitcnt lgkmcnt(0)
	v_add_f64 v[5:6], v[5:6], v[9:10]
	v_add_f64 v[13:14], v[5:6], v[11:12]
	ds_read2st64_b64 v[5:8], v15 offset0:71 offset1:72
	ds_read2st64_b64 v[9:12], v15 offset0:73 offset1:74
	s_waitcnt lgkmcnt(1)
	v_add_f64 v[5:6], v[13:14], v[5:6]
	v_add_f64 v[5:6], v[5:6], v[7:8]
	;; [unrolled: 8-line block ×3, first 2 shown]
	s_waitcnt lgkmcnt(0)
	v_add_f64 v[5:6], v[5:6], v[9:10]
	v_add_f64 v[5:6], v[5:6], v[11:12]
	;; [unrolled: 1-line block ×3, first 2 shown]
	v_xor_b32_e32 v3, 0x80000000, v3
	v_cndmask_b32_e64 v11, v3, 0, s[14:15]
	v_cndmask_b32_e64 v10, v2, 0, s[14:15]
.LBB127_1064:
	s_or_b64 exec, exec, s[8:9]
	s_andn2_b64 vcc, exec, s[4:5]
	s_cbranch_vccnz .LBB127_1078
; %bb.1065:
	v_mov_b32_e32 v2, 0xa000
	v_lshl_or_b32 v5, v1, 3, v2
	s_and_saveexec_b64 s[4:5], s[0:1]
; %bb.1066:
	v_lshl_add_u32 v2, v0, 3, v5
	ds_write_b64 v2, v[10:11]
; %bb.1067:
	s_or_b64 exec, exec, s[4:5]
	v_mov_b32_e32 v2, 0
	v_mov_b32_e32 v3, 0
	v_cmp_ge_u32_e32 vcc, v0, v1
	s_waitcnt lgkmcnt(0)
	s_barrier
	s_and_saveexec_b64 s[4:5], vcc
	s_cbranch_execz .LBB127_1069
; %bb.1068:
	ds_read_b64 v[2:3], v4
	ds_read_b64 v[6:7], v5
	s_waitcnt lgkmcnt(0)
	v_fma_f64 v[2:3], v[2:3], v[6:7], 0
.LBB127_1069:
	s_or_b64 exec, exec, s[4:5]
	v_add_u32_e32 v6, 16, v1
	v_cmp_ge_u32_e32 vcc, v0, v6
	s_and_saveexec_b64 s[4:5], vcc
	s_cbranch_execz .LBB127_1071
; %bb.1070:
	ds_read_b64 v[6:7], v4 offset:8192
	ds_read_b64 v[8:9], v5 offset:128
	s_waitcnt lgkmcnt(0)
	v_fma_f64 v[2:3], v[6:7], v[8:9], v[2:3]
.LBB127_1071:
	s_or_b64 exec, exec, s[4:5]
	v_add_u32_e32 v6, 32, v1
	v_cmp_ge_u32_e32 vcc, v0, v6
	s_and_saveexec_b64 s[4:5], vcc
	s_cbranch_execz .LBB127_1073
; %bb.1072:
	ds_read_b64 v[6:7], v4 offset:16384
	ds_read_b64 v[8:9], v5 offset:256
	s_waitcnt lgkmcnt(0)
	v_fma_f64 v[2:3], v[6:7], v[8:9], v[2:3]
.LBB127_1073:
	s_or_b64 exec, exec, s[4:5]
	v_add_u32_e32 v1, 48, v1
	v_add_u32_e32 v6, 0x8000, v4
	v_cmp_ge_u32_e32 vcc, v0, v1
	s_and_saveexec_b64 s[4:5], vcc
	s_cbranch_execz .LBB127_1075
; %bb.1074:
	ds_read_b64 v[7:8], v4 offset:24576
	ds_read_b64 v[4:5], v5 offset:384
	s_waitcnt lgkmcnt(0)
	v_fma_f64 v[2:3], v[7:8], v[4:5], v[2:3]
.LBB127_1075:
	s_or_b64 exec, exec, s[4:5]
	s_mov_b64 s[8:9], 0
	s_mov_b64 s[4:5], 0
	ds_write_b64 v6, v[2:3]
	s_waitcnt lgkmcnt(0)
	s_barrier
                                        ; implicit-def: $vgpr6_vgpr7
                                        ; implicit-def: $vgpr4_vgpr5
	s_and_saveexec_b64 s[10:11], s[0:1]
	s_cbranch_execz .LBB127_1099
; %bb.1076:
	v_lshlrev_b32_e32 v9, 3, v0
	ds_read2st64_b64 v[4:7], v9 offset0:65 offset1:66
	ds_read_b64 v[12:13], v9 offset:40448
	s_mov_b64 s[4:5], exec
	s_waitcnt lgkmcnt(1)
	v_add_f64 v[1:2], v[2:3], v[4:5]
	v_add_f64 v[14:15], v[6:7], v[1:2]
	ds_read2st64_b64 v[1:4], v9 offset0:67 offset1:68
	ds_read2st64_b64 v[5:8], v9 offset0:69 offset1:70
	s_waitcnt lgkmcnt(1)
	v_add_f64 v[1:2], v[1:2], v[14:15]
	v_add_f64 v[1:2], v[3:4], v[1:2]
	s_waitcnt lgkmcnt(0)
	v_add_f64 v[1:2], v[5:6], v[1:2]
	v_add_f64 v[14:15], v[7:8], v[1:2]
	ds_read2st64_b64 v[1:4], v9 offset0:71 offset1:72
	ds_read2st64_b64 v[5:8], v9 offset0:73 offset1:74
	s_waitcnt lgkmcnt(1)
	v_add_f64 v[1:2], v[1:2], v[14:15]
	v_add_f64 v[1:2], v[3:4], v[1:2]
	;; [unrolled: 8-line block ×3, first 2 shown]
	v_lshl_add_u32 v3, s6, 6, v19
	s_waitcnt lgkmcnt(0)
	v_add_f64 v[1:2], v[5:6], v[1:2]
	v_mad_u64_u32 v[4:5], s[14:15], s22, v3, 0
	v_add_f64 v[1:2], v[7:8], v[1:2]
	v_add_f64 v[6:7], v[12:13], v[1:2]
	v_mov_b32_e32 v1, v5
	v_mad_u64_u32 v[1:2], s[14:15], s23, v3, v[1:2]
	v_mov_b32_e32 v5, v1
	s_or_b64 exec, exec, s[10:11]
	s_and_b64 vcc, exec, s[8:9]
	s_cbranch_vccnz .LBB127_1079
	s_branch .LBB127_1100
.LBB127_1077:
	v_mad_u64_u32 v[12:13], s[0:1], s26, v14, 0
	s_or_b64 s[8:9], s[8:9], exec
	v_mad_u64_u32 v[13:14], s[0:1], s27, v14, v[13:14]
	v_lshlrev_b64 v[12:13], 3, v[12:13]
	v_add_co_u32_e32 v10, vcc, v10, v12
	v_addc_co_u32_e32 v11, vcc, v11, v13, vcc
	flat_load_dwordx2 v[12:13], v[10:11]
	s_waitcnt vmcnt(0) lgkmcnt(0)
	v_xor_b32_e32 v13, 0x80000000, v13
	s_or_b64 exec, exec, s[2:3]
	s_and_saveexec_b64 s[0:1], s[8:9]
	s_cbranch_execnz .LBB127_57
	s_branch .LBB127_58
.LBB127_1078:
	s_mov_b64 s[4:5], 0
                                        ; implicit-def: $vgpr6_vgpr7
                                        ; implicit-def: $vgpr4_vgpr5
	s_cbranch_execz .LBB127_1100
.LBB127_1079:
	s_mov_b32 s10, 0
	v_mov_b32_e32 v1, 0
	v_mov_b32_e32 v2, v0
	s_branch .LBB127_1081
.LBB127_1080:                           ;   in Loop: Header=BB127_1081 Depth=1
	s_or_b64 exec, exec, s[8:9]
	s_add_i32 s10, s10, 4
	v_add_u32_e32 v18, 0x800, v18
	s_cmp_lg_u32 s10, 64
	v_add_u32_e32 v2, -4, v2
	s_barrier
	s_cbranch_scc0 .LBB127_1097
.LBB127_1081:                           ; =>This Inner Loop Header: Depth=1
	v_cmp_eq_u32_e32 vcc, 0, v2
	s_and_b64 s[14:15], s[0:1], vcc
	s_and_saveexec_b64 s[8:9], s[14:15]
; %bb.1082:                             ;   in Loop: Header=BB127_1081 Depth=1
	ds_write_b64 v1, v[10:11] offset:41472
; %bb.1083:                             ;   in Loop: Header=BB127_1081 Depth=1
	s_or_b64 exec, exec, s[8:9]
	v_cmp_lt_u32_e32 vcc, s10, v0
	s_and_b64 s[14:15], s[0:1], vcc
	s_waitcnt lgkmcnt(0)
	s_barrier
	s_and_saveexec_b64 s[8:9], s[14:15]
	s_cbranch_execz .LBB127_1085
; %bb.1084:                             ;   in Loop: Header=BB127_1081 Depth=1
	ds_read_b64 v[3:4], v18
	ds_read_b64 v[5:6], v1 offset:41472
	s_waitcnt lgkmcnt(0)
	v_fma_f64 v[10:11], v[3:4], v[5:6], v[10:11]
.LBB127_1085:                           ;   in Loop: Header=BB127_1081 Depth=1
	s_or_b64 exec, exec, s[8:9]
	s_or_b32 s11, s10, 1
	v_cmp_eq_u32_e32 vcc, s11, v0
	s_and_b64 s[14:15], s[0:1], vcc
	s_barrier
	s_and_saveexec_b64 s[8:9], s[14:15]
; %bb.1086:                             ;   in Loop: Header=BB127_1081 Depth=1
	ds_write_b64 v1, v[10:11] offset:41472
; %bb.1087:                             ;   in Loop: Header=BB127_1081 Depth=1
	s_or_b64 exec, exec, s[8:9]
	v_cmp_lt_u32_e32 vcc, s11, v0
	s_and_b64 s[14:15], s[0:1], vcc
	s_waitcnt lgkmcnt(0)
	s_barrier
	s_and_saveexec_b64 s[8:9], s[14:15]
	s_cbranch_execz .LBB127_1089
; %bb.1088:                             ;   in Loop: Header=BB127_1081 Depth=1
	ds_read_b64 v[3:4], v18 offset:512
	ds_read_b64 v[5:6], v1 offset:41472
	s_waitcnt lgkmcnt(0)
	v_fma_f64 v[10:11], v[3:4], v[5:6], v[10:11]
.LBB127_1089:                           ;   in Loop: Header=BB127_1081 Depth=1
	s_or_b64 exec, exec, s[8:9]
	s_or_b32 s11, s10, 2
	v_cmp_eq_u32_e32 vcc, s11, v0
	s_and_b64 s[14:15], s[0:1], vcc
	s_barrier
	s_and_saveexec_b64 s[8:9], s[14:15]
; %bb.1090:                             ;   in Loop: Header=BB127_1081 Depth=1
	ds_write_b64 v1, v[10:11] offset:41472
; %bb.1091:                             ;   in Loop: Header=BB127_1081 Depth=1
	s_or_b64 exec, exec, s[8:9]
	v_cmp_lt_u32_e32 vcc, s11, v0
	s_and_b64 s[14:15], s[0:1], vcc
	s_waitcnt lgkmcnt(0)
	s_barrier
	s_and_saveexec_b64 s[8:9], s[14:15]
	s_cbranch_execz .LBB127_1093
; %bb.1092:                             ;   in Loop: Header=BB127_1081 Depth=1
	ds_read_b64 v[3:4], v18 offset:1024
	ds_read_b64 v[5:6], v1 offset:41472
	s_waitcnt lgkmcnt(0)
	v_fma_f64 v[10:11], v[3:4], v[5:6], v[10:11]
.LBB127_1093:                           ;   in Loop: Header=BB127_1081 Depth=1
	s_or_b64 exec, exec, s[8:9]
	s_or_b32 s11, s10, 3
	v_cmp_eq_u32_e32 vcc, s11, v0
	s_and_b64 s[14:15], s[0:1], vcc
	s_barrier
	s_and_saveexec_b64 s[8:9], s[14:15]
; %bb.1094:                             ;   in Loop: Header=BB127_1081 Depth=1
	ds_write_b64 v1, v[10:11] offset:41472
; %bb.1095:                             ;   in Loop: Header=BB127_1081 Depth=1
	s_or_b64 exec, exec, s[8:9]
	v_cmp_lt_u32_e32 vcc, s11, v0
	s_and_b64 s[14:15], s[0:1], vcc
	s_waitcnt lgkmcnt(0)
	s_barrier
	s_and_saveexec_b64 s[8:9], s[14:15]
	s_cbranch_execz .LBB127_1080
; %bb.1096:                             ;   in Loop: Header=BB127_1081 Depth=1
	ds_read_b64 v[3:4], v18 offset:1536
	ds_read_b64 v[5:6], v1 offset:41472
	s_waitcnt lgkmcnt(0)
	v_fma_f64 v[10:11], v[3:4], v[5:6], v[10:11]
	s_branch .LBB127_1080
.LBB127_1097:
	s_and_b64 vcc, exec, s[2:3]
	s_cbranch_vccz .LBB127_1101
; %bb.1098:
	s_and_b64 s[2:3], s[0:1], exec
	s_cbranch_execz .LBB127_1102
	s_branch .LBB127_1103
.LBB127_1099:
	s_or_b64 exec, exec, s[10:11]
	s_and_b64 vcc, exec, s[8:9]
	s_cbranch_vccnz .LBB127_1079
.LBB127_1100:
	v_mov_b32_e32 v11, v7
	v_mov_b32_e32 v10, v6
	s_and_saveexec_b64 s[0:1], s[4:5]
	s_cbranch_execnz .LBB127_1106
	s_branch .LBB127_1107
.LBB127_1101:
	s_mov_b64 s[2:3], 0
.LBB127_1102:
	v_cmp_gt_i32_e32 vcc, s7, v0
	s_and_b64 s[0:1], s[0:1], vcc
	s_andn2_b64 s[2:3], s[2:3], exec
	s_and_b64 s[0:1], s[0:1], exec
	s_or_b64 s[2:3], s[2:3], s[0:1]
.LBB127_1103:
                                        ; implicit-def: $vgpr4_vgpr5
	s_and_saveexec_b64 s[0:1], s[2:3]
	s_cbranch_execz .LBB127_1105
; %bb.1104:
	s_lshl_b32 s2, s6, 6
	s_ashr_i32 s3, s2, 31
	v_mov_b32_e32 v0, s3
	v_add_co_u32_e32 v1, vcc, s2, v19
	v_addc_co_u32_e32 v0, vcc, 0, v0, vcc
	v_mul_lo_u32 v0, v0, s22
	v_mul_lo_u32 v2, v1, s23
	v_mad_u64_u32 v[4:5], s[2:3], v1, s22, 0
	s_or_b64 s[4:5], s[4:5], exec
	v_add3_u32 v5, v5, v2, v0
.LBB127_1105:
	s_or_b64 exec, exec, s[0:1]
	s_and_saveexec_b64 s[0:1], s[4:5]
	s_cbranch_execz .LBB127_1107
.LBB127_1106:
	v_lshlrev_b64 v[0:1], 3, v[4:5]
	v_mov_b32_e32 v2, s37
	v_add_co_u32_e32 v0, vcc, s36, v0
	v_addc_co_u32_e32 v1, vcc, v2, v1, vcc
	flat_store_dwordx2 v[0:1], v[10:11]
.LBB127_1107:
	s_or_b64 exec, exec, s[0:1]
	v_cmp_eq_u32_e32 vcc, 0, v19
	s_waitcnt vmcnt(0) lgkmcnt(0)
	buffer_wbinvl1_vol
	s_barrier
	s_and_saveexec_b64 s[0:1], vcc
	s_cbranch_execz .LBB127_1109
; %bb.1108:
	s_lshl_b64 s[2:3], s[24:25], 2
	s_add_u32 s2, s12, s2
	s_addc_u32 s3, s13, s3
	v_mov_b32_e32 v0, 0
	global_load_dword v1, v0, s[2:3]
	s_waitcnt vmcnt(0)
	v_add_u32_e32 v1, 1, v1
	global_store_dword v0, v1, s[2:3]
.LBB127_1109:
	s_or_b64 exec, exec, s[0:1]
	s_waitcnt vmcnt(0)
	buffer_wbinvl1_vol
	s_endpgm
.LBB127_1110:
	v_lshlrev_b32_e32 v22, 3, v21
	v_sub_u32_e32 v22, v19, v22
	v_lshl_add_u32 v22, v20, 3, v22
	ds_read_b64 v[22:23], v22 offset:544
	ds_read_b64 v[24:25], v19 offset:8
	s_waitcnt lgkmcnt(0)
	v_fma_f64 v[10:11], v[22:23], v[24:25], v[10:11]
	s_or_b64 exec, exec, s[14:15]
	v_cmp_gt_u32_e64 s[10:11], 8, v14
	s_and_saveexec_b64 s[14:15], s[10:11]
	s_cbranch_execz .LBB127_78
.LBB127_1111:
	ds_read_b64 v[22:23], v16 offset:1056
	ds_read_b64 v[24:25], v19 offset:16
	s_waitcnt lgkmcnt(0)
	v_fma_f64 v[10:11], v[22:23], v[24:25], v[10:11]
	s_or_b64 exec, exec, s[14:15]
	v_cmp_gt_u32_e64 s[10:11], 4, v14
	s_and_saveexec_b64 s[14:15], s[10:11]
	s_cbranch_execnz .LBB127_79
	s_branch .LBB127_80
.LBB127_1112:
	v_lshlrev_b32_e32 v27, 3, v26
	v_sub_u32_e32 v27, v24, v27
	v_lshl_add_u32 v27, v25, 3, v27
	ds_read_b64 v[27:28], v27 offset:576
	ds_read_b64 v[29:30], v24 offset:8
	s_waitcnt lgkmcnt(0)
	v_fma_f64 v[10:11], v[27:28], v[29:30], v[10:11]
	s_or_b64 exec, exec, s[16:17]
	v_cmp_gt_u32_e64 s[10:11], 48, v14
	s_and_saveexec_b64 s[16:17], s[10:11]
	s_cbranch_execz .LBB127_116
.LBB127_1113:
	v_lshlrev_b32_e32 v27, 3, v26
	v_sub_u32_e32 v27, v24, v27
	v_lshl_add_u32 v27, v25, 3, v27
	ds_read_b64 v[27:28], v27 offset:1088
	ds_read_b64 v[29:30], v24 offset:16
	s_waitcnt lgkmcnt(0)
	v_fma_f64 v[10:11], v[27:28], v[29:30], v[10:11]
	s_or_b64 exec, exec, s[16:17]
	v_cmp_gt_u32_e64 s[10:11], 40, v14
	s_and_saveexec_b64 s[16:17], s[10:11]
	s_cbranch_execz .LBB127_117
.LBB127_1114:
	v_lshlrev_b32_e32 v27, 3, v26
	v_sub_u32_e32 v27, v24, v27
	v_lshl_add_u32 v27, v25, 3, v27
	ds_read_b64 v[27:28], v27 offset:1600
	ds_read_b64 v[29:30], v24 offset:24
	s_waitcnt lgkmcnt(0)
	v_fma_f64 v[10:11], v[27:28], v[29:30], v[10:11]
	s_or_b64 exec, exec, s[16:17]
	v_cmp_gt_u32_e64 s[10:11], 32, v14
	s_and_saveexec_b64 s[16:17], s[10:11]
	s_cbranch_execz .LBB127_118
.LBB127_1115:
	ds_read_b64 v[27:28], v22 offset:2112
	ds_read_b64 v[29:30], v24 offset:32
	s_waitcnt lgkmcnt(0)
	v_fma_f64 v[10:11], v[27:28], v[29:30], v[10:11]
	s_or_b64 exec, exec, s[16:17]
	v_cmp_gt_u32_e64 s[10:11], 24, v14
	s_and_saveexec_b64 s[16:17], s[10:11]
	s_cbranch_execz .LBB127_119
.LBB127_1116:
	v_lshlrev_b32_e32 v27, 3, v26
	v_sub_u32_e32 v27, v24, v27
	v_lshl_add_u32 v27, v25, 3, v27
	ds_read_b64 v[27:28], v27 offset:2624
	ds_read_b64 v[29:30], v24 offset:40
	s_waitcnt lgkmcnt(0)
	v_fma_f64 v[10:11], v[27:28], v[29:30], v[10:11]
	s_or_b64 exec, exec, s[16:17]
	v_cmp_gt_u32_e64 s[10:11], 16, v14
	s_and_saveexec_b64 s[16:17], s[10:11]
	s_cbranch_execz .LBB127_120
.LBB127_1117:
	ds_read_b64 v[27:28], v22 offset:3136
	ds_read_b64 v[29:30], v24 offset:48
	s_waitcnt lgkmcnt(0)
	v_fma_f64 v[10:11], v[27:28], v[29:30], v[10:11]
	s_or_b64 exec, exec, s[16:17]
	v_cmp_gt_u32_e64 s[10:11], 8, v14
	s_and_saveexec_b64 s[16:17], s[10:11]
	s_cbranch_execnz .LBB127_121
	s_branch .LBB127_122
.LBB127_1118:
	v_lshlrev_b32_e32 v28, 3, v21
	v_sub_u32_e32 v28, v27, v28
	v_lshl_add_u32 v28, v20, 3, v28
	ds_read_b64 v[28:29], v28 offset:4704
	ds_read_b64 v[30:31], v27 offset:4168
	s_waitcnt lgkmcnt(0)
	v_fma_f64 v[10:11], v[28:29], v[30:31], v[10:11]
	s_or_b64 exec, exec, s[12:13]
	v_cmp_gt_u32_e64 s[8:9], 8, v14
	s_and_saveexec_b64 s[12:13], s[8:9]
	s_cbranch_execz .LBB127_174
.LBB127_1119:
	ds_read_b64 v[28:29], v16 offset:5216
	ds_read_b64 v[30:31], v27 offset:4176
	s_waitcnt lgkmcnt(0)
	v_fma_f64 v[10:11], v[28:29], v[30:31], v[10:11]
	s_or_b64 exec, exec, s[12:13]
	v_cmp_gt_u32_e64 s[8:9], 4, v14
	s_and_saveexec_b64 s[12:13], s[8:9]
	s_cbranch_execnz .LBB127_175
	s_branch .LBB127_176
.LBB127_1120:
	v_lshlrev_b32_e32 v32, 3, v28
	v_lshl_add_u32 v32, v30, 3, v32
	ds_read_b64 v[32:33], v32 offset:5760
	ds_read_b64 v[34:35], v29 offset:88
	s_waitcnt lgkmcnt(0)
	v_fma_f64 v[10:11], v[32:33], v[34:35], v[10:11]
	s_or_b64 exec, exec, s[28:29]
	v_cmp_gt_u32_e64 s[12:13], 64, v14
	s_and_saveexec_b64 s[28:29], s[12:13]
	s_cbranch_execz .LBB127_232
.LBB127_1121:
	ds_read_b64 v[32:33], v27 offset:6272
	ds_read_b64 v[34:35], v29 offset:96
	s_waitcnt lgkmcnt(0)
	v_fma_f64 v[10:11], v[32:33], v[34:35], v[10:11]
	s_or_b64 exec, exec, s[28:29]
	v_cmp_gt_u32_e64 s[12:13], 48, v14
	s_and_saveexec_b64 s[28:29], s[12:13]
	s_cbranch_execz .LBB127_233
.LBB127_1122:
	v_lshlrev_b32_e32 v32, 3, v28
	v_lshl_add_u32 v32, v30, 3, v32
	ds_read_b64 v[32:33], v32 offset:6784
	ds_read_b64 v[34:35], v29 offset:104
	s_waitcnt lgkmcnt(0)
	v_fma_f64 v[10:11], v[32:33], v[34:35], v[10:11]
	s_or_b64 exec, exec, s[28:29]
	v_cmp_gt_u32_e64 s[12:13], 32, v14
	s_and_saveexec_b64 s[28:29], s[12:13]
	s_cbranch_execz .LBB127_234
.LBB127_1123:
	ds_read_b64 v[32:33], v27 offset:7296
	ds_read_b64 v[34:35], v29 offset:112
	s_waitcnt lgkmcnt(0)
	v_fma_f64 v[10:11], v[32:33], v[34:35], v[10:11]
	s_or_b64 exec, exec, s[28:29]
	v_cmp_gt_u32_e64 s[12:13], 16, v14
	s_and_saveexec_b64 s[28:29], s[12:13]
	s_cbranch_execnz .LBB127_235
	s_branch .LBB127_236
.LBB127_1124:
	v_lshlrev_b32_e32 v33, 3, v21
	v_sub_u32_e32 v33, v32, v33
	v_lshl_add_u32 v33, v20, 3, v33
	ds_read_b64 v[33:34], v33 offset:8864
	ds_read_b64 v[35:36], v32 offset:8328
	s_waitcnt lgkmcnt(0)
	v_fma_f64 v[10:11], v[33:34], v[35:36], v[10:11]
	s_or_b64 exec, exec, s[16:17]
	v_cmp_gt_u32_e64 s[10:11], 8, v14
	s_and_saveexec_b64 s[16:17], s[10:11]
	s_cbranch_execz .LBB127_320
.LBB127_1125:
	ds_read_b64 v[33:34], v16 offset:9376
	ds_read_b64 v[35:36], v32 offset:8336
	s_waitcnt lgkmcnt(0)
	v_fma_f64 v[10:11], v[33:34], v[35:36], v[10:11]
	s_or_b64 exec, exec, s[16:17]
	v_cmp_gt_u32_e64 s[10:11], 4, v14
	s_and_saveexec_b64 s[16:17], s[10:11]
	s_cbranch_execnz .LBB127_321
	s_branch .LBB127_322
.LBB127_1126:
	v_lshlrev_b32_e32 v33, 3, v26
	v_sub_u32_e32 v33, v32, v33
	v_lshl_add_u32 v33, v25, 3, v33
	ds_read_b64 v[33:34], v33 offset:8896
	ds_read_b64 v[35:36], v32 offset:8328
	s_waitcnt lgkmcnt(0)
	v_fma_f64 v[10:11], v[33:34], v[35:36], v[10:11]
	s_or_b64 exec, exec, s[16:17]
	v_cmp_gt_u32_e64 s[10:11], 48, v14
	s_and_saveexec_b64 s[16:17], s[10:11]
	s_cbranch_execz .LBB127_358
.LBB127_1127:
	v_lshlrev_b32_e32 v33, 3, v26
	v_sub_u32_e32 v33, v32, v33
	v_lshl_add_u32 v33, v25, 3, v33
	ds_read_b64 v[33:34], v33 offset:9408
	ds_read_b64 v[35:36], v32 offset:8336
	s_waitcnt lgkmcnt(0)
	v_fma_f64 v[10:11], v[33:34], v[35:36], v[10:11]
	s_or_b64 exec, exec, s[16:17]
	v_cmp_gt_u32_e64 s[10:11], 40, v14
	s_and_saveexec_b64 s[16:17], s[10:11]
	s_cbranch_execz .LBB127_359
.LBB127_1128:
	v_lshlrev_b32_e32 v33, 3, v26
	v_sub_u32_e32 v33, v32, v33
	v_lshl_add_u32 v33, v25, 3, v33
	ds_read_b64 v[33:34], v33 offset:9920
	ds_read_b64 v[35:36], v32 offset:8344
	s_waitcnt lgkmcnt(0)
	v_fma_f64 v[10:11], v[33:34], v[35:36], v[10:11]
	s_or_b64 exec, exec, s[16:17]
	v_cmp_gt_u32_e64 s[10:11], 32, v14
	s_and_saveexec_b64 s[16:17], s[10:11]
	s_cbranch_execz .LBB127_360
.LBB127_1129:
	ds_read_b64 v[33:34], v22 offset:10432
	ds_read_b64 v[35:36], v32 offset:8352
	s_waitcnt lgkmcnt(0)
	v_fma_f64 v[10:11], v[33:34], v[35:36], v[10:11]
	s_or_b64 exec, exec, s[16:17]
	v_cmp_gt_u32_e64 s[10:11], 24, v14
	s_and_saveexec_b64 s[16:17], s[10:11]
	s_cbranch_execz .LBB127_361
.LBB127_1130:
	v_lshlrev_b32_e32 v33, 3, v26
	v_sub_u32_e32 v33, v32, v33
	v_lshl_add_u32 v33, v25, 3, v33
	ds_read_b64 v[33:34], v33 offset:10944
	ds_read_b64 v[35:36], v32 offset:8360
	s_waitcnt lgkmcnt(0)
	v_fma_f64 v[10:11], v[33:34], v[35:36], v[10:11]
	s_or_b64 exec, exec, s[16:17]
	v_cmp_gt_u32_e64 s[10:11], 16, v14
	s_and_saveexec_b64 s[16:17], s[10:11]
	s_cbranch_execz .LBB127_362
.LBB127_1131:
	ds_read_b64 v[33:34], v22 offset:11456
	ds_read_b64 v[35:36], v32 offset:8368
	s_waitcnt lgkmcnt(0)
	v_fma_f64 v[10:11], v[33:34], v[35:36], v[10:11]
	s_or_b64 exec, exec, s[16:17]
	v_cmp_gt_u32_e64 s[10:11], 8, v14
	s_and_saveexec_b64 s[16:17], s[10:11]
	s_cbranch_execnz .LBB127_363
	s_branch .LBB127_364
.LBB127_1132:
	v_lshlrev_b32_e32 v33, 3, v21
	v_sub_u32_e32 v33, v32, v33
	v_lshl_add_u32 v33, v20, 3, v33
	ds_read_b64 v[33:34], v33 offset:13024
	ds_read_b64 v[35:36], v32 offset:12488
	s_waitcnt lgkmcnt(0)
	v_fma_f64 v[10:11], v[33:34], v[35:36], v[10:11]
	s_or_b64 exec, exec, s[16:17]
	v_cmp_gt_u32_e64 s[10:11], 8, v14
	s_and_saveexec_b64 s[16:17], s[10:11]
	s_cbranch_execz .LBB127_416
.LBB127_1133:
	ds_read_b64 v[33:34], v16 offset:13536
	ds_read_b64 v[35:36], v32 offset:12496
	s_waitcnt lgkmcnt(0)
	v_fma_f64 v[10:11], v[33:34], v[35:36], v[10:11]
	s_or_b64 exec, exec, s[16:17]
	v_cmp_gt_u32_e64 s[10:11], 4, v14
	s_and_saveexec_b64 s[16:17], s[10:11]
	s_cbranch_execnz .LBB127_417
	s_branch .LBB127_418
.LBB127_1134:
	ds_read_b64 v[37:38], v32 offset:15104
	ds_read_b64 v[39:40], v36 offset:232
	s_waitcnt lgkmcnt(0)
	v_fma_f64 v[10:11], v[37:38], v[39:40], v[10:11]
	s_or_b64 exec, exec, s[90:91]
	v_cmp_gt_u32_e64 s[16:17], 64, v14
	s_and_saveexec_b64 s[90:91], s[16:17]
	s_cbranch_execz .LBB127_510
.LBB127_1135:
	ds_read_b64 v[37:38], v32 offset:15616
	ds_read_b64 v[39:40], v36 offset:240
	s_waitcnt lgkmcnt(0)
	v_fma_f64 v[10:11], v[37:38], v[39:40], v[10:11]
	s_or_b64 exec, exec, s[90:91]
	v_cmp_gt_u32_e64 s[16:17], 32, v14
	s_and_saveexec_b64 s[90:91], s[16:17]
	s_cbranch_execnz .LBB127_511
	s_branch .LBB127_512
.LBB127_1136:
	v_lshlrev_b32_e32 v33, 3, v21
	v_sub_u32_e32 v33, v32, v33
	v_lshl_add_u32 v33, v20, 3, v33
	ds_read_b64 v[33:34], v33 offset:17184
	ds_read_b64 v[35:36], v32 offset:16648
	s_waitcnt lgkmcnt(0)
	v_fma_f64 v[10:11], v[33:34], v[35:36], v[10:11]
	s_or_b64 exec, exec, s[16:17]
	v_cmp_gt_u32_e64 s[10:11], 8, v14
	s_and_saveexec_b64 s[16:17], s[10:11]
	s_cbranch_execz .LBB127_660
.LBB127_1137:
	ds_read_b64 v[33:34], v16 offset:17696
	ds_read_b64 v[35:36], v32 offset:16656
	s_waitcnt lgkmcnt(0)
	v_fma_f64 v[10:11], v[33:34], v[35:36], v[10:11]
	s_or_b64 exec, exec, s[16:17]
	v_cmp_gt_u32_e64 s[10:11], 4, v14
	s_and_saveexec_b64 s[16:17], s[10:11]
	s_cbranch_execnz .LBB127_661
	s_branch .LBB127_662
.LBB127_1138:
	v_lshlrev_b32_e32 v33, 3, v26
	v_sub_u32_e32 v33, v32, v33
	v_lshl_add_u32 v33, v25, 3, v33
	ds_read_b64 v[33:34], v33 offset:17216
	ds_read_b64 v[35:36], v32 offset:16648
	s_waitcnt lgkmcnt(0)
	v_fma_f64 v[10:11], v[33:34], v[35:36], v[10:11]
	s_or_b64 exec, exec, s[16:17]
	v_cmp_gt_u32_e64 s[10:11], 48, v14
	s_and_saveexec_b64 s[16:17], s[10:11]
	s_cbranch_execz .LBB127_698
.LBB127_1139:
	v_lshlrev_b32_e32 v33, 3, v26
	v_sub_u32_e32 v33, v32, v33
	v_lshl_add_u32 v33, v25, 3, v33
	ds_read_b64 v[33:34], v33 offset:17728
	ds_read_b64 v[35:36], v32 offset:16656
	s_waitcnt lgkmcnt(0)
	v_fma_f64 v[10:11], v[33:34], v[35:36], v[10:11]
	s_or_b64 exec, exec, s[16:17]
	v_cmp_gt_u32_e64 s[10:11], 40, v14
	s_and_saveexec_b64 s[16:17], s[10:11]
	s_cbranch_execz .LBB127_699
.LBB127_1140:
	v_lshlrev_b32_e32 v33, 3, v26
	v_sub_u32_e32 v33, v32, v33
	v_lshl_add_u32 v33, v25, 3, v33
	ds_read_b64 v[33:34], v33 offset:18240
	ds_read_b64 v[35:36], v32 offset:16664
	s_waitcnt lgkmcnt(0)
	v_fma_f64 v[10:11], v[33:34], v[35:36], v[10:11]
	s_or_b64 exec, exec, s[16:17]
	v_cmp_gt_u32_e64 s[10:11], 32, v14
	s_and_saveexec_b64 s[16:17], s[10:11]
	s_cbranch_execz .LBB127_700
.LBB127_1141:
	ds_read_b64 v[33:34], v22 offset:18752
	ds_read_b64 v[35:36], v32 offset:16672
	s_waitcnt lgkmcnt(0)
	v_fma_f64 v[10:11], v[33:34], v[35:36], v[10:11]
	s_or_b64 exec, exec, s[16:17]
	v_cmp_gt_u32_e64 s[10:11], 24, v14
	s_and_saveexec_b64 s[16:17], s[10:11]
	s_cbranch_execz .LBB127_701
.LBB127_1142:
	v_lshlrev_b32_e32 v33, 3, v26
	v_sub_u32_e32 v33, v32, v33
	v_lshl_add_u32 v33, v25, 3, v33
	ds_read_b64 v[33:34], v33 offset:19264
	ds_read_b64 v[35:36], v32 offset:16680
	s_waitcnt lgkmcnt(0)
	v_fma_f64 v[10:11], v[33:34], v[35:36], v[10:11]
	s_or_b64 exec, exec, s[16:17]
	v_cmp_gt_u32_e64 s[10:11], 16, v14
	s_and_saveexec_b64 s[16:17], s[10:11]
	s_cbranch_execz .LBB127_702
.LBB127_1143:
	ds_read_b64 v[33:34], v22 offset:19776
	ds_read_b64 v[35:36], v32 offset:16688
	s_waitcnt lgkmcnt(0)
	v_fma_f64 v[10:11], v[33:34], v[35:36], v[10:11]
	s_or_b64 exec, exec, s[16:17]
	v_cmp_gt_u32_e64 s[10:11], 8, v14
	s_and_saveexec_b64 s[16:17], s[10:11]
	s_cbranch_execnz .LBB127_703
	s_branch .LBB127_704
.LBB127_1144:
	v_lshlrev_b32_e32 v33, 3, v21
	v_sub_u32_e32 v33, v32, v33
	v_lshl_add_u32 v33, v20, 3, v33
	ds_read_b64 v[33:34], v33 offset:21344
	ds_read_b64 v[35:36], v32 offset:20808
	s_waitcnt lgkmcnt(0)
	v_fma_f64 v[10:11], v[33:34], v[35:36], v[10:11]
	s_or_b64 exec, exec, s[16:17]
	v_cmp_gt_u32_e64 s[10:11], 8, v14
	s_and_saveexec_b64 s[16:17], s[10:11]
	s_cbranch_execz .LBB127_756
.LBB127_1145:
	ds_read_b64 v[33:34], v16 offset:21856
	ds_read_b64 v[35:36], v32 offset:20816
	s_waitcnt lgkmcnt(0)
	v_fma_f64 v[10:11], v[33:34], v[35:36], v[10:11]
	s_or_b64 exec, exec, s[16:17]
	v_cmp_gt_u32_e64 s[10:11], 4, v14
	s_and_saveexec_b64 s[16:17], s[10:11]
	s_cbranch_execnz .LBB127_757
	s_branch .LBB127_758
.LBB127_1146:
	v_lshlrev_b32_e32 v31, 3, v28
	v_lshl_add_u32 v31, v30, 3, v31
	ds_read_b64 v[33:34], v31 offset:22400
	ds_read_b64 v[35:36], v32 offset:16728
	s_waitcnt lgkmcnt(0)
	v_fma_f64 v[10:11], v[33:34], v[35:36], v[10:11]
	s_or_b64 exec, exec, s[16:17]
	v_cmp_gt_u32_e64 s[10:11], 64, v14
	s_and_saveexec_b64 s[16:17], s[10:11]
	s_cbranch_execz .LBB127_814
.LBB127_1147:
	ds_read_b64 v[33:34], v27 offset:22912
	ds_read_b64 v[35:36], v32 offset:16736
	s_waitcnt lgkmcnt(0)
	v_fma_f64 v[10:11], v[33:34], v[35:36], v[10:11]
	s_or_b64 exec, exec, s[16:17]
	v_cmp_gt_u32_e64 s[10:11], 48, v14
	s_and_saveexec_b64 s[16:17], s[10:11]
	s_cbranch_execz .LBB127_815
.LBB127_1148:
	v_lshlrev_b32_e32 v31, 3, v28
	v_lshl_add_u32 v30, v30, 3, v31
	ds_read_b64 v[30:31], v30 offset:23424
	ds_read_b64 v[33:34], v32 offset:16744
	s_waitcnt lgkmcnt(0)
	v_fma_f64 v[10:11], v[30:31], v[33:34], v[10:11]
	s_or_b64 exec, exec, s[16:17]
	v_cmp_gt_u32_e64 s[10:11], 32, v14
	s_and_saveexec_b64 s[16:17], s[10:11]
	s_cbranch_execz .LBB127_816
.LBB127_1149:
	ds_read_b64 v[30:31], v27 offset:23936
	ds_read_b64 v[32:33], v32 offset:16752
	s_waitcnt lgkmcnt(0)
	v_fma_f64 v[10:11], v[30:31], v[32:33], v[10:11]
	s_or_b64 exec, exec, s[16:17]
	v_cmp_gt_u32_e64 s[10:11], 16, v14
	s_and_saveexec_b64 s[16:17], s[10:11]
	s_cbranch_execnz .LBB127_817
	s_branch .LBB127_818
.LBB127_1150:
	v_lshlrev_b32_e32 v28, 3, v21
	v_sub_u32_e32 v28, v27, v28
	v_lshl_add_u32 v28, v20, 3, v28
	ds_read_b64 v[28:29], v28 offset:25504
	ds_read_b64 v[30:31], v27 offset:24968
	s_waitcnt lgkmcnt(0)
	v_fma_f64 v[10:11], v[28:29], v[30:31], v[10:11]
	s_or_b64 exec, exec, s[12:13]
	v_cmp_gt_u32_e64 s[8:9], 8, v14
	s_and_saveexec_b64 s[12:13], s[8:9]
	s_cbranch_execz .LBB127_902
.LBB127_1151:
	ds_read_b64 v[28:29], v16 offset:26016
	ds_read_b64 v[30:31], v27 offset:24976
	s_waitcnt lgkmcnt(0)
	v_fma_f64 v[10:11], v[28:29], v[30:31], v[10:11]
	s_or_b64 exec, exec, s[12:13]
	v_cmp_gt_u32_e64 s[8:9], 4, v14
	s_and_saveexec_b64 s[12:13], s[8:9]
	s_cbranch_execnz .LBB127_903
	s_branch .LBB127_904
.LBB127_1152:
	v_lshlrev_b32_e32 v28, 3, v26
	v_sub_u32_e32 v28, v27, v28
	v_lshl_add_u32 v28, v25, 3, v28
	ds_read_b64 v[28:29], v28 offset:25536
	ds_read_b64 v[30:31], v27 offset:24968
	s_waitcnt lgkmcnt(0)
	v_fma_f64 v[10:11], v[28:29], v[30:31], v[10:11]
	s_or_b64 exec, exec, s[12:13]
	v_cmp_gt_u32_e64 s[8:9], 48, v14
	s_and_saveexec_b64 s[12:13], s[8:9]
	s_cbranch_execz .LBB127_940
.LBB127_1153:
	v_lshlrev_b32_e32 v28, 3, v26
	v_sub_u32_e32 v28, v27, v28
	v_lshl_add_u32 v28, v25, 3, v28
	ds_read_b64 v[28:29], v28 offset:26048
	ds_read_b64 v[30:31], v27 offset:24976
	s_waitcnt lgkmcnt(0)
	v_fma_f64 v[10:11], v[28:29], v[30:31], v[10:11]
	s_or_b64 exec, exec, s[12:13]
	v_cmp_gt_u32_e64 s[8:9], 40, v14
	s_and_saveexec_b64 s[12:13], s[8:9]
	s_cbranch_execz .LBB127_941
.LBB127_1154:
	v_lshlrev_b32_e32 v28, 3, v26
	v_sub_u32_e32 v28, v27, v28
	v_lshl_add_u32 v28, v25, 3, v28
	ds_read_b64 v[28:29], v28 offset:26560
	ds_read_b64 v[30:31], v27 offset:24984
	s_waitcnt lgkmcnt(0)
	v_fma_f64 v[10:11], v[28:29], v[30:31], v[10:11]
	s_or_b64 exec, exec, s[12:13]
	v_cmp_gt_u32_e64 s[8:9], 32, v14
	s_and_saveexec_b64 s[12:13], s[8:9]
	s_cbranch_execz .LBB127_942
.LBB127_1155:
	ds_read_b64 v[28:29], v22 offset:27072
	ds_read_b64 v[30:31], v27 offset:24992
	s_waitcnt lgkmcnt(0)
	v_fma_f64 v[10:11], v[28:29], v[30:31], v[10:11]
	s_or_b64 exec, exec, s[12:13]
	v_cmp_gt_u32_e64 s[8:9], 24, v14
	s_and_saveexec_b64 s[12:13], s[8:9]
	s_cbranch_execz .LBB127_943
.LBB127_1156:
	v_lshlrev_b32_e32 v26, 3, v26
	v_sub_u32_e32 v26, v27, v26
	v_lshl_add_u32 v25, v25, 3, v26
	ds_read_b64 v[25:26], v25 offset:27584
	ds_read_b64 v[28:29], v27 offset:25000
	s_waitcnt lgkmcnt(0)
	v_fma_f64 v[10:11], v[25:26], v[28:29], v[10:11]
	s_or_b64 exec, exec, s[12:13]
	v_cmp_gt_u32_e64 s[8:9], 16, v14
	s_and_saveexec_b64 s[12:13], s[8:9]
	s_cbranch_execz .LBB127_944
.LBB127_1157:
	ds_read_b64 v[25:26], v22 offset:28096
	ds_read_b64 v[27:28], v27 offset:25008
	s_waitcnt lgkmcnt(0)
	v_fma_f64 v[10:11], v[25:26], v[27:28], v[10:11]
	s_or_b64 exec, exec, s[12:13]
	v_cmp_gt_u32_e64 s[8:9], 8, v14
	s_and_saveexec_b64 s[12:13], s[8:9]
	s_cbranch_execnz .LBB127_945
	s_branch .LBB127_946
.LBB127_1158:
	v_lshlrev_b32_e32 v21, 3, v21
	v_sub_u32_e32 v21, v22, v21
	v_lshl_add_u32 v20, v20, 3, v21
	ds_read_b64 v[20:21], v20 offset:29664
	ds_read_b64 v[23:24], v22 offset:29128
	s_waitcnt lgkmcnt(0)
	v_fma_f64 v[10:11], v[20:21], v[23:24], v[10:11]
	s_or_b64 exec, exec, s[12:13]
	v_cmp_gt_u32_e64 s[8:9], 8, v14
	s_and_saveexec_b64 s[12:13], s[8:9]
	s_cbranch_execz .LBB127_998
.LBB127_1159:
	ds_read_b64 v[20:21], v16 offset:30176
	ds_read_b64 v[22:23], v22 offset:29136
	s_waitcnt lgkmcnt(0)
	v_fma_f64 v[10:11], v[20:21], v[22:23], v[10:11]
	s_or_b64 exec, exec, s[12:13]
	v_cmp_gt_u32_e64 s[8:9], 4, v14
	s_and_saveexec_b64 s[12:13], s[8:9]
	s_cbranch_execnz .LBB127_999
	s_branch .LBB127_1000
	.section	.rodata,"a",@progbits
	.p2align	6, 0x0
	.amdhsa_kernel _ZL19rocblas_trsv_deviceILi64ELi16ELb1ELb0ELb0ELb1EdPKdPKS1_PKPdEviT7_lllT6_T8_lllPii
		.amdhsa_group_segment_fixed_size 41480
		.amdhsa_private_segment_fixed_size 0
		.amdhsa_kernarg_size 352
		.amdhsa_user_sgpr_count 6
		.amdhsa_user_sgpr_private_segment_buffer 1
		.amdhsa_user_sgpr_dispatch_ptr 0
		.amdhsa_user_sgpr_queue_ptr 0
		.amdhsa_user_sgpr_kernarg_segment_ptr 1
		.amdhsa_user_sgpr_dispatch_id 0
		.amdhsa_user_sgpr_flat_scratch_init 0
		.amdhsa_user_sgpr_private_segment_size 0
		.amdhsa_uses_dynamic_stack 0
		.amdhsa_system_sgpr_private_segment_wavefront_offset 0
		.amdhsa_system_sgpr_workgroup_id_x 1
		.amdhsa_system_sgpr_workgroup_id_y 0
		.amdhsa_system_sgpr_workgroup_id_z 1
		.amdhsa_system_sgpr_workgroup_info 0
		.amdhsa_system_vgpr_workitem_id 1
		.amdhsa_next_free_vgpr 49
		.amdhsa_next_free_sgpr 98
		.amdhsa_reserve_vcc 1
		.amdhsa_reserve_flat_scratch 0
		.amdhsa_float_round_mode_32 0
		.amdhsa_float_round_mode_16_64 0
		.amdhsa_float_denorm_mode_32 3
		.amdhsa_float_denorm_mode_16_64 3
		.amdhsa_dx10_clamp 1
		.amdhsa_ieee_mode 1
		.amdhsa_fp16_overflow 0
		.amdhsa_exception_fp_ieee_invalid_op 0
		.amdhsa_exception_fp_denorm_src 0
		.amdhsa_exception_fp_ieee_div_zero 0
		.amdhsa_exception_fp_ieee_overflow 0
		.amdhsa_exception_fp_ieee_underflow 0
		.amdhsa_exception_fp_ieee_inexact 0
		.amdhsa_exception_int_div_zero 0
	.end_amdhsa_kernel
	.section	.text._ZL19rocblas_trsv_deviceILi64ELi16ELb1ELb0ELb0ELb1EdPKdPKS1_PKPdEviT7_lllT6_T8_lllPii,"axG",@progbits,_ZL19rocblas_trsv_deviceILi64ELi16ELb1ELb0ELb0ELb1EdPKdPKS1_PKPdEviT7_lllT6_T8_lllPii,comdat
.Lfunc_end127:
	.size	_ZL19rocblas_trsv_deviceILi64ELi16ELb1ELb0ELb0ELb1EdPKdPKS1_PKPdEviT7_lllT6_T8_lllPii, .Lfunc_end127-_ZL19rocblas_trsv_deviceILi64ELi16ELb1ELb0ELb0ELb1EdPKdPKS1_PKPdEviT7_lllT6_T8_lllPii
                                        ; -- End function
	.set _ZL19rocblas_trsv_deviceILi64ELi16ELb1ELb0ELb0ELb1EdPKdPKS1_PKPdEviT7_lllT6_T8_lllPii.num_vgpr, 42
	.set _ZL19rocblas_trsv_deviceILi64ELi16ELb1ELb0ELb0ELb1EdPKdPKS1_PKPdEviT7_lllT6_T8_lllPii.num_agpr, 0
	.set _ZL19rocblas_trsv_deviceILi64ELi16ELb1ELb0ELb0ELb1EdPKdPKS1_PKPdEviT7_lllT6_T8_lllPii.numbered_sgpr, 96
	.set _ZL19rocblas_trsv_deviceILi64ELi16ELb1ELb0ELb0ELb1EdPKdPKS1_PKPdEviT7_lllT6_T8_lllPii.num_named_barrier, 0
	.set _ZL19rocblas_trsv_deviceILi64ELi16ELb1ELb0ELb0ELb1EdPKdPKS1_PKPdEviT7_lllT6_T8_lllPii.private_seg_size, 0
	.set _ZL19rocblas_trsv_deviceILi64ELi16ELb1ELb0ELb0ELb1EdPKdPKS1_PKPdEviT7_lllT6_T8_lllPii.uses_vcc, 1
	.set _ZL19rocblas_trsv_deviceILi64ELi16ELb1ELb0ELb0ELb1EdPKdPKS1_PKPdEviT7_lllT6_T8_lllPii.uses_flat_scratch, 0
	.set _ZL19rocblas_trsv_deviceILi64ELi16ELb1ELb0ELb0ELb1EdPKdPKS1_PKPdEviT7_lllT6_T8_lllPii.has_dyn_sized_stack, 0
	.set _ZL19rocblas_trsv_deviceILi64ELi16ELb1ELb0ELb0ELb1EdPKdPKS1_PKPdEviT7_lllT6_T8_lllPii.has_recursion, 0
	.set _ZL19rocblas_trsv_deviceILi64ELi16ELb1ELb0ELb0ELb1EdPKdPKS1_PKPdEviT7_lllT6_T8_lllPii.has_indirect_call, 0
	.section	.AMDGPU.csdata,"",@progbits
; Kernel info:
; codeLenInByte = 30288
; TotalNumSgprs: 100
; NumVgprs: 42
; ScratchSize: 0
; MemoryBound: 0
; FloatMode: 240
; IeeeMode: 1
; LDSByteSize: 41480 bytes/workgroup (compile time only)
; SGPRBlocks: 12
; VGPRBlocks: 12
; NumSGPRsForWavesPerEU: 102
; NumVGPRsForWavesPerEU: 49
; Occupancy: 4
; WaveLimiterHint : 1
; COMPUTE_PGM_RSRC2:SCRATCH_EN: 0
; COMPUTE_PGM_RSRC2:USER_SGPR: 6
; COMPUTE_PGM_RSRC2:TRAP_HANDLER: 0
; COMPUTE_PGM_RSRC2:TGID_X_EN: 1
; COMPUTE_PGM_RSRC2:TGID_Y_EN: 0
; COMPUTE_PGM_RSRC2:TGID_Z_EN: 1
; COMPUTE_PGM_RSRC2:TIDIG_COMP_CNT: 1
	.section	.text._ZL19rocblas_trsv_deviceILi64ELi16ELb1ELb1ELb0ELb1EdPKdPKS1_PKPdEviT7_lllT6_T8_lllPii,"axG",@progbits,_ZL19rocblas_trsv_deviceILi64ELi16ELb1ELb1ELb0ELb1EdPKdPKS1_PKPdEviT7_lllT6_T8_lllPii,comdat
	.globl	_ZL19rocblas_trsv_deviceILi64ELi16ELb1ELb1ELb0ELb1EdPKdPKS1_PKPdEviT7_lllT6_T8_lllPii ; -- Begin function _ZL19rocblas_trsv_deviceILi64ELi16ELb1ELb1ELb0ELb1EdPKdPKS1_PKPdEviT7_lllT6_T8_lllPii
	.p2align	8
	.type	_ZL19rocblas_trsv_deviceILi64ELi16ELb1ELb1ELb0ELb1EdPKdPKS1_PKPdEviT7_lllT6_T8_lllPii,@function
_ZL19rocblas_trsv_deviceILi64ELi16ELb1ELb1ELb0ELb1EdPKdPKS1_PKPdEviT7_lllT6_T8_lllPii: ; @_ZL19rocblas_trsv_deviceILi64ELi16ELb1ELb1ELb0ELb1EdPKdPKS1_PKPdEviT7_lllT6_T8_lllPii
; %bb.0:
	s_load_dwordx4 s[0:3], s[4:5], 0x8
	s_mov_b32 s28, s7
	s_mov_b32 s29, 0
	s_lshl_b64 s[8:9], s[28:29], 3
	s_waitcnt lgkmcnt(0)
	s_add_u32 s0, s0, s8
	s_addc_u32 s1, s1, s9
	s_load_dwordx2 s[10:11], s[0:1], 0x0
	s_load_dword s30, s[4:5], 0x0
	s_load_dwordx8 s[20:27], s[4:5], 0x28
	s_load_dwordx2 s[34:35], s[4:5], 0x18
	s_lshl_b64 s[0:1], s[2:3], 3
	s_waitcnt lgkmcnt(0)
	s_add_u32 s91, s10, s0
	s_addc_u32 s94, s11, s1
	s_add_u32 s0, s22, s8
	s_load_dword s7, s[4:5], 0x60
	s_addc_u32 s1, s23, s9
	s_load_dwordx2 s[38:39], s[0:1], 0x0
	s_load_dwordx2 s[16:17], s[20:21], 0x0
	s_load_dword s95, s[4:5], 0x6c
	s_waitcnt lgkmcnt(0)
	s_add_i32 s7, s7, -1
	s_sub_i32 s33, s7, s6
	s_cmp_eq_u32 s6, 0
	s_cbranch_scc1 .LBB128_10
; %bb.1:
	s_lshl_b32 s2, s33, 6
	v_add_u32_e32 v4, s2, v0
	v_ashrrev_i32_e32 v2, 31, v4
	v_mul_lo_u32 v5, s34, v2
	v_mul_lo_u32 v6, s35, v4
	v_mad_u64_u32 v[2:3], s[0:1], s34, v4, 0
	v_add3_u32 v10, v1, s2, 64
	v_ashrrev_i32_e32 v11, 31, v10
	v_add3_u32 v3, v3, v5, v6
	v_lshlrev_b64 v[2:3], 3, v[2:3]
	v_cmp_gt_i32_e32 vcc, s30, v4
	v_mov_b32_e32 v4, s94
	v_add_co_u32_e64 v5, s[0:1], s91, v2
	v_addc_co_u32_e64 v4, s[0:1], v4, v3, s[0:1]
	v_lshlrev_b64 v[2:3], 3, v[10:11]
	v_add_co_u32_e64 v11, s[0:1], v5, v2
	v_addc_co_u32_e64 v12, s[0:1], v4, v3, s[0:1]
	v_cmp_gt_i32_e64 s[0:1], s30, v10
	v_mov_b32_e32 v2, 0
	v_mov_b32_e32 v4, 0
	;; [unrolled: 1-line block ×4, first 2 shown]
	s_and_b64 s[2:3], s[0:1], vcc
	s_barrier
	s_and_saveexec_b64 s[0:1], s[2:3]
	s_cbranch_execz .LBB128_3
; %bb.2:
	flat_load_dwordx2 v[4:5], v[11:12]
.LBB128_3:
	s_or_b64 exec, exec, s[0:1]
	v_add_u32_e32 v6, 16, v10
	v_cmp_gt_i32_e64 s[0:1], s30, v6
	s_and_b64 s[2:3], s[0:1], vcc
	s_waitcnt vmcnt(0) lgkmcnt(0)
	s_barrier
	s_and_saveexec_b64 s[0:1], s[2:3]
	s_cbranch_execz .LBB128_5
; %bb.4:
	flat_load_dwordx2 v[2:3], v[11:12] offset:128
.LBB128_5:
	s_or_b64 exec, exec, s[0:1]
	v_add_u32_e32 v6, 32, v10
	v_cmp_gt_i32_e64 s[0:1], s30, v6
	v_mov_b32_e32 v6, 0
	v_mov_b32_e32 v8, 0
	;; [unrolled: 1-line block ×4, first 2 shown]
	s_and_b64 s[2:3], s[0:1], vcc
	s_waitcnt vmcnt(0) lgkmcnt(0)
	s_barrier
	s_and_saveexec_b64 s[0:1], s[2:3]
	s_cbranch_execz .LBB128_7
; %bb.6:
	flat_load_dwordx2 v[8:9], v[11:12] offset:256
.LBB128_7:
	s_or_b64 exec, exec, s[0:1]
	v_add_u32_e32 v10, 48, v10
	v_cmp_gt_i32_e64 s[0:1], s30, v10
	s_and_b64 s[2:3], s[0:1], vcc
	s_waitcnt vmcnt(0) lgkmcnt(0)
	s_barrier
	s_and_saveexec_b64 s[0:1], s[2:3]
	s_cbranch_execz .LBB128_9
; %bb.8:
	flat_load_dwordx2 v[6:7], v[11:12] offset:384
.LBB128_9:
	s_or_b64 exec, exec, s[0:1]
	s_branch .LBB128_11
.LBB128_10:
                                        ; implicit-def: $vgpr6_vgpr7
                                        ; implicit-def: $vgpr8_vgpr9
                                        ; implicit-def: $vgpr2_vgpr3
                                        ; implicit-def: $vgpr4_vgpr5
.LBB128_11:
	s_ashr_i32 s31, s30, 31
	s_lshr_b32 s0, s31, 26
	s_add_i32 s0, s30, s0
	s_andn2_b32 s0, s0, 63
	s_sub_i32 s90, s30, s0
	s_add_i32 s0, s30, -1
	s_ashr_i32 s1, s0, 31
	s_lshr_b32 s1, s1, 26
	s_add_i32 s0, s0, s1
	s_ashr_i32 s0, s0, 6
	s_cmp_eq_u32 s0, s33
	s_cselect_b64 s[0:1], -1, 0
	s_cmp_lg_u32 s90, 0
	s_cselect_b64 s[2:3], -1, 0
	s_and_b64 s[22:23], s[2:3], s[0:1]
	s_cmp_lt_i32 s6, 5
	s_cselect_b64 s[2:3], -1, 0
	s_mov_b64 s[12:13], -1
	s_or_b64 s[0:1], s[2:3], s[22:23]
	v_lshlrev_b32_e32 v14, 6, v0
	s_and_b64 vcc, exec, s[22:23]
	v_cmp_le_u32_e64 s[8:9], v0, v1
	s_cbranch_vccnz .LBB128_33
; %bb.12:
	s_add_u32 s10, s34, 1
	s_addc_u32 s11, s35, 0
	s_lshl_b32 s12, s33, 6
	s_ashr_i32 s13, s12, 31
	s_mul_hi_u32 s14, s10, s12
	s_mul_i32 s13, s10, s13
	s_add_i32 s13, s14, s13
	s_mul_i32 s11, s11, s12
	s_add_i32 s11, s13, s11
	s_mul_i32 s10, s10, s12
	s_lshl_b64 s[10:11], s[10:11], 3
	s_add_u32 s10, s91, s10
	s_addc_u32 s11, s94, s11
	v_lshlrev_b32_e32 v10, 3, v0
	v_mov_b32_e32 v11, s11
	v_add_co_u32_e32 v10, vcc, s10, v10
	v_addc_co_u32_e32 v11, vcc, 0, v11, vcc
	s_mov_b64 s[10:11], 0
	s_and_saveexec_b64 s[12:13], s[8:9]
	s_xor_b64 s[8:9], exec, s[12:13]
; %bb.13:
	v_or_b32_e32 v12, v1, v0
	v_cmp_gt_u32_e32 vcc, 64, v12
	s_and_b64 s[10:11], vcc, exec
; %bb.14:
	s_or_saveexec_b64 s[8:9], s[8:9]
	v_mov_b32_e32 v12, 0
	v_mov_b32_e32 v13, 0
	s_xor_b64 exec, exec, s[8:9]
	s_cbranch_execz .LBB128_16
; %bb.15:
	v_mad_u64_u32 v[12:13], s[12:13], s34, v1, 0
	s_or_b64 s[10:11], s[10:11], exec
	v_mad_u64_u32 v[15:16], s[12:13], s35, v1, v[13:14]
	v_mov_b32_e32 v13, v15
	v_lshlrev_b64 v[12:13], 3, v[12:13]
	v_add_co_u32_e32 v12, vcc, v10, v12
	v_addc_co_u32_e32 v13, vcc, v11, v13, vcc
	flat_load_dwordx2 v[12:13], v[12:13]
	s_waitcnt vmcnt(0) lgkmcnt(0)
	v_xor_b32_e32 v13, 0x80000000, v13
.LBB128_16:
	s_or_b64 exec, exec, s[8:9]
	s_and_saveexec_b64 s[8:9], s[10:11]
; %bb.17:
	v_add_u32_e32 v15, v1, v14
	v_lshl_add_u32 v16, v1, 6, v0
	v_cndmask_b32_e64 v15, v16, v15, s[2:3]
	v_lshlrev_b32_e32 v15, 3, v15
	ds_write_b64 v15, v[12:13]
; %bb.18:
	s_or_b64 exec, exec, s[8:9]
	v_add_u32_e32 v15, 16, v1
	v_cmp_le_u32_e32 vcc, v0, v15
	s_mov_b64 s[2:3], 0
	s_and_saveexec_b64 s[8:9], vcc
	s_xor_b64 s[8:9], exec, s[8:9]
; %bb.19:
	v_or_b32_e32 v12, v15, v0
	v_cmp_gt_u32_e32 vcc, 64, v12
	s_and_b64 s[2:3], vcc, exec
; %bb.20:
	s_or_saveexec_b64 s[8:9], s[8:9]
	v_mov_b32_e32 v12, 0
	v_mov_b32_e32 v13, 0
	s_xor_b64 exec, exec, s[8:9]
	s_cbranch_execz .LBB128_22
; %bb.21:
	v_mad_u64_u32 v[12:13], s[10:11], s34, v15, 0
	s_or_b64 s[2:3], s[2:3], exec
	v_mad_u64_u32 v[16:17], s[10:11], s35, v15, v[13:14]
	v_mov_b32_e32 v13, v16
	v_lshlrev_b64 v[12:13], 3, v[12:13]
	v_add_co_u32_e32 v12, vcc, v10, v12
	v_addc_co_u32_e32 v13, vcc, v11, v13, vcc
	flat_load_dwordx2 v[12:13], v[12:13]
	s_waitcnt vmcnt(0) lgkmcnt(0)
	v_xor_b32_e32 v13, 0x80000000, v13
.LBB128_22:
	s_or_b64 exec, exec, s[8:9]
	s_and_saveexec_b64 s[8:9], s[2:3]
; %bb.23:
	v_add_u32_e32 v16, v15, v14
	v_lshl_add_u32 v15, v15, 6, v0
	v_cndmask_b32_e64 v15, v15, v16, s[0:1]
	v_lshlrev_b32_e32 v15, 3, v15
	ds_write_b64 v15, v[12:13]
; %bb.24:
	s_or_b64 exec, exec, s[8:9]
	v_add_u32_e32 v15, 32, v1
	v_cmp_le_u32_e32 vcc, v0, v15
	s_mov_b64 s[2:3], 0
	s_and_saveexec_b64 s[8:9], vcc
	s_xor_b64 s[8:9], exec, s[8:9]
; %bb.25:
	v_or_b32_e32 v12, v15, v0
	v_cmp_gt_u32_e32 vcc, 64, v12
	s_and_b64 s[2:3], vcc, exec
; %bb.26:
	s_or_saveexec_b64 s[8:9], s[8:9]
	v_mov_b32_e32 v12, 0
	v_mov_b32_e32 v13, 0
	s_xor_b64 exec, exec, s[8:9]
	s_cbranch_execz .LBB128_28
; %bb.27:
	v_mad_u64_u32 v[12:13], s[10:11], s34, v15, 0
	s_or_b64 s[2:3], s[2:3], exec
	v_mad_u64_u32 v[16:17], s[10:11], s35, v15, v[13:14]
	v_mov_b32_e32 v13, v16
	v_lshlrev_b64 v[12:13], 3, v[12:13]
	v_add_co_u32_e32 v12, vcc, v10, v12
	v_addc_co_u32_e32 v13, vcc, v11, v13, vcc
	flat_load_dwordx2 v[12:13], v[12:13]
	s_waitcnt vmcnt(0) lgkmcnt(0)
	v_xor_b32_e32 v13, 0x80000000, v13
.LBB128_28:
	s_or_b64 exec, exec, s[8:9]
	s_and_saveexec_b64 s[8:9], s[2:3]
; %bb.29:
	v_add_u32_e32 v16, v15, v14
	v_lshl_add_u32 v15, v15, 6, v0
	v_cndmask_b32_e64 v15, v15, v16, s[0:1]
	v_lshlrev_b32_e32 v15, 3, v15
	ds_write_b64 v15, v[12:13]
; %bb.30:
	s_or_b64 exec, exec, s[8:9]
	v_add_u32_e32 v15, 48, v1
	v_add_u32_e32 v12, v15, v14
	v_lshl_add_u32 v13, v15, 6, v0
	v_cmp_le_u32_e32 vcc, v0, v15
	s_mov_b64 s[2:3], -1
	s_mov_b64 s[12:13], 0
	s_mov_b64 s[10:11], 0
	s_and_saveexec_b64 s[8:9], vcc
	s_xor_b64 s[8:9], exec, s[8:9]
; %bb.31:
	v_or_b32_e32 v16, v15, v0
	v_cmp_gt_u32_e32 vcc, 64, v16
	s_and_b64 s[10:11], vcc, exec
	s_xor_b64 s[2:3], exec, -1
; %bb.32:
	s_or_b64 exec, exec, s[8:9]
	v_cndmask_b32_e64 v16, v13, v12, s[0:1]
	s_and_b64 vcc, exec, s[12:13]
	s_cbranch_vccnz .LBB128_34
	s_branch .LBB128_55
.LBB128_33:
	s_mov_b64 s[2:3], 0
	s_mov_b64 s[10:11], 0
                                        ; implicit-def: $vgpr16
                                        ; implicit-def: $vgpr10_vgpr11
                                        ; implicit-def: $vgpr15
	s_and_b64 vcc, exec, s[12:13]
	s_cbranch_vccz .LBB128_55
.LBB128_34:
	s_add_u32 s2, s34, 1
	s_addc_u32 s3, s35, 0
	s_lshl_b32 s8, s33, 6
	s_ashr_i32 s9, s8, 31
	s_mul_hi_u32 s12, s2, s8
	s_mul_i32 s9, s2, s9
	s_add_i32 s9, s12, s9
	s_mul_i32 s3, s3, s8
	s_add_i32 s3, s9, s3
	s_mul_i32 s2, s2, s8
	s_lshl_b64 s[2:3], s[2:3], 3
	s_add_u32 s2, s91, s2
	s_addc_u32 s3, s94, s3
	v_lshlrev_b32_e32 v10, 3, v0
	v_mov_b32_e32 v11, s3
	v_add_co_u32_e64 v10, s[2:3], s2, v10
	v_addc_co_u32_e64 v11, s[2:3], 0, v11, s[2:3]
	v_max_i32_e32 v12, v1, v0
	v_cmp_le_u32_e64 s[2:3], v0, v1
	v_cmp_le_i32_e64 s[8:9], s90, v12
	v_cmp_gt_i32_e32 vcc, s90, v0
	s_or_b64 s[2:3], s[8:9], s[2:3]
	s_mov_b64 s[8:9], 0
	s_and_saveexec_b64 s[12:13], s[2:3]
	s_xor_b64 s[12:13], exec, s[12:13]
; %bb.35:
	v_or_b32_e32 v12, v1, v0
	v_cmp_gt_u32_e64 s[2:3], 64, v12
	s_and_b64 s[8:9], s[2:3], exec
; %bb.36:
	s_or_saveexec_b64 s[12:13], s[12:13]
	v_mov_b32_e32 v12, 0
	v_mov_b32_e32 v13, 0
	s_xor_b64 exec, exec, s[12:13]
	s_cbranch_execz .LBB128_38
; %bb.37:
	v_mad_u64_u32 v[12:13], s[2:3], s34, v1, 0
	s_or_b64 s[8:9], s[8:9], exec
	v_mad_u64_u32 v[15:16], s[2:3], s35, v1, v[13:14]
	v_mov_b32_e32 v13, v15
	v_lshlrev_b64 v[12:13], 3, v[12:13]
	v_add_co_u32_e64 v12, s[2:3], v10, v12
	v_addc_co_u32_e64 v13, s[2:3], v11, v13, s[2:3]
	flat_load_dwordx2 v[12:13], v[12:13]
	s_waitcnt vmcnt(0) lgkmcnt(0)
	v_xor_b32_e32 v13, 0x80000000, v13
.LBB128_38:
	s_or_b64 exec, exec, s[12:13]
	s_and_saveexec_b64 s[2:3], s[8:9]
; %bb.39:
	v_lshlrev_b32_e32 v15, 3, v14
	v_lshl_add_u32 v15, v1, 3, v15
	ds_write_b64 v15, v[12:13]
; %bb.40:
	s_or_b64 exec, exec, s[2:3]
	v_add_u32_e32 v15, 16, v1
	v_cmp_gt_u32_e64 s[2:3], v0, v15
	v_cmp_gt_i32_e64 s[8:9], s90, v15
	s_and_b64 s[2:3], s[2:3], s[8:9]
	s_and_b64 s[2:3], s[2:3], vcc
	s_xor_b64 s[2:3], s[2:3], -1
	s_mov_b64 s[8:9], 0
	s_and_saveexec_b64 s[12:13], s[2:3]
	s_xor_b64 s[12:13], exec, s[12:13]
; %bb.41:
	v_or_b32_e32 v12, v15, v0
	v_cmp_gt_u32_e64 s[2:3], 64, v12
	s_and_b64 s[8:9], s[2:3], exec
; %bb.42:
	s_or_saveexec_b64 s[12:13], s[12:13]
	v_mov_b32_e32 v12, 0
	v_mov_b32_e32 v13, 0
	s_xor_b64 exec, exec, s[12:13]
	s_cbranch_execz .LBB128_44
; %bb.43:
	v_mad_u64_u32 v[12:13], s[2:3], s34, v15, 0
	s_or_b64 s[8:9], s[8:9], exec
	v_mad_u64_u32 v[16:17], s[2:3], s35, v15, v[13:14]
	v_mov_b32_e32 v13, v16
	v_lshlrev_b64 v[12:13], 3, v[12:13]
	v_add_co_u32_e64 v12, s[2:3], v10, v12
	v_addc_co_u32_e64 v13, s[2:3], v11, v13, s[2:3]
	flat_load_dwordx2 v[12:13], v[12:13]
	s_waitcnt vmcnt(0) lgkmcnt(0)
	v_xor_b32_e32 v13, 0x80000000, v13
.LBB128_44:
	s_or_b64 exec, exec, s[12:13]
	s_and_saveexec_b64 s[2:3], s[8:9]
; %bb.45:
	v_add_u32_e32 v16, v15, v14
	v_lshl_add_u32 v15, v15, 6, v0
	v_cndmask_b32_e64 v15, v15, v16, s[0:1]
	v_lshlrev_b32_e32 v15, 3, v15
	ds_write_b64 v15, v[12:13]
; %bb.46:
	s_or_b64 exec, exec, s[2:3]
	v_add_u32_e32 v15, 32, v1
	v_cmp_gt_u32_e64 s[2:3], v0, v15
	v_cmp_gt_i32_e64 s[8:9], s90, v15
	s_and_b64 s[2:3], s[2:3], s[8:9]
	s_and_b64 s[2:3], s[2:3], vcc
	s_xor_b64 s[2:3], s[2:3], -1
	s_mov_b64 s[8:9], 0
	s_and_saveexec_b64 s[12:13], s[2:3]
	s_xor_b64 s[12:13], exec, s[12:13]
; %bb.47:
	v_or_b32_e32 v12, v15, v0
	v_cmp_gt_u32_e64 s[2:3], 64, v12
	s_and_b64 s[8:9], s[2:3], exec
; %bb.48:
	s_or_saveexec_b64 s[12:13], s[12:13]
	v_mov_b32_e32 v12, 0
	v_mov_b32_e32 v13, 0
	s_xor_b64 exec, exec, s[12:13]
	s_cbranch_execz .LBB128_50
; %bb.49:
	v_mad_u64_u32 v[12:13], s[2:3], s34, v15, 0
	s_or_b64 s[8:9], s[8:9], exec
	v_mad_u64_u32 v[16:17], s[2:3], s35, v15, v[13:14]
	v_mov_b32_e32 v13, v16
	v_lshlrev_b64 v[12:13], 3, v[12:13]
	v_add_co_u32_e64 v12, s[2:3], v10, v12
	v_addc_co_u32_e64 v13, s[2:3], v11, v13, s[2:3]
	flat_load_dwordx2 v[12:13], v[12:13]
	s_waitcnt vmcnt(0) lgkmcnt(0)
	v_xor_b32_e32 v13, 0x80000000, v13
.LBB128_50:
	s_or_b64 exec, exec, s[12:13]
	s_and_saveexec_b64 s[2:3], s[8:9]
; %bb.51:
	v_add_u32_e32 v16, v15, v14
	v_lshl_add_u32 v15, v15, 6, v0
	v_cndmask_b32_e64 v15, v15, v16, s[0:1]
	v_lshlrev_b32_e32 v15, 3, v15
	ds_write_b64 v15, v[12:13]
; %bb.52:
	s_or_b64 exec, exec, s[2:3]
	v_add_u32_e32 v15, 48, v1
	v_cmp_gt_u32_e64 s[2:3], v0, v15
	v_cmp_gt_i32_e64 s[8:9], s90, v15
	s_and_b64 s[2:3], s[2:3], s[8:9]
	s_and_b64 s[8:9], s[2:3], vcc
	v_add_u32_e32 v12, v15, v14
	v_lshl_add_u32 v13, v15, 6, v0
	s_mov_b64 s[2:3], -1
	s_xor_b64 s[12:13], s[8:9], -1
	s_and_saveexec_b64 s[8:9], s[12:13]
; %bb.53:
	v_or_b32_e32 v14, v15, v0
	v_cmp_gt_u32_e32 vcc, 64, v14
	s_andn2_b64 s[2:3], s[10:11], exec
	s_and_b64 s[10:11], vcc, exec
	s_or_b64 s[10:11], s[2:3], s[10:11]
	s_xor_b64 s[2:3], exec, -1
; %bb.54:
	s_or_b64 exec, exec, s[8:9]
	v_cndmask_b32_e64 v16, v13, v12, s[0:1]
.LBB128_55:
	v_mov_b32_e32 v12, 0
	v_mov_b32_e32 v13, 0
	s_and_saveexec_b64 s[8:9], s[2:3]
	s_cbranch_execnz .LBB128_1139
; %bb.56:
	s_or_b64 exec, exec, s[8:9]
	s_xor_b64 s[0:1], s[0:1], -1
	s_and_saveexec_b64 s[2:3], s[10:11]
.LBB128_57:
	v_lshlrev_b32_e32 v10, 3, v16
	ds_write_b64 v10, v[12:13]
.LBB128_58:
	s_or_b64 exec, exec, s[2:3]
	v_cndmask_b32_e64 v10, 0, 1, s[0:1]
	v_cmp_ne_u32_e64 s[42:43], 1, v10
	s_andn2_b64 vcc, exec, s[0:1]
	s_waitcnt vmcnt(0) lgkmcnt(0)
	s_barrier
	s_cbranch_vccnz .LBB128_1096
; %bb.59:
	v_or_b32_e32 v10, v0, v1
	v_cmp_eq_u32_e32 vcc, 0, v10
	s_and_saveexec_b64 s[0:1], vcc
	s_cbranch_execz .LBB128_61
; %bb.60:
	v_mov_b32_e32 v12, 0
	ds_read_b64 v[10:11], v12 offset:8
	v_mov_b32_e32 v13, 0x3ff00000
	ds_write_b64 v12, v[12:13]
	s_waitcnt lgkmcnt(1)
	ds_write_b128 v12, v[10:13] offset:512
.LBB128_61:
	s_or_b64 exec, exec, s[0:1]
	v_lshl_add_u32 v14, v1, 6, v0
	v_and_b32_e32 v16, 1, v0
	v_lshrrev_b32_e32 v15, 1, v14
	v_lshlrev_b32_e32 v12, 3, v16
	v_mov_b32_e32 v10, 0
	v_cmp_lt_u32_e64 s[8:9], 3, v14
	v_cmp_gt_u32_e64 s[2:3], 4, v14
	v_mov_b32_e32 v11, 0
	v_lshl_or_b32 v12, v15, 9, v12
	s_waitcnt lgkmcnt(0)
	s_barrier
	s_and_saveexec_b64 s[0:1], s[2:3]
	s_cbranch_execz .LBB128_65
; %bb.62:
	v_mul_u32_u24_e32 v13, 0x208, v15
	ds_read_b64 v[10:11], v12 offset:16
	ds_read_b64 v[17:18], v13
	v_cmp_gt_u32_e64 s[10:11], 2, v14
	s_waitcnt lgkmcnt(0)
	v_fma_f64 v[10:11], v[10:11], v[17:18], 0
	s_and_saveexec_b64 s[12:13], s[10:11]
	s_cbranch_execz .LBB128_64
; %bb.63:
	v_lshlrev_b32_e32 v13, 3, v0
	v_mov_b32_e32 v19, 0
	ds_read_b64 v[17:18], v13 offset:528
	ds_read_b64 v[19:20], v19 offset:8
	s_waitcnt lgkmcnt(0)
	v_fma_f64 v[10:11], v[17:18], v[19:20], v[10:11]
.LBB128_64:
	s_or_b64 exec, exec, s[12:13]
	v_xor_b32_e32 v11, 0x80000000, v11
.LBB128_65:
                                        ; implicit-def: $vgpr40 : SGPR spill to VGPR lane
	v_writelane_b32 v40, s42, 0
	v_writelane_b32 v40, s43, 1
	;; [unrolled: 1-line block ×4, first 2 shown]
	s_or_b64 exec, exec, s[0:1]
	v_mov_b32_e32 v13, 0x8000
	v_cmp_eq_u32_e64 s[10:11], 0, v16
	s_xor_b64 s[0:1], s[8:9], -1
	v_lshl_add_u32 v13, v15, 3, v13
	s_and_b64 s[42:43], s[10:11], s[0:1]
	s_and_saveexec_b64 s[8:9], s[42:43]
; %bb.66:
	ds_write_b64 v13, v[10:11]
; %bb.67:
	s_or_b64 exec, exec, s[8:9]
	v_cmp_ne_u32_e64 s[8:9], 0, v16
	s_and_b64 s[40:41], s[8:9], s[0:1]
	s_waitcnt lgkmcnt(0)
	s_barrier
	s_and_saveexec_b64 s[0:1], s[40:41]
	s_cbranch_execz .LBB128_69
; %bb.68:
	v_mov_b32_e32 v16, 0
	ds_read_b64 v[16:17], v16 offset:1048
	ds_read_b64 v[18:19], v13
	s_waitcnt lgkmcnt(0)
	v_fma_f64 v[10:11], v[16:17], v[18:19], v[10:11]
.LBB128_69:
	s_or_b64 exec, exec, s[0:1]
	s_barrier
	s_and_saveexec_b64 s[0:1], s[40:41]
; %bb.70:
	ds_write_b64 v13, v[10:11]
; %bb.71:
	s_or_b64 exec, exec, s[0:1]
	s_waitcnt lgkmcnt(0)
	s_barrier
	s_barrier
	s_and_saveexec_b64 s[0:1], s[2:3]
; %bb.72:
	v_xor_b32_e32 v11, 0x80000000, v11
	ds_write_b64 v12, v[10:11] offset:16
; %bb.73:
	s_or_b64 exec, exec, s[0:1]
	v_cmp_eq_u32_e64 s[12:13], 0, v1
	v_cmp_gt_u32_e64 s[8:9], 2, v0
	s_and_b64 s[44:45], s[12:13], s[8:9]
	s_waitcnt lgkmcnt(0)
	s_barrier
	s_barrier
	s_and_saveexec_b64 s[0:1], s[44:45]
	s_cbranch_execz .LBB128_75
; %bb.74:
	v_lshlrev_b32_e32 v16, 3, v0
	s_movk_i32 s8, 0x1f8
	v_mad_u32_u24 v17, v0, s8, v16
	ds_read_b64 v[10:11], v17 offset:16
	s_waitcnt lgkmcnt(0)
	ds_write_b64 v16, v[10:11] offset:1024
	ds_read_b64 v[10:11], v17 offset:24
	s_waitcnt lgkmcnt(0)
	ds_write_b64 v16, v[10:11] offset:1536
.LBB128_75:
	s_or_b64 exec, exec, s[0:1]
	s_waitcnt lgkmcnt(0)
	s_barrier
	s_and_saveexec_b64 s[0:1], vcc
	s_cbranch_execz .LBB128_77
; %bb.76:
	v_mov_b32_e32 v18, 0
	ds_read_b64 v[16:17], v18 offset:1048
	v_mov_b32_e32 v19, 0x3ff00000
	ds_write_b64 v18, v[18:19] offset:1040
	s_waitcnt lgkmcnt(1)
	ds_write_b128 v18, v[16:19] offset:1552
.LBB128_77:
	s_or_b64 exec, exec, s[0:1]
	v_and_b32_e32 v19, 3, v0
	v_lshrrev_b32_e32 v20, 2, v14
	v_lshlrev_b32_e32 v17, 3, v19
	v_mov_b32_e32 v10, 0
	v_cmp_lt_u32_e64 s[8:9], 15, v14
	v_cmp_gt_u32_e64 s[18:19], 16, v14
	v_mov_b32_e32 v11, 0
	v_lshl_or_b32 v16, v20, 9, v17
	s_waitcnt lgkmcnt(0)
	s_barrier
	s_and_saveexec_b64 s[0:1], s[18:19]
	s_cbranch_execz .LBB128_83
; %bb.78:
	v_mul_u32_u24_e32 v18, 0x208, v20
	ds_read_b64 v[10:11], v16 offset:32
	ds_read_b64 v[21:22], v18
	v_cmp_gt_u32_e64 s[10:11], 12, v14
	s_waitcnt lgkmcnt(0)
	v_fma_f64 v[10:11], v[10:11], v[21:22], 0
	s_and_saveexec_b64 s[14:15], s[10:11]
	s_cbranch_execnz .LBB128_1170
; %bb.79:
	s_or_b64 exec, exec, s[14:15]
	v_cmp_gt_u32_e64 s[10:11], 8, v14
	s_and_saveexec_b64 s[14:15], s[10:11]
	s_cbranch_execnz .LBB128_1171
.LBB128_80:
	s_or_b64 exec, exec, s[14:15]
	v_cmp_gt_u32_e64 s[10:11], 4, v14
	s_and_saveexec_b64 s[14:15], s[10:11]
	s_cbranch_execz .LBB128_82
.LBB128_81:
	v_lshlrev_b32_e32 v18, 3, v0
	v_mov_b32_e32 v23, 0
	ds_read_b64 v[21:22], v18 offset:1568
	ds_read_b64 v[23:24], v23 offset:24
	s_waitcnt lgkmcnt(0)
	v_fma_f64 v[10:11], v[21:22], v[23:24], v[10:11]
.LBB128_82:
	s_or_b64 exec, exec, s[14:15]
	v_xor_b32_e32 v11, 0x80000000, v11
.LBB128_83:
	s_or_b64 exec, exec, s[0:1]
	v_mov_b32_e32 v18, 0x8000
	v_cmp_eq_u32_e64 s[10:11], 0, v19
	s_xor_b64 s[0:1], s[8:9], -1
	v_lshl_add_u32 v18, v20, 3, v18
	s_and_b64 s[48:49], s[10:11], s[0:1]
	s_and_saveexec_b64 s[8:9], s[48:49]
; %bb.84:
	ds_write_b64 v18, v[10:11]
; %bb.85:
	s_or_b64 exec, exec, s[8:9]
	v_cmp_ne_u32_e64 s[8:9], 0, v19
	s_and_b64 s[50:51], s[8:9], s[0:1]
	s_waitcnt lgkmcnt(0)
	s_barrier
	s_and_saveexec_b64 s[8:9], s[50:51]
	s_cbranch_execz .LBB128_87
; %bb.86:
	ds_read_b64 v[21:22], v17 offset:2080
	ds_read_b64 v[23:24], v18
	s_waitcnt lgkmcnt(0)
	v_fma_f64 v[10:11], v[21:22], v[23:24], v[10:11]
.LBB128_87:
	s_or_b64 exec, exec, s[8:9]
	v_cmp_eq_u32_e64 s[8:9], 1, v19
	s_and_b64 s[52:53], s[8:9], s[0:1]
	s_barrier
	s_and_saveexec_b64 s[8:9], s[52:53]
; %bb.88:
	ds_write_b64 v18, v[10:11]
; %bb.89:
	s_or_b64 exec, exec, s[8:9]
	v_cmp_lt_u32_e64 s[8:9], 1, v19
	s_and_b64 s[54:55], s[8:9], s[0:1]
	s_waitcnt lgkmcnt(0)
	s_barrier
	s_and_saveexec_b64 s[8:9], s[54:55]
	s_cbranch_execz .LBB128_91
; %bb.90:
	ds_read_b64 v[21:22], v17 offset:2592
	ds_read_b64 v[23:24], v18
	s_waitcnt lgkmcnt(0)
	v_fma_f64 v[10:11], v[21:22], v[23:24], v[10:11]
.LBB128_91:
	s_or_b64 exec, exec, s[8:9]
	v_cmp_eq_u32_e64 s[8:9], 2, v19
	s_and_b64 s[56:57], s[8:9], s[0:1]
	s_barrier
	s_and_saveexec_b64 s[8:9], s[56:57]
; %bb.92:
	ds_write_b64 v18, v[10:11]
; %bb.93:
	s_or_b64 exec, exec, s[8:9]
	v_cmp_eq_u32_e64 s[8:9], 3, v19
	s_and_b64 s[46:47], s[8:9], s[0:1]
	s_waitcnt lgkmcnt(0)
	s_barrier
	s_and_saveexec_b64 s[0:1], s[46:47]
	s_cbranch_execz .LBB128_95
; %bb.94:
	v_mov_b32_e32 v21, 0
	ds_read_b64 v[21:22], v21 offset:3128
	ds_read_b64 v[23:24], v18
	s_waitcnt lgkmcnt(0)
	v_fma_f64 v[10:11], v[21:22], v[23:24], v[10:11]
.LBB128_95:
	s_or_b64 exec, exec, s[0:1]
	s_barrier
	s_and_saveexec_b64 s[0:1], s[46:47]
; %bb.96:
	ds_write_b64 v18, v[10:11]
; %bb.97:
	s_or_b64 exec, exec, s[0:1]
	s_waitcnt lgkmcnt(0)
	s_barrier
	s_barrier
	s_and_saveexec_b64 s[0:1], s[18:19]
; %bb.98:
	v_xor_b32_e32 v11, 0x80000000, v11
	ds_write_b64 v16, v[10:11] offset:32
; %bb.99:
	s_or_b64 exec, exec, s[0:1]
	v_cmp_gt_u32_e64 s[8:9], 4, v0
	s_and_b64 s[58:59], s[12:13], s[8:9]
	s_waitcnt lgkmcnt(0)
	s_barrier
	s_barrier
	s_and_saveexec_b64 s[0:1], s[58:59]
	s_cbranch_execz .LBB128_101
; %bb.100:
	v_lshlrev_b32_e32 v21, 9, v0
	ds_read_b64 v[10:11], v21 offset:32
	s_movk_i32 s8, 0xfe08
	v_mad_i32_i24 v22, v0, s8, v21
	s_waitcnt lgkmcnt(0)
	ds_write_b64 v22, v[10:11] offset:2048
	ds_read_b64 v[10:11], v21 offset:40
	s_waitcnt lgkmcnt(0)
	ds_write_b64 v22, v[10:11] offset:2560
	ds_read_b64 v[10:11], v21 offset:48
	;; [unrolled: 3-line block ×3, first 2 shown]
	s_waitcnt lgkmcnt(0)
	ds_write_b64 v22, v[10:11] offset:3584
.LBB128_101:
	s_or_b64 exec, exec, s[0:1]
	s_waitcnt lgkmcnt(0)
	s_barrier
	s_and_saveexec_b64 s[0:1], vcc
	s_cbranch_execz .LBB128_103
; %bb.102:
	v_mov_b32_e32 v23, 0
	ds_read_b64 v[21:22], v23 offset:2088
	v_mov_b32_e32 v24, 0x3ff00000
	ds_write_b64 v23, v[23:24] offset:2080
	s_waitcnt lgkmcnt(1)
	ds_write_b128 v23, v[21:24] offset:2592
.LBB128_103:
	s_or_b64 exec, exec, s[0:1]
	v_mov_b32_e32 v10, 0
	v_mov_b32_e32 v11, 0
	s_waitcnt lgkmcnt(0)
	s_barrier
	s_and_saveexec_b64 s[0:1], s[2:3]
	s_cbranch_execz .LBB128_107
; %bb.104:
	v_mul_u32_u24_e32 v21, 0x208, v15
	ds_read_b64 v[10:11], v12 offset:2096
	ds_read_b64 v[21:22], v21 offset:2080
	v_cmp_gt_u32_e64 s[8:9], 2, v14
	s_waitcnt lgkmcnt(0)
	v_fma_f64 v[10:11], v[10:11], v[21:22], 0
	s_and_saveexec_b64 s[10:11], s[8:9]
	s_cbranch_execz .LBB128_106
; %bb.105:
	v_lshlrev_b32_e32 v21, 3, v0
	v_mov_b32_e32 v23, 0
	ds_read_b64 v[21:22], v21 offset:2608
	ds_read_b64 v[23:24], v23 offset:2088
	s_waitcnt lgkmcnt(0)
	v_fma_f64 v[10:11], v[21:22], v[23:24], v[10:11]
.LBB128_106:
	s_or_b64 exec, exec, s[10:11]
	v_xor_b32_e32 v11, 0x80000000, v11
.LBB128_107:
	s_or_b64 exec, exec, s[0:1]
	s_and_saveexec_b64 s[0:1], s[42:43]
; %bb.108:
	ds_write_b64 v13, v[10:11]
; %bb.109:
	s_or_b64 exec, exec, s[0:1]
	s_waitcnt lgkmcnt(0)
	s_barrier
	s_and_saveexec_b64 s[0:1], s[40:41]
	s_cbranch_execz .LBB128_111
; %bb.110:
	v_mov_b32_e32 v21, 0
	ds_read_b64 v[21:22], v21 offset:3128
	ds_read_b64 v[23:24], v13
	s_waitcnt lgkmcnt(0)
	v_fma_f64 v[10:11], v[21:22], v[23:24], v[10:11]
.LBB128_111:
	s_or_b64 exec, exec, s[0:1]
	s_barrier
	s_and_saveexec_b64 s[0:1], s[40:41]
; %bb.112:
	ds_write_b64 v13, v[10:11]
; %bb.113:
	s_or_b64 exec, exec, s[0:1]
	s_waitcnt lgkmcnt(0)
	s_barrier
	s_barrier
	s_and_saveexec_b64 s[0:1], s[2:3]
; %bb.114:
	v_xor_b32_e32 v11, 0x80000000, v11
	ds_write_b64 v12, v[10:11] offset:2096
; %bb.115:
	s_or_b64 exec, exec, s[0:1]
	s_waitcnt lgkmcnt(0)
	s_barrier
	s_barrier
	s_and_saveexec_b64 s[0:1], s[44:45]
	s_cbranch_execz .LBB128_117
; %bb.116:
	v_lshlrev_b32_e32 v21, 3, v0
	s_movk_i32 s8, 0x1f8
	v_mad_u32_u24 v22, v0, s8, v21
	ds_read_b64 v[10:11], v22 offset:2096
	s_waitcnt lgkmcnt(0)
	ds_write_b64 v21, v[10:11] offset:3104
	ds_read_b64 v[10:11], v22 offset:2104
	s_waitcnt lgkmcnt(0)
	ds_write_b64 v21, v[10:11] offset:3616
.LBB128_117:
	s_or_b64 exec, exec, s[0:1]
	s_waitcnt lgkmcnt(0)
	s_barrier
	s_and_saveexec_b64 s[0:1], vcc
	s_cbranch_execz .LBB128_119
; %bb.118:
	v_mov_b32_e32 v23, 0
	ds_read_b64 v[21:22], v23 offset:3128
	v_mov_b32_e32 v24, 0x3ff00000
	ds_write_b64 v23, v[23:24] offset:3120
	s_waitcnt lgkmcnt(1)
	ds_write_b128 v23, v[21:24] offset:3632
.LBB128_119:
	s_or_b64 exec, exec, s[0:1]
	v_and_b32_e32 v24, 7, v0
	v_lshrrev_b32_e32 v25, 3, v14
	v_lshlrev_b32_e32 v22, 3, v24
	v_mov_b32_e32 v10, 0
	v_cmp_lt_u32_e64 s[10:11], 63, v14
	v_cmp_gt_u32_e64 s[8:9], 64, v14
	v_mov_b32_e32 v11, 0
	v_lshl_or_b32 v21, v25, 9, v22
	s_waitcnt lgkmcnt(0)
	s_barrier
	s_and_saveexec_b64 s[0:1], s[8:9]
	s_cbranch_execz .LBB128_129
; %bb.120:
	v_mul_u32_u24_e32 v23, 0x208, v25
	ds_read_b64 v[10:11], v21 offset:64
	ds_read_b64 v[26:27], v23
	v_cmp_gt_u32_e64 s[14:15], 56, v14
	s_waitcnt lgkmcnt(0)
	v_fma_f64 v[10:11], v[10:11], v[26:27], 0
	s_and_saveexec_b64 s[16:17], s[14:15]
	s_cbranch_execnz .LBB128_1172
; %bb.121:
	s_or_b64 exec, exec, s[16:17]
	v_cmp_gt_u32_e64 s[14:15], 48, v14
	s_and_saveexec_b64 s[16:17], s[14:15]
	s_cbranch_execnz .LBB128_1173
.LBB128_122:
	s_or_b64 exec, exec, s[16:17]
	v_cmp_gt_u32_e64 s[14:15], 40, v14
	s_and_saveexec_b64 s[16:17], s[14:15]
	s_cbranch_execnz .LBB128_1174
.LBB128_123:
	s_or_b64 exec, exec, s[16:17]
	v_cmp_gt_u32_e64 s[14:15], 32, v14
	s_and_saveexec_b64 s[16:17], s[14:15]
	s_cbranch_execnz .LBB128_1175
.LBB128_124:
	s_or_b64 exec, exec, s[16:17]
	v_cmp_gt_u32_e64 s[14:15], 24, v14
	s_and_saveexec_b64 s[16:17], s[14:15]
	s_cbranch_execnz .LBB128_1176
.LBB128_125:
	s_or_b64 exec, exec, s[16:17]
	v_cmp_gt_u32_e64 s[14:15], 16, v14
	s_and_saveexec_b64 s[16:17], s[14:15]
	s_cbranch_execnz .LBB128_1177
.LBB128_126:
	s_or_b64 exec, exec, s[16:17]
	v_cmp_gt_u32_e64 s[14:15], 8, v14
	s_and_saveexec_b64 s[16:17], s[14:15]
	s_cbranch_execz .LBB128_128
.LBB128_127:
	v_lshlrev_b32_e32 v23, 3, v0
	v_mov_b32_e32 v28, 0
	ds_read_b64 v[26:27], v23 offset:3648
	ds_read_b64 v[28:29], v28 offset:56
	s_waitcnt lgkmcnt(0)
	v_fma_f64 v[10:11], v[26:27], v[28:29], v[10:11]
.LBB128_128:
	s_or_b64 exec, exec, s[16:17]
	v_xor_b32_e32 v11, 0x80000000, v11
.LBB128_129:
	s_or_b64 exec, exec, s[0:1]
	v_mov_b32_e32 v23, 0x8000
	v_cmp_eq_u32_e64 s[14:15], 0, v24
	s_xor_b64 s[0:1], s[10:11], -1
	v_lshl_add_u32 v23, v25, 3, v23
	s_and_b64 s[60:61], s[14:15], s[0:1]
	s_and_saveexec_b64 s[10:11], s[60:61]
; %bb.130:
	ds_write_b64 v23, v[10:11]
; %bb.131:
	s_or_b64 exec, exec, s[10:11]
	v_cmp_ne_u32_e64 s[10:11], 0, v24
	s_and_b64 s[62:63], s[10:11], s[0:1]
	s_waitcnt lgkmcnt(0)
	s_barrier
	s_and_saveexec_b64 s[10:11], s[62:63]
	s_cbranch_execz .LBB128_133
; %bb.132:
	ds_read_b64 v[26:27], v22 offset:4160
	ds_read_b64 v[28:29], v23
	s_waitcnt lgkmcnt(0)
	v_fma_f64 v[10:11], v[26:27], v[28:29], v[10:11]
.LBB128_133:
	s_or_b64 exec, exec, s[10:11]
	v_cmp_eq_u32_e64 s[10:11], 1, v24
	s_and_b64 s[64:65], s[10:11], s[0:1]
	s_barrier
	s_and_saveexec_b64 s[10:11], s[64:65]
; %bb.134:
	ds_write_b64 v23, v[10:11]
; %bb.135:
	s_or_b64 exec, exec, s[10:11]
	v_cmp_lt_u32_e64 s[10:11], 1, v24
	s_and_b64 s[66:67], s[10:11], s[0:1]
	s_waitcnt lgkmcnt(0)
	s_barrier
	s_and_saveexec_b64 s[10:11], s[66:67]
	s_cbranch_execz .LBB128_137
; %bb.136:
	ds_read_b64 v[26:27], v22 offset:4672
	ds_read_b64 v[28:29], v23
	s_waitcnt lgkmcnt(0)
	v_fma_f64 v[10:11], v[26:27], v[28:29], v[10:11]
.LBB128_137:
	s_or_b64 exec, exec, s[10:11]
	v_cmp_eq_u32_e64 s[10:11], 2, v24
	s_and_b64 s[68:69], s[10:11], s[0:1]
	s_barrier
	s_and_saveexec_b64 s[10:11], s[68:69]
; %bb.138:
	ds_write_b64 v23, v[10:11]
; %bb.139:
	s_or_b64 exec, exec, s[10:11]
	v_cmp_lt_u32_e64 s[10:11], 2, v24
	;; [unrolled: 21-line block ×5, first 2 shown]
	s_and_b64 s[84:85], s[10:11], s[0:1]
	s_waitcnt lgkmcnt(0)
	s_barrier
	s_and_saveexec_b64 s[10:11], s[84:85]
	s_cbranch_execz .LBB128_153
; %bb.152:
	ds_read_b64 v[26:27], v22 offset:6720
	ds_read_b64 v[28:29], v23
	s_waitcnt lgkmcnt(0)
	v_fma_f64 v[10:11], v[26:27], v[28:29], v[10:11]
.LBB128_153:
	s_or_b64 exec, exec, s[10:11]
	v_cmp_eq_u32_e64 s[10:11], 6, v24
	s_and_b64 s[86:87], s[10:11], s[0:1]
	s_barrier
	s_and_saveexec_b64 s[10:11], s[86:87]
; %bb.154:
	ds_write_b64 v23, v[10:11]
; %bb.155:
	s_or_b64 exec, exec, s[10:11]
	v_cmp_eq_u32_e64 s[10:11], 7, v24
	s_and_b64 s[70:71], s[10:11], s[0:1]
	s_waitcnt lgkmcnt(0)
	s_barrier
	s_and_saveexec_b64 s[0:1], s[70:71]
	s_cbranch_execz .LBB128_157
; %bb.156:
	v_mov_b32_e32 v26, 0
	ds_read_b64 v[26:27], v26 offset:7288
	ds_read_b64 v[28:29], v23
	s_waitcnt lgkmcnt(0)
	v_fma_f64 v[10:11], v[26:27], v[28:29], v[10:11]
.LBB128_157:
	s_or_b64 exec, exec, s[0:1]
	s_barrier
	s_and_saveexec_b64 s[0:1], s[70:71]
; %bb.158:
	ds_write_b64 v23, v[10:11]
; %bb.159:
	s_or_b64 exec, exec, s[0:1]
	s_waitcnt lgkmcnt(0)
	s_barrier
	s_barrier
	s_and_saveexec_b64 s[0:1], s[8:9]
; %bb.160:
	v_xor_b32_e32 v11, 0x80000000, v11
	ds_write_b64 v21, v[10:11] offset:64
; %bb.161:
	s_or_b64 exec, exec, s[0:1]
	v_cmp_gt_u32_e64 s[10:11], 8, v0
	s_and_b64 s[88:89], s[12:13], s[10:11]
	s_waitcnt lgkmcnt(0)
	s_barrier
	s_barrier
	s_and_saveexec_b64 s[0:1], s[88:89]
	s_cbranch_execz .LBB128_163
; %bb.162:
	v_lshlrev_b32_e32 v26, 9, v0
	ds_read_b64 v[10:11], v26 offset:64
	s_movk_i32 s10, 0xfe08
	v_mad_i32_i24 v27, v0, s10, v26
	s_waitcnt lgkmcnt(0)
	ds_write_b64 v27, v[10:11] offset:4096
	ds_read_b64 v[10:11], v26 offset:72
	s_waitcnt lgkmcnt(0)
	ds_write_b64 v27, v[10:11] offset:4608
	ds_read_b64 v[10:11], v26 offset:80
	;; [unrolled: 3-line block ×7, first 2 shown]
	s_waitcnt lgkmcnt(0)
	ds_write_b64 v27, v[10:11] offset:7680
.LBB128_163:
	s_or_b64 exec, exec, s[0:1]
	s_waitcnt lgkmcnt(0)
	s_barrier
	s_and_saveexec_b64 s[0:1], vcc
	s_cbranch_execz .LBB128_165
; %bb.164:
	v_mov_b32_e32 v28, 0
	ds_read_b64 v[26:27], v28 offset:4168
	v_mov_b32_e32 v29, 0x3ff00000
	ds_write_b64 v28, v[28:29] offset:4160
	s_waitcnt lgkmcnt(1)
	ds_write_b128 v28, v[26:29] offset:4672
.LBB128_165:
	s_or_b64 exec, exec, s[0:1]
	v_mov_b32_e32 v10, 0
	v_mov_b32_e32 v11, 0
	s_waitcnt lgkmcnt(0)
	s_barrier
	s_and_saveexec_b64 s[0:1], s[2:3]
	s_cbranch_execz .LBB128_169
; %bb.166:
	v_mul_u32_u24_e32 v26, 0x208, v15
	ds_read_b64 v[10:11], v12 offset:4176
	ds_read_b64 v[26:27], v26 offset:4160
	v_cmp_gt_u32_e64 s[10:11], 2, v14
	s_waitcnt lgkmcnt(0)
	v_fma_f64 v[10:11], v[10:11], v[26:27], 0
	s_and_saveexec_b64 s[14:15], s[10:11]
	s_cbranch_execz .LBB128_168
; %bb.167:
	v_lshlrev_b32_e32 v26, 3, v0
	v_mov_b32_e32 v28, 0
	ds_read_b64 v[26:27], v26 offset:4688
	ds_read_b64 v[28:29], v28 offset:4168
	s_waitcnt lgkmcnt(0)
	v_fma_f64 v[10:11], v[26:27], v[28:29], v[10:11]
.LBB128_168:
	s_or_b64 exec, exec, s[14:15]
	v_xor_b32_e32 v11, 0x80000000, v11
.LBB128_169:
	s_or_b64 exec, exec, s[0:1]
	s_and_saveexec_b64 s[0:1], s[42:43]
; %bb.170:
	ds_write_b64 v13, v[10:11]
; %bb.171:
	s_or_b64 exec, exec, s[0:1]
	s_waitcnt lgkmcnt(0)
	s_barrier
	s_and_saveexec_b64 s[0:1], s[40:41]
	s_cbranch_execz .LBB128_173
; %bb.172:
	v_mov_b32_e32 v26, 0
	ds_read_b64 v[26:27], v26 offset:5208
	ds_read_b64 v[28:29], v13
	s_waitcnt lgkmcnt(0)
	v_fma_f64 v[10:11], v[26:27], v[28:29], v[10:11]
.LBB128_173:
	s_or_b64 exec, exec, s[0:1]
	s_barrier
	s_and_saveexec_b64 s[0:1], s[40:41]
; %bb.174:
	ds_write_b64 v13, v[10:11]
; %bb.175:
	s_or_b64 exec, exec, s[0:1]
	s_waitcnt lgkmcnt(0)
	s_barrier
	s_barrier
	s_and_saveexec_b64 s[0:1], s[2:3]
; %bb.176:
	v_xor_b32_e32 v11, 0x80000000, v11
	ds_write_b64 v12, v[10:11] offset:4176
; %bb.177:
	s_or_b64 exec, exec, s[0:1]
	s_waitcnt lgkmcnt(0)
	s_barrier
	s_barrier
	s_and_saveexec_b64 s[0:1], s[44:45]
	s_cbranch_execz .LBB128_179
; %bb.178:
	v_lshlrev_b32_e32 v26, 3, v0
	s_movk_i32 s10, 0x1f8
	v_mad_u32_u24 v27, v0, s10, v26
	ds_read_b64 v[10:11], v27 offset:4176
	s_waitcnt lgkmcnt(0)
	ds_write_b64 v26, v[10:11] offset:5184
	ds_read_b64 v[10:11], v27 offset:4184
	s_waitcnt lgkmcnt(0)
	ds_write_b64 v26, v[10:11] offset:5696
.LBB128_179:
	s_or_b64 exec, exec, s[0:1]
	s_waitcnt lgkmcnt(0)
	s_barrier
	s_and_saveexec_b64 s[0:1], vcc
	s_cbranch_execz .LBB128_181
; %bb.180:
	v_mov_b32_e32 v28, 0
	ds_read_b64 v[26:27], v28 offset:5208
	v_mov_b32_e32 v29, 0x3ff00000
	ds_write_b64 v28, v[28:29] offset:5200
	s_waitcnt lgkmcnt(1)
	ds_write_b128 v28, v[26:29] offset:5712
.LBB128_181:
	s_or_b64 exec, exec, s[0:1]
	v_mov_b32_e32 v10, 0
	v_mov_b32_e32 v11, 0
	s_waitcnt lgkmcnt(0)
	s_barrier
	s_and_saveexec_b64 s[0:1], s[18:19]
	s_cbranch_execz .LBB128_187
; %bb.182:
	v_mul_u32_u24_e32 v26, 0x208, v20
	ds_read_b64 v[10:11], v16 offset:4192
	ds_read_b64 v[27:28], v26 offset:4160
	v_cmp_gt_u32_e64 s[10:11], 12, v14
	s_waitcnt lgkmcnt(0)
	v_fma_f64 v[10:11], v[10:11], v[27:28], 0
	s_and_saveexec_b64 s[14:15], s[10:11]
	s_cbranch_execnz .LBB128_1178
; %bb.183:
	s_or_b64 exec, exec, s[14:15]
	v_cmp_gt_u32_e64 s[10:11], 8, v14
	s_and_saveexec_b64 s[14:15], s[10:11]
	s_cbranch_execnz .LBB128_1179
.LBB128_184:
	s_or_b64 exec, exec, s[14:15]
	v_cmp_gt_u32_e64 s[10:11], 4, v14
	s_and_saveexec_b64 s[14:15], s[10:11]
	s_cbranch_execz .LBB128_186
.LBB128_185:
	v_lshlrev_b32_e32 v26, 3, v0
	v_mov_b32_e32 v28, 0
	ds_read_b64 v[26:27], v26 offset:5728
	ds_read_b64 v[28:29], v28 offset:4184
	s_waitcnt lgkmcnt(0)
	v_fma_f64 v[10:11], v[26:27], v[28:29], v[10:11]
.LBB128_186:
	s_or_b64 exec, exec, s[14:15]
	v_xor_b32_e32 v11, 0x80000000, v11
.LBB128_187:
	s_or_b64 exec, exec, s[0:1]
	s_and_saveexec_b64 s[0:1], s[48:49]
; %bb.188:
	ds_write_b64 v18, v[10:11]
; %bb.189:
	s_or_b64 exec, exec, s[0:1]
	s_waitcnt lgkmcnt(0)
	s_barrier
	s_and_saveexec_b64 s[0:1], s[50:51]
	s_cbranch_execz .LBB128_191
; %bb.190:
	ds_read_b64 v[26:27], v17 offset:6240
	ds_read_b64 v[28:29], v18
	s_waitcnt lgkmcnt(0)
	v_fma_f64 v[10:11], v[26:27], v[28:29], v[10:11]
.LBB128_191:
	s_or_b64 exec, exec, s[0:1]
	s_barrier
	s_and_saveexec_b64 s[0:1], s[52:53]
; %bb.192:
	ds_write_b64 v18, v[10:11]
; %bb.193:
	s_or_b64 exec, exec, s[0:1]
	s_waitcnt lgkmcnt(0)
	s_barrier
	s_and_saveexec_b64 s[0:1], s[54:55]
	s_cbranch_execz .LBB128_195
; %bb.194:
	ds_read_b64 v[26:27], v17 offset:6752
	ds_read_b64 v[28:29], v18
	s_waitcnt lgkmcnt(0)
	v_fma_f64 v[10:11], v[26:27], v[28:29], v[10:11]
.LBB128_195:
	s_or_b64 exec, exec, s[0:1]
	s_barrier
	s_and_saveexec_b64 s[0:1], s[56:57]
; %bb.196:
	ds_write_b64 v18, v[10:11]
; %bb.197:
	s_or_b64 exec, exec, s[0:1]
	s_waitcnt lgkmcnt(0)
	s_barrier
	s_and_saveexec_b64 s[0:1], s[46:47]
	s_cbranch_execz .LBB128_199
; %bb.198:
	v_mov_b32_e32 v26, 0
	ds_read_b64 v[26:27], v26 offset:7288
	ds_read_b64 v[28:29], v18
	s_waitcnt lgkmcnt(0)
	v_fma_f64 v[10:11], v[26:27], v[28:29], v[10:11]
.LBB128_199:
	s_or_b64 exec, exec, s[0:1]
	s_barrier
	s_and_saveexec_b64 s[0:1], s[46:47]
; %bb.200:
	ds_write_b64 v18, v[10:11]
; %bb.201:
	s_or_b64 exec, exec, s[0:1]
	s_waitcnt lgkmcnt(0)
	s_barrier
	s_barrier
	s_and_saveexec_b64 s[0:1], s[18:19]
; %bb.202:
	v_xor_b32_e32 v11, 0x80000000, v11
	ds_write_b64 v16, v[10:11] offset:4192
; %bb.203:
	s_or_b64 exec, exec, s[0:1]
	s_waitcnt lgkmcnt(0)
	s_barrier
	s_barrier
	s_and_saveexec_b64 s[0:1], s[58:59]
	s_cbranch_execz .LBB128_205
; %bb.204:
	v_lshlrev_b32_e32 v26, 9, v0
	ds_read_b64 v[10:11], v26 offset:4192
	s_movk_i32 s10, 0xfe08
	v_mad_i32_i24 v27, v0, s10, v26
	s_waitcnt lgkmcnt(0)
	ds_write_b64 v27, v[10:11] offset:6208
	ds_read_b64 v[10:11], v26 offset:4200
	s_waitcnt lgkmcnt(0)
	ds_write_b64 v27, v[10:11] offset:6720
	ds_read_b64 v[10:11], v26 offset:4208
	;; [unrolled: 3-line block ×3, first 2 shown]
	s_waitcnt lgkmcnt(0)
	ds_write_b64 v27, v[10:11] offset:7744
.LBB128_205:
	s_or_b64 exec, exec, s[0:1]
	s_waitcnt lgkmcnt(0)
	s_barrier
	s_and_saveexec_b64 s[0:1], vcc
	s_cbranch_execz .LBB128_207
; %bb.206:
	v_mov_b32_e32 v28, 0
	ds_read_b64 v[26:27], v28 offset:6248
	v_mov_b32_e32 v29, 0x3ff00000
	ds_write_b64 v28, v[28:29] offset:6240
	s_waitcnt lgkmcnt(1)
	ds_write_b128 v28, v[26:29] offset:6752
.LBB128_207:
	s_or_b64 exec, exec, s[0:1]
	v_mov_b32_e32 v10, 0
	v_mov_b32_e32 v11, 0
	s_waitcnt lgkmcnt(0)
	s_barrier
	s_and_saveexec_b64 s[0:1], s[2:3]
	s_cbranch_execz .LBB128_211
; %bb.208:
	v_mul_u32_u24_e32 v26, 0x208, v15
	ds_read_b64 v[10:11], v12 offset:6256
	ds_read_b64 v[26:27], v26 offset:6240
	v_cmp_gt_u32_e64 s[10:11], 2, v14
	s_waitcnt lgkmcnt(0)
	v_fma_f64 v[10:11], v[10:11], v[26:27], 0
	s_and_saveexec_b64 s[14:15], s[10:11]
	s_cbranch_execz .LBB128_210
; %bb.209:
	v_lshlrev_b32_e32 v26, 3, v0
	v_mov_b32_e32 v28, 0
	ds_read_b64 v[26:27], v26 offset:6768
	ds_read_b64 v[28:29], v28 offset:6248
	s_waitcnt lgkmcnt(0)
	v_fma_f64 v[10:11], v[26:27], v[28:29], v[10:11]
.LBB128_210:
	s_or_b64 exec, exec, s[14:15]
	v_xor_b32_e32 v11, 0x80000000, v11
.LBB128_211:
	s_or_b64 exec, exec, s[0:1]
	s_and_saveexec_b64 s[0:1], s[42:43]
; %bb.212:
	ds_write_b64 v13, v[10:11]
; %bb.213:
	s_or_b64 exec, exec, s[0:1]
	s_waitcnt lgkmcnt(0)
	s_barrier
	s_and_saveexec_b64 s[0:1], s[40:41]
	s_cbranch_execz .LBB128_215
; %bb.214:
	v_mov_b32_e32 v26, 0
	ds_read_b64 v[26:27], v26 offset:7288
	ds_read_b64 v[28:29], v13
	s_waitcnt lgkmcnt(0)
	v_fma_f64 v[10:11], v[26:27], v[28:29], v[10:11]
.LBB128_215:
	s_or_b64 exec, exec, s[0:1]
	s_barrier
	s_and_saveexec_b64 s[0:1], s[40:41]
; %bb.216:
	ds_write_b64 v13, v[10:11]
; %bb.217:
	s_or_b64 exec, exec, s[0:1]
	s_waitcnt lgkmcnt(0)
	s_barrier
	s_barrier
	s_and_saveexec_b64 s[0:1], s[2:3]
; %bb.218:
	v_xor_b32_e32 v11, 0x80000000, v11
	ds_write_b64 v12, v[10:11] offset:6256
; %bb.219:
	s_or_b64 exec, exec, s[0:1]
	s_waitcnt lgkmcnt(0)
	s_barrier
	s_barrier
	s_and_saveexec_b64 s[0:1], s[44:45]
	s_cbranch_execz .LBB128_221
; %bb.220:
	v_lshlrev_b32_e32 v26, 3, v0
	s_movk_i32 s10, 0x1f8
	v_mad_u32_u24 v27, v0, s10, v26
	ds_read_b64 v[10:11], v27 offset:6256
	s_waitcnt lgkmcnt(0)
	ds_write_b64 v26, v[10:11] offset:7264
	ds_read_b64 v[10:11], v27 offset:6264
	s_waitcnt lgkmcnt(0)
	ds_write_b64 v26, v[10:11] offset:7776
.LBB128_221:
	s_or_b64 exec, exec, s[0:1]
	s_waitcnt lgkmcnt(0)
	s_barrier
	s_and_saveexec_b64 s[0:1], vcc
	s_cbranch_execz .LBB128_223
; %bb.222:
	v_mov_b32_e32 v28, 0
	ds_read_b64 v[26:27], v28 offset:7288
	v_mov_b32_e32 v29, 0x3ff00000
	ds_write_b64 v28, v[28:29] offset:7280
	s_waitcnt lgkmcnt(1)
	ds_write_b128 v28, v[26:29] offset:7792
.LBB128_223:
	s_or_b64 exec, exec, s[0:1]
	v_lshrrev_b32_e32 v30, 4, v14
	v_and_b32_e32 v27, 15, v0
	s_movk_i32 s0, 0xff
	v_lshlrev_b32_e32 v29, 6, v30
	v_cmp_lt_u32_e64 s[14:15], s0, v14
	s_movk_i32 s0, 0x100
	v_or_b32_e32 v26, v29, v27
	v_mov_b32_e32 v10, 0
	v_cmp_gt_u32_e64 s[10:11], s0, v14
	v_mov_b32_e32 v11, 0
	v_lshlrev_b32_e32 v26, 3, v26
	s_waitcnt lgkmcnt(0)
	s_barrier
	s_and_saveexec_b64 s[0:1], s[10:11]
	s_cbranch_execz .LBB128_251
; %bb.224:
	v_mul_u32_u24_e32 v28, 0x208, v30
	ds_read_b64 v[10:11], v26 offset:128
	ds_read_b64 v[31:32], v28
	s_movk_i32 s16, 0xf0
	v_cmp_gt_u32_e64 s[16:17], s16, v14
	s_waitcnt lgkmcnt(0)
	v_fma_f64 v[10:11], v[10:11], v[31:32], 0
	s_and_saveexec_b64 s[20:21], s[16:17]
	s_cbranch_execz .LBB128_226
; %bb.225:
	v_lshlrev_b32_e32 v31, 3, v30
	v_sub_u32_e32 v31, v28, v31
	v_lshl_add_u32 v31, v27, 3, v31
	ds_read_b64 v[31:32], v31 offset:640
	ds_read_b64 v[33:34], v28 offset:8
	s_waitcnt lgkmcnt(0)
	v_fma_f64 v[10:11], v[31:32], v[33:34], v[10:11]
.LBB128_226:
	s_or_b64 exec, exec, s[20:21]
	s_movk_i32 s16, 0xe0
	v_cmp_gt_u32_e64 s[16:17], s16, v14
	s_and_saveexec_b64 s[20:21], s[16:17]
	s_cbranch_execz .LBB128_228
; %bb.227:
	v_lshlrev_b32_e32 v31, 3, v30
	v_sub_u32_e32 v31, v28, v31
	v_lshl_add_u32 v31, v27, 3, v31
	ds_read_b64 v[31:32], v31 offset:1152
	ds_read_b64 v[33:34], v28 offset:16
	s_waitcnt lgkmcnt(0)
	v_fma_f64 v[10:11], v[31:32], v[33:34], v[10:11]
.LBB128_228:
	s_or_b64 exec, exec, s[20:21]
	s_movk_i32 s16, 0xd0
	v_cmp_gt_u32_e64 s[16:17], s16, v14
	;; [unrolled: 14-line block ×7, first 2 shown]
	s_and_saveexec_b64 s[20:21], s[16:17]
	s_cbranch_execz .LBB128_240
; %bb.239:
	ds_read_b64 v[31:32], v26 offset:4224
	ds_read_b64 v[33:34], v28 offset:64
	s_waitcnt lgkmcnt(0)
	v_fma_f64 v[10:11], v[31:32], v[33:34], v[10:11]
.LBB128_240:
	s_or_b64 exec, exec, s[20:21]
	s_movk_i32 s16, 0x70
	v_cmp_gt_u32_e64 s[16:17], s16, v14
	s_and_saveexec_b64 s[20:21], s[16:17]
	s_cbranch_execz .LBB128_242
; %bb.241:
	v_lshlrev_b32_e32 v31, 3, v30
	v_sub_u32_e32 v31, v28, v31
	v_lshl_add_u32 v31, v27, 3, v31
	ds_read_b64 v[31:32], v31 offset:4736
	ds_read_b64 v[33:34], v28 offset:72
	s_waitcnt lgkmcnt(0)
	v_fma_f64 v[10:11], v[31:32], v[33:34], v[10:11]
.LBB128_242:
	s_or_b64 exec, exec, s[20:21]
	s_movk_i32 s16, 0x60
	v_cmp_gt_u32_e64 s[16:17], s16, v14
	s_and_saveexec_b64 s[20:21], s[16:17]
	s_cbranch_execz .LBB128_244
; %bb.243:
	v_lshlrev_b32_e32 v31, 3, v27
	v_lshl_add_u32 v31, v29, 3, v31
	ds_read_b64 v[31:32], v31 offset:5248
	ds_read_b64 v[33:34], v28 offset:80
	s_waitcnt lgkmcnt(0)
	v_fma_f64 v[10:11], v[31:32], v[33:34], v[10:11]
.LBB128_244:
	s_or_b64 exec, exec, s[20:21]
	s_movk_i32 s16, 0x50
	v_cmp_gt_u32_e64 s[16:17], s16, v14
	s_and_saveexec_b64 s[20:21], s[16:17]
	s_cbranch_execnz .LBB128_1180
; %bb.245:
	s_or_b64 exec, exec, s[20:21]
	v_cmp_gt_u32_e64 s[16:17], 64, v14
	s_and_saveexec_b64 s[20:21], s[16:17]
	s_cbranch_execnz .LBB128_1181
.LBB128_246:
	s_or_b64 exec, exec, s[20:21]
	v_cmp_gt_u32_e64 s[16:17], 48, v14
	s_and_saveexec_b64 s[20:21], s[16:17]
	s_cbranch_execnz .LBB128_1182
.LBB128_247:
	s_or_b64 exec, exec, s[20:21]
	v_cmp_gt_u32_e64 s[16:17], 32, v14
	s_and_saveexec_b64 s[20:21], s[16:17]
	s_cbranch_execnz .LBB128_1183
.LBB128_248:
	s_or_b64 exec, exec, s[20:21]
	v_cmp_gt_u32_e64 s[16:17], 16, v14
	s_and_saveexec_b64 s[20:21], s[16:17]
	s_cbranch_execz .LBB128_250
.LBB128_249:
	v_lshlrev_b32_e32 v28, 3, v0
	v_mov_b32_e32 v33, 0
	ds_read_b64 v[31:32], v28 offset:7808
	ds_read_b64 v[33:34], v33 offset:120
	s_waitcnt lgkmcnt(0)
	v_fma_f64 v[10:11], v[31:32], v[33:34], v[10:11]
.LBB128_250:
	s_or_b64 exec, exec, s[20:21]
	v_xor_b32_e32 v11, 0x80000000, v11
.LBB128_251:
	s_or_b64 exec, exec, s[0:1]
	v_mov_b32_e32 v28, 0x8000
	v_lshl_add_u32 v28, v30, 3, v28
	v_cmp_eq_u32_e64 s[16:17], 0, v27
	s_xor_b64 s[20:21], s[14:15], -1
	s_and_b64 s[14:15], s[16:17], s[20:21]
	s_mov_b64 s[0:1], exec
	v_writelane_b32 v40, s14, 4
	v_writelane_b32 v40, s15, 5
	s_and_b64 s[14:15], s[0:1], s[14:15]
	s_mov_b64 exec, s[14:15]
; %bb.252:
	ds_write_b64 v28, v[10:11]
; %bb.253:
	s_or_b64 exec, exec, s[0:1]
	v_cmp_ne_u32_e64 s[14:15], 0, v27
	s_waitcnt lgkmcnt(0)
	s_barrier
	s_and_b64 s[14:15], s[14:15], s[20:21]
	s_mov_b64 s[0:1], exec
	v_writelane_b32 v40, s14, 6
	v_writelane_b32 v40, s15, 7
	s_and_b64 s[14:15], s[0:1], s[14:15]
	s_mov_b64 exec, s[14:15]
	s_cbranch_execz .LBB128_255
; %bb.254:
	v_lshlrev_b32_e32 v31, 3, v27
	ds_read_b64 v[31:32], v31 offset:8320
	ds_read_b64 v[33:34], v28
	s_waitcnt lgkmcnt(0)
	v_fma_f64 v[10:11], v[31:32], v[33:34], v[10:11]
.LBB128_255:
	s_or_b64 exec, exec, s[0:1]
	v_cmp_eq_u32_e64 s[14:15], 1, v27
	s_barrier
	s_and_b64 s[14:15], s[14:15], s[20:21]
	s_mov_b64 s[0:1], exec
	v_writelane_b32 v40, s14, 8
	v_writelane_b32 v40, s15, 9
	s_and_b64 s[14:15], s[0:1], s[14:15]
	s_mov_b64 exec, s[14:15]
; %bb.256:
	ds_write_b64 v28, v[10:11]
; %bb.257:
	s_or_b64 exec, exec, s[0:1]
	v_cmp_lt_u32_e64 s[14:15], 1, v27
	s_waitcnt lgkmcnt(0)
	s_barrier
	s_and_b64 s[14:15], s[14:15], s[20:21]
	s_mov_b64 s[0:1], exec
	v_writelane_b32 v40, s14, 10
	v_writelane_b32 v40, s15, 11
	s_and_b64 s[14:15], s[0:1], s[14:15]
	s_mov_b64 exec, s[14:15]
	s_cbranch_execz .LBB128_259
; %bb.258:
	v_lshlrev_b32_e32 v31, 3, v27
	ds_read_b64 v[31:32], v31 offset:8832
	ds_read_b64 v[33:34], v28
	s_waitcnt lgkmcnt(0)
	v_fma_f64 v[10:11], v[31:32], v[33:34], v[10:11]
.LBB128_259:
	s_or_b64 exec, exec, s[0:1]
	v_cmp_eq_u32_e64 s[14:15], 2, v27
	s_barrier
	s_and_b64 s[14:15], s[14:15], s[20:21]
	s_mov_b64 s[0:1], exec
	v_writelane_b32 v40, s14, 12
	v_writelane_b32 v40, s15, 13
	s_and_b64 s[14:15], s[0:1], s[14:15]
	s_mov_b64 exec, s[14:15]
; %bb.260:
	ds_write_b64 v28, v[10:11]
; %bb.261:
	s_or_b64 exec, exec, s[0:1]
	v_cmp_lt_u32_e64 s[14:15], 2, v27
	;; [unrolled: 30-line block ×13, first 2 shown]
	s_waitcnt lgkmcnt(0)
	s_barrier
	s_and_b64 s[14:15], s[14:15], s[20:21]
	s_mov_b64 s[0:1], exec
	v_writelane_b32 v40, s14, 58
	v_writelane_b32 v40, s15, 59
	s_and_b64 s[14:15], s[0:1], s[14:15]
	s_mov_b64 exec, s[14:15]
	s_cbranch_execz .LBB128_307
; %bb.306:
	v_lshlrev_b32_e32 v31, 3, v27
	ds_read_b64 v[31:32], v31 offset:14976
	ds_read_b64 v[33:34], v28
	s_waitcnt lgkmcnt(0)
	v_fma_f64 v[10:11], v[31:32], v[33:34], v[10:11]
.LBB128_307:
	s_or_b64 exec, exec, s[0:1]
	v_cmp_eq_u32_e64 s[14:15], 14, v27
	s_barrier
	s_and_b64 s[14:15], s[14:15], s[20:21]
	s_mov_b64 s[0:1], exec
	v_writelane_b32 v40, s14, 60
	v_writelane_b32 v40, s15, 61
	s_and_b64 s[14:15], s[0:1], s[14:15]
	s_mov_b64 exec, s[14:15]
; %bb.308:
	ds_write_b64 v28, v[10:11]
; %bb.309:
	s_or_b64 exec, exec, s[0:1]
	v_cmp_eq_u32_e64 s[14:15], 15, v27
	s_and_b64 s[92:93], s[14:15], s[20:21]
	s_waitcnt lgkmcnt(0)
	s_barrier
	s_and_saveexec_b64 s[0:1], s[92:93]
	s_cbranch_execz .LBB128_311
; %bb.310:
	v_mov_b32_e32 v31, 0
	ds_read_b64 v[31:32], v31 offset:15608
	ds_read_b64 v[33:34], v28
	s_waitcnt lgkmcnt(0)
	v_fma_f64 v[10:11], v[31:32], v[33:34], v[10:11]
.LBB128_311:
	s_or_b64 exec, exec, s[0:1]
	s_barrier
	s_and_saveexec_b64 s[0:1], s[92:93]
; %bb.312:
	ds_write_b64 v28, v[10:11]
; %bb.313:
	s_or_b64 exec, exec, s[0:1]
	s_waitcnt lgkmcnt(0)
	s_barrier
	s_barrier
	s_and_saveexec_b64 s[0:1], s[10:11]
; %bb.314:
	v_xor_b32_e32 v11, 0x80000000, v11
	ds_write_b64 v26, v[10:11] offset:128
; %bb.315:
	s_or_b64 exec, exec, s[0:1]
	v_cmp_gt_u32_e64 s[14:15], 16, v0
	s_waitcnt lgkmcnt(0)
	s_barrier
	s_barrier
	s_and_b64 s[0:1], s[12:13], s[14:15]
	s_mov_b64 s[14:15], exec
	v_writelane_b32 v40, s0, 62
	v_writelane_b32 v40, s1, 63
	s_and_b64 s[0:1], s[14:15], s[0:1]
	s_mov_b64 exec, s[0:1]
	s_cbranch_execz .LBB128_317
; %bb.316:
	v_lshlrev_b32_e32 v31, 9, v0
	ds_read_b64 v[10:11], v31 offset:128
	s_movk_i32 s0, 0xfe08
	v_mad_i32_i24 v32, v0, s0, v31
	s_waitcnt lgkmcnt(0)
	ds_write_b64 v32, v[10:11] offset:8192
	ds_read_b64 v[10:11], v31 offset:136
	s_waitcnt lgkmcnt(0)
	ds_write_b64 v32, v[10:11] offset:8704
	ds_read_b64 v[10:11], v31 offset:144
	;; [unrolled: 3-line block ×15, first 2 shown]
	s_waitcnt lgkmcnt(0)
	ds_write_b64 v32, v[10:11] offset:15872
.LBB128_317:
	s_or_b64 exec, exec, s[14:15]
	s_waitcnt lgkmcnt(0)
	s_barrier
	s_and_saveexec_b64 s[14:15], vcc
	s_cbranch_execz .LBB128_319
; %bb.318:
	v_mov_b32_e32 v33, 0
	ds_read_b64 v[31:32], v33 offset:8328
	v_mov_b32_e32 v34, 0x3ff00000
	ds_write_b64 v33, v[33:34] offset:8320
	s_waitcnt lgkmcnt(1)
	ds_write_b128 v33, v[31:34] offset:8832
.LBB128_319:
	s_or_b64 exec, exec, s[14:15]
	v_mov_b32_e32 v10, 0
	v_mov_b32_e32 v11, 0
	s_waitcnt lgkmcnt(0)
	s_barrier
	s_and_saveexec_b64 s[16:17], s[2:3]
	s_cbranch_execz .LBB128_323
; %bb.320:
	v_mul_u32_u24_e32 v31, 0x208, v15
	ds_read_b64 v[10:11], v12 offset:8336
	ds_read_b64 v[31:32], v31 offset:8320
	v_cmp_gt_u32_e64 s[14:15], 2, v14
	s_waitcnt lgkmcnt(0)
	v_fma_f64 v[10:11], v[10:11], v[31:32], 0
	s_and_saveexec_b64 s[20:21], s[14:15]
	s_cbranch_execz .LBB128_322
; %bb.321:
	v_lshlrev_b32_e32 v31, 3, v0
	v_mov_b32_e32 v33, 0
	ds_read_b64 v[31:32], v31 offset:8848
	ds_read_b64 v[33:34], v33 offset:8328
	s_waitcnt lgkmcnt(0)
	v_fma_f64 v[10:11], v[31:32], v[33:34], v[10:11]
.LBB128_322:
	s_or_b64 exec, exec, s[20:21]
	v_xor_b32_e32 v11, 0x80000000, v11
.LBB128_323:
	s_or_b64 exec, exec, s[16:17]
	s_and_saveexec_b64 s[0:1], s[42:43]
; %bb.324:
	ds_write_b64 v13, v[10:11]
; %bb.325:
	s_or_b64 exec, exec, s[0:1]
	s_waitcnt lgkmcnt(0)
	s_barrier
	s_and_saveexec_b64 s[0:1], s[40:41]
	s_cbranch_execz .LBB128_327
; %bb.326:
	v_mov_b32_e32 v31, 0
	ds_read_b64 v[31:32], v31 offset:9368
	ds_read_b64 v[33:34], v13
	s_waitcnt lgkmcnt(0)
	v_fma_f64 v[10:11], v[31:32], v[33:34], v[10:11]
.LBB128_327:
	s_or_b64 exec, exec, s[0:1]
	s_barrier
	s_and_saveexec_b64 s[0:1], s[40:41]
; %bb.328:
	ds_write_b64 v13, v[10:11]
; %bb.329:
	s_or_b64 exec, exec, s[0:1]
	s_waitcnt lgkmcnt(0)
	s_barrier
	s_barrier
	s_and_saveexec_b64 s[0:1], s[2:3]
; %bb.330:
	v_xor_b32_e32 v11, 0x80000000, v11
	ds_write_b64 v12, v[10:11] offset:8336
; %bb.331:
	s_or_b64 exec, exec, s[0:1]
	s_waitcnt lgkmcnt(0)
	s_barrier
	s_barrier
	s_and_saveexec_b64 s[14:15], s[44:45]
	s_cbranch_execz .LBB128_333
; %bb.332:
	v_lshlrev_b32_e32 v31, 3, v0
	s_movk_i32 s0, 0x1f8
	v_mad_u32_u24 v32, v0, s0, v31
	ds_read_b64 v[10:11], v32 offset:8336
	s_waitcnt lgkmcnt(0)
	ds_write_b64 v31, v[10:11] offset:9344
	ds_read_b64 v[10:11], v32 offset:8344
	s_waitcnt lgkmcnt(0)
	ds_write_b64 v31, v[10:11] offset:9856
.LBB128_333:
	s_or_b64 exec, exec, s[14:15]
	s_waitcnt lgkmcnt(0)
	s_barrier
	s_and_saveexec_b64 s[14:15], vcc
	s_cbranch_execz .LBB128_335
; %bb.334:
	v_mov_b32_e32 v33, 0
	ds_read_b64 v[31:32], v33 offset:9368
	v_mov_b32_e32 v34, 0x3ff00000
	ds_write_b64 v33, v[33:34] offset:9360
	s_waitcnt lgkmcnt(1)
	ds_write_b128 v33, v[31:34] offset:9872
.LBB128_335:
	s_or_b64 exec, exec, s[14:15]
	v_mov_b32_e32 v10, 0
	v_mov_b32_e32 v11, 0
	s_waitcnt lgkmcnt(0)
	s_barrier
	s_and_saveexec_b64 s[16:17], s[18:19]
	s_cbranch_execz .LBB128_341
; %bb.336:
	v_mul_u32_u24_e32 v31, 0x208, v20
	ds_read_b64 v[10:11], v16 offset:8352
	ds_read_b64 v[32:33], v31 offset:8320
	v_cmp_gt_u32_e64 s[14:15], 12, v14
	s_waitcnt lgkmcnt(0)
	v_fma_f64 v[10:11], v[10:11], v[32:33], 0
	s_and_saveexec_b64 s[20:21], s[14:15]
	s_cbranch_execnz .LBB128_1184
; %bb.337:
	s_or_b64 exec, exec, s[20:21]
	v_cmp_gt_u32_e64 s[14:15], 8, v14
	s_and_saveexec_b64 s[0:1], s[14:15]
	s_cbranch_execnz .LBB128_1185
.LBB128_338:
	s_or_b64 exec, exec, s[0:1]
	v_cmp_gt_u32_e64 s[14:15], 4, v14
	s_and_saveexec_b64 s[20:21], s[14:15]
	s_cbranch_execz .LBB128_340
.LBB128_339:
	v_lshlrev_b32_e32 v31, 3, v0
	v_mov_b32_e32 v33, 0
	ds_read_b64 v[31:32], v31 offset:9888
	ds_read_b64 v[33:34], v33 offset:8344
	s_waitcnt lgkmcnt(0)
	v_fma_f64 v[10:11], v[31:32], v[33:34], v[10:11]
.LBB128_340:
	s_or_b64 exec, exec, s[20:21]
	v_xor_b32_e32 v11, 0x80000000, v11
.LBB128_341:
	s_or_b64 exec, exec, s[16:17]
	s_and_saveexec_b64 s[0:1], s[48:49]
; %bb.342:
	ds_write_b64 v18, v[10:11]
; %bb.343:
	s_or_b64 exec, exec, s[0:1]
	s_waitcnt lgkmcnt(0)
	s_barrier
	s_and_saveexec_b64 s[0:1], s[50:51]
	s_cbranch_execz .LBB128_345
; %bb.344:
	ds_read_b64 v[31:32], v17 offset:10400
	ds_read_b64 v[33:34], v18
	s_waitcnt lgkmcnt(0)
	v_fma_f64 v[10:11], v[31:32], v[33:34], v[10:11]
.LBB128_345:
	s_or_b64 exec, exec, s[0:1]
	s_barrier
	s_and_saveexec_b64 s[0:1], s[52:53]
; %bb.346:
	ds_write_b64 v18, v[10:11]
; %bb.347:
	s_or_b64 exec, exec, s[0:1]
	s_waitcnt lgkmcnt(0)
	s_barrier
	s_and_saveexec_b64 s[0:1], s[54:55]
	s_cbranch_execz .LBB128_349
; %bb.348:
	ds_read_b64 v[31:32], v17 offset:10912
	ds_read_b64 v[33:34], v18
	s_waitcnt lgkmcnt(0)
	v_fma_f64 v[10:11], v[31:32], v[33:34], v[10:11]
.LBB128_349:
	s_or_b64 exec, exec, s[0:1]
	s_barrier
	s_and_saveexec_b64 s[0:1], s[56:57]
; %bb.350:
	ds_write_b64 v18, v[10:11]
; %bb.351:
	s_or_b64 exec, exec, s[0:1]
	s_waitcnt lgkmcnt(0)
	s_barrier
	s_and_saveexec_b64 s[0:1], s[46:47]
	s_cbranch_execz .LBB128_353
; %bb.352:
	v_mov_b32_e32 v31, 0
	ds_read_b64 v[31:32], v31 offset:11448
	ds_read_b64 v[33:34], v18
	s_waitcnt lgkmcnt(0)
	v_fma_f64 v[10:11], v[31:32], v[33:34], v[10:11]
.LBB128_353:
	s_or_b64 exec, exec, s[0:1]
	s_barrier
	s_and_saveexec_b64 s[0:1], s[46:47]
; %bb.354:
	ds_write_b64 v18, v[10:11]
; %bb.355:
	s_or_b64 exec, exec, s[0:1]
	s_waitcnt lgkmcnt(0)
	s_barrier
	s_barrier
	s_and_saveexec_b64 s[0:1], s[18:19]
; %bb.356:
	v_xor_b32_e32 v11, 0x80000000, v11
	ds_write_b64 v16, v[10:11] offset:8352
; %bb.357:
	s_or_b64 exec, exec, s[0:1]
	s_waitcnt lgkmcnt(0)
	s_barrier
	s_barrier
	s_and_saveexec_b64 s[14:15], s[58:59]
	s_cbranch_execz .LBB128_359
; %bb.358:
	v_lshlrev_b32_e32 v31, 9, v0
	ds_read_b64 v[10:11], v31 offset:8352
	s_movk_i32 s0, 0xfe08
	v_mad_i32_i24 v32, v0, s0, v31
	s_waitcnt lgkmcnt(0)
	ds_write_b64 v32, v[10:11] offset:10368
	ds_read_b64 v[10:11], v31 offset:8360
	s_waitcnt lgkmcnt(0)
	ds_write_b64 v32, v[10:11] offset:10880
	ds_read_b64 v[10:11], v31 offset:8368
	;; [unrolled: 3-line block ×3, first 2 shown]
	s_waitcnt lgkmcnt(0)
	ds_write_b64 v32, v[10:11] offset:11904
.LBB128_359:
	s_or_b64 exec, exec, s[14:15]
	s_waitcnt lgkmcnt(0)
	s_barrier
	s_and_saveexec_b64 s[14:15], vcc
	s_cbranch_execz .LBB128_361
; %bb.360:
	v_mov_b32_e32 v33, 0
	ds_read_b64 v[31:32], v33 offset:10408
	v_mov_b32_e32 v34, 0x3ff00000
	ds_write_b64 v33, v[33:34] offset:10400
	s_waitcnt lgkmcnt(1)
	ds_write_b128 v33, v[31:34] offset:10912
.LBB128_361:
	s_or_b64 exec, exec, s[14:15]
	v_mov_b32_e32 v10, 0
	v_mov_b32_e32 v11, 0
	s_waitcnt lgkmcnt(0)
	s_barrier
	s_and_saveexec_b64 s[16:17], s[2:3]
	s_cbranch_execz .LBB128_365
; %bb.362:
	v_mul_u32_u24_e32 v31, 0x208, v15
	ds_read_b64 v[10:11], v12 offset:10416
	ds_read_b64 v[31:32], v31 offset:10400
	v_cmp_gt_u32_e64 s[14:15], 2, v14
	s_waitcnt lgkmcnt(0)
	v_fma_f64 v[10:11], v[10:11], v[31:32], 0
	s_and_saveexec_b64 s[20:21], s[14:15]
	s_cbranch_execz .LBB128_364
; %bb.363:
	v_lshlrev_b32_e32 v31, 3, v0
	v_mov_b32_e32 v33, 0
	ds_read_b64 v[31:32], v31 offset:10928
	ds_read_b64 v[33:34], v33 offset:10408
	s_waitcnt lgkmcnt(0)
	v_fma_f64 v[10:11], v[31:32], v[33:34], v[10:11]
.LBB128_364:
	s_or_b64 exec, exec, s[20:21]
	v_xor_b32_e32 v11, 0x80000000, v11
.LBB128_365:
	s_or_b64 exec, exec, s[16:17]
	s_and_saveexec_b64 s[0:1], s[42:43]
; %bb.366:
	ds_write_b64 v13, v[10:11]
; %bb.367:
	s_or_b64 exec, exec, s[0:1]
	s_waitcnt lgkmcnt(0)
	s_barrier
	s_and_saveexec_b64 s[0:1], s[40:41]
	s_cbranch_execz .LBB128_369
; %bb.368:
	v_mov_b32_e32 v31, 0
	ds_read_b64 v[31:32], v31 offset:11448
	ds_read_b64 v[33:34], v13
	s_waitcnt lgkmcnt(0)
	v_fma_f64 v[10:11], v[31:32], v[33:34], v[10:11]
.LBB128_369:
	s_or_b64 exec, exec, s[0:1]
	s_barrier
	s_and_saveexec_b64 s[0:1], s[40:41]
; %bb.370:
	ds_write_b64 v13, v[10:11]
; %bb.371:
	s_or_b64 exec, exec, s[0:1]
	s_waitcnt lgkmcnt(0)
	s_barrier
	s_barrier
	s_and_saveexec_b64 s[0:1], s[2:3]
; %bb.372:
	v_xor_b32_e32 v11, 0x80000000, v11
	ds_write_b64 v12, v[10:11] offset:10416
; %bb.373:
	s_or_b64 exec, exec, s[0:1]
	s_waitcnt lgkmcnt(0)
	s_barrier
	s_barrier
	s_and_saveexec_b64 s[14:15], s[44:45]
	s_cbranch_execz .LBB128_375
; %bb.374:
	v_lshlrev_b32_e32 v31, 3, v0
	s_movk_i32 s0, 0x1f8
	v_mad_u32_u24 v32, v0, s0, v31
	ds_read_b64 v[10:11], v32 offset:10416
	s_waitcnt lgkmcnt(0)
	ds_write_b64 v31, v[10:11] offset:11424
	ds_read_b64 v[10:11], v32 offset:10424
	s_waitcnt lgkmcnt(0)
	ds_write_b64 v31, v[10:11] offset:11936
.LBB128_375:
	s_or_b64 exec, exec, s[14:15]
	s_waitcnt lgkmcnt(0)
	s_barrier
	s_and_saveexec_b64 s[14:15], vcc
	s_cbranch_execz .LBB128_377
; %bb.376:
	v_mov_b32_e32 v33, 0
	ds_read_b64 v[31:32], v33 offset:11448
	v_mov_b32_e32 v34, 0x3ff00000
	ds_write_b64 v33, v[33:34] offset:11440
	s_waitcnt lgkmcnt(1)
	ds_write_b128 v33, v[31:34] offset:11952
.LBB128_377:
	s_or_b64 exec, exec, s[14:15]
	v_mov_b32_e32 v10, 0
	v_mov_b32_e32 v11, 0
	s_waitcnt lgkmcnt(0)
	s_barrier
	s_and_saveexec_b64 s[16:17], s[8:9]
	s_cbranch_execz .LBB128_387
; %bb.378:
	v_mul_u32_u24_e32 v31, 0x208, v25
	ds_read_b64 v[10:11], v21 offset:8384
	ds_read_b64 v[32:33], v31 offset:8320
	v_cmp_gt_u32_e64 s[14:15], 56, v14
	s_waitcnt lgkmcnt(0)
	v_fma_f64 v[10:11], v[10:11], v[32:33], 0
	s_and_saveexec_b64 s[20:21], s[14:15]
	s_cbranch_execnz .LBB128_1186
; %bb.379:
	s_or_b64 exec, exec, s[20:21]
	v_cmp_gt_u32_e64 s[14:15], 48, v14
	s_and_saveexec_b64 s[20:21], s[14:15]
	s_cbranch_execnz .LBB128_1187
.LBB128_380:
	s_or_b64 exec, exec, s[20:21]
	v_cmp_gt_u32_e64 s[14:15], 40, v14
	s_and_saveexec_b64 s[20:21], s[14:15]
	s_cbranch_execnz .LBB128_1188
.LBB128_381:
	s_or_b64 exec, exec, s[20:21]
	v_cmp_gt_u32_e64 s[14:15], 32, v14
	s_and_saveexec_b64 s[0:1], s[14:15]
	s_cbranch_execnz .LBB128_1189
.LBB128_382:
	s_or_b64 exec, exec, s[0:1]
	v_cmp_gt_u32_e64 s[14:15], 24, v14
	s_and_saveexec_b64 s[20:21], s[14:15]
	s_cbranch_execnz .LBB128_1190
.LBB128_383:
	s_or_b64 exec, exec, s[20:21]
	v_cmp_gt_u32_e64 s[14:15], 16, v14
	s_and_saveexec_b64 s[0:1], s[14:15]
	s_cbranch_execnz .LBB128_1191
.LBB128_384:
	s_or_b64 exec, exec, s[0:1]
	v_cmp_gt_u32_e64 s[14:15], 8, v14
	s_and_saveexec_b64 s[20:21], s[14:15]
	s_cbranch_execz .LBB128_386
.LBB128_385:
	v_lshlrev_b32_e32 v31, 3, v0
	v_mov_b32_e32 v33, 0
	ds_read_b64 v[31:32], v31 offset:11968
	ds_read_b64 v[33:34], v33 offset:8376
	s_waitcnt lgkmcnt(0)
	v_fma_f64 v[10:11], v[31:32], v[33:34], v[10:11]
.LBB128_386:
	s_or_b64 exec, exec, s[20:21]
	v_xor_b32_e32 v11, 0x80000000, v11
.LBB128_387:
	s_or_b64 exec, exec, s[16:17]
	s_and_saveexec_b64 s[0:1], s[60:61]
; %bb.388:
	ds_write_b64 v23, v[10:11]
; %bb.389:
	s_or_b64 exec, exec, s[0:1]
	s_waitcnt lgkmcnt(0)
	s_barrier
	s_and_saveexec_b64 s[0:1], s[62:63]
	s_cbranch_execz .LBB128_391
; %bb.390:
	ds_read_b64 v[31:32], v22 offset:12480
	ds_read_b64 v[33:34], v23
	s_waitcnt lgkmcnt(0)
	v_fma_f64 v[10:11], v[31:32], v[33:34], v[10:11]
.LBB128_391:
	s_or_b64 exec, exec, s[0:1]
	s_barrier
	s_and_saveexec_b64 s[0:1], s[64:65]
; %bb.392:
	ds_write_b64 v23, v[10:11]
; %bb.393:
	s_or_b64 exec, exec, s[0:1]
	s_waitcnt lgkmcnt(0)
	s_barrier
	s_and_saveexec_b64 s[0:1], s[66:67]
	s_cbranch_execz .LBB128_395
; %bb.394:
	ds_read_b64 v[31:32], v22 offset:12992
	ds_read_b64 v[33:34], v23
	s_waitcnt lgkmcnt(0)
	v_fma_f64 v[10:11], v[31:32], v[33:34], v[10:11]
.LBB128_395:
	s_or_b64 exec, exec, s[0:1]
	s_barrier
	;; [unrolled: 17-line block ×6, first 2 shown]
	s_and_saveexec_b64 s[0:1], s[86:87]
; %bb.412:
	ds_write_b64 v23, v[10:11]
; %bb.413:
	s_or_b64 exec, exec, s[0:1]
	s_waitcnt lgkmcnt(0)
	s_barrier
	s_and_saveexec_b64 s[0:1], s[70:71]
	s_cbranch_execz .LBB128_415
; %bb.414:
	v_mov_b32_e32 v31, 0
	ds_read_b64 v[31:32], v31 offset:15608
	ds_read_b64 v[33:34], v23
	s_waitcnt lgkmcnt(0)
	v_fma_f64 v[10:11], v[31:32], v[33:34], v[10:11]
.LBB128_415:
	s_or_b64 exec, exec, s[0:1]
	s_barrier
	s_and_saveexec_b64 s[0:1], s[70:71]
; %bb.416:
	ds_write_b64 v23, v[10:11]
; %bb.417:
	s_or_b64 exec, exec, s[0:1]
	s_waitcnt lgkmcnt(0)
	s_barrier
	s_barrier
	s_and_saveexec_b64 s[0:1], s[8:9]
; %bb.418:
	v_xor_b32_e32 v11, 0x80000000, v11
	ds_write_b64 v21, v[10:11] offset:8384
; %bb.419:
	s_or_b64 exec, exec, s[0:1]
	s_waitcnt lgkmcnt(0)
	s_barrier
	s_barrier
	s_and_saveexec_b64 s[14:15], s[88:89]
	s_cbranch_execz .LBB128_421
; %bb.420:
	v_lshlrev_b32_e32 v31, 9, v0
	ds_read_b64 v[10:11], v31 offset:8384
	s_movk_i32 s0, 0xfe08
	v_mad_i32_i24 v32, v0, s0, v31
	s_waitcnt lgkmcnt(0)
	ds_write_b64 v32, v[10:11] offset:12416
	ds_read_b64 v[10:11], v31 offset:8392
	s_waitcnt lgkmcnt(0)
	ds_write_b64 v32, v[10:11] offset:12928
	ds_read_b64 v[10:11], v31 offset:8400
	s_waitcnt lgkmcnt(0)
	ds_write_b64 v32, v[10:11] offset:13440
	ds_read_b64 v[10:11], v31 offset:8408
	s_waitcnt lgkmcnt(0)
	ds_write_b64 v32, v[10:11] offset:13952
	ds_read_b64 v[10:11], v31 offset:8416
	s_waitcnt lgkmcnt(0)
	ds_write_b64 v32, v[10:11] offset:14464
	ds_read_b64 v[10:11], v31 offset:8424
	s_waitcnt lgkmcnt(0)
	ds_write_b64 v32, v[10:11] offset:14976
	ds_read_b64 v[10:11], v31 offset:8432
	s_waitcnt lgkmcnt(0)
	ds_write_b64 v32, v[10:11] offset:15488
	ds_read_b64 v[10:11], v31 offset:8440
	s_waitcnt lgkmcnt(0)
	ds_write_b64 v32, v[10:11] offset:16000
.LBB128_421:
	s_or_b64 exec, exec, s[14:15]
	s_waitcnt lgkmcnt(0)
	s_barrier
	s_and_saveexec_b64 s[14:15], vcc
	s_cbranch_execz .LBB128_423
; %bb.422:
	v_mov_b32_e32 v33, 0
	ds_read_b64 v[31:32], v33 offset:12488
	v_mov_b32_e32 v34, 0x3ff00000
	ds_write_b64 v33, v[33:34] offset:12480
	s_waitcnt lgkmcnt(1)
	ds_write_b128 v33, v[31:34] offset:12992
.LBB128_423:
	s_or_b64 exec, exec, s[14:15]
	v_mov_b32_e32 v10, 0
	v_mov_b32_e32 v11, 0
	s_waitcnt lgkmcnt(0)
	s_barrier
	s_and_saveexec_b64 s[16:17], s[2:3]
	s_cbranch_execz .LBB128_427
; %bb.424:
	v_mul_u32_u24_e32 v31, 0x208, v15
	ds_read_b64 v[10:11], v12 offset:12496
	ds_read_b64 v[31:32], v31 offset:12480
	v_cmp_gt_u32_e64 s[14:15], 2, v14
	s_waitcnt lgkmcnt(0)
	v_fma_f64 v[10:11], v[10:11], v[31:32], 0
	s_and_saveexec_b64 s[20:21], s[14:15]
	s_cbranch_execz .LBB128_426
; %bb.425:
	v_lshlrev_b32_e32 v31, 3, v0
	v_mov_b32_e32 v33, 0
	ds_read_b64 v[31:32], v31 offset:13008
	ds_read_b64 v[33:34], v33 offset:12488
	s_waitcnt lgkmcnt(0)
	v_fma_f64 v[10:11], v[31:32], v[33:34], v[10:11]
.LBB128_426:
	s_or_b64 exec, exec, s[20:21]
	v_xor_b32_e32 v11, 0x80000000, v11
.LBB128_427:
	s_or_b64 exec, exec, s[16:17]
	s_and_saveexec_b64 s[0:1], s[42:43]
; %bb.428:
	ds_write_b64 v13, v[10:11]
; %bb.429:
	s_or_b64 exec, exec, s[0:1]
	s_waitcnt lgkmcnt(0)
	s_barrier
	s_and_saveexec_b64 s[0:1], s[40:41]
	s_cbranch_execz .LBB128_431
; %bb.430:
	v_mov_b32_e32 v31, 0
	ds_read_b64 v[31:32], v31 offset:13528
	ds_read_b64 v[33:34], v13
	s_waitcnt lgkmcnt(0)
	v_fma_f64 v[10:11], v[31:32], v[33:34], v[10:11]
.LBB128_431:
	s_or_b64 exec, exec, s[0:1]
	s_barrier
	s_and_saveexec_b64 s[0:1], s[40:41]
; %bb.432:
	ds_write_b64 v13, v[10:11]
; %bb.433:
	s_or_b64 exec, exec, s[0:1]
	s_waitcnt lgkmcnt(0)
	s_barrier
	s_barrier
	s_and_saveexec_b64 s[0:1], s[2:3]
; %bb.434:
	v_xor_b32_e32 v11, 0x80000000, v11
	ds_write_b64 v12, v[10:11] offset:12496
; %bb.435:
	s_or_b64 exec, exec, s[0:1]
	s_waitcnt lgkmcnt(0)
	s_barrier
	s_barrier
	s_and_saveexec_b64 s[14:15], s[44:45]
	s_cbranch_execz .LBB128_437
; %bb.436:
	v_lshlrev_b32_e32 v31, 3, v0
	s_movk_i32 s0, 0x1f8
	v_mad_u32_u24 v32, v0, s0, v31
	ds_read_b64 v[10:11], v32 offset:12496
	s_waitcnt lgkmcnt(0)
	ds_write_b64 v31, v[10:11] offset:13504
	ds_read_b64 v[10:11], v32 offset:12504
	s_waitcnt lgkmcnt(0)
	ds_write_b64 v31, v[10:11] offset:14016
.LBB128_437:
	s_or_b64 exec, exec, s[14:15]
	s_waitcnt lgkmcnt(0)
	s_barrier
	s_and_saveexec_b64 s[14:15], vcc
	s_cbranch_execz .LBB128_439
; %bb.438:
	v_mov_b32_e32 v33, 0
	ds_read_b64 v[31:32], v33 offset:13528
	v_mov_b32_e32 v34, 0x3ff00000
	ds_write_b64 v33, v[33:34] offset:13520
	s_waitcnt lgkmcnt(1)
	ds_write_b128 v33, v[31:34] offset:14032
.LBB128_439:
	s_or_b64 exec, exec, s[14:15]
	v_mov_b32_e32 v10, 0
	v_mov_b32_e32 v11, 0
	s_waitcnt lgkmcnt(0)
	s_barrier
	s_and_saveexec_b64 s[16:17], s[18:19]
	s_cbranch_execz .LBB128_445
; %bb.440:
	v_mul_u32_u24_e32 v31, 0x208, v20
	ds_read_b64 v[10:11], v16 offset:12512
	ds_read_b64 v[32:33], v31 offset:12480
	v_cmp_gt_u32_e64 s[14:15], 12, v14
	s_waitcnt lgkmcnt(0)
	v_fma_f64 v[10:11], v[10:11], v[32:33], 0
	s_and_saveexec_b64 s[20:21], s[14:15]
	s_cbranch_execnz .LBB128_1192
; %bb.441:
	s_or_b64 exec, exec, s[20:21]
	v_cmp_gt_u32_e64 s[14:15], 8, v14
	s_and_saveexec_b64 s[0:1], s[14:15]
	s_cbranch_execnz .LBB128_1193
.LBB128_442:
	s_or_b64 exec, exec, s[0:1]
	v_cmp_gt_u32_e64 s[14:15], 4, v14
	s_and_saveexec_b64 s[20:21], s[14:15]
	s_cbranch_execz .LBB128_444
.LBB128_443:
	v_lshlrev_b32_e32 v31, 3, v0
	v_mov_b32_e32 v33, 0
	ds_read_b64 v[31:32], v31 offset:14048
	ds_read_b64 v[33:34], v33 offset:12504
	s_waitcnt lgkmcnt(0)
	v_fma_f64 v[10:11], v[31:32], v[33:34], v[10:11]
.LBB128_444:
	s_or_b64 exec, exec, s[20:21]
	v_xor_b32_e32 v11, 0x80000000, v11
.LBB128_445:
	s_or_b64 exec, exec, s[16:17]
	s_and_saveexec_b64 s[0:1], s[48:49]
; %bb.446:
	ds_write_b64 v18, v[10:11]
; %bb.447:
	s_or_b64 exec, exec, s[0:1]
	s_waitcnt lgkmcnt(0)
	s_barrier
	s_and_saveexec_b64 s[0:1], s[50:51]
	s_cbranch_execz .LBB128_449
; %bb.448:
	ds_read_b64 v[31:32], v17 offset:14560
	ds_read_b64 v[33:34], v18
	s_waitcnt lgkmcnt(0)
	v_fma_f64 v[10:11], v[31:32], v[33:34], v[10:11]
.LBB128_449:
	s_or_b64 exec, exec, s[0:1]
	s_barrier
	s_and_saveexec_b64 s[0:1], s[52:53]
; %bb.450:
	ds_write_b64 v18, v[10:11]
; %bb.451:
	s_or_b64 exec, exec, s[0:1]
	s_waitcnt lgkmcnt(0)
	s_barrier
	s_and_saveexec_b64 s[0:1], s[54:55]
	s_cbranch_execz .LBB128_453
; %bb.452:
	ds_read_b64 v[31:32], v17 offset:15072
	ds_read_b64 v[33:34], v18
	s_waitcnt lgkmcnt(0)
	v_fma_f64 v[10:11], v[31:32], v[33:34], v[10:11]
.LBB128_453:
	s_or_b64 exec, exec, s[0:1]
	s_barrier
	s_and_saveexec_b64 s[0:1], s[56:57]
; %bb.454:
	ds_write_b64 v18, v[10:11]
; %bb.455:
	s_or_b64 exec, exec, s[0:1]
	s_waitcnt lgkmcnt(0)
	s_barrier
	s_and_saveexec_b64 s[0:1], s[46:47]
	s_cbranch_execz .LBB128_457
; %bb.456:
	v_mov_b32_e32 v31, 0
	ds_read_b64 v[31:32], v31 offset:15608
	ds_read_b64 v[33:34], v18
	s_waitcnt lgkmcnt(0)
	v_fma_f64 v[10:11], v[31:32], v[33:34], v[10:11]
.LBB128_457:
	s_or_b64 exec, exec, s[0:1]
	s_barrier
	s_and_saveexec_b64 s[0:1], s[46:47]
; %bb.458:
	ds_write_b64 v18, v[10:11]
; %bb.459:
	s_or_b64 exec, exec, s[0:1]
	s_waitcnt lgkmcnt(0)
	s_barrier
	s_barrier
	s_and_saveexec_b64 s[0:1], s[18:19]
; %bb.460:
	v_xor_b32_e32 v11, 0x80000000, v11
	ds_write_b64 v16, v[10:11] offset:12512
; %bb.461:
	s_or_b64 exec, exec, s[0:1]
	s_waitcnt lgkmcnt(0)
	s_barrier
	s_barrier
	s_and_saveexec_b64 s[14:15], s[58:59]
	s_cbranch_execz .LBB128_463
; %bb.462:
	v_lshlrev_b32_e32 v31, 9, v0
	ds_read_b64 v[10:11], v31 offset:12512
	s_movk_i32 s0, 0xfe08
	v_mad_i32_i24 v32, v0, s0, v31
	s_waitcnt lgkmcnt(0)
	ds_write_b64 v32, v[10:11] offset:14528
	ds_read_b64 v[10:11], v31 offset:12520
	s_waitcnt lgkmcnt(0)
	ds_write_b64 v32, v[10:11] offset:15040
	ds_read_b64 v[10:11], v31 offset:12528
	;; [unrolled: 3-line block ×3, first 2 shown]
	s_waitcnt lgkmcnt(0)
	ds_write_b64 v32, v[10:11] offset:16064
.LBB128_463:
	s_or_b64 exec, exec, s[14:15]
	s_waitcnt lgkmcnt(0)
	s_barrier
	s_and_saveexec_b64 s[14:15], vcc
	s_cbranch_execz .LBB128_465
; %bb.464:
	v_mov_b32_e32 v33, 0
	ds_read_b64 v[31:32], v33 offset:14568
	v_mov_b32_e32 v34, 0x3ff00000
	ds_write_b64 v33, v[33:34] offset:14560
	s_waitcnt lgkmcnt(1)
	ds_write_b128 v33, v[31:34] offset:15072
.LBB128_465:
	s_or_b64 exec, exec, s[14:15]
	v_mov_b32_e32 v10, 0
	v_mov_b32_e32 v11, 0
	s_waitcnt lgkmcnt(0)
	s_barrier
	s_and_saveexec_b64 s[16:17], s[2:3]
	s_cbranch_execz .LBB128_469
; %bb.466:
	v_mul_u32_u24_e32 v31, 0x208, v15
	ds_read_b64 v[10:11], v12 offset:14576
	ds_read_b64 v[31:32], v31 offset:14560
	v_cmp_gt_u32_e64 s[14:15], 2, v14
	s_waitcnt lgkmcnt(0)
	v_fma_f64 v[10:11], v[10:11], v[31:32], 0
	s_and_saveexec_b64 s[20:21], s[14:15]
	s_cbranch_execz .LBB128_468
; %bb.467:
	v_lshlrev_b32_e32 v31, 3, v0
	v_mov_b32_e32 v33, 0
	ds_read_b64 v[31:32], v31 offset:15088
	ds_read_b64 v[33:34], v33 offset:14568
	s_waitcnt lgkmcnt(0)
	v_fma_f64 v[10:11], v[31:32], v[33:34], v[10:11]
.LBB128_468:
	s_or_b64 exec, exec, s[20:21]
	v_xor_b32_e32 v11, 0x80000000, v11
.LBB128_469:
	s_or_b64 exec, exec, s[16:17]
	s_and_saveexec_b64 s[0:1], s[42:43]
; %bb.470:
	ds_write_b64 v13, v[10:11]
; %bb.471:
	s_or_b64 exec, exec, s[0:1]
	s_waitcnt lgkmcnt(0)
	s_barrier
	s_and_saveexec_b64 s[0:1], s[40:41]
	s_cbranch_execz .LBB128_473
; %bb.472:
	v_mov_b32_e32 v31, 0
	ds_read_b64 v[31:32], v31 offset:15608
	ds_read_b64 v[33:34], v13
	s_waitcnt lgkmcnt(0)
	v_fma_f64 v[10:11], v[31:32], v[33:34], v[10:11]
.LBB128_473:
	s_or_b64 exec, exec, s[0:1]
	s_barrier
	s_and_saveexec_b64 s[0:1], s[40:41]
; %bb.474:
	ds_write_b64 v13, v[10:11]
; %bb.475:
	s_or_b64 exec, exec, s[0:1]
	s_waitcnt lgkmcnt(0)
	s_barrier
	s_barrier
	s_and_saveexec_b64 s[0:1], s[2:3]
; %bb.476:
	v_xor_b32_e32 v11, 0x80000000, v11
	ds_write_b64 v12, v[10:11] offset:14576
; %bb.477:
	s_or_b64 exec, exec, s[0:1]
	s_waitcnt lgkmcnt(0)
	s_barrier
	s_barrier
	s_and_saveexec_b64 s[14:15], s[44:45]
	s_cbranch_execz .LBB128_479
; %bb.478:
	v_lshlrev_b32_e32 v31, 3, v0
	s_movk_i32 s0, 0x1f8
	v_mad_u32_u24 v32, v0, s0, v31
	ds_read_b64 v[10:11], v32 offset:14576
	s_waitcnt lgkmcnt(0)
	ds_write_b64 v31, v[10:11] offset:15584
	ds_read_b64 v[10:11], v32 offset:14584
	s_waitcnt lgkmcnt(0)
	ds_write_b64 v31, v[10:11] offset:16096
.LBB128_479:
	s_or_b64 exec, exec, s[14:15]
	s_waitcnt lgkmcnt(0)
	s_barrier
	s_and_saveexec_b64 s[14:15], vcc
	s_cbranch_execz .LBB128_481
; %bb.480:
	v_mov_b32_e32 v33, 0
	ds_read_b64 v[31:32], v33 offset:15608
	v_mov_b32_e32 v34, 0x3ff00000
	ds_write_b64 v33, v[33:34] offset:15600
	s_waitcnt lgkmcnt(1)
	ds_write_b128 v33, v[31:34] offset:16112
.LBB128_481:
	s_or_b64 exec, exec, s[14:15]
	v_and_b32_e32 v33, 31, v0
	s_movk_i32 s0, 0x3ff
	v_lshrrev_b32_e32 v34, 5, v14
	v_cmp_lt_u32_e64 s[16:17], s0, v14
	s_movk_i32 s0, 0x400
	v_lshlrev_b32_e32 v32, 3, v33
	v_mov_b32_e32 v10, 0
	v_cmp_gt_u32_e64 s[14:15], s0, v14
	v_mov_b32_e32 v11, 0
	v_lshl_or_b32 v31, v34, 9, v32
	s_waitcnt lgkmcnt(0)
	s_barrier
	s_and_saveexec_b64 s[36:37], s[14:15]
	s_cbranch_execz .LBB128_543
; %bb.482:
	v_mul_u32_u24_e32 v35, 0x208, v34
	ds_read_b64 v[10:11], v31 offset:256
	ds_read_b64 v[36:37], v35
	s_movk_i32 s0, 0x3e0
	v_cmp_gt_u32_e64 s[20:21], s0, v14
	s_waitcnt lgkmcnt(0)
	v_fma_f64 v[10:11], v[10:11], v[36:37], 0
	s_and_saveexec_b64 s[0:1], s[20:21]
	s_cbranch_execz .LBB128_484
; %bb.483:
	ds_read_b64 v[36:37], v31 offset:768
	ds_read_b64 v[38:39], v35 offset:8
	s_waitcnt lgkmcnt(0)
	v_fma_f64 v[10:11], v[36:37], v[38:39], v[10:11]
.LBB128_484:
	s_or_b64 exec, exec, s[0:1]
	s_movk_i32 s0, 0x3c0
	v_cmp_gt_u32_e64 s[20:21], s0, v14
	s_and_saveexec_b64 s[0:1], s[20:21]
	s_cbranch_execz .LBB128_486
; %bb.485:
	ds_read_b64 v[36:37], v31 offset:1280
	ds_read_b64 v[38:39], v35 offset:16
	s_waitcnt lgkmcnt(0)
	v_fma_f64 v[10:11], v[36:37], v[38:39], v[10:11]
.LBB128_486:
	s_or_b64 exec, exec, s[0:1]
	s_movk_i32 s0, 0x3a0
	v_cmp_gt_u32_e64 s[20:21], s0, v14
	;; [unrolled: 11-line block ×28, first 2 shown]
	s_and_saveexec_b64 s[0:1], s[20:21]
	s_cbranch_execnz .LBB128_1194
; %bb.539:
	s_or_b64 exec, exec, s[0:1]
	v_cmp_gt_u32_e64 s[20:21], 64, v14
	s_and_saveexec_b64 s[0:1], s[20:21]
	s_cbranch_execnz .LBB128_1195
.LBB128_540:
	s_or_b64 exec, exec, s[0:1]
	v_cmp_gt_u32_e64 s[20:21], 32, v14
	s_and_saveexec_b64 s[0:1], s[20:21]
	s_cbranch_execz .LBB128_542
.LBB128_541:
	v_lshlrev_b32_e32 v35, 3, v0
	v_mov_b32_e32 v37, 0
	ds_read_b64 v[35:36], v35 offset:16128
	ds_read_b64 v[37:38], v37 offset:248
	s_waitcnt lgkmcnt(0)
	v_fma_f64 v[10:11], v[35:36], v[37:38], v[10:11]
.LBB128_542:
	s_or_b64 exec, exec, s[0:1]
	v_xor_b32_e32 v11, 0x80000000, v11
.LBB128_543:
	s_or_b64 exec, exec, s[36:37]
	v_mov_b32_e32 v35, 0x8000
	v_cmp_eq_u32_e64 s[20:21], 0, v33
	s_xor_b64 s[36:37], s[16:17], -1
	v_lshl_or_b32 v34, v34, 3, v35
	s_and_b64 s[16:17], s[36:37], s[20:21]
	s_and_saveexec_b64 s[0:1], s[16:17]
; %bb.544:
	ds_write_b64 v34, v[10:11]
; %bb.545:
	s_or_b64 exec, exec, s[0:1]
	v_cmp_ne_u32_e64 s[16:17], 0, v33
	s_and_b64 s[16:17], s[36:37], s[16:17]
	s_waitcnt lgkmcnt(0)
	s_barrier
	s_and_saveexec_b64 s[0:1], s[16:17]
	s_cbranch_execz .LBB128_547
; %bb.546:
	ds_read_b64 v[35:36], v32 offset:16640
	ds_read_b64 v[37:38], v34
	s_waitcnt lgkmcnt(0)
	v_fma_f64 v[10:11], v[35:36], v[37:38], v[10:11]
.LBB128_547:
	s_or_b64 exec, exec, s[0:1]
	v_cmp_eq_u32_e64 s[16:17], 1, v33
	s_and_b64 s[16:17], s[36:37], s[16:17]
	s_barrier
	s_and_saveexec_b64 s[0:1], s[16:17]
; %bb.548:
	ds_write_b64 v34, v[10:11]
; %bb.549:
	s_or_b64 exec, exec, s[0:1]
	v_cmp_lt_u32_e64 s[16:17], 1, v33
	s_and_b64 s[16:17], s[36:37], s[16:17]
	s_waitcnt lgkmcnt(0)
	s_barrier
	s_and_saveexec_b64 s[0:1], s[16:17]
	s_cbranch_execz .LBB128_551
; %bb.550:
	ds_read_b64 v[35:36], v32 offset:17152
	ds_read_b64 v[37:38], v34
	s_waitcnt lgkmcnt(0)
	v_fma_f64 v[10:11], v[35:36], v[37:38], v[10:11]
.LBB128_551:
	s_or_b64 exec, exec, s[0:1]
	v_cmp_eq_u32_e64 s[16:17], 2, v33
	s_and_b64 s[16:17], s[36:37], s[16:17]
	s_barrier
	s_and_saveexec_b64 s[0:1], s[16:17]
; %bb.552:
	ds_write_b64 v34, v[10:11]
; %bb.553:
	s_or_b64 exec, exec, s[0:1]
	v_cmp_lt_u32_e64 s[16:17], 2, v33
	;; [unrolled: 21-line block ×29, first 2 shown]
	s_and_b64 s[16:17], s[36:37], s[16:17]
	s_waitcnt lgkmcnt(0)
	s_barrier
	s_and_saveexec_b64 s[0:1], s[16:17]
	s_cbranch_execz .LBB128_663
; %bb.662:
	ds_read_b64 v[35:36], v32 offset:31488
	ds_read_b64 v[37:38], v34
	s_waitcnt lgkmcnt(0)
	v_fma_f64 v[10:11], v[35:36], v[37:38], v[10:11]
.LBB128_663:
	s_or_b64 exec, exec, s[0:1]
	v_cmp_eq_u32_e64 s[16:17], 30, v33
	s_and_b64 s[16:17], s[36:37], s[16:17]
	s_barrier
	s_and_saveexec_b64 s[0:1], s[16:17]
; %bb.664:
	ds_write_b64 v34, v[10:11]
; %bb.665:
	s_or_b64 exec, exec, s[0:1]
	v_cmp_eq_u32_e64 s[16:17], 31, v33
	s_and_b64 s[16:17], s[36:37], s[16:17]
	s_waitcnt lgkmcnt(0)
	s_barrier
	s_and_saveexec_b64 s[0:1], s[16:17]
	s_cbranch_execz .LBB128_667
; %bb.666:
	ds_read_b64 v[32:33], v32 offset:32000
	ds_read_b64 v[35:36], v34
	s_waitcnt lgkmcnt(0)
	v_fma_f64 v[10:11], v[32:33], v[35:36], v[10:11]
.LBB128_667:
	s_or_b64 exec, exec, s[0:1]
	s_barrier
	s_and_saveexec_b64 s[0:1], s[16:17]
; %bb.668:
	ds_write_b64 v34, v[10:11]
; %bb.669:
	s_or_b64 exec, exec, s[0:1]
	s_waitcnt lgkmcnt(0)
	s_barrier
	s_barrier
	s_and_saveexec_b64 s[0:1], s[14:15]
; %bb.670:
	v_xor_b32_e32 v11, 0x80000000, v11
	ds_write_b64 v31, v[10:11] offset:256
; %bb.671:
	s_or_b64 exec, exec, s[0:1]
	v_cmp_gt_u32_e64 s[14:15], 32, v0
	s_and_b64 s[0:1], s[12:13], s[14:15]
	s_waitcnt lgkmcnt(0)
	s_barrier
	s_barrier
	s_and_saveexec_b64 s[12:13], s[0:1]
	s_cbranch_execz .LBB128_673
; %bb.672:
	v_lshlrev_b32_e32 v31, 9, v0
	ds_read_b64 v[10:11], v31 offset:256
	s_movk_i32 s0, 0xfe08
	v_mad_i32_i24 v32, v0, s0, v31
	s_waitcnt lgkmcnt(0)
	ds_write_b64 v32, v[10:11] offset:16384
	ds_read_b64 v[10:11], v31 offset:264
	s_waitcnt lgkmcnt(0)
	ds_write_b64 v32, v[10:11] offset:16896
	ds_read_b64 v[10:11], v31 offset:272
	;; [unrolled: 3-line block ×31, first 2 shown]
	s_waitcnt lgkmcnt(0)
	ds_write_b64 v32, v[10:11] offset:32256
.LBB128_673:
	s_or_b64 exec, exec, s[12:13]
	s_waitcnt lgkmcnt(0)
	s_barrier
	s_and_saveexec_b64 s[12:13], vcc
	s_cbranch_execz .LBB128_675
; %bb.674:
	v_mov_b32_e32 v33, 0
	ds_read_b64 v[31:32], v33 offset:16648
	v_mov_b32_e32 v34, 0x3ff00000
	ds_write_b64 v33, v[33:34] offset:16640
	s_waitcnt lgkmcnt(1)
	ds_write_b128 v33, v[31:34] offset:17152
.LBB128_675:
	s_or_b64 exec, exec, s[12:13]
	v_mov_b32_e32 v10, 0
	v_mov_b32_e32 v11, 0
	s_waitcnt lgkmcnt(0)
	s_barrier
	s_and_saveexec_b64 s[14:15], s[2:3]
	s_cbranch_execz .LBB128_679
; %bb.676:
	v_mul_u32_u24_e32 v31, 0x208, v15
	ds_read_b64 v[10:11], v12 offset:16656
	ds_read_b64 v[31:32], v31 offset:16640
	v_cmp_gt_u32_e64 s[12:13], 2, v14
	s_waitcnt lgkmcnt(0)
	v_fma_f64 v[10:11], v[10:11], v[31:32], 0
	s_and_saveexec_b64 s[16:17], s[12:13]
	s_cbranch_execz .LBB128_678
; %bb.677:
	v_lshlrev_b32_e32 v31, 3, v0
	v_mov_b32_e32 v33, 0
	ds_read_b64 v[31:32], v31 offset:17168
	ds_read_b64 v[33:34], v33 offset:16648
	s_waitcnt lgkmcnt(0)
	v_fma_f64 v[10:11], v[31:32], v[33:34], v[10:11]
.LBB128_678:
	s_or_b64 exec, exec, s[16:17]
	v_xor_b32_e32 v11, 0x80000000, v11
.LBB128_679:
	s_or_b64 exec, exec, s[14:15]
	s_and_saveexec_b64 s[0:1], s[42:43]
; %bb.680:
	ds_write_b64 v13, v[10:11]
; %bb.681:
	s_or_b64 exec, exec, s[0:1]
	s_waitcnt lgkmcnt(0)
	s_barrier
	s_and_saveexec_b64 s[0:1], s[40:41]
	s_cbranch_execz .LBB128_683
; %bb.682:
	v_mov_b32_e32 v31, 0
	ds_read_b64 v[31:32], v31 offset:17688
	ds_read_b64 v[33:34], v13
	s_waitcnt lgkmcnt(0)
	v_fma_f64 v[10:11], v[31:32], v[33:34], v[10:11]
.LBB128_683:
	s_or_b64 exec, exec, s[0:1]
	s_barrier
	s_and_saveexec_b64 s[0:1], s[40:41]
; %bb.684:
	ds_write_b64 v13, v[10:11]
; %bb.685:
	s_or_b64 exec, exec, s[0:1]
	s_waitcnt lgkmcnt(0)
	s_barrier
	s_barrier
	s_and_saveexec_b64 s[0:1], s[2:3]
; %bb.686:
	v_xor_b32_e32 v11, 0x80000000, v11
	ds_write_b64 v12, v[10:11] offset:16656
; %bb.687:
	s_or_b64 exec, exec, s[0:1]
	s_waitcnt lgkmcnt(0)
	s_barrier
	s_barrier
	s_and_saveexec_b64 s[0:1], s[44:45]
	s_cbranch_execz .LBB128_689
; %bb.688:
	v_lshlrev_b32_e32 v31, 3, v0
	s_movk_i32 s12, 0x1f8
	v_mad_u32_u24 v32, v0, s12, v31
	ds_read_b64 v[10:11], v32 offset:16656
	s_waitcnt lgkmcnt(0)
	ds_write_b64 v31, v[10:11] offset:17664
	ds_read_b64 v[10:11], v32 offset:16664
	s_waitcnt lgkmcnt(0)
	ds_write_b64 v31, v[10:11] offset:18176
.LBB128_689:
	s_or_b64 exec, exec, s[0:1]
	s_waitcnt lgkmcnt(0)
	s_barrier
	s_and_saveexec_b64 s[12:13], vcc
	s_cbranch_execz .LBB128_691
; %bb.690:
	v_mov_b32_e32 v33, 0
	ds_read_b64 v[31:32], v33 offset:17688
	v_mov_b32_e32 v34, 0x3ff00000
	ds_write_b64 v33, v[33:34] offset:17680
	s_waitcnt lgkmcnt(1)
	ds_write_b128 v33, v[31:34] offset:18192
.LBB128_691:
	s_or_b64 exec, exec, s[12:13]
	v_mov_b32_e32 v10, 0
	v_mov_b32_e32 v11, 0
	s_waitcnt lgkmcnt(0)
	s_barrier
	s_and_saveexec_b64 s[14:15], s[18:19]
	s_cbranch_execz .LBB128_697
; %bb.692:
	v_mul_u32_u24_e32 v31, 0x208, v20
	ds_read_b64 v[10:11], v16 offset:16672
	ds_read_b64 v[32:33], v31 offset:16640
	v_cmp_gt_u32_e64 s[12:13], 12, v14
	s_waitcnt lgkmcnt(0)
	v_fma_f64 v[10:11], v[10:11], v[32:33], 0
	s_and_saveexec_b64 s[16:17], s[12:13]
	s_cbranch_execnz .LBB128_1196
; %bb.693:
	s_or_b64 exec, exec, s[16:17]
	v_cmp_gt_u32_e64 s[12:13], 8, v14
	s_and_saveexec_b64 s[0:1], s[12:13]
	s_cbranch_execnz .LBB128_1197
.LBB128_694:
	s_or_b64 exec, exec, s[0:1]
	v_cmp_gt_u32_e64 s[12:13], 4, v14
	s_and_saveexec_b64 s[0:1], s[12:13]
	s_cbranch_execz .LBB128_696
.LBB128_695:
	v_lshlrev_b32_e32 v31, 3, v0
	v_mov_b32_e32 v33, 0
	ds_read_b64 v[31:32], v31 offset:18208
	ds_read_b64 v[33:34], v33 offset:16664
	s_waitcnt lgkmcnt(0)
	v_fma_f64 v[10:11], v[31:32], v[33:34], v[10:11]
.LBB128_696:
	s_or_b64 exec, exec, s[0:1]
	v_xor_b32_e32 v11, 0x80000000, v11
.LBB128_697:
	s_or_b64 exec, exec, s[14:15]
	s_and_saveexec_b64 s[0:1], s[48:49]
; %bb.698:
	ds_write_b64 v18, v[10:11]
; %bb.699:
	s_or_b64 exec, exec, s[0:1]
	s_waitcnt lgkmcnt(0)
	s_barrier
	s_and_saveexec_b64 s[0:1], s[50:51]
	s_cbranch_execz .LBB128_701
; %bb.700:
	ds_read_b64 v[31:32], v17 offset:18720
	ds_read_b64 v[33:34], v18
	s_waitcnt lgkmcnt(0)
	v_fma_f64 v[10:11], v[31:32], v[33:34], v[10:11]
.LBB128_701:
	s_or_b64 exec, exec, s[0:1]
	s_barrier
	s_and_saveexec_b64 s[0:1], s[52:53]
; %bb.702:
	ds_write_b64 v18, v[10:11]
; %bb.703:
	s_or_b64 exec, exec, s[0:1]
	s_waitcnt lgkmcnt(0)
	s_barrier
	s_and_saveexec_b64 s[0:1], s[54:55]
	s_cbranch_execz .LBB128_705
; %bb.704:
	ds_read_b64 v[31:32], v17 offset:19232
	ds_read_b64 v[33:34], v18
	s_waitcnt lgkmcnt(0)
	v_fma_f64 v[10:11], v[31:32], v[33:34], v[10:11]
.LBB128_705:
	s_or_b64 exec, exec, s[0:1]
	s_barrier
	s_and_saveexec_b64 s[0:1], s[56:57]
; %bb.706:
	ds_write_b64 v18, v[10:11]
; %bb.707:
	s_or_b64 exec, exec, s[0:1]
	s_waitcnt lgkmcnt(0)
	s_barrier
	s_and_saveexec_b64 s[0:1], s[46:47]
	s_cbranch_execz .LBB128_709
; %bb.708:
	v_mov_b32_e32 v31, 0
	ds_read_b64 v[31:32], v31 offset:19768
	ds_read_b64 v[33:34], v18
	s_waitcnt lgkmcnt(0)
	v_fma_f64 v[10:11], v[31:32], v[33:34], v[10:11]
.LBB128_709:
	s_or_b64 exec, exec, s[0:1]
	s_barrier
	s_and_saveexec_b64 s[0:1], s[46:47]
; %bb.710:
	ds_write_b64 v18, v[10:11]
; %bb.711:
	s_or_b64 exec, exec, s[0:1]
	s_waitcnt lgkmcnt(0)
	s_barrier
	s_barrier
	s_and_saveexec_b64 s[0:1], s[18:19]
; %bb.712:
	v_xor_b32_e32 v11, 0x80000000, v11
	ds_write_b64 v16, v[10:11] offset:16672
; %bb.713:
	s_or_b64 exec, exec, s[0:1]
	s_waitcnt lgkmcnt(0)
	s_barrier
	s_barrier
	s_and_saveexec_b64 s[12:13], s[58:59]
	s_cbranch_execz .LBB128_715
; %bb.714:
	v_lshlrev_b32_e32 v31, 9, v0
	ds_read_b64 v[10:11], v31 offset:16672
	s_movk_i32 s0, 0xfe08
	v_mad_i32_i24 v32, v0, s0, v31
	s_waitcnt lgkmcnt(0)
	ds_write_b64 v32, v[10:11] offset:18688
	ds_read_b64 v[10:11], v31 offset:16680
	s_waitcnt lgkmcnt(0)
	ds_write_b64 v32, v[10:11] offset:19200
	ds_read_b64 v[10:11], v31 offset:16688
	;; [unrolled: 3-line block ×3, first 2 shown]
	s_waitcnt lgkmcnt(0)
	ds_write_b64 v32, v[10:11] offset:20224
.LBB128_715:
	s_or_b64 exec, exec, s[12:13]
	s_waitcnt lgkmcnt(0)
	s_barrier
	s_and_saveexec_b64 s[12:13], vcc
	s_cbranch_execz .LBB128_717
; %bb.716:
	v_mov_b32_e32 v33, 0
	ds_read_b64 v[31:32], v33 offset:18728
	v_mov_b32_e32 v34, 0x3ff00000
	ds_write_b64 v33, v[33:34] offset:18720
	s_waitcnt lgkmcnt(1)
	ds_write_b128 v33, v[31:34] offset:19232
.LBB128_717:
	s_or_b64 exec, exec, s[12:13]
	v_mov_b32_e32 v10, 0
	v_mov_b32_e32 v11, 0
	s_waitcnt lgkmcnt(0)
	s_barrier
	s_and_saveexec_b64 s[14:15], s[2:3]
	s_cbranch_execz .LBB128_721
; %bb.718:
	v_mul_u32_u24_e32 v31, 0x208, v15
	ds_read_b64 v[10:11], v12 offset:18736
	ds_read_b64 v[31:32], v31 offset:18720
	v_cmp_gt_u32_e64 s[12:13], 2, v14
	s_waitcnt lgkmcnt(0)
	v_fma_f64 v[10:11], v[10:11], v[31:32], 0
	s_and_saveexec_b64 s[16:17], s[12:13]
	s_cbranch_execz .LBB128_720
; %bb.719:
	v_lshlrev_b32_e32 v31, 3, v0
	v_mov_b32_e32 v33, 0
	ds_read_b64 v[31:32], v31 offset:19248
	ds_read_b64 v[33:34], v33 offset:18728
	s_waitcnt lgkmcnt(0)
	v_fma_f64 v[10:11], v[31:32], v[33:34], v[10:11]
.LBB128_720:
	s_or_b64 exec, exec, s[16:17]
	v_xor_b32_e32 v11, 0x80000000, v11
.LBB128_721:
	s_or_b64 exec, exec, s[14:15]
	s_and_saveexec_b64 s[0:1], s[42:43]
; %bb.722:
	ds_write_b64 v13, v[10:11]
; %bb.723:
	s_or_b64 exec, exec, s[0:1]
	s_waitcnt lgkmcnt(0)
	s_barrier
	s_and_saveexec_b64 s[0:1], s[40:41]
	s_cbranch_execz .LBB128_725
; %bb.724:
	v_mov_b32_e32 v31, 0
	ds_read_b64 v[31:32], v31 offset:19768
	ds_read_b64 v[33:34], v13
	s_waitcnt lgkmcnt(0)
	v_fma_f64 v[10:11], v[31:32], v[33:34], v[10:11]
.LBB128_725:
	s_or_b64 exec, exec, s[0:1]
	s_barrier
	s_and_saveexec_b64 s[0:1], s[40:41]
; %bb.726:
	ds_write_b64 v13, v[10:11]
; %bb.727:
	s_or_b64 exec, exec, s[0:1]
	s_waitcnt lgkmcnt(0)
	s_barrier
	s_barrier
	s_and_saveexec_b64 s[0:1], s[2:3]
; %bb.728:
	v_xor_b32_e32 v11, 0x80000000, v11
	ds_write_b64 v12, v[10:11] offset:18736
; %bb.729:
	s_or_b64 exec, exec, s[0:1]
	s_waitcnt lgkmcnt(0)
	s_barrier
	s_barrier
	s_and_saveexec_b64 s[0:1], s[44:45]
	s_cbranch_execz .LBB128_731
; %bb.730:
	v_lshlrev_b32_e32 v31, 3, v0
	s_movk_i32 s12, 0x1f8
	v_mad_u32_u24 v32, v0, s12, v31
	ds_read_b64 v[10:11], v32 offset:18736
	s_waitcnt lgkmcnt(0)
	ds_write_b64 v31, v[10:11] offset:19744
	ds_read_b64 v[10:11], v32 offset:18744
	s_waitcnt lgkmcnt(0)
	ds_write_b64 v31, v[10:11] offset:20256
.LBB128_731:
	s_or_b64 exec, exec, s[0:1]
	s_waitcnt lgkmcnt(0)
	s_barrier
	s_and_saveexec_b64 s[12:13], vcc
	s_cbranch_execz .LBB128_733
; %bb.732:
	v_mov_b32_e32 v33, 0
	ds_read_b64 v[31:32], v33 offset:19768
	v_mov_b32_e32 v34, 0x3ff00000
	ds_write_b64 v33, v[33:34] offset:19760
	s_waitcnt lgkmcnt(1)
	ds_write_b128 v33, v[31:34] offset:20272
.LBB128_733:
	s_or_b64 exec, exec, s[12:13]
	v_mov_b32_e32 v10, 0
	v_mov_b32_e32 v11, 0
	s_waitcnt lgkmcnt(0)
	s_barrier
	s_and_saveexec_b64 s[14:15], s[8:9]
	s_cbranch_execz .LBB128_743
; %bb.734:
	v_mul_u32_u24_e32 v31, 0x208, v25
	ds_read_b64 v[10:11], v21 offset:16704
	ds_read_b64 v[32:33], v31 offset:16640
	v_cmp_gt_u32_e64 s[12:13], 56, v14
	s_waitcnt lgkmcnt(0)
	v_fma_f64 v[10:11], v[10:11], v[32:33], 0
	s_and_saveexec_b64 s[16:17], s[12:13]
	s_cbranch_execnz .LBB128_1198
; %bb.735:
	s_or_b64 exec, exec, s[16:17]
	v_cmp_gt_u32_e64 s[12:13], 48, v14
	s_and_saveexec_b64 s[0:1], s[12:13]
	s_cbranch_execnz .LBB128_1199
.LBB128_736:
	s_or_b64 exec, exec, s[0:1]
	v_cmp_gt_u32_e64 s[12:13], 40, v14
	s_and_saveexec_b64 s[0:1], s[12:13]
	s_cbranch_execnz .LBB128_1200
.LBB128_737:
	s_or_b64 exec, exec, s[0:1]
	v_cmp_gt_u32_e64 s[12:13], 32, v14
	s_and_saveexec_b64 s[0:1], s[12:13]
	s_cbranch_execnz .LBB128_1201
.LBB128_738:
	s_or_b64 exec, exec, s[0:1]
	v_cmp_gt_u32_e64 s[12:13], 24, v14
	s_and_saveexec_b64 s[0:1], s[12:13]
	s_cbranch_execnz .LBB128_1202
.LBB128_739:
	s_or_b64 exec, exec, s[0:1]
	v_cmp_gt_u32_e64 s[12:13], 16, v14
	s_and_saveexec_b64 s[0:1], s[12:13]
	s_cbranch_execnz .LBB128_1203
.LBB128_740:
	s_or_b64 exec, exec, s[0:1]
	v_cmp_gt_u32_e64 s[12:13], 8, v14
	s_and_saveexec_b64 s[0:1], s[12:13]
	s_cbranch_execz .LBB128_742
.LBB128_741:
	v_lshlrev_b32_e32 v31, 3, v0
	v_mov_b32_e32 v33, 0
	ds_read_b64 v[31:32], v31 offset:20288
	ds_read_b64 v[33:34], v33 offset:16696
	s_waitcnt lgkmcnt(0)
	v_fma_f64 v[10:11], v[31:32], v[33:34], v[10:11]
.LBB128_742:
	s_or_b64 exec, exec, s[0:1]
	v_xor_b32_e32 v11, 0x80000000, v11
.LBB128_743:
	s_or_b64 exec, exec, s[14:15]
	s_and_saveexec_b64 s[0:1], s[60:61]
; %bb.744:
	ds_write_b64 v23, v[10:11]
; %bb.745:
	s_or_b64 exec, exec, s[0:1]
	s_waitcnt lgkmcnt(0)
	s_barrier
	s_and_saveexec_b64 s[0:1], s[62:63]
	s_cbranch_execz .LBB128_747
; %bb.746:
	ds_read_b64 v[31:32], v22 offset:20800
	ds_read_b64 v[33:34], v23
	s_waitcnt lgkmcnt(0)
	v_fma_f64 v[10:11], v[31:32], v[33:34], v[10:11]
.LBB128_747:
	s_or_b64 exec, exec, s[0:1]
	s_barrier
	s_and_saveexec_b64 s[0:1], s[64:65]
; %bb.748:
	ds_write_b64 v23, v[10:11]
; %bb.749:
	s_or_b64 exec, exec, s[0:1]
	s_waitcnt lgkmcnt(0)
	s_barrier
	s_and_saveexec_b64 s[0:1], s[66:67]
	s_cbranch_execz .LBB128_751
; %bb.750:
	ds_read_b64 v[31:32], v22 offset:21312
	ds_read_b64 v[33:34], v23
	s_waitcnt lgkmcnt(0)
	v_fma_f64 v[10:11], v[31:32], v[33:34], v[10:11]
.LBB128_751:
	s_or_b64 exec, exec, s[0:1]
	s_barrier
	;; [unrolled: 17-line block ×6, first 2 shown]
	s_and_saveexec_b64 s[0:1], s[86:87]
; %bb.768:
	ds_write_b64 v23, v[10:11]
; %bb.769:
	s_or_b64 exec, exec, s[0:1]
	s_waitcnt lgkmcnt(0)
	s_barrier
	s_and_saveexec_b64 s[0:1], s[70:71]
	s_cbranch_execz .LBB128_771
; %bb.770:
	v_mov_b32_e32 v31, 0
	ds_read_b64 v[31:32], v31 offset:23928
	ds_read_b64 v[33:34], v23
	s_waitcnt lgkmcnt(0)
	v_fma_f64 v[10:11], v[31:32], v[33:34], v[10:11]
.LBB128_771:
	s_or_b64 exec, exec, s[0:1]
	s_barrier
	s_and_saveexec_b64 s[0:1], s[70:71]
; %bb.772:
	ds_write_b64 v23, v[10:11]
; %bb.773:
	s_or_b64 exec, exec, s[0:1]
	s_waitcnt lgkmcnt(0)
	s_barrier
	s_barrier
	s_and_saveexec_b64 s[0:1], s[8:9]
; %bb.774:
	v_xor_b32_e32 v11, 0x80000000, v11
	ds_write_b64 v21, v[10:11] offset:16704
; %bb.775:
	s_or_b64 exec, exec, s[0:1]
	s_waitcnt lgkmcnt(0)
	s_barrier
	s_barrier
	s_and_saveexec_b64 s[12:13], s[88:89]
	s_cbranch_execz .LBB128_777
; %bb.776:
	v_lshlrev_b32_e32 v31, 9, v0
	ds_read_b64 v[10:11], v31 offset:16704
	s_movk_i32 s0, 0xfe08
	v_mad_i32_i24 v32, v0, s0, v31
	s_waitcnt lgkmcnt(0)
	ds_write_b64 v32, v[10:11] offset:20736
	ds_read_b64 v[10:11], v31 offset:16712
	s_waitcnt lgkmcnt(0)
	ds_write_b64 v32, v[10:11] offset:21248
	ds_read_b64 v[10:11], v31 offset:16720
	;; [unrolled: 3-line block ×7, first 2 shown]
	s_waitcnt lgkmcnt(0)
	ds_write_b64 v32, v[10:11] offset:24320
.LBB128_777:
	s_or_b64 exec, exec, s[12:13]
	s_waitcnt lgkmcnt(0)
	s_barrier
	s_and_saveexec_b64 s[12:13], vcc
	s_cbranch_execz .LBB128_779
; %bb.778:
	v_mov_b32_e32 v33, 0
	ds_read_b64 v[31:32], v33 offset:20808
	v_mov_b32_e32 v34, 0x3ff00000
	ds_write_b64 v33, v[33:34] offset:20800
	s_waitcnt lgkmcnt(1)
	ds_write_b128 v33, v[31:34] offset:21312
.LBB128_779:
	s_or_b64 exec, exec, s[12:13]
	v_mov_b32_e32 v10, 0
	v_mov_b32_e32 v11, 0
	s_waitcnt lgkmcnt(0)
	s_barrier
	s_and_saveexec_b64 s[14:15], s[2:3]
	s_cbranch_execz .LBB128_783
; %bb.780:
	v_mul_u32_u24_e32 v31, 0x208, v15
	ds_read_b64 v[10:11], v12 offset:20816
	ds_read_b64 v[31:32], v31 offset:20800
	v_cmp_gt_u32_e64 s[12:13], 2, v14
	s_waitcnt lgkmcnt(0)
	v_fma_f64 v[10:11], v[10:11], v[31:32], 0
	s_and_saveexec_b64 s[16:17], s[12:13]
	s_cbranch_execz .LBB128_782
; %bb.781:
	v_lshlrev_b32_e32 v31, 3, v0
	v_mov_b32_e32 v33, 0
	ds_read_b64 v[31:32], v31 offset:21328
	ds_read_b64 v[33:34], v33 offset:20808
	s_waitcnt lgkmcnt(0)
	v_fma_f64 v[10:11], v[31:32], v[33:34], v[10:11]
.LBB128_782:
	s_or_b64 exec, exec, s[16:17]
	v_xor_b32_e32 v11, 0x80000000, v11
.LBB128_783:
	s_or_b64 exec, exec, s[14:15]
	s_and_saveexec_b64 s[0:1], s[42:43]
; %bb.784:
	ds_write_b64 v13, v[10:11]
; %bb.785:
	s_or_b64 exec, exec, s[0:1]
	s_waitcnt lgkmcnt(0)
	s_barrier
	s_and_saveexec_b64 s[0:1], s[40:41]
	s_cbranch_execz .LBB128_787
; %bb.786:
	v_mov_b32_e32 v31, 0
	ds_read_b64 v[31:32], v31 offset:21848
	ds_read_b64 v[33:34], v13
	s_waitcnt lgkmcnt(0)
	v_fma_f64 v[10:11], v[31:32], v[33:34], v[10:11]
.LBB128_787:
	s_or_b64 exec, exec, s[0:1]
	s_barrier
	s_and_saveexec_b64 s[0:1], s[40:41]
; %bb.788:
	ds_write_b64 v13, v[10:11]
; %bb.789:
	s_or_b64 exec, exec, s[0:1]
	s_waitcnt lgkmcnt(0)
	s_barrier
	s_barrier
	s_and_saveexec_b64 s[0:1], s[2:3]
; %bb.790:
	v_xor_b32_e32 v11, 0x80000000, v11
	ds_write_b64 v12, v[10:11] offset:20816
; %bb.791:
	s_or_b64 exec, exec, s[0:1]
	s_waitcnt lgkmcnt(0)
	s_barrier
	s_barrier
	s_and_saveexec_b64 s[0:1], s[44:45]
	s_cbranch_execz .LBB128_793
; %bb.792:
	v_lshlrev_b32_e32 v31, 3, v0
	s_movk_i32 s12, 0x1f8
	v_mad_u32_u24 v32, v0, s12, v31
	ds_read_b64 v[10:11], v32 offset:20816
	s_waitcnt lgkmcnt(0)
	ds_write_b64 v31, v[10:11] offset:21824
	ds_read_b64 v[10:11], v32 offset:20824
	s_waitcnt lgkmcnt(0)
	ds_write_b64 v31, v[10:11] offset:22336
.LBB128_793:
	s_or_b64 exec, exec, s[0:1]
	s_waitcnt lgkmcnt(0)
	s_barrier
	s_and_saveexec_b64 s[12:13], vcc
	s_cbranch_execz .LBB128_795
; %bb.794:
	v_mov_b32_e32 v33, 0
	ds_read_b64 v[31:32], v33 offset:21848
	v_mov_b32_e32 v34, 0x3ff00000
	ds_write_b64 v33, v[33:34] offset:21840
	s_waitcnt lgkmcnt(1)
	ds_write_b128 v33, v[31:34] offset:22352
.LBB128_795:
	s_or_b64 exec, exec, s[12:13]
	v_mov_b32_e32 v10, 0
	v_mov_b32_e32 v11, 0
	s_waitcnt lgkmcnt(0)
	s_barrier
	s_and_saveexec_b64 s[14:15], s[18:19]
	s_cbranch_execz .LBB128_801
; %bb.796:
	v_mul_u32_u24_e32 v31, 0x208, v20
	ds_read_b64 v[10:11], v16 offset:20832
	ds_read_b64 v[32:33], v31 offset:20800
	v_cmp_gt_u32_e64 s[12:13], 12, v14
	s_waitcnt lgkmcnt(0)
	v_fma_f64 v[10:11], v[10:11], v[32:33], 0
	s_and_saveexec_b64 s[16:17], s[12:13]
	s_cbranch_execnz .LBB128_1204
; %bb.797:
	s_or_b64 exec, exec, s[16:17]
	v_cmp_gt_u32_e64 s[12:13], 8, v14
	s_and_saveexec_b64 s[0:1], s[12:13]
	s_cbranch_execnz .LBB128_1205
.LBB128_798:
	s_or_b64 exec, exec, s[0:1]
	v_cmp_gt_u32_e64 s[12:13], 4, v14
	s_and_saveexec_b64 s[0:1], s[12:13]
	s_cbranch_execz .LBB128_800
.LBB128_799:
	v_lshlrev_b32_e32 v31, 3, v0
	v_mov_b32_e32 v33, 0
	ds_read_b64 v[31:32], v31 offset:22368
	ds_read_b64 v[33:34], v33 offset:20824
	s_waitcnt lgkmcnt(0)
	v_fma_f64 v[10:11], v[31:32], v[33:34], v[10:11]
.LBB128_800:
	s_or_b64 exec, exec, s[0:1]
	v_xor_b32_e32 v11, 0x80000000, v11
.LBB128_801:
	s_or_b64 exec, exec, s[14:15]
	s_and_saveexec_b64 s[0:1], s[48:49]
; %bb.802:
	ds_write_b64 v18, v[10:11]
; %bb.803:
	s_or_b64 exec, exec, s[0:1]
	s_waitcnt lgkmcnt(0)
	s_barrier
	s_and_saveexec_b64 s[0:1], s[50:51]
	s_cbranch_execz .LBB128_805
; %bb.804:
	ds_read_b64 v[31:32], v17 offset:22880
	ds_read_b64 v[33:34], v18
	s_waitcnt lgkmcnt(0)
	v_fma_f64 v[10:11], v[31:32], v[33:34], v[10:11]
.LBB128_805:
	s_or_b64 exec, exec, s[0:1]
	s_barrier
	s_and_saveexec_b64 s[0:1], s[52:53]
; %bb.806:
	ds_write_b64 v18, v[10:11]
; %bb.807:
	s_or_b64 exec, exec, s[0:1]
	s_waitcnt lgkmcnt(0)
	s_barrier
	s_and_saveexec_b64 s[0:1], s[54:55]
	s_cbranch_execz .LBB128_809
; %bb.808:
	ds_read_b64 v[31:32], v17 offset:23392
	ds_read_b64 v[33:34], v18
	s_waitcnt lgkmcnt(0)
	v_fma_f64 v[10:11], v[31:32], v[33:34], v[10:11]
.LBB128_809:
	s_or_b64 exec, exec, s[0:1]
	s_barrier
	s_and_saveexec_b64 s[0:1], s[56:57]
; %bb.810:
	ds_write_b64 v18, v[10:11]
; %bb.811:
	s_or_b64 exec, exec, s[0:1]
	s_waitcnt lgkmcnt(0)
	s_barrier
	s_and_saveexec_b64 s[0:1], s[46:47]
	s_cbranch_execz .LBB128_813
; %bb.812:
	v_mov_b32_e32 v31, 0
	ds_read_b64 v[31:32], v31 offset:23928
	ds_read_b64 v[33:34], v18
	s_waitcnt lgkmcnt(0)
	v_fma_f64 v[10:11], v[31:32], v[33:34], v[10:11]
.LBB128_813:
	s_or_b64 exec, exec, s[0:1]
	s_barrier
	s_and_saveexec_b64 s[0:1], s[46:47]
; %bb.814:
	ds_write_b64 v18, v[10:11]
; %bb.815:
	s_or_b64 exec, exec, s[0:1]
	s_waitcnt lgkmcnt(0)
	s_barrier
	s_barrier
	s_and_saveexec_b64 s[0:1], s[18:19]
; %bb.816:
	v_xor_b32_e32 v11, 0x80000000, v11
	ds_write_b64 v16, v[10:11] offset:20832
; %bb.817:
	s_or_b64 exec, exec, s[0:1]
	s_waitcnt lgkmcnt(0)
	s_barrier
	s_barrier
	s_and_saveexec_b64 s[12:13], s[58:59]
	s_cbranch_execz .LBB128_819
; %bb.818:
	v_lshlrev_b32_e32 v31, 9, v0
	ds_read_b64 v[10:11], v31 offset:20832
	s_movk_i32 s0, 0xfe08
	v_mad_i32_i24 v32, v0, s0, v31
	s_waitcnt lgkmcnt(0)
	ds_write_b64 v32, v[10:11] offset:22848
	ds_read_b64 v[10:11], v31 offset:20840
	s_waitcnt lgkmcnt(0)
	ds_write_b64 v32, v[10:11] offset:23360
	ds_read_b64 v[10:11], v31 offset:20848
	;; [unrolled: 3-line block ×3, first 2 shown]
	s_waitcnt lgkmcnt(0)
	ds_write_b64 v32, v[10:11] offset:24384
.LBB128_819:
	s_or_b64 exec, exec, s[12:13]
	s_waitcnt lgkmcnt(0)
	s_barrier
	s_and_saveexec_b64 s[12:13], vcc
	s_cbranch_execz .LBB128_821
; %bb.820:
	v_mov_b32_e32 v33, 0
	ds_read_b64 v[31:32], v33 offset:22888
	v_mov_b32_e32 v34, 0x3ff00000
	ds_write_b64 v33, v[33:34] offset:22880
	s_waitcnt lgkmcnt(1)
	ds_write_b128 v33, v[31:34] offset:23392
.LBB128_821:
	s_or_b64 exec, exec, s[12:13]
	v_mov_b32_e32 v10, 0
	v_mov_b32_e32 v11, 0
	s_waitcnt lgkmcnt(0)
	s_barrier
	s_and_saveexec_b64 s[14:15], s[2:3]
	s_cbranch_execz .LBB128_825
; %bb.822:
	v_mul_u32_u24_e32 v31, 0x208, v15
	ds_read_b64 v[10:11], v12 offset:22896
	ds_read_b64 v[31:32], v31 offset:22880
	v_cmp_gt_u32_e64 s[12:13], 2, v14
	s_waitcnt lgkmcnt(0)
	v_fma_f64 v[10:11], v[10:11], v[31:32], 0
	s_and_saveexec_b64 s[16:17], s[12:13]
	s_cbranch_execz .LBB128_824
; %bb.823:
	v_lshlrev_b32_e32 v31, 3, v0
	v_mov_b32_e32 v33, 0
	ds_read_b64 v[31:32], v31 offset:23408
	ds_read_b64 v[33:34], v33 offset:22888
	s_waitcnt lgkmcnt(0)
	v_fma_f64 v[10:11], v[31:32], v[33:34], v[10:11]
.LBB128_824:
	s_or_b64 exec, exec, s[16:17]
	v_xor_b32_e32 v11, 0x80000000, v11
.LBB128_825:
	s_or_b64 exec, exec, s[14:15]
	s_and_saveexec_b64 s[0:1], s[42:43]
; %bb.826:
	ds_write_b64 v13, v[10:11]
; %bb.827:
	s_or_b64 exec, exec, s[0:1]
	s_waitcnt lgkmcnt(0)
	s_barrier
	s_and_saveexec_b64 s[0:1], s[40:41]
	s_cbranch_execz .LBB128_829
; %bb.828:
	v_mov_b32_e32 v31, 0
	ds_read_b64 v[31:32], v31 offset:23928
	ds_read_b64 v[33:34], v13
	s_waitcnt lgkmcnt(0)
	v_fma_f64 v[10:11], v[31:32], v[33:34], v[10:11]
.LBB128_829:
	s_or_b64 exec, exec, s[0:1]
	s_barrier
	s_and_saveexec_b64 s[0:1], s[40:41]
; %bb.830:
	ds_write_b64 v13, v[10:11]
; %bb.831:
	s_or_b64 exec, exec, s[0:1]
	s_waitcnt lgkmcnt(0)
	s_barrier
	s_barrier
	s_and_saveexec_b64 s[0:1], s[2:3]
; %bb.832:
	v_xor_b32_e32 v11, 0x80000000, v11
	ds_write_b64 v12, v[10:11] offset:22896
; %bb.833:
	s_or_b64 exec, exec, s[0:1]
	s_waitcnt lgkmcnt(0)
	s_barrier
	s_barrier
	s_and_saveexec_b64 s[0:1], s[44:45]
	s_cbranch_execz .LBB128_835
; %bb.834:
	v_lshlrev_b32_e32 v31, 3, v0
	s_movk_i32 s12, 0x1f8
	v_mad_u32_u24 v32, v0, s12, v31
	ds_read_b64 v[10:11], v32 offset:22896
	s_waitcnt lgkmcnt(0)
	ds_write_b64 v31, v[10:11] offset:23904
	ds_read_b64 v[10:11], v32 offset:22904
	s_waitcnt lgkmcnt(0)
	ds_write_b64 v31, v[10:11] offset:24416
.LBB128_835:
	s_or_b64 exec, exec, s[0:1]
	s_waitcnt lgkmcnt(0)
	s_barrier
	s_and_saveexec_b64 s[12:13], vcc
	s_cbranch_execz .LBB128_837
; %bb.836:
	v_mov_b32_e32 v33, 0
	ds_read_b64 v[31:32], v33 offset:23928
	v_mov_b32_e32 v34, 0x3ff00000
	ds_write_b64 v33, v[33:34] offset:23920
	s_waitcnt lgkmcnt(1)
	ds_write_b128 v33, v[31:34] offset:24432
.LBB128_837:
	s_or_b64 exec, exec, s[12:13]
	v_mov_b32_e32 v10, 0
	v_mov_b32_e32 v11, 0
	s_waitcnt lgkmcnt(0)
	s_barrier
	s_and_saveexec_b64 s[14:15], s[10:11]
	s_cbranch_execz .LBB128_865
; %bb.838:
	v_mul_u32_u24_e32 v31, 0x208, v30
	ds_read_b64 v[10:11], v26 offset:16768
	ds_read_b64 v[32:33], v31 offset:16640
	s_movk_i32 s0, 0xf0
	v_cmp_gt_u32_e64 s[12:13], s0, v14
	s_waitcnt lgkmcnt(0)
	v_fma_f64 v[10:11], v[10:11], v[32:33], 0
	s_and_saveexec_b64 s[16:17], s[12:13]
	s_cbranch_execz .LBB128_840
; %bb.839:
	v_lshlrev_b32_e32 v32, 3, v30
	v_sub_u32_e32 v32, v31, v32
	v_lshl_add_u32 v32, v27, 3, v32
	ds_read_b64 v[32:33], v32 offset:17280
	ds_read_b64 v[34:35], v31 offset:16648
	s_waitcnt lgkmcnt(0)
	v_fma_f64 v[10:11], v[32:33], v[34:35], v[10:11]
.LBB128_840:
	s_or_b64 exec, exec, s[16:17]
	s_movk_i32 s0, 0xe0
	v_cmp_gt_u32_e64 s[12:13], s0, v14
	s_and_saveexec_b64 s[0:1], s[12:13]
	s_cbranch_execz .LBB128_842
; %bb.841:
	v_lshlrev_b32_e32 v32, 3, v30
	v_sub_u32_e32 v32, v31, v32
	v_lshl_add_u32 v32, v27, 3, v32
	ds_read_b64 v[32:33], v32 offset:17792
	ds_read_b64 v[34:35], v31 offset:16656
	s_waitcnt lgkmcnt(0)
	v_fma_f64 v[10:11], v[32:33], v[34:35], v[10:11]
.LBB128_842:
	s_or_b64 exec, exec, s[0:1]
	s_movk_i32 s0, 0xd0
	v_cmp_gt_u32_e64 s[12:13], s0, v14
	;; [unrolled: 14-line block ×7, first 2 shown]
	s_and_saveexec_b64 s[0:1], s[12:13]
	s_cbranch_execz .LBB128_854
; %bb.853:
	ds_read_b64 v[32:33], v26 offset:20864
	ds_read_b64 v[34:35], v31 offset:16704
	s_waitcnt lgkmcnt(0)
	v_fma_f64 v[10:11], v[32:33], v[34:35], v[10:11]
.LBB128_854:
	s_or_b64 exec, exec, s[0:1]
	s_movk_i32 s0, 0x70
	v_cmp_gt_u32_e64 s[12:13], s0, v14
	s_and_saveexec_b64 s[0:1], s[12:13]
	s_cbranch_execz .LBB128_856
; %bb.855:
	v_lshlrev_b32_e32 v30, 3, v27
	v_lshl_add_u32 v30, v29, 3, v30
	ds_read_b64 v[32:33], v30 offset:21376
	ds_read_b64 v[34:35], v31 offset:16712
	s_waitcnt lgkmcnt(0)
	v_fma_f64 v[10:11], v[32:33], v[34:35], v[10:11]
.LBB128_856:
	s_or_b64 exec, exec, s[0:1]
	s_movk_i32 s0, 0x60
	v_cmp_gt_u32_e64 s[12:13], s0, v14
	s_and_saveexec_b64 s[0:1], s[12:13]
	s_cbranch_execz .LBB128_858
; %bb.857:
	v_lshlrev_b32_e32 v30, 3, v27
	v_lshl_add_u32 v30, v29, 3, v30
	ds_read_b64 v[32:33], v30 offset:21888
	ds_read_b64 v[34:35], v31 offset:16720
	s_waitcnt lgkmcnt(0)
	v_fma_f64 v[10:11], v[32:33], v[34:35], v[10:11]
.LBB128_858:
	s_or_b64 exec, exec, s[0:1]
	s_movk_i32 s0, 0x50
	v_cmp_gt_u32_e64 s[12:13], s0, v14
	s_and_saveexec_b64 s[0:1], s[12:13]
	s_cbranch_execnz .LBB128_1206
; %bb.859:
	s_or_b64 exec, exec, s[0:1]
	v_cmp_gt_u32_e64 s[12:13], 64, v14
	s_and_saveexec_b64 s[0:1], s[12:13]
	s_cbranch_execnz .LBB128_1207
.LBB128_860:
	s_or_b64 exec, exec, s[0:1]
	v_cmp_gt_u32_e64 s[12:13], 48, v14
	s_and_saveexec_b64 s[0:1], s[12:13]
	s_cbranch_execnz .LBB128_1208
.LBB128_861:
	s_or_b64 exec, exec, s[0:1]
	v_cmp_gt_u32_e64 s[12:13], 32, v14
	s_and_saveexec_b64 s[0:1], s[12:13]
	s_cbranch_execnz .LBB128_1209
.LBB128_862:
	s_or_b64 exec, exec, s[0:1]
	v_cmp_gt_u32_e64 s[12:13], 16, v14
	s_and_saveexec_b64 s[0:1], s[12:13]
	s_cbranch_execz .LBB128_864
.LBB128_863:
	v_lshlrev_b32_e32 v29, 3, v0
	v_mov_b32_e32 v31, 0
	ds_read_b64 v[29:30], v29 offset:24448
	ds_read_b64 v[31:32], v31 offset:16760
	s_waitcnt lgkmcnt(0)
	v_fma_f64 v[10:11], v[29:30], v[31:32], v[10:11]
.LBB128_864:
	s_or_b64 exec, exec, s[0:1]
	v_xor_b32_e32 v11, 0x80000000, v11
.LBB128_865:
	s_or_b64 exec, exec, s[14:15]
	s_mov_b64 s[0:1], exec
	v_readlane_b32 s12, v40, 4
	v_readlane_b32 s13, v40, 5
	s_and_b64 s[12:13], s[0:1], s[12:13]
	s_mov_b64 exec, s[12:13]
; %bb.866:
	ds_write_b64 v28, v[10:11]
; %bb.867:
	s_or_b64 exec, exec, s[0:1]
	s_waitcnt lgkmcnt(0)
	s_barrier
	s_mov_b64 s[0:1], exec
	v_readlane_b32 s12, v40, 6
	v_readlane_b32 s13, v40, 7
	s_and_b64 s[12:13], s[0:1], s[12:13]
	s_mov_b64 exec, s[12:13]
	s_cbranch_execz .LBB128_869
; %bb.868:
	v_lshlrev_b32_e32 v29, 3, v27
	ds_read_b64 v[29:30], v29 offset:24960
	ds_read_b64 v[31:32], v28
	s_waitcnt lgkmcnt(0)
	v_fma_f64 v[10:11], v[29:30], v[31:32], v[10:11]
.LBB128_869:
	s_or_b64 exec, exec, s[0:1]
	s_barrier
	s_mov_b64 s[0:1], exec
	v_readlane_b32 s12, v40, 8
	v_readlane_b32 s13, v40, 9
	s_and_b64 s[12:13], s[0:1], s[12:13]
	s_mov_b64 exec, s[12:13]
; %bb.870:
	ds_write_b64 v28, v[10:11]
; %bb.871:
	s_or_b64 exec, exec, s[0:1]
	s_waitcnt lgkmcnt(0)
	s_barrier
	s_mov_b64 s[0:1], exec
	v_readlane_b32 s12, v40, 10
	v_readlane_b32 s13, v40, 11
	s_and_b64 s[12:13], s[0:1], s[12:13]
	s_mov_b64 exec, s[12:13]
	s_cbranch_execz .LBB128_873
; %bb.872:
	v_lshlrev_b32_e32 v29, 3, v27
	ds_read_b64 v[29:30], v29 offset:25472
	ds_read_b64 v[31:32], v28
	s_waitcnt lgkmcnt(0)
	v_fma_f64 v[10:11], v[29:30], v[31:32], v[10:11]
.LBB128_873:
	s_or_b64 exec, exec, s[0:1]
	s_barrier
	;; [unrolled: 26-line block ×14, first 2 shown]
	s_mov_b64 s[0:1], exec
	v_readlane_b32 s12, v40, 60
	v_readlane_b32 s13, v40, 61
	s_and_b64 s[12:13], s[0:1], s[12:13]
	s_mov_b64 exec, s[12:13]
; %bb.922:
	ds_write_b64 v28, v[10:11]
; %bb.923:
	s_or_b64 exec, exec, s[0:1]
	s_waitcnt lgkmcnt(0)
	s_barrier
	s_and_saveexec_b64 s[0:1], s[92:93]
	s_cbranch_execz .LBB128_925
; %bb.924:
	v_mov_b32_e32 v27, 0
	ds_read_b64 v[29:30], v27 offset:32248
	ds_read_b64 v[31:32], v28
	s_waitcnt lgkmcnt(0)
	v_fma_f64 v[10:11], v[29:30], v[31:32], v[10:11]
.LBB128_925:
	s_or_b64 exec, exec, s[0:1]
	s_barrier
	s_and_saveexec_b64 s[0:1], s[92:93]
; %bb.926:
	ds_write_b64 v28, v[10:11]
; %bb.927:
	s_or_b64 exec, exec, s[0:1]
	s_waitcnt lgkmcnt(0)
	s_barrier
	s_barrier
	s_and_saveexec_b64 s[0:1], s[10:11]
; %bb.928:
	v_xor_b32_e32 v11, 0x80000000, v11
	ds_write_b64 v26, v[10:11] offset:16768
; %bb.929:
	s_or_b64 exec, exec, s[0:1]
	s_waitcnt lgkmcnt(0)
	s_barrier
	s_barrier
	s_mov_b64 s[0:1], exec
	v_readlane_b32 s10, v40, 62
	v_readlane_b32 s11, v40, 63
	s_and_b64 s[10:11], s[0:1], s[10:11]
	s_mov_b64 exec, s[10:11]
	s_cbranch_execz .LBB128_931
; %bb.930:
	v_lshlrev_b32_e32 v26, 9, v0
	ds_read_b64 v[10:11], v26 offset:16768
	s_movk_i32 s10, 0xfe08
	v_mad_i32_i24 v27, v0, s10, v26
	s_waitcnt lgkmcnt(0)
	ds_write_b64 v27, v[10:11] offset:24832
	ds_read_b64 v[10:11], v26 offset:16776
	s_waitcnt lgkmcnt(0)
	ds_write_b64 v27, v[10:11] offset:25344
	ds_read_b64 v[10:11], v26 offset:16784
	;; [unrolled: 3-line block ×15, first 2 shown]
	s_waitcnt lgkmcnt(0)
	ds_write_b64 v27, v[10:11] offset:32512
.LBB128_931:
	s_or_b64 exec, exec, s[0:1]
	s_waitcnt lgkmcnt(0)
	s_barrier
	s_and_saveexec_b64 s[0:1], vcc
	s_cbranch_execz .LBB128_933
; %bb.932:
	v_mov_b32_e32 v28, 0
	ds_read_b64 v[26:27], v28 offset:24968
	v_mov_b32_e32 v29, 0x3ff00000
	ds_write_b64 v28, v[28:29] offset:24960
	s_waitcnt lgkmcnt(1)
	ds_write_b128 v28, v[26:29] offset:25472
.LBB128_933:
	s_or_b64 exec, exec, s[0:1]
	v_mov_b32_e32 v10, 0
	v_mov_b32_e32 v11, 0
	s_waitcnt lgkmcnt(0)
	s_barrier
	s_and_saveexec_b64 s[0:1], s[2:3]
	s_cbranch_execz .LBB128_937
; %bb.934:
	v_mul_u32_u24_e32 v26, 0x208, v15
	ds_read_b64 v[10:11], v12 offset:24976
	ds_read_b64 v[26:27], v26 offset:24960
	v_cmp_gt_u32_e64 s[10:11], 2, v14
	s_waitcnt lgkmcnt(0)
	v_fma_f64 v[10:11], v[10:11], v[26:27], 0
	s_and_saveexec_b64 s[12:13], s[10:11]
	s_cbranch_execz .LBB128_936
; %bb.935:
	v_lshlrev_b32_e32 v26, 3, v0
	v_mov_b32_e32 v28, 0
	ds_read_b64 v[26:27], v26 offset:25488
	ds_read_b64 v[28:29], v28 offset:24968
	s_waitcnt lgkmcnt(0)
	v_fma_f64 v[10:11], v[26:27], v[28:29], v[10:11]
.LBB128_936:
	s_or_b64 exec, exec, s[12:13]
	v_xor_b32_e32 v11, 0x80000000, v11
.LBB128_937:
	s_or_b64 exec, exec, s[0:1]
	s_and_saveexec_b64 s[0:1], s[42:43]
; %bb.938:
	ds_write_b64 v13, v[10:11]
; %bb.939:
	s_or_b64 exec, exec, s[0:1]
	s_waitcnt lgkmcnt(0)
	s_barrier
	s_and_saveexec_b64 s[0:1], s[40:41]
	s_cbranch_execz .LBB128_941
; %bb.940:
	v_mov_b32_e32 v26, 0
	ds_read_b64 v[26:27], v26 offset:26008
	ds_read_b64 v[28:29], v13
	s_waitcnt lgkmcnt(0)
	v_fma_f64 v[10:11], v[26:27], v[28:29], v[10:11]
.LBB128_941:
	s_or_b64 exec, exec, s[0:1]
	s_barrier
	s_and_saveexec_b64 s[0:1], s[40:41]
; %bb.942:
	ds_write_b64 v13, v[10:11]
; %bb.943:
	s_or_b64 exec, exec, s[0:1]
	s_waitcnt lgkmcnt(0)
	s_barrier
	s_barrier
	s_and_saveexec_b64 s[0:1], s[2:3]
; %bb.944:
	v_xor_b32_e32 v11, 0x80000000, v11
	ds_write_b64 v12, v[10:11] offset:24976
; %bb.945:
	s_or_b64 exec, exec, s[0:1]
	s_waitcnt lgkmcnt(0)
	s_barrier
	s_barrier
	s_and_saveexec_b64 s[0:1], s[44:45]
	s_cbranch_execz .LBB128_947
; %bb.946:
	v_lshlrev_b32_e32 v26, 3, v0
	s_movk_i32 s10, 0x1f8
	v_mad_u32_u24 v27, v0, s10, v26
	ds_read_b64 v[10:11], v27 offset:24976
	s_waitcnt lgkmcnt(0)
	ds_write_b64 v26, v[10:11] offset:25984
	ds_read_b64 v[10:11], v27 offset:24984
	s_waitcnt lgkmcnt(0)
	ds_write_b64 v26, v[10:11] offset:26496
.LBB128_947:
	s_or_b64 exec, exec, s[0:1]
	s_waitcnt lgkmcnt(0)
	s_barrier
	s_and_saveexec_b64 s[0:1], vcc
	s_cbranch_execz .LBB128_949
; %bb.948:
	v_mov_b32_e32 v28, 0
	ds_read_b64 v[26:27], v28 offset:26008
	v_mov_b32_e32 v29, 0x3ff00000
	ds_write_b64 v28, v[28:29] offset:26000
	s_waitcnt lgkmcnt(1)
	ds_write_b128 v28, v[26:29] offset:26512
.LBB128_949:
	s_or_b64 exec, exec, s[0:1]
	v_mov_b32_e32 v10, 0
	v_mov_b32_e32 v11, 0
	s_waitcnt lgkmcnt(0)
	s_barrier
	s_and_saveexec_b64 s[0:1], s[18:19]
	s_cbranch_execz .LBB128_955
; %bb.950:
	v_mul_u32_u24_e32 v26, 0x208, v20
	ds_read_b64 v[10:11], v16 offset:24992
	ds_read_b64 v[27:28], v26 offset:24960
	v_cmp_gt_u32_e64 s[10:11], 12, v14
	s_waitcnt lgkmcnt(0)
	v_fma_f64 v[10:11], v[10:11], v[27:28], 0
	s_and_saveexec_b64 s[12:13], s[10:11]
	s_cbranch_execnz .LBB128_1210
; %bb.951:
	s_or_b64 exec, exec, s[12:13]
	v_cmp_gt_u32_e64 s[10:11], 8, v14
	s_and_saveexec_b64 s[12:13], s[10:11]
	s_cbranch_execnz .LBB128_1211
.LBB128_952:
	s_or_b64 exec, exec, s[12:13]
	v_cmp_gt_u32_e64 s[10:11], 4, v14
	s_and_saveexec_b64 s[12:13], s[10:11]
	s_cbranch_execz .LBB128_954
.LBB128_953:
	v_lshlrev_b32_e32 v26, 3, v0
	v_mov_b32_e32 v28, 0
	ds_read_b64 v[26:27], v26 offset:26528
	ds_read_b64 v[28:29], v28 offset:24984
	s_waitcnt lgkmcnt(0)
	v_fma_f64 v[10:11], v[26:27], v[28:29], v[10:11]
.LBB128_954:
	s_or_b64 exec, exec, s[12:13]
	v_xor_b32_e32 v11, 0x80000000, v11
.LBB128_955:
	s_or_b64 exec, exec, s[0:1]
	s_and_saveexec_b64 s[0:1], s[48:49]
; %bb.956:
	ds_write_b64 v18, v[10:11]
; %bb.957:
	s_or_b64 exec, exec, s[0:1]
	s_waitcnt lgkmcnt(0)
	s_barrier
	s_and_saveexec_b64 s[0:1], s[50:51]
	s_cbranch_execz .LBB128_959
; %bb.958:
	ds_read_b64 v[26:27], v17 offset:27040
	ds_read_b64 v[28:29], v18
	s_waitcnt lgkmcnt(0)
	v_fma_f64 v[10:11], v[26:27], v[28:29], v[10:11]
.LBB128_959:
	s_or_b64 exec, exec, s[0:1]
	s_barrier
	s_and_saveexec_b64 s[0:1], s[52:53]
; %bb.960:
	ds_write_b64 v18, v[10:11]
; %bb.961:
	s_or_b64 exec, exec, s[0:1]
	s_waitcnt lgkmcnt(0)
	s_barrier
	s_and_saveexec_b64 s[0:1], s[54:55]
	s_cbranch_execz .LBB128_963
; %bb.962:
	ds_read_b64 v[26:27], v17 offset:27552
	ds_read_b64 v[28:29], v18
	s_waitcnt lgkmcnt(0)
	v_fma_f64 v[10:11], v[26:27], v[28:29], v[10:11]
.LBB128_963:
	s_or_b64 exec, exec, s[0:1]
	s_barrier
	s_and_saveexec_b64 s[0:1], s[56:57]
; %bb.964:
	ds_write_b64 v18, v[10:11]
; %bb.965:
	s_or_b64 exec, exec, s[0:1]
	s_waitcnt lgkmcnt(0)
	s_barrier
	s_and_saveexec_b64 s[0:1], s[46:47]
	s_cbranch_execz .LBB128_967
; %bb.966:
	v_mov_b32_e32 v26, 0
	ds_read_b64 v[26:27], v26 offset:28088
	ds_read_b64 v[28:29], v18
	s_waitcnt lgkmcnt(0)
	v_fma_f64 v[10:11], v[26:27], v[28:29], v[10:11]
.LBB128_967:
	s_or_b64 exec, exec, s[0:1]
	s_barrier
	s_and_saveexec_b64 s[0:1], s[46:47]
; %bb.968:
	ds_write_b64 v18, v[10:11]
; %bb.969:
	s_or_b64 exec, exec, s[0:1]
	s_waitcnt lgkmcnt(0)
	s_barrier
	s_barrier
	s_and_saveexec_b64 s[0:1], s[18:19]
; %bb.970:
	v_xor_b32_e32 v11, 0x80000000, v11
	ds_write_b64 v16, v[10:11] offset:24992
; %bb.971:
	s_or_b64 exec, exec, s[0:1]
	s_waitcnt lgkmcnt(0)
	s_barrier
	s_barrier
	s_and_saveexec_b64 s[0:1], s[58:59]
	s_cbranch_execz .LBB128_973
; %bb.972:
	v_lshlrev_b32_e32 v26, 9, v0
	ds_read_b64 v[10:11], v26 offset:24992
	s_movk_i32 s10, 0xfe08
	v_mad_i32_i24 v27, v0, s10, v26
	s_waitcnt lgkmcnt(0)
	ds_write_b64 v27, v[10:11] offset:27008
	ds_read_b64 v[10:11], v26 offset:25000
	s_waitcnt lgkmcnt(0)
	ds_write_b64 v27, v[10:11] offset:27520
	ds_read_b64 v[10:11], v26 offset:25008
	;; [unrolled: 3-line block ×3, first 2 shown]
	s_waitcnt lgkmcnt(0)
	ds_write_b64 v27, v[10:11] offset:28544
.LBB128_973:
	s_or_b64 exec, exec, s[0:1]
	s_waitcnt lgkmcnt(0)
	s_barrier
	s_and_saveexec_b64 s[0:1], vcc
	s_cbranch_execz .LBB128_975
; %bb.974:
	v_mov_b32_e32 v28, 0
	ds_read_b64 v[26:27], v28 offset:27048
	v_mov_b32_e32 v29, 0x3ff00000
	ds_write_b64 v28, v[28:29] offset:27040
	s_waitcnt lgkmcnt(1)
	ds_write_b128 v28, v[26:29] offset:27552
.LBB128_975:
	s_or_b64 exec, exec, s[0:1]
	v_mov_b32_e32 v10, 0
	v_mov_b32_e32 v11, 0
	s_waitcnt lgkmcnt(0)
	s_barrier
	s_and_saveexec_b64 s[0:1], s[2:3]
	s_cbranch_execz .LBB128_979
; %bb.976:
	v_mul_u32_u24_e32 v26, 0x208, v15
	ds_read_b64 v[10:11], v12 offset:27056
	ds_read_b64 v[26:27], v26 offset:27040
	v_cmp_gt_u32_e64 s[10:11], 2, v14
	s_waitcnt lgkmcnt(0)
	v_fma_f64 v[10:11], v[10:11], v[26:27], 0
	s_and_saveexec_b64 s[12:13], s[10:11]
	s_cbranch_execz .LBB128_978
; %bb.977:
	v_lshlrev_b32_e32 v26, 3, v0
	v_mov_b32_e32 v28, 0
	ds_read_b64 v[26:27], v26 offset:27568
	ds_read_b64 v[28:29], v28 offset:27048
	s_waitcnt lgkmcnt(0)
	v_fma_f64 v[10:11], v[26:27], v[28:29], v[10:11]
.LBB128_978:
	s_or_b64 exec, exec, s[12:13]
	v_xor_b32_e32 v11, 0x80000000, v11
.LBB128_979:
	s_or_b64 exec, exec, s[0:1]
	s_and_saveexec_b64 s[0:1], s[42:43]
; %bb.980:
	ds_write_b64 v13, v[10:11]
; %bb.981:
	s_or_b64 exec, exec, s[0:1]
	s_waitcnt lgkmcnt(0)
	s_barrier
	s_and_saveexec_b64 s[0:1], s[40:41]
	s_cbranch_execz .LBB128_983
; %bb.982:
	v_mov_b32_e32 v26, 0
	ds_read_b64 v[26:27], v26 offset:28088
	ds_read_b64 v[28:29], v13
	s_waitcnt lgkmcnt(0)
	v_fma_f64 v[10:11], v[26:27], v[28:29], v[10:11]
.LBB128_983:
	s_or_b64 exec, exec, s[0:1]
	s_barrier
	s_and_saveexec_b64 s[0:1], s[40:41]
; %bb.984:
	ds_write_b64 v13, v[10:11]
; %bb.985:
	s_or_b64 exec, exec, s[0:1]
	s_waitcnt lgkmcnt(0)
	s_barrier
	s_barrier
	s_and_saveexec_b64 s[0:1], s[2:3]
; %bb.986:
	v_xor_b32_e32 v11, 0x80000000, v11
	ds_write_b64 v12, v[10:11] offset:27056
; %bb.987:
	s_or_b64 exec, exec, s[0:1]
	s_waitcnt lgkmcnt(0)
	s_barrier
	s_barrier
	s_and_saveexec_b64 s[0:1], s[44:45]
	s_cbranch_execz .LBB128_989
; %bb.988:
	v_lshlrev_b32_e32 v26, 3, v0
	s_movk_i32 s10, 0x1f8
	v_mad_u32_u24 v27, v0, s10, v26
	ds_read_b64 v[10:11], v27 offset:27056
	s_waitcnt lgkmcnt(0)
	ds_write_b64 v26, v[10:11] offset:28064
	ds_read_b64 v[10:11], v27 offset:27064
	s_waitcnt lgkmcnt(0)
	ds_write_b64 v26, v[10:11] offset:28576
.LBB128_989:
	s_or_b64 exec, exec, s[0:1]
	s_waitcnt lgkmcnt(0)
	s_barrier
	s_and_saveexec_b64 s[0:1], vcc
	s_cbranch_execz .LBB128_991
; %bb.990:
	v_mov_b32_e32 v28, 0
	ds_read_b64 v[26:27], v28 offset:28088
	v_mov_b32_e32 v29, 0x3ff00000
	ds_write_b64 v28, v[28:29] offset:28080
	s_waitcnt lgkmcnt(1)
	ds_write_b128 v28, v[26:29] offset:28592
.LBB128_991:
	s_or_b64 exec, exec, s[0:1]
	v_mov_b32_e32 v10, 0
	v_mov_b32_e32 v11, 0
	s_waitcnt lgkmcnt(0)
	s_barrier
	s_and_saveexec_b64 s[0:1], s[8:9]
	s_cbranch_execz .LBB128_1001
; %bb.992:
	v_mul_u32_u24_e32 v26, 0x208, v25
	ds_read_b64 v[10:11], v21 offset:25024
	ds_read_b64 v[27:28], v26 offset:24960
	v_cmp_gt_u32_e64 s[10:11], 56, v14
	s_waitcnt lgkmcnt(0)
	v_fma_f64 v[10:11], v[10:11], v[27:28], 0
	s_and_saveexec_b64 s[12:13], s[10:11]
	s_cbranch_execnz .LBB128_1212
; %bb.993:
	s_or_b64 exec, exec, s[12:13]
	v_cmp_gt_u32_e64 s[10:11], 48, v14
	s_and_saveexec_b64 s[12:13], s[10:11]
	s_cbranch_execnz .LBB128_1213
.LBB128_994:
	s_or_b64 exec, exec, s[12:13]
	v_cmp_gt_u32_e64 s[10:11], 40, v14
	s_and_saveexec_b64 s[12:13], s[10:11]
	s_cbranch_execnz .LBB128_1214
.LBB128_995:
	s_or_b64 exec, exec, s[12:13]
	v_cmp_gt_u32_e64 s[10:11], 32, v14
	s_and_saveexec_b64 s[12:13], s[10:11]
	s_cbranch_execnz .LBB128_1215
.LBB128_996:
	s_or_b64 exec, exec, s[12:13]
	v_cmp_gt_u32_e64 s[10:11], 24, v14
	s_and_saveexec_b64 s[12:13], s[10:11]
	s_cbranch_execnz .LBB128_1216
.LBB128_997:
	s_or_b64 exec, exec, s[12:13]
	v_cmp_gt_u32_e64 s[10:11], 16, v14
	s_and_saveexec_b64 s[12:13], s[10:11]
	s_cbranch_execnz .LBB128_1217
.LBB128_998:
	s_or_b64 exec, exec, s[12:13]
	v_cmp_gt_u32_e64 s[10:11], 8, v14
	s_and_saveexec_b64 s[12:13], s[10:11]
	s_cbranch_execz .LBB128_1000
.LBB128_999:
	v_lshlrev_b32_e32 v24, 3, v0
	v_mov_b32_e32 v26, 0
	ds_read_b64 v[24:25], v24 offset:28608
	ds_read_b64 v[26:27], v26 offset:25016
	s_waitcnt lgkmcnt(0)
	v_fma_f64 v[10:11], v[24:25], v[26:27], v[10:11]
.LBB128_1000:
	s_or_b64 exec, exec, s[12:13]
	v_xor_b32_e32 v11, 0x80000000, v11
.LBB128_1001:
	s_or_b64 exec, exec, s[0:1]
	s_and_saveexec_b64 s[0:1], s[60:61]
; %bb.1002:
	ds_write_b64 v23, v[10:11]
; %bb.1003:
	s_or_b64 exec, exec, s[0:1]
	s_waitcnt lgkmcnt(0)
	s_barrier
	s_and_saveexec_b64 s[0:1], s[62:63]
	s_cbranch_execz .LBB128_1005
; %bb.1004:
	ds_read_b64 v[24:25], v22 offset:29120
	ds_read_b64 v[26:27], v23
	s_waitcnt lgkmcnt(0)
	v_fma_f64 v[10:11], v[24:25], v[26:27], v[10:11]
.LBB128_1005:
	s_or_b64 exec, exec, s[0:1]
	s_barrier
	s_and_saveexec_b64 s[0:1], s[64:65]
; %bb.1006:
	ds_write_b64 v23, v[10:11]
; %bb.1007:
	s_or_b64 exec, exec, s[0:1]
	s_waitcnt lgkmcnt(0)
	s_barrier
	s_and_saveexec_b64 s[0:1], s[66:67]
	s_cbranch_execz .LBB128_1009
; %bb.1008:
	ds_read_b64 v[24:25], v22 offset:29632
	ds_read_b64 v[26:27], v23
	s_waitcnt lgkmcnt(0)
	v_fma_f64 v[10:11], v[24:25], v[26:27], v[10:11]
.LBB128_1009:
	s_or_b64 exec, exec, s[0:1]
	s_barrier
	;; [unrolled: 17-line block ×6, first 2 shown]
	s_and_saveexec_b64 s[0:1], s[86:87]
; %bb.1026:
	ds_write_b64 v23, v[10:11]
; %bb.1027:
	s_or_b64 exec, exec, s[0:1]
	s_waitcnt lgkmcnt(0)
	s_barrier
	s_and_saveexec_b64 s[0:1], s[70:71]
	s_cbranch_execz .LBB128_1029
; %bb.1028:
	v_mov_b32_e32 v22, 0
	ds_read_b64 v[24:25], v22 offset:32248
	ds_read_b64 v[26:27], v23
	s_waitcnt lgkmcnt(0)
	v_fma_f64 v[10:11], v[24:25], v[26:27], v[10:11]
.LBB128_1029:
	s_or_b64 exec, exec, s[0:1]
	s_barrier
	s_and_saveexec_b64 s[0:1], s[70:71]
; %bb.1030:
	ds_write_b64 v23, v[10:11]
; %bb.1031:
	s_or_b64 exec, exec, s[0:1]
	s_waitcnt lgkmcnt(0)
	s_barrier
	s_barrier
	s_and_saveexec_b64 s[0:1], s[8:9]
; %bb.1032:
	v_xor_b32_e32 v11, 0x80000000, v11
	ds_write_b64 v21, v[10:11] offset:25024
; %bb.1033:
	s_or_b64 exec, exec, s[0:1]
	s_waitcnt lgkmcnt(0)
	s_barrier
	s_barrier
	s_and_saveexec_b64 s[0:1], s[88:89]
	s_cbranch_execz .LBB128_1035
; %bb.1034:
	v_lshlrev_b32_e32 v21, 9, v0
	ds_read_b64 v[10:11], v21 offset:25024
	s_movk_i32 s8, 0xfe08
	v_mad_i32_i24 v22, v0, s8, v21
	s_waitcnt lgkmcnt(0)
	ds_write_b64 v22, v[10:11] offset:29056
	ds_read_b64 v[10:11], v21 offset:25032
	s_waitcnt lgkmcnt(0)
	ds_write_b64 v22, v[10:11] offset:29568
	ds_read_b64 v[10:11], v21 offset:25040
	s_waitcnt lgkmcnt(0)
	ds_write_b64 v22, v[10:11] offset:30080
	ds_read_b64 v[10:11], v21 offset:25048
	s_waitcnt lgkmcnt(0)
	ds_write_b64 v22, v[10:11] offset:30592
	ds_read_b64 v[10:11], v21 offset:25056
	s_waitcnt lgkmcnt(0)
	ds_write_b64 v22, v[10:11] offset:31104
	ds_read_b64 v[10:11], v21 offset:25064
	s_waitcnt lgkmcnt(0)
	ds_write_b64 v22, v[10:11] offset:31616
	ds_read_b64 v[10:11], v21 offset:25072
	s_waitcnt lgkmcnt(0)
	ds_write_b64 v22, v[10:11] offset:32128
	ds_read_b64 v[10:11], v21 offset:25080
	s_waitcnt lgkmcnt(0)
	ds_write_b64 v22, v[10:11] offset:32640
.LBB128_1035:
	s_or_b64 exec, exec, s[0:1]
	s_waitcnt lgkmcnt(0)
	s_barrier
	s_and_saveexec_b64 s[0:1], vcc
	s_cbranch_execz .LBB128_1037
; %bb.1036:
	v_mov_b32_e32 v23, 0
	ds_read_b64 v[21:22], v23 offset:29128
	v_mov_b32_e32 v24, 0x3ff00000
	ds_write_b64 v23, v[23:24] offset:29120
	s_waitcnt lgkmcnt(1)
	ds_write_b128 v23, v[21:24] offset:29632
.LBB128_1037:
	s_or_b64 exec, exec, s[0:1]
	v_mov_b32_e32 v10, 0
	v_mov_b32_e32 v11, 0
	s_waitcnt lgkmcnt(0)
	s_barrier
	s_and_saveexec_b64 s[0:1], s[2:3]
	s_cbranch_execz .LBB128_1041
; %bb.1038:
	v_mul_u32_u24_e32 v21, 0x208, v15
	ds_read_b64 v[10:11], v12 offset:29136
	ds_read_b64 v[21:22], v21 offset:29120
	v_cmp_gt_u32_e64 s[8:9], 2, v14
	s_waitcnt lgkmcnt(0)
	v_fma_f64 v[10:11], v[10:11], v[21:22], 0
	s_and_saveexec_b64 s[10:11], s[8:9]
	s_cbranch_execz .LBB128_1040
; %bb.1039:
	v_lshlrev_b32_e32 v21, 3, v0
	v_mov_b32_e32 v23, 0
	ds_read_b64 v[21:22], v21 offset:29648
	ds_read_b64 v[23:24], v23 offset:29128
	s_waitcnt lgkmcnt(0)
	v_fma_f64 v[10:11], v[21:22], v[23:24], v[10:11]
.LBB128_1040:
	s_or_b64 exec, exec, s[10:11]
	v_xor_b32_e32 v11, 0x80000000, v11
.LBB128_1041:
	s_or_b64 exec, exec, s[0:1]
	s_and_saveexec_b64 s[0:1], s[42:43]
; %bb.1042:
	ds_write_b64 v13, v[10:11]
; %bb.1043:
	s_or_b64 exec, exec, s[0:1]
	s_waitcnt lgkmcnt(0)
	s_barrier
	s_and_saveexec_b64 s[0:1], s[40:41]
	s_cbranch_execz .LBB128_1045
; %bb.1044:
	v_mov_b32_e32 v21, 0
	ds_read_b64 v[21:22], v21 offset:30168
	ds_read_b64 v[23:24], v13
	s_waitcnt lgkmcnt(0)
	v_fma_f64 v[10:11], v[21:22], v[23:24], v[10:11]
.LBB128_1045:
	s_or_b64 exec, exec, s[0:1]
	s_barrier
	s_and_saveexec_b64 s[0:1], s[40:41]
; %bb.1046:
	ds_write_b64 v13, v[10:11]
; %bb.1047:
	s_or_b64 exec, exec, s[0:1]
	s_waitcnt lgkmcnt(0)
	s_barrier
	s_barrier
	s_and_saveexec_b64 s[0:1], s[2:3]
; %bb.1048:
	v_xor_b32_e32 v11, 0x80000000, v11
	ds_write_b64 v12, v[10:11] offset:29136
; %bb.1049:
	s_or_b64 exec, exec, s[0:1]
	s_waitcnt lgkmcnt(0)
	s_barrier
	s_barrier
	s_and_saveexec_b64 s[0:1], s[44:45]
	s_cbranch_execz .LBB128_1051
; %bb.1050:
	v_lshlrev_b32_e32 v21, 3, v0
	s_movk_i32 s8, 0x1f8
	v_mad_u32_u24 v22, v0, s8, v21
	ds_read_b64 v[10:11], v22 offset:29136
	s_waitcnt lgkmcnt(0)
	ds_write_b64 v21, v[10:11] offset:30144
	ds_read_b64 v[10:11], v22 offset:29144
	s_waitcnt lgkmcnt(0)
	ds_write_b64 v21, v[10:11] offset:30656
.LBB128_1051:
	s_or_b64 exec, exec, s[0:1]
	s_waitcnt lgkmcnt(0)
	s_barrier
	s_and_saveexec_b64 s[0:1], vcc
	s_cbranch_execz .LBB128_1053
; %bb.1052:
	v_mov_b32_e32 v23, 0
	ds_read_b64 v[21:22], v23 offset:30168
	v_mov_b32_e32 v24, 0x3ff00000
	ds_write_b64 v23, v[23:24] offset:30160
	s_waitcnt lgkmcnt(1)
	ds_write_b128 v23, v[21:24] offset:30672
.LBB128_1053:
	s_or_b64 exec, exec, s[0:1]
	v_mov_b32_e32 v10, 0
	v_mov_b32_e32 v11, 0
	s_waitcnt lgkmcnt(0)
	s_barrier
	s_and_saveexec_b64 s[0:1], s[18:19]
	s_cbranch_execz .LBB128_1059
; %bb.1054:
	v_mul_u32_u24_e32 v21, 0x208, v20
	ds_read_b64 v[10:11], v16 offset:29152
	ds_read_b64 v[22:23], v21 offset:29120
	v_cmp_gt_u32_e64 s[8:9], 12, v14
	s_waitcnt lgkmcnt(0)
	v_fma_f64 v[10:11], v[10:11], v[22:23], 0
	s_and_saveexec_b64 s[10:11], s[8:9]
	s_cbranch_execnz .LBB128_1218
; %bb.1055:
	s_or_b64 exec, exec, s[10:11]
	v_cmp_gt_u32_e64 s[8:9], 8, v14
	s_and_saveexec_b64 s[10:11], s[8:9]
	s_cbranch_execnz .LBB128_1219
.LBB128_1056:
	s_or_b64 exec, exec, s[10:11]
	v_cmp_gt_u32_e64 s[8:9], 4, v14
	s_and_saveexec_b64 s[10:11], s[8:9]
	s_cbranch_execz .LBB128_1058
.LBB128_1057:
	v_lshlrev_b32_e32 v19, 3, v0
	v_mov_b32_e32 v21, 0
	ds_read_b64 v[19:20], v19 offset:30688
	ds_read_b64 v[21:22], v21 offset:29144
	s_waitcnt lgkmcnt(0)
	v_fma_f64 v[10:11], v[19:20], v[21:22], v[10:11]
.LBB128_1058:
	s_or_b64 exec, exec, s[10:11]
	v_xor_b32_e32 v11, 0x80000000, v11
.LBB128_1059:
	s_or_b64 exec, exec, s[0:1]
	s_and_saveexec_b64 s[0:1], s[48:49]
; %bb.1060:
	ds_write_b64 v18, v[10:11]
; %bb.1061:
	s_or_b64 exec, exec, s[0:1]
	s_waitcnt lgkmcnt(0)
	s_barrier
	s_and_saveexec_b64 s[0:1], s[50:51]
	s_cbranch_execz .LBB128_1063
; %bb.1062:
	ds_read_b64 v[19:20], v17 offset:31200
	ds_read_b64 v[21:22], v18
	s_waitcnt lgkmcnt(0)
	v_fma_f64 v[10:11], v[19:20], v[21:22], v[10:11]
.LBB128_1063:
	s_or_b64 exec, exec, s[0:1]
	s_barrier
	s_and_saveexec_b64 s[0:1], s[52:53]
; %bb.1064:
	ds_write_b64 v18, v[10:11]
; %bb.1065:
	s_or_b64 exec, exec, s[0:1]
	s_waitcnt lgkmcnt(0)
	s_barrier
	s_and_saveexec_b64 s[0:1], s[54:55]
	s_cbranch_execz .LBB128_1067
; %bb.1066:
	ds_read_b64 v[19:20], v17 offset:31712
	ds_read_b64 v[21:22], v18
	s_waitcnt lgkmcnt(0)
	v_fma_f64 v[10:11], v[19:20], v[21:22], v[10:11]
.LBB128_1067:
	s_or_b64 exec, exec, s[0:1]
	s_barrier
	s_and_saveexec_b64 s[0:1], s[56:57]
; %bb.1068:
	ds_write_b64 v18, v[10:11]
; %bb.1069:
	s_or_b64 exec, exec, s[0:1]
	s_waitcnt lgkmcnt(0)
	s_barrier
	s_and_saveexec_b64 s[0:1], s[46:47]
	s_cbranch_execz .LBB128_1071
; %bb.1070:
	v_mov_b32_e32 v17, 0
	ds_read_b64 v[19:20], v17 offset:32248
	ds_read_b64 v[21:22], v18
	s_waitcnt lgkmcnt(0)
	v_fma_f64 v[10:11], v[19:20], v[21:22], v[10:11]
.LBB128_1071:
	s_or_b64 exec, exec, s[0:1]
	s_barrier
	s_and_saveexec_b64 s[0:1], s[46:47]
; %bb.1072:
	ds_write_b64 v18, v[10:11]
; %bb.1073:
	s_or_b64 exec, exec, s[0:1]
	s_waitcnt lgkmcnt(0)
	s_barrier
	s_barrier
	s_and_saveexec_b64 s[0:1], s[18:19]
; %bb.1074:
	v_xor_b32_e32 v11, 0x80000000, v11
	ds_write_b64 v16, v[10:11] offset:29152
; %bb.1075:
	s_or_b64 exec, exec, s[0:1]
	s_waitcnt lgkmcnt(0)
	s_barrier
	s_barrier
	s_and_saveexec_b64 s[0:1], s[58:59]
	s_cbranch_execz .LBB128_1077
; %bb.1076:
	v_lshlrev_b32_e32 v16, 9, v0
	ds_read_b64 v[10:11], v16 offset:29152
	s_movk_i32 s8, 0xfe08
	v_mad_i32_i24 v17, v0, s8, v16
	s_waitcnt lgkmcnt(0)
	ds_write_b64 v17, v[10:11] offset:31168
	ds_read_b64 v[10:11], v16 offset:29160
	s_waitcnt lgkmcnt(0)
	ds_write_b64 v17, v[10:11] offset:31680
	ds_read_b64 v[10:11], v16 offset:29168
	;; [unrolled: 3-line block ×3, first 2 shown]
	s_waitcnt lgkmcnt(0)
	ds_write_b64 v17, v[10:11] offset:32704
.LBB128_1077:
	s_or_b64 exec, exec, s[0:1]
	s_waitcnt lgkmcnt(0)
	s_barrier
	s_and_saveexec_b64 s[0:1], vcc
	s_cbranch_execz .LBB128_1079
; %bb.1078:
	v_mov_b32_e32 v18, 0
	ds_read_b64 v[16:17], v18 offset:31208
	v_mov_b32_e32 v19, 0x3ff00000
	ds_write_b64 v18, v[18:19] offset:31200
	s_waitcnt lgkmcnt(1)
	ds_write_b128 v18, v[16:19] offset:31712
.LBB128_1079:
	s_or_b64 exec, exec, s[0:1]
	v_mov_b32_e32 v10, 0
	v_mov_b32_e32 v11, 0
	s_waitcnt lgkmcnt(0)
	s_barrier
	s_and_saveexec_b64 s[0:1], s[2:3]
	s_cbranch_execz .LBB128_1083
; %bb.1080:
	v_mul_u32_u24_e32 v15, 0x208, v15
	ds_read_b64 v[10:11], v12 offset:31216
	ds_read_b64 v[15:16], v15 offset:31200
	v_cmp_gt_u32_e64 s[8:9], 2, v14
	s_waitcnt lgkmcnt(0)
	v_fma_f64 v[10:11], v[10:11], v[15:16], 0
	s_and_saveexec_b64 s[10:11], s[8:9]
	s_cbranch_execz .LBB128_1082
; %bb.1081:
	v_lshlrev_b32_e32 v14, 3, v0
	v_mov_b32_e32 v16, 0
	ds_read_b64 v[14:15], v14 offset:31728
	ds_read_b64 v[16:17], v16 offset:31208
	s_waitcnt lgkmcnt(0)
	v_fma_f64 v[10:11], v[14:15], v[16:17], v[10:11]
.LBB128_1082:
	s_or_b64 exec, exec, s[10:11]
	v_xor_b32_e32 v11, 0x80000000, v11
.LBB128_1083:
	s_or_b64 exec, exec, s[0:1]
	s_and_saveexec_b64 s[0:1], s[42:43]
; %bb.1084:
	ds_write_b64 v13, v[10:11]
; %bb.1085:
	s_or_b64 exec, exec, s[0:1]
	s_waitcnt lgkmcnt(0)
	s_barrier
	s_and_saveexec_b64 s[0:1], s[40:41]
	v_readlane_b32 s16, v40, 2
	v_readlane_b32 s42, v40, 0
	;; [unrolled: 1-line block ×4, first 2 shown]
	s_cbranch_execz .LBB128_1087
; %bb.1086:
	v_mov_b32_e32 v14, 0
	ds_read_b64 v[14:15], v14 offset:32248
	ds_read_b64 v[16:17], v13
	s_waitcnt lgkmcnt(0)
	v_fma_f64 v[10:11], v[14:15], v[16:17], v[10:11]
.LBB128_1087:
	s_or_b64 exec, exec, s[0:1]
	s_barrier
	s_and_saveexec_b64 s[0:1], s[40:41]
; %bb.1088:
	ds_write_b64 v13, v[10:11]
; %bb.1089:
	s_or_b64 exec, exec, s[0:1]
	s_waitcnt lgkmcnt(0)
	s_barrier
	s_barrier
	s_and_saveexec_b64 s[0:1], s[2:3]
; %bb.1090:
	v_xor_b32_e32 v11, 0x80000000, v11
	ds_write_b64 v12, v[10:11] offset:31216
; %bb.1091:
	s_or_b64 exec, exec, s[0:1]
	s_waitcnt lgkmcnt(0)
	s_barrier
	s_barrier
	s_and_saveexec_b64 s[0:1], s[44:45]
	s_cbranch_execz .LBB128_1093
; %bb.1092:
	v_lshlrev_b32_e32 v12, 3, v0
	s_movk_i32 s2, 0x1f8
	v_mad_u32_u24 v13, v0, s2, v12
	ds_read_b64 v[10:11], v13 offset:31216
	s_waitcnt lgkmcnt(0)
	ds_write_b64 v12, v[10:11] offset:32224
	ds_read_b64 v[10:11], v13 offset:31224
	s_waitcnt lgkmcnt(0)
	ds_write_b64 v12, v[10:11] offset:32736
.LBB128_1093:
	s_or_b64 exec, exec, s[0:1]
	s_waitcnt lgkmcnt(0)
	s_barrier
	s_and_saveexec_b64 s[0:1], vcc
	s_cbranch_execz .LBB128_1095
; %bb.1094:
	v_mov_b32_e32 v12, 0
	ds_read_b64 v[10:11], v12 offset:32248
	v_mov_b32_e32 v13, 0x3ff00000
	ds_write_b64 v12, v[12:13] offset:32240
	s_waitcnt lgkmcnt(1)
	ds_write_b128 v12, v[10:13] offset:32752
.LBB128_1095:
	s_or_b64 exec, exec, s[0:1]
.LBB128_1096:
	s_lshl_b64 s[0:1], s[24:25], 3
	s_add_u32 s20, s38, s0
	v_cmp_le_i32_e32 vcc, s90, v0
	s_addc_u32 s21, s39, s1
	s_and_b64 s[14:15], vcc, s[22:23]
	v_cmp_eq_u32_e64 s[2:3], 0, v1
	s_xor_b64 s[0:1], s[14:15], -1
	v_mov_b32_e32 v10, 0
	s_and_b64 s[8:9], s[2:3], s[0:1]
	v_mov_b32_e32 v11, 0
	v_lshl_add_u32 v12, s33, 6, v0
	s_waitcnt lgkmcnt(0)
	s_barrier
	s_and_saveexec_b64 s[0:1], s[8:9]
	s_cbranch_execz .LBB128_1098
; %bb.1097:
	v_ashrrev_i32_e32 v13, 31, v12
	v_mul_lo_u32 v14, s27, v12
	v_mad_u64_u32 v[10:11], s[8:9], s26, v12, 0
	v_mul_lo_u32 v13, s26, v13
	v_add3_u32 v11, v11, v13, v14
	v_lshlrev_b64 v[10:11], 3, v[10:11]
	v_mov_b32_e32 v13, s21
	v_add_co_u32_e32 v10, vcc, s20, v10
	v_addc_co_u32_e32 v11, vcc, v13, v11, vcc
	flat_load_dwordx2 v[10:11], v[10:11]
	s_waitcnt vmcnt(0) lgkmcnt(0)
	v_mul_f64 v[10:11], v[10:11], -s[16:17]
.LBB128_1098:
	s_or_b64 exec, exec, s[0:1]
	s_load_dwordx2 s[0:1], s[4:5], 0x50
	s_and_b32 s4, 0xffff, s95
	v_mad_u32_u24 v17, v1, s4, v0
	v_mov_b32_e32 v18, 0
	s_cmp_lt_i32 s6, 1
	v_cmp_eq_u32_e64 s[4:5], 0, v17
	s_cbranch_scc1 .LBB128_1124
; %bb.1099:
	v_ashrrev_i32_e32 v15, 31, v12
	v_mul_lo_u32 v16, s35, v12
	v_mad_u64_u32 v[13:14], s[8:9], s34, v12, 0
	v_mul_lo_u32 v15, s34, v15
	s_lshl_b64 s[8:9], s[28:29], 2
	s_waitcnt lgkmcnt(0)
	s_add_u32 s16, s0, s8
	s_addc_u32 s17, s1, s9
	v_add3_u32 v14, v14, v15, v16
	v_cmp_gt_i32_e64 s[8:9], s30, v12
	v_lshlrev_b64 v[12:13], 3, v[13:14]
	v_mov_b32_e32 v15, 0xa000
	v_mov_b32_e32 v14, s94
	v_add_co_u32_e32 v21, vcc, s91, v12
	s_mov_b32 s24, 0
	v_cmp_gt_u32_e64 s[12:13], 64, v17
	v_lshl_add_u32 v19, v17, 3, v15
	v_lshl_or_b32 v20, v1, 3, v15
	s_add_i32 s25, s33, 1
	v_addc_co_u32_e32 v22, vcc, v14, v13, vcc
	v_mov_b32_e32 v23, -1
	s_branch .LBB128_1102
.LBB128_1100:                           ;   in Loop: Header=BB128_1102 Depth=1
	ds_read_b64 v[12:13], v20 offset:384
	s_waitcnt vmcnt(0) lgkmcnt(0)
	v_fma_f64 v[10:11], v[14:15], v[12:13], v[10:11]
.LBB128_1101:                           ;   in Loop: Header=BB128_1102 Depth=1
	s_or_b64 exec, exec, s[18:19]
	s_add_i32 s24, s24, 1
	s_cmp_eq_u32 s24, s6
	s_cbranch_scc1 .LBB128_1124
.LBB128_1102:                           ; =>This Loop Header: Depth=1
                                        ;     Child Loop BB128_1104 Depth 2
	v_cmp_gt_i32_e32 vcc, s24, v23
	s_and_b64 s[18:19], s[4:5], vcc
	s_and_saveexec_b64 s[10:11], s[18:19]
	s_cbranch_execz .LBB128_1105
; %bb.1103:                             ;   in Loop: Header=BB128_1102 Depth=1
	global_load_dword v23, v18, s[16:17]
	s_waitcnt vmcnt(0)
	v_cmp_le_i32_e32 vcc, s24, v23
	s_cbranch_vccnz .LBB128_1105
.LBB128_1104:                           ;   Parent Loop BB128_1102 Depth=1
                                        ; =>  This Inner Loop Header: Depth=2
	buffer_wbinvl1_vol
	global_load_dword v23, v18, s[16:17]
	s_waitcnt vmcnt(0)
	v_cmp_gt_i32_e32 vcc, s24, v23
	s_cbranch_vccnz .LBB128_1104
.LBB128_1105:                           ;   in Loop: Header=BB128_1102 Depth=1
	s_or_b64 exec, exec, s[10:11]
	s_sub_i32 s34, s7, s24
	s_lshl_b32 s35, s34, 6
	buffer_wbinvl1_vol
	s_barrier
	s_and_saveexec_b64 s[10:11], s[12:13]
	s_cbranch_execz .LBB128_1109
; %bb.1106:                             ;   in Loop: Header=BB128_1102 Depth=1
	s_ashr_i32 s18, s35, 31
	v_mov_b32_e32 v13, s18
	v_or_b32_e32 v12, s35, v17
	v_cmp_gt_i64_e32 vcc, s[30:31], v[12:13]
	v_mov_b32_e32 v14, 0
	v_mov_b32_e32 v15, 0
	s_and_saveexec_b64 s[18:19], vcc
	s_cbranch_execz .LBB128_1108
; %bb.1107:                             ;   in Loop: Header=BB128_1102 Depth=1
	v_mul_lo_u32 v14, v13, s26
	v_mul_lo_u32 v15, v12, s27
	v_mad_u64_u32 v[12:13], s[36:37], v12, s26, 0
	v_add3_u32 v13, v13, v15, v14
	v_lshlrev_b64 v[12:13], 3, v[12:13]
	v_mov_b32_e32 v14, s21
	v_add_co_u32_e32 v12, vcc, s20, v12
	v_addc_co_u32_e32 v13, vcc, v14, v13, vcc
	flat_load_dwordx2 v[14:15], v[12:13]
.LBB128_1108:                           ;   in Loop: Header=BB128_1102 Depth=1
	s_or_b64 exec, exec, s[18:19]
	s_waitcnt vmcnt(0) lgkmcnt(0)
	ds_write_b64 v19, v[14:15]
.LBB128_1109:                           ;   in Loop: Header=BB128_1102 Depth=1
	s_or_b64 exec, exec, s[10:11]
	v_add_u32_e32 v14, s35, v1
	v_ashrrev_i32_e32 v15, 31, v14
	v_lshlrev_b64 v[12:13], 3, v[14:15]
	s_cmp_lg_u32 s34, s25
	v_add_co_u32_e32 v12, vcc, v21, v12
	s_cselect_b64 s[10:11], -1, 0
	v_addc_co_u32_e32 v13, vcc, v22, v13, vcc
	v_cmp_gt_i32_e32 vcc, s30, v14
	v_cndmask_b32_e64 v15, 0, 1, s[10:11]
	s_and_b64 s[34:35], vcc, s[8:9]
	v_cmp_ne_u32_e64 s[10:11], 1, v15
	s_waitcnt lgkmcnt(0)
	s_barrier
	s_and_saveexec_b64 s[18:19], s[34:35]
	s_cbranch_execz .LBB128_1113
; %bb.1110:                             ;   in Loop: Header=BB128_1102 Depth=1
	v_mov_b32_e32 v16, v5
	s_and_b64 vcc, exec, s[10:11]
	v_mov_b32_e32 v15, v4
	s_cbranch_vccnz .LBB128_1112
; %bb.1111:                             ;   in Loop: Header=BB128_1102 Depth=1
	flat_load_dwordx2 v[15:16], v[12:13]
.LBB128_1112:                           ;   in Loop: Header=BB128_1102 Depth=1
	ds_read_b64 v[24:25], v20
	s_waitcnt vmcnt(0) lgkmcnt(0)
	v_fma_f64 v[10:11], v[15:16], v[24:25], v[10:11]
.LBB128_1113:                           ;   in Loop: Header=BB128_1102 Depth=1
	s_or_b64 exec, exec, s[18:19]
	v_add_u32_e32 v15, 16, v14
	v_cmp_gt_i32_e32 vcc, s30, v15
	s_and_b64 s[34:35], vcc, s[8:9]
	s_and_saveexec_b64 s[18:19], s[34:35]
	s_cbranch_execz .LBB128_1117
; %bb.1114:                             ;   in Loop: Header=BB128_1102 Depth=1
	v_mov_b32_e32 v16, v3
	s_and_b64 vcc, exec, s[10:11]
	v_mov_b32_e32 v15, v2
	s_cbranch_vccnz .LBB128_1116
; %bb.1115:                             ;   in Loop: Header=BB128_1102 Depth=1
	flat_load_dwordx2 v[15:16], v[12:13] offset:128
.LBB128_1116:                           ;   in Loop: Header=BB128_1102 Depth=1
	ds_read_b64 v[24:25], v20 offset:128
	s_waitcnt vmcnt(0) lgkmcnt(0)
	v_fma_f64 v[10:11], v[15:16], v[24:25], v[10:11]
.LBB128_1117:                           ;   in Loop: Header=BB128_1102 Depth=1
	s_or_b64 exec, exec, s[18:19]
	v_add_u32_e32 v15, 32, v14
	v_cmp_gt_i32_e32 vcc, s30, v15
	s_and_b64 s[34:35], vcc, s[8:9]
	s_and_saveexec_b64 s[18:19], s[34:35]
	s_cbranch_execz .LBB128_1121
; %bb.1118:                             ;   in Loop: Header=BB128_1102 Depth=1
	v_mov_b32_e32 v16, v9
	s_and_b64 vcc, exec, s[10:11]
	v_mov_b32_e32 v15, v8
	s_cbranch_vccnz .LBB128_1120
; %bb.1119:                             ;   in Loop: Header=BB128_1102 Depth=1
	flat_load_dwordx2 v[15:16], v[12:13] offset:256
.LBB128_1120:                           ;   in Loop: Header=BB128_1102 Depth=1
	ds_read_b64 v[24:25], v20 offset:256
	s_waitcnt vmcnt(0) lgkmcnt(0)
	v_fma_f64 v[10:11], v[15:16], v[24:25], v[10:11]
.LBB128_1121:                           ;   in Loop: Header=BB128_1102 Depth=1
	s_or_b64 exec, exec, s[18:19]
	v_add_u32_e32 v14, 48, v14
	v_cmp_gt_i32_e32 vcc, s30, v14
	s_and_b64 s[34:35], vcc, s[8:9]
	s_and_saveexec_b64 s[18:19], s[34:35]
	s_cbranch_execz .LBB128_1101
; %bb.1122:                             ;   in Loop: Header=BB128_1102 Depth=1
	v_mov_b32_e32 v15, v7
	s_and_b64 vcc, exec, s[10:11]
	v_mov_b32_e32 v14, v6
	s_cbranch_vccnz .LBB128_1100
; %bb.1123:                             ;   in Loop: Header=BB128_1102 Depth=1
	flat_load_dwordx2 v[14:15], v[12:13] offset:384
	s_branch .LBB128_1100
.LBB128_1124:
	v_lshl_add_u32 v2, v1, 6, v0
	s_xor_b64 s[4:5], s[22:23], -1
	v_lshlrev_b32_e32 v4, 3, v2
	ds_write_b64 v4, v[10:11] offset:32768
	s_waitcnt lgkmcnt(0)
	s_barrier
	s_and_saveexec_b64 s[6:7], s[2:3]
	s_cbranch_execz .LBB128_1126
; %bb.1125:
	v_lshlrev_b32_e32 v15, 3, v0
	ds_read2st64_b64 v[5:8], v15 offset0:65 offset1:66
	ds_read_b64 v[2:3], v15 offset:40448
	s_waitcnt lgkmcnt(1)
	v_add_f64 v[5:6], v[10:11], v[5:6]
	v_add_f64 v[13:14], v[5:6], v[7:8]
	ds_read2st64_b64 v[5:8], v15 offset0:67 offset1:68
	ds_read2st64_b64 v[9:12], v15 offset0:69 offset1:70
	s_waitcnt lgkmcnt(1)
	v_add_f64 v[5:6], v[13:14], v[5:6]
	v_add_f64 v[5:6], v[5:6], v[7:8]
	s_waitcnt lgkmcnt(0)
	v_add_f64 v[5:6], v[5:6], v[9:10]
	v_add_f64 v[13:14], v[5:6], v[11:12]
	ds_read2st64_b64 v[5:8], v15 offset0:71 offset1:72
	ds_read2st64_b64 v[9:12], v15 offset0:73 offset1:74
	s_waitcnt lgkmcnt(1)
	v_add_f64 v[5:6], v[13:14], v[5:6]
	v_add_f64 v[5:6], v[5:6], v[7:8]
	s_waitcnt lgkmcnt(0)
	v_add_f64 v[5:6], v[5:6], v[9:10]
	v_add_f64 v[13:14], v[5:6], v[11:12]
	ds_read2st64_b64 v[5:8], v15 offset0:75 offset1:76
	ds_read2st64_b64 v[9:12], v15 offset0:77 offset1:78
	s_waitcnt lgkmcnt(1)
	v_add_f64 v[5:6], v[13:14], v[5:6]
	v_add_f64 v[5:6], v[5:6], v[7:8]
	s_waitcnt lgkmcnt(0)
	v_add_f64 v[5:6], v[5:6], v[9:10]
	v_add_f64 v[5:6], v[5:6], v[11:12]
	;; [unrolled: 1-line block ×3, first 2 shown]
	v_xor_b32_e32 v3, 0x80000000, v3
	v_cndmask_b32_e64 v11, v3, 0, s[14:15]
	v_cndmask_b32_e64 v10, v2, 0, s[14:15]
.LBB128_1126:
	s_or_b64 exec, exec, s[6:7]
	s_and_b64 vcc, exec, s[42:43]
	s_cbranch_vccnz .LBB128_1140
; %bb.1127:
	v_mov_b32_e32 v2, 0xa000
	v_lshl_or_b32 v5, v1, 3, v2
	s_and_saveexec_b64 s[6:7], s[2:3]
; %bb.1128:
	v_lshl_add_u32 v2, v0, 3, v5
	ds_write_b64 v2, v[10:11]
; %bb.1129:
	s_or_b64 exec, exec, s[6:7]
	v_mov_b32_e32 v2, 0
	v_mov_b32_e32 v3, 0
	v_cmp_le_u32_e32 vcc, v0, v1
	s_waitcnt lgkmcnt(0)
	s_barrier
	s_and_saveexec_b64 s[6:7], vcc
	s_cbranch_execz .LBB128_1131
; %bb.1130:
	ds_read_b64 v[2:3], v4
	ds_read_b64 v[6:7], v5
	s_waitcnt lgkmcnt(0)
	v_fma_f64 v[2:3], v[2:3], v[6:7], 0
.LBB128_1131:
	s_or_b64 exec, exec, s[6:7]
	v_add_u32_e32 v6, 16, v1
	v_cmp_le_u32_e32 vcc, v0, v6
	s_and_saveexec_b64 s[6:7], vcc
	s_cbranch_execz .LBB128_1133
; %bb.1132:
	ds_read_b64 v[6:7], v4 offset:8192
	ds_read_b64 v[8:9], v5 offset:128
	s_waitcnt lgkmcnt(0)
	v_fma_f64 v[2:3], v[6:7], v[8:9], v[2:3]
.LBB128_1133:
	s_or_b64 exec, exec, s[6:7]
	v_add_u32_e32 v6, 32, v1
	v_cmp_le_u32_e32 vcc, v0, v6
	s_and_saveexec_b64 s[6:7], vcc
	s_cbranch_execz .LBB128_1135
; %bb.1134:
	ds_read_b64 v[6:7], v4 offset:16384
	ds_read_b64 v[8:9], v5 offset:256
	s_waitcnt lgkmcnt(0)
	v_fma_f64 v[2:3], v[6:7], v[8:9], v[2:3]
.LBB128_1135:
	s_or_b64 exec, exec, s[6:7]
	v_add_u32_e32 v1, 48, v1
	v_add_u32_e32 v6, 0x8000, v4
	v_cmp_le_u32_e32 vcc, v0, v1
	s_and_saveexec_b64 s[6:7], vcc
	s_cbranch_execz .LBB128_1137
; %bb.1136:
	ds_read_b64 v[7:8], v4 offset:24576
	ds_read_b64 v[4:5], v5 offset:384
	s_waitcnt lgkmcnt(0)
	v_fma_f64 v[2:3], v[7:8], v[4:5], v[2:3]
.LBB128_1137:
	s_or_b64 exec, exec, s[6:7]
	s_mov_b64 s[8:9], 0
	s_mov_b64 s[6:7], 0
	ds_write_b64 v6, v[2:3]
	s_waitcnt lgkmcnt(0)
	s_barrier
                                        ; implicit-def: $vgpr4_vgpr5
	s_and_saveexec_b64 s[10:11], s[2:3]
	s_cbranch_execz .LBB128_1166
; %bb.1138:
	v_lshlrev_b32_e32 v9, 3, v0
	ds_read2st64_b64 v[4:7], v9 offset0:65 offset1:66
	ds_read_b64 v[12:13], v9 offset:40448
	s_mov_b64 s[6:7], exec
	s_waitcnt lgkmcnt(1)
	v_add_f64 v[1:2], v[2:3], v[4:5]
	v_add_f64 v[14:15], v[6:7], v[1:2]
	ds_read2st64_b64 v[1:4], v9 offset0:67 offset1:68
	ds_read2st64_b64 v[5:8], v9 offset0:69 offset1:70
	s_waitcnt lgkmcnt(1)
	v_add_f64 v[1:2], v[1:2], v[14:15]
	v_add_f64 v[1:2], v[3:4], v[1:2]
	s_waitcnt lgkmcnt(0)
	v_add_f64 v[1:2], v[5:6], v[1:2]
	v_add_f64 v[14:15], v[7:8], v[1:2]
	ds_read2st64_b64 v[1:4], v9 offset0:71 offset1:72
	ds_read2st64_b64 v[5:8], v9 offset0:73 offset1:74
	s_waitcnt lgkmcnt(1)
	v_add_f64 v[1:2], v[1:2], v[14:15]
	v_add_f64 v[1:2], v[3:4], v[1:2]
	;; [unrolled: 8-line block ×3, first 2 shown]
	s_waitcnt lgkmcnt(0)
	v_add_f64 v[1:2], v[5:6], v[1:2]
	v_add_f64 v[1:2], v[7:8], v[1:2]
	;; [unrolled: 1-line block ×3, first 2 shown]
	s_or_b64 exec, exec, s[10:11]
	s_and_b64 vcc, exec, s[8:9]
	s_cbranch_vccnz .LBB128_1141
	s_branch .LBB128_1167
.LBB128_1139:
	v_mad_u64_u32 v[12:13], s[2:3], s34, v15, 0
	s_or_b64 s[10:11], s[10:11], exec
	v_mad_u64_u32 v[13:14], s[2:3], s35, v15, v[13:14]
	v_lshlrev_b64 v[12:13], 3, v[12:13]
	v_add_co_u32_e32 v10, vcc, v10, v12
	v_addc_co_u32_e32 v11, vcc, v11, v13, vcc
	flat_load_dwordx2 v[12:13], v[10:11]
	s_waitcnt vmcnt(0) lgkmcnt(0)
	v_xor_b32_e32 v13, 0x80000000, v13
	s_or_b64 exec, exec, s[8:9]
	s_xor_b64 s[0:1], s[0:1], -1
	s_and_saveexec_b64 s[2:3], s[10:11]
	s_cbranch_execnz .LBB128_57
	s_branch .LBB128_58
.LBB128_1140:
	s_mov_b64 s[6:7], 0
                                        ; implicit-def: $vgpr4_vgpr5
	s_cbranch_execz .LBB128_1167
.LBB128_1141:
	v_mov_b32_e32 v1, 0x7800
	v_lshl_add_u32 v1, v0, 3, v1
	v_mov_b32_e32 v3, 63
	v_mov_b32_e32 v2, 0
	s_branch .LBB128_1143
.LBB128_1142:                           ;   in Loop: Header=BB128_1143 Depth=1
	s_or_b64 exec, exec, s[8:9]
	v_subrev_co_u32_e32 v3, vcc, 1, v3
	s_andn2_b64 vcc, exec, vcc
	v_add_u32_e32 v1, 0xfffff800, v1
	s_barrier
	s_cbranch_vccz .LBB128_1159
.LBB128_1143:                           ; =>This Inner Loop Header: Depth=1
	v_cmp_eq_u32_e32 vcc, v0, v3
	s_and_b64 s[10:11], s[2:3], vcc
	s_and_saveexec_b64 s[8:9], s[10:11]
; %bb.1144:                             ;   in Loop: Header=BB128_1143 Depth=1
	ds_write_b64 v2, v[10:11] offset:41472
; %bb.1145:                             ;   in Loop: Header=BB128_1143 Depth=1
	s_or_b64 exec, exec, s[8:9]
	v_cmp_lt_u32_e32 vcc, v0, v3
	s_and_b64 s[10:11], s[2:3], vcc
	s_waitcnt lgkmcnt(0)
	s_barrier
	s_and_saveexec_b64 s[8:9], s[10:11]
	s_cbranch_execz .LBB128_1147
; %bb.1146:                             ;   in Loop: Header=BB128_1143 Depth=1
	ds_read_b64 v[4:5], v1 offset:1536
	ds_read_b64 v[6:7], v2 offset:41472
	s_waitcnt lgkmcnt(0)
	v_fma_f64 v[10:11], v[4:5], v[6:7], v[10:11]
.LBB128_1147:                           ;   in Loop: Header=BB128_1143 Depth=1
	s_or_b64 exec, exec, s[8:9]
	v_add_u32_e32 v3, -1, v3
	v_cmp_eq_u32_e32 vcc, v0, v3
	s_and_b64 s[10:11], s[2:3], vcc
	s_barrier
	s_and_saveexec_b64 s[8:9], s[10:11]
; %bb.1148:                             ;   in Loop: Header=BB128_1143 Depth=1
	ds_write_b64 v2, v[10:11] offset:41472
; %bb.1149:                             ;   in Loop: Header=BB128_1143 Depth=1
	s_or_b64 exec, exec, s[8:9]
	v_cmp_lt_u32_e32 vcc, v0, v3
	s_and_b64 s[10:11], s[2:3], vcc
	s_waitcnt lgkmcnt(0)
	s_barrier
	s_and_saveexec_b64 s[8:9], s[10:11]
	s_cbranch_execz .LBB128_1151
; %bb.1150:                             ;   in Loop: Header=BB128_1143 Depth=1
	ds_read_b64 v[4:5], v1 offset:1024
	ds_read_b64 v[6:7], v2 offset:41472
	s_waitcnt lgkmcnt(0)
	v_fma_f64 v[10:11], v[4:5], v[6:7], v[10:11]
.LBB128_1151:                           ;   in Loop: Header=BB128_1143 Depth=1
	s_or_b64 exec, exec, s[8:9]
	v_add_u32_e32 v3, -1, v3
	v_cmp_eq_u32_e32 vcc, v0, v3
	s_and_b64 s[10:11], s[2:3], vcc
	s_barrier
	;; [unrolled: 22-line block ×3, first 2 shown]
	s_and_saveexec_b64 s[8:9], s[10:11]
; %bb.1156:                             ;   in Loop: Header=BB128_1143 Depth=1
	ds_write_b64 v2, v[10:11] offset:41472
; %bb.1157:                             ;   in Loop: Header=BB128_1143 Depth=1
	s_or_b64 exec, exec, s[8:9]
	v_cmp_lt_u32_e32 vcc, v0, v3
	s_and_b64 s[10:11], s[2:3], vcc
	s_waitcnt lgkmcnt(0)
	s_barrier
	s_and_saveexec_b64 s[8:9], s[10:11]
	s_cbranch_execz .LBB128_1142
; %bb.1158:                             ;   in Loop: Header=BB128_1143 Depth=1
	ds_read_b64 v[4:5], v1
	ds_read_b64 v[6:7], v2 offset:41472
	s_waitcnt lgkmcnt(0)
	v_fma_f64 v[10:11], v[4:5], v[6:7], v[10:11]
	s_branch .LBB128_1142
.LBB128_1159:
	s_mov_b64 s[8:9], -1
	s_and_b64 vcc, exec, s[4:5]
	s_cbranch_vccnz .LBB128_1168
; %bb.1160:
	s_andn2_b64 vcc, exec, s[8:9]
	s_cbranch_vccz .LBB128_1169
.LBB128_1161:
	s_and_saveexec_b64 s[2:3], s[6:7]
	s_cbranch_execz .LBB128_1163
.LBB128_1162:
	s_lshl_b32 s4, s33, 6
	s_ashr_i32 s5, s4, 31
	v_mov_b32_e32 v0, s5
	v_add_co_u32_e32 v1, vcc, s4, v17
	v_addc_co_u32_e32 v0, vcc, 0, v0, vcc
	v_mul_lo_u32 v2, v0, s26
	v_mul_lo_u32 v3, v1, s27
	v_mad_u64_u32 v[0:1], s[4:5], v1, s26, 0
	v_add3_u32 v1, v1, v3, v2
	v_lshlrev_b64 v[0:1], 3, v[0:1]
	v_mov_b32_e32 v2, s21
	v_add_co_u32_e32 v0, vcc, s20, v0
	v_addc_co_u32_e32 v1, vcc, v2, v1, vcc
	flat_store_dwordx2 v[0:1], v[10:11]
.LBB128_1163:
	s_or_b64 exec, exec, s[2:3]
	v_cmp_eq_u32_e32 vcc, 0, v17
	s_waitcnt vmcnt(0) lgkmcnt(0)
	buffer_wbinvl1_vol
	s_barrier
	s_and_saveexec_b64 s[2:3], vcc
	s_cbranch_execz .LBB128_1165
; %bb.1164:
	s_lshl_b64 s[4:5], s[28:29], 2
	s_add_u32 s0, s0, s4
	s_addc_u32 s1, s1, s5
	v_mov_b32_e32 v0, 0
	global_load_dword v1, v0, s[0:1]
	s_waitcnt vmcnt(0)
	v_add_u32_e32 v1, 1, v1
	global_store_dword v0, v1, s[0:1]
.LBB128_1165:
	s_or_b64 exec, exec, s[2:3]
	s_waitcnt vmcnt(0)
	buffer_wbinvl1_vol
	s_endpgm
.LBB128_1166:
	s_or_b64 exec, exec, s[10:11]
	s_and_b64 vcc, exec, s[8:9]
	s_cbranch_vccnz .LBB128_1141
.LBB128_1167:
	v_mov_b32_e32 v11, v5
	v_mov_b32_e32 v10, v4
	s_and_saveexec_b64 s[2:3], s[6:7]
	s_cbranch_execnz .LBB128_1162
	s_branch .LBB128_1163
.LBB128_1168:
	s_andn2_b64 s[4:5], s[6:7], exec
	s_and_b64 s[6:7], s[2:3], exec
	s_or_b64 s[6:7], s[4:5], s[6:7]
	s_cbranch_execnz .LBB128_1161
.LBB128_1169:
	v_cmp_gt_i32_e32 vcc, s90, v0
	s_and_b64 s[2:3], s[2:3], vcc
	s_andn2_b64 s[4:5], s[6:7], exec
	s_and_b64 s[2:3], s[2:3], exec
	s_or_b64 s[6:7], s[4:5], s[2:3]
	s_and_saveexec_b64 s[2:3], s[6:7]
	s_cbranch_execnz .LBB128_1162
	s_branch .LBB128_1163
.LBB128_1170:
	v_lshlrev_b32_e32 v21, 3, v20
	v_sub_u32_e32 v21, v18, v21
	v_lshl_add_u32 v21, v19, 3, v21
	ds_read_b64 v[21:22], v21 offset:544
	ds_read_b64 v[23:24], v18 offset:8
	s_waitcnt lgkmcnt(0)
	v_fma_f64 v[10:11], v[21:22], v[23:24], v[10:11]
	s_or_b64 exec, exec, s[14:15]
	v_cmp_gt_u32_e64 s[10:11], 8, v14
	s_and_saveexec_b64 s[14:15], s[10:11]
	s_cbranch_execz .LBB128_80
.LBB128_1171:
	ds_read_b64 v[21:22], v16 offset:1056
	ds_read_b64 v[23:24], v18 offset:16
	s_waitcnt lgkmcnt(0)
	v_fma_f64 v[10:11], v[21:22], v[23:24], v[10:11]
	s_or_b64 exec, exec, s[14:15]
	v_cmp_gt_u32_e64 s[10:11], 4, v14
	s_and_saveexec_b64 s[14:15], s[10:11]
	s_cbranch_execnz .LBB128_81
	s_branch .LBB128_82
.LBB128_1172:
	v_lshlrev_b32_e32 v26, 3, v25
	v_sub_u32_e32 v26, v23, v26
	v_lshl_add_u32 v26, v24, 3, v26
	ds_read_b64 v[26:27], v26 offset:576
	ds_read_b64 v[28:29], v23 offset:8
	s_waitcnt lgkmcnt(0)
	v_fma_f64 v[10:11], v[26:27], v[28:29], v[10:11]
	s_or_b64 exec, exec, s[16:17]
	v_cmp_gt_u32_e64 s[14:15], 48, v14
	s_and_saveexec_b64 s[16:17], s[14:15]
	s_cbranch_execz .LBB128_122
.LBB128_1173:
	v_lshlrev_b32_e32 v26, 3, v25
	v_sub_u32_e32 v26, v23, v26
	v_lshl_add_u32 v26, v24, 3, v26
	ds_read_b64 v[26:27], v26 offset:1088
	ds_read_b64 v[28:29], v23 offset:16
	s_waitcnt lgkmcnt(0)
	v_fma_f64 v[10:11], v[26:27], v[28:29], v[10:11]
	s_or_b64 exec, exec, s[16:17]
	v_cmp_gt_u32_e64 s[14:15], 40, v14
	s_and_saveexec_b64 s[16:17], s[14:15]
	s_cbranch_execz .LBB128_123
.LBB128_1174:
	v_lshlrev_b32_e32 v26, 3, v25
	v_sub_u32_e32 v26, v23, v26
	v_lshl_add_u32 v26, v24, 3, v26
	ds_read_b64 v[26:27], v26 offset:1600
	ds_read_b64 v[28:29], v23 offset:24
	s_waitcnt lgkmcnt(0)
	v_fma_f64 v[10:11], v[26:27], v[28:29], v[10:11]
	s_or_b64 exec, exec, s[16:17]
	v_cmp_gt_u32_e64 s[14:15], 32, v14
	s_and_saveexec_b64 s[16:17], s[14:15]
	s_cbranch_execz .LBB128_124
.LBB128_1175:
	ds_read_b64 v[26:27], v21 offset:2112
	ds_read_b64 v[28:29], v23 offset:32
	s_waitcnt lgkmcnt(0)
	v_fma_f64 v[10:11], v[26:27], v[28:29], v[10:11]
	s_or_b64 exec, exec, s[16:17]
	v_cmp_gt_u32_e64 s[14:15], 24, v14
	s_and_saveexec_b64 s[16:17], s[14:15]
	s_cbranch_execz .LBB128_125
.LBB128_1176:
	v_lshlrev_b32_e32 v26, 3, v25
	v_sub_u32_e32 v26, v23, v26
	v_lshl_add_u32 v26, v24, 3, v26
	ds_read_b64 v[26:27], v26 offset:2624
	ds_read_b64 v[28:29], v23 offset:40
	s_waitcnt lgkmcnt(0)
	v_fma_f64 v[10:11], v[26:27], v[28:29], v[10:11]
	s_or_b64 exec, exec, s[16:17]
	v_cmp_gt_u32_e64 s[14:15], 16, v14
	s_and_saveexec_b64 s[16:17], s[14:15]
	s_cbranch_execz .LBB128_126
.LBB128_1177:
	ds_read_b64 v[26:27], v21 offset:3136
	ds_read_b64 v[28:29], v23 offset:48
	s_waitcnt lgkmcnt(0)
	v_fma_f64 v[10:11], v[26:27], v[28:29], v[10:11]
	s_or_b64 exec, exec, s[16:17]
	v_cmp_gt_u32_e64 s[14:15], 8, v14
	s_and_saveexec_b64 s[16:17], s[14:15]
	s_cbranch_execnz .LBB128_127
	s_branch .LBB128_128
.LBB128_1178:
	v_lshlrev_b32_e32 v27, 3, v20
	v_sub_u32_e32 v27, v26, v27
	v_lshl_add_u32 v27, v19, 3, v27
	ds_read_b64 v[27:28], v27 offset:4704
	ds_read_b64 v[29:30], v26 offset:4168
	s_waitcnt lgkmcnt(0)
	v_fma_f64 v[10:11], v[27:28], v[29:30], v[10:11]
	s_or_b64 exec, exec, s[14:15]
	v_cmp_gt_u32_e64 s[10:11], 8, v14
	s_and_saveexec_b64 s[14:15], s[10:11]
	s_cbranch_execz .LBB128_184
.LBB128_1179:
	ds_read_b64 v[27:28], v16 offset:5216
	ds_read_b64 v[29:30], v26 offset:4176
	s_waitcnt lgkmcnt(0)
	v_fma_f64 v[10:11], v[27:28], v[29:30], v[10:11]
	s_or_b64 exec, exec, s[14:15]
	v_cmp_gt_u32_e64 s[10:11], 4, v14
	s_and_saveexec_b64 s[14:15], s[10:11]
	s_cbranch_execnz .LBB128_185
	s_branch .LBB128_186
.LBB128_1180:
	v_lshlrev_b32_e32 v31, 3, v27
	v_lshl_add_u32 v31, v29, 3, v31
	ds_read_b64 v[31:32], v31 offset:5760
	ds_read_b64 v[33:34], v28 offset:88
	s_waitcnt lgkmcnt(0)
	v_fma_f64 v[10:11], v[31:32], v[33:34], v[10:11]
	s_or_b64 exec, exec, s[20:21]
	v_cmp_gt_u32_e64 s[16:17], 64, v14
	s_and_saveexec_b64 s[20:21], s[16:17]
	s_cbranch_execz .LBB128_246
.LBB128_1181:
	ds_read_b64 v[31:32], v26 offset:6272
	ds_read_b64 v[33:34], v28 offset:96
	s_waitcnt lgkmcnt(0)
	v_fma_f64 v[10:11], v[31:32], v[33:34], v[10:11]
	s_or_b64 exec, exec, s[20:21]
	v_cmp_gt_u32_e64 s[16:17], 48, v14
	s_and_saveexec_b64 s[20:21], s[16:17]
	s_cbranch_execz .LBB128_247
.LBB128_1182:
	v_lshlrev_b32_e32 v31, 3, v27
	v_lshl_add_u32 v31, v29, 3, v31
	ds_read_b64 v[31:32], v31 offset:6784
	ds_read_b64 v[33:34], v28 offset:104
	s_waitcnt lgkmcnt(0)
	v_fma_f64 v[10:11], v[31:32], v[33:34], v[10:11]
	s_or_b64 exec, exec, s[20:21]
	v_cmp_gt_u32_e64 s[16:17], 32, v14
	s_and_saveexec_b64 s[20:21], s[16:17]
	s_cbranch_execz .LBB128_248
.LBB128_1183:
	ds_read_b64 v[31:32], v26 offset:7296
	ds_read_b64 v[33:34], v28 offset:112
	s_waitcnt lgkmcnt(0)
	v_fma_f64 v[10:11], v[31:32], v[33:34], v[10:11]
	s_or_b64 exec, exec, s[20:21]
	v_cmp_gt_u32_e64 s[16:17], 16, v14
	s_and_saveexec_b64 s[20:21], s[16:17]
	s_cbranch_execnz .LBB128_249
	s_branch .LBB128_250
.LBB128_1184:
	v_lshlrev_b32_e32 v32, 3, v20
	v_sub_u32_e32 v32, v31, v32
	v_lshl_add_u32 v32, v19, 3, v32
	ds_read_b64 v[32:33], v32 offset:8864
	ds_read_b64 v[34:35], v31 offset:8328
	s_waitcnt lgkmcnt(0)
	v_fma_f64 v[10:11], v[32:33], v[34:35], v[10:11]
	s_or_b64 exec, exec, s[20:21]
	v_cmp_gt_u32_e64 s[14:15], 8, v14
	s_and_saveexec_b64 s[0:1], s[14:15]
	s_cbranch_execz .LBB128_338
.LBB128_1185:
	ds_read_b64 v[32:33], v16 offset:9376
	ds_read_b64 v[34:35], v31 offset:8336
	s_waitcnt lgkmcnt(0)
	v_fma_f64 v[10:11], v[32:33], v[34:35], v[10:11]
	s_or_b64 exec, exec, s[0:1]
	v_cmp_gt_u32_e64 s[14:15], 4, v14
	s_and_saveexec_b64 s[20:21], s[14:15]
	s_cbranch_execnz .LBB128_339
	s_branch .LBB128_340
.LBB128_1186:
	v_lshlrev_b32_e32 v32, 3, v25
	v_sub_u32_e32 v32, v31, v32
	v_lshl_add_u32 v32, v24, 3, v32
	ds_read_b64 v[32:33], v32 offset:8896
	ds_read_b64 v[34:35], v31 offset:8328
	s_waitcnt lgkmcnt(0)
	v_fma_f64 v[10:11], v[32:33], v[34:35], v[10:11]
	s_or_b64 exec, exec, s[20:21]
	v_cmp_gt_u32_e64 s[14:15], 48, v14
	s_and_saveexec_b64 s[20:21], s[14:15]
	s_cbranch_execz .LBB128_380
.LBB128_1187:
	v_lshlrev_b32_e32 v32, 3, v25
	v_sub_u32_e32 v32, v31, v32
	v_lshl_add_u32 v32, v24, 3, v32
	ds_read_b64 v[32:33], v32 offset:9408
	ds_read_b64 v[34:35], v31 offset:8336
	s_waitcnt lgkmcnt(0)
	v_fma_f64 v[10:11], v[32:33], v[34:35], v[10:11]
	s_or_b64 exec, exec, s[20:21]
	v_cmp_gt_u32_e64 s[14:15], 40, v14
	s_and_saveexec_b64 s[20:21], s[14:15]
	s_cbranch_execz .LBB128_381
.LBB128_1188:
	v_lshlrev_b32_e32 v32, 3, v25
	v_sub_u32_e32 v32, v31, v32
	v_lshl_add_u32 v32, v24, 3, v32
	ds_read_b64 v[32:33], v32 offset:9920
	ds_read_b64 v[34:35], v31 offset:8344
	s_waitcnt lgkmcnt(0)
	v_fma_f64 v[10:11], v[32:33], v[34:35], v[10:11]
	s_or_b64 exec, exec, s[20:21]
	v_cmp_gt_u32_e64 s[14:15], 32, v14
	s_and_saveexec_b64 s[0:1], s[14:15]
	s_cbranch_execz .LBB128_382
.LBB128_1189:
	ds_read_b64 v[32:33], v21 offset:10432
	ds_read_b64 v[34:35], v31 offset:8352
	s_waitcnt lgkmcnt(0)
	v_fma_f64 v[10:11], v[32:33], v[34:35], v[10:11]
	s_or_b64 exec, exec, s[0:1]
	v_cmp_gt_u32_e64 s[14:15], 24, v14
	s_and_saveexec_b64 s[20:21], s[14:15]
	s_cbranch_execz .LBB128_383
.LBB128_1190:
	v_lshlrev_b32_e32 v32, 3, v25
	v_sub_u32_e32 v32, v31, v32
	v_lshl_add_u32 v32, v24, 3, v32
	ds_read_b64 v[32:33], v32 offset:10944
	ds_read_b64 v[34:35], v31 offset:8360
	s_waitcnt lgkmcnt(0)
	v_fma_f64 v[10:11], v[32:33], v[34:35], v[10:11]
	s_or_b64 exec, exec, s[20:21]
	v_cmp_gt_u32_e64 s[14:15], 16, v14
	s_and_saveexec_b64 s[0:1], s[14:15]
	s_cbranch_execz .LBB128_384
.LBB128_1191:
	ds_read_b64 v[32:33], v21 offset:11456
	ds_read_b64 v[34:35], v31 offset:8368
	s_waitcnt lgkmcnt(0)
	v_fma_f64 v[10:11], v[32:33], v[34:35], v[10:11]
	s_or_b64 exec, exec, s[0:1]
	v_cmp_gt_u32_e64 s[14:15], 8, v14
	s_and_saveexec_b64 s[20:21], s[14:15]
	s_cbranch_execnz .LBB128_385
	s_branch .LBB128_386
.LBB128_1192:
	v_lshlrev_b32_e32 v32, 3, v20
	v_sub_u32_e32 v32, v31, v32
	v_lshl_add_u32 v32, v19, 3, v32
	ds_read_b64 v[32:33], v32 offset:13024
	ds_read_b64 v[34:35], v31 offset:12488
	s_waitcnt lgkmcnt(0)
	v_fma_f64 v[10:11], v[32:33], v[34:35], v[10:11]
	s_or_b64 exec, exec, s[20:21]
	v_cmp_gt_u32_e64 s[14:15], 8, v14
	s_and_saveexec_b64 s[0:1], s[14:15]
	s_cbranch_execz .LBB128_442
.LBB128_1193:
	ds_read_b64 v[32:33], v16 offset:13536
	ds_read_b64 v[34:35], v31 offset:12496
	s_waitcnt lgkmcnt(0)
	v_fma_f64 v[10:11], v[32:33], v[34:35], v[10:11]
	s_or_b64 exec, exec, s[0:1]
	v_cmp_gt_u32_e64 s[14:15], 4, v14
	s_and_saveexec_b64 s[20:21], s[14:15]
	s_cbranch_execnz .LBB128_443
	s_branch .LBB128_444
.LBB128_1194:
	ds_read_b64 v[36:37], v31 offset:15104
	ds_read_b64 v[38:39], v35 offset:232
	s_waitcnt lgkmcnt(0)
	v_fma_f64 v[10:11], v[36:37], v[38:39], v[10:11]
	s_or_b64 exec, exec, s[0:1]
	v_cmp_gt_u32_e64 s[20:21], 64, v14
	s_and_saveexec_b64 s[0:1], s[20:21]
	s_cbranch_execz .LBB128_540
.LBB128_1195:
	ds_read_b64 v[36:37], v31 offset:15616
	ds_read_b64 v[38:39], v35 offset:240
	s_waitcnt lgkmcnt(0)
	v_fma_f64 v[10:11], v[36:37], v[38:39], v[10:11]
	s_or_b64 exec, exec, s[0:1]
	v_cmp_gt_u32_e64 s[20:21], 32, v14
	s_and_saveexec_b64 s[0:1], s[20:21]
	s_cbranch_execnz .LBB128_541
	s_branch .LBB128_542
.LBB128_1196:
	v_lshlrev_b32_e32 v32, 3, v20
	v_sub_u32_e32 v32, v31, v32
	v_lshl_add_u32 v32, v19, 3, v32
	ds_read_b64 v[32:33], v32 offset:17184
	ds_read_b64 v[34:35], v31 offset:16648
	s_waitcnt lgkmcnt(0)
	v_fma_f64 v[10:11], v[32:33], v[34:35], v[10:11]
	s_or_b64 exec, exec, s[16:17]
	v_cmp_gt_u32_e64 s[12:13], 8, v14
	s_and_saveexec_b64 s[0:1], s[12:13]
	s_cbranch_execz .LBB128_694
.LBB128_1197:
	ds_read_b64 v[32:33], v16 offset:17696
	ds_read_b64 v[34:35], v31 offset:16656
	s_waitcnt lgkmcnt(0)
	v_fma_f64 v[10:11], v[32:33], v[34:35], v[10:11]
	s_or_b64 exec, exec, s[0:1]
	v_cmp_gt_u32_e64 s[12:13], 4, v14
	s_and_saveexec_b64 s[0:1], s[12:13]
	s_cbranch_execnz .LBB128_695
	s_branch .LBB128_696
.LBB128_1198:
	v_lshlrev_b32_e32 v32, 3, v25
	v_sub_u32_e32 v32, v31, v32
	v_lshl_add_u32 v32, v24, 3, v32
	ds_read_b64 v[32:33], v32 offset:17216
	ds_read_b64 v[34:35], v31 offset:16648
	s_waitcnt lgkmcnt(0)
	v_fma_f64 v[10:11], v[32:33], v[34:35], v[10:11]
	s_or_b64 exec, exec, s[16:17]
	v_cmp_gt_u32_e64 s[12:13], 48, v14
	s_and_saveexec_b64 s[0:1], s[12:13]
	s_cbranch_execz .LBB128_736
.LBB128_1199:
	v_lshlrev_b32_e32 v32, 3, v25
	v_sub_u32_e32 v32, v31, v32
	v_lshl_add_u32 v32, v24, 3, v32
	ds_read_b64 v[32:33], v32 offset:17728
	ds_read_b64 v[34:35], v31 offset:16656
	s_waitcnt lgkmcnt(0)
	v_fma_f64 v[10:11], v[32:33], v[34:35], v[10:11]
	s_or_b64 exec, exec, s[0:1]
	v_cmp_gt_u32_e64 s[12:13], 40, v14
	s_and_saveexec_b64 s[0:1], s[12:13]
	s_cbranch_execz .LBB128_737
.LBB128_1200:
	v_lshlrev_b32_e32 v32, 3, v25
	v_sub_u32_e32 v32, v31, v32
	v_lshl_add_u32 v32, v24, 3, v32
	ds_read_b64 v[32:33], v32 offset:18240
	ds_read_b64 v[34:35], v31 offset:16664
	s_waitcnt lgkmcnt(0)
	v_fma_f64 v[10:11], v[32:33], v[34:35], v[10:11]
	s_or_b64 exec, exec, s[0:1]
	v_cmp_gt_u32_e64 s[12:13], 32, v14
	s_and_saveexec_b64 s[0:1], s[12:13]
	s_cbranch_execz .LBB128_738
.LBB128_1201:
	ds_read_b64 v[32:33], v21 offset:18752
	ds_read_b64 v[34:35], v31 offset:16672
	s_waitcnt lgkmcnt(0)
	v_fma_f64 v[10:11], v[32:33], v[34:35], v[10:11]
	s_or_b64 exec, exec, s[0:1]
	v_cmp_gt_u32_e64 s[12:13], 24, v14
	s_and_saveexec_b64 s[0:1], s[12:13]
	s_cbranch_execz .LBB128_739
.LBB128_1202:
	v_lshlrev_b32_e32 v32, 3, v25
	v_sub_u32_e32 v32, v31, v32
	v_lshl_add_u32 v32, v24, 3, v32
	ds_read_b64 v[32:33], v32 offset:19264
	ds_read_b64 v[34:35], v31 offset:16680
	s_waitcnt lgkmcnt(0)
	v_fma_f64 v[10:11], v[32:33], v[34:35], v[10:11]
	s_or_b64 exec, exec, s[0:1]
	v_cmp_gt_u32_e64 s[12:13], 16, v14
	s_and_saveexec_b64 s[0:1], s[12:13]
	s_cbranch_execz .LBB128_740
.LBB128_1203:
	ds_read_b64 v[32:33], v21 offset:19776
	ds_read_b64 v[34:35], v31 offset:16688
	s_waitcnt lgkmcnt(0)
	v_fma_f64 v[10:11], v[32:33], v[34:35], v[10:11]
	s_or_b64 exec, exec, s[0:1]
	v_cmp_gt_u32_e64 s[12:13], 8, v14
	s_and_saveexec_b64 s[0:1], s[12:13]
	s_cbranch_execnz .LBB128_741
	s_branch .LBB128_742
.LBB128_1204:
	v_lshlrev_b32_e32 v32, 3, v20
	v_sub_u32_e32 v32, v31, v32
	v_lshl_add_u32 v32, v19, 3, v32
	ds_read_b64 v[32:33], v32 offset:21344
	ds_read_b64 v[34:35], v31 offset:20808
	s_waitcnt lgkmcnt(0)
	v_fma_f64 v[10:11], v[32:33], v[34:35], v[10:11]
	s_or_b64 exec, exec, s[16:17]
	v_cmp_gt_u32_e64 s[12:13], 8, v14
	s_and_saveexec_b64 s[0:1], s[12:13]
	s_cbranch_execz .LBB128_798
.LBB128_1205:
	ds_read_b64 v[32:33], v16 offset:21856
	ds_read_b64 v[34:35], v31 offset:20816
	s_waitcnt lgkmcnt(0)
	v_fma_f64 v[10:11], v[32:33], v[34:35], v[10:11]
	s_or_b64 exec, exec, s[0:1]
	v_cmp_gt_u32_e64 s[12:13], 4, v14
	s_and_saveexec_b64 s[0:1], s[12:13]
	s_cbranch_execnz .LBB128_799
	s_branch .LBB128_800
.LBB128_1206:
	v_lshlrev_b32_e32 v30, 3, v27
	v_lshl_add_u32 v30, v29, 3, v30
	ds_read_b64 v[32:33], v30 offset:22400
	ds_read_b64 v[34:35], v31 offset:16728
	s_waitcnt lgkmcnt(0)
	v_fma_f64 v[10:11], v[32:33], v[34:35], v[10:11]
	s_or_b64 exec, exec, s[0:1]
	v_cmp_gt_u32_e64 s[12:13], 64, v14
	s_and_saveexec_b64 s[0:1], s[12:13]
	s_cbranch_execz .LBB128_860
.LBB128_1207:
	ds_read_b64 v[32:33], v26 offset:22912
	ds_read_b64 v[34:35], v31 offset:16736
	s_waitcnt lgkmcnt(0)
	v_fma_f64 v[10:11], v[32:33], v[34:35], v[10:11]
	s_or_b64 exec, exec, s[0:1]
	v_cmp_gt_u32_e64 s[12:13], 48, v14
	s_and_saveexec_b64 s[0:1], s[12:13]
	s_cbranch_execz .LBB128_861
.LBB128_1208:
	v_lshlrev_b32_e32 v30, 3, v27
	v_lshl_add_u32 v29, v29, 3, v30
	ds_read_b64 v[29:30], v29 offset:23424
	ds_read_b64 v[32:33], v31 offset:16744
	s_waitcnt lgkmcnt(0)
	v_fma_f64 v[10:11], v[29:30], v[32:33], v[10:11]
	s_or_b64 exec, exec, s[0:1]
	v_cmp_gt_u32_e64 s[12:13], 32, v14
	s_and_saveexec_b64 s[0:1], s[12:13]
	s_cbranch_execz .LBB128_862
.LBB128_1209:
	ds_read_b64 v[29:30], v26 offset:23936
	ds_read_b64 v[31:32], v31 offset:16752
	s_waitcnt lgkmcnt(0)
	v_fma_f64 v[10:11], v[29:30], v[31:32], v[10:11]
	s_or_b64 exec, exec, s[0:1]
	v_cmp_gt_u32_e64 s[12:13], 16, v14
	s_and_saveexec_b64 s[0:1], s[12:13]
	s_cbranch_execnz .LBB128_863
	s_branch .LBB128_864
.LBB128_1210:
	v_lshlrev_b32_e32 v27, 3, v20
	v_sub_u32_e32 v27, v26, v27
	v_lshl_add_u32 v27, v19, 3, v27
	ds_read_b64 v[27:28], v27 offset:25504
	ds_read_b64 v[29:30], v26 offset:24968
	s_waitcnt lgkmcnt(0)
	v_fma_f64 v[10:11], v[27:28], v[29:30], v[10:11]
	s_or_b64 exec, exec, s[12:13]
	v_cmp_gt_u32_e64 s[10:11], 8, v14
	s_and_saveexec_b64 s[12:13], s[10:11]
	s_cbranch_execz .LBB128_952
.LBB128_1211:
	ds_read_b64 v[27:28], v16 offset:26016
	ds_read_b64 v[29:30], v26 offset:24976
	s_waitcnt lgkmcnt(0)
	v_fma_f64 v[10:11], v[27:28], v[29:30], v[10:11]
	s_or_b64 exec, exec, s[12:13]
	v_cmp_gt_u32_e64 s[10:11], 4, v14
	s_and_saveexec_b64 s[12:13], s[10:11]
	s_cbranch_execnz .LBB128_953
	s_branch .LBB128_954
.LBB128_1212:
	v_lshlrev_b32_e32 v27, 3, v25
	v_sub_u32_e32 v27, v26, v27
	v_lshl_add_u32 v27, v24, 3, v27
	ds_read_b64 v[27:28], v27 offset:25536
	ds_read_b64 v[29:30], v26 offset:24968
	s_waitcnt lgkmcnt(0)
	v_fma_f64 v[10:11], v[27:28], v[29:30], v[10:11]
	s_or_b64 exec, exec, s[12:13]
	v_cmp_gt_u32_e64 s[10:11], 48, v14
	s_and_saveexec_b64 s[12:13], s[10:11]
	s_cbranch_execz .LBB128_994
.LBB128_1213:
	v_lshlrev_b32_e32 v27, 3, v25
	v_sub_u32_e32 v27, v26, v27
	v_lshl_add_u32 v27, v24, 3, v27
	ds_read_b64 v[27:28], v27 offset:26048
	ds_read_b64 v[29:30], v26 offset:24976
	s_waitcnt lgkmcnt(0)
	v_fma_f64 v[10:11], v[27:28], v[29:30], v[10:11]
	s_or_b64 exec, exec, s[12:13]
	v_cmp_gt_u32_e64 s[10:11], 40, v14
	s_and_saveexec_b64 s[12:13], s[10:11]
	s_cbranch_execz .LBB128_995
.LBB128_1214:
	v_lshlrev_b32_e32 v27, 3, v25
	v_sub_u32_e32 v27, v26, v27
	v_lshl_add_u32 v27, v24, 3, v27
	ds_read_b64 v[27:28], v27 offset:26560
	ds_read_b64 v[29:30], v26 offset:24984
	s_waitcnt lgkmcnt(0)
	v_fma_f64 v[10:11], v[27:28], v[29:30], v[10:11]
	s_or_b64 exec, exec, s[12:13]
	v_cmp_gt_u32_e64 s[10:11], 32, v14
	s_and_saveexec_b64 s[12:13], s[10:11]
	s_cbranch_execz .LBB128_996
.LBB128_1215:
	ds_read_b64 v[27:28], v21 offset:27072
	ds_read_b64 v[29:30], v26 offset:24992
	s_waitcnt lgkmcnt(0)
	v_fma_f64 v[10:11], v[27:28], v[29:30], v[10:11]
	s_or_b64 exec, exec, s[12:13]
	v_cmp_gt_u32_e64 s[10:11], 24, v14
	s_and_saveexec_b64 s[12:13], s[10:11]
	s_cbranch_execz .LBB128_997
.LBB128_1216:
	v_lshlrev_b32_e32 v25, 3, v25
	v_sub_u32_e32 v25, v26, v25
	v_lshl_add_u32 v24, v24, 3, v25
	ds_read_b64 v[24:25], v24 offset:27584
	ds_read_b64 v[27:28], v26 offset:25000
	s_waitcnt lgkmcnt(0)
	v_fma_f64 v[10:11], v[24:25], v[27:28], v[10:11]
	s_or_b64 exec, exec, s[12:13]
	v_cmp_gt_u32_e64 s[10:11], 16, v14
	s_and_saveexec_b64 s[12:13], s[10:11]
	s_cbranch_execz .LBB128_998
.LBB128_1217:
	ds_read_b64 v[24:25], v21 offset:28096
	ds_read_b64 v[26:27], v26 offset:25008
	s_waitcnt lgkmcnt(0)
	v_fma_f64 v[10:11], v[24:25], v[26:27], v[10:11]
	s_or_b64 exec, exec, s[12:13]
	v_cmp_gt_u32_e64 s[10:11], 8, v14
	s_and_saveexec_b64 s[12:13], s[10:11]
	s_cbranch_execnz .LBB128_999
	s_branch .LBB128_1000
.LBB128_1218:
	v_lshlrev_b32_e32 v20, 3, v20
	v_sub_u32_e32 v20, v21, v20
	v_lshl_add_u32 v19, v19, 3, v20
	ds_read_b64 v[19:20], v19 offset:29664
	ds_read_b64 v[22:23], v21 offset:29128
	s_waitcnt lgkmcnt(0)
	v_fma_f64 v[10:11], v[19:20], v[22:23], v[10:11]
	s_or_b64 exec, exec, s[10:11]
	v_cmp_gt_u32_e64 s[8:9], 8, v14
	s_and_saveexec_b64 s[10:11], s[8:9]
	s_cbranch_execz .LBB128_1056
.LBB128_1219:
	ds_read_b64 v[19:20], v16 offset:30176
	ds_read_b64 v[21:22], v21 offset:29136
	s_waitcnt lgkmcnt(0)
	v_fma_f64 v[10:11], v[19:20], v[21:22], v[10:11]
	s_or_b64 exec, exec, s[10:11]
	v_cmp_gt_u32_e64 s[8:9], 4, v14
	s_and_saveexec_b64 s[10:11], s[8:9]
	s_cbranch_execnz .LBB128_1057
	s_branch .LBB128_1058
	.section	.rodata,"a",@progbits
	.p2align	6, 0x0
	.amdhsa_kernel _ZL19rocblas_trsv_deviceILi64ELi16ELb1ELb1ELb0ELb1EdPKdPKS1_PKPdEviT7_lllT6_T8_lllPii
		.amdhsa_group_segment_fixed_size 41480
		.amdhsa_private_segment_fixed_size 0
		.amdhsa_kernarg_size 352
		.amdhsa_user_sgpr_count 6
		.amdhsa_user_sgpr_private_segment_buffer 1
		.amdhsa_user_sgpr_dispatch_ptr 0
		.amdhsa_user_sgpr_queue_ptr 0
		.amdhsa_user_sgpr_kernarg_segment_ptr 1
		.amdhsa_user_sgpr_dispatch_id 0
		.amdhsa_user_sgpr_flat_scratch_init 0
		.amdhsa_user_sgpr_private_segment_size 0
		.amdhsa_uses_dynamic_stack 0
		.amdhsa_system_sgpr_private_segment_wavefront_offset 0
		.amdhsa_system_sgpr_workgroup_id_x 1
		.amdhsa_system_sgpr_workgroup_id_y 0
		.amdhsa_system_sgpr_workgroup_id_z 1
		.amdhsa_system_sgpr_workgroup_info 0
		.amdhsa_system_vgpr_workitem_id 1
		.amdhsa_next_free_vgpr 49
		.amdhsa_next_free_sgpr 98
		.amdhsa_reserve_vcc 1
		.amdhsa_reserve_flat_scratch 0
		.amdhsa_float_round_mode_32 0
		.amdhsa_float_round_mode_16_64 0
		.amdhsa_float_denorm_mode_32 3
		.amdhsa_float_denorm_mode_16_64 3
		.amdhsa_dx10_clamp 1
		.amdhsa_ieee_mode 1
		.amdhsa_fp16_overflow 0
		.amdhsa_exception_fp_ieee_invalid_op 0
		.amdhsa_exception_fp_denorm_src 0
		.amdhsa_exception_fp_ieee_div_zero 0
		.amdhsa_exception_fp_ieee_overflow 0
		.amdhsa_exception_fp_ieee_underflow 0
		.amdhsa_exception_fp_ieee_inexact 0
		.amdhsa_exception_int_div_zero 0
	.end_amdhsa_kernel
	.section	.text._ZL19rocblas_trsv_deviceILi64ELi16ELb1ELb1ELb0ELb1EdPKdPKS1_PKPdEviT7_lllT6_T8_lllPii,"axG",@progbits,_ZL19rocblas_trsv_deviceILi64ELi16ELb1ELb1ELb0ELb1EdPKdPKS1_PKPdEviT7_lllT6_T8_lllPii,comdat
.Lfunc_end128:
	.size	_ZL19rocblas_trsv_deviceILi64ELi16ELb1ELb1ELb0ELb1EdPKdPKS1_PKPdEviT7_lllT6_T8_lllPii, .Lfunc_end128-_ZL19rocblas_trsv_deviceILi64ELi16ELb1ELb1ELb0ELb1EdPKdPKS1_PKPdEviT7_lllT6_T8_lllPii
                                        ; -- End function
	.set _ZL19rocblas_trsv_deviceILi64ELi16ELb1ELb1ELb0ELb1EdPKdPKS1_PKPdEviT7_lllT6_T8_lllPii.num_vgpr, 41
	.set _ZL19rocblas_trsv_deviceILi64ELi16ELb1ELb1ELb0ELb1EdPKdPKS1_PKPdEviT7_lllT6_T8_lllPii.num_agpr, 0
	.set _ZL19rocblas_trsv_deviceILi64ELi16ELb1ELb1ELb0ELb1EdPKdPKS1_PKPdEviT7_lllT6_T8_lllPii.numbered_sgpr, 96
	.set _ZL19rocblas_trsv_deviceILi64ELi16ELb1ELb1ELb0ELb1EdPKdPKS1_PKPdEviT7_lllT6_T8_lllPii.num_named_barrier, 0
	.set _ZL19rocblas_trsv_deviceILi64ELi16ELb1ELb1ELb0ELb1EdPKdPKS1_PKPdEviT7_lllT6_T8_lllPii.private_seg_size, 0
	.set _ZL19rocblas_trsv_deviceILi64ELi16ELb1ELb1ELb0ELb1EdPKdPKS1_PKPdEviT7_lllT6_T8_lllPii.uses_vcc, 1
	.set _ZL19rocblas_trsv_deviceILi64ELi16ELb1ELb1ELb0ELb1EdPKdPKS1_PKPdEviT7_lllT6_T8_lllPii.uses_flat_scratch, 0
	.set _ZL19rocblas_trsv_deviceILi64ELi16ELb1ELb1ELb0ELb1EdPKdPKS1_PKPdEviT7_lllT6_T8_lllPii.has_dyn_sized_stack, 0
	.set _ZL19rocblas_trsv_deviceILi64ELi16ELb1ELb1ELb0ELb1EdPKdPKS1_PKPdEviT7_lllT6_T8_lllPii.has_recursion, 0
	.set _ZL19rocblas_trsv_deviceILi64ELi16ELb1ELb1ELb0ELb1EdPKdPKS1_PKPdEviT7_lllT6_T8_lllPii.has_indirect_call, 0
	.section	.AMDGPU.csdata,"",@progbits
; Kernel info:
; codeLenInByte = 35284
; TotalNumSgprs: 100
; NumVgprs: 41
; ScratchSize: 0
; MemoryBound: 0
; FloatMode: 240
; IeeeMode: 1
; LDSByteSize: 41480 bytes/workgroup (compile time only)
; SGPRBlocks: 12
; VGPRBlocks: 12
; NumSGPRsForWavesPerEU: 102
; NumVGPRsForWavesPerEU: 49
; Occupancy: 4
; WaveLimiterHint : 1
; COMPUTE_PGM_RSRC2:SCRATCH_EN: 0
; COMPUTE_PGM_RSRC2:USER_SGPR: 6
; COMPUTE_PGM_RSRC2:TRAP_HANDLER: 0
; COMPUTE_PGM_RSRC2:TGID_X_EN: 1
; COMPUTE_PGM_RSRC2:TGID_Y_EN: 0
; COMPUTE_PGM_RSRC2:TGID_Z_EN: 1
; COMPUTE_PGM_RSRC2:TIDIG_COMP_CNT: 1
	.section	.text._ZL19rocblas_trsv_deviceILi64ELi16ELb1ELb1ELb1ELb1EdPKdPKS1_PKPdEviT7_lllT6_T8_lllPii,"axG",@progbits,_ZL19rocblas_trsv_deviceILi64ELi16ELb1ELb1ELb1ELb1EdPKdPKS1_PKPdEviT7_lllT6_T8_lllPii,comdat
	.globl	_ZL19rocblas_trsv_deviceILi64ELi16ELb1ELb1ELb1ELb1EdPKdPKS1_PKPdEviT7_lllT6_T8_lllPii ; -- Begin function _ZL19rocblas_trsv_deviceILi64ELi16ELb1ELb1ELb1ELb1EdPKdPKS1_PKPdEviT7_lllT6_T8_lllPii
	.p2align	8
	.type	_ZL19rocblas_trsv_deviceILi64ELi16ELb1ELb1ELb1ELb1EdPKdPKS1_PKPdEviT7_lllT6_T8_lllPii,@function
_ZL19rocblas_trsv_deviceILi64ELi16ELb1ELb1ELb1ELb1EdPKdPKS1_PKPdEviT7_lllT6_T8_lllPii: ; @_ZL19rocblas_trsv_deviceILi64ELi16ELb1ELb1ELb1ELb1EdPKdPKS1_PKPdEviT7_lllT6_T8_lllPii
; %bb.0:
	s_load_dwordx4 s[0:3], s[4:5], 0x8
	s_mov_b32 s28, s7
	s_mov_b32 s29, 0
	s_lshl_b64 s[8:9], s[28:29], 3
	s_waitcnt lgkmcnt(0)
	s_add_u32 s0, s0, s8
	s_addc_u32 s1, s1, s9
	s_load_dwordx2 s[10:11], s[0:1], 0x0
	s_load_dword s30, s[4:5], 0x0
	s_load_dwordx8 s[20:27], s[4:5], 0x28
	s_load_dwordx2 s[34:35], s[4:5], 0x18
	s_lshl_b64 s[0:1], s[2:3], 3
	s_waitcnt lgkmcnt(0)
	s_add_u32 s91, s10, s0
	s_addc_u32 s94, s11, s1
	s_add_u32 s0, s22, s8
	s_load_dword s7, s[4:5], 0x60
	s_addc_u32 s1, s23, s9
	s_load_dwordx2 s[38:39], s[0:1], 0x0
	s_load_dwordx2 s[16:17], s[20:21], 0x0
	s_load_dword s95, s[4:5], 0x6c
	s_waitcnt lgkmcnt(0)
	s_add_i32 s7, s7, -1
	s_sub_i32 s33, s7, s6
	s_cmp_eq_u32 s6, 0
	s_cbranch_scc1 .LBB129_10
; %bb.1:
	s_lshl_b32 s2, s33, 6
	v_add_u32_e32 v4, s2, v0
	v_ashrrev_i32_e32 v2, 31, v4
	v_mul_lo_u32 v5, s34, v2
	v_mul_lo_u32 v6, s35, v4
	v_mad_u64_u32 v[2:3], s[0:1], s34, v4, 0
	v_add3_u32 v10, v1, s2, 64
	v_ashrrev_i32_e32 v11, 31, v10
	v_add3_u32 v3, v3, v5, v6
	v_lshlrev_b64 v[2:3], 3, v[2:3]
	v_cmp_gt_i32_e32 vcc, s30, v4
	v_mov_b32_e32 v4, s94
	v_add_co_u32_e64 v5, s[0:1], s91, v2
	v_addc_co_u32_e64 v4, s[0:1], v4, v3, s[0:1]
	v_lshlrev_b64 v[2:3], 3, v[10:11]
	v_add_co_u32_e64 v11, s[0:1], v5, v2
	v_addc_co_u32_e64 v12, s[0:1], v4, v3, s[0:1]
	v_cmp_gt_i32_e64 s[0:1], s30, v10
	v_mov_b32_e32 v2, 0
	v_mov_b32_e32 v4, 0
	;; [unrolled: 1-line block ×4, first 2 shown]
	s_and_b64 s[2:3], s[0:1], vcc
	s_barrier
	s_and_saveexec_b64 s[0:1], s[2:3]
	s_cbranch_execz .LBB129_3
; %bb.2:
	flat_load_dwordx2 v[4:5], v[11:12]
.LBB129_3:
	s_or_b64 exec, exec, s[0:1]
	v_add_u32_e32 v6, 16, v10
	v_cmp_gt_i32_e64 s[0:1], s30, v6
	s_and_b64 s[2:3], s[0:1], vcc
	s_waitcnt vmcnt(0) lgkmcnt(0)
	s_barrier
	s_and_saveexec_b64 s[0:1], s[2:3]
	s_cbranch_execz .LBB129_5
; %bb.4:
	flat_load_dwordx2 v[2:3], v[11:12] offset:128
.LBB129_5:
	s_or_b64 exec, exec, s[0:1]
	v_add_u32_e32 v6, 32, v10
	v_cmp_gt_i32_e64 s[0:1], s30, v6
	v_mov_b32_e32 v6, 0
	v_mov_b32_e32 v8, 0
	;; [unrolled: 1-line block ×4, first 2 shown]
	s_and_b64 s[2:3], s[0:1], vcc
	s_waitcnt vmcnt(0) lgkmcnt(0)
	s_barrier
	s_and_saveexec_b64 s[0:1], s[2:3]
	s_cbranch_execz .LBB129_7
; %bb.6:
	flat_load_dwordx2 v[8:9], v[11:12] offset:256
.LBB129_7:
	s_or_b64 exec, exec, s[0:1]
	v_add_u32_e32 v10, 48, v10
	v_cmp_gt_i32_e64 s[0:1], s30, v10
	s_and_b64 s[2:3], s[0:1], vcc
	s_waitcnt vmcnt(0) lgkmcnt(0)
	s_barrier
	s_and_saveexec_b64 s[0:1], s[2:3]
	s_cbranch_execz .LBB129_9
; %bb.8:
	flat_load_dwordx2 v[6:7], v[11:12] offset:384
.LBB129_9:
	s_or_b64 exec, exec, s[0:1]
	s_branch .LBB129_11
.LBB129_10:
                                        ; implicit-def: $vgpr6_vgpr7
                                        ; implicit-def: $vgpr8_vgpr9
                                        ; implicit-def: $vgpr2_vgpr3
                                        ; implicit-def: $vgpr4_vgpr5
.LBB129_11:
	s_ashr_i32 s31, s30, 31
	s_lshr_b32 s0, s31, 26
	s_add_i32 s0, s30, s0
	s_andn2_b32 s0, s0, 63
	s_sub_i32 s90, s30, s0
	s_add_i32 s0, s30, -1
	s_ashr_i32 s1, s0, 31
	s_lshr_b32 s1, s1, 26
	s_add_i32 s0, s0, s1
	s_ashr_i32 s0, s0, 6
	s_cmp_eq_u32 s0, s33
	s_cselect_b64 s[0:1], -1, 0
	s_cmp_lg_u32 s90, 0
	s_cselect_b64 s[2:3], -1, 0
	s_and_b64 s[22:23], s[2:3], s[0:1]
	s_cmp_lt_i32 s6, 5
	s_cselect_b64 s[2:3], -1, 0
	s_mov_b64 s[12:13], -1
	s_or_b64 s[0:1], s[2:3], s[22:23]
	v_lshlrev_b32_e32 v14, 6, v0
	s_and_b64 vcc, exec, s[22:23]
	v_cmp_le_u32_e64 s[8:9], v0, v1
	s_cbranch_vccnz .LBB129_33
; %bb.12:
	s_add_u32 s10, s34, 1
	s_addc_u32 s11, s35, 0
	s_lshl_b32 s12, s33, 6
	s_ashr_i32 s13, s12, 31
	s_mul_hi_u32 s14, s10, s12
	s_mul_i32 s13, s10, s13
	s_add_i32 s13, s14, s13
	s_mul_i32 s11, s11, s12
	s_add_i32 s11, s13, s11
	s_mul_i32 s10, s10, s12
	s_lshl_b64 s[10:11], s[10:11], 3
	s_add_u32 s10, s91, s10
	s_addc_u32 s11, s94, s11
	v_lshlrev_b32_e32 v10, 3, v0
	v_mov_b32_e32 v11, s11
	v_add_co_u32_e32 v10, vcc, s10, v10
	v_addc_co_u32_e32 v11, vcc, 0, v11, vcc
	s_mov_b64 s[10:11], 0
	s_and_saveexec_b64 s[12:13], s[8:9]
	s_xor_b64 s[8:9], exec, s[12:13]
; %bb.13:
	v_or_b32_e32 v12, v1, v0
	v_cmp_gt_u32_e32 vcc, 64, v12
	s_and_b64 s[10:11], vcc, exec
; %bb.14:
	s_or_saveexec_b64 s[8:9], s[8:9]
	v_mov_b32_e32 v12, 0
	v_mov_b32_e32 v13, 0
	s_xor_b64 exec, exec, s[8:9]
	s_cbranch_execz .LBB129_16
; %bb.15:
	v_mad_u64_u32 v[12:13], s[12:13], s34, v1, 0
	s_or_b64 s[10:11], s[10:11], exec
	v_mad_u64_u32 v[15:16], s[12:13], s35, v1, v[13:14]
	v_mov_b32_e32 v13, v15
	v_lshlrev_b64 v[12:13], 3, v[12:13]
	v_add_co_u32_e32 v12, vcc, v10, v12
	v_addc_co_u32_e32 v13, vcc, v11, v13, vcc
	flat_load_dwordx2 v[12:13], v[12:13]
	s_waitcnt vmcnt(0) lgkmcnt(0)
	v_xor_b32_e32 v13, 0x80000000, v13
.LBB129_16:
	s_or_b64 exec, exec, s[8:9]
	s_and_saveexec_b64 s[8:9], s[10:11]
; %bb.17:
	v_add_u32_e32 v15, v1, v14
	v_lshl_add_u32 v16, v1, 6, v0
	v_cndmask_b32_e64 v15, v16, v15, s[2:3]
	v_lshlrev_b32_e32 v15, 3, v15
	ds_write_b64 v15, v[12:13]
; %bb.18:
	s_or_b64 exec, exec, s[8:9]
	v_add_u32_e32 v15, 16, v1
	v_cmp_le_u32_e32 vcc, v0, v15
	s_mov_b64 s[2:3], 0
	s_and_saveexec_b64 s[8:9], vcc
	s_xor_b64 s[8:9], exec, s[8:9]
; %bb.19:
	v_or_b32_e32 v12, v15, v0
	v_cmp_gt_u32_e32 vcc, 64, v12
	s_and_b64 s[2:3], vcc, exec
; %bb.20:
	s_or_saveexec_b64 s[8:9], s[8:9]
	v_mov_b32_e32 v12, 0
	v_mov_b32_e32 v13, 0
	s_xor_b64 exec, exec, s[8:9]
	s_cbranch_execz .LBB129_22
; %bb.21:
	v_mad_u64_u32 v[12:13], s[10:11], s34, v15, 0
	s_or_b64 s[2:3], s[2:3], exec
	v_mad_u64_u32 v[16:17], s[10:11], s35, v15, v[13:14]
	v_mov_b32_e32 v13, v16
	v_lshlrev_b64 v[12:13], 3, v[12:13]
	v_add_co_u32_e32 v12, vcc, v10, v12
	v_addc_co_u32_e32 v13, vcc, v11, v13, vcc
	flat_load_dwordx2 v[12:13], v[12:13]
	s_waitcnt vmcnt(0) lgkmcnt(0)
	v_xor_b32_e32 v13, 0x80000000, v13
.LBB129_22:
	s_or_b64 exec, exec, s[8:9]
	s_and_saveexec_b64 s[8:9], s[2:3]
; %bb.23:
	v_add_u32_e32 v16, v15, v14
	v_lshl_add_u32 v15, v15, 6, v0
	v_cndmask_b32_e64 v15, v15, v16, s[0:1]
	v_lshlrev_b32_e32 v15, 3, v15
	ds_write_b64 v15, v[12:13]
; %bb.24:
	s_or_b64 exec, exec, s[8:9]
	v_add_u32_e32 v15, 32, v1
	v_cmp_le_u32_e32 vcc, v0, v15
	s_mov_b64 s[2:3], 0
	s_and_saveexec_b64 s[8:9], vcc
	s_xor_b64 s[8:9], exec, s[8:9]
; %bb.25:
	v_or_b32_e32 v12, v15, v0
	v_cmp_gt_u32_e32 vcc, 64, v12
	s_and_b64 s[2:3], vcc, exec
; %bb.26:
	s_or_saveexec_b64 s[8:9], s[8:9]
	v_mov_b32_e32 v12, 0
	v_mov_b32_e32 v13, 0
	s_xor_b64 exec, exec, s[8:9]
	s_cbranch_execz .LBB129_28
; %bb.27:
	v_mad_u64_u32 v[12:13], s[10:11], s34, v15, 0
	s_or_b64 s[2:3], s[2:3], exec
	v_mad_u64_u32 v[16:17], s[10:11], s35, v15, v[13:14]
	v_mov_b32_e32 v13, v16
	v_lshlrev_b64 v[12:13], 3, v[12:13]
	v_add_co_u32_e32 v12, vcc, v10, v12
	v_addc_co_u32_e32 v13, vcc, v11, v13, vcc
	flat_load_dwordx2 v[12:13], v[12:13]
	s_waitcnt vmcnt(0) lgkmcnt(0)
	v_xor_b32_e32 v13, 0x80000000, v13
.LBB129_28:
	s_or_b64 exec, exec, s[8:9]
	s_and_saveexec_b64 s[8:9], s[2:3]
; %bb.29:
	v_add_u32_e32 v16, v15, v14
	v_lshl_add_u32 v15, v15, 6, v0
	v_cndmask_b32_e64 v15, v15, v16, s[0:1]
	v_lshlrev_b32_e32 v15, 3, v15
	ds_write_b64 v15, v[12:13]
; %bb.30:
	s_or_b64 exec, exec, s[8:9]
	v_add_u32_e32 v15, 48, v1
	v_add_u32_e32 v12, v15, v14
	v_lshl_add_u32 v13, v15, 6, v0
	v_cmp_le_u32_e32 vcc, v0, v15
	s_mov_b64 s[2:3], -1
	s_mov_b64 s[12:13], 0
	s_mov_b64 s[10:11], 0
	s_and_saveexec_b64 s[8:9], vcc
	s_xor_b64 s[8:9], exec, s[8:9]
; %bb.31:
	v_or_b32_e32 v16, v15, v0
	v_cmp_gt_u32_e32 vcc, 64, v16
	s_and_b64 s[10:11], vcc, exec
	s_xor_b64 s[2:3], exec, -1
; %bb.32:
	s_or_b64 exec, exec, s[8:9]
	v_cndmask_b32_e64 v16, v13, v12, s[0:1]
	s_and_b64 vcc, exec, s[12:13]
	s_cbranch_vccnz .LBB129_34
	s_branch .LBB129_55
.LBB129_33:
	s_mov_b64 s[2:3], 0
	s_mov_b64 s[10:11], 0
                                        ; implicit-def: $vgpr16
                                        ; implicit-def: $vgpr10_vgpr11
                                        ; implicit-def: $vgpr15
	s_and_b64 vcc, exec, s[12:13]
	s_cbranch_vccz .LBB129_55
.LBB129_34:
	s_add_u32 s2, s34, 1
	s_addc_u32 s3, s35, 0
	s_lshl_b32 s8, s33, 6
	s_ashr_i32 s9, s8, 31
	s_mul_hi_u32 s12, s2, s8
	s_mul_i32 s9, s2, s9
	s_add_i32 s9, s12, s9
	s_mul_i32 s3, s3, s8
	s_add_i32 s3, s9, s3
	s_mul_i32 s2, s2, s8
	s_lshl_b64 s[2:3], s[2:3], 3
	s_add_u32 s2, s91, s2
	s_addc_u32 s3, s94, s3
	v_lshlrev_b32_e32 v10, 3, v0
	v_mov_b32_e32 v11, s3
	v_add_co_u32_e64 v10, s[2:3], s2, v10
	v_addc_co_u32_e64 v11, s[2:3], 0, v11, s[2:3]
	v_max_i32_e32 v12, v1, v0
	v_cmp_le_u32_e64 s[2:3], v0, v1
	v_cmp_le_i32_e64 s[8:9], s90, v12
	v_cmp_gt_i32_e32 vcc, s90, v0
	s_or_b64 s[2:3], s[8:9], s[2:3]
	s_mov_b64 s[8:9], 0
	s_and_saveexec_b64 s[12:13], s[2:3]
	s_xor_b64 s[12:13], exec, s[12:13]
; %bb.35:
	v_or_b32_e32 v12, v1, v0
	v_cmp_gt_u32_e64 s[2:3], 64, v12
	s_and_b64 s[8:9], s[2:3], exec
; %bb.36:
	s_or_saveexec_b64 s[12:13], s[12:13]
	v_mov_b32_e32 v12, 0
	v_mov_b32_e32 v13, 0
	s_xor_b64 exec, exec, s[12:13]
	s_cbranch_execz .LBB129_38
; %bb.37:
	v_mad_u64_u32 v[12:13], s[2:3], s34, v1, 0
	s_or_b64 s[8:9], s[8:9], exec
	v_mad_u64_u32 v[15:16], s[2:3], s35, v1, v[13:14]
	v_mov_b32_e32 v13, v15
	v_lshlrev_b64 v[12:13], 3, v[12:13]
	v_add_co_u32_e64 v12, s[2:3], v10, v12
	v_addc_co_u32_e64 v13, s[2:3], v11, v13, s[2:3]
	flat_load_dwordx2 v[12:13], v[12:13]
	s_waitcnt vmcnt(0) lgkmcnt(0)
	v_xor_b32_e32 v13, 0x80000000, v13
.LBB129_38:
	s_or_b64 exec, exec, s[12:13]
	s_and_saveexec_b64 s[2:3], s[8:9]
; %bb.39:
	v_lshlrev_b32_e32 v15, 3, v14
	v_lshl_add_u32 v15, v1, 3, v15
	ds_write_b64 v15, v[12:13]
; %bb.40:
	s_or_b64 exec, exec, s[2:3]
	v_add_u32_e32 v15, 16, v1
	v_cmp_gt_u32_e64 s[2:3], v0, v15
	v_cmp_gt_i32_e64 s[8:9], s90, v15
	s_and_b64 s[2:3], s[2:3], s[8:9]
	s_and_b64 s[2:3], s[2:3], vcc
	s_xor_b64 s[2:3], s[2:3], -1
	s_mov_b64 s[8:9], 0
	s_and_saveexec_b64 s[12:13], s[2:3]
	s_xor_b64 s[12:13], exec, s[12:13]
; %bb.41:
	v_or_b32_e32 v12, v15, v0
	v_cmp_gt_u32_e64 s[2:3], 64, v12
	s_and_b64 s[8:9], s[2:3], exec
; %bb.42:
	s_or_saveexec_b64 s[12:13], s[12:13]
	v_mov_b32_e32 v12, 0
	v_mov_b32_e32 v13, 0
	s_xor_b64 exec, exec, s[12:13]
	s_cbranch_execz .LBB129_44
; %bb.43:
	v_mad_u64_u32 v[12:13], s[2:3], s34, v15, 0
	s_or_b64 s[8:9], s[8:9], exec
	v_mad_u64_u32 v[16:17], s[2:3], s35, v15, v[13:14]
	v_mov_b32_e32 v13, v16
	v_lshlrev_b64 v[12:13], 3, v[12:13]
	v_add_co_u32_e64 v12, s[2:3], v10, v12
	v_addc_co_u32_e64 v13, s[2:3], v11, v13, s[2:3]
	flat_load_dwordx2 v[12:13], v[12:13]
	s_waitcnt vmcnt(0) lgkmcnt(0)
	v_xor_b32_e32 v13, 0x80000000, v13
.LBB129_44:
	s_or_b64 exec, exec, s[12:13]
	s_and_saveexec_b64 s[2:3], s[8:9]
; %bb.45:
	v_add_u32_e32 v16, v15, v14
	v_lshl_add_u32 v15, v15, 6, v0
	v_cndmask_b32_e64 v15, v15, v16, s[0:1]
	v_lshlrev_b32_e32 v15, 3, v15
	ds_write_b64 v15, v[12:13]
; %bb.46:
	s_or_b64 exec, exec, s[2:3]
	v_add_u32_e32 v15, 32, v1
	v_cmp_gt_u32_e64 s[2:3], v0, v15
	v_cmp_gt_i32_e64 s[8:9], s90, v15
	s_and_b64 s[2:3], s[2:3], s[8:9]
	s_and_b64 s[2:3], s[2:3], vcc
	s_xor_b64 s[2:3], s[2:3], -1
	s_mov_b64 s[8:9], 0
	s_and_saveexec_b64 s[12:13], s[2:3]
	s_xor_b64 s[12:13], exec, s[12:13]
; %bb.47:
	v_or_b32_e32 v12, v15, v0
	v_cmp_gt_u32_e64 s[2:3], 64, v12
	s_and_b64 s[8:9], s[2:3], exec
; %bb.48:
	s_or_saveexec_b64 s[12:13], s[12:13]
	v_mov_b32_e32 v12, 0
	v_mov_b32_e32 v13, 0
	s_xor_b64 exec, exec, s[12:13]
	s_cbranch_execz .LBB129_50
; %bb.49:
	v_mad_u64_u32 v[12:13], s[2:3], s34, v15, 0
	s_or_b64 s[8:9], s[8:9], exec
	v_mad_u64_u32 v[16:17], s[2:3], s35, v15, v[13:14]
	v_mov_b32_e32 v13, v16
	v_lshlrev_b64 v[12:13], 3, v[12:13]
	v_add_co_u32_e64 v12, s[2:3], v10, v12
	v_addc_co_u32_e64 v13, s[2:3], v11, v13, s[2:3]
	flat_load_dwordx2 v[12:13], v[12:13]
	s_waitcnt vmcnt(0) lgkmcnt(0)
	v_xor_b32_e32 v13, 0x80000000, v13
.LBB129_50:
	s_or_b64 exec, exec, s[12:13]
	s_and_saveexec_b64 s[2:3], s[8:9]
; %bb.51:
	v_add_u32_e32 v16, v15, v14
	v_lshl_add_u32 v15, v15, 6, v0
	v_cndmask_b32_e64 v15, v15, v16, s[0:1]
	v_lshlrev_b32_e32 v15, 3, v15
	ds_write_b64 v15, v[12:13]
; %bb.52:
	s_or_b64 exec, exec, s[2:3]
	v_add_u32_e32 v15, 48, v1
	v_cmp_gt_u32_e64 s[2:3], v0, v15
	v_cmp_gt_i32_e64 s[8:9], s90, v15
	s_and_b64 s[2:3], s[2:3], s[8:9]
	s_and_b64 s[8:9], s[2:3], vcc
	v_add_u32_e32 v12, v15, v14
	v_lshl_add_u32 v13, v15, 6, v0
	s_mov_b64 s[2:3], -1
	s_xor_b64 s[12:13], s[8:9], -1
	s_and_saveexec_b64 s[8:9], s[12:13]
; %bb.53:
	v_or_b32_e32 v14, v15, v0
	v_cmp_gt_u32_e32 vcc, 64, v14
	s_andn2_b64 s[2:3], s[10:11], exec
	s_and_b64 s[10:11], vcc, exec
	s_or_b64 s[10:11], s[2:3], s[10:11]
	s_xor_b64 s[2:3], exec, -1
; %bb.54:
	s_or_b64 exec, exec, s[8:9]
	v_cndmask_b32_e64 v16, v13, v12, s[0:1]
.LBB129_55:
	v_mov_b32_e32 v12, 0
	v_mov_b32_e32 v13, 0
	s_and_saveexec_b64 s[8:9], s[2:3]
	s_cbranch_execnz .LBB129_1139
; %bb.56:
	s_or_b64 exec, exec, s[8:9]
	s_xor_b64 s[0:1], s[0:1], -1
	s_and_saveexec_b64 s[2:3], s[10:11]
.LBB129_57:
	v_lshlrev_b32_e32 v10, 3, v16
	ds_write_b64 v10, v[12:13]
.LBB129_58:
	s_or_b64 exec, exec, s[2:3]
	v_cndmask_b32_e64 v10, 0, 1, s[0:1]
	v_cmp_ne_u32_e64 s[42:43], 1, v10
	s_andn2_b64 vcc, exec, s[0:1]
	s_waitcnt vmcnt(0) lgkmcnt(0)
	s_barrier
	s_cbranch_vccnz .LBB129_1096
; %bb.59:
	v_or_b32_e32 v10, v0, v1
	v_cmp_eq_u32_e32 vcc, 0, v10
	s_and_saveexec_b64 s[0:1], vcc
	s_cbranch_execz .LBB129_61
; %bb.60:
	v_mov_b32_e32 v12, 0
	ds_read_b64 v[10:11], v12 offset:8
	v_mov_b32_e32 v13, 0x3ff00000
	ds_write_b64 v12, v[12:13]
	s_waitcnt lgkmcnt(1)
	ds_write_b128 v12, v[10:13] offset:512
.LBB129_61:
	s_or_b64 exec, exec, s[0:1]
	v_lshl_add_u32 v14, v1, 6, v0
	v_and_b32_e32 v16, 1, v0
	v_lshrrev_b32_e32 v15, 1, v14
	v_lshlrev_b32_e32 v12, 3, v16
	v_mov_b32_e32 v10, 0
	v_cmp_lt_u32_e64 s[8:9], 3, v14
	v_cmp_gt_u32_e64 s[2:3], 4, v14
	v_mov_b32_e32 v11, 0
	v_lshl_or_b32 v12, v15, 9, v12
	s_waitcnt lgkmcnt(0)
	s_barrier
	s_and_saveexec_b64 s[0:1], s[2:3]
	s_cbranch_execz .LBB129_65
; %bb.62:
	v_mul_u32_u24_e32 v13, 0x208, v15
	ds_read_b64 v[10:11], v12 offset:16
	ds_read_b64 v[17:18], v13
	v_cmp_gt_u32_e64 s[10:11], 2, v14
	s_waitcnt lgkmcnt(0)
	v_fma_f64 v[10:11], v[10:11], v[17:18], 0
	s_and_saveexec_b64 s[12:13], s[10:11]
	s_cbranch_execz .LBB129_64
; %bb.63:
	v_lshlrev_b32_e32 v13, 3, v0
	v_mov_b32_e32 v19, 0
	ds_read_b64 v[17:18], v13 offset:528
	ds_read_b64 v[19:20], v19 offset:8
	s_waitcnt lgkmcnt(0)
	v_fma_f64 v[10:11], v[17:18], v[19:20], v[10:11]
.LBB129_64:
	s_or_b64 exec, exec, s[12:13]
	v_xor_b32_e32 v11, 0x80000000, v11
.LBB129_65:
                                        ; implicit-def: $vgpr40 : SGPR spill to VGPR lane
	v_writelane_b32 v40, s42, 0
	v_writelane_b32 v40, s43, 1
	;; [unrolled: 1-line block ×4, first 2 shown]
	s_or_b64 exec, exec, s[0:1]
	v_mov_b32_e32 v13, 0x8000
	v_cmp_eq_u32_e64 s[10:11], 0, v16
	s_xor_b64 s[0:1], s[8:9], -1
	v_lshl_add_u32 v13, v15, 3, v13
	s_and_b64 s[42:43], s[10:11], s[0:1]
	s_and_saveexec_b64 s[8:9], s[42:43]
; %bb.66:
	ds_write_b64 v13, v[10:11]
; %bb.67:
	s_or_b64 exec, exec, s[8:9]
	v_cmp_ne_u32_e64 s[8:9], 0, v16
	s_and_b64 s[40:41], s[8:9], s[0:1]
	s_waitcnt lgkmcnt(0)
	s_barrier
	s_and_saveexec_b64 s[0:1], s[40:41]
	s_cbranch_execz .LBB129_69
; %bb.68:
	v_mov_b32_e32 v16, 0
	ds_read_b64 v[16:17], v16 offset:1048
	ds_read_b64 v[18:19], v13
	s_waitcnt lgkmcnt(0)
	v_fma_f64 v[10:11], v[16:17], v[18:19], v[10:11]
.LBB129_69:
	s_or_b64 exec, exec, s[0:1]
	s_barrier
	s_and_saveexec_b64 s[0:1], s[40:41]
; %bb.70:
	ds_write_b64 v13, v[10:11]
; %bb.71:
	s_or_b64 exec, exec, s[0:1]
	s_waitcnt lgkmcnt(0)
	s_barrier
	s_barrier
	s_and_saveexec_b64 s[0:1], s[2:3]
; %bb.72:
	v_xor_b32_e32 v11, 0x80000000, v11
	ds_write_b64 v12, v[10:11] offset:16
; %bb.73:
	s_or_b64 exec, exec, s[0:1]
	v_cmp_eq_u32_e64 s[12:13], 0, v1
	v_cmp_gt_u32_e64 s[8:9], 2, v0
	s_and_b64 s[44:45], s[12:13], s[8:9]
	s_waitcnt lgkmcnt(0)
	s_barrier
	s_barrier
	s_and_saveexec_b64 s[0:1], s[44:45]
	s_cbranch_execz .LBB129_75
; %bb.74:
	v_lshlrev_b32_e32 v16, 3, v0
	s_movk_i32 s8, 0x1f8
	v_mad_u32_u24 v17, v0, s8, v16
	ds_read_b64 v[10:11], v17 offset:16
	s_waitcnt lgkmcnt(0)
	ds_write_b64 v16, v[10:11] offset:1024
	ds_read_b64 v[10:11], v17 offset:24
	s_waitcnt lgkmcnt(0)
	ds_write_b64 v16, v[10:11] offset:1536
.LBB129_75:
	s_or_b64 exec, exec, s[0:1]
	s_waitcnt lgkmcnt(0)
	s_barrier
	s_and_saveexec_b64 s[0:1], vcc
	s_cbranch_execz .LBB129_77
; %bb.76:
	v_mov_b32_e32 v18, 0
	ds_read_b64 v[16:17], v18 offset:1048
	v_mov_b32_e32 v19, 0x3ff00000
	ds_write_b64 v18, v[18:19] offset:1040
	s_waitcnt lgkmcnt(1)
	ds_write_b128 v18, v[16:19] offset:1552
.LBB129_77:
	s_or_b64 exec, exec, s[0:1]
	v_and_b32_e32 v19, 3, v0
	v_lshrrev_b32_e32 v20, 2, v14
	v_lshlrev_b32_e32 v17, 3, v19
	v_mov_b32_e32 v10, 0
	v_cmp_lt_u32_e64 s[8:9], 15, v14
	v_cmp_gt_u32_e64 s[18:19], 16, v14
	v_mov_b32_e32 v11, 0
	v_lshl_or_b32 v16, v20, 9, v17
	s_waitcnt lgkmcnt(0)
	s_barrier
	s_and_saveexec_b64 s[0:1], s[18:19]
	s_cbranch_execz .LBB129_83
; %bb.78:
	v_mul_u32_u24_e32 v18, 0x208, v20
	ds_read_b64 v[10:11], v16 offset:32
	ds_read_b64 v[21:22], v18
	v_cmp_gt_u32_e64 s[10:11], 12, v14
	s_waitcnt lgkmcnt(0)
	v_fma_f64 v[10:11], v[10:11], v[21:22], 0
	s_and_saveexec_b64 s[14:15], s[10:11]
	s_cbranch_execnz .LBB129_1170
; %bb.79:
	s_or_b64 exec, exec, s[14:15]
	v_cmp_gt_u32_e64 s[10:11], 8, v14
	s_and_saveexec_b64 s[14:15], s[10:11]
	s_cbranch_execnz .LBB129_1171
.LBB129_80:
	s_or_b64 exec, exec, s[14:15]
	v_cmp_gt_u32_e64 s[10:11], 4, v14
	s_and_saveexec_b64 s[14:15], s[10:11]
	s_cbranch_execz .LBB129_82
.LBB129_81:
	v_lshlrev_b32_e32 v18, 3, v0
	v_mov_b32_e32 v23, 0
	ds_read_b64 v[21:22], v18 offset:1568
	ds_read_b64 v[23:24], v23 offset:24
	s_waitcnt lgkmcnt(0)
	v_fma_f64 v[10:11], v[21:22], v[23:24], v[10:11]
.LBB129_82:
	s_or_b64 exec, exec, s[14:15]
	v_xor_b32_e32 v11, 0x80000000, v11
.LBB129_83:
	s_or_b64 exec, exec, s[0:1]
	v_mov_b32_e32 v18, 0x8000
	v_cmp_eq_u32_e64 s[10:11], 0, v19
	s_xor_b64 s[0:1], s[8:9], -1
	v_lshl_add_u32 v18, v20, 3, v18
	s_and_b64 s[48:49], s[10:11], s[0:1]
	s_and_saveexec_b64 s[8:9], s[48:49]
; %bb.84:
	ds_write_b64 v18, v[10:11]
; %bb.85:
	s_or_b64 exec, exec, s[8:9]
	v_cmp_ne_u32_e64 s[8:9], 0, v19
	s_and_b64 s[50:51], s[8:9], s[0:1]
	s_waitcnt lgkmcnt(0)
	s_barrier
	s_and_saveexec_b64 s[8:9], s[50:51]
	s_cbranch_execz .LBB129_87
; %bb.86:
	ds_read_b64 v[21:22], v17 offset:2080
	ds_read_b64 v[23:24], v18
	s_waitcnt lgkmcnt(0)
	v_fma_f64 v[10:11], v[21:22], v[23:24], v[10:11]
.LBB129_87:
	s_or_b64 exec, exec, s[8:9]
	v_cmp_eq_u32_e64 s[8:9], 1, v19
	s_and_b64 s[52:53], s[8:9], s[0:1]
	s_barrier
	s_and_saveexec_b64 s[8:9], s[52:53]
; %bb.88:
	ds_write_b64 v18, v[10:11]
; %bb.89:
	s_or_b64 exec, exec, s[8:9]
	v_cmp_lt_u32_e64 s[8:9], 1, v19
	s_and_b64 s[54:55], s[8:9], s[0:1]
	s_waitcnt lgkmcnt(0)
	s_barrier
	s_and_saveexec_b64 s[8:9], s[54:55]
	s_cbranch_execz .LBB129_91
; %bb.90:
	ds_read_b64 v[21:22], v17 offset:2592
	ds_read_b64 v[23:24], v18
	s_waitcnt lgkmcnt(0)
	v_fma_f64 v[10:11], v[21:22], v[23:24], v[10:11]
.LBB129_91:
	s_or_b64 exec, exec, s[8:9]
	v_cmp_eq_u32_e64 s[8:9], 2, v19
	s_and_b64 s[56:57], s[8:9], s[0:1]
	s_barrier
	s_and_saveexec_b64 s[8:9], s[56:57]
; %bb.92:
	ds_write_b64 v18, v[10:11]
; %bb.93:
	s_or_b64 exec, exec, s[8:9]
	v_cmp_eq_u32_e64 s[8:9], 3, v19
	s_and_b64 s[46:47], s[8:9], s[0:1]
	s_waitcnt lgkmcnt(0)
	s_barrier
	s_and_saveexec_b64 s[0:1], s[46:47]
	s_cbranch_execz .LBB129_95
; %bb.94:
	v_mov_b32_e32 v21, 0
	ds_read_b64 v[21:22], v21 offset:3128
	ds_read_b64 v[23:24], v18
	s_waitcnt lgkmcnt(0)
	v_fma_f64 v[10:11], v[21:22], v[23:24], v[10:11]
.LBB129_95:
	s_or_b64 exec, exec, s[0:1]
	s_barrier
	s_and_saveexec_b64 s[0:1], s[46:47]
; %bb.96:
	ds_write_b64 v18, v[10:11]
; %bb.97:
	s_or_b64 exec, exec, s[0:1]
	s_waitcnt lgkmcnt(0)
	s_barrier
	s_barrier
	s_and_saveexec_b64 s[0:1], s[18:19]
; %bb.98:
	v_xor_b32_e32 v11, 0x80000000, v11
	ds_write_b64 v16, v[10:11] offset:32
; %bb.99:
	s_or_b64 exec, exec, s[0:1]
	v_cmp_gt_u32_e64 s[8:9], 4, v0
	s_and_b64 s[58:59], s[12:13], s[8:9]
	s_waitcnt lgkmcnt(0)
	s_barrier
	s_barrier
	s_and_saveexec_b64 s[0:1], s[58:59]
	s_cbranch_execz .LBB129_101
; %bb.100:
	v_lshlrev_b32_e32 v21, 9, v0
	ds_read_b64 v[10:11], v21 offset:32
	s_movk_i32 s8, 0xfe08
	v_mad_i32_i24 v22, v0, s8, v21
	s_waitcnt lgkmcnt(0)
	ds_write_b64 v22, v[10:11] offset:2048
	ds_read_b64 v[10:11], v21 offset:40
	s_waitcnt lgkmcnt(0)
	ds_write_b64 v22, v[10:11] offset:2560
	ds_read_b64 v[10:11], v21 offset:48
	;; [unrolled: 3-line block ×3, first 2 shown]
	s_waitcnt lgkmcnt(0)
	ds_write_b64 v22, v[10:11] offset:3584
.LBB129_101:
	s_or_b64 exec, exec, s[0:1]
	s_waitcnt lgkmcnt(0)
	s_barrier
	s_and_saveexec_b64 s[0:1], vcc
	s_cbranch_execz .LBB129_103
; %bb.102:
	v_mov_b32_e32 v23, 0
	ds_read_b64 v[21:22], v23 offset:2088
	v_mov_b32_e32 v24, 0x3ff00000
	ds_write_b64 v23, v[23:24] offset:2080
	s_waitcnt lgkmcnt(1)
	ds_write_b128 v23, v[21:24] offset:2592
.LBB129_103:
	s_or_b64 exec, exec, s[0:1]
	v_mov_b32_e32 v10, 0
	v_mov_b32_e32 v11, 0
	s_waitcnt lgkmcnt(0)
	s_barrier
	s_and_saveexec_b64 s[0:1], s[2:3]
	s_cbranch_execz .LBB129_107
; %bb.104:
	v_mul_u32_u24_e32 v21, 0x208, v15
	ds_read_b64 v[10:11], v12 offset:2096
	ds_read_b64 v[21:22], v21 offset:2080
	v_cmp_gt_u32_e64 s[8:9], 2, v14
	s_waitcnt lgkmcnt(0)
	v_fma_f64 v[10:11], v[10:11], v[21:22], 0
	s_and_saveexec_b64 s[10:11], s[8:9]
	s_cbranch_execz .LBB129_106
; %bb.105:
	v_lshlrev_b32_e32 v21, 3, v0
	v_mov_b32_e32 v23, 0
	ds_read_b64 v[21:22], v21 offset:2608
	ds_read_b64 v[23:24], v23 offset:2088
	s_waitcnt lgkmcnt(0)
	v_fma_f64 v[10:11], v[21:22], v[23:24], v[10:11]
.LBB129_106:
	s_or_b64 exec, exec, s[10:11]
	v_xor_b32_e32 v11, 0x80000000, v11
.LBB129_107:
	s_or_b64 exec, exec, s[0:1]
	s_and_saveexec_b64 s[0:1], s[42:43]
; %bb.108:
	ds_write_b64 v13, v[10:11]
; %bb.109:
	s_or_b64 exec, exec, s[0:1]
	s_waitcnt lgkmcnt(0)
	s_barrier
	s_and_saveexec_b64 s[0:1], s[40:41]
	s_cbranch_execz .LBB129_111
; %bb.110:
	v_mov_b32_e32 v21, 0
	ds_read_b64 v[21:22], v21 offset:3128
	ds_read_b64 v[23:24], v13
	s_waitcnt lgkmcnt(0)
	v_fma_f64 v[10:11], v[21:22], v[23:24], v[10:11]
.LBB129_111:
	s_or_b64 exec, exec, s[0:1]
	s_barrier
	s_and_saveexec_b64 s[0:1], s[40:41]
; %bb.112:
	ds_write_b64 v13, v[10:11]
; %bb.113:
	s_or_b64 exec, exec, s[0:1]
	s_waitcnt lgkmcnt(0)
	s_barrier
	s_barrier
	s_and_saveexec_b64 s[0:1], s[2:3]
; %bb.114:
	v_xor_b32_e32 v11, 0x80000000, v11
	ds_write_b64 v12, v[10:11] offset:2096
; %bb.115:
	s_or_b64 exec, exec, s[0:1]
	s_waitcnt lgkmcnt(0)
	s_barrier
	s_barrier
	s_and_saveexec_b64 s[0:1], s[44:45]
	s_cbranch_execz .LBB129_117
; %bb.116:
	v_lshlrev_b32_e32 v21, 3, v0
	s_movk_i32 s8, 0x1f8
	v_mad_u32_u24 v22, v0, s8, v21
	ds_read_b64 v[10:11], v22 offset:2096
	s_waitcnt lgkmcnt(0)
	ds_write_b64 v21, v[10:11] offset:3104
	ds_read_b64 v[10:11], v22 offset:2104
	s_waitcnt lgkmcnt(0)
	ds_write_b64 v21, v[10:11] offset:3616
.LBB129_117:
	s_or_b64 exec, exec, s[0:1]
	s_waitcnt lgkmcnt(0)
	s_barrier
	s_and_saveexec_b64 s[0:1], vcc
	s_cbranch_execz .LBB129_119
; %bb.118:
	v_mov_b32_e32 v23, 0
	ds_read_b64 v[21:22], v23 offset:3128
	v_mov_b32_e32 v24, 0x3ff00000
	ds_write_b64 v23, v[23:24] offset:3120
	s_waitcnt lgkmcnt(1)
	ds_write_b128 v23, v[21:24] offset:3632
.LBB129_119:
	s_or_b64 exec, exec, s[0:1]
	v_and_b32_e32 v24, 7, v0
	v_lshrrev_b32_e32 v25, 3, v14
	v_lshlrev_b32_e32 v22, 3, v24
	v_mov_b32_e32 v10, 0
	v_cmp_lt_u32_e64 s[10:11], 63, v14
	v_cmp_gt_u32_e64 s[8:9], 64, v14
	v_mov_b32_e32 v11, 0
	v_lshl_or_b32 v21, v25, 9, v22
	s_waitcnt lgkmcnt(0)
	s_barrier
	s_and_saveexec_b64 s[0:1], s[8:9]
	s_cbranch_execz .LBB129_129
; %bb.120:
	v_mul_u32_u24_e32 v23, 0x208, v25
	ds_read_b64 v[10:11], v21 offset:64
	ds_read_b64 v[26:27], v23
	v_cmp_gt_u32_e64 s[14:15], 56, v14
	s_waitcnt lgkmcnt(0)
	v_fma_f64 v[10:11], v[10:11], v[26:27], 0
	s_and_saveexec_b64 s[16:17], s[14:15]
	s_cbranch_execnz .LBB129_1172
; %bb.121:
	s_or_b64 exec, exec, s[16:17]
	v_cmp_gt_u32_e64 s[14:15], 48, v14
	s_and_saveexec_b64 s[16:17], s[14:15]
	s_cbranch_execnz .LBB129_1173
.LBB129_122:
	s_or_b64 exec, exec, s[16:17]
	v_cmp_gt_u32_e64 s[14:15], 40, v14
	s_and_saveexec_b64 s[16:17], s[14:15]
	s_cbranch_execnz .LBB129_1174
.LBB129_123:
	s_or_b64 exec, exec, s[16:17]
	v_cmp_gt_u32_e64 s[14:15], 32, v14
	s_and_saveexec_b64 s[16:17], s[14:15]
	s_cbranch_execnz .LBB129_1175
.LBB129_124:
	s_or_b64 exec, exec, s[16:17]
	v_cmp_gt_u32_e64 s[14:15], 24, v14
	s_and_saveexec_b64 s[16:17], s[14:15]
	s_cbranch_execnz .LBB129_1176
.LBB129_125:
	s_or_b64 exec, exec, s[16:17]
	v_cmp_gt_u32_e64 s[14:15], 16, v14
	s_and_saveexec_b64 s[16:17], s[14:15]
	s_cbranch_execnz .LBB129_1177
.LBB129_126:
	s_or_b64 exec, exec, s[16:17]
	v_cmp_gt_u32_e64 s[14:15], 8, v14
	s_and_saveexec_b64 s[16:17], s[14:15]
	s_cbranch_execz .LBB129_128
.LBB129_127:
	v_lshlrev_b32_e32 v23, 3, v0
	v_mov_b32_e32 v28, 0
	ds_read_b64 v[26:27], v23 offset:3648
	ds_read_b64 v[28:29], v28 offset:56
	s_waitcnt lgkmcnt(0)
	v_fma_f64 v[10:11], v[26:27], v[28:29], v[10:11]
.LBB129_128:
	s_or_b64 exec, exec, s[16:17]
	v_xor_b32_e32 v11, 0x80000000, v11
.LBB129_129:
	s_or_b64 exec, exec, s[0:1]
	v_mov_b32_e32 v23, 0x8000
	v_cmp_eq_u32_e64 s[14:15], 0, v24
	s_xor_b64 s[0:1], s[10:11], -1
	v_lshl_add_u32 v23, v25, 3, v23
	s_and_b64 s[60:61], s[14:15], s[0:1]
	s_and_saveexec_b64 s[10:11], s[60:61]
; %bb.130:
	ds_write_b64 v23, v[10:11]
; %bb.131:
	s_or_b64 exec, exec, s[10:11]
	v_cmp_ne_u32_e64 s[10:11], 0, v24
	s_and_b64 s[62:63], s[10:11], s[0:1]
	s_waitcnt lgkmcnt(0)
	s_barrier
	s_and_saveexec_b64 s[10:11], s[62:63]
	s_cbranch_execz .LBB129_133
; %bb.132:
	ds_read_b64 v[26:27], v22 offset:4160
	ds_read_b64 v[28:29], v23
	s_waitcnt lgkmcnt(0)
	v_fma_f64 v[10:11], v[26:27], v[28:29], v[10:11]
.LBB129_133:
	s_or_b64 exec, exec, s[10:11]
	v_cmp_eq_u32_e64 s[10:11], 1, v24
	s_and_b64 s[64:65], s[10:11], s[0:1]
	s_barrier
	s_and_saveexec_b64 s[10:11], s[64:65]
; %bb.134:
	ds_write_b64 v23, v[10:11]
; %bb.135:
	s_or_b64 exec, exec, s[10:11]
	v_cmp_lt_u32_e64 s[10:11], 1, v24
	s_and_b64 s[66:67], s[10:11], s[0:1]
	s_waitcnt lgkmcnt(0)
	s_barrier
	s_and_saveexec_b64 s[10:11], s[66:67]
	s_cbranch_execz .LBB129_137
; %bb.136:
	ds_read_b64 v[26:27], v22 offset:4672
	ds_read_b64 v[28:29], v23
	s_waitcnt lgkmcnt(0)
	v_fma_f64 v[10:11], v[26:27], v[28:29], v[10:11]
.LBB129_137:
	s_or_b64 exec, exec, s[10:11]
	v_cmp_eq_u32_e64 s[10:11], 2, v24
	s_and_b64 s[68:69], s[10:11], s[0:1]
	s_barrier
	s_and_saveexec_b64 s[10:11], s[68:69]
; %bb.138:
	ds_write_b64 v23, v[10:11]
; %bb.139:
	s_or_b64 exec, exec, s[10:11]
	v_cmp_lt_u32_e64 s[10:11], 2, v24
	;; [unrolled: 21-line block ×5, first 2 shown]
	s_and_b64 s[84:85], s[10:11], s[0:1]
	s_waitcnt lgkmcnt(0)
	s_barrier
	s_and_saveexec_b64 s[10:11], s[84:85]
	s_cbranch_execz .LBB129_153
; %bb.152:
	ds_read_b64 v[26:27], v22 offset:6720
	ds_read_b64 v[28:29], v23
	s_waitcnt lgkmcnt(0)
	v_fma_f64 v[10:11], v[26:27], v[28:29], v[10:11]
.LBB129_153:
	s_or_b64 exec, exec, s[10:11]
	v_cmp_eq_u32_e64 s[10:11], 6, v24
	s_and_b64 s[86:87], s[10:11], s[0:1]
	s_barrier
	s_and_saveexec_b64 s[10:11], s[86:87]
; %bb.154:
	ds_write_b64 v23, v[10:11]
; %bb.155:
	s_or_b64 exec, exec, s[10:11]
	v_cmp_eq_u32_e64 s[10:11], 7, v24
	s_and_b64 s[70:71], s[10:11], s[0:1]
	s_waitcnt lgkmcnt(0)
	s_barrier
	s_and_saveexec_b64 s[0:1], s[70:71]
	s_cbranch_execz .LBB129_157
; %bb.156:
	v_mov_b32_e32 v26, 0
	ds_read_b64 v[26:27], v26 offset:7288
	ds_read_b64 v[28:29], v23
	s_waitcnt lgkmcnt(0)
	v_fma_f64 v[10:11], v[26:27], v[28:29], v[10:11]
.LBB129_157:
	s_or_b64 exec, exec, s[0:1]
	s_barrier
	s_and_saveexec_b64 s[0:1], s[70:71]
; %bb.158:
	ds_write_b64 v23, v[10:11]
; %bb.159:
	s_or_b64 exec, exec, s[0:1]
	s_waitcnt lgkmcnt(0)
	s_barrier
	s_barrier
	s_and_saveexec_b64 s[0:1], s[8:9]
; %bb.160:
	v_xor_b32_e32 v11, 0x80000000, v11
	ds_write_b64 v21, v[10:11] offset:64
; %bb.161:
	s_or_b64 exec, exec, s[0:1]
	v_cmp_gt_u32_e64 s[10:11], 8, v0
	s_and_b64 s[88:89], s[12:13], s[10:11]
	s_waitcnt lgkmcnt(0)
	s_barrier
	s_barrier
	s_and_saveexec_b64 s[0:1], s[88:89]
	s_cbranch_execz .LBB129_163
; %bb.162:
	v_lshlrev_b32_e32 v26, 9, v0
	ds_read_b64 v[10:11], v26 offset:64
	s_movk_i32 s10, 0xfe08
	v_mad_i32_i24 v27, v0, s10, v26
	s_waitcnt lgkmcnt(0)
	ds_write_b64 v27, v[10:11] offset:4096
	ds_read_b64 v[10:11], v26 offset:72
	s_waitcnt lgkmcnt(0)
	ds_write_b64 v27, v[10:11] offset:4608
	ds_read_b64 v[10:11], v26 offset:80
	;; [unrolled: 3-line block ×7, first 2 shown]
	s_waitcnt lgkmcnt(0)
	ds_write_b64 v27, v[10:11] offset:7680
.LBB129_163:
	s_or_b64 exec, exec, s[0:1]
	s_waitcnt lgkmcnt(0)
	s_barrier
	s_and_saveexec_b64 s[0:1], vcc
	s_cbranch_execz .LBB129_165
; %bb.164:
	v_mov_b32_e32 v28, 0
	ds_read_b64 v[26:27], v28 offset:4168
	v_mov_b32_e32 v29, 0x3ff00000
	ds_write_b64 v28, v[28:29] offset:4160
	s_waitcnt lgkmcnt(1)
	ds_write_b128 v28, v[26:29] offset:4672
.LBB129_165:
	s_or_b64 exec, exec, s[0:1]
	v_mov_b32_e32 v10, 0
	v_mov_b32_e32 v11, 0
	s_waitcnt lgkmcnt(0)
	s_barrier
	s_and_saveexec_b64 s[0:1], s[2:3]
	s_cbranch_execz .LBB129_169
; %bb.166:
	v_mul_u32_u24_e32 v26, 0x208, v15
	ds_read_b64 v[10:11], v12 offset:4176
	ds_read_b64 v[26:27], v26 offset:4160
	v_cmp_gt_u32_e64 s[10:11], 2, v14
	s_waitcnt lgkmcnt(0)
	v_fma_f64 v[10:11], v[10:11], v[26:27], 0
	s_and_saveexec_b64 s[14:15], s[10:11]
	s_cbranch_execz .LBB129_168
; %bb.167:
	v_lshlrev_b32_e32 v26, 3, v0
	v_mov_b32_e32 v28, 0
	ds_read_b64 v[26:27], v26 offset:4688
	ds_read_b64 v[28:29], v28 offset:4168
	s_waitcnt lgkmcnt(0)
	v_fma_f64 v[10:11], v[26:27], v[28:29], v[10:11]
.LBB129_168:
	s_or_b64 exec, exec, s[14:15]
	v_xor_b32_e32 v11, 0x80000000, v11
.LBB129_169:
	s_or_b64 exec, exec, s[0:1]
	s_and_saveexec_b64 s[0:1], s[42:43]
; %bb.170:
	ds_write_b64 v13, v[10:11]
; %bb.171:
	s_or_b64 exec, exec, s[0:1]
	s_waitcnt lgkmcnt(0)
	s_barrier
	s_and_saveexec_b64 s[0:1], s[40:41]
	s_cbranch_execz .LBB129_173
; %bb.172:
	v_mov_b32_e32 v26, 0
	ds_read_b64 v[26:27], v26 offset:5208
	ds_read_b64 v[28:29], v13
	s_waitcnt lgkmcnt(0)
	v_fma_f64 v[10:11], v[26:27], v[28:29], v[10:11]
.LBB129_173:
	s_or_b64 exec, exec, s[0:1]
	s_barrier
	s_and_saveexec_b64 s[0:1], s[40:41]
; %bb.174:
	ds_write_b64 v13, v[10:11]
; %bb.175:
	s_or_b64 exec, exec, s[0:1]
	s_waitcnt lgkmcnt(0)
	s_barrier
	s_barrier
	s_and_saveexec_b64 s[0:1], s[2:3]
; %bb.176:
	v_xor_b32_e32 v11, 0x80000000, v11
	ds_write_b64 v12, v[10:11] offset:4176
; %bb.177:
	s_or_b64 exec, exec, s[0:1]
	s_waitcnt lgkmcnt(0)
	s_barrier
	s_barrier
	s_and_saveexec_b64 s[0:1], s[44:45]
	s_cbranch_execz .LBB129_179
; %bb.178:
	v_lshlrev_b32_e32 v26, 3, v0
	s_movk_i32 s10, 0x1f8
	v_mad_u32_u24 v27, v0, s10, v26
	ds_read_b64 v[10:11], v27 offset:4176
	s_waitcnt lgkmcnt(0)
	ds_write_b64 v26, v[10:11] offset:5184
	ds_read_b64 v[10:11], v27 offset:4184
	s_waitcnt lgkmcnt(0)
	ds_write_b64 v26, v[10:11] offset:5696
.LBB129_179:
	s_or_b64 exec, exec, s[0:1]
	s_waitcnt lgkmcnt(0)
	s_barrier
	s_and_saveexec_b64 s[0:1], vcc
	s_cbranch_execz .LBB129_181
; %bb.180:
	v_mov_b32_e32 v28, 0
	ds_read_b64 v[26:27], v28 offset:5208
	v_mov_b32_e32 v29, 0x3ff00000
	ds_write_b64 v28, v[28:29] offset:5200
	s_waitcnt lgkmcnt(1)
	ds_write_b128 v28, v[26:29] offset:5712
.LBB129_181:
	s_or_b64 exec, exec, s[0:1]
	v_mov_b32_e32 v10, 0
	v_mov_b32_e32 v11, 0
	s_waitcnt lgkmcnt(0)
	s_barrier
	s_and_saveexec_b64 s[0:1], s[18:19]
	s_cbranch_execz .LBB129_187
; %bb.182:
	v_mul_u32_u24_e32 v26, 0x208, v20
	ds_read_b64 v[10:11], v16 offset:4192
	ds_read_b64 v[27:28], v26 offset:4160
	v_cmp_gt_u32_e64 s[10:11], 12, v14
	s_waitcnt lgkmcnt(0)
	v_fma_f64 v[10:11], v[10:11], v[27:28], 0
	s_and_saveexec_b64 s[14:15], s[10:11]
	s_cbranch_execnz .LBB129_1178
; %bb.183:
	s_or_b64 exec, exec, s[14:15]
	v_cmp_gt_u32_e64 s[10:11], 8, v14
	s_and_saveexec_b64 s[14:15], s[10:11]
	s_cbranch_execnz .LBB129_1179
.LBB129_184:
	s_or_b64 exec, exec, s[14:15]
	v_cmp_gt_u32_e64 s[10:11], 4, v14
	s_and_saveexec_b64 s[14:15], s[10:11]
	s_cbranch_execz .LBB129_186
.LBB129_185:
	v_lshlrev_b32_e32 v26, 3, v0
	v_mov_b32_e32 v28, 0
	ds_read_b64 v[26:27], v26 offset:5728
	ds_read_b64 v[28:29], v28 offset:4184
	s_waitcnt lgkmcnt(0)
	v_fma_f64 v[10:11], v[26:27], v[28:29], v[10:11]
.LBB129_186:
	s_or_b64 exec, exec, s[14:15]
	v_xor_b32_e32 v11, 0x80000000, v11
.LBB129_187:
	s_or_b64 exec, exec, s[0:1]
	s_and_saveexec_b64 s[0:1], s[48:49]
; %bb.188:
	ds_write_b64 v18, v[10:11]
; %bb.189:
	s_or_b64 exec, exec, s[0:1]
	s_waitcnt lgkmcnt(0)
	s_barrier
	s_and_saveexec_b64 s[0:1], s[50:51]
	s_cbranch_execz .LBB129_191
; %bb.190:
	ds_read_b64 v[26:27], v17 offset:6240
	ds_read_b64 v[28:29], v18
	s_waitcnt lgkmcnt(0)
	v_fma_f64 v[10:11], v[26:27], v[28:29], v[10:11]
.LBB129_191:
	s_or_b64 exec, exec, s[0:1]
	s_barrier
	s_and_saveexec_b64 s[0:1], s[52:53]
; %bb.192:
	ds_write_b64 v18, v[10:11]
; %bb.193:
	s_or_b64 exec, exec, s[0:1]
	s_waitcnt lgkmcnt(0)
	s_barrier
	s_and_saveexec_b64 s[0:1], s[54:55]
	s_cbranch_execz .LBB129_195
; %bb.194:
	ds_read_b64 v[26:27], v17 offset:6752
	ds_read_b64 v[28:29], v18
	s_waitcnt lgkmcnt(0)
	v_fma_f64 v[10:11], v[26:27], v[28:29], v[10:11]
.LBB129_195:
	s_or_b64 exec, exec, s[0:1]
	s_barrier
	s_and_saveexec_b64 s[0:1], s[56:57]
; %bb.196:
	ds_write_b64 v18, v[10:11]
; %bb.197:
	s_or_b64 exec, exec, s[0:1]
	s_waitcnt lgkmcnt(0)
	s_barrier
	s_and_saveexec_b64 s[0:1], s[46:47]
	s_cbranch_execz .LBB129_199
; %bb.198:
	v_mov_b32_e32 v26, 0
	ds_read_b64 v[26:27], v26 offset:7288
	ds_read_b64 v[28:29], v18
	s_waitcnt lgkmcnt(0)
	v_fma_f64 v[10:11], v[26:27], v[28:29], v[10:11]
.LBB129_199:
	s_or_b64 exec, exec, s[0:1]
	s_barrier
	s_and_saveexec_b64 s[0:1], s[46:47]
; %bb.200:
	ds_write_b64 v18, v[10:11]
; %bb.201:
	s_or_b64 exec, exec, s[0:1]
	s_waitcnt lgkmcnt(0)
	s_barrier
	s_barrier
	s_and_saveexec_b64 s[0:1], s[18:19]
; %bb.202:
	v_xor_b32_e32 v11, 0x80000000, v11
	ds_write_b64 v16, v[10:11] offset:4192
; %bb.203:
	s_or_b64 exec, exec, s[0:1]
	s_waitcnt lgkmcnt(0)
	s_barrier
	s_barrier
	s_and_saveexec_b64 s[0:1], s[58:59]
	s_cbranch_execz .LBB129_205
; %bb.204:
	v_lshlrev_b32_e32 v26, 9, v0
	ds_read_b64 v[10:11], v26 offset:4192
	s_movk_i32 s10, 0xfe08
	v_mad_i32_i24 v27, v0, s10, v26
	s_waitcnt lgkmcnt(0)
	ds_write_b64 v27, v[10:11] offset:6208
	ds_read_b64 v[10:11], v26 offset:4200
	s_waitcnt lgkmcnt(0)
	ds_write_b64 v27, v[10:11] offset:6720
	ds_read_b64 v[10:11], v26 offset:4208
	;; [unrolled: 3-line block ×3, first 2 shown]
	s_waitcnt lgkmcnt(0)
	ds_write_b64 v27, v[10:11] offset:7744
.LBB129_205:
	s_or_b64 exec, exec, s[0:1]
	s_waitcnt lgkmcnt(0)
	s_barrier
	s_and_saveexec_b64 s[0:1], vcc
	s_cbranch_execz .LBB129_207
; %bb.206:
	v_mov_b32_e32 v28, 0
	ds_read_b64 v[26:27], v28 offset:6248
	v_mov_b32_e32 v29, 0x3ff00000
	ds_write_b64 v28, v[28:29] offset:6240
	s_waitcnt lgkmcnt(1)
	ds_write_b128 v28, v[26:29] offset:6752
.LBB129_207:
	s_or_b64 exec, exec, s[0:1]
	v_mov_b32_e32 v10, 0
	v_mov_b32_e32 v11, 0
	s_waitcnt lgkmcnt(0)
	s_barrier
	s_and_saveexec_b64 s[0:1], s[2:3]
	s_cbranch_execz .LBB129_211
; %bb.208:
	v_mul_u32_u24_e32 v26, 0x208, v15
	ds_read_b64 v[10:11], v12 offset:6256
	ds_read_b64 v[26:27], v26 offset:6240
	v_cmp_gt_u32_e64 s[10:11], 2, v14
	s_waitcnt lgkmcnt(0)
	v_fma_f64 v[10:11], v[10:11], v[26:27], 0
	s_and_saveexec_b64 s[14:15], s[10:11]
	s_cbranch_execz .LBB129_210
; %bb.209:
	v_lshlrev_b32_e32 v26, 3, v0
	v_mov_b32_e32 v28, 0
	ds_read_b64 v[26:27], v26 offset:6768
	ds_read_b64 v[28:29], v28 offset:6248
	s_waitcnt lgkmcnt(0)
	v_fma_f64 v[10:11], v[26:27], v[28:29], v[10:11]
.LBB129_210:
	s_or_b64 exec, exec, s[14:15]
	v_xor_b32_e32 v11, 0x80000000, v11
.LBB129_211:
	s_or_b64 exec, exec, s[0:1]
	s_and_saveexec_b64 s[0:1], s[42:43]
; %bb.212:
	ds_write_b64 v13, v[10:11]
; %bb.213:
	s_or_b64 exec, exec, s[0:1]
	s_waitcnt lgkmcnt(0)
	s_barrier
	s_and_saveexec_b64 s[0:1], s[40:41]
	s_cbranch_execz .LBB129_215
; %bb.214:
	v_mov_b32_e32 v26, 0
	ds_read_b64 v[26:27], v26 offset:7288
	ds_read_b64 v[28:29], v13
	s_waitcnt lgkmcnt(0)
	v_fma_f64 v[10:11], v[26:27], v[28:29], v[10:11]
.LBB129_215:
	s_or_b64 exec, exec, s[0:1]
	s_barrier
	s_and_saveexec_b64 s[0:1], s[40:41]
; %bb.216:
	ds_write_b64 v13, v[10:11]
; %bb.217:
	s_or_b64 exec, exec, s[0:1]
	s_waitcnt lgkmcnt(0)
	s_barrier
	s_barrier
	s_and_saveexec_b64 s[0:1], s[2:3]
; %bb.218:
	v_xor_b32_e32 v11, 0x80000000, v11
	ds_write_b64 v12, v[10:11] offset:6256
; %bb.219:
	s_or_b64 exec, exec, s[0:1]
	s_waitcnt lgkmcnt(0)
	s_barrier
	s_barrier
	s_and_saveexec_b64 s[0:1], s[44:45]
	s_cbranch_execz .LBB129_221
; %bb.220:
	v_lshlrev_b32_e32 v26, 3, v0
	s_movk_i32 s10, 0x1f8
	v_mad_u32_u24 v27, v0, s10, v26
	ds_read_b64 v[10:11], v27 offset:6256
	s_waitcnt lgkmcnt(0)
	ds_write_b64 v26, v[10:11] offset:7264
	ds_read_b64 v[10:11], v27 offset:6264
	s_waitcnt lgkmcnt(0)
	ds_write_b64 v26, v[10:11] offset:7776
.LBB129_221:
	s_or_b64 exec, exec, s[0:1]
	s_waitcnt lgkmcnt(0)
	s_barrier
	s_and_saveexec_b64 s[0:1], vcc
	s_cbranch_execz .LBB129_223
; %bb.222:
	v_mov_b32_e32 v28, 0
	ds_read_b64 v[26:27], v28 offset:7288
	v_mov_b32_e32 v29, 0x3ff00000
	ds_write_b64 v28, v[28:29] offset:7280
	s_waitcnt lgkmcnt(1)
	ds_write_b128 v28, v[26:29] offset:7792
.LBB129_223:
	s_or_b64 exec, exec, s[0:1]
	v_lshrrev_b32_e32 v30, 4, v14
	v_and_b32_e32 v27, 15, v0
	s_movk_i32 s0, 0xff
	v_lshlrev_b32_e32 v29, 6, v30
	v_cmp_lt_u32_e64 s[14:15], s0, v14
	s_movk_i32 s0, 0x100
	v_or_b32_e32 v26, v29, v27
	v_mov_b32_e32 v10, 0
	v_cmp_gt_u32_e64 s[10:11], s0, v14
	v_mov_b32_e32 v11, 0
	v_lshlrev_b32_e32 v26, 3, v26
	s_waitcnt lgkmcnt(0)
	s_barrier
	s_and_saveexec_b64 s[0:1], s[10:11]
	s_cbranch_execz .LBB129_251
; %bb.224:
	v_mul_u32_u24_e32 v28, 0x208, v30
	ds_read_b64 v[10:11], v26 offset:128
	ds_read_b64 v[31:32], v28
	s_movk_i32 s16, 0xf0
	v_cmp_gt_u32_e64 s[16:17], s16, v14
	s_waitcnt lgkmcnt(0)
	v_fma_f64 v[10:11], v[10:11], v[31:32], 0
	s_and_saveexec_b64 s[20:21], s[16:17]
	s_cbranch_execz .LBB129_226
; %bb.225:
	v_lshlrev_b32_e32 v31, 3, v30
	v_sub_u32_e32 v31, v28, v31
	v_lshl_add_u32 v31, v27, 3, v31
	ds_read_b64 v[31:32], v31 offset:640
	ds_read_b64 v[33:34], v28 offset:8
	s_waitcnt lgkmcnt(0)
	v_fma_f64 v[10:11], v[31:32], v[33:34], v[10:11]
.LBB129_226:
	s_or_b64 exec, exec, s[20:21]
	s_movk_i32 s16, 0xe0
	v_cmp_gt_u32_e64 s[16:17], s16, v14
	s_and_saveexec_b64 s[20:21], s[16:17]
	s_cbranch_execz .LBB129_228
; %bb.227:
	v_lshlrev_b32_e32 v31, 3, v30
	v_sub_u32_e32 v31, v28, v31
	v_lshl_add_u32 v31, v27, 3, v31
	ds_read_b64 v[31:32], v31 offset:1152
	ds_read_b64 v[33:34], v28 offset:16
	s_waitcnt lgkmcnt(0)
	v_fma_f64 v[10:11], v[31:32], v[33:34], v[10:11]
.LBB129_228:
	s_or_b64 exec, exec, s[20:21]
	s_movk_i32 s16, 0xd0
	v_cmp_gt_u32_e64 s[16:17], s16, v14
	;; [unrolled: 14-line block ×7, first 2 shown]
	s_and_saveexec_b64 s[20:21], s[16:17]
	s_cbranch_execz .LBB129_240
; %bb.239:
	ds_read_b64 v[31:32], v26 offset:4224
	ds_read_b64 v[33:34], v28 offset:64
	s_waitcnt lgkmcnt(0)
	v_fma_f64 v[10:11], v[31:32], v[33:34], v[10:11]
.LBB129_240:
	s_or_b64 exec, exec, s[20:21]
	s_movk_i32 s16, 0x70
	v_cmp_gt_u32_e64 s[16:17], s16, v14
	s_and_saveexec_b64 s[20:21], s[16:17]
	s_cbranch_execz .LBB129_242
; %bb.241:
	v_lshlrev_b32_e32 v31, 3, v30
	v_sub_u32_e32 v31, v28, v31
	v_lshl_add_u32 v31, v27, 3, v31
	ds_read_b64 v[31:32], v31 offset:4736
	ds_read_b64 v[33:34], v28 offset:72
	s_waitcnt lgkmcnt(0)
	v_fma_f64 v[10:11], v[31:32], v[33:34], v[10:11]
.LBB129_242:
	s_or_b64 exec, exec, s[20:21]
	s_movk_i32 s16, 0x60
	v_cmp_gt_u32_e64 s[16:17], s16, v14
	s_and_saveexec_b64 s[20:21], s[16:17]
	s_cbranch_execz .LBB129_244
; %bb.243:
	v_lshlrev_b32_e32 v31, 3, v27
	v_lshl_add_u32 v31, v29, 3, v31
	ds_read_b64 v[31:32], v31 offset:5248
	ds_read_b64 v[33:34], v28 offset:80
	s_waitcnt lgkmcnt(0)
	v_fma_f64 v[10:11], v[31:32], v[33:34], v[10:11]
.LBB129_244:
	s_or_b64 exec, exec, s[20:21]
	s_movk_i32 s16, 0x50
	v_cmp_gt_u32_e64 s[16:17], s16, v14
	s_and_saveexec_b64 s[20:21], s[16:17]
	s_cbranch_execnz .LBB129_1180
; %bb.245:
	s_or_b64 exec, exec, s[20:21]
	v_cmp_gt_u32_e64 s[16:17], 64, v14
	s_and_saveexec_b64 s[20:21], s[16:17]
	s_cbranch_execnz .LBB129_1181
.LBB129_246:
	s_or_b64 exec, exec, s[20:21]
	v_cmp_gt_u32_e64 s[16:17], 48, v14
	s_and_saveexec_b64 s[20:21], s[16:17]
	s_cbranch_execnz .LBB129_1182
.LBB129_247:
	s_or_b64 exec, exec, s[20:21]
	v_cmp_gt_u32_e64 s[16:17], 32, v14
	s_and_saveexec_b64 s[20:21], s[16:17]
	s_cbranch_execnz .LBB129_1183
.LBB129_248:
	s_or_b64 exec, exec, s[20:21]
	v_cmp_gt_u32_e64 s[16:17], 16, v14
	s_and_saveexec_b64 s[20:21], s[16:17]
	s_cbranch_execz .LBB129_250
.LBB129_249:
	v_lshlrev_b32_e32 v28, 3, v0
	v_mov_b32_e32 v33, 0
	ds_read_b64 v[31:32], v28 offset:7808
	ds_read_b64 v[33:34], v33 offset:120
	s_waitcnt lgkmcnt(0)
	v_fma_f64 v[10:11], v[31:32], v[33:34], v[10:11]
.LBB129_250:
	s_or_b64 exec, exec, s[20:21]
	v_xor_b32_e32 v11, 0x80000000, v11
.LBB129_251:
	s_or_b64 exec, exec, s[0:1]
	v_mov_b32_e32 v28, 0x8000
	v_lshl_add_u32 v28, v30, 3, v28
	v_cmp_eq_u32_e64 s[16:17], 0, v27
	s_xor_b64 s[20:21], s[14:15], -1
	s_and_b64 s[14:15], s[16:17], s[20:21]
	s_mov_b64 s[0:1], exec
	v_writelane_b32 v40, s14, 4
	v_writelane_b32 v40, s15, 5
	s_and_b64 s[14:15], s[0:1], s[14:15]
	s_mov_b64 exec, s[14:15]
; %bb.252:
	ds_write_b64 v28, v[10:11]
; %bb.253:
	s_or_b64 exec, exec, s[0:1]
	v_cmp_ne_u32_e64 s[14:15], 0, v27
	s_waitcnt lgkmcnt(0)
	s_barrier
	s_and_b64 s[14:15], s[14:15], s[20:21]
	s_mov_b64 s[0:1], exec
	v_writelane_b32 v40, s14, 6
	v_writelane_b32 v40, s15, 7
	s_and_b64 s[14:15], s[0:1], s[14:15]
	s_mov_b64 exec, s[14:15]
	s_cbranch_execz .LBB129_255
; %bb.254:
	v_lshlrev_b32_e32 v31, 3, v27
	ds_read_b64 v[31:32], v31 offset:8320
	ds_read_b64 v[33:34], v28
	s_waitcnt lgkmcnt(0)
	v_fma_f64 v[10:11], v[31:32], v[33:34], v[10:11]
.LBB129_255:
	s_or_b64 exec, exec, s[0:1]
	v_cmp_eq_u32_e64 s[14:15], 1, v27
	s_barrier
	s_and_b64 s[14:15], s[14:15], s[20:21]
	s_mov_b64 s[0:1], exec
	v_writelane_b32 v40, s14, 8
	v_writelane_b32 v40, s15, 9
	s_and_b64 s[14:15], s[0:1], s[14:15]
	s_mov_b64 exec, s[14:15]
; %bb.256:
	ds_write_b64 v28, v[10:11]
; %bb.257:
	s_or_b64 exec, exec, s[0:1]
	v_cmp_lt_u32_e64 s[14:15], 1, v27
	s_waitcnt lgkmcnt(0)
	s_barrier
	s_and_b64 s[14:15], s[14:15], s[20:21]
	s_mov_b64 s[0:1], exec
	v_writelane_b32 v40, s14, 10
	v_writelane_b32 v40, s15, 11
	s_and_b64 s[14:15], s[0:1], s[14:15]
	s_mov_b64 exec, s[14:15]
	s_cbranch_execz .LBB129_259
; %bb.258:
	v_lshlrev_b32_e32 v31, 3, v27
	ds_read_b64 v[31:32], v31 offset:8832
	ds_read_b64 v[33:34], v28
	s_waitcnt lgkmcnt(0)
	v_fma_f64 v[10:11], v[31:32], v[33:34], v[10:11]
.LBB129_259:
	s_or_b64 exec, exec, s[0:1]
	v_cmp_eq_u32_e64 s[14:15], 2, v27
	s_barrier
	s_and_b64 s[14:15], s[14:15], s[20:21]
	s_mov_b64 s[0:1], exec
	v_writelane_b32 v40, s14, 12
	v_writelane_b32 v40, s15, 13
	s_and_b64 s[14:15], s[0:1], s[14:15]
	s_mov_b64 exec, s[14:15]
; %bb.260:
	ds_write_b64 v28, v[10:11]
; %bb.261:
	s_or_b64 exec, exec, s[0:1]
	v_cmp_lt_u32_e64 s[14:15], 2, v27
	;; [unrolled: 30-line block ×13, first 2 shown]
	s_waitcnt lgkmcnt(0)
	s_barrier
	s_and_b64 s[14:15], s[14:15], s[20:21]
	s_mov_b64 s[0:1], exec
	v_writelane_b32 v40, s14, 58
	v_writelane_b32 v40, s15, 59
	s_and_b64 s[14:15], s[0:1], s[14:15]
	s_mov_b64 exec, s[14:15]
	s_cbranch_execz .LBB129_307
; %bb.306:
	v_lshlrev_b32_e32 v31, 3, v27
	ds_read_b64 v[31:32], v31 offset:14976
	ds_read_b64 v[33:34], v28
	s_waitcnt lgkmcnt(0)
	v_fma_f64 v[10:11], v[31:32], v[33:34], v[10:11]
.LBB129_307:
	s_or_b64 exec, exec, s[0:1]
	v_cmp_eq_u32_e64 s[14:15], 14, v27
	s_barrier
	s_and_b64 s[14:15], s[14:15], s[20:21]
	s_mov_b64 s[0:1], exec
	v_writelane_b32 v40, s14, 60
	v_writelane_b32 v40, s15, 61
	s_and_b64 s[14:15], s[0:1], s[14:15]
	s_mov_b64 exec, s[14:15]
; %bb.308:
	ds_write_b64 v28, v[10:11]
; %bb.309:
	s_or_b64 exec, exec, s[0:1]
	v_cmp_eq_u32_e64 s[14:15], 15, v27
	s_and_b64 s[92:93], s[14:15], s[20:21]
	s_waitcnt lgkmcnt(0)
	s_barrier
	s_and_saveexec_b64 s[0:1], s[92:93]
	s_cbranch_execz .LBB129_311
; %bb.310:
	v_mov_b32_e32 v31, 0
	ds_read_b64 v[31:32], v31 offset:15608
	ds_read_b64 v[33:34], v28
	s_waitcnt lgkmcnt(0)
	v_fma_f64 v[10:11], v[31:32], v[33:34], v[10:11]
.LBB129_311:
	s_or_b64 exec, exec, s[0:1]
	s_barrier
	s_and_saveexec_b64 s[0:1], s[92:93]
; %bb.312:
	ds_write_b64 v28, v[10:11]
; %bb.313:
	s_or_b64 exec, exec, s[0:1]
	s_waitcnt lgkmcnt(0)
	s_barrier
	s_barrier
	s_and_saveexec_b64 s[0:1], s[10:11]
; %bb.314:
	v_xor_b32_e32 v11, 0x80000000, v11
	ds_write_b64 v26, v[10:11] offset:128
; %bb.315:
	s_or_b64 exec, exec, s[0:1]
	v_cmp_gt_u32_e64 s[14:15], 16, v0
	s_waitcnt lgkmcnt(0)
	s_barrier
	s_barrier
	s_and_b64 s[0:1], s[12:13], s[14:15]
	s_mov_b64 s[14:15], exec
	v_writelane_b32 v40, s0, 62
	v_writelane_b32 v40, s1, 63
	s_and_b64 s[0:1], s[14:15], s[0:1]
	s_mov_b64 exec, s[0:1]
	s_cbranch_execz .LBB129_317
; %bb.316:
	v_lshlrev_b32_e32 v31, 9, v0
	ds_read_b64 v[10:11], v31 offset:128
	s_movk_i32 s0, 0xfe08
	v_mad_i32_i24 v32, v0, s0, v31
	s_waitcnt lgkmcnt(0)
	ds_write_b64 v32, v[10:11] offset:8192
	ds_read_b64 v[10:11], v31 offset:136
	s_waitcnt lgkmcnt(0)
	ds_write_b64 v32, v[10:11] offset:8704
	ds_read_b64 v[10:11], v31 offset:144
	;; [unrolled: 3-line block ×15, first 2 shown]
	s_waitcnt lgkmcnt(0)
	ds_write_b64 v32, v[10:11] offset:15872
.LBB129_317:
	s_or_b64 exec, exec, s[14:15]
	s_waitcnt lgkmcnt(0)
	s_barrier
	s_and_saveexec_b64 s[14:15], vcc
	s_cbranch_execz .LBB129_319
; %bb.318:
	v_mov_b32_e32 v33, 0
	ds_read_b64 v[31:32], v33 offset:8328
	v_mov_b32_e32 v34, 0x3ff00000
	ds_write_b64 v33, v[33:34] offset:8320
	s_waitcnt lgkmcnt(1)
	ds_write_b128 v33, v[31:34] offset:8832
.LBB129_319:
	s_or_b64 exec, exec, s[14:15]
	v_mov_b32_e32 v10, 0
	v_mov_b32_e32 v11, 0
	s_waitcnt lgkmcnt(0)
	s_barrier
	s_and_saveexec_b64 s[16:17], s[2:3]
	s_cbranch_execz .LBB129_323
; %bb.320:
	v_mul_u32_u24_e32 v31, 0x208, v15
	ds_read_b64 v[10:11], v12 offset:8336
	ds_read_b64 v[31:32], v31 offset:8320
	v_cmp_gt_u32_e64 s[14:15], 2, v14
	s_waitcnt lgkmcnt(0)
	v_fma_f64 v[10:11], v[10:11], v[31:32], 0
	s_and_saveexec_b64 s[20:21], s[14:15]
	s_cbranch_execz .LBB129_322
; %bb.321:
	v_lshlrev_b32_e32 v31, 3, v0
	v_mov_b32_e32 v33, 0
	ds_read_b64 v[31:32], v31 offset:8848
	ds_read_b64 v[33:34], v33 offset:8328
	s_waitcnt lgkmcnt(0)
	v_fma_f64 v[10:11], v[31:32], v[33:34], v[10:11]
.LBB129_322:
	s_or_b64 exec, exec, s[20:21]
	v_xor_b32_e32 v11, 0x80000000, v11
.LBB129_323:
	s_or_b64 exec, exec, s[16:17]
	s_and_saveexec_b64 s[0:1], s[42:43]
; %bb.324:
	ds_write_b64 v13, v[10:11]
; %bb.325:
	s_or_b64 exec, exec, s[0:1]
	s_waitcnt lgkmcnt(0)
	s_barrier
	s_and_saveexec_b64 s[0:1], s[40:41]
	s_cbranch_execz .LBB129_327
; %bb.326:
	v_mov_b32_e32 v31, 0
	ds_read_b64 v[31:32], v31 offset:9368
	ds_read_b64 v[33:34], v13
	s_waitcnt lgkmcnt(0)
	v_fma_f64 v[10:11], v[31:32], v[33:34], v[10:11]
.LBB129_327:
	s_or_b64 exec, exec, s[0:1]
	s_barrier
	s_and_saveexec_b64 s[0:1], s[40:41]
; %bb.328:
	ds_write_b64 v13, v[10:11]
; %bb.329:
	s_or_b64 exec, exec, s[0:1]
	s_waitcnt lgkmcnt(0)
	s_barrier
	s_barrier
	s_and_saveexec_b64 s[0:1], s[2:3]
; %bb.330:
	v_xor_b32_e32 v11, 0x80000000, v11
	ds_write_b64 v12, v[10:11] offset:8336
; %bb.331:
	s_or_b64 exec, exec, s[0:1]
	s_waitcnt lgkmcnt(0)
	s_barrier
	s_barrier
	s_and_saveexec_b64 s[14:15], s[44:45]
	s_cbranch_execz .LBB129_333
; %bb.332:
	v_lshlrev_b32_e32 v31, 3, v0
	s_movk_i32 s0, 0x1f8
	v_mad_u32_u24 v32, v0, s0, v31
	ds_read_b64 v[10:11], v32 offset:8336
	s_waitcnt lgkmcnt(0)
	ds_write_b64 v31, v[10:11] offset:9344
	ds_read_b64 v[10:11], v32 offset:8344
	s_waitcnt lgkmcnt(0)
	ds_write_b64 v31, v[10:11] offset:9856
.LBB129_333:
	s_or_b64 exec, exec, s[14:15]
	s_waitcnt lgkmcnt(0)
	s_barrier
	s_and_saveexec_b64 s[14:15], vcc
	s_cbranch_execz .LBB129_335
; %bb.334:
	v_mov_b32_e32 v33, 0
	ds_read_b64 v[31:32], v33 offset:9368
	v_mov_b32_e32 v34, 0x3ff00000
	ds_write_b64 v33, v[33:34] offset:9360
	s_waitcnt lgkmcnt(1)
	ds_write_b128 v33, v[31:34] offset:9872
.LBB129_335:
	s_or_b64 exec, exec, s[14:15]
	v_mov_b32_e32 v10, 0
	v_mov_b32_e32 v11, 0
	s_waitcnt lgkmcnt(0)
	s_barrier
	s_and_saveexec_b64 s[16:17], s[18:19]
	s_cbranch_execz .LBB129_341
; %bb.336:
	v_mul_u32_u24_e32 v31, 0x208, v20
	ds_read_b64 v[10:11], v16 offset:8352
	ds_read_b64 v[32:33], v31 offset:8320
	v_cmp_gt_u32_e64 s[14:15], 12, v14
	s_waitcnt lgkmcnt(0)
	v_fma_f64 v[10:11], v[10:11], v[32:33], 0
	s_and_saveexec_b64 s[20:21], s[14:15]
	s_cbranch_execnz .LBB129_1184
; %bb.337:
	s_or_b64 exec, exec, s[20:21]
	v_cmp_gt_u32_e64 s[14:15], 8, v14
	s_and_saveexec_b64 s[0:1], s[14:15]
	s_cbranch_execnz .LBB129_1185
.LBB129_338:
	s_or_b64 exec, exec, s[0:1]
	v_cmp_gt_u32_e64 s[14:15], 4, v14
	s_and_saveexec_b64 s[20:21], s[14:15]
	s_cbranch_execz .LBB129_340
.LBB129_339:
	v_lshlrev_b32_e32 v31, 3, v0
	v_mov_b32_e32 v33, 0
	ds_read_b64 v[31:32], v31 offset:9888
	ds_read_b64 v[33:34], v33 offset:8344
	s_waitcnt lgkmcnt(0)
	v_fma_f64 v[10:11], v[31:32], v[33:34], v[10:11]
.LBB129_340:
	s_or_b64 exec, exec, s[20:21]
	v_xor_b32_e32 v11, 0x80000000, v11
.LBB129_341:
	s_or_b64 exec, exec, s[16:17]
	s_and_saveexec_b64 s[0:1], s[48:49]
; %bb.342:
	ds_write_b64 v18, v[10:11]
; %bb.343:
	s_or_b64 exec, exec, s[0:1]
	s_waitcnt lgkmcnt(0)
	s_barrier
	s_and_saveexec_b64 s[0:1], s[50:51]
	s_cbranch_execz .LBB129_345
; %bb.344:
	ds_read_b64 v[31:32], v17 offset:10400
	ds_read_b64 v[33:34], v18
	s_waitcnt lgkmcnt(0)
	v_fma_f64 v[10:11], v[31:32], v[33:34], v[10:11]
.LBB129_345:
	s_or_b64 exec, exec, s[0:1]
	s_barrier
	s_and_saveexec_b64 s[0:1], s[52:53]
; %bb.346:
	ds_write_b64 v18, v[10:11]
; %bb.347:
	s_or_b64 exec, exec, s[0:1]
	s_waitcnt lgkmcnt(0)
	s_barrier
	s_and_saveexec_b64 s[0:1], s[54:55]
	s_cbranch_execz .LBB129_349
; %bb.348:
	ds_read_b64 v[31:32], v17 offset:10912
	ds_read_b64 v[33:34], v18
	s_waitcnt lgkmcnt(0)
	v_fma_f64 v[10:11], v[31:32], v[33:34], v[10:11]
.LBB129_349:
	s_or_b64 exec, exec, s[0:1]
	s_barrier
	s_and_saveexec_b64 s[0:1], s[56:57]
; %bb.350:
	ds_write_b64 v18, v[10:11]
; %bb.351:
	s_or_b64 exec, exec, s[0:1]
	s_waitcnt lgkmcnt(0)
	s_barrier
	s_and_saveexec_b64 s[0:1], s[46:47]
	s_cbranch_execz .LBB129_353
; %bb.352:
	v_mov_b32_e32 v31, 0
	ds_read_b64 v[31:32], v31 offset:11448
	ds_read_b64 v[33:34], v18
	s_waitcnt lgkmcnt(0)
	v_fma_f64 v[10:11], v[31:32], v[33:34], v[10:11]
.LBB129_353:
	s_or_b64 exec, exec, s[0:1]
	s_barrier
	s_and_saveexec_b64 s[0:1], s[46:47]
; %bb.354:
	ds_write_b64 v18, v[10:11]
; %bb.355:
	s_or_b64 exec, exec, s[0:1]
	s_waitcnt lgkmcnt(0)
	s_barrier
	s_barrier
	s_and_saveexec_b64 s[0:1], s[18:19]
; %bb.356:
	v_xor_b32_e32 v11, 0x80000000, v11
	ds_write_b64 v16, v[10:11] offset:8352
; %bb.357:
	s_or_b64 exec, exec, s[0:1]
	s_waitcnt lgkmcnt(0)
	s_barrier
	s_barrier
	s_and_saveexec_b64 s[14:15], s[58:59]
	s_cbranch_execz .LBB129_359
; %bb.358:
	v_lshlrev_b32_e32 v31, 9, v0
	ds_read_b64 v[10:11], v31 offset:8352
	s_movk_i32 s0, 0xfe08
	v_mad_i32_i24 v32, v0, s0, v31
	s_waitcnt lgkmcnt(0)
	ds_write_b64 v32, v[10:11] offset:10368
	ds_read_b64 v[10:11], v31 offset:8360
	s_waitcnt lgkmcnt(0)
	ds_write_b64 v32, v[10:11] offset:10880
	ds_read_b64 v[10:11], v31 offset:8368
	;; [unrolled: 3-line block ×3, first 2 shown]
	s_waitcnt lgkmcnt(0)
	ds_write_b64 v32, v[10:11] offset:11904
.LBB129_359:
	s_or_b64 exec, exec, s[14:15]
	s_waitcnt lgkmcnt(0)
	s_barrier
	s_and_saveexec_b64 s[14:15], vcc
	s_cbranch_execz .LBB129_361
; %bb.360:
	v_mov_b32_e32 v33, 0
	ds_read_b64 v[31:32], v33 offset:10408
	v_mov_b32_e32 v34, 0x3ff00000
	ds_write_b64 v33, v[33:34] offset:10400
	s_waitcnt lgkmcnt(1)
	ds_write_b128 v33, v[31:34] offset:10912
.LBB129_361:
	s_or_b64 exec, exec, s[14:15]
	v_mov_b32_e32 v10, 0
	v_mov_b32_e32 v11, 0
	s_waitcnt lgkmcnt(0)
	s_barrier
	s_and_saveexec_b64 s[16:17], s[2:3]
	s_cbranch_execz .LBB129_365
; %bb.362:
	v_mul_u32_u24_e32 v31, 0x208, v15
	ds_read_b64 v[10:11], v12 offset:10416
	ds_read_b64 v[31:32], v31 offset:10400
	v_cmp_gt_u32_e64 s[14:15], 2, v14
	s_waitcnt lgkmcnt(0)
	v_fma_f64 v[10:11], v[10:11], v[31:32], 0
	s_and_saveexec_b64 s[20:21], s[14:15]
	s_cbranch_execz .LBB129_364
; %bb.363:
	v_lshlrev_b32_e32 v31, 3, v0
	v_mov_b32_e32 v33, 0
	ds_read_b64 v[31:32], v31 offset:10928
	ds_read_b64 v[33:34], v33 offset:10408
	s_waitcnt lgkmcnt(0)
	v_fma_f64 v[10:11], v[31:32], v[33:34], v[10:11]
.LBB129_364:
	s_or_b64 exec, exec, s[20:21]
	v_xor_b32_e32 v11, 0x80000000, v11
.LBB129_365:
	s_or_b64 exec, exec, s[16:17]
	s_and_saveexec_b64 s[0:1], s[42:43]
; %bb.366:
	ds_write_b64 v13, v[10:11]
; %bb.367:
	s_or_b64 exec, exec, s[0:1]
	s_waitcnt lgkmcnt(0)
	s_barrier
	s_and_saveexec_b64 s[0:1], s[40:41]
	s_cbranch_execz .LBB129_369
; %bb.368:
	v_mov_b32_e32 v31, 0
	ds_read_b64 v[31:32], v31 offset:11448
	ds_read_b64 v[33:34], v13
	s_waitcnt lgkmcnt(0)
	v_fma_f64 v[10:11], v[31:32], v[33:34], v[10:11]
.LBB129_369:
	s_or_b64 exec, exec, s[0:1]
	s_barrier
	s_and_saveexec_b64 s[0:1], s[40:41]
; %bb.370:
	ds_write_b64 v13, v[10:11]
; %bb.371:
	s_or_b64 exec, exec, s[0:1]
	s_waitcnt lgkmcnt(0)
	s_barrier
	s_barrier
	s_and_saveexec_b64 s[0:1], s[2:3]
; %bb.372:
	v_xor_b32_e32 v11, 0x80000000, v11
	ds_write_b64 v12, v[10:11] offset:10416
; %bb.373:
	s_or_b64 exec, exec, s[0:1]
	s_waitcnt lgkmcnt(0)
	s_barrier
	s_barrier
	s_and_saveexec_b64 s[14:15], s[44:45]
	s_cbranch_execz .LBB129_375
; %bb.374:
	v_lshlrev_b32_e32 v31, 3, v0
	s_movk_i32 s0, 0x1f8
	v_mad_u32_u24 v32, v0, s0, v31
	ds_read_b64 v[10:11], v32 offset:10416
	s_waitcnt lgkmcnt(0)
	ds_write_b64 v31, v[10:11] offset:11424
	ds_read_b64 v[10:11], v32 offset:10424
	s_waitcnt lgkmcnt(0)
	ds_write_b64 v31, v[10:11] offset:11936
.LBB129_375:
	s_or_b64 exec, exec, s[14:15]
	s_waitcnt lgkmcnt(0)
	s_barrier
	s_and_saveexec_b64 s[14:15], vcc
	s_cbranch_execz .LBB129_377
; %bb.376:
	v_mov_b32_e32 v33, 0
	ds_read_b64 v[31:32], v33 offset:11448
	v_mov_b32_e32 v34, 0x3ff00000
	ds_write_b64 v33, v[33:34] offset:11440
	s_waitcnt lgkmcnt(1)
	ds_write_b128 v33, v[31:34] offset:11952
.LBB129_377:
	s_or_b64 exec, exec, s[14:15]
	v_mov_b32_e32 v10, 0
	v_mov_b32_e32 v11, 0
	s_waitcnt lgkmcnt(0)
	s_barrier
	s_and_saveexec_b64 s[16:17], s[8:9]
	s_cbranch_execz .LBB129_387
; %bb.378:
	v_mul_u32_u24_e32 v31, 0x208, v25
	ds_read_b64 v[10:11], v21 offset:8384
	ds_read_b64 v[32:33], v31 offset:8320
	v_cmp_gt_u32_e64 s[14:15], 56, v14
	s_waitcnt lgkmcnt(0)
	v_fma_f64 v[10:11], v[10:11], v[32:33], 0
	s_and_saveexec_b64 s[20:21], s[14:15]
	s_cbranch_execnz .LBB129_1186
; %bb.379:
	s_or_b64 exec, exec, s[20:21]
	v_cmp_gt_u32_e64 s[14:15], 48, v14
	s_and_saveexec_b64 s[20:21], s[14:15]
	s_cbranch_execnz .LBB129_1187
.LBB129_380:
	s_or_b64 exec, exec, s[20:21]
	v_cmp_gt_u32_e64 s[14:15], 40, v14
	s_and_saveexec_b64 s[20:21], s[14:15]
	s_cbranch_execnz .LBB129_1188
.LBB129_381:
	s_or_b64 exec, exec, s[20:21]
	v_cmp_gt_u32_e64 s[14:15], 32, v14
	s_and_saveexec_b64 s[0:1], s[14:15]
	s_cbranch_execnz .LBB129_1189
.LBB129_382:
	s_or_b64 exec, exec, s[0:1]
	v_cmp_gt_u32_e64 s[14:15], 24, v14
	s_and_saveexec_b64 s[20:21], s[14:15]
	s_cbranch_execnz .LBB129_1190
.LBB129_383:
	s_or_b64 exec, exec, s[20:21]
	v_cmp_gt_u32_e64 s[14:15], 16, v14
	s_and_saveexec_b64 s[0:1], s[14:15]
	s_cbranch_execnz .LBB129_1191
.LBB129_384:
	s_or_b64 exec, exec, s[0:1]
	v_cmp_gt_u32_e64 s[14:15], 8, v14
	s_and_saveexec_b64 s[20:21], s[14:15]
	s_cbranch_execz .LBB129_386
.LBB129_385:
	v_lshlrev_b32_e32 v31, 3, v0
	v_mov_b32_e32 v33, 0
	ds_read_b64 v[31:32], v31 offset:11968
	ds_read_b64 v[33:34], v33 offset:8376
	s_waitcnt lgkmcnt(0)
	v_fma_f64 v[10:11], v[31:32], v[33:34], v[10:11]
.LBB129_386:
	s_or_b64 exec, exec, s[20:21]
	v_xor_b32_e32 v11, 0x80000000, v11
.LBB129_387:
	s_or_b64 exec, exec, s[16:17]
	s_and_saveexec_b64 s[0:1], s[60:61]
; %bb.388:
	ds_write_b64 v23, v[10:11]
; %bb.389:
	s_or_b64 exec, exec, s[0:1]
	s_waitcnt lgkmcnt(0)
	s_barrier
	s_and_saveexec_b64 s[0:1], s[62:63]
	s_cbranch_execz .LBB129_391
; %bb.390:
	ds_read_b64 v[31:32], v22 offset:12480
	ds_read_b64 v[33:34], v23
	s_waitcnt lgkmcnt(0)
	v_fma_f64 v[10:11], v[31:32], v[33:34], v[10:11]
.LBB129_391:
	s_or_b64 exec, exec, s[0:1]
	s_barrier
	s_and_saveexec_b64 s[0:1], s[64:65]
; %bb.392:
	ds_write_b64 v23, v[10:11]
; %bb.393:
	s_or_b64 exec, exec, s[0:1]
	s_waitcnt lgkmcnt(0)
	s_barrier
	s_and_saveexec_b64 s[0:1], s[66:67]
	s_cbranch_execz .LBB129_395
; %bb.394:
	ds_read_b64 v[31:32], v22 offset:12992
	ds_read_b64 v[33:34], v23
	s_waitcnt lgkmcnt(0)
	v_fma_f64 v[10:11], v[31:32], v[33:34], v[10:11]
.LBB129_395:
	s_or_b64 exec, exec, s[0:1]
	s_barrier
	;; [unrolled: 17-line block ×6, first 2 shown]
	s_and_saveexec_b64 s[0:1], s[86:87]
; %bb.412:
	ds_write_b64 v23, v[10:11]
; %bb.413:
	s_or_b64 exec, exec, s[0:1]
	s_waitcnt lgkmcnt(0)
	s_barrier
	s_and_saveexec_b64 s[0:1], s[70:71]
	s_cbranch_execz .LBB129_415
; %bb.414:
	v_mov_b32_e32 v31, 0
	ds_read_b64 v[31:32], v31 offset:15608
	ds_read_b64 v[33:34], v23
	s_waitcnt lgkmcnt(0)
	v_fma_f64 v[10:11], v[31:32], v[33:34], v[10:11]
.LBB129_415:
	s_or_b64 exec, exec, s[0:1]
	s_barrier
	s_and_saveexec_b64 s[0:1], s[70:71]
; %bb.416:
	ds_write_b64 v23, v[10:11]
; %bb.417:
	s_or_b64 exec, exec, s[0:1]
	s_waitcnt lgkmcnt(0)
	s_barrier
	s_barrier
	s_and_saveexec_b64 s[0:1], s[8:9]
; %bb.418:
	v_xor_b32_e32 v11, 0x80000000, v11
	ds_write_b64 v21, v[10:11] offset:8384
; %bb.419:
	s_or_b64 exec, exec, s[0:1]
	s_waitcnt lgkmcnt(0)
	s_barrier
	s_barrier
	s_and_saveexec_b64 s[14:15], s[88:89]
	s_cbranch_execz .LBB129_421
; %bb.420:
	v_lshlrev_b32_e32 v31, 9, v0
	ds_read_b64 v[10:11], v31 offset:8384
	s_movk_i32 s0, 0xfe08
	v_mad_i32_i24 v32, v0, s0, v31
	s_waitcnt lgkmcnt(0)
	ds_write_b64 v32, v[10:11] offset:12416
	ds_read_b64 v[10:11], v31 offset:8392
	s_waitcnt lgkmcnt(0)
	ds_write_b64 v32, v[10:11] offset:12928
	ds_read_b64 v[10:11], v31 offset:8400
	;; [unrolled: 3-line block ×7, first 2 shown]
	s_waitcnt lgkmcnt(0)
	ds_write_b64 v32, v[10:11] offset:16000
.LBB129_421:
	s_or_b64 exec, exec, s[14:15]
	s_waitcnt lgkmcnt(0)
	s_barrier
	s_and_saveexec_b64 s[14:15], vcc
	s_cbranch_execz .LBB129_423
; %bb.422:
	v_mov_b32_e32 v33, 0
	ds_read_b64 v[31:32], v33 offset:12488
	v_mov_b32_e32 v34, 0x3ff00000
	ds_write_b64 v33, v[33:34] offset:12480
	s_waitcnt lgkmcnt(1)
	ds_write_b128 v33, v[31:34] offset:12992
.LBB129_423:
	s_or_b64 exec, exec, s[14:15]
	v_mov_b32_e32 v10, 0
	v_mov_b32_e32 v11, 0
	s_waitcnt lgkmcnt(0)
	s_barrier
	s_and_saveexec_b64 s[16:17], s[2:3]
	s_cbranch_execz .LBB129_427
; %bb.424:
	v_mul_u32_u24_e32 v31, 0x208, v15
	ds_read_b64 v[10:11], v12 offset:12496
	ds_read_b64 v[31:32], v31 offset:12480
	v_cmp_gt_u32_e64 s[14:15], 2, v14
	s_waitcnt lgkmcnt(0)
	v_fma_f64 v[10:11], v[10:11], v[31:32], 0
	s_and_saveexec_b64 s[20:21], s[14:15]
	s_cbranch_execz .LBB129_426
; %bb.425:
	v_lshlrev_b32_e32 v31, 3, v0
	v_mov_b32_e32 v33, 0
	ds_read_b64 v[31:32], v31 offset:13008
	ds_read_b64 v[33:34], v33 offset:12488
	s_waitcnt lgkmcnt(0)
	v_fma_f64 v[10:11], v[31:32], v[33:34], v[10:11]
.LBB129_426:
	s_or_b64 exec, exec, s[20:21]
	v_xor_b32_e32 v11, 0x80000000, v11
.LBB129_427:
	s_or_b64 exec, exec, s[16:17]
	s_and_saveexec_b64 s[0:1], s[42:43]
; %bb.428:
	ds_write_b64 v13, v[10:11]
; %bb.429:
	s_or_b64 exec, exec, s[0:1]
	s_waitcnt lgkmcnt(0)
	s_barrier
	s_and_saveexec_b64 s[0:1], s[40:41]
	s_cbranch_execz .LBB129_431
; %bb.430:
	v_mov_b32_e32 v31, 0
	ds_read_b64 v[31:32], v31 offset:13528
	ds_read_b64 v[33:34], v13
	s_waitcnt lgkmcnt(0)
	v_fma_f64 v[10:11], v[31:32], v[33:34], v[10:11]
.LBB129_431:
	s_or_b64 exec, exec, s[0:1]
	s_barrier
	s_and_saveexec_b64 s[0:1], s[40:41]
; %bb.432:
	ds_write_b64 v13, v[10:11]
; %bb.433:
	s_or_b64 exec, exec, s[0:1]
	s_waitcnt lgkmcnt(0)
	s_barrier
	s_barrier
	s_and_saveexec_b64 s[0:1], s[2:3]
; %bb.434:
	v_xor_b32_e32 v11, 0x80000000, v11
	ds_write_b64 v12, v[10:11] offset:12496
; %bb.435:
	s_or_b64 exec, exec, s[0:1]
	s_waitcnt lgkmcnt(0)
	s_barrier
	s_barrier
	s_and_saveexec_b64 s[14:15], s[44:45]
	s_cbranch_execz .LBB129_437
; %bb.436:
	v_lshlrev_b32_e32 v31, 3, v0
	s_movk_i32 s0, 0x1f8
	v_mad_u32_u24 v32, v0, s0, v31
	ds_read_b64 v[10:11], v32 offset:12496
	s_waitcnt lgkmcnt(0)
	ds_write_b64 v31, v[10:11] offset:13504
	ds_read_b64 v[10:11], v32 offset:12504
	s_waitcnt lgkmcnt(0)
	ds_write_b64 v31, v[10:11] offset:14016
.LBB129_437:
	s_or_b64 exec, exec, s[14:15]
	s_waitcnt lgkmcnt(0)
	s_barrier
	s_and_saveexec_b64 s[14:15], vcc
	s_cbranch_execz .LBB129_439
; %bb.438:
	v_mov_b32_e32 v33, 0
	ds_read_b64 v[31:32], v33 offset:13528
	v_mov_b32_e32 v34, 0x3ff00000
	ds_write_b64 v33, v[33:34] offset:13520
	s_waitcnt lgkmcnt(1)
	ds_write_b128 v33, v[31:34] offset:14032
.LBB129_439:
	s_or_b64 exec, exec, s[14:15]
	v_mov_b32_e32 v10, 0
	v_mov_b32_e32 v11, 0
	s_waitcnt lgkmcnt(0)
	s_barrier
	s_and_saveexec_b64 s[16:17], s[18:19]
	s_cbranch_execz .LBB129_445
; %bb.440:
	v_mul_u32_u24_e32 v31, 0x208, v20
	ds_read_b64 v[10:11], v16 offset:12512
	ds_read_b64 v[32:33], v31 offset:12480
	v_cmp_gt_u32_e64 s[14:15], 12, v14
	s_waitcnt lgkmcnt(0)
	v_fma_f64 v[10:11], v[10:11], v[32:33], 0
	s_and_saveexec_b64 s[20:21], s[14:15]
	s_cbranch_execnz .LBB129_1192
; %bb.441:
	s_or_b64 exec, exec, s[20:21]
	v_cmp_gt_u32_e64 s[14:15], 8, v14
	s_and_saveexec_b64 s[0:1], s[14:15]
	s_cbranch_execnz .LBB129_1193
.LBB129_442:
	s_or_b64 exec, exec, s[0:1]
	v_cmp_gt_u32_e64 s[14:15], 4, v14
	s_and_saveexec_b64 s[20:21], s[14:15]
	s_cbranch_execz .LBB129_444
.LBB129_443:
	v_lshlrev_b32_e32 v31, 3, v0
	v_mov_b32_e32 v33, 0
	ds_read_b64 v[31:32], v31 offset:14048
	ds_read_b64 v[33:34], v33 offset:12504
	s_waitcnt lgkmcnt(0)
	v_fma_f64 v[10:11], v[31:32], v[33:34], v[10:11]
.LBB129_444:
	s_or_b64 exec, exec, s[20:21]
	v_xor_b32_e32 v11, 0x80000000, v11
.LBB129_445:
	s_or_b64 exec, exec, s[16:17]
	s_and_saveexec_b64 s[0:1], s[48:49]
; %bb.446:
	ds_write_b64 v18, v[10:11]
; %bb.447:
	s_or_b64 exec, exec, s[0:1]
	s_waitcnt lgkmcnt(0)
	s_barrier
	s_and_saveexec_b64 s[0:1], s[50:51]
	s_cbranch_execz .LBB129_449
; %bb.448:
	ds_read_b64 v[31:32], v17 offset:14560
	ds_read_b64 v[33:34], v18
	s_waitcnt lgkmcnt(0)
	v_fma_f64 v[10:11], v[31:32], v[33:34], v[10:11]
.LBB129_449:
	s_or_b64 exec, exec, s[0:1]
	s_barrier
	s_and_saveexec_b64 s[0:1], s[52:53]
; %bb.450:
	ds_write_b64 v18, v[10:11]
; %bb.451:
	s_or_b64 exec, exec, s[0:1]
	s_waitcnt lgkmcnt(0)
	s_barrier
	s_and_saveexec_b64 s[0:1], s[54:55]
	s_cbranch_execz .LBB129_453
; %bb.452:
	ds_read_b64 v[31:32], v17 offset:15072
	ds_read_b64 v[33:34], v18
	s_waitcnt lgkmcnt(0)
	v_fma_f64 v[10:11], v[31:32], v[33:34], v[10:11]
.LBB129_453:
	s_or_b64 exec, exec, s[0:1]
	s_barrier
	s_and_saveexec_b64 s[0:1], s[56:57]
; %bb.454:
	ds_write_b64 v18, v[10:11]
; %bb.455:
	s_or_b64 exec, exec, s[0:1]
	s_waitcnt lgkmcnt(0)
	s_barrier
	s_and_saveexec_b64 s[0:1], s[46:47]
	s_cbranch_execz .LBB129_457
; %bb.456:
	v_mov_b32_e32 v31, 0
	ds_read_b64 v[31:32], v31 offset:15608
	ds_read_b64 v[33:34], v18
	s_waitcnt lgkmcnt(0)
	v_fma_f64 v[10:11], v[31:32], v[33:34], v[10:11]
.LBB129_457:
	s_or_b64 exec, exec, s[0:1]
	s_barrier
	s_and_saveexec_b64 s[0:1], s[46:47]
; %bb.458:
	ds_write_b64 v18, v[10:11]
; %bb.459:
	s_or_b64 exec, exec, s[0:1]
	s_waitcnt lgkmcnt(0)
	s_barrier
	s_barrier
	s_and_saveexec_b64 s[0:1], s[18:19]
; %bb.460:
	v_xor_b32_e32 v11, 0x80000000, v11
	ds_write_b64 v16, v[10:11] offset:12512
; %bb.461:
	s_or_b64 exec, exec, s[0:1]
	s_waitcnt lgkmcnt(0)
	s_barrier
	s_barrier
	s_and_saveexec_b64 s[14:15], s[58:59]
	s_cbranch_execz .LBB129_463
; %bb.462:
	v_lshlrev_b32_e32 v31, 9, v0
	ds_read_b64 v[10:11], v31 offset:12512
	s_movk_i32 s0, 0xfe08
	v_mad_i32_i24 v32, v0, s0, v31
	s_waitcnt lgkmcnt(0)
	ds_write_b64 v32, v[10:11] offset:14528
	ds_read_b64 v[10:11], v31 offset:12520
	s_waitcnt lgkmcnt(0)
	ds_write_b64 v32, v[10:11] offset:15040
	ds_read_b64 v[10:11], v31 offset:12528
	;; [unrolled: 3-line block ×3, first 2 shown]
	s_waitcnt lgkmcnt(0)
	ds_write_b64 v32, v[10:11] offset:16064
.LBB129_463:
	s_or_b64 exec, exec, s[14:15]
	s_waitcnt lgkmcnt(0)
	s_barrier
	s_and_saveexec_b64 s[14:15], vcc
	s_cbranch_execz .LBB129_465
; %bb.464:
	v_mov_b32_e32 v33, 0
	ds_read_b64 v[31:32], v33 offset:14568
	v_mov_b32_e32 v34, 0x3ff00000
	ds_write_b64 v33, v[33:34] offset:14560
	s_waitcnt lgkmcnt(1)
	ds_write_b128 v33, v[31:34] offset:15072
.LBB129_465:
	s_or_b64 exec, exec, s[14:15]
	v_mov_b32_e32 v10, 0
	v_mov_b32_e32 v11, 0
	s_waitcnt lgkmcnt(0)
	s_barrier
	s_and_saveexec_b64 s[16:17], s[2:3]
	s_cbranch_execz .LBB129_469
; %bb.466:
	v_mul_u32_u24_e32 v31, 0x208, v15
	ds_read_b64 v[10:11], v12 offset:14576
	ds_read_b64 v[31:32], v31 offset:14560
	v_cmp_gt_u32_e64 s[14:15], 2, v14
	s_waitcnt lgkmcnt(0)
	v_fma_f64 v[10:11], v[10:11], v[31:32], 0
	s_and_saveexec_b64 s[20:21], s[14:15]
	s_cbranch_execz .LBB129_468
; %bb.467:
	v_lshlrev_b32_e32 v31, 3, v0
	v_mov_b32_e32 v33, 0
	ds_read_b64 v[31:32], v31 offset:15088
	ds_read_b64 v[33:34], v33 offset:14568
	s_waitcnt lgkmcnt(0)
	v_fma_f64 v[10:11], v[31:32], v[33:34], v[10:11]
.LBB129_468:
	s_or_b64 exec, exec, s[20:21]
	v_xor_b32_e32 v11, 0x80000000, v11
.LBB129_469:
	s_or_b64 exec, exec, s[16:17]
	s_and_saveexec_b64 s[0:1], s[42:43]
; %bb.470:
	ds_write_b64 v13, v[10:11]
; %bb.471:
	s_or_b64 exec, exec, s[0:1]
	s_waitcnt lgkmcnt(0)
	s_barrier
	s_and_saveexec_b64 s[0:1], s[40:41]
	s_cbranch_execz .LBB129_473
; %bb.472:
	v_mov_b32_e32 v31, 0
	ds_read_b64 v[31:32], v31 offset:15608
	ds_read_b64 v[33:34], v13
	s_waitcnt lgkmcnt(0)
	v_fma_f64 v[10:11], v[31:32], v[33:34], v[10:11]
.LBB129_473:
	s_or_b64 exec, exec, s[0:1]
	s_barrier
	s_and_saveexec_b64 s[0:1], s[40:41]
; %bb.474:
	ds_write_b64 v13, v[10:11]
; %bb.475:
	s_or_b64 exec, exec, s[0:1]
	s_waitcnt lgkmcnt(0)
	s_barrier
	s_barrier
	s_and_saveexec_b64 s[0:1], s[2:3]
; %bb.476:
	v_xor_b32_e32 v11, 0x80000000, v11
	ds_write_b64 v12, v[10:11] offset:14576
; %bb.477:
	s_or_b64 exec, exec, s[0:1]
	s_waitcnt lgkmcnt(0)
	s_barrier
	s_barrier
	s_and_saveexec_b64 s[14:15], s[44:45]
	s_cbranch_execz .LBB129_479
; %bb.478:
	v_lshlrev_b32_e32 v31, 3, v0
	s_movk_i32 s0, 0x1f8
	v_mad_u32_u24 v32, v0, s0, v31
	ds_read_b64 v[10:11], v32 offset:14576
	s_waitcnt lgkmcnt(0)
	ds_write_b64 v31, v[10:11] offset:15584
	ds_read_b64 v[10:11], v32 offset:14584
	s_waitcnt lgkmcnt(0)
	ds_write_b64 v31, v[10:11] offset:16096
.LBB129_479:
	s_or_b64 exec, exec, s[14:15]
	s_waitcnt lgkmcnt(0)
	s_barrier
	s_and_saveexec_b64 s[14:15], vcc
	s_cbranch_execz .LBB129_481
; %bb.480:
	v_mov_b32_e32 v33, 0
	ds_read_b64 v[31:32], v33 offset:15608
	v_mov_b32_e32 v34, 0x3ff00000
	ds_write_b64 v33, v[33:34] offset:15600
	s_waitcnt lgkmcnt(1)
	ds_write_b128 v33, v[31:34] offset:16112
.LBB129_481:
	s_or_b64 exec, exec, s[14:15]
	v_and_b32_e32 v33, 31, v0
	s_movk_i32 s0, 0x3ff
	v_lshrrev_b32_e32 v34, 5, v14
	v_cmp_lt_u32_e64 s[16:17], s0, v14
	s_movk_i32 s0, 0x400
	v_lshlrev_b32_e32 v32, 3, v33
	v_mov_b32_e32 v10, 0
	v_cmp_gt_u32_e64 s[14:15], s0, v14
	v_mov_b32_e32 v11, 0
	v_lshl_or_b32 v31, v34, 9, v32
	s_waitcnt lgkmcnt(0)
	s_barrier
	s_and_saveexec_b64 s[36:37], s[14:15]
	s_cbranch_execz .LBB129_543
; %bb.482:
	v_mul_u32_u24_e32 v35, 0x208, v34
	ds_read_b64 v[10:11], v31 offset:256
	ds_read_b64 v[36:37], v35
	s_movk_i32 s0, 0x3e0
	v_cmp_gt_u32_e64 s[20:21], s0, v14
	s_waitcnt lgkmcnt(0)
	v_fma_f64 v[10:11], v[10:11], v[36:37], 0
	s_and_saveexec_b64 s[0:1], s[20:21]
	s_cbranch_execz .LBB129_484
; %bb.483:
	ds_read_b64 v[36:37], v31 offset:768
	ds_read_b64 v[38:39], v35 offset:8
	s_waitcnt lgkmcnt(0)
	v_fma_f64 v[10:11], v[36:37], v[38:39], v[10:11]
.LBB129_484:
	s_or_b64 exec, exec, s[0:1]
	s_movk_i32 s0, 0x3c0
	v_cmp_gt_u32_e64 s[20:21], s0, v14
	s_and_saveexec_b64 s[0:1], s[20:21]
	s_cbranch_execz .LBB129_486
; %bb.485:
	ds_read_b64 v[36:37], v31 offset:1280
	ds_read_b64 v[38:39], v35 offset:16
	s_waitcnt lgkmcnt(0)
	v_fma_f64 v[10:11], v[36:37], v[38:39], v[10:11]
.LBB129_486:
	s_or_b64 exec, exec, s[0:1]
	s_movk_i32 s0, 0x3a0
	v_cmp_gt_u32_e64 s[20:21], s0, v14
	;; [unrolled: 11-line block ×28, first 2 shown]
	s_and_saveexec_b64 s[0:1], s[20:21]
	s_cbranch_execnz .LBB129_1194
; %bb.539:
	s_or_b64 exec, exec, s[0:1]
	v_cmp_gt_u32_e64 s[20:21], 64, v14
	s_and_saveexec_b64 s[0:1], s[20:21]
	s_cbranch_execnz .LBB129_1195
.LBB129_540:
	s_or_b64 exec, exec, s[0:1]
	v_cmp_gt_u32_e64 s[20:21], 32, v14
	s_and_saveexec_b64 s[0:1], s[20:21]
	s_cbranch_execz .LBB129_542
.LBB129_541:
	v_lshlrev_b32_e32 v35, 3, v0
	v_mov_b32_e32 v37, 0
	ds_read_b64 v[35:36], v35 offset:16128
	ds_read_b64 v[37:38], v37 offset:248
	s_waitcnt lgkmcnt(0)
	v_fma_f64 v[10:11], v[35:36], v[37:38], v[10:11]
.LBB129_542:
	s_or_b64 exec, exec, s[0:1]
	v_xor_b32_e32 v11, 0x80000000, v11
.LBB129_543:
	s_or_b64 exec, exec, s[36:37]
	v_mov_b32_e32 v35, 0x8000
	v_cmp_eq_u32_e64 s[20:21], 0, v33
	s_xor_b64 s[36:37], s[16:17], -1
	v_lshl_or_b32 v34, v34, 3, v35
	s_and_b64 s[16:17], s[36:37], s[20:21]
	s_and_saveexec_b64 s[0:1], s[16:17]
; %bb.544:
	ds_write_b64 v34, v[10:11]
; %bb.545:
	s_or_b64 exec, exec, s[0:1]
	v_cmp_ne_u32_e64 s[16:17], 0, v33
	s_and_b64 s[16:17], s[36:37], s[16:17]
	s_waitcnt lgkmcnt(0)
	s_barrier
	s_and_saveexec_b64 s[0:1], s[16:17]
	s_cbranch_execz .LBB129_547
; %bb.546:
	ds_read_b64 v[35:36], v32 offset:16640
	ds_read_b64 v[37:38], v34
	s_waitcnt lgkmcnt(0)
	v_fma_f64 v[10:11], v[35:36], v[37:38], v[10:11]
.LBB129_547:
	s_or_b64 exec, exec, s[0:1]
	v_cmp_eq_u32_e64 s[16:17], 1, v33
	s_and_b64 s[16:17], s[36:37], s[16:17]
	s_barrier
	s_and_saveexec_b64 s[0:1], s[16:17]
; %bb.548:
	ds_write_b64 v34, v[10:11]
; %bb.549:
	s_or_b64 exec, exec, s[0:1]
	v_cmp_lt_u32_e64 s[16:17], 1, v33
	s_and_b64 s[16:17], s[36:37], s[16:17]
	s_waitcnt lgkmcnt(0)
	s_barrier
	s_and_saveexec_b64 s[0:1], s[16:17]
	s_cbranch_execz .LBB129_551
; %bb.550:
	ds_read_b64 v[35:36], v32 offset:17152
	ds_read_b64 v[37:38], v34
	s_waitcnt lgkmcnt(0)
	v_fma_f64 v[10:11], v[35:36], v[37:38], v[10:11]
.LBB129_551:
	s_or_b64 exec, exec, s[0:1]
	v_cmp_eq_u32_e64 s[16:17], 2, v33
	s_and_b64 s[16:17], s[36:37], s[16:17]
	s_barrier
	s_and_saveexec_b64 s[0:1], s[16:17]
; %bb.552:
	ds_write_b64 v34, v[10:11]
; %bb.553:
	s_or_b64 exec, exec, s[0:1]
	v_cmp_lt_u32_e64 s[16:17], 2, v33
	;; [unrolled: 21-line block ×29, first 2 shown]
	s_and_b64 s[16:17], s[36:37], s[16:17]
	s_waitcnt lgkmcnt(0)
	s_barrier
	s_and_saveexec_b64 s[0:1], s[16:17]
	s_cbranch_execz .LBB129_663
; %bb.662:
	ds_read_b64 v[35:36], v32 offset:31488
	ds_read_b64 v[37:38], v34
	s_waitcnt lgkmcnt(0)
	v_fma_f64 v[10:11], v[35:36], v[37:38], v[10:11]
.LBB129_663:
	s_or_b64 exec, exec, s[0:1]
	v_cmp_eq_u32_e64 s[16:17], 30, v33
	s_and_b64 s[16:17], s[36:37], s[16:17]
	s_barrier
	s_and_saveexec_b64 s[0:1], s[16:17]
; %bb.664:
	ds_write_b64 v34, v[10:11]
; %bb.665:
	s_or_b64 exec, exec, s[0:1]
	v_cmp_eq_u32_e64 s[16:17], 31, v33
	s_and_b64 s[16:17], s[36:37], s[16:17]
	s_waitcnt lgkmcnt(0)
	s_barrier
	s_and_saveexec_b64 s[0:1], s[16:17]
	s_cbranch_execz .LBB129_667
; %bb.666:
	ds_read_b64 v[32:33], v32 offset:32000
	ds_read_b64 v[35:36], v34
	s_waitcnt lgkmcnt(0)
	v_fma_f64 v[10:11], v[32:33], v[35:36], v[10:11]
.LBB129_667:
	s_or_b64 exec, exec, s[0:1]
	s_barrier
	s_and_saveexec_b64 s[0:1], s[16:17]
; %bb.668:
	ds_write_b64 v34, v[10:11]
; %bb.669:
	s_or_b64 exec, exec, s[0:1]
	s_waitcnt lgkmcnt(0)
	s_barrier
	s_barrier
	s_and_saveexec_b64 s[0:1], s[14:15]
; %bb.670:
	v_xor_b32_e32 v11, 0x80000000, v11
	ds_write_b64 v31, v[10:11] offset:256
; %bb.671:
	s_or_b64 exec, exec, s[0:1]
	v_cmp_gt_u32_e64 s[14:15], 32, v0
	s_and_b64 s[0:1], s[12:13], s[14:15]
	s_waitcnt lgkmcnt(0)
	s_barrier
	s_barrier
	s_and_saveexec_b64 s[12:13], s[0:1]
	s_cbranch_execz .LBB129_673
; %bb.672:
	v_lshlrev_b32_e32 v31, 9, v0
	ds_read_b64 v[10:11], v31 offset:256
	s_movk_i32 s0, 0xfe08
	v_mad_i32_i24 v32, v0, s0, v31
	s_waitcnt lgkmcnt(0)
	ds_write_b64 v32, v[10:11] offset:16384
	ds_read_b64 v[10:11], v31 offset:264
	s_waitcnt lgkmcnt(0)
	ds_write_b64 v32, v[10:11] offset:16896
	ds_read_b64 v[10:11], v31 offset:272
	;; [unrolled: 3-line block ×31, first 2 shown]
	s_waitcnt lgkmcnt(0)
	ds_write_b64 v32, v[10:11] offset:32256
.LBB129_673:
	s_or_b64 exec, exec, s[12:13]
	s_waitcnt lgkmcnt(0)
	s_barrier
	s_and_saveexec_b64 s[12:13], vcc
	s_cbranch_execz .LBB129_675
; %bb.674:
	v_mov_b32_e32 v33, 0
	ds_read_b64 v[31:32], v33 offset:16648
	v_mov_b32_e32 v34, 0x3ff00000
	ds_write_b64 v33, v[33:34] offset:16640
	s_waitcnt lgkmcnt(1)
	ds_write_b128 v33, v[31:34] offset:17152
.LBB129_675:
	s_or_b64 exec, exec, s[12:13]
	v_mov_b32_e32 v10, 0
	v_mov_b32_e32 v11, 0
	s_waitcnt lgkmcnt(0)
	s_barrier
	s_and_saveexec_b64 s[14:15], s[2:3]
	s_cbranch_execz .LBB129_679
; %bb.676:
	v_mul_u32_u24_e32 v31, 0x208, v15
	ds_read_b64 v[10:11], v12 offset:16656
	ds_read_b64 v[31:32], v31 offset:16640
	v_cmp_gt_u32_e64 s[12:13], 2, v14
	s_waitcnt lgkmcnt(0)
	v_fma_f64 v[10:11], v[10:11], v[31:32], 0
	s_and_saveexec_b64 s[16:17], s[12:13]
	s_cbranch_execz .LBB129_678
; %bb.677:
	v_lshlrev_b32_e32 v31, 3, v0
	v_mov_b32_e32 v33, 0
	ds_read_b64 v[31:32], v31 offset:17168
	ds_read_b64 v[33:34], v33 offset:16648
	s_waitcnt lgkmcnt(0)
	v_fma_f64 v[10:11], v[31:32], v[33:34], v[10:11]
.LBB129_678:
	s_or_b64 exec, exec, s[16:17]
	v_xor_b32_e32 v11, 0x80000000, v11
.LBB129_679:
	s_or_b64 exec, exec, s[14:15]
	s_and_saveexec_b64 s[0:1], s[42:43]
; %bb.680:
	ds_write_b64 v13, v[10:11]
; %bb.681:
	s_or_b64 exec, exec, s[0:1]
	s_waitcnt lgkmcnt(0)
	s_barrier
	s_and_saveexec_b64 s[0:1], s[40:41]
	s_cbranch_execz .LBB129_683
; %bb.682:
	v_mov_b32_e32 v31, 0
	ds_read_b64 v[31:32], v31 offset:17688
	ds_read_b64 v[33:34], v13
	s_waitcnt lgkmcnt(0)
	v_fma_f64 v[10:11], v[31:32], v[33:34], v[10:11]
.LBB129_683:
	s_or_b64 exec, exec, s[0:1]
	s_barrier
	s_and_saveexec_b64 s[0:1], s[40:41]
; %bb.684:
	ds_write_b64 v13, v[10:11]
; %bb.685:
	s_or_b64 exec, exec, s[0:1]
	s_waitcnt lgkmcnt(0)
	s_barrier
	s_barrier
	s_and_saveexec_b64 s[0:1], s[2:3]
; %bb.686:
	v_xor_b32_e32 v11, 0x80000000, v11
	ds_write_b64 v12, v[10:11] offset:16656
; %bb.687:
	s_or_b64 exec, exec, s[0:1]
	s_waitcnt lgkmcnt(0)
	s_barrier
	s_barrier
	s_and_saveexec_b64 s[0:1], s[44:45]
	s_cbranch_execz .LBB129_689
; %bb.688:
	v_lshlrev_b32_e32 v31, 3, v0
	s_movk_i32 s12, 0x1f8
	v_mad_u32_u24 v32, v0, s12, v31
	ds_read_b64 v[10:11], v32 offset:16656
	s_waitcnt lgkmcnt(0)
	ds_write_b64 v31, v[10:11] offset:17664
	ds_read_b64 v[10:11], v32 offset:16664
	s_waitcnt lgkmcnt(0)
	ds_write_b64 v31, v[10:11] offset:18176
.LBB129_689:
	s_or_b64 exec, exec, s[0:1]
	s_waitcnt lgkmcnt(0)
	s_barrier
	s_and_saveexec_b64 s[12:13], vcc
	s_cbranch_execz .LBB129_691
; %bb.690:
	v_mov_b32_e32 v33, 0
	ds_read_b64 v[31:32], v33 offset:17688
	v_mov_b32_e32 v34, 0x3ff00000
	ds_write_b64 v33, v[33:34] offset:17680
	s_waitcnt lgkmcnt(1)
	ds_write_b128 v33, v[31:34] offset:18192
.LBB129_691:
	s_or_b64 exec, exec, s[12:13]
	v_mov_b32_e32 v10, 0
	v_mov_b32_e32 v11, 0
	s_waitcnt lgkmcnt(0)
	s_barrier
	s_and_saveexec_b64 s[14:15], s[18:19]
	s_cbranch_execz .LBB129_697
; %bb.692:
	v_mul_u32_u24_e32 v31, 0x208, v20
	ds_read_b64 v[10:11], v16 offset:16672
	ds_read_b64 v[32:33], v31 offset:16640
	v_cmp_gt_u32_e64 s[12:13], 12, v14
	s_waitcnt lgkmcnt(0)
	v_fma_f64 v[10:11], v[10:11], v[32:33], 0
	s_and_saveexec_b64 s[16:17], s[12:13]
	s_cbranch_execnz .LBB129_1196
; %bb.693:
	s_or_b64 exec, exec, s[16:17]
	v_cmp_gt_u32_e64 s[12:13], 8, v14
	s_and_saveexec_b64 s[0:1], s[12:13]
	s_cbranch_execnz .LBB129_1197
.LBB129_694:
	s_or_b64 exec, exec, s[0:1]
	v_cmp_gt_u32_e64 s[12:13], 4, v14
	s_and_saveexec_b64 s[0:1], s[12:13]
	s_cbranch_execz .LBB129_696
.LBB129_695:
	v_lshlrev_b32_e32 v31, 3, v0
	v_mov_b32_e32 v33, 0
	ds_read_b64 v[31:32], v31 offset:18208
	ds_read_b64 v[33:34], v33 offset:16664
	s_waitcnt lgkmcnt(0)
	v_fma_f64 v[10:11], v[31:32], v[33:34], v[10:11]
.LBB129_696:
	s_or_b64 exec, exec, s[0:1]
	v_xor_b32_e32 v11, 0x80000000, v11
.LBB129_697:
	s_or_b64 exec, exec, s[14:15]
	s_and_saveexec_b64 s[0:1], s[48:49]
; %bb.698:
	ds_write_b64 v18, v[10:11]
; %bb.699:
	s_or_b64 exec, exec, s[0:1]
	s_waitcnt lgkmcnt(0)
	s_barrier
	s_and_saveexec_b64 s[0:1], s[50:51]
	s_cbranch_execz .LBB129_701
; %bb.700:
	ds_read_b64 v[31:32], v17 offset:18720
	ds_read_b64 v[33:34], v18
	s_waitcnt lgkmcnt(0)
	v_fma_f64 v[10:11], v[31:32], v[33:34], v[10:11]
.LBB129_701:
	s_or_b64 exec, exec, s[0:1]
	s_barrier
	s_and_saveexec_b64 s[0:1], s[52:53]
; %bb.702:
	ds_write_b64 v18, v[10:11]
; %bb.703:
	s_or_b64 exec, exec, s[0:1]
	s_waitcnt lgkmcnt(0)
	s_barrier
	s_and_saveexec_b64 s[0:1], s[54:55]
	s_cbranch_execz .LBB129_705
; %bb.704:
	ds_read_b64 v[31:32], v17 offset:19232
	ds_read_b64 v[33:34], v18
	s_waitcnt lgkmcnt(0)
	v_fma_f64 v[10:11], v[31:32], v[33:34], v[10:11]
.LBB129_705:
	s_or_b64 exec, exec, s[0:1]
	s_barrier
	s_and_saveexec_b64 s[0:1], s[56:57]
; %bb.706:
	ds_write_b64 v18, v[10:11]
; %bb.707:
	s_or_b64 exec, exec, s[0:1]
	s_waitcnt lgkmcnt(0)
	s_barrier
	s_and_saveexec_b64 s[0:1], s[46:47]
	s_cbranch_execz .LBB129_709
; %bb.708:
	v_mov_b32_e32 v31, 0
	ds_read_b64 v[31:32], v31 offset:19768
	ds_read_b64 v[33:34], v18
	s_waitcnt lgkmcnt(0)
	v_fma_f64 v[10:11], v[31:32], v[33:34], v[10:11]
.LBB129_709:
	s_or_b64 exec, exec, s[0:1]
	s_barrier
	s_and_saveexec_b64 s[0:1], s[46:47]
; %bb.710:
	ds_write_b64 v18, v[10:11]
; %bb.711:
	s_or_b64 exec, exec, s[0:1]
	s_waitcnt lgkmcnt(0)
	s_barrier
	s_barrier
	s_and_saveexec_b64 s[0:1], s[18:19]
; %bb.712:
	v_xor_b32_e32 v11, 0x80000000, v11
	ds_write_b64 v16, v[10:11] offset:16672
; %bb.713:
	s_or_b64 exec, exec, s[0:1]
	s_waitcnt lgkmcnt(0)
	s_barrier
	s_barrier
	s_and_saveexec_b64 s[12:13], s[58:59]
	s_cbranch_execz .LBB129_715
; %bb.714:
	v_lshlrev_b32_e32 v31, 9, v0
	ds_read_b64 v[10:11], v31 offset:16672
	s_movk_i32 s0, 0xfe08
	v_mad_i32_i24 v32, v0, s0, v31
	s_waitcnt lgkmcnt(0)
	ds_write_b64 v32, v[10:11] offset:18688
	ds_read_b64 v[10:11], v31 offset:16680
	s_waitcnt lgkmcnt(0)
	ds_write_b64 v32, v[10:11] offset:19200
	ds_read_b64 v[10:11], v31 offset:16688
	s_waitcnt lgkmcnt(0)
	ds_write_b64 v32, v[10:11] offset:19712
	ds_read_b64 v[10:11], v31 offset:16696
	s_waitcnt lgkmcnt(0)
	ds_write_b64 v32, v[10:11] offset:20224
.LBB129_715:
	s_or_b64 exec, exec, s[12:13]
	s_waitcnt lgkmcnt(0)
	s_barrier
	s_and_saveexec_b64 s[12:13], vcc
	s_cbranch_execz .LBB129_717
; %bb.716:
	v_mov_b32_e32 v33, 0
	ds_read_b64 v[31:32], v33 offset:18728
	v_mov_b32_e32 v34, 0x3ff00000
	ds_write_b64 v33, v[33:34] offset:18720
	s_waitcnt lgkmcnt(1)
	ds_write_b128 v33, v[31:34] offset:19232
.LBB129_717:
	s_or_b64 exec, exec, s[12:13]
	v_mov_b32_e32 v10, 0
	v_mov_b32_e32 v11, 0
	s_waitcnt lgkmcnt(0)
	s_barrier
	s_and_saveexec_b64 s[14:15], s[2:3]
	s_cbranch_execz .LBB129_721
; %bb.718:
	v_mul_u32_u24_e32 v31, 0x208, v15
	ds_read_b64 v[10:11], v12 offset:18736
	ds_read_b64 v[31:32], v31 offset:18720
	v_cmp_gt_u32_e64 s[12:13], 2, v14
	s_waitcnt lgkmcnt(0)
	v_fma_f64 v[10:11], v[10:11], v[31:32], 0
	s_and_saveexec_b64 s[16:17], s[12:13]
	s_cbranch_execz .LBB129_720
; %bb.719:
	v_lshlrev_b32_e32 v31, 3, v0
	v_mov_b32_e32 v33, 0
	ds_read_b64 v[31:32], v31 offset:19248
	ds_read_b64 v[33:34], v33 offset:18728
	s_waitcnt lgkmcnt(0)
	v_fma_f64 v[10:11], v[31:32], v[33:34], v[10:11]
.LBB129_720:
	s_or_b64 exec, exec, s[16:17]
	v_xor_b32_e32 v11, 0x80000000, v11
.LBB129_721:
	s_or_b64 exec, exec, s[14:15]
	s_and_saveexec_b64 s[0:1], s[42:43]
; %bb.722:
	ds_write_b64 v13, v[10:11]
; %bb.723:
	s_or_b64 exec, exec, s[0:1]
	s_waitcnt lgkmcnt(0)
	s_barrier
	s_and_saveexec_b64 s[0:1], s[40:41]
	s_cbranch_execz .LBB129_725
; %bb.724:
	v_mov_b32_e32 v31, 0
	ds_read_b64 v[31:32], v31 offset:19768
	ds_read_b64 v[33:34], v13
	s_waitcnt lgkmcnt(0)
	v_fma_f64 v[10:11], v[31:32], v[33:34], v[10:11]
.LBB129_725:
	s_or_b64 exec, exec, s[0:1]
	s_barrier
	s_and_saveexec_b64 s[0:1], s[40:41]
; %bb.726:
	ds_write_b64 v13, v[10:11]
; %bb.727:
	s_or_b64 exec, exec, s[0:1]
	s_waitcnt lgkmcnt(0)
	s_barrier
	s_barrier
	s_and_saveexec_b64 s[0:1], s[2:3]
; %bb.728:
	v_xor_b32_e32 v11, 0x80000000, v11
	ds_write_b64 v12, v[10:11] offset:18736
; %bb.729:
	s_or_b64 exec, exec, s[0:1]
	s_waitcnt lgkmcnt(0)
	s_barrier
	s_barrier
	s_and_saveexec_b64 s[0:1], s[44:45]
	s_cbranch_execz .LBB129_731
; %bb.730:
	v_lshlrev_b32_e32 v31, 3, v0
	s_movk_i32 s12, 0x1f8
	v_mad_u32_u24 v32, v0, s12, v31
	ds_read_b64 v[10:11], v32 offset:18736
	s_waitcnt lgkmcnt(0)
	ds_write_b64 v31, v[10:11] offset:19744
	ds_read_b64 v[10:11], v32 offset:18744
	s_waitcnt lgkmcnt(0)
	ds_write_b64 v31, v[10:11] offset:20256
.LBB129_731:
	s_or_b64 exec, exec, s[0:1]
	s_waitcnt lgkmcnt(0)
	s_barrier
	s_and_saveexec_b64 s[12:13], vcc
	s_cbranch_execz .LBB129_733
; %bb.732:
	v_mov_b32_e32 v33, 0
	ds_read_b64 v[31:32], v33 offset:19768
	v_mov_b32_e32 v34, 0x3ff00000
	ds_write_b64 v33, v[33:34] offset:19760
	s_waitcnt lgkmcnt(1)
	ds_write_b128 v33, v[31:34] offset:20272
.LBB129_733:
	s_or_b64 exec, exec, s[12:13]
	v_mov_b32_e32 v10, 0
	v_mov_b32_e32 v11, 0
	s_waitcnt lgkmcnt(0)
	s_barrier
	s_and_saveexec_b64 s[14:15], s[8:9]
	s_cbranch_execz .LBB129_743
; %bb.734:
	v_mul_u32_u24_e32 v31, 0x208, v25
	ds_read_b64 v[10:11], v21 offset:16704
	ds_read_b64 v[32:33], v31 offset:16640
	v_cmp_gt_u32_e64 s[12:13], 56, v14
	s_waitcnt lgkmcnt(0)
	v_fma_f64 v[10:11], v[10:11], v[32:33], 0
	s_and_saveexec_b64 s[16:17], s[12:13]
	s_cbranch_execnz .LBB129_1198
; %bb.735:
	s_or_b64 exec, exec, s[16:17]
	v_cmp_gt_u32_e64 s[12:13], 48, v14
	s_and_saveexec_b64 s[0:1], s[12:13]
	s_cbranch_execnz .LBB129_1199
.LBB129_736:
	s_or_b64 exec, exec, s[0:1]
	v_cmp_gt_u32_e64 s[12:13], 40, v14
	s_and_saveexec_b64 s[0:1], s[12:13]
	s_cbranch_execnz .LBB129_1200
.LBB129_737:
	s_or_b64 exec, exec, s[0:1]
	v_cmp_gt_u32_e64 s[12:13], 32, v14
	s_and_saveexec_b64 s[0:1], s[12:13]
	s_cbranch_execnz .LBB129_1201
.LBB129_738:
	s_or_b64 exec, exec, s[0:1]
	v_cmp_gt_u32_e64 s[12:13], 24, v14
	s_and_saveexec_b64 s[0:1], s[12:13]
	s_cbranch_execnz .LBB129_1202
.LBB129_739:
	s_or_b64 exec, exec, s[0:1]
	v_cmp_gt_u32_e64 s[12:13], 16, v14
	s_and_saveexec_b64 s[0:1], s[12:13]
	s_cbranch_execnz .LBB129_1203
.LBB129_740:
	s_or_b64 exec, exec, s[0:1]
	v_cmp_gt_u32_e64 s[12:13], 8, v14
	s_and_saveexec_b64 s[0:1], s[12:13]
	s_cbranch_execz .LBB129_742
.LBB129_741:
	v_lshlrev_b32_e32 v31, 3, v0
	v_mov_b32_e32 v33, 0
	ds_read_b64 v[31:32], v31 offset:20288
	ds_read_b64 v[33:34], v33 offset:16696
	s_waitcnt lgkmcnt(0)
	v_fma_f64 v[10:11], v[31:32], v[33:34], v[10:11]
.LBB129_742:
	s_or_b64 exec, exec, s[0:1]
	v_xor_b32_e32 v11, 0x80000000, v11
.LBB129_743:
	s_or_b64 exec, exec, s[14:15]
	s_and_saveexec_b64 s[0:1], s[60:61]
; %bb.744:
	ds_write_b64 v23, v[10:11]
; %bb.745:
	s_or_b64 exec, exec, s[0:1]
	s_waitcnt lgkmcnt(0)
	s_barrier
	s_and_saveexec_b64 s[0:1], s[62:63]
	s_cbranch_execz .LBB129_747
; %bb.746:
	ds_read_b64 v[31:32], v22 offset:20800
	ds_read_b64 v[33:34], v23
	s_waitcnt lgkmcnt(0)
	v_fma_f64 v[10:11], v[31:32], v[33:34], v[10:11]
.LBB129_747:
	s_or_b64 exec, exec, s[0:1]
	s_barrier
	s_and_saveexec_b64 s[0:1], s[64:65]
; %bb.748:
	ds_write_b64 v23, v[10:11]
; %bb.749:
	s_or_b64 exec, exec, s[0:1]
	s_waitcnt lgkmcnt(0)
	s_barrier
	s_and_saveexec_b64 s[0:1], s[66:67]
	s_cbranch_execz .LBB129_751
; %bb.750:
	ds_read_b64 v[31:32], v22 offset:21312
	ds_read_b64 v[33:34], v23
	s_waitcnt lgkmcnt(0)
	v_fma_f64 v[10:11], v[31:32], v[33:34], v[10:11]
.LBB129_751:
	s_or_b64 exec, exec, s[0:1]
	s_barrier
	;; [unrolled: 17-line block ×6, first 2 shown]
	s_and_saveexec_b64 s[0:1], s[86:87]
; %bb.768:
	ds_write_b64 v23, v[10:11]
; %bb.769:
	s_or_b64 exec, exec, s[0:1]
	s_waitcnt lgkmcnt(0)
	s_barrier
	s_and_saveexec_b64 s[0:1], s[70:71]
	s_cbranch_execz .LBB129_771
; %bb.770:
	v_mov_b32_e32 v31, 0
	ds_read_b64 v[31:32], v31 offset:23928
	ds_read_b64 v[33:34], v23
	s_waitcnt lgkmcnt(0)
	v_fma_f64 v[10:11], v[31:32], v[33:34], v[10:11]
.LBB129_771:
	s_or_b64 exec, exec, s[0:1]
	s_barrier
	s_and_saveexec_b64 s[0:1], s[70:71]
; %bb.772:
	ds_write_b64 v23, v[10:11]
; %bb.773:
	s_or_b64 exec, exec, s[0:1]
	s_waitcnt lgkmcnt(0)
	s_barrier
	s_barrier
	s_and_saveexec_b64 s[0:1], s[8:9]
; %bb.774:
	v_xor_b32_e32 v11, 0x80000000, v11
	ds_write_b64 v21, v[10:11] offset:16704
; %bb.775:
	s_or_b64 exec, exec, s[0:1]
	s_waitcnt lgkmcnt(0)
	s_barrier
	s_barrier
	s_and_saveexec_b64 s[12:13], s[88:89]
	s_cbranch_execz .LBB129_777
; %bb.776:
	v_lshlrev_b32_e32 v31, 9, v0
	ds_read_b64 v[10:11], v31 offset:16704
	s_movk_i32 s0, 0xfe08
	v_mad_i32_i24 v32, v0, s0, v31
	s_waitcnt lgkmcnt(0)
	ds_write_b64 v32, v[10:11] offset:20736
	ds_read_b64 v[10:11], v31 offset:16712
	s_waitcnt lgkmcnt(0)
	ds_write_b64 v32, v[10:11] offset:21248
	ds_read_b64 v[10:11], v31 offset:16720
	;; [unrolled: 3-line block ×7, first 2 shown]
	s_waitcnt lgkmcnt(0)
	ds_write_b64 v32, v[10:11] offset:24320
.LBB129_777:
	s_or_b64 exec, exec, s[12:13]
	s_waitcnt lgkmcnt(0)
	s_barrier
	s_and_saveexec_b64 s[12:13], vcc
	s_cbranch_execz .LBB129_779
; %bb.778:
	v_mov_b32_e32 v33, 0
	ds_read_b64 v[31:32], v33 offset:20808
	v_mov_b32_e32 v34, 0x3ff00000
	ds_write_b64 v33, v[33:34] offset:20800
	s_waitcnt lgkmcnt(1)
	ds_write_b128 v33, v[31:34] offset:21312
.LBB129_779:
	s_or_b64 exec, exec, s[12:13]
	v_mov_b32_e32 v10, 0
	v_mov_b32_e32 v11, 0
	s_waitcnt lgkmcnt(0)
	s_barrier
	s_and_saveexec_b64 s[14:15], s[2:3]
	s_cbranch_execz .LBB129_783
; %bb.780:
	v_mul_u32_u24_e32 v31, 0x208, v15
	ds_read_b64 v[10:11], v12 offset:20816
	ds_read_b64 v[31:32], v31 offset:20800
	v_cmp_gt_u32_e64 s[12:13], 2, v14
	s_waitcnt lgkmcnt(0)
	v_fma_f64 v[10:11], v[10:11], v[31:32], 0
	s_and_saveexec_b64 s[16:17], s[12:13]
	s_cbranch_execz .LBB129_782
; %bb.781:
	v_lshlrev_b32_e32 v31, 3, v0
	v_mov_b32_e32 v33, 0
	ds_read_b64 v[31:32], v31 offset:21328
	ds_read_b64 v[33:34], v33 offset:20808
	s_waitcnt lgkmcnt(0)
	v_fma_f64 v[10:11], v[31:32], v[33:34], v[10:11]
.LBB129_782:
	s_or_b64 exec, exec, s[16:17]
	v_xor_b32_e32 v11, 0x80000000, v11
.LBB129_783:
	s_or_b64 exec, exec, s[14:15]
	s_and_saveexec_b64 s[0:1], s[42:43]
; %bb.784:
	ds_write_b64 v13, v[10:11]
; %bb.785:
	s_or_b64 exec, exec, s[0:1]
	s_waitcnt lgkmcnt(0)
	s_barrier
	s_and_saveexec_b64 s[0:1], s[40:41]
	s_cbranch_execz .LBB129_787
; %bb.786:
	v_mov_b32_e32 v31, 0
	ds_read_b64 v[31:32], v31 offset:21848
	ds_read_b64 v[33:34], v13
	s_waitcnt lgkmcnt(0)
	v_fma_f64 v[10:11], v[31:32], v[33:34], v[10:11]
.LBB129_787:
	s_or_b64 exec, exec, s[0:1]
	s_barrier
	s_and_saveexec_b64 s[0:1], s[40:41]
; %bb.788:
	ds_write_b64 v13, v[10:11]
; %bb.789:
	s_or_b64 exec, exec, s[0:1]
	s_waitcnt lgkmcnt(0)
	s_barrier
	s_barrier
	s_and_saveexec_b64 s[0:1], s[2:3]
; %bb.790:
	v_xor_b32_e32 v11, 0x80000000, v11
	ds_write_b64 v12, v[10:11] offset:20816
; %bb.791:
	s_or_b64 exec, exec, s[0:1]
	s_waitcnt lgkmcnt(0)
	s_barrier
	s_barrier
	s_and_saveexec_b64 s[0:1], s[44:45]
	s_cbranch_execz .LBB129_793
; %bb.792:
	v_lshlrev_b32_e32 v31, 3, v0
	s_movk_i32 s12, 0x1f8
	v_mad_u32_u24 v32, v0, s12, v31
	ds_read_b64 v[10:11], v32 offset:20816
	s_waitcnt lgkmcnt(0)
	ds_write_b64 v31, v[10:11] offset:21824
	ds_read_b64 v[10:11], v32 offset:20824
	s_waitcnt lgkmcnt(0)
	ds_write_b64 v31, v[10:11] offset:22336
.LBB129_793:
	s_or_b64 exec, exec, s[0:1]
	s_waitcnt lgkmcnt(0)
	s_barrier
	s_and_saveexec_b64 s[12:13], vcc
	s_cbranch_execz .LBB129_795
; %bb.794:
	v_mov_b32_e32 v33, 0
	ds_read_b64 v[31:32], v33 offset:21848
	v_mov_b32_e32 v34, 0x3ff00000
	ds_write_b64 v33, v[33:34] offset:21840
	s_waitcnt lgkmcnt(1)
	ds_write_b128 v33, v[31:34] offset:22352
.LBB129_795:
	s_or_b64 exec, exec, s[12:13]
	v_mov_b32_e32 v10, 0
	v_mov_b32_e32 v11, 0
	s_waitcnt lgkmcnt(0)
	s_barrier
	s_and_saveexec_b64 s[14:15], s[18:19]
	s_cbranch_execz .LBB129_801
; %bb.796:
	v_mul_u32_u24_e32 v31, 0x208, v20
	ds_read_b64 v[10:11], v16 offset:20832
	ds_read_b64 v[32:33], v31 offset:20800
	v_cmp_gt_u32_e64 s[12:13], 12, v14
	s_waitcnt lgkmcnt(0)
	v_fma_f64 v[10:11], v[10:11], v[32:33], 0
	s_and_saveexec_b64 s[16:17], s[12:13]
	s_cbranch_execnz .LBB129_1204
; %bb.797:
	s_or_b64 exec, exec, s[16:17]
	v_cmp_gt_u32_e64 s[12:13], 8, v14
	s_and_saveexec_b64 s[0:1], s[12:13]
	s_cbranch_execnz .LBB129_1205
.LBB129_798:
	s_or_b64 exec, exec, s[0:1]
	v_cmp_gt_u32_e64 s[12:13], 4, v14
	s_and_saveexec_b64 s[0:1], s[12:13]
	s_cbranch_execz .LBB129_800
.LBB129_799:
	v_lshlrev_b32_e32 v31, 3, v0
	v_mov_b32_e32 v33, 0
	ds_read_b64 v[31:32], v31 offset:22368
	ds_read_b64 v[33:34], v33 offset:20824
	s_waitcnt lgkmcnt(0)
	v_fma_f64 v[10:11], v[31:32], v[33:34], v[10:11]
.LBB129_800:
	s_or_b64 exec, exec, s[0:1]
	v_xor_b32_e32 v11, 0x80000000, v11
.LBB129_801:
	s_or_b64 exec, exec, s[14:15]
	s_and_saveexec_b64 s[0:1], s[48:49]
; %bb.802:
	ds_write_b64 v18, v[10:11]
; %bb.803:
	s_or_b64 exec, exec, s[0:1]
	s_waitcnt lgkmcnt(0)
	s_barrier
	s_and_saveexec_b64 s[0:1], s[50:51]
	s_cbranch_execz .LBB129_805
; %bb.804:
	ds_read_b64 v[31:32], v17 offset:22880
	ds_read_b64 v[33:34], v18
	s_waitcnt lgkmcnt(0)
	v_fma_f64 v[10:11], v[31:32], v[33:34], v[10:11]
.LBB129_805:
	s_or_b64 exec, exec, s[0:1]
	s_barrier
	s_and_saveexec_b64 s[0:1], s[52:53]
; %bb.806:
	ds_write_b64 v18, v[10:11]
; %bb.807:
	s_or_b64 exec, exec, s[0:1]
	s_waitcnt lgkmcnt(0)
	s_barrier
	s_and_saveexec_b64 s[0:1], s[54:55]
	s_cbranch_execz .LBB129_809
; %bb.808:
	ds_read_b64 v[31:32], v17 offset:23392
	ds_read_b64 v[33:34], v18
	s_waitcnt lgkmcnt(0)
	v_fma_f64 v[10:11], v[31:32], v[33:34], v[10:11]
.LBB129_809:
	s_or_b64 exec, exec, s[0:1]
	s_barrier
	s_and_saveexec_b64 s[0:1], s[56:57]
; %bb.810:
	ds_write_b64 v18, v[10:11]
; %bb.811:
	s_or_b64 exec, exec, s[0:1]
	s_waitcnt lgkmcnt(0)
	s_barrier
	s_and_saveexec_b64 s[0:1], s[46:47]
	s_cbranch_execz .LBB129_813
; %bb.812:
	v_mov_b32_e32 v31, 0
	ds_read_b64 v[31:32], v31 offset:23928
	ds_read_b64 v[33:34], v18
	s_waitcnt lgkmcnt(0)
	v_fma_f64 v[10:11], v[31:32], v[33:34], v[10:11]
.LBB129_813:
	s_or_b64 exec, exec, s[0:1]
	s_barrier
	s_and_saveexec_b64 s[0:1], s[46:47]
; %bb.814:
	ds_write_b64 v18, v[10:11]
; %bb.815:
	s_or_b64 exec, exec, s[0:1]
	s_waitcnt lgkmcnt(0)
	s_barrier
	s_barrier
	s_and_saveexec_b64 s[0:1], s[18:19]
; %bb.816:
	v_xor_b32_e32 v11, 0x80000000, v11
	ds_write_b64 v16, v[10:11] offset:20832
; %bb.817:
	s_or_b64 exec, exec, s[0:1]
	s_waitcnt lgkmcnt(0)
	s_barrier
	s_barrier
	s_and_saveexec_b64 s[12:13], s[58:59]
	s_cbranch_execz .LBB129_819
; %bb.818:
	v_lshlrev_b32_e32 v31, 9, v0
	ds_read_b64 v[10:11], v31 offset:20832
	s_movk_i32 s0, 0xfe08
	v_mad_i32_i24 v32, v0, s0, v31
	s_waitcnt lgkmcnt(0)
	ds_write_b64 v32, v[10:11] offset:22848
	ds_read_b64 v[10:11], v31 offset:20840
	s_waitcnt lgkmcnt(0)
	ds_write_b64 v32, v[10:11] offset:23360
	ds_read_b64 v[10:11], v31 offset:20848
	;; [unrolled: 3-line block ×3, first 2 shown]
	s_waitcnt lgkmcnt(0)
	ds_write_b64 v32, v[10:11] offset:24384
.LBB129_819:
	s_or_b64 exec, exec, s[12:13]
	s_waitcnt lgkmcnt(0)
	s_barrier
	s_and_saveexec_b64 s[12:13], vcc
	s_cbranch_execz .LBB129_821
; %bb.820:
	v_mov_b32_e32 v33, 0
	ds_read_b64 v[31:32], v33 offset:22888
	v_mov_b32_e32 v34, 0x3ff00000
	ds_write_b64 v33, v[33:34] offset:22880
	s_waitcnt lgkmcnt(1)
	ds_write_b128 v33, v[31:34] offset:23392
.LBB129_821:
	s_or_b64 exec, exec, s[12:13]
	v_mov_b32_e32 v10, 0
	v_mov_b32_e32 v11, 0
	s_waitcnt lgkmcnt(0)
	s_barrier
	s_and_saveexec_b64 s[14:15], s[2:3]
	s_cbranch_execz .LBB129_825
; %bb.822:
	v_mul_u32_u24_e32 v31, 0x208, v15
	ds_read_b64 v[10:11], v12 offset:22896
	ds_read_b64 v[31:32], v31 offset:22880
	v_cmp_gt_u32_e64 s[12:13], 2, v14
	s_waitcnt lgkmcnt(0)
	v_fma_f64 v[10:11], v[10:11], v[31:32], 0
	s_and_saveexec_b64 s[16:17], s[12:13]
	s_cbranch_execz .LBB129_824
; %bb.823:
	v_lshlrev_b32_e32 v31, 3, v0
	v_mov_b32_e32 v33, 0
	ds_read_b64 v[31:32], v31 offset:23408
	ds_read_b64 v[33:34], v33 offset:22888
	s_waitcnt lgkmcnt(0)
	v_fma_f64 v[10:11], v[31:32], v[33:34], v[10:11]
.LBB129_824:
	s_or_b64 exec, exec, s[16:17]
	v_xor_b32_e32 v11, 0x80000000, v11
.LBB129_825:
	s_or_b64 exec, exec, s[14:15]
	s_and_saveexec_b64 s[0:1], s[42:43]
; %bb.826:
	ds_write_b64 v13, v[10:11]
; %bb.827:
	s_or_b64 exec, exec, s[0:1]
	s_waitcnt lgkmcnt(0)
	s_barrier
	s_and_saveexec_b64 s[0:1], s[40:41]
	s_cbranch_execz .LBB129_829
; %bb.828:
	v_mov_b32_e32 v31, 0
	ds_read_b64 v[31:32], v31 offset:23928
	ds_read_b64 v[33:34], v13
	s_waitcnt lgkmcnt(0)
	v_fma_f64 v[10:11], v[31:32], v[33:34], v[10:11]
.LBB129_829:
	s_or_b64 exec, exec, s[0:1]
	s_barrier
	s_and_saveexec_b64 s[0:1], s[40:41]
; %bb.830:
	ds_write_b64 v13, v[10:11]
; %bb.831:
	s_or_b64 exec, exec, s[0:1]
	s_waitcnt lgkmcnt(0)
	s_barrier
	s_barrier
	s_and_saveexec_b64 s[0:1], s[2:3]
; %bb.832:
	v_xor_b32_e32 v11, 0x80000000, v11
	ds_write_b64 v12, v[10:11] offset:22896
; %bb.833:
	s_or_b64 exec, exec, s[0:1]
	s_waitcnt lgkmcnt(0)
	s_barrier
	s_barrier
	s_and_saveexec_b64 s[0:1], s[44:45]
	s_cbranch_execz .LBB129_835
; %bb.834:
	v_lshlrev_b32_e32 v31, 3, v0
	s_movk_i32 s12, 0x1f8
	v_mad_u32_u24 v32, v0, s12, v31
	ds_read_b64 v[10:11], v32 offset:22896
	s_waitcnt lgkmcnt(0)
	ds_write_b64 v31, v[10:11] offset:23904
	ds_read_b64 v[10:11], v32 offset:22904
	s_waitcnt lgkmcnt(0)
	ds_write_b64 v31, v[10:11] offset:24416
.LBB129_835:
	s_or_b64 exec, exec, s[0:1]
	s_waitcnt lgkmcnt(0)
	s_barrier
	s_and_saveexec_b64 s[12:13], vcc
	s_cbranch_execz .LBB129_837
; %bb.836:
	v_mov_b32_e32 v33, 0
	ds_read_b64 v[31:32], v33 offset:23928
	v_mov_b32_e32 v34, 0x3ff00000
	ds_write_b64 v33, v[33:34] offset:23920
	s_waitcnt lgkmcnt(1)
	ds_write_b128 v33, v[31:34] offset:24432
.LBB129_837:
	s_or_b64 exec, exec, s[12:13]
	v_mov_b32_e32 v10, 0
	v_mov_b32_e32 v11, 0
	s_waitcnt lgkmcnt(0)
	s_barrier
	s_and_saveexec_b64 s[14:15], s[10:11]
	s_cbranch_execz .LBB129_865
; %bb.838:
	v_mul_u32_u24_e32 v31, 0x208, v30
	ds_read_b64 v[10:11], v26 offset:16768
	ds_read_b64 v[32:33], v31 offset:16640
	s_movk_i32 s0, 0xf0
	v_cmp_gt_u32_e64 s[12:13], s0, v14
	s_waitcnt lgkmcnt(0)
	v_fma_f64 v[10:11], v[10:11], v[32:33], 0
	s_and_saveexec_b64 s[16:17], s[12:13]
	s_cbranch_execz .LBB129_840
; %bb.839:
	v_lshlrev_b32_e32 v32, 3, v30
	v_sub_u32_e32 v32, v31, v32
	v_lshl_add_u32 v32, v27, 3, v32
	ds_read_b64 v[32:33], v32 offset:17280
	ds_read_b64 v[34:35], v31 offset:16648
	s_waitcnt lgkmcnt(0)
	v_fma_f64 v[10:11], v[32:33], v[34:35], v[10:11]
.LBB129_840:
	s_or_b64 exec, exec, s[16:17]
	s_movk_i32 s0, 0xe0
	v_cmp_gt_u32_e64 s[12:13], s0, v14
	s_and_saveexec_b64 s[0:1], s[12:13]
	s_cbranch_execz .LBB129_842
; %bb.841:
	v_lshlrev_b32_e32 v32, 3, v30
	v_sub_u32_e32 v32, v31, v32
	v_lshl_add_u32 v32, v27, 3, v32
	ds_read_b64 v[32:33], v32 offset:17792
	ds_read_b64 v[34:35], v31 offset:16656
	s_waitcnt lgkmcnt(0)
	v_fma_f64 v[10:11], v[32:33], v[34:35], v[10:11]
.LBB129_842:
	s_or_b64 exec, exec, s[0:1]
	s_movk_i32 s0, 0xd0
	v_cmp_gt_u32_e64 s[12:13], s0, v14
	;; [unrolled: 14-line block ×7, first 2 shown]
	s_and_saveexec_b64 s[0:1], s[12:13]
	s_cbranch_execz .LBB129_854
; %bb.853:
	ds_read_b64 v[32:33], v26 offset:20864
	ds_read_b64 v[34:35], v31 offset:16704
	s_waitcnt lgkmcnt(0)
	v_fma_f64 v[10:11], v[32:33], v[34:35], v[10:11]
.LBB129_854:
	s_or_b64 exec, exec, s[0:1]
	s_movk_i32 s0, 0x70
	v_cmp_gt_u32_e64 s[12:13], s0, v14
	s_and_saveexec_b64 s[0:1], s[12:13]
	s_cbranch_execz .LBB129_856
; %bb.855:
	v_lshlrev_b32_e32 v30, 3, v27
	v_lshl_add_u32 v30, v29, 3, v30
	ds_read_b64 v[32:33], v30 offset:21376
	ds_read_b64 v[34:35], v31 offset:16712
	s_waitcnt lgkmcnt(0)
	v_fma_f64 v[10:11], v[32:33], v[34:35], v[10:11]
.LBB129_856:
	s_or_b64 exec, exec, s[0:1]
	s_movk_i32 s0, 0x60
	v_cmp_gt_u32_e64 s[12:13], s0, v14
	s_and_saveexec_b64 s[0:1], s[12:13]
	s_cbranch_execz .LBB129_858
; %bb.857:
	v_lshlrev_b32_e32 v30, 3, v27
	v_lshl_add_u32 v30, v29, 3, v30
	ds_read_b64 v[32:33], v30 offset:21888
	ds_read_b64 v[34:35], v31 offset:16720
	s_waitcnt lgkmcnt(0)
	v_fma_f64 v[10:11], v[32:33], v[34:35], v[10:11]
.LBB129_858:
	s_or_b64 exec, exec, s[0:1]
	s_movk_i32 s0, 0x50
	v_cmp_gt_u32_e64 s[12:13], s0, v14
	s_and_saveexec_b64 s[0:1], s[12:13]
	s_cbranch_execnz .LBB129_1206
; %bb.859:
	s_or_b64 exec, exec, s[0:1]
	v_cmp_gt_u32_e64 s[12:13], 64, v14
	s_and_saveexec_b64 s[0:1], s[12:13]
	s_cbranch_execnz .LBB129_1207
.LBB129_860:
	s_or_b64 exec, exec, s[0:1]
	v_cmp_gt_u32_e64 s[12:13], 48, v14
	s_and_saveexec_b64 s[0:1], s[12:13]
	s_cbranch_execnz .LBB129_1208
.LBB129_861:
	s_or_b64 exec, exec, s[0:1]
	v_cmp_gt_u32_e64 s[12:13], 32, v14
	s_and_saveexec_b64 s[0:1], s[12:13]
	s_cbranch_execnz .LBB129_1209
.LBB129_862:
	s_or_b64 exec, exec, s[0:1]
	v_cmp_gt_u32_e64 s[12:13], 16, v14
	s_and_saveexec_b64 s[0:1], s[12:13]
	s_cbranch_execz .LBB129_864
.LBB129_863:
	v_lshlrev_b32_e32 v29, 3, v0
	v_mov_b32_e32 v31, 0
	ds_read_b64 v[29:30], v29 offset:24448
	ds_read_b64 v[31:32], v31 offset:16760
	s_waitcnt lgkmcnt(0)
	v_fma_f64 v[10:11], v[29:30], v[31:32], v[10:11]
.LBB129_864:
	s_or_b64 exec, exec, s[0:1]
	v_xor_b32_e32 v11, 0x80000000, v11
.LBB129_865:
	s_or_b64 exec, exec, s[14:15]
	s_mov_b64 s[0:1], exec
	v_readlane_b32 s12, v40, 4
	v_readlane_b32 s13, v40, 5
	s_and_b64 s[12:13], s[0:1], s[12:13]
	s_mov_b64 exec, s[12:13]
; %bb.866:
	ds_write_b64 v28, v[10:11]
; %bb.867:
	s_or_b64 exec, exec, s[0:1]
	s_waitcnt lgkmcnt(0)
	s_barrier
	s_mov_b64 s[0:1], exec
	v_readlane_b32 s12, v40, 6
	v_readlane_b32 s13, v40, 7
	s_and_b64 s[12:13], s[0:1], s[12:13]
	s_mov_b64 exec, s[12:13]
	s_cbranch_execz .LBB129_869
; %bb.868:
	v_lshlrev_b32_e32 v29, 3, v27
	ds_read_b64 v[29:30], v29 offset:24960
	ds_read_b64 v[31:32], v28
	s_waitcnt lgkmcnt(0)
	v_fma_f64 v[10:11], v[29:30], v[31:32], v[10:11]
.LBB129_869:
	s_or_b64 exec, exec, s[0:1]
	s_barrier
	s_mov_b64 s[0:1], exec
	v_readlane_b32 s12, v40, 8
	v_readlane_b32 s13, v40, 9
	s_and_b64 s[12:13], s[0:1], s[12:13]
	s_mov_b64 exec, s[12:13]
; %bb.870:
	ds_write_b64 v28, v[10:11]
; %bb.871:
	s_or_b64 exec, exec, s[0:1]
	s_waitcnt lgkmcnt(0)
	s_barrier
	s_mov_b64 s[0:1], exec
	v_readlane_b32 s12, v40, 10
	v_readlane_b32 s13, v40, 11
	s_and_b64 s[12:13], s[0:1], s[12:13]
	s_mov_b64 exec, s[12:13]
	s_cbranch_execz .LBB129_873
; %bb.872:
	v_lshlrev_b32_e32 v29, 3, v27
	ds_read_b64 v[29:30], v29 offset:25472
	ds_read_b64 v[31:32], v28
	s_waitcnt lgkmcnt(0)
	v_fma_f64 v[10:11], v[29:30], v[31:32], v[10:11]
.LBB129_873:
	s_or_b64 exec, exec, s[0:1]
	s_barrier
	;; [unrolled: 26-line block ×14, first 2 shown]
	s_mov_b64 s[0:1], exec
	v_readlane_b32 s12, v40, 60
	v_readlane_b32 s13, v40, 61
	s_and_b64 s[12:13], s[0:1], s[12:13]
	s_mov_b64 exec, s[12:13]
; %bb.922:
	ds_write_b64 v28, v[10:11]
; %bb.923:
	s_or_b64 exec, exec, s[0:1]
	s_waitcnt lgkmcnt(0)
	s_barrier
	s_and_saveexec_b64 s[0:1], s[92:93]
	s_cbranch_execz .LBB129_925
; %bb.924:
	v_mov_b32_e32 v27, 0
	ds_read_b64 v[29:30], v27 offset:32248
	ds_read_b64 v[31:32], v28
	s_waitcnt lgkmcnt(0)
	v_fma_f64 v[10:11], v[29:30], v[31:32], v[10:11]
.LBB129_925:
	s_or_b64 exec, exec, s[0:1]
	s_barrier
	s_and_saveexec_b64 s[0:1], s[92:93]
; %bb.926:
	ds_write_b64 v28, v[10:11]
; %bb.927:
	s_or_b64 exec, exec, s[0:1]
	s_waitcnt lgkmcnt(0)
	s_barrier
	s_barrier
	s_and_saveexec_b64 s[0:1], s[10:11]
; %bb.928:
	v_xor_b32_e32 v11, 0x80000000, v11
	ds_write_b64 v26, v[10:11] offset:16768
; %bb.929:
	s_or_b64 exec, exec, s[0:1]
	s_waitcnt lgkmcnt(0)
	s_barrier
	s_barrier
	s_mov_b64 s[0:1], exec
	v_readlane_b32 s10, v40, 62
	v_readlane_b32 s11, v40, 63
	s_and_b64 s[10:11], s[0:1], s[10:11]
	s_mov_b64 exec, s[10:11]
	s_cbranch_execz .LBB129_931
; %bb.930:
	v_lshlrev_b32_e32 v26, 9, v0
	ds_read_b64 v[10:11], v26 offset:16768
	s_movk_i32 s10, 0xfe08
	v_mad_i32_i24 v27, v0, s10, v26
	s_waitcnt lgkmcnt(0)
	ds_write_b64 v27, v[10:11] offset:24832
	ds_read_b64 v[10:11], v26 offset:16776
	s_waitcnt lgkmcnt(0)
	ds_write_b64 v27, v[10:11] offset:25344
	ds_read_b64 v[10:11], v26 offset:16784
	;; [unrolled: 3-line block ×15, first 2 shown]
	s_waitcnt lgkmcnt(0)
	ds_write_b64 v27, v[10:11] offset:32512
.LBB129_931:
	s_or_b64 exec, exec, s[0:1]
	s_waitcnt lgkmcnt(0)
	s_barrier
	s_and_saveexec_b64 s[0:1], vcc
	s_cbranch_execz .LBB129_933
; %bb.932:
	v_mov_b32_e32 v28, 0
	ds_read_b64 v[26:27], v28 offset:24968
	v_mov_b32_e32 v29, 0x3ff00000
	ds_write_b64 v28, v[28:29] offset:24960
	s_waitcnt lgkmcnt(1)
	ds_write_b128 v28, v[26:29] offset:25472
.LBB129_933:
	s_or_b64 exec, exec, s[0:1]
	v_mov_b32_e32 v10, 0
	v_mov_b32_e32 v11, 0
	s_waitcnt lgkmcnt(0)
	s_barrier
	s_and_saveexec_b64 s[0:1], s[2:3]
	s_cbranch_execz .LBB129_937
; %bb.934:
	v_mul_u32_u24_e32 v26, 0x208, v15
	ds_read_b64 v[10:11], v12 offset:24976
	ds_read_b64 v[26:27], v26 offset:24960
	v_cmp_gt_u32_e64 s[10:11], 2, v14
	s_waitcnt lgkmcnt(0)
	v_fma_f64 v[10:11], v[10:11], v[26:27], 0
	s_and_saveexec_b64 s[12:13], s[10:11]
	s_cbranch_execz .LBB129_936
; %bb.935:
	v_lshlrev_b32_e32 v26, 3, v0
	v_mov_b32_e32 v28, 0
	ds_read_b64 v[26:27], v26 offset:25488
	ds_read_b64 v[28:29], v28 offset:24968
	s_waitcnt lgkmcnt(0)
	v_fma_f64 v[10:11], v[26:27], v[28:29], v[10:11]
.LBB129_936:
	s_or_b64 exec, exec, s[12:13]
	v_xor_b32_e32 v11, 0x80000000, v11
.LBB129_937:
	s_or_b64 exec, exec, s[0:1]
	s_and_saveexec_b64 s[0:1], s[42:43]
; %bb.938:
	ds_write_b64 v13, v[10:11]
; %bb.939:
	s_or_b64 exec, exec, s[0:1]
	s_waitcnt lgkmcnt(0)
	s_barrier
	s_and_saveexec_b64 s[0:1], s[40:41]
	s_cbranch_execz .LBB129_941
; %bb.940:
	v_mov_b32_e32 v26, 0
	ds_read_b64 v[26:27], v26 offset:26008
	ds_read_b64 v[28:29], v13
	s_waitcnt lgkmcnt(0)
	v_fma_f64 v[10:11], v[26:27], v[28:29], v[10:11]
.LBB129_941:
	s_or_b64 exec, exec, s[0:1]
	s_barrier
	s_and_saveexec_b64 s[0:1], s[40:41]
; %bb.942:
	ds_write_b64 v13, v[10:11]
; %bb.943:
	s_or_b64 exec, exec, s[0:1]
	s_waitcnt lgkmcnt(0)
	s_barrier
	s_barrier
	s_and_saveexec_b64 s[0:1], s[2:3]
; %bb.944:
	v_xor_b32_e32 v11, 0x80000000, v11
	ds_write_b64 v12, v[10:11] offset:24976
; %bb.945:
	s_or_b64 exec, exec, s[0:1]
	s_waitcnt lgkmcnt(0)
	s_barrier
	s_barrier
	s_and_saveexec_b64 s[0:1], s[44:45]
	s_cbranch_execz .LBB129_947
; %bb.946:
	v_lshlrev_b32_e32 v26, 3, v0
	s_movk_i32 s10, 0x1f8
	v_mad_u32_u24 v27, v0, s10, v26
	ds_read_b64 v[10:11], v27 offset:24976
	s_waitcnt lgkmcnt(0)
	ds_write_b64 v26, v[10:11] offset:25984
	ds_read_b64 v[10:11], v27 offset:24984
	s_waitcnt lgkmcnt(0)
	ds_write_b64 v26, v[10:11] offset:26496
.LBB129_947:
	s_or_b64 exec, exec, s[0:1]
	s_waitcnt lgkmcnt(0)
	s_barrier
	s_and_saveexec_b64 s[0:1], vcc
	s_cbranch_execz .LBB129_949
; %bb.948:
	v_mov_b32_e32 v28, 0
	ds_read_b64 v[26:27], v28 offset:26008
	v_mov_b32_e32 v29, 0x3ff00000
	ds_write_b64 v28, v[28:29] offset:26000
	s_waitcnt lgkmcnt(1)
	ds_write_b128 v28, v[26:29] offset:26512
.LBB129_949:
	s_or_b64 exec, exec, s[0:1]
	v_mov_b32_e32 v10, 0
	v_mov_b32_e32 v11, 0
	s_waitcnt lgkmcnt(0)
	s_barrier
	s_and_saveexec_b64 s[0:1], s[18:19]
	s_cbranch_execz .LBB129_955
; %bb.950:
	v_mul_u32_u24_e32 v26, 0x208, v20
	ds_read_b64 v[10:11], v16 offset:24992
	ds_read_b64 v[27:28], v26 offset:24960
	v_cmp_gt_u32_e64 s[10:11], 12, v14
	s_waitcnt lgkmcnt(0)
	v_fma_f64 v[10:11], v[10:11], v[27:28], 0
	s_and_saveexec_b64 s[12:13], s[10:11]
	s_cbranch_execnz .LBB129_1210
; %bb.951:
	s_or_b64 exec, exec, s[12:13]
	v_cmp_gt_u32_e64 s[10:11], 8, v14
	s_and_saveexec_b64 s[12:13], s[10:11]
	s_cbranch_execnz .LBB129_1211
.LBB129_952:
	s_or_b64 exec, exec, s[12:13]
	v_cmp_gt_u32_e64 s[10:11], 4, v14
	s_and_saveexec_b64 s[12:13], s[10:11]
	s_cbranch_execz .LBB129_954
.LBB129_953:
	v_lshlrev_b32_e32 v26, 3, v0
	v_mov_b32_e32 v28, 0
	ds_read_b64 v[26:27], v26 offset:26528
	ds_read_b64 v[28:29], v28 offset:24984
	s_waitcnt lgkmcnt(0)
	v_fma_f64 v[10:11], v[26:27], v[28:29], v[10:11]
.LBB129_954:
	s_or_b64 exec, exec, s[12:13]
	v_xor_b32_e32 v11, 0x80000000, v11
.LBB129_955:
	s_or_b64 exec, exec, s[0:1]
	s_and_saveexec_b64 s[0:1], s[48:49]
; %bb.956:
	ds_write_b64 v18, v[10:11]
; %bb.957:
	s_or_b64 exec, exec, s[0:1]
	s_waitcnt lgkmcnt(0)
	s_barrier
	s_and_saveexec_b64 s[0:1], s[50:51]
	s_cbranch_execz .LBB129_959
; %bb.958:
	ds_read_b64 v[26:27], v17 offset:27040
	ds_read_b64 v[28:29], v18
	s_waitcnt lgkmcnt(0)
	v_fma_f64 v[10:11], v[26:27], v[28:29], v[10:11]
.LBB129_959:
	s_or_b64 exec, exec, s[0:1]
	s_barrier
	s_and_saveexec_b64 s[0:1], s[52:53]
; %bb.960:
	ds_write_b64 v18, v[10:11]
; %bb.961:
	s_or_b64 exec, exec, s[0:1]
	s_waitcnt lgkmcnt(0)
	s_barrier
	s_and_saveexec_b64 s[0:1], s[54:55]
	s_cbranch_execz .LBB129_963
; %bb.962:
	ds_read_b64 v[26:27], v17 offset:27552
	ds_read_b64 v[28:29], v18
	s_waitcnt lgkmcnt(0)
	v_fma_f64 v[10:11], v[26:27], v[28:29], v[10:11]
.LBB129_963:
	s_or_b64 exec, exec, s[0:1]
	s_barrier
	s_and_saveexec_b64 s[0:1], s[56:57]
; %bb.964:
	ds_write_b64 v18, v[10:11]
; %bb.965:
	s_or_b64 exec, exec, s[0:1]
	s_waitcnt lgkmcnt(0)
	s_barrier
	s_and_saveexec_b64 s[0:1], s[46:47]
	s_cbranch_execz .LBB129_967
; %bb.966:
	v_mov_b32_e32 v26, 0
	ds_read_b64 v[26:27], v26 offset:28088
	ds_read_b64 v[28:29], v18
	s_waitcnt lgkmcnt(0)
	v_fma_f64 v[10:11], v[26:27], v[28:29], v[10:11]
.LBB129_967:
	s_or_b64 exec, exec, s[0:1]
	s_barrier
	s_and_saveexec_b64 s[0:1], s[46:47]
; %bb.968:
	ds_write_b64 v18, v[10:11]
; %bb.969:
	s_or_b64 exec, exec, s[0:1]
	s_waitcnt lgkmcnt(0)
	s_barrier
	s_barrier
	s_and_saveexec_b64 s[0:1], s[18:19]
; %bb.970:
	v_xor_b32_e32 v11, 0x80000000, v11
	ds_write_b64 v16, v[10:11] offset:24992
; %bb.971:
	s_or_b64 exec, exec, s[0:1]
	s_waitcnt lgkmcnt(0)
	s_barrier
	s_barrier
	s_and_saveexec_b64 s[0:1], s[58:59]
	s_cbranch_execz .LBB129_973
; %bb.972:
	v_lshlrev_b32_e32 v26, 9, v0
	ds_read_b64 v[10:11], v26 offset:24992
	s_movk_i32 s10, 0xfe08
	v_mad_i32_i24 v27, v0, s10, v26
	s_waitcnt lgkmcnt(0)
	ds_write_b64 v27, v[10:11] offset:27008
	ds_read_b64 v[10:11], v26 offset:25000
	s_waitcnt lgkmcnt(0)
	ds_write_b64 v27, v[10:11] offset:27520
	ds_read_b64 v[10:11], v26 offset:25008
	;; [unrolled: 3-line block ×3, first 2 shown]
	s_waitcnt lgkmcnt(0)
	ds_write_b64 v27, v[10:11] offset:28544
.LBB129_973:
	s_or_b64 exec, exec, s[0:1]
	s_waitcnt lgkmcnt(0)
	s_barrier
	s_and_saveexec_b64 s[0:1], vcc
	s_cbranch_execz .LBB129_975
; %bb.974:
	v_mov_b32_e32 v28, 0
	ds_read_b64 v[26:27], v28 offset:27048
	v_mov_b32_e32 v29, 0x3ff00000
	ds_write_b64 v28, v[28:29] offset:27040
	s_waitcnt lgkmcnt(1)
	ds_write_b128 v28, v[26:29] offset:27552
.LBB129_975:
	s_or_b64 exec, exec, s[0:1]
	v_mov_b32_e32 v10, 0
	v_mov_b32_e32 v11, 0
	s_waitcnt lgkmcnt(0)
	s_barrier
	s_and_saveexec_b64 s[0:1], s[2:3]
	s_cbranch_execz .LBB129_979
; %bb.976:
	v_mul_u32_u24_e32 v26, 0x208, v15
	ds_read_b64 v[10:11], v12 offset:27056
	ds_read_b64 v[26:27], v26 offset:27040
	v_cmp_gt_u32_e64 s[10:11], 2, v14
	s_waitcnt lgkmcnt(0)
	v_fma_f64 v[10:11], v[10:11], v[26:27], 0
	s_and_saveexec_b64 s[12:13], s[10:11]
	s_cbranch_execz .LBB129_978
; %bb.977:
	v_lshlrev_b32_e32 v26, 3, v0
	v_mov_b32_e32 v28, 0
	ds_read_b64 v[26:27], v26 offset:27568
	ds_read_b64 v[28:29], v28 offset:27048
	s_waitcnt lgkmcnt(0)
	v_fma_f64 v[10:11], v[26:27], v[28:29], v[10:11]
.LBB129_978:
	s_or_b64 exec, exec, s[12:13]
	v_xor_b32_e32 v11, 0x80000000, v11
.LBB129_979:
	s_or_b64 exec, exec, s[0:1]
	s_and_saveexec_b64 s[0:1], s[42:43]
; %bb.980:
	ds_write_b64 v13, v[10:11]
; %bb.981:
	s_or_b64 exec, exec, s[0:1]
	s_waitcnt lgkmcnt(0)
	s_barrier
	s_and_saveexec_b64 s[0:1], s[40:41]
	s_cbranch_execz .LBB129_983
; %bb.982:
	v_mov_b32_e32 v26, 0
	ds_read_b64 v[26:27], v26 offset:28088
	ds_read_b64 v[28:29], v13
	s_waitcnt lgkmcnt(0)
	v_fma_f64 v[10:11], v[26:27], v[28:29], v[10:11]
.LBB129_983:
	s_or_b64 exec, exec, s[0:1]
	s_barrier
	s_and_saveexec_b64 s[0:1], s[40:41]
; %bb.984:
	ds_write_b64 v13, v[10:11]
; %bb.985:
	s_or_b64 exec, exec, s[0:1]
	s_waitcnt lgkmcnt(0)
	s_barrier
	s_barrier
	s_and_saveexec_b64 s[0:1], s[2:3]
; %bb.986:
	v_xor_b32_e32 v11, 0x80000000, v11
	ds_write_b64 v12, v[10:11] offset:27056
; %bb.987:
	s_or_b64 exec, exec, s[0:1]
	s_waitcnt lgkmcnt(0)
	s_barrier
	s_barrier
	s_and_saveexec_b64 s[0:1], s[44:45]
	s_cbranch_execz .LBB129_989
; %bb.988:
	v_lshlrev_b32_e32 v26, 3, v0
	s_movk_i32 s10, 0x1f8
	v_mad_u32_u24 v27, v0, s10, v26
	ds_read_b64 v[10:11], v27 offset:27056
	s_waitcnt lgkmcnt(0)
	ds_write_b64 v26, v[10:11] offset:28064
	ds_read_b64 v[10:11], v27 offset:27064
	s_waitcnt lgkmcnt(0)
	ds_write_b64 v26, v[10:11] offset:28576
.LBB129_989:
	s_or_b64 exec, exec, s[0:1]
	s_waitcnt lgkmcnt(0)
	s_barrier
	s_and_saveexec_b64 s[0:1], vcc
	s_cbranch_execz .LBB129_991
; %bb.990:
	v_mov_b32_e32 v28, 0
	ds_read_b64 v[26:27], v28 offset:28088
	v_mov_b32_e32 v29, 0x3ff00000
	ds_write_b64 v28, v[28:29] offset:28080
	s_waitcnt lgkmcnt(1)
	ds_write_b128 v28, v[26:29] offset:28592
.LBB129_991:
	s_or_b64 exec, exec, s[0:1]
	v_mov_b32_e32 v10, 0
	v_mov_b32_e32 v11, 0
	s_waitcnt lgkmcnt(0)
	s_barrier
	s_and_saveexec_b64 s[0:1], s[8:9]
	s_cbranch_execz .LBB129_1001
; %bb.992:
	v_mul_u32_u24_e32 v26, 0x208, v25
	ds_read_b64 v[10:11], v21 offset:25024
	ds_read_b64 v[27:28], v26 offset:24960
	v_cmp_gt_u32_e64 s[10:11], 56, v14
	s_waitcnt lgkmcnt(0)
	v_fma_f64 v[10:11], v[10:11], v[27:28], 0
	s_and_saveexec_b64 s[12:13], s[10:11]
	s_cbranch_execnz .LBB129_1212
; %bb.993:
	s_or_b64 exec, exec, s[12:13]
	v_cmp_gt_u32_e64 s[10:11], 48, v14
	s_and_saveexec_b64 s[12:13], s[10:11]
	s_cbranch_execnz .LBB129_1213
.LBB129_994:
	s_or_b64 exec, exec, s[12:13]
	v_cmp_gt_u32_e64 s[10:11], 40, v14
	s_and_saveexec_b64 s[12:13], s[10:11]
	s_cbranch_execnz .LBB129_1214
.LBB129_995:
	s_or_b64 exec, exec, s[12:13]
	v_cmp_gt_u32_e64 s[10:11], 32, v14
	s_and_saveexec_b64 s[12:13], s[10:11]
	s_cbranch_execnz .LBB129_1215
.LBB129_996:
	s_or_b64 exec, exec, s[12:13]
	v_cmp_gt_u32_e64 s[10:11], 24, v14
	s_and_saveexec_b64 s[12:13], s[10:11]
	s_cbranch_execnz .LBB129_1216
.LBB129_997:
	s_or_b64 exec, exec, s[12:13]
	v_cmp_gt_u32_e64 s[10:11], 16, v14
	s_and_saveexec_b64 s[12:13], s[10:11]
	s_cbranch_execnz .LBB129_1217
.LBB129_998:
	s_or_b64 exec, exec, s[12:13]
	v_cmp_gt_u32_e64 s[10:11], 8, v14
	s_and_saveexec_b64 s[12:13], s[10:11]
	s_cbranch_execz .LBB129_1000
.LBB129_999:
	v_lshlrev_b32_e32 v24, 3, v0
	v_mov_b32_e32 v26, 0
	ds_read_b64 v[24:25], v24 offset:28608
	ds_read_b64 v[26:27], v26 offset:25016
	s_waitcnt lgkmcnt(0)
	v_fma_f64 v[10:11], v[24:25], v[26:27], v[10:11]
.LBB129_1000:
	s_or_b64 exec, exec, s[12:13]
	v_xor_b32_e32 v11, 0x80000000, v11
.LBB129_1001:
	s_or_b64 exec, exec, s[0:1]
	s_and_saveexec_b64 s[0:1], s[60:61]
; %bb.1002:
	ds_write_b64 v23, v[10:11]
; %bb.1003:
	s_or_b64 exec, exec, s[0:1]
	s_waitcnt lgkmcnt(0)
	s_barrier
	s_and_saveexec_b64 s[0:1], s[62:63]
	s_cbranch_execz .LBB129_1005
; %bb.1004:
	ds_read_b64 v[24:25], v22 offset:29120
	ds_read_b64 v[26:27], v23
	s_waitcnt lgkmcnt(0)
	v_fma_f64 v[10:11], v[24:25], v[26:27], v[10:11]
.LBB129_1005:
	s_or_b64 exec, exec, s[0:1]
	s_barrier
	s_and_saveexec_b64 s[0:1], s[64:65]
; %bb.1006:
	ds_write_b64 v23, v[10:11]
; %bb.1007:
	s_or_b64 exec, exec, s[0:1]
	s_waitcnt lgkmcnt(0)
	s_barrier
	s_and_saveexec_b64 s[0:1], s[66:67]
	s_cbranch_execz .LBB129_1009
; %bb.1008:
	ds_read_b64 v[24:25], v22 offset:29632
	ds_read_b64 v[26:27], v23
	s_waitcnt lgkmcnt(0)
	v_fma_f64 v[10:11], v[24:25], v[26:27], v[10:11]
.LBB129_1009:
	s_or_b64 exec, exec, s[0:1]
	s_barrier
	s_and_saveexec_b64 s[0:1], s[68:69]
; %bb.1010:
	ds_write_b64 v23, v[10:11]
; %bb.1011:
	s_or_b64 exec, exec, s[0:1]
	s_waitcnt lgkmcnt(0)
	s_barrier
	s_and_saveexec_b64 s[0:1], s[72:73]
	s_cbranch_execz .LBB129_1013
; %bb.1012:
	ds_read_b64 v[24:25], v22 offset:30144
	ds_read_b64 v[26:27], v23
	s_waitcnt lgkmcnt(0)
	v_fma_f64 v[10:11], v[24:25], v[26:27], v[10:11]
.LBB129_1013:
	s_or_b64 exec, exec, s[0:1]
	s_barrier
	s_and_saveexec_b64 s[0:1], s[74:75]
; %bb.1014:
	ds_write_b64 v23, v[10:11]
; %bb.1015:
	s_or_b64 exec, exec, s[0:1]
	s_waitcnt lgkmcnt(0)
	s_barrier
	s_and_saveexec_b64 s[0:1], s[76:77]
	s_cbranch_execz .LBB129_1017
; %bb.1016:
	ds_read_b64 v[24:25], v22 offset:30656
	ds_read_b64 v[26:27], v23
	s_waitcnt lgkmcnt(0)
	v_fma_f64 v[10:11], v[24:25], v[26:27], v[10:11]
.LBB129_1017:
	s_or_b64 exec, exec, s[0:1]
	s_barrier
	s_and_saveexec_b64 s[0:1], s[78:79]
; %bb.1018:
	ds_write_b64 v23, v[10:11]
; %bb.1019:
	s_or_b64 exec, exec, s[0:1]
	s_waitcnt lgkmcnt(0)
	s_barrier
	s_and_saveexec_b64 s[0:1], s[80:81]
	s_cbranch_execz .LBB129_1021
; %bb.1020:
	ds_read_b64 v[24:25], v22 offset:31168
	ds_read_b64 v[26:27], v23
	s_waitcnt lgkmcnt(0)
	v_fma_f64 v[10:11], v[24:25], v[26:27], v[10:11]
.LBB129_1021:
	s_or_b64 exec, exec, s[0:1]
	s_barrier
	s_and_saveexec_b64 s[0:1], s[82:83]
; %bb.1022:
	ds_write_b64 v23, v[10:11]
; %bb.1023:
	s_or_b64 exec, exec, s[0:1]
	s_waitcnt lgkmcnt(0)
	s_barrier
	s_and_saveexec_b64 s[0:1], s[84:85]
	s_cbranch_execz .LBB129_1025
; %bb.1024:
	ds_read_b64 v[24:25], v22 offset:31680
	ds_read_b64 v[26:27], v23
	s_waitcnt lgkmcnt(0)
	v_fma_f64 v[10:11], v[24:25], v[26:27], v[10:11]
.LBB129_1025:
	s_or_b64 exec, exec, s[0:1]
	s_barrier
	s_and_saveexec_b64 s[0:1], s[86:87]
; %bb.1026:
	ds_write_b64 v23, v[10:11]
; %bb.1027:
	s_or_b64 exec, exec, s[0:1]
	s_waitcnt lgkmcnt(0)
	s_barrier
	s_and_saveexec_b64 s[0:1], s[70:71]
	s_cbranch_execz .LBB129_1029
; %bb.1028:
	v_mov_b32_e32 v22, 0
	ds_read_b64 v[24:25], v22 offset:32248
	ds_read_b64 v[26:27], v23
	s_waitcnt lgkmcnt(0)
	v_fma_f64 v[10:11], v[24:25], v[26:27], v[10:11]
.LBB129_1029:
	s_or_b64 exec, exec, s[0:1]
	s_barrier
	s_and_saveexec_b64 s[0:1], s[70:71]
; %bb.1030:
	ds_write_b64 v23, v[10:11]
; %bb.1031:
	s_or_b64 exec, exec, s[0:1]
	s_waitcnt lgkmcnt(0)
	s_barrier
	s_barrier
	s_and_saveexec_b64 s[0:1], s[8:9]
; %bb.1032:
	v_xor_b32_e32 v11, 0x80000000, v11
	ds_write_b64 v21, v[10:11] offset:25024
; %bb.1033:
	s_or_b64 exec, exec, s[0:1]
	s_waitcnt lgkmcnt(0)
	s_barrier
	s_barrier
	s_and_saveexec_b64 s[0:1], s[88:89]
	s_cbranch_execz .LBB129_1035
; %bb.1034:
	v_lshlrev_b32_e32 v21, 9, v0
	ds_read_b64 v[10:11], v21 offset:25024
	s_movk_i32 s8, 0xfe08
	v_mad_i32_i24 v22, v0, s8, v21
	s_waitcnt lgkmcnt(0)
	ds_write_b64 v22, v[10:11] offset:29056
	ds_read_b64 v[10:11], v21 offset:25032
	s_waitcnt lgkmcnt(0)
	ds_write_b64 v22, v[10:11] offset:29568
	ds_read_b64 v[10:11], v21 offset:25040
	s_waitcnt lgkmcnt(0)
	ds_write_b64 v22, v[10:11] offset:30080
	ds_read_b64 v[10:11], v21 offset:25048
	s_waitcnt lgkmcnt(0)
	ds_write_b64 v22, v[10:11] offset:30592
	ds_read_b64 v[10:11], v21 offset:25056
	s_waitcnt lgkmcnt(0)
	ds_write_b64 v22, v[10:11] offset:31104
	ds_read_b64 v[10:11], v21 offset:25064
	s_waitcnt lgkmcnt(0)
	ds_write_b64 v22, v[10:11] offset:31616
	ds_read_b64 v[10:11], v21 offset:25072
	s_waitcnt lgkmcnt(0)
	ds_write_b64 v22, v[10:11] offset:32128
	ds_read_b64 v[10:11], v21 offset:25080
	s_waitcnt lgkmcnt(0)
	ds_write_b64 v22, v[10:11] offset:32640
.LBB129_1035:
	s_or_b64 exec, exec, s[0:1]
	s_waitcnt lgkmcnt(0)
	s_barrier
	s_and_saveexec_b64 s[0:1], vcc
	s_cbranch_execz .LBB129_1037
; %bb.1036:
	v_mov_b32_e32 v23, 0
	ds_read_b64 v[21:22], v23 offset:29128
	v_mov_b32_e32 v24, 0x3ff00000
	ds_write_b64 v23, v[23:24] offset:29120
	s_waitcnt lgkmcnt(1)
	ds_write_b128 v23, v[21:24] offset:29632
.LBB129_1037:
	s_or_b64 exec, exec, s[0:1]
	v_mov_b32_e32 v10, 0
	v_mov_b32_e32 v11, 0
	s_waitcnt lgkmcnt(0)
	s_barrier
	s_and_saveexec_b64 s[0:1], s[2:3]
	s_cbranch_execz .LBB129_1041
; %bb.1038:
	v_mul_u32_u24_e32 v21, 0x208, v15
	ds_read_b64 v[10:11], v12 offset:29136
	ds_read_b64 v[21:22], v21 offset:29120
	v_cmp_gt_u32_e64 s[8:9], 2, v14
	s_waitcnt lgkmcnt(0)
	v_fma_f64 v[10:11], v[10:11], v[21:22], 0
	s_and_saveexec_b64 s[10:11], s[8:9]
	s_cbranch_execz .LBB129_1040
; %bb.1039:
	v_lshlrev_b32_e32 v21, 3, v0
	v_mov_b32_e32 v23, 0
	ds_read_b64 v[21:22], v21 offset:29648
	ds_read_b64 v[23:24], v23 offset:29128
	s_waitcnt lgkmcnt(0)
	v_fma_f64 v[10:11], v[21:22], v[23:24], v[10:11]
.LBB129_1040:
	s_or_b64 exec, exec, s[10:11]
	v_xor_b32_e32 v11, 0x80000000, v11
.LBB129_1041:
	s_or_b64 exec, exec, s[0:1]
	s_and_saveexec_b64 s[0:1], s[42:43]
; %bb.1042:
	ds_write_b64 v13, v[10:11]
; %bb.1043:
	s_or_b64 exec, exec, s[0:1]
	s_waitcnt lgkmcnt(0)
	s_barrier
	s_and_saveexec_b64 s[0:1], s[40:41]
	s_cbranch_execz .LBB129_1045
; %bb.1044:
	v_mov_b32_e32 v21, 0
	ds_read_b64 v[21:22], v21 offset:30168
	ds_read_b64 v[23:24], v13
	s_waitcnt lgkmcnt(0)
	v_fma_f64 v[10:11], v[21:22], v[23:24], v[10:11]
.LBB129_1045:
	s_or_b64 exec, exec, s[0:1]
	s_barrier
	s_and_saveexec_b64 s[0:1], s[40:41]
; %bb.1046:
	ds_write_b64 v13, v[10:11]
; %bb.1047:
	s_or_b64 exec, exec, s[0:1]
	s_waitcnt lgkmcnt(0)
	s_barrier
	s_barrier
	s_and_saveexec_b64 s[0:1], s[2:3]
; %bb.1048:
	v_xor_b32_e32 v11, 0x80000000, v11
	ds_write_b64 v12, v[10:11] offset:29136
; %bb.1049:
	s_or_b64 exec, exec, s[0:1]
	s_waitcnt lgkmcnt(0)
	s_barrier
	s_barrier
	s_and_saveexec_b64 s[0:1], s[44:45]
	s_cbranch_execz .LBB129_1051
; %bb.1050:
	v_lshlrev_b32_e32 v21, 3, v0
	s_movk_i32 s8, 0x1f8
	v_mad_u32_u24 v22, v0, s8, v21
	ds_read_b64 v[10:11], v22 offset:29136
	s_waitcnt lgkmcnt(0)
	ds_write_b64 v21, v[10:11] offset:30144
	ds_read_b64 v[10:11], v22 offset:29144
	s_waitcnt lgkmcnt(0)
	ds_write_b64 v21, v[10:11] offset:30656
.LBB129_1051:
	s_or_b64 exec, exec, s[0:1]
	s_waitcnt lgkmcnt(0)
	s_barrier
	s_and_saveexec_b64 s[0:1], vcc
	s_cbranch_execz .LBB129_1053
; %bb.1052:
	v_mov_b32_e32 v23, 0
	ds_read_b64 v[21:22], v23 offset:30168
	v_mov_b32_e32 v24, 0x3ff00000
	ds_write_b64 v23, v[23:24] offset:30160
	s_waitcnt lgkmcnt(1)
	ds_write_b128 v23, v[21:24] offset:30672
.LBB129_1053:
	s_or_b64 exec, exec, s[0:1]
	v_mov_b32_e32 v10, 0
	v_mov_b32_e32 v11, 0
	s_waitcnt lgkmcnt(0)
	s_barrier
	s_and_saveexec_b64 s[0:1], s[18:19]
	s_cbranch_execz .LBB129_1059
; %bb.1054:
	v_mul_u32_u24_e32 v21, 0x208, v20
	ds_read_b64 v[10:11], v16 offset:29152
	ds_read_b64 v[22:23], v21 offset:29120
	v_cmp_gt_u32_e64 s[8:9], 12, v14
	s_waitcnt lgkmcnt(0)
	v_fma_f64 v[10:11], v[10:11], v[22:23], 0
	s_and_saveexec_b64 s[10:11], s[8:9]
	s_cbranch_execnz .LBB129_1218
; %bb.1055:
	s_or_b64 exec, exec, s[10:11]
	v_cmp_gt_u32_e64 s[8:9], 8, v14
	s_and_saveexec_b64 s[10:11], s[8:9]
	s_cbranch_execnz .LBB129_1219
.LBB129_1056:
	s_or_b64 exec, exec, s[10:11]
	v_cmp_gt_u32_e64 s[8:9], 4, v14
	s_and_saveexec_b64 s[10:11], s[8:9]
	s_cbranch_execz .LBB129_1058
.LBB129_1057:
	v_lshlrev_b32_e32 v19, 3, v0
	v_mov_b32_e32 v21, 0
	ds_read_b64 v[19:20], v19 offset:30688
	ds_read_b64 v[21:22], v21 offset:29144
	s_waitcnt lgkmcnt(0)
	v_fma_f64 v[10:11], v[19:20], v[21:22], v[10:11]
.LBB129_1058:
	s_or_b64 exec, exec, s[10:11]
	v_xor_b32_e32 v11, 0x80000000, v11
.LBB129_1059:
	s_or_b64 exec, exec, s[0:1]
	s_and_saveexec_b64 s[0:1], s[48:49]
; %bb.1060:
	ds_write_b64 v18, v[10:11]
; %bb.1061:
	s_or_b64 exec, exec, s[0:1]
	s_waitcnt lgkmcnt(0)
	s_barrier
	s_and_saveexec_b64 s[0:1], s[50:51]
	s_cbranch_execz .LBB129_1063
; %bb.1062:
	ds_read_b64 v[19:20], v17 offset:31200
	ds_read_b64 v[21:22], v18
	s_waitcnt lgkmcnt(0)
	v_fma_f64 v[10:11], v[19:20], v[21:22], v[10:11]
.LBB129_1063:
	s_or_b64 exec, exec, s[0:1]
	s_barrier
	s_and_saveexec_b64 s[0:1], s[52:53]
; %bb.1064:
	ds_write_b64 v18, v[10:11]
; %bb.1065:
	s_or_b64 exec, exec, s[0:1]
	s_waitcnt lgkmcnt(0)
	s_barrier
	s_and_saveexec_b64 s[0:1], s[54:55]
	s_cbranch_execz .LBB129_1067
; %bb.1066:
	ds_read_b64 v[19:20], v17 offset:31712
	ds_read_b64 v[21:22], v18
	s_waitcnt lgkmcnt(0)
	v_fma_f64 v[10:11], v[19:20], v[21:22], v[10:11]
.LBB129_1067:
	s_or_b64 exec, exec, s[0:1]
	s_barrier
	s_and_saveexec_b64 s[0:1], s[56:57]
; %bb.1068:
	ds_write_b64 v18, v[10:11]
; %bb.1069:
	s_or_b64 exec, exec, s[0:1]
	s_waitcnt lgkmcnt(0)
	s_barrier
	s_and_saveexec_b64 s[0:1], s[46:47]
	s_cbranch_execz .LBB129_1071
; %bb.1070:
	v_mov_b32_e32 v17, 0
	ds_read_b64 v[19:20], v17 offset:32248
	ds_read_b64 v[21:22], v18
	s_waitcnt lgkmcnt(0)
	v_fma_f64 v[10:11], v[19:20], v[21:22], v[10:11]
.LBB129_1071:
	s_or_b64 exec, exec, s[0:1]
	s_barrier
	s_and_saveexec_b64 s[0:1], s[46:47]
; %bb.1072:
	ds_write_b64 v18, v[10:11]
; %bb.1073:
	s_or_b64 exec, exec, s[0:1]
	s_waitcnt lgkmcnt(0)
	s_barrier
	s_barrier
	s_and_saveexec_b64 s[0:1], s[18:19]
; %bb.1074:
	v_xor_b32_e32 v11, 0x80000000, v11
	ds_write_b64 v16, v[10:11] offset:29152
; %bb.1075:
	s_or_b64 exec, exec, s[0:1]
	s_waitcnt lgkmcnt(0)
	s_barrier
	s_barrier
	s_and_saveexec_b64 s[0:1], s[58:59]
	s_cbranch_execz .LBB129_1077
; %bb.1076:
	v_lshlrev_b32_e32 v16, 9, v0
	ds_read_b64 v[10:11], v16 offset:29152
	s_movk_i32 s8, 0xfe08
	v_mad_i32_i24 v17, v0, s8, v16
	s_waitcnt lgkmcnt(0)
	ds_write_b64 v17, v[10:11] offset:31168
	ds_read_b64 v[10:11], v16 offset:29160
	s_waitcnt lgkmcnt(0)
	ds_write_b64 v17, v[10:11] offset:31680
	ds_read_b64 v[10:11], v16 offset:29168
	;; [unrolled: 3-line block ×3, first 2 shown]
	s_waitcnt lgkmcnt(0)
	ds_write_b64 v17, v[10:11] offset:32704
.LBB129_1077:
	s_or_b64 exec, exec, s[0:1]
	s_waitcnt lgkmcnt(0)
	s_barrier
	s_and_saveexec_b64 s[0:1], vcc
	s_cbranch_execz .LBB129_1079
; %bb.1078:
	v_mov_b32_e32 v18, 0
	ds_read_b64 v[16:17], v18 offset:31208
	v_mov_b32_e32 v19, 0x3ff00000
	ds_write_b64 v18, v[18:19] offset:31200
	s_waitcnt lgkmcnt(1)
	ds_write_b128 v18, v[16:19] offset:31712
.LBB129_1079:
	s_or_b64 exec, exec, s[0:1]
	v_mov_b32_e32 v10, 0
	v_mov_b32_e32 v11, 0
	s_waitcnt lgkmcnt(0)
	s_barrier
	s_and_saveexec_b64 s[0:1], s[2:3]
	s_cbranch_execz .LBB129_1083
; %bb.1080:
	v_mul_u32_u24_e32 v15, 0x208, v15
	ds_read_b64 v[10:11], v12 offset:31216
	ds_read_b64 v[15:16], v15 offset:31200
	v_cmp_gt_u32_e64 s[8:9], 2, v14
	s_waitcnt lgkmcnt(0)
	v_fma_f64 v[10:11], v[10:11], v[15:16], 0
	s_and_saveexec_b64 s[10:11], s[8:9]
	s_cbranch_execz .LBB129_1082
; %bb.1081:
	v_lshlrev_b32_e32 v14, 3, v0
	v_mov_b32_e32 v16, 0
	ds_read_b64 v[14:15], v14 offset:31728
	ds_read_b64 v[16:17], v16 offset:31208
	s_waitcnt lgkmcnt(0)
	v_fma_f64 v[10:11], v[14:15], v[16:17], v[10:11]
.LBB129_1082:
	s_or_b64 exec, exec, s[10:11]
	v_xor_b32_e32 v11, 0x80000000, v11
.LBB129_1083:
	s_or_b64 exec, exec, s[0:1]
	s_and_saveexec_b64 s[0:1], s[42:43]
; %bb.1084:
	ds_write_b64 v13, v[10:11]
; %bb.1085:
	s_or_b64 exec, exec, s[0:1]
	s_waitcnt lgkmcnt(0)
	s_barrier
	s_and_saveexec_b64 s[0:1], s[40:41]
	v_readlane_b32 s16, v40, 2
	v_readlane_b32 s42, v40, 0
	;; [unrolled: 1-line block ×4, first 2 shown]
	s_cbranch_execz .LBB129_1087
; %bb.1086:
	v_mov_b32_e32 v14, 0
	ds_read_b64 v[14:15], v14 offset:32248
	ds_read_b64 v[16:17], v13
	s_waitcnt lgkmcnt(0)
	v_fma_f64 v[10:11], v[14:15], v[16:17], v[10:11]
.LBB129_1087:
	s_or_b64 exec, exec, s[0:1]
	s_barrier
	s_and_saveexec_b64 s[0:1], s[40:41]
; %bb.1088:
	ds_write_b64 v13, v[10:11]
; %bb.1089:
	s_or_b64 exec, exec, s[0:1]
	s_waitcnt lgkmcnt(0)
	s_barrier
	s_barrier
	s_and_saveexec_b64 s[0:1], s[2:3]
; %bb.1090:
	v_xor_b32_e32 v11, 0x80000000, v11
	ds_write_b64 v12, v[10:11] offset:31216
; %bb.1091:
	s_or_b64 exec, exec, s[0:1]
	s_waitcnt lgkmcnt(0)
	s_barrier
	s_barrier
	s_and_saveexec_b64 s[0:1], s[44:45]
	s_cbranch_execz .LBB129_1093
; %bb.1092:
	v_lshlrev_b32_e32 v12, 3, v0
	s_movk_i32 s2, 0x1f8
	v_mad_u32_u24 v13, v0, s2, v12
	ds_read_b64 v[10:11], v13 offset:31216
	s_waitcnt lgkmcnt(0)
	ds_write_b64 v12, v[10:11] offset:32224
	ds_read_b64 v[10:11], v13 offset:31224
	s_waitcnt lgkmcnt(0)
	ds_write_b64 v12, v[10:11] offset:32736
.LBB129_1093:
	s_or_b64 exec, exec, s[0:1]
	s_waitcnt lgkmcnt(0)
	s_barrier
	s_and_saveexec_b64 s[0:1], vcc
	s_cbranch_execz .LBB129_1095
; %bb.1094:
	v_mov_b32_e32 v12, 0
	ds_read_b64 v[10:11], v12 offset:32248
	v_mov_b32_e32 v13, 0x3ff00000
	ds_write_b64 v12, v[12:13] offset:32240
	s_waitcnt lgkmcnt(1)
	ds_write_b128 v12, v[10:13] offset:32752
.LBB129_1095:
	s_or_b64 exec, exec, s[0:1]
.LBB129_1096:
	s_lshl_b64 s[0:1], s[24:25], 3
	s_add_u32 s20, s38, s0
	v_cmp_le_i32_e32 vcc, s90, v0
	s_addc_u32 s21, s39, s1
	s_and_b64 s[14:15], vcc, s[22:23]
	v_cmp_eq_u32_e64 s[2:3], 0, v1
	s_xor_b64 s[0:1], s[14:15], -1
	v_mov_b32_e32 v10, 0
	s_and_b64 s[8:9], s[2:3], s[0:1]
	v_mov_b32_e32 v11, 0
	v_lshl_add_u32 v12, s33, 6, v0
	s_waitcnt lgkmcnt(0)
	s_barrier
	s_and_saveexec_b64 s[0:1], s[8:9]
	s_cbranch_execz .LBB129_1098
; %bb.1097:
	v_ashrrev_i32_e32 v13, 31, v12
	v_mul_lo_u32 v14, s27, v12
	v_mad_u64_u32 v[10:11], s[8:9], s26, v12, 0
	v_mul_lo_u32 v13, s26, v13
	v_add3_u32 v11, v11, v13, v14
	v_lshlrev_b64 v[10:11], 3, v[10:11]
	v_mov_b32_e32 v13, s21
	v_add_co_u32_e32 v10, vcc, s20, v10
	v_addc_co_u32_e32 v11, vcc, v13, v11, vcc
	flat_load_dwordx2 v[10:11], v[10:11]
	s_waitcnt vmcnt(0) lgkmcnt(0)
	v_mul_f64 v[10:11], v[10:11], -s[16:17]
.LBB129_1098:
	s_or_b64 exec, exec, s[0:1]
	s_load_dwordx2 s[0:1], s[4:5], 0x50
	s_and_b32 s4, 0xffff, s95
	v_mad_u32_u24 v17, v1, s4, v0
	v_mov_b32_e32 v18, 0
	s_cmp_lt_i32 s6, 1
	v_cmp_eq_u32_e64 s[4:5], 0, v17
	s_cbranch_scc1 .LBB129_1124
; %bb.1099:
	v_ashrrev_i32_e32 v15, 31, v12
	v_mul_lo_u32 v16, s35, v12
	v_mad_u64_u32 v[13:14], s[8:9], s34, v12, 0
	v_mul_lo_u32 v15, s34, v15
	s_lshl_b64 s[8:9], s[28:29], 2
	s_waitcnt lgkmcnt(0)
	s_add_u32 s16, s0, s8
	s_addc_u32 s17, s1, s9
	v_add3_u32 v14, v14, v15, v16
	v_cmp_gt_i32_e64 s[8:9], s30, v12
	v_lshlrev_b64 v[12:13], 3, v[13:14]
	v_mov_b32_e32 v15, 0xa000
	v_mov_b32_e32 v14, s94
	v_add_co_u32_e32 v21, vcc, s91, v12
	s_mov_b32 s24, 0
	v_cmp_gt_u32_e64 s[12:13], 64, v17
	v_lshl_add_u32 v19, v17, 3, v15
	v_lshl_or_b32 v20, v1, 3, v15
	s_add_i32 s25, s33, 1
	v_addc_co_u32_e32 v22, vcc, v14, v13, vcc
	v_mov_b32_e32 v23, -1
	s_branch .LBB129_1102
.LBB129_1100:                           ;   in Loop: Header=BB129_1102 Depth=1
	ds_read_b64 v[12:13], v20 offset:384
	s_waitcnt vmcnt(0) lgkmcnt(0)
	v_fma_f64 v[10:11], v[14:15], v[12:13], v[10:11]
.LBB129_1101:                           ;   in Loop: Header=BB129_1102 Depth=1
	s_or_b64 exec, exec, s[18:19]
	s_add_i32 s24, s24, 1
	s_cmp_eq_u32 s24, s6
	s_cbranch_scc1 .LBB129_1124
.LBB129_1102:                           ; =>This Loop Header: Depth=1
                                        ;     Child Loop BB129_1104 Depth 2
	v_cmp_gt_i32_e32 vcc, s24, v23
	s_and_b64 s[18:19], s[4:5], vcc
	s_and_saveexec_b64 s[10:11], s[18:19]
	s_cbranch_execz .LBB129_1105
; %bb.1103:                             ;   in Loop: Header=BB129_1102 Depth=1
	global_load_dword v23, v18, s[16:17]
	s_waitcnt vmcnt(0)
	v_cmp_le_i32_e32 vcc, s24, v23
	s_cbranch_vccnz .LBB129_1105
.LBB129_1104:                           ;   Parent Loop BB129_1102 Depth=1
                                        ; =>  This Inner Loop Header: Depth=2
	buffer_wbinvl1_vol
	global_load_dword v23, v18, s[16:17]
	s_waitcnt vmcnt(0)
	v_cmp_gt_i32_e32 vcc, s24, v23
	s_cbranch_vccnz .LBB129_1104
.LBB129_1105:                           ;   in Loop: Header=BB129_1102 Depth=1
	s_or_b64 exec, exec, s[10:11]
	s_sub_i32 s34, s7, s24
	s_lshl_b32 s35, s34, 6
	buffer_wbinvl1_vol
	s_barrier
	s_and_saveexec_b64 s[10:11], s[12:13]
	s_cbranch_execz .LBB129_1109
; %bb.1106:                             ;   in Loop: Header=BB129_1102 Depth=1
	s_ashr_i32 s18, s35, 31
	v_mov_b32_e32 v13, s18
	v_or_b32_e32 v12, s35, v17
	v_cmp_gt_i64_e32 vcc, s[30:31], v[12:13]
	v_mov_b32_e32 v14, 0
	v_mov_b32_e32 v15, 0
	s_and_saveexec_b64 s[18:19], vcc
	s_cbranch_execz .LBB129_1108
; %bb.1107:                             ;   in Loop: Header=BB129_1102 Depth=1
	v_mul_lo_u32 v14, v13, s26
	v_mul_lo_u32 v15, v12, s27
	v_mad_u64_u32 v[12:13], s[36:37], v12, s26, 0
	v_add3_u32 v13, v13, v15, v14
	v_lshlrev_b64 v[12:13], 3, v[12:13]
	v_mov_b32_e32 v14, s21
	v_add_co_u32_e32 v12, vcc, s20, v12
	v_addc_co_u32_e32 v13, vcc, v14, v13, vcc
	flat_load_dwordx2 v[14:15], v[12:13]
.LBB129_1108:                           ;   in Loop: Header=BB129_1102 Depth=1
	s_or_b64 exec, exec, s[18:19]
	s_waitcnt vmcnt(0) lgkmcnt(0)
	ds_write_b64 v19, v[14:15]
.LBB129_1109:                           ;   in Loop: Header=BB129_1102 Depth=1
	s_or_b64 exec, exec, s[10:11]
	v_add_u32_e32 v14, s35, v1
	v_ashrrev_i32_e32 v15, 31, v14
	v_lshlrev_b64 v[12:13], 3, v[14:15]
	s_cmp_lg_u32 s34, s25
	v_add_co_u32_e32 v12, vcc, v21, v12
	s_cselect_b64 s[10:11], -1, 0
	v_addc_co_u32_e32 v13, vcc, v22, v13, vcc
	v_cmp_gt_i32_e32 vcc, s30, v14
	v_cndmask_b32_e64 v15, 0, 1, s[10:11]
	s_and_b64 s[34:35], vcc, s[8:9]
	v_cmp_ne_u32_e64 s[10:11], 1, v15
	s_waitcnt lgkmcnt(0)
	s_barrier
	s_and_saveexec_b64 s[18:19], s[34:35]
	s_cbranch_execz .LBB129_1113
; %bb.1110:                             ;   in Loop: Header=BB129_1102 Depth=1
	v_mov_b32_e32 v16, v5
	s_and_b64 vcc, exec, s[10:11]
	v_mov_b32_e32 v15, v4
	s_cbranch_vccnz .LBB129_1112
; %bb.1111:                             ;   in Loop: Header=BB129_1102 Depth=1
	flat_load_dwordx2 v[15:16], v[12:13]
.LBB129_1112:                           ;   in Loop: Header=BB129_1102 Depth=1
	ds_read_b64 v[24:25], v20
	s_waitcnt vmcnt(0) lgkmcnt(0)
	v_fma_f64 v[10:11], v[15:16], v[24:25], v[10:11]
.LBB129_1113:                           ;   in Loop: Header=BB129_1102 Depth=1
	s_or_b64 exec, exec, s[18:19]
	v_add_u32_e32 v15, 16, v14
	v_cmp_gt_i32_e32 vcc, s30, v15
	s_and_b64 s[34:35], vcc, s[8:9]
	s_and_saveexec_b64 s[18:19], s[34:35]
	s_cbranch_execz .LBB129_1117
; %bb.1114:                             ;   in Loop: Header=BB129_1102 Depth=1
	v_mov_b32_e32 v16, v3
	s_and_b64 vcc, exec, s[10:11]
	v_mov_b32_e32 v15, v2
	s_cbranch_vccnz .LBB129_1116
; %bb.1115:                             ;   in Loop: Header=BB129_1102 Depth=1
	flat_load_dwordx2 v[15:16], v[12:13] offset:128
.LBB129_1116:                           ;   in Loop: Header=BB129_1102 Depth=1
	ds_read_b64 v[24:25], v20 offset:128
	s_waitcnt vmcnt(0) lgkmcnt(0)
	v_fma_f64 v[10:11], v[15:16], v[24:25], v[10:11]
.LBB129_1117:                           ;   in Loop: Header=BB129_1102 Depth=1
	s_or_b64 exec, exec, s[18:19]
	v_add_u32_e32 v15, 32, v14
	v_cmp_gt_i32_e32 vcc, s30, v15
	s_and_b64 s[34:35], vcc, s[8:9]
	s_and_saveexec_b64 s[18:19], s[34:35]
	s_cbranch_execz .LBB129_1121
; %bb.1118:                             ;   in Loop: Header=BB129_1102 Depth=1
	v_mov_b32_e32 v16, v9
	s_and_b64 vcc, exec, s[10:11]
	v_mov_b32_e32 v15, v8
	s_cbranch_vccnz .LBB129_1120
; %bb.1119:                             ;   in Loop: Header=BB129_1102 Depth=1
	flat_load_dwordx2 v[15:16], v[12:13] offset:256
.LBB129_1120:                           ;   in Loop: Header=BB129_1102 Depth=1
	ds_read_b64 v[24:25], v20 offset:256
	s_waitcnt vmcnt(0) lgkmcnt(0)
	v_fma_f64 v[10:11], v[15:16], v[24:25], v[10:11]
.LBB129_1121:                           ;   in Loop: Header=BB129_1102 Depth=1
	s_or_b64 exec, exec, s[18:19]
	v_add_u32_e32 v14, 48, v14
	v_cmp_gt_i32_e32 vcc, s30, v14
	s_and_b64 s[34:35], vcc, s[8:9]
	s_and_saveexec_b64 s[18:19], s[34:35]
	s_cbranch_execz .LBB129_1101
; %bb.1122:                             ;   in Loop: Header=BB129_1102 Depth=1
	v_mov_b32_e32 v15, v7
	s_and_b64 vcc, exec, s[10:11]
	v_mov_b32_e32 v14, v6
	s_cbranch_vccnz .LBB129_1100
; %bb.1123:                             ;   in Loop: Header=BB129_1102 Depth=1
	flat_load_dwordx2 v[14:15], v[12:13] offset:384
	s_branch .LBB129_1100
.LBB129_1124:
	v_lshl_add_u32 v2, v1, 6, v0
	s_xor_b64 s[4:5], s[22:23], -1
	v_lshlrev_b32_e32 v4, 3, v2
	ds_write_b64 v4, v[10:11] offset:32768
	s_waitcnt lgkmcnt(0)
	s_barrier
	s_and_saveexec_b64 s[6:7], s[2:3]
	s_cbranch_execz .LBB129_1126
; %bb.1125:
	v_lshlrev_b32_e32 v15, 3, v0
	ds_read2st64_b64 v[5:8], v15 offset0:65 offset1:66
	ds_read_b64 v[2:3], v15 offset:40448
	s_waitcnt lgkmcnt(1)
	v_add_f64 v[5:6], v[10:11], v[5:6]
	v_add_f64 v[13:14], v[5:6], v[7:8]
	ds_read2st64_b64 v[5:8], v15 offset0:67 offset1:68
	ds_read2st64_b64 v[9:12], v15 offset0:69 offset1:70
	s_waitcnt lgkmcnt(1)
	v_add_f64 v[5:6], v[13:14], v[5:6]
	v_add_f64 v[5:6], v[5:6], v[7:8]
	s_waitcnt lgkmcnt(0)
	v_add_f64 v[5:6], v[5:6], v[9:10]
	v_add_f64 v[13:14], v[5:6], v[11:12]
	ds_read2st64_b64 v[5:8], v15 offset0:71 offset1:72
	ds_read2st64_b64 v[9:12], v15 offset0:73 offset1:74
	s_waitcnt lgkmcnt(1)
	v_add_f64 v[5:6], v[13:14], v[5:6]
	v_add_f64 v[5:6], v[5:6], v[7:8]
	s_waitcnt lgkmcnt(0)
	v_add_f64 v[5:6], v[5:6], v[9:10]
	v_add_f64 v[13:14], v[5:6], v[11:12]
	ds_read2st64_b64 v[5:8], v15 offset0:75 offset1:76
	ds_read2st64_b64 v[9:12], v15 offset0:77 offset1:78
	s_waitcnt lgkmcnt(1)
	v_add_f64 v[5:6], v[13:14], v[5:6]
	v_add_f64 v[5:6], v[5:6], v[7:8]
	s_waitcnt lgkmcnt(0)
	v_add_f64 v[5:6], v[5:6], v[9:10]
	v_add_f64 v[5:6], v[5:6], v[11:12]
	v_add_f64 v[2:3], v[5:6], v[2:3]
	v_xor_b32_e32 v3, 0x80000000, v3
	v_cndmask_b32_e64 v11, v3, 0, s[14:15]
	v_cndmask_b32_e64 v10, v2, 0, s[14:15]
.LBB129_1126:
	s_or_b64 exec, exec, s[6:7]
	s_and_b64 vcc, exec, s[42:43]
	s_cbranch_vccnz .LBB129_1140
; %bb.1127:
	v_mov_b32_e32 v2, 0xa000
	v_lshl_or_b32 v5, v1, 3, v2
	s_and_saveexec_b64 s[6:7], s[2:3]
; %bb.1128:
	v_lshl_add_u32 v2, v0, 3, v5
	ds_write_b64 v2, v[10:11]
; %bb.1129:
	s_or_b64 exec, exec, s[6:7]
	v_mov_b32_e32 v2, 0
	v_mov_b32_e32 v3, 0
	v_cmp_le_u32_e32 vcc, v0, v1
	s_waitcnt lgkmcnt(0)
	s_barrier
	s_and_saveexec_b64 s[6:7], vcc
	s_cbranch_execz .LBB129_1131
; %bb.1130:
	ds_read_b64 v[2:3], v4
	ds_read_b64 v[6:7], v5
	s_waitcnt lgkmcnt(0)
	v_fma_f64 v[2:3], v[2:3], v[6:7], 0
.LBB129_1131:
	s_or_b64 exec, exec, s[6:7]
	v_add_u32_e32 v6, 16, v1
	v_cmp_le_u32_e32 vcc, v0, v6
	s_and_saveexec_b64 s[6:7], vcc
	s_cbranch_execz .LBB129_1133
; %bb.1132:
	ds_read_b64 v[6:7], v4 offset:8192
	ds_read_b64 v[8:9], v5 offset:128
	s_waitcnt lgkmcnt(0)
	v_fma_f64 v[2:3], v[6:7], v[8:9], v[2:3]
.LBB129_1133:
	s_or_b64 exec, exec, s[6:7]
	v_add_u32_e32 v6, 32, v1
	v_cmp_le_u32_e32 vcc, v0, v6
	s_and_saveexec_b64 s[6:7], vcc
	s_cbranch_execz .LBB129_1135
; %bb.1134:
	ds_read_b64 v[6:7], v4 offset:16384
	ds_read_b64 v[8:9], v5 offset:256
	s_waitcnt lgkmcnt(0)
	v_fma_f64 v[2:3], v[6:7], v[8:9], v[2:3]
.LBB129_1135:
	s_or_b64 exec, exec, s[6:7]
	v_add_u32_e32 v1, 48, v1
	v_add_u32_e32 v6, 0x8000, v4
	v_cmp_le_u32_e32 vcc, v0, v1
	s_and_saveexec_b64 s[6:7], vcc
	s_cbranch_execz .LBB129_1137
; %bb.1136:
	ds_read_b64 v[7:8], v4 offset:24576
	ds_read_b64 v[4:5], v5 offset:384
	s_waitcnt lgkmcnt(0)
	v_fma_f64 v[2:3], v[7:8], v[4:5], v[2:3]
.LBB129_1137:
	s_or_b64 exec, exec, s[6:7]
	s_mov_b64 s[8:9], 0
	s_mov_b64 s[6:7], 0
	ds_write_b64 v6, v[2:3]
	s_waitcnt lgkmcnt(0)
	s_barrier
                                        ; implicit-def: $vgpr4_vgpr5
	s_and_saveexec_b64 s[10:11], s[2:3]
	s_cbranch_execz .LBB129_1166
; %bb.1138:
	v_lshlrev_b32_e32 v9, 3, v0
	ds_read2st64_b64 v[4:7], v9 offset0:65 offset1:66
	ds_read_b64 v[12:13], v9 offset:40448
	s_mov_b64 s[6:7], exec
	s_waitcnt lgkmcnt(1)
	v_add_f64 v[1:2], v[2:3], v[4:5]
	v_add_f64 v[14:15], v[6:7], v[1:2]
	ds_read2st64_b64 v[1:4], v9 offset0:67 offset1:68
	ds_read2st64_b64 v[5:8], v9 offset0:69 offset1:70
	s_waitcnt lgkmcnt(1)
	v_add_f64 v[1:2], v[1:2], v[14:15]
	v_add_f64 v[1:2], v[3:4], v[1:2]
	s_waitcnt lgkmcnt(0)
	v_add_f64 v[1:2], v[5:6], v[1:2]
	v_add_f64 v[14:15], v[7:8], v[1:2]
	ds_read2st64_b64 v[1:4], v9 offset0:71 offset1:72
	ds_read2st64_b64 v[5:8], v9 offset0:73 offset1:74
	s_waitcnt lgkmcnt(1)
	v_add_f64 v[1:2], v[1:2], v[14:15]
	v_add_f64 v[1:2], v[3:4], v[1:2]
	;; [unrolled: 8-line block ×3, first 2 shown]
	s_waitcnt lgkmcnt(0)
	v_add_f64 v[1:2], v[5:6], v[1:2]
	v_add_f64 v[1:2], v[7:8], v[1:2]
	;; [unrolled: 1-line block ×3, first 2 shown]
	s_or_b64 exec, exec, s[10:11]
	s_and_b64 vcc, exec, s[8:9]
	s_cbranch_vccnz .LBB129_1141
	s_branch .LBB129_1167
.LBB129_1139:
	v_mad_u64_u32 v[12:13], s[2:3], s34, v15, 0
	s_or_b64 s[10:11], s[10:11], exec
	v_mad_u64_u32 v[13:14], s[2:3], s35, v15, v[13:14]
	v_lshlrev_b64 v[12:13], 3, v[12:13]
	v_add_co_u32_e32 v10, vcc, v10, v12
	v_addc_co_u32_e32 v11, vcc, v11, v13, vcc
	flat_load_dwordx2 v[12:13], v[10:11]
	s_waitcnt vmcnt(0) lgkmcnt(0)
	v_xor_b32_e32 v13, 0x80000000, v13
	s_or_b64 exec, exec, s[8:9]
	s_xor_b64 s[0:1], s[0:1], -1
	s_and_saveexec_b64 s[2:3], s[10:11]
	s_cbranch_execnz .LBB129_57
	s_branch .LBB129_58
.LBB129_1140:
	s_mov_b64 s[6:7], 0
                                        ; implicit-def: $vgpr4_vgpr5
	s_cbranch_execz .LBB129_1167
.LBB129_1141:
	v_mov_b32_e32 v1, 0x7800
	v_lshl_add_u32 v1, v0, 3, v1
	v_mov_b32_e32 v3, 63
	v_mov_b32_e32 v2, 0
	s_branch .LBB129_1143
.LBB129_1142:                           ;   in Loop: Header=BB129_1143 Depth=1
	s_or_b64 exec, exec, s[8:9]
	v_subrev_co_u32_e32 v3, vcc, 1, v3
	s_andn2_b64 vcc, exec, vcc
	v_add_u32_e32 v1, 0xfffff800, v1
	s_barrier
	s_cbranch_vccz .LBB129_1159
.LBB129_1143:                           ; =>This Inner Loop Header: Depth=1
	v_cmp_eq_u32_e32 vcc, v0, v3
	s_and_b64 s[10:11], s[2:3], vcc
	s_and_saveexec_b64 s[8:9], s[10:11]
; %bb.1144:                             ;   in Loop: Header=BB129_1143 Depth=1
	ds_write_b64 v2, v[10:11] offset:41472
; %bb.1145:                             ;   in Loop: Header=BB129_1143 Depth=1
	s_or_b64 exec, exec, s[8:9]
	v_cmp_lt_u32_e32 vcc, v0, v3
	s_and_b64 s[10:11], s[2:3], vcc
	s_waitcnt lgkmcnt(0)
	s_barrier
	s_and_saveexec_b64 s[8:9], s[10:11]
	s_cbranch_execz .LBB129_1147
; %bb.1146:                             ;   in Loop: Header=BB129_1143 Depth=1
	ds_read_b64 v[4:5], v1 offset:1536
	ds_read_b64 v[6:7], v2 offset:41472
	s_waitcnt lgkmcnt(0)
	v_fma_f64 v[10:11], v[4:5], v[6:7], v[10:11]
.LBB129_1147:                           ;   in Loop: Header=BB129_1143 Depth=1
	s_or_b64 exec, exec, s[8:9]
	v_add_u32_e32 v3, -1, v3
	v_cmp_eq_u32_e32 vcc, v0, v3
	s_and_b64 s[10:11], s[2:3], vcc
	s_barrier
	s_and_saveexec_b64 s[8:9], s[10:11]
; %bb.1148:                             ;   in Loop: Header=BB129_1143 Depth=1
	ds_write_b64 v2, v[10:11] offset:41472
; %bb.1149:                             ;   in Loop: Header=BB129_1143 Depth=1
	s_or_b64 exec, exec, s[8:9]
	v_cmp_lt_u32_e32 vcc, v0, v3
	s_and_b64 s[10:11], s[2:3], vcc
	s_waitcnt lgkmcnt(0)
	s_barrier
	s_and_saveexec_b64 s[8:9], s[10:11]
	s_cbranch_execz .LBB129_1151
; %bb.1150:                             ;   in Loop: Header=BB129_1143 Depth=1
	ds_read_b64 v[4:5], v1 offset:1024
	ds_read_b64 v[6:7], v2 offset:41472
	s_waitcnt lgkmcnt(0)
	v_fma_f64 v[10:11], v[4:5], v[6:7], v[10:11]
.LBB129_1151:                           ;   in Loop: Header=BB129_1143 Depth=1
	s_or_b64 exec, exec, s[8:9]
	v_add_u32_e32 v3, -1, v3
	v_cmp_eq_u32_e32 vcc, v0, v3
	s_and_b64 s[10:11], s[2:3], vcc
	s_barrier
	;; [unrolled: 22-line block ×3, first 2 shown]
	s_and_saveexec_b64 s[8:9], s[10:11]
; %bb.1156:                             ;   in Loop: Header=BB129_1143 Depth=1
	ds_write_b64 v2, v[10:11] offset:41472
; %bb.1157:                             ;   in Loop: Header=BB129_1143 Depth=1
	s_or_b64 exec, exec, s[8:9]
	v_cmp_lt_u32_e32 vcc, v0, v3
	s_and_b64 s[10:11], s[2:3], vcc
	s_waitcnt lgkmcnt(0)
	s_barrier
	s_and_saveexec_b64 s[8:9], s[10:11]
	s_cbranch_execz .LBB129_1142
; %bb.1158:                             ;   in Loop: Header=BB129_1143 Depth=1
	ds_read_b64 v[4:5], v1
	ds_read_b64 v[6:7], v2 offset:41472
	s_waitcnt lgkmcnt(0)
	v_fma_f64 v[10:11], v[4:5], v[6:7], v[10:11]
	s_branch .LBB129_1142
.LBB129_1159:
	s_mov_b64 s[8:9], -1
	s_and_b64 vcc, exec, s[4:5]
	s_cbranch_vccnz .LBB129_1168
; %bb.1160:
	s_andn2_b64 vcc, exec, s[8:9]
	s_cbranch_vccz .LBB129_1169
.LBB129_1161:
	s_and_saveexec_b64 s[2:3], s[6:7]
	s_cbranch_execz .LBB129_1163
.LBB129_1162:
	s_lshl_b32 s4, s33, 6
	s_ashr_i32 s5, s4, 31
	v_mov_b32_e32 v0, s5
	v_add_co_u32_e32 v1, vcc, s4, v17
	v_addc_co_u32_e32 v0, vcc, 0, v0, vcc
	v_mul_lo_u32 v2, v0, s26
	v_mul_lo_u32 v3, v1, s27
	v_mad_u64_u32 v[0:1], s[4:5], v1, s26, 0
	v_add3_u32 v1, v1, v3, v2
	v_lshlrev_b64 v[0:1], 3, v[0:1]
	v_mov_b32_e32 v2, s21
	v_add_co_u32_e32 v0, vcc, s20, v0
	v_addc_co_u32_e32 v1, vcc, v2, v1, vcc
	flat_store_dwordx2 v[0:1], v[10:11]
.LBB129_1163:
	s_or_b64 exec, exec, s[2:3]
	v_cmp_eq_u32_e32 vcc, 0, v17
	s_waitcnt vmcnt(0) lgkmcnt(0)
	buffer_wbinvl1_vol
	s_barrier
	s_and_saveexec_b64 s[2:3], vcc
	s_cbranch_execz .LBB129_1165
; %bb.1164:
	s_lshl_b64 s[4:5], s[28:29], 2
	s_add_u32 s0, s0, s4
	s_addc_u32 s1, s1, s5
	v_mov_b32_e32 v0, 0
	global_load_dword v1, v0, s[0:1]
	s_waitcnt vmcnt(0)
	v_add_u32_e32 v1, 1, v1
	global_store_dword v0, v1, s[0:1]
.LBB129_1165:
	s_or_b64 exec, exec, s[2:3]
	s_waitcnt vmcnt(0)
	buffer_wbinvl1_vol
	s_endpgm
.LBB129_1166:
	s_or_b64 exec, exec, s[10:11]
	s_and_b64 vcc, exec, s[8:9]
	s_cbranch_vccnz .LBB129_1141
.LBB129_1167:
	v_mov_b32_e32 v11, v5
	v_mov_b32_e32 v10, v4
	s_and_saveexec_b64 s[2:3], s[6:7]
	s_cbranch_execnz .LBB129_1162
	s_branch .LBB129_1163
.LBB129_1168:
	s_andn2_b64 s[4:5], s[6:7], exec
	s_and_b64 s[6:7], s[2:3], exec
	s_or_b64 s[6:7], s[4:5], s[6:7]
	s_cbranch_execnz .LBB129_1161
.LBB129_1169:
	v_cmp_gt_i32_e32 vcc, s90, v0
	s_and_b64 s[2:3], s[2:3], vcc
	s_andn2_b64 s[4:5], s[6:7], exec
	s_and_b64 s[2:3], s[2:3], exec
	s_or_b64 s[6:7], s[4:5], s[2:3]
	s_and_saveexec_b64 s[2:3], s[6:7]
	s_cbranch_execnz .LBB129_1162
	s_branch .LBB129_1163
.LBB129_1170:
	v_lshlrev_b32_e32 v21, 3, v20
	v_sub_u32_e32 v21, v18, v21
	v_lshl_add_u32 v21, v19, 3, v21
	ds_read_b64 v[21:22], v21 offset:544
	ds_read_b64 v[23:24], v18 offset:8
	s_waitcnt lgkmcnt(0)
	v_fma_f64 v[10:11], v[21:22], v[23:24], v[10:11]
	s_or_b64 exec, exec, s[14:15]
	v_cmp_gt_u32_e64 s[10:11], 8, v14
	s_and_saveexec_b64 s[14:15], s[10:11]
	s_cbranch_execz .LBB129_80
.LBB129_1171:
	ds_read_b64 v[21:22], v16 offset:1056
	ds_read_b64 v[23:24], v18 offset:16
	s_waitcnt lgkmcnt(0)
	v_fma_f64 v[10:11], v[21:22], v[23:24], v[10:11]
	s_or_b64 exec, exec, s[14:15]
	v_cmp_gt_u32_e64 s[10:11], 4, v14
	s_and_saveexec_b64 s[14:15], s[10:11]
	s_cbranch_execnz .LBB129_81
	s_branch .LBB129_82
.LBB129_1172:
	v_lshlrev_b32_e32 v26, 3, v25
	v_sub_u32_e32 v26, v23, v26
	v_lshl_add_u32 v26, v24, 3, v26
	ds_read_b64 v[26:27], v26 offset:576
	ds_read_b64 v[28:29], v23 offset:8
	s_waitcnt lgkmcnt(0)
	v_fma_f64 v[10:11], v[26:27], v[28:29], v[10:11]
	s_or_b64 exec, exec, s[16:17]
	v_cmp_gt_u32_e64 s[14:15], 48, v14
	s_and_saveexec_b64 s[16:17], s[14:15]
	s_cbranch_execz .LBB129_122
.LBB129_1173:
	v_lshlrev_b32_e32 v26, 3, v25
	v_sub_u32_e32 v26, v23, v26
	v_lshl_add_u32 v26, v24, 3, v26
	ds_read_b64 v[26:27], v26 offset:1088
	ds_read_b64 v[28:29], v23 offset:16
	s_waitcnt lgkmcnt(0)
	v_fma_f64 v[10:11], v[26:27], v[28:29], v[10:11]
	s_or_b64 exec, exec, s[16:17]
	v_cmp_gt_u32_e64 s[14:15], 40, v14
	s_and_saveexec_b64 s[16:17], s[14:15]
	s_cbranch_execz .LBB129_123
.LBB129_1174:
	v_lshlrev_b32_e32 v26, 3, v25
	v_sub_u32_e32 v26, v23, v26
	v_lshl_add_u32 v26, v24, 3, v26
	ds_read_b64 v[26:27], v26 offset:1600
	ds_read_b64 v[28:29], v23 offset:24
	s_waitcnt lgkmcnt(0)
	v_fma_f64 v[10:11], v[26:27], v[28:29], v[10:11]
	s_or_b64 exec, exec, s[16:17]
	v_cmp_gt_u32_e64 s[14:15], 32, v14
	s_and_saveexec_b64 s[16:17], s[14:15]
	s_cbranch_execz .LBB129_124
.LBB129_1175:
	ds_read_b64 v[26:27], v21 offset:2112
	ds_read_b64 v[28:29], v23 offset:32
	s_waitcnt lgkmcnt(0)
	v_fma_f64 v[10:11], v[26:27], v[28:29], v[10:11]
	s_or_b64 exec, exec, s[16:17]
	v_cmp_gt_u32_e64 s[14:15], 24, v14
	s_and_saveexec_b64 s[16:17], s[14:15]
	s_cbranch_execz .LBB129_125
.LBB129_1176:
	v_lshlrev_b32_e32 v26, 3, v25
	v_sub_u32_e32 v26, v23, v26
	v_lshl_add_u32 v26, v24, 3, v26
	ds_read_b64 v[26:27], v26 offset:2624
	ds_read_b64 v[28:29], v23 offset:40
	s_waitcnt lgkmcnt(0)
	v_fma_f64 v[10:11], v[26:27], v[28:29], v[10:11]
	s_or_b64 exec, exec, s[16:17]
	v_cmp_gt_u32_e64 s[14:15], 16, v14
	s_and_saveexec_b64 s[16:17], s[14:15]
	s_cbranch_execz .LBB129_126
.LBB129_1177:
	ds_read_b64 v[26:27], v21 offset:3136
	ds_read_b64 v[28:29], v23 offset:48
	s_waitcnt lgkmcnt(0)
	v_fma_f64 v[10:11], v[26:27], v[28:29], v[10:11]
	s_or_b64 exec, exec, s[16:17]
	v_cmp_gt_u32_e64 s[14:15], 8, v14
	s_and_saveexec_b64 s[16:17], s[14:15]
	s_cbranch_execnz .LBB129_127
	s_branch .LBB129_128
.LBB129_1178:
	v_lshlrev_b32_e32 v27, 3, v20
	v_sub_u32_e32 v27, v26, v27
	v_lshl_add_u32 v27, v19, 3, v27
	ds_read_b64 v[27:28], v27 offset:4704
	ds_read_b64 v[29:30], v26 offset:4168
	s_waitcnt lgkmcnt(0)
	v_fma_f64 v[10:11], v[27:28], v[29:30], v[10:11]
	s_or_b64 exec, exec, s[14:15]
	v_cmp_gt_u32_e64 s[10:11], 8, v14
	s_and_saveexec_b64 s[14:15], s[10:11]
	s_cbranch_execz .LBB129_184
.LBB129_1179:
	ds_read_b64 v[27:28], v16 offset:5216
	ds_read_b64 v[29:30], v26 offset:4176
	s_waitcnt lgkmcnt(0)
	v_fma_f64 v[10:11], v[27:28], v[29:30], v[10:11]
	s_or_b64 exec, exec, s[14:15]
	v_cmp_gt_u32_e64 s[10:11], 4, v14
	s_and_saveexec_b64 s[14:15], s[10:11]
	s_cbranch_execnz .LBB129_185
	s_branch .LBB129_186
.LBB129_1180:
	v_lshlrev_b32_e32 v31, 3, v27
	v_lshl_add_u32 v31, v29, 3, v31
	ds_read_b64 v[31:32], v31 offset:5760
	ds_read_b64 v[33:34], v28 offset:88
	s_waitcnt lgkmcnt(0)
	v_fma_f64 v[10:11], v[31:32], v[33:34], v[10:11]
	s_or_b64 exec, exec, s[20:21]
	v_cmp_gt_u32_e64 s[16:17], 64, v14
	s_and_saveexec_b64 s[20:21], s[16:17]
	s_cbranch_execz .LBB129_246
.LBB129_1181:
	ds_read_b64 v[31:32], v26 offset:6272
	ds_read_b64 v[33:34], v28 offset:96
	s_waitcnt lgkmcnt(0)
	v_fma_f64 v[10:11], v[31:32], v[33:34], v[10:11]
	s_or_b64 exec, exec, s[20:21]
	v_cmp_gt_u32_e64 s[16:17], 48, v14
	s_and_saveexec_b64 s[20:21], s[16:17]
	s_cbranch_execz .LBB129_247
.LBB129_1182:
	v_lshlrev_b32_e32 v31, 3, v27
	v_lshl_add_u32 v31, v29, 3, v31
	ds_read_b64 v[31:32], v31 offset:6784
	ds_read_b64 v[33:34], v28 offset:104
	s_waitcnt lgkmcnt(0)
	v_fma_f64 v[10:11], v[31:32], v[33:34], v[10:11]
	s_or_b64 exec, exec, s[20:21]
	v_cmp_gt_u32_e64 s[16:17], 32, v14
	s_and_saveexec_b64 s[20:21], s[16:17]
	s_cbranch_execz .LBB129_248
.LBB129_1183:
	ds_read_b64 v[31:32], v26 offset:7296
	ds_read_b64 v[33:34], v28 offset:112
	s_waitcnt lgkmcnt(0)
	v_fma_f64 v[10:11], v[31:32], v[33:34], v[10:11]
	s_or_b64 exec, exec, s[20:21]
	v_cmp_gt_u32_e64 s[16:17], 16, v14
	s_and_saveexec_b64 s[20:21], s[16:17]
	s_cbranch_execnz .LBB129_249
	s_branch .LBB129_250
.LBB129_1184:
	v_lshlrev_b32_e32 v32, 3, v20
	v_sub_u32_e32 v32, v31, v32
	v_lshl_add_u32 v32, v19, 3, v32
	ds_read_b64 v[32:33], v32 offset:8864
	ds_read_b64 v[34:35], v31 offset:8328
	s_waitcnt lgkmcnt(0)
	v_fma_f64 v[10:11], v[32:33], v[34:35], v[10:11]
	s_or_b64 exec, exec, s[20:21]
	v_cmp_gt_u32_e64 s[14:15], 8, v14
	s_and_saveexec_b64 s[0:1], s[14:15]
	s_cbranch_execz .LBB129_338
.LBB129_1185:
	ds_read_b64 v[32:33], v16 offset:9376
	ds_read_b64 v[34:35], v31 offset:8336
	s_waitcnt lgkmcnt(0)
	v_fma_f64 v[10:11], v[32:33], v[34:35], v[10:11]
	s_or_b64 exec, exec, s[0:1]
	v_cmp_gt_u32_e64 s[14:15], 4, v14
	s_and_saveexec_b64 s[20:21], s[14:15]
	s_cbranch_execnz .LBB129_339
	s_branch .LBB129_340
.LBB129_1186:
	v_lshlrev_b32_e32 v32, 3, v25
	v_sub_u32_e32 v32, v31, v32
	v_lshl_add_u32 v32, v24, 3, v32
	ds_read_b64 v[32:33], v32 offset:8896
	ds_read_b64 v[34:35], v31 offset:8328
	s_waitcnt lgkmcnt(0)
	v_fma_f64 v[10:11], v[32:33], v[34:35], v[10:11]
	s_or_b64 exec, exec, s[20:21]
	v_cmp_gt_u32_e64 s[14:15], 48, v14
	s_and_saveexec_b64 s[20:21], s[14:15]
	s_cbranch_execz .LBB129_380
.LBB129_1187:
	v_lshlrev_b32_e32 v32, 3, v25
	v_sub_u32_e32 v32, v31, v32
	v_lshl_add_u32 v32, v24, 3, v32
	ds_read_b64 v[32:33], v32 offset:9408
	ds_read_b64 v[34:35], v31 offset:8336
	s_waitcnt lgkmcnt(0)
	v_fma_f64 v[10:11], v[32:33], v[34:35], v[10:11]
	s_or_b64 exec, exec, s[20:21]
	v_cmp_gt_u32_e64 s[14:15], 40, v14
	s_and_saveexec_b64 s[20:21], s[14:15]
	s_cbranch_execz .LBB129_381
.LBB129_1188:
	v_lshlrev_b32_e32 v32, 3, v25
	v_sub_u32_e32 v32, v31, v32
	v_lshl_add_u32 v32, v24, 3, v32
	ds_read_b64 v[32:33], v32 offset:9920
	ds_read_b64 v[34:35], v31 offset:8344
	s_waitcnt lgkmcnt(0)
	v_fma_f64 v[10:11], v[32:33], v[34:35], v[10:11]
	s_or_b64 exec, exec, s[20:21]
	v_cmp_gt_u32_e64 s[14:15], 32, v14
	s_and_saveexec_b64 s[0:1], s[14:15]
	s_cbranch_execz .LBB129_382
.LBB129_1189:
	ds_read_b64 v[32:33], v21 offset:10432
	ds_read_b64 v[34:35], v31 offset:8352
	s_waitcnt lgkmcnt(0)
	v_fma_f64 v[10:11], v[32:33], v[34:35], v[10:11]
	s_or_b64 exec, exec, s[0:1]
	v_cmp_gt_u32_e64 s[14:15], 24, v14
	s_and_saveexec_b64 s[20:21], s[14:15]
	s_cbranch_execz .LBB129_383
.LBB129_1190:
	v_lshlrev_b32_e32 v32, 3, v25
	v_sub_u32_e32 v32, v31, v32
	v_lshl_add_u32 v32, v24, 3, v32
	ds_read_b64 v[32:33], v32 offset:10944
	ds_read_b64 v[34:35], v31 offset:8360
	s_waitcnt lgkmcnt(0)
	v_fma_f64 v[10:11], v[32:33], v[34:35], v[10:11]
	s_or_b64 exec, exec, s[20:21]
	v_cmp_gt_u32_e64 s[14:15], 16, v14
	s_and_saveexec_b64 s[0:1], s[14:15]
	s_cbranch_execz .LBB129_384
.LBB129_1191:
	ds_read_b64 v[32:33], v21 offset:11456
	ds_read_b64 v[34:35], v31 offset:8368
	s_waitcnt lgkmcnt(0)
	v_fma_f64 v[10:11], v[32:33], v[34:35], v[10:11]
	s_or_b64 exec, exec, s[0:1]
	v_cmp_gt_u32_e64 s[14:15], 8, v14
	s_and_saveexec_b64 s[20:21], s[14:15]
	s_cbranch_execnz .LBB129_385
	s_branch .LBB129_386
.LBB129_1192:
	v_lshlrev_b32_e32 v32, 3, v20
	v_sub_u32_e32 v32, v31, v32
	v_lshl_add_u32 v32, v19, 3, v32
	ds_read_b64 v[32:33], v32 offset:13024
	ds_read_b64 v[34:35], v31 offset:12488
	s_waitcnt lgkmcnt(0)
	v_fma_f64 v[10:11], v[32:33], v[34:35], v[10:11]
	s_or_b64 exec, exec, s[20:21]
	v_cmp_gt_u32_e64 s[14:15], 8, v14
	s_and_saveexec_b64 s[0:1], s[14:15]
	s_cbranch_execz .LBB129_442
.LBB129_1193:
	ds_read_b64 v[32:33], v16 offset:13536
	ds_read_b64 v[34:35], v31 offset:12496
	s_waitcnt lgkmcnt(0)
	v_fma_f64 v[10:11], v[32:33], v[34:35], v[10:11]
	s_or_b64 exec, exec, s[0:1]
	v_cmp_gt_u32_e64 s[14:15], 4, v14
	s_and_saveexec_b64 s[20:21], s[14:15]
	s_cbranch_execnz .LBB129_443
	s_branch .LBB129_444
.LBB129_1194:
	ds_read_b64 v[36:37], v31 offset:15104
	ds_read_b64 v[38:39], v35 offset:232
	s_waitcnt lgkmcnt(0)
	v_fma_f64 v[10:11], v[36:37], v[38:39], v[10:11]
	s_or_b64 exec, exec, s[0:1]
	v_cmp_gt_u32_e64 s[20:21], 64, v14
	s_and_saveexec_b64 s[0:1], s[20:21]
	s_cbranch_execz .LBB129_540
.LBB129_1195:
	ds_read_b64 v[36:37], v31 offset:15616
	ds_read_b64 v[38:39], v35 offset:240
	s_waitcnt lgkmcnt(0)
	v_fma_f64 v[10:11], v[36:37], v[38:39], v[10:11]
	s_or_b64 exec, exec, s[0:1]
	v_cmp_gt_u32_e64 s[20:21], 32, v14
	s_and_saveexec_b64 s[0:1], s[20:21]
	s_cbranch_execnz .LBB129_541
	s_branch .LBB129_542
.LBB129_1196:
	v_lshlrev_b32_e32 v32, 3, v20
	v_sub_u32_e32 v32, v31, v32
	v_lshl_add_u32 v32, v19, 3, v32
	ds_read_b64 v[32:33], v32 offset:17184
	ds_read_b64 v[34:35], v31 offset:16648
	s_waitcnt lgkmcnt(0)
	v_fma_f64 v[10:11], v[32:33], v[34:35], v[10:11]
	s_or_b64 exec, exec, s[16:17]
	v_cmp_gt_u32_e64 s[12:13], 8, v14
	s_and_saveexec_b64 s[0:1], s[12:13]
	s_cbranch_execz .LBB129_694
.LBB129_1197:
	ds_read_b64 v[32:33], v16 offset:17696
	ds_read_b64 v[34:35], v31 offset:16656
	s_waitcnt lgkmcnt(0)
	v_fma_f64 v[10:11], v[32:33], v[34:35], v[10:11]
	s_or_b64 exec, exec, s[0:1]
	v_cmp_gt_u32_e64 s[12:13], 4, v14
	s_and_saveexec_b64 s[0:1], s[12:13]
	s_cbranch_execnz .LBB129_695
	s_branch .LBB129_696
.LBB129_1198:
	v_lshlrev_b32_e32 v32, 3, v25
	v_sub_u32_e32 v32, v31, v32
	v_lshl_add_u32 v32, v24, 3, v32
	ds_read_b64 v[32:33], v32 offset:17216
	ds_read_b64 v[34:35], v31 offset:16648
	s_waitcnt lgkmcnt(0)
	v_fma_f64 v[10:11], v[32:33], v[34:35], v[10:11]
	s_or_b64 exec, exec, s[16:17]
	v_cmp_gt_u32_e64 s[12:13], 48, v14
	s_and_saveexec_b64 s[0:1], s[12:13]
	s_cbranch_execz .LBB129_736
.LBB129_1199:
	v_lshlrev_b32_e32 v32, 3, v25
	v_sub_u32_e32 v32, v31, v32
	v_lshl_add_u32 v32, v24, 3, v32
	ds_read_b64 v[32:33], v32 offset:17728
	ds_read_b64 v[34:35], v31 offset:16656
	s_waitcnt lgkmcnt(0)
	v_fma_f64 v[10:11], v[32:33], v[34:35], v[10:11]
	s_or_b64 exec, exec, s[0:1]
	v_cmp_gt_u32_e64 s[12:13], 40, v14
	s_and_saveexec_b64 s[0:1], s[12:13]
	s_cbranch_execz .LBB129_737
.LBB129_1200:
	v_lshlrev_b32_e32 v32, 3, v25
	v_sub_u32_e32 v32, v31, v32
	v_lshl_add_u32 v32, v24, 3, v32
	ds_read_b64 v[32:33], v32 offset:18240
	ds_read_b64 v[34:35], v31 offset:16664
	s_waitcnt lgkmcnt(0)
	v_fma_f64 v[10:11], v[32:33], v[34:35], v[10:11]
	s_or_b64 exec, exec, s[0:1]
	v_cmp_gt_u32_e64 s[12:13], 32, v14
	s_and_saveexec_b64 s[0:1], s[12:13]
	s_cbranch_execz .LBB129_738
.LBB129_1201:
	ds_read_b64 v[32:33], v21 offset:18752
	ds_read_b64 v[34:35], v31 offset:16672
	s_waitcnt lgkmcnt(0)
	v_fma_f64 v[10:11], v[32:33], v[34:35], v[10:11]
	s_or_b64 exec, exec, s[0:1]
	v_cmp_gt_u32_e64 s[12:13], 24, v14
	s_and_saveexec_b64 s[0:1], s[12:13]
	s_cbranch_execz .LBB129_739
.LBB129_1202:
	v_lshlrev_b32_e32 v32, 3, v25
	v_sub_u32_e32 v32, v31, v32
	v_lshl_add_u32 v32, v24, 3, v32
	ds_read_b64 v[32:33], v32 offset:19264
	ds_read_b64 v[34:35], v31 offset:16680
	s_waitcnt lgkmcnt(0)
	v_fma_f64 v[10:11], v[32:33], v[34:35], v[10:11]
	s_or_b64 exec, exec, s[0:1]
	v_cmp_gt_u32_e64 s[12:13], 16, v14
	s_and_saveexec_b64 s[0:1], s[12:13]
	s_cbranch_execz .LBB129_740
.LBB129_1203:
	ds_read_b64 v[32:33], v21 offset:19776
	ds_read_b64 v[34:35], v31 offset:16688
	s_waitcnt lgkmcnt(0)
	v_fma_f64 v[10:11], v[32:33], v[34:35], v[10:11]
	s_or_b64 exec, exec, s[0:1]
	v_cmp_gt_u32_e64 s[12:13], 8, v14
	s_and_saveexec_b64 s[0:1], s[12:13]
	s_cbranch_execnz .LBB129_741
	s_branch .LBB129_742
.LBB129_1204:
	v_lshlrev_b32_e32 v32, 3, v20
	v_sub_u32_e32 v32, v31, v32
	v_lshl_add_u32 v32, v19, 3, v32
	ds_read_b64 v[32:33], v32 offset:21344
	ds_read_b64 v[34:35], v31 offset:20808
	s_waitcnt lgkmcnt(0)
	v_fma_f64 v[10:11], v[32:33], v[34:35], v[10:11]
	s_or_b64 exec, exec, s[16:17]
	v_cmp_gt_u32_e64 s[12:13], 8, v14
	s_and_saveexec_b64 s[0:1], s[12:13]
	s_cbranch_execz .LBB129_798
.LBB129_1205:
	ds_read_b64 v[32:33], v16 offset:21856
	ds_read_b64 v[34:35], v31 offset:20816
	s_waitcnt lgkmcnt(0)
	v_fma_f64 v[10:11], v[32:33], v[34:35], v[10:11]
	s_or_b64 exec, exec, s[0:1]
	v_cmp_gt_u32_e64 s[12:13], 4, v14
	s_and_saveexec_b64 s[0:1], s[12:13]
	s_cbranch_execnz .LBB129_799
	s_branch .LBB129_800
.LBB129_1206:
	v_lshlrev_b32_e32 v30, 3, v27
	v_lshl_add_u32 v30, v29, 3, v30
	ds_read_b64 v[32:33], v30 offset:22400
	ds_read_b64 v[34:35], v31 offset:16728
	s_waitcnt lgkmcnt(0)
	v_fma_f64 v[10:11], v[32:33], v[34:35], v[10:11]
	s_or_b64 exec, exec, s[0:1]
	v_cmp_gt_u32_e64 s[12:13], 64, v14
	s_and_saveexec_b64 s[0:1], s[12:13]
	s_cbranch_execz .LBB129_860
.LBB129_1207:
	ds_read_b64 v[32:33], v26 offset:22912
	ds_read_b64 v[34:35], v31 offset:16736
	s_waitcnt lgkmcnt(0)
	v_fma_f64 v[10:11], v[32:33], v[34:35], v[10:11]
	s_or_b64 exec, exec, s[0:1]
	v_cmp_gt_u32_e64 s[12:13], 48, v14
	s_and_saveexec_b64 s[0:1], s[12:13]
	s_cbranch_execz .LBB129_861
.LBB129_1208:
	v_lshlrev_b32_e32 v30, 3, v27
	v_lshl_add_u32 v29, v29, 3, v30
	ds_read_b64 v[29:30], v29 offset:23424
	ds_read_b64 v[32:33], v31 offset:16744
	s_waitcnt lgkmcnt(0)
	v_fma_f64 v[10:11], v[29:30], v[32:33], v[10:11]
	s_or_b64 exec, exec, s[0:1]
	v_cmp_gt_u32_e64 s[12:13], 32, v14
	s_and_saveexec_b64 s[0:1], s[12:13]
	s_cbranch_execz .LBB129_862
.LBB129_1209:
	ds_read_b64 v[29:30], v26 offset:23936
	ds_read_b64 v[31:32], v31 offset:16752
	s_waitcnt lgkmcnt(0)
	v_fma_f64 v[10:11], v[29:30], v[31:32], v[10:11]
	s_or_b64 exec, exec, s[0:1]
	v_cmp_gt_u32_e64 s[12:13], 16, v14
	s_and_saveexec_b64 s[0:1], s[12:13]
	s_cbranch_execnz .LBB129_863
	s_branch .LBB129_864
.LBB129_1210:
	v_lshlrev_b32_e32 v27, 3, v20
	v_sub_u32_e32 v27, v26, v27
	v_lshl_add_u32 v27, v19, 3, v27
	ds_read_b64 v[27:28], v27 offset:25504
	ds_read_b64 v[29:30], v26 offset:24968
	s_waitcnt lgkmcnt(0)
	v_fma_f64 v[10:11], v[27:28], v[29:30], v[10:11]
	s_or_b64 exec, exec, s[12:13]
	v_cmp_gt_u32_e64 s[10:11], 8, v14
	s_and_saveexec_b64 s[12:13], s[10:11]
	s_cbranch_execz .LBB129_952
.LBB129_1211:
	ds_read_b64 v[27:28], v16 offset:26016
	ds_read_b64 v[29:30], v26 offset:24976
	s_waitcnt lgkmcnt(0)
	v_fma_f64 v[10:11], v[27:28], v[29:30], v[10:11]
	s_or_b64 exec, exec, s[12:13]
	v_cmp_gt_u32_e64 s[10:11], 4, v14
	s_and_saveexec_b64 s[12:13], s[10:11]
	s_cbranch_execnz .LBB129_953
	s_branch .LBB129_954
.LBB129_1212:
	v_lshlrev_b32_e32 v27, 3, v25
	v_sub_u32_e32 v27, v26, v27
	v_lshl_add_u32 v27, v24, 3, v27
	ds_read_b64 v[27:28], v27 offset:25536
	ds_read_b64 v[29:30], v26 offset:24968
	s_waitcnt lgkmcnt(0)
	v_fma_f64 v[10:11], v[27:28], v[29:30], v[10:11]
	s_or_b64 exec, exec, s[12:13]
	v_cmp_gt_u32_e64 s[10:11], 48, v14
	s_and_saveexec_b64 s[12:13], s[10:11]
	s_cbranch_execz .LBB129_994
.LBB129_1213:
	v_lshlrev_b32_e32 v27, 3, v25
	v_sub_u32_e32 v27, v26, v27
	v_lshl_add_u32 v27, v24, 3, v27
	ds_read_b64 v[27:28], v27 offset:26048
	ds_read_b64 v[29:30], v26 offset:24976
	s_waitcnt lgkmcnt(0)
	v_fma_f64 v[10:11], v[27:28], v[29:30], v[10:11]
	s_or_b64 exec, exec, s[12:13]
	v_cmp_gt_u32_e64 s[10:11], 40, v14
	s_and_saveexec_b64 s[12:13], s[10:11]
	s_cbranch_execz .LBB129_995
.LBB129_1214:
	v_lshlrev_b32_e32 v27, 3, v25
	v_sub_u32_e32 v27, v26, v27
	v_lshl_add_u32 v27, v24, 3, v27
	ds_read_b64 v[27:28], v27 offset:26560
	ds_read_b64 v[29:30], v26 offset:24984
	s_waitcnt lgkmcnt(0)
	v_fma_f64 v[10:11], v[27:28], v[29:30], v[10:11]
	s_or_b64 exec, exec, s[12:13]
	v_cmp_gt_u32_e64 s[10:11], 32, v14
	s_and_saveexec_b64 s[12:13], s[10:11]
	s_cbranch_execz .LBB129_996
.LBB129_1215:
	ds_read_b64 v[27:28], v21 offset:27072
	ds_read_b64 v[29:30], v26 offset:24992
	s_waitcnt lgkmcnt(0)
	v_fma_f64 v[10:11], v[27:28], v[29:30], v[10:11]
	s_or_b64 exec, exec, s[12:13]
	v_cmp_gt_u32_e64 s[10:11], 24, v14
	s_and_saveexec_b64 s[12:13], s[10:11]
	s_cbranch_execz .LBB129_997
.LBB129_1216:
	v_lshlrev_b32_e32 v25, 3, v25
	v_sub_u32_e32 v25, v26, v25
	v_lshl_add_u32 v24, v24, 3, v25
	ds_read_b64 v[24:25], v24 offset:27584
	ds_read_b64 v[27:28], v26 offset:25000
	s_waitcnt lgkmcnt(0)
	v_fma_f64 v[10:11], v[24:25], v[27:28], v[10:11]
	s_or_b64 exec, exec, s[12:13]
	v_cmp_gt_u32_e64 s[10:11], 16, v14
	s_and_saveexec_b64 s[12:13], s[10:11]
	s_cbranch_execz .LBB129_998
.LBB129_1217:
	ds_read_b64 v[24:25], v21 offset:28096
	ds_read_b64 v[26:27], v26 offset:25008
	s_waitcnt lgkmcnt(0)
	v_fma_f64 v[10:11], v[24:25], v[26:27], v[10:11]
	s_or_b64 exec, exec, s[12:13]
	v_cmp_gt_u32_e64 s[10:11], 8, v14
	s_and_saveexec_b64 s[12:13], s[10:11]
	s_cbranch_execnz .LBB129_999
	s_branch .LBB129_1000
.LBB129_1218:
	v_lshlrev_b32_e32 v20, 3, v20
	v_sub_u32_e32 v20, v21, v20
	v_lshl_add_u32 v19, v19, 3, v20
	ds_read_b64 v[19:20], v19 offset:29664
	ds_read_b64 v[22:23], v21 offset:29128
	s_waitcnt lgkmcnt(0)
	v_fma_f64 v[10:11], v[19:20], v[22:23], v[10:11]
	s_or_b64 exec, exec, s[10:11]
	v_cmp_gt_u32_e64 s[8:9], 8, v14
	s_and_saveexec_b64 s[10:11], s[8:9]
	s_cbranch_execz .LBB129_1056
.LBB129_1219:
	ds_read_b64 v[19:20], v16 offset:30176
	ds_read_b64 v[21:22], v21 offset:29136
	s_waitcnt lgkmcnt(0)
	v_fma_f64 v[10:11], v[19:20], v[21:22], v[10:11]
	s_or_b64 exec, exec, s[10:11]
	v_cmp_gt_u32_e64 s[8:9], 4, v14
	s_and_saveexec_b64 s[10:11], s[8:9]
	s_cbranch_execnz .LBB129_1057
	s_branch .LBB129_1058
	.section	.rodata,"a",@progbits
	.p2align	6, 0x0
	.amdhsa_kernel _ZL19rocblas_trsv_deviceILi64ELi16ELb1ELb1ELb1ELb1EdPKdPKS1_PKPdEviT7_lllT6_T8_lllPii
		.amdhsa_group_segment_fixed_size 41480
		.amdhsa_private_segment_fixed_size 0
		.amdhsa_kernarg_size 352
		.amdhsa_user_sgpr_count 6
		.amdhsa_user_sgpr_private_segment_buffer 1
		.amdhsa_user_sgpr_dispatch_ptr 0
		.amdhsa_user_sgpr_queue_ptr 0
		.amdhsa_user_sgpr_kernarg_segment_ptr 1
		.amdhsa_user_sgpr_dispatch_id 0
		.amdhsa_user_sgpr_flat_scratch_init 0
		.amdhsa_user_sgpr_private_segment_size 0
		.amdhsa_uses_dynamic_stack 0
		.amdhsa_system_sgpr_private_segment_wavefront_offset 0
		.amdhsa_system_sgpr_workgroup_id_x 1
		.amdhsa_system_sgpr_workgroup_id_y 0
		.amdhsa_system_sgpr_workgroup_id_z 1
		.amdhsa_system_sgpr_workgroup_info 0
		.amdhsa_system_vgpr_workitem_id 1
		.amdhsa_next_free_vgpr 49
		.amdhsa_next_free_sgpr 98
		.amdhsa_reserve_vcc 1
		.amdhsa_reserve_flat_scratch 0
		.amdhsa_float_round_mode_32 0
		.amdhsa_float_round_mode_16_64 0
		.amdhsa_float_denorm_mode_32 3
		.amdhsa_float_denorm_mode_16_64 3
		.amdhsa_dx10_clamp 1
		.amdhsa_ieee_mode 1
		.amdhsa_fp16_overflow 0
		.amdhsa_exception_fp_ieee_invalid_op 0
		.amdhsa_exception_fp_denorm_src 0
		.amdhsa_exception_fp_ieee_div_zero 0
		.amdhsa_exception_fp_ieee_overflow 0
		.amdhsa_exception_fp_ieee_underflow 0
		.amdhsa_exception_fp_ieee_inexact 0
		.amdhsa_exception_int_div_zero 0
	.end_amdhsa_kernel
	.section	.text._ZL19rocblas_trsv_deviceILi64ELi16ELb1ELb1ELb1ELb1EdPKdPKS1_PKPdEviT7_lllT6_T8_lllPii,"axG",@progbits,_ZL19rocblas_trsv_deviceILi64ELi16ELb1ELb1ELb1ELb1EdPKdPKS1_PKPdEviT7_lllT6_T8_lllPii,comdat
.Lfunc_end129:
	.size	_ZL19rocblas_trsv_deviceILi64ELi16ELb1ELb1ELb1ELb1EdPKdPKS1_PKPdEviT7_lllT6_T8_lllPii, .Lfunc_end129-_ZL19rocblas_trsv_deviceILi64ELi16ELb1ELb1ELb1ELb1EdPKdPKS1_PKPdEviT7_lllT6_T8_lllPii
                                        ; -- End function
	.set _ZL19rocblas_trsv_deviceILi64ELi16ELb1ELb1ELb1ELb1EdPKdPKS1_PKPdEviT7_lllT6_T8_lllPii.num_vgpr, 41
	.set _ZL19rocblas_trsv_deviceILi64ELi16ELb1ELb1ELb1ELb1EdPKdPKS1_PKPdEviT7_lllT6_T8_lllPii.num_agpr, 0
	.set _ZL19rocblas_trsv_deviceILi64ELi16ELb1ELb1ELb1ELb1EdPKdPKS1_PKPdEviT7_lllT6_T8_lllPii.numbered_sgpr, 96
	.set _ZL19rocblas_trsv_deviceILi64ELi16ELb1ELb1ELb1ELb1EdPKdPKS1_PKPdEviT7_lllT6_T8_lllPii.num_named_barrier, 0
	.set _ZL19rocblas_trsv_deviceILi64ELi16ELb1ELb1ELb1ELb1EdPKdPKS1_PKPdEviT7_lllT6_T8_lllPii.private_seg_size, 0
	.set _ZL19rocblas_trsv_deviceILi64ELi16ELb1ELb1ELb1ELb1EdPKdPKS1_PKPdEviT7_lllT6_T8_lllPii.uses_vcc, 1
	.set _ZL19rocblas_trsv_deviceILi64ELi16ELb1ELb1ELb1ELb1EdPKdPKS1_PKPdEviT7_lllT6_T8_lllPii.uses_flat_scratch, 0
	.set _ZL19rocblas_trsv_deviceILi64ELi16ELb1ELb1ELb1ELb1EdPKdPKS1_PKPdEviT7_lllT6_T8_lllPii.has_dyn_sized_stack, 0
	.set _ZL19rocblas_trsv_deviceILi64ELi16ELb1ELb1ELb1ELb1EdPKdPKS1_PKPdEviT7_lllT6_T8_lllPii.has_recursion, 0
	.set _ZL19rocblas_trsv_deviceILi64ELi16ELb1ELb1ELb1ELb1EdPKdPKS1_PKPdEviT7_lllT6_T8_lllPii.has_indirect_call, 0
	.section	.AMDGPU.csdata,"",@progbits
; Kernel info:
; codeLenInByte = 35284
; TotalNumSgprs: 100
; NumVgprs: 41
; ScratchSize: 0
; MemoryBound: 0
; FloatMode: 240
; IeeeMode: 1
; LDSByteSize: 41480 bytes/workgroup (compile time only)
; SGPRBlocks: 12
; VGPRBlocks: 12
; NumSGPRsForWavesPerEU: 102
; NumVGPRsForWavesPerEU: 49
; Occupancy: 4
; WaveLimiterHint : 1
; COMPUTE_PGM_RSRC2:SCRATCH_EN: 0
; COMPUTE_PGM_RSRC2:USER_SGPR: 6
; COMPUTE_PGM_RSRC2:TRAP_HANDLER: 0
; COMPUTE_PGM_RSRC2:TGID_X_EN: 1
; COMPUTE_PGM_RSRC2:TGID_Y_EN: 0
; COMPUTE_PGM_RSRC2:TGID_Z_EN: 1
; COMPUTE_PGM_RSRC2:TIDIG_COMP_CNT: 1
	.section	.text._ZL19rocblas_trsv_deviceILi64ELi16ELb1ELb0ELb0ELb0EdPKdPKS1_PKPdEviT7_lllT6_T8_lllPii,"axG",@progbits,_ZL19rocblas_trsv_deviceILi64ELi16ELb1ELb0ELb0ELb0EdPKdPKS1_PKPdEviT7_lllT6_T8_lllPii,comdat
	.globl	_ZL19rocblas_trsv_deviceILi64ELi16ELb1ELb0ELb0ELb0EdPKdPKS1_PKPdEviT7_lllT6_T8_lllPii ; -- Begin function _ZL19rocblas_trsv_deviceILi64ELi16ELb1ELb0ELb0ELb0EdPKdPKS1_PKPdEviT7_lllT6_T8_lllPii
	.p2align	8
	.type	_ZL19rocblas_trsv_deviceILi64ELi16ELb1ELb0ELb0ELb0EdPKdPKS1_PKPdEviT7_lllT6_T8_lllPii,@function
_ZL19rocblas_trsv_deviceILi64ELi16ELb1ELb0ELb0ELb0EdPKdPKS1_PKPdEviT7_lllT6_T8_lllPii: ; @_ZL19rocblas_trsv_deviceILi64ELi16ELb1ELb0ELb0ELb0EdPKdPKS1_PKPdEviT7_lllT6_T8_lllPii
; %bb.0:
	s_load_dwordx4 s[0:3], s[4:5], 0x8
	s_mov_b32 s24, s7
	s_mov_b32 s25, 0
	s_lshl_b64 s[8:9], s[24:25], 3
	v_mov_b32_e32 v2, v1
	s_waitcnt lgkmcnt(0)
	s_add_u32 s0, s0, s8
	s_addc_u32 s1, s1, s9
	s_load_dwordx2 s[10:11], s[0:1], 0x0
	s_load_dword s7, s[4:5], 0x0
	s_load_dwordx8 s[16:23], s[4:5], 0x28
	s_load_dwordx2 s[26:27], s[4:5], 0x18
	s_lshl_b64 s[0:1], s[2:3], 3
	s_waitcnt lgkmcnt(0)
	s_add_u32 s87, s10, s0
	s_addc_u32 s88, s11, s1
	s_add_u32 s0, s18, s8
	s_addc_u32 s1, s19, s9
	s_load_dwordx2 s[30:31], s[0:1], 0x0
	s_load_dwordx2 s[28:29], s[16:17], 0x0
	s_load_dword s89, s[4:5], 0x6c
	s_cmp_eq_u32 s6, 0
	s_cbranch_scc1 .LBB130_10
; %bb.1:
	s_lshl_b32 s33, s6, 6
	v_add_u32_e32 v1, s33, v2
	v_subrev_u32_e32 v1, 64, v1
	v_ashrrev_i32_e32 v3, 31, v1
	v_mul_lo_u32 v7, s26, v3
	v_mul_lo_u32 v8, s27, v1
	v_mad_u64_u32 v[3:4], s[0:1], s26, v1, 0
	v_add_u32_e32 v5, s33, v0
	v_ashrrev_i32_e32 v6, 31, v5
	v_add3_u32 v4, v4, v7, v8
	v_lshlrev_b64 v[3:4], 3, v[3:4]
	v_mov_b32_e32 v7, s88
	v_add_co_u32_e64 v8, s[0:1], s87, v3
	v_addc_co_u32_e64 v7, s[0:1], v7, v4, s[0:1]
	v_lshlrev_b64 v[3:4], 3, v[5:6]
	v_cmp_gt_i32_e32 vcc, s7, v5
	v_add_co_u32_e64 v11, s[0:1], v8, v3
	v_addc_co_u32_e64 v12, s[0:1], v7, v4, s[0:1]
	v_cmp_gt_i32_e64 s[0:1], s7, v1
	v_mov_b32_e32 v5, 0
	v_mov_b32_e32 v3, 0
	;; [unrolled: 1-line block ×4, first 2 shown]
	s_and_b64 s[2:3], vcc, s[0:1]
	s_waitcnt lgkmcnt(0)
	s_barrier
	s_and_saveexec_b64 s[0:1], s[2:3]
	s_cbranch_execz .LBB130_3
; %bb.2:
	flat_load_dwordx2 v[3:4], v[11:12]
.LBB130_3:
	s_or_b64 exec, exec, s[0:1]
	v_add_u32_e32 v7, 16, v1
	v_cmp_gt_i32_e64 s[0:1], s7, v7
	s_and_b64 s[0:1], vcc, s[0:1]
	s_waitcnt vmcnt(0) lgkmcnt(0)
	s_barrier
	s_and_saveexec_b64 s[2:3], s[0:1]
	s_cbranch_execz .LBB130_5
; %bb.4:
	s_lshl_b64 s[0:1], s[26:27], 7
	v_mov_b32_e32 v6, s1
	v_add_co_u32_e64 v5, s[0:1], s0, v11
	v_addc_co_u32_e64 v6, s[0:1], v12, v6, s[0:1]
	flat_load_dwordx2 v[5:6], v[5:6]
.LBB130_5:
	s_or_b64 exec, exec, s[2:3]
	v_add_u32_e32 v7, 32, v1
	v_cmp_gt_i32_e64 s[0:1], s7, v7
	v_mov_b32_e32 v7, 0
	v_mov_b32_e32 v9, 0
	;; [unrolled: 1-line block ×4, first 2 shown]
	s_and_b64 s[0:1], vcc, s[0:1]
	s_waitcnt vmcnt(0) lgkmcnt(0)
	s_barrier
	s_and_saveexec_b64 s[2:3], s[0:1]
	s_cbranch_execz .LBB130_7
; %bb.6:
	s_lshl_b64 s[0:1], s[26:27], 8
	v_mov_b32_e32 v10, s1
	v_add_co_u32_e64 v9, s[0:1], s0, v11
	v_addc_co_u32_e64 v10, s[0:1], v12, v10, s[0:1]
	flat_load_dwordx2 v[9:10], v[9:10]
.LBB130_7:
	s_or_b64 exec, exec, s[2:3]
	v_add_u32_e32 v1, 48, v1
	v_cmp_gt_i32_e64 s[0:1], s7, v1
	s_and_b64 s[2:3], vcc, s[0:1]
	s_waitcnt vmcnt(0) lgkmcnt(0)
	s_barrier
	s_and_saveexec_b64 s[0:1], s[2:3]
	s_cbranch_execz .LBB130_9
; %bb.8:
	v_mov_b32_e32 v1, 0x180
	v_mad_u64_u32 v[7:8], s[2:3], s26, v1, v[11:12]
	s_mul_i32 s2, s27, 0x180
	v_add_u32_e32 v8, s2, v8
	flat_load_dwordx2 v[7:8], v[7:8]
.LBB130_9:
	s_or_b64 exec, exec, s[0:1]
	s_branch .LBB130_11
.LBB130_10:
                                        ; implicit-def: $vgpr7_vgpr8
                                        ; implicit-def: $vgpr9_vgpr10
                                        ; implicit-def: $vgpr5_vgpr6
                                        ; implicit-def: $vgpr3_vgpr4
	s_mov_b32 s33, s25
.LBB130_11:
	s_ashr_i32 s0, s7, 31
	s_lshr_b32 s0, s0, 26
	s_add_i32 s0, s7, s0
	s_andn2_b32 s0, s0, 63
	s_sub_i32 s86, s7, s0
	s_add_i32 s0, s7, -1
	s_ashr_i32 s1, s0, 31
	s_lshr_b32 s1, s1, 26
	s_add_i32 s0, s0, s1
	s_ashr_i32 s0, s0, 6
	s_cmp_eq_u32 s0, s6
	s_cselect_b64 s[0:1], -1, 0
	s_cmp_lg_u32 s86, 0
	s_cselect_b64 s[2:3], -1, 0
	s_and_b64 s[18:19], s[2:3], s[0:1]
	s_ashr_i32 s52, s33, 31
	s_add_u32 s8, s26, 1
	v_mov_b32_e32 v1, 0
	v_mov_b32_e32 v11, s33
	v_mad_u64_u32 v[11:12], s[0:1], s8, v11, v[0:1]
	s_addc_u32 s9, s27, 0
	s_mul_i32 s0, s8, s52
	s_mul_i32 s9, s9, s33
	s_add_i32 s0, s0, s9
	s_mov_b64 s[2:3], -1
	v_add_u32_e32 v12, s0, v12
	s_and_b64 vcc, exec, s[18:19]
	v_cmp_le_u32_e64 s[0:1], v0, v2
	s_cbranch_vccnz .LBB130_33
; %bb.12:
	v_mad_u64_u32 v[15:16], s[2:3], s26, v2, v[11:12]
	v_mov_b32_e32 v1, v16
	v_mad_u64_u32 v[13:14], s[2:3], s27, v2, v[1:2]
	s_mov_b64 s[2:3], 0
	v_mov_b32_e32 v16, v13
                                        ; implicit-def: $vgpr13_vgpr14
	s_and_saveexec_b64 s[8:9], s[0:1]
	s_xor_b64 s[0:1], exec, s[8:9]
	s_cbranch_execnz .LBB130_989
; %bb.13:
	s_andn2_saveexec_b64 s[0:1], s[0:1]
	s_cbranch_execnz .LBB130_994
.LBB130_14:
	s_or_b64 exec, exec, s[0:1]
	s_and_saveexec_b64 s[0:1], s[2:3]
.LBB130_15:
	v_lshlrev_b32_e32 v1, 3, v0
	v_lshl_add_u32 v1, v2, 9, v1
	ds_write_b64 v1, v[13:14]
.LBB130_16:
	s_or_b64 exec, exec, s[0:1]
	v_add_u32_e32 v1, 16, v2
	v_mad_u64_u32 v[15:16], s[0:1], s26, v1, v[11:12]
	v_cmp_le_u32_e32 vcc, v0, v1
	s_mov_b64 s[2:3], 0
	v_mov_b32_e32 v13, v16
	v_mad_u64_u32 v[13:14], s[0:1], s27, v1, v[13:14]
	v_mov_b32_e32 v16, v13
                                        ; implicit-def: $vgpr13_vgpr14
	s_and_saveexec_b64 s[0:1], vcc
	s_xor_b64 s[0:1], exec, s[0:1]
	s_cbranch_execnz .LBB130_995
; %bb.17:
	s_andn2_saveexec_b64 s[0:1], s[0:1]
	s_cbranch_execnz .LBB130_1000
.LBB130_18:
	s_or_b64 exec, exec, s[0:1]
	s_and_saveexec_b64 s[0:1], s[2:3]
.LBB130_19:
	v_lshlrev_b32_e32 v15, 3, v0
	v_lshl_add_u32 v1, v1, 9, v15
	ds_write_b64 v1, v[13:14]
.LBB130_20:
	s_or_b64 exec, exec, s[0:1]
	v_add_u32_e32 v1, 32, v2
	v_mad_u64_u32 v[15:16], s[0:1], s26, v1, v[11:12]
	v_cmp_le_u32_e32 vcc, v0, v1
	s_mov_b64 s[2:3], 0
	v_mov_b32_e32 v13, v16
	v_mad_u64_u32 v[13:14], s[0:1], s27, v1, v[13:14]
	v_mov_b32_e32 v16, v13
                                        ; implicit-def: $vgpr13_vgpr14
	s_and_saveexec_b64 s[0:1], vcc
	s_xor_b64 s[0:1], exec, s[0:1]
	s_cbranch_execnz .LBB130_1001
; %bb.21:
	s_andn2_saveexec_b64 s[0:1], s[0:1]
	s_cbranch_execnz .LBB130_1006
.LBB130_22:
	s_or_b64 exec, exec, s[0:1]
	s_and_saveexec_b64 s[0:1], s[2:3]
.LBB130_23:
	v_lshlrev_b32_e32 v15, 3, v0
	v_lshl_add_u32 v1, v1, 9, v15
	ds_write_b64 v1, v[13:14]
.LBB130_24:
	s_or_b64 exec, exec, s[0:1]
	v_add_u32_e32 v1, 48, v2
	v_mad_u64_u32 v[15:16], s[0:1], s26, v1, v[11:12]
	v_cmp_le_u32_e32 vcc, v0, v1
	s_mov_b64 s[8:9], 0
	v_mov_b32_e32 v13, v16
	v_mad_u64_u32 v[13:14], s[0:1], s27, v1, v[13:14]
	v_mov_b32_e32 v16, v13
                                        ; implicit-def: $vgpr13_vgpr14
	s_and_saveexec_b64 s[0:1], vcc
	s_xor_b64 s[0:1], exec, s[0:1]
	s_cbranch_execz .LBB130_30
; %bb.25:
	v_cmp_ne_u32_e32 vcc, v0, v1
	s_mov_b64 s[2:3], 0
	s_and_saveexec_b64 s[8:9], vcc
	s_xor_b64 s[8:9], exec, s[8:9]
; %bb.26:
	v_or_b32_e32 v13, v1, v0
	v_cmp_gt_u32_e32 vcc, 64, v13
	s_and_b64 s[2:3], vcc, exec
                                        ; implicit-def: $vgpr15_vgpr16
; %bb.27:
	s_or_saveexec_b64 s[8:9], s[8:9]
	v_mov_b32_e32 v13, 0
	v_mov_b32_e32 v14, 0
	s_xor_b64 exec, exec, s[8:9]
	s_cbranch_execz .LBB130_29
; %bb.28:
	v_lshlrev_b64 v[13:14], 3, v[15:16]
	v_mov_b32_e32 v1, s88
	v_add_co_u32_e32 v13, vcc, s87, v13
	v_addc_co_u32_e32 v14, vcc, v1, v14, vcc
	flat_load_dwordx2 v[13:14], v[13:14]
	s_or_b64 s[2:3], s[2:3], exec
	v_mov_b32_e32 v1, v0
	s_waitcnt vmcnt(0) lgkmcnt(0)
	v_div_scale_f64 v[15:16], s[10:11], v[13:14], v[13:14], 1.0
	v_div_scale_f64 v[21:22], vcc, 1.0, v[13:14], 1.0
	v_rcp_f64_e32 v[17:18], v[15:16]
	v_fma_f64 v[19:20], -v[15:16], v[17:18], 1.0
	v_fma_f64 v[17:18], v[17:18], v[19:20], v[17:18]
	v_fma_f64 v[19:20], -v[15:16], v[17:18], 1.0
	v_fma_f64 v[17:18], v[17:18], v[19:20], v[17:18]
	v_mul_f64 v[19:20], v[21:22], v[17:18]
	v_fma_f64 v[15:16], -v[15:16], v[19:20], v[21:22]
	v_div_fmas_f64 v[15:16], v[15:16], v[17:18], v[19:20]
	v_div_fixup_f64 v[13:14], v[15:16], v[13:14], 1.0
.LBB130_29:
	s_or_b64 exec, exec, s[8:9]
	s_and_b64 s[8:9], s[2:3], exec
                                        ; implicit-def: $vgpr15_vgpr16
.LBB130_30:
	s_andn2_saveexec_b64 s[0:1], s[0:1]
	s_cbranch_execz .LBB130_32
; %bb.31:
	v_lshlrev_b64 v[13:14], 3, v[15:16]
	v_mov_b32_e32 v15, s88
	v_add_co_u32_e32 v13, vcc, s87, v13
	v_addc_co_u32_e32 v14, vcc, v15, v14, vcc
	flat_load_dwordx2 v[13:14], v[13:14]
	s_or_b64 s[8:9], s[8:9], exec
	s_waitcnt vmcnt(0) lgkmcnt(0)
	v_xor_b32_e32 v14, 0x80000000, v14
.LBB130_32:
	s_or_b64 exec, exec, s[0:1]
	s_branch .LBB130_55
.LBB130_33:
	s_mov_b64 s[8:9], 0
                                        ; implicit-def: $vgpr13_vgpr14
                                        ; implicit-def: $vgpr1
	s_and_b64 vcc, exec, s[2:3]
	s_cbranch_vccz .LBB130_55
; %bb.34:
	v_mad_u64_u32 v[13:14], s[0:1], s26, v2, v[11:12]
	v_cmp_le_u32_e32 vcc, v0, v2
	v_cmp_gt_i32_e64 s[0:1], s86, v0
	v_mov_b32_e32 v1, v14
	v_mad_u64_u32 v[14:15], s[2:3], s27, v2, v[1:2]
	v_max_i32_e32 v1, v2, v0
	v_cmp_le_i32_e64 s[2:3], s86, v1
	s_or_b64 s[2:3], s[2:3], vcc
	s_mov_b64 s[10:11], 0
                                        ; implicit-def: $vgpr15_vgpr16
	s_and_saveexec_b64 s[12:13], s[2:3]
	s_xor_b64 s[2:3], exec, s[12:13]
	s_cbranch_execnz .LBB130_1007
; %bb.35:
	s_andn2_saveexec_b64 s[2:3], s[2:3]
	s_cbranch_execnz .LBB130_1012
.LBB130_36:
	s_or_b64 exec, exec, s[2:3]
	s_and_saveexec_b64 s[2:3], s[10:11]
.LBB130_37:
	v_lshlrev_b32_e32 v1, 3, v0
	v_lshl_add_u32 v1, v2, 9, v1
	ds_write_b64 v1, v[15:16]
.LBB130_38:
	s_or_b64 exec, exec, s[2:3]
	v_add_u32_e32 v1, 16, v2
	v_mad_u64_u32 v[13:14], s[2:3], s26, v1, v[11:12]
	v_cmp_gt_u32_e32 vcc, v0, v1
	s_mov_b64 s[10:11], 0
	v_mad_u64_u32 v[14:15], s[2:3], s27, v1, v[14:15]
	v_cmp_gt_i32_e64 s[2:3], s86, v1
	s_and_b64 s[2:3], vcc, s[2:3]
	s_and_b64 s[2:3], s[0:1], s[2:3]
	s_xor_b64 s[2:3], s[2:3], -1
                                        ; implicit-def: $vgpr15_vgpr16
	s_and_saveexec_b64 s[12:13], s[2:3]
	s_xor_b64 s[2:3], exec, s[12:13]
	s_cbranch_execnz .LBB130_1013
; %bb.39:
	s_andn2_saveexec_b64 s[2:3], s[2:3]
	s_cbranch_execnz .LBB130_1018
.LBB130_40:
	s_or_b64 exec, exec, s[2:3]
	s_and_saveexec_b64 s[2:3], s[10:11]
.LBB130_41:
	v_lshlrev_b32_e32 v13, 3, v0
	v_lshl_add_u32 v1, v1, 9, v13
	ds_write_b64 v1, v[15:16]
.LBB130_42:
	s_or_b64 exec, exec, s[2:3]
	v_add_u32_e32 v1, 32, v2
	v_mad_u64_u32 v[13:14], s[2:3], s26, v1, v[11:12]
	v_cmp_gt_u32_e32 vcc, v0, v1
	s_mov_b64 s[10:11], 0
	v_mad_u64_u32 v[14:15], s[2:3], s27, v1, v[14:15]
	v_cmp_gt_i32_e64 s[2:3], s86, v1
	s_and_b64 s[2:3], vcc, s[2:3]
	s_and_b64 s[2:3], s[0:1], s[2:3]
	s_xor_b64 s[2:3], s[2:3], -1
                                        ; implicit-def: $vgpr15_vgpr16
	s_and_saveexec_b64 s[12:13], s[2:3]
	s_xor_b64 s[2:3], exec, s[12:13]
	s_cbranch_execnz .LBB130_1019
; %bb.43:
	s_andn2_saveexec_b64 s[2:3], s[2:3]
	s_cbranch_execnz .LBB130_1024
.LBB130_44:
	s_or_b64 exec, exec, s[2:3]
	s_and_saveexec_b64 s[2:3], s[10:11]
.LBB130_45:
	v_lshlrev_b32_e32 v13, 3, v0
	v_lshl_add_u32 v1, v1, 9, v13
	ds_write_b64 v1, v[15:16]
.LBB130_46:
	s_or_b64 exec, exec, s[2:3]
	v_add_u32_e32 v1, 48, v2
	v_mad_u64_u32 v[11:12], s[2:3], s26, v1, v[11:12]
	v_cmp_gt_u32_e32 vcc, v0, v1
	v_mad_u64_u32 v[12:13], s[2:3], s27, v1, v[12:13]
	v_cmp_gt_i32_e64 s[2:3], s86, v1
	s_and_b64 s[2:3], vcc, s[2:3]
	s_and_b64 s[2:3], s[0:1], s[2:3]
	s_xor_b64 s[2:3], s[2:3], -1
                                        ; implicit-def: $vgpr13_vgpr14
	s_and_saveexec_b64 s[10:11], s[2:3]
	s_xor_b64 s[2:3], exec, s[10:11]
	s_cbranch_execz .LBB130_52
; %bb.47:
	v_cmp_ne_u32_e32 vcc, v0, v1
	s_xor_b64 s[0:1], s[0:1], -1
	s_or_b64 s[10:11], s[0:1], vcc
	s_mov_b64 s[0:1], s[8:9]
	s_and_saveexec_b64 s[12:13], s[10:11]
	s_xor_b64 s[10:11], exec, s[12:13]
; %bb.48:
	v_or_b32_e32 v11, v1, v0
	v_cmp_gt_u32_e32 vcc, 64, v11
	s_andn2_b64 s[0:1], s[8:9], exec
	s_and_b64 s[12:13], vcc, exec
	s_or_b64 s[0:1], s[0:1], s[12:13]
                                        ; implicit-def: $vgpr11_vgpr12
; %bb.49:
	s_or_saveexec_b64 s[10:11], s[10:11]
	v_mov_b32_e32 v13, 0
	v_mov_b32_e32 v14, 0
	s_xor_b64 exec, exec, s[10:11]
	s_cbranch_execz .LBB130_51
; %bb.50:
	v_lshlrev_b64 v[11:12], 3, v[11:12]
	v_mov_b32_e32 v1, s88
	v_add_co_u32_e32 v11, vcc, s87, v11
	v_addc_co_u32_e32 v12, vcc, v1, v12, vcc
	flat_load_dwordx2 v[11:12], v[11:12]
	s_or_b64 s[0:1], s[0:1], exec
	v_mov_b32_e32 v1, v0
	s_waitcnt vmcnt(0) lgkmcnt(0)
	v_div_scale_f64 v[13:14], s[12:13], v[11:12], v[11:12], 1.0
	v_div_scale_f64 v[19:20], vcc, 1.0, v[11:12], 1.0
	v_rcp_f64_e32 v[15:16], v[13:14]
	v_fma_f64 v[17:18], -v[13:14], v[15:16], 1.0
	v_fma_f64 v[15:16], v[15:16], v[17:18], v[15:16]
	v_fma_f64 v[17:18], -v[13:14], v[15:16], 1.0
	v_fma_f64 v[15:16], v[15:16], v[17:18], v[15:16]
	v_mul_f64 v[17:18], v[19:20], v[15:16]
	v_fma_f64 v[13:14], -v[13:14], v[17:18], v[19:20]
	v_div_fmas_f64 v[13:14], v[13:14], v[15:16], v[17:18]
	v_div_fixup_f64 v[13:14], v[13:14], v[11:12], 1.0
.LBB130_51:
	s_or_b64 exec, exec, s[10:11]
	s_andn2_b64 s[8:9], s[8:9], exec
	s_and_b64 s[0:1], s[0:1], exec
	s_or_b64 s[8:9], s[8:9], s[0:1]
                                        ; implicit-def: $vgpr11_vgpr12
.LBB130_52:
	s_andn2_saveexec_b64 s[0:1], s[2:3]
	s_cbranch_execz .LBB130_54
; %bb.53:
	v_lshlrev_b64 v[11:12], 3, v[11:12]
	v_mov_b32_e32 v13, s88
	v_add_co_u32_e32 v11, vcc, s87, v11
	v_addc_co_u32_e32 v12, vcc, v13, v12, vcc
	flat_load_dwordx2 v[13:14], v[11:12]
	s_or_b64 s[8:9], s[8:9], exec
	s_waitcnt vmcnt(0) lgkmcnt(0)
	v_xor_b32_e32 v14, 0x80000000, v14
.LBB130_54:
	s_or_b64 exec, exec, s[0:1]
.LBB130_55:
	s_and_saveexec_b64 s[0:1], s[8:9]
; %bb.56:
	v_lshlrev_b32_e32 v11, 3, v0
	v_lshl_add_u32 v1, v1, 9, v11
	ds_write_b64 v1, v[13:14]
; %bb.57:
	s_or_b64 exec, exec, s[0:1]
	s_cmp_lt_i32 s6, 5
	s_cselect_b64 s[0:1], -1, 0
	s_or_b64 s[34:35], s[0:1], s[18:19]
	s_and_b64 vcc, exec, s[34:35]
	s_waitcnt vmcnt(0) lgkmcnt(0)
	s_barrier
	s_cbranch_vccnz .LBB130_925
; %bb.58:
	v_or_b32_e32 v1, v0, v2
	v_cmp_eq_u32_e32 vcc, 0, v1
	s_and_saveexec_b64 s[0:1], vcc
	s_cbranch_execz .LBB130_60
; %bb.59:
	v_mov_b32_e32 v1, 0
	ds_read_b128 v[11:14], v1
	ds_read_b64 v[15:16], v1 offset:520
	s_waitcnt lgkmcnt(0)
	v_mul_f64 v[11:12], v[11:12], v[15:16]
	v_mul_f64 v[11:12], v[13:14], v[11:12]
	ds_write_b64 v1, v[11:12] offset:8
.LBB130_60:
	s_or_b64 exec, exec, s[0:1]
	v_lshl_add_u32 v14, v2, 6, v0
	v_and_b32_e32 v16, 1, v0
	v_lshrrev_b32_e32 v15, 1, v14
	v_lshlrev_b32_e32 v1, 3, v16
	v_mov_b32_e32 v11, 0
	v_cmp_lt_u32_e64 s[2:3], 3, v14
	v_cmp_gt_u32_e64 s[0:1], 4, v14
	v_mov_b32_e32 v12, 0
	v_lshl_or_b32 v1, v15, 9, v1
	s_waitcnt lgkmcnt(0)
	s_barrier
	s_and_saveexec_b64 s[10:11], s[0:1]
	s_cbranch_execz .LBB130_64
; %bb.61:
	v_mul_u32_u24_e32 v13, 0x208, v15
	ds_read_b64 v[11:12], v1 offset:16
	ds_read_b64 v[17:18], v13
	v_cmp_gt_u32_e64 s[8:9], 2, v14
	s_waitcnt lgkmcnt(0)
	v_fma_f64 v[11:12], v[11:12], v[17:18], 0
	s_and_saveexec_b64 s[12:13], s[8:9]
	s_cbranch_execz .LBB130_63
; %bb.62:
	v_lshlrev_b32_e32 v13, 3, v0
	v_mov_b32_e32 v19, 0
	ds_read_b64 v[17:18], v13 offset:528
	ds_read_b64 v[19:20], v19 offset:8
	s_waitcnt lgkmcnt(0)
	v_fma_f64 v[11:12], v[17:18], v[19:20], v[11:12]
.LBB130_63:
	s_or_b64 exec, exec, s[12:13]
	v_xor_b32_e32 v12, 0x80000000, v12
.LBB130_64:
                                        ; implicit-def: $vgpr41 : SGPR spill to VGPR lane
	v_writelane_b32 v41, s30, 0
	v_writelane_b32 v41, s31, 1
	;; [unrolled: 1-line block ×4, first 2 shown]
	s_or_b64 exec, exec, s[10:11]
	v_mov_b32_e32 v13, 0x8000
	v_cmp_eq_u32_e64 s[8:9], 0, v16
	s_xor_b64 s[10:11], s[2:3], -1
	v_lshl_add_u32 v13, v15, 3, v13
	s_and_b64 s[38:39], s[8:9], s[10:11]
	s_and_saveexec_b64 s[2:3], s[38:39]
	s_cbranch_execz .LBB130_66
; %bb.65:
	v_mov_b32_e32 v17, 0
	ds_read_b64 v[17:18], v17 offset:1040
	s_waitcnt lgkmcnt(0)
	v_mul_f64 v[11:12], v[11:12], v[17:18]
	ds_write_b64 v13, v[11:12]
.LBB130_66:
	s_or_b64 exec, exec, s[2:3]
	v_cmp_ne_u32_e64 s[2:3], 0, v16
	s_and_b64 s[36:37], s[2:3], s[10:11]
	s_waitcnt lgkmcnt(0)
	s_barrier
	s_and_saveexec_b64 s[2:3], s[36:37]
	s_cbranch_execz .LBB130_68
; %bb.67:
	v_mov_b32_e32 v16, 0
	ds_read_b64 v[16:17], v16 offset:1048
	ds_read_b64 v[18:19], v13
	s_waitcnt lgkmcnt(0)
	v_fma_f64 v[11:12], v[16:17], v[18:19], v[11:12]
.LBB130_68:
	s_or_b64 exec, exec, s[2:3]
	s_barrier
	s_and_saveexec_b64 s[2:3], s[36:37]
	s_cbranch_execz .LBB130_70
; %bb.69:
	v_mov_b32_e32 v16, 0
	ds_read_b64 v[16:17], v16 offset:1560
	s_waitcnt lgkmcnt(0)
	v_mul_f64 v[11:12], v[11:12], v[16:17]
	ds_write_b64 v13, v[11:12]
.LBB130_70:
	s_or_b64 exec, exec, s[2:3]
	s_waitcnt lgkmcnt(0)
	s_barrier
	s_barrier
	s_and_saveexec_b64 s[2:3], s[0:1]
; %bb.71:
	v_xor_b32_e32 v12, 0x80000000, v12
	ds_write_b64 v1, v[11:12] offset:16
; %bb.72:
	s_or_b64 exec, exec, s[2:3]
	s_waitcnt lgkmcnt(0)
	s_barrier
	s_barrier
	s_and_saveexec_b64 s[2:3], vcc
	s_cbranch_execz .LBB130_74
; %bb.73:
	v_mov_b32_e32 v20, 0
	ds_read_b128 v[16:19], v20 offset:1040
	ds_read_b64 v[11:12], v20 offset:1560
	s_waitcnt lgkmcnt(0)
	v_mul_f64 v[11:12], v[16:17], v[11:12]
	v_mul_f64 v[11:12], v[18:19], v[11:12]
	ds_write_b64 v20, v[11:12] offset:1048
.LBB130_74:
	s_or_b64 exec, exec, s[2:3]
	v_and_b32_e32 v19, 3, v0
	v_lshrrev_b32_e32 v20, 2, v14
	v_lshlrev_b32_e32 v17, 3, v19
	v_mov_b32_e32 v11, 0
	v_cmp_lt_u32_e64 s[8:9], 15, v14
	v_cmp_gt_u32_e64 s[2:3], 16, v14
	v_mov_b32_e32 v12, 0
	v_lshl_or_b32 v16, v20, 9, v17
	s_waitcnt lgkmcnt(0)
	s_barrier
	s_and_saveexec_b64 s[12:13], s[2:3]
	s_cbranch_execz .LBB130_80
; %bb.75:
	v_mul_u32_u24_e32 v18, 0x208, v20
	ds_read_b64 v[11:12], v16 offset:32
	ds_read_b64 v[21:22], v18
	v_cmp_gt_u32_e64 s[10:11], 12, v14
	s_waitcnt lgkmcnt(0)
	v_fma_f64 v[11:12], v[11:12], v[21:22], 0
	s_and_saveexec_b64 s[14:15], s[10:11]
	s_cbranch_execnz .LBB130_1036
; %bb.76:
	s_or_b64 exec, exec, s[14:15]
	v_cmp_gt_u32_e64 s[10:11], 8, v14
	s_and_saveexec_b64 s[14:15], s[10:11]
	s_cbranch_execnz .LBB130_1037
.LBB130_77:
	s_or_b64 exec, exec, s[14:15]
	v_cmp_gt_u32_e64 s[10:11], 4, v14
	s_and_saveexec_b64 s[14:15], s[10:11]
	s_cbranch_execz .LBB130_79
.LBB130_78:
	v_lshlrev_b32_e32 v18, 3, v0
	v_mov_b32_e32 v23, 0
	ds_read_b64 v[21:22], v18 offset:1568
	ds_read_b64 v[23:24], v23 offset:24
	s_waitcnt lgkmcnt(0)
	v_fma_f64 v[11:12], v[21:22], v[23:24], v[11:12]
.LBB130_79:
	s_or_b64 exec, exec, s[14:15]
	v_xor_b32_e32 v12, 0x80000000, v12
.LBB130_80:
	s_or_b64 exec, exec, s[12:13]
	v_mov_b32_e32 v18, 0x8000
	v_cmp_eq_u32_e64 s[10:11], 0, v19
	s_xor_b64 s[12:13], s[8:9], -1
	v_lshl_add_u32 v18, v20, 3, v18
	s_and_b64 s[42:43], s[10:11], s[12:13]
	s_and_saveexec_b64 s[8:9], s[42:43]
	s_cbranch_execz .LBB130_82
; %bb.81:
	v_mov_b32_e32 v21, 0
	ds_read_b64 v[21:22], v21 offset:2080
	s_waitcnt lgkmcnt(0)
	v_mul_f64 v[11:12], v[11:12], v[21:22]
	ds_write_b64 v18, v[11:12]
.LBB130_82:
	s_or_b64 exec, exec, s[8:9]
	v_cmp_ne_u32_e64 s[8:9], 0, v19
	s_and_b64 s[44:45], s[8:9], s[12:13]
	s_waitcnt lgkmcnt(0)
	s_barrier
	s_and_saveexec_b64 s[8:9], s[44:45]
	s_cbranch_execz .LBB130_84
; %bb.83:
	ds_read_b64 v[21:22], v17 offset:2080
	ds_read_b64 v[23:24], v18
	s_waitcnt lgkmcnt(0)
	v_fma_f64 v[11:12], v[21:22], v[23:24], v[11:12]
.LBB130_84:
	s_or_b64 exec, exec, s[8:9]
	v_cmp_eq_u32_e64 s[8:9], 1, v19
	s_and_b64 s[46:47], s[8:9], s[12:13]
	s_barrier
	s_and_saveexec_b64 s[8:9], s[46:47]
	s_cbranch_execz .LBB130_86
; %bb.85:
	v_mov_b32_e32 v21, 0
	ds_read_b64 v[21:22], v21 offset:2600
	s_waitcnt lgkmcnt(0)
	v_mul_f64 v[11:12], v[11:12], v[21:22]
	ds_write_b64 v18, v[11:12]
.LBB130_86:
	s_or_b64 exec, exec, s[8:9]
	v_cmp_lt_u32_e64 s[8:9], 1, v19
	s_and_b64 s[48:49], s[8:9], s[12:13]
	s_waitcnt lgkmcnt(0)
	s_barrier
	s_and_saveexec_b64 s[8:9], s[48:49]
	s_cbranch_execz .LBB130_88
; %bb.87:
	ds_read_b64 v[21:22], v17 offset:2592
	ds_read_b64 v[23:24], v18
	s_waitcnt lgkmcnt(0)
	v_fma_f64 v[11:12], v[21:22], v[23:24], v[11:12]
.LBB130_88:
	s_or_b64 exec, exec, s[8:9]
	v_cmp_eq_u32_e64 s[8:9], 2, v19
	s_and_b64 s[50:51], s[8:9], s[12:13]
	s_barrier
	s_and_saveexec_b64 s[8:9], s[50:51]
	s_cbranch_execz .LBB130_90
; %bb.89:
	v_mov_b32_e32 v21, 0
	ds_read_b64 v[21:22], v21 offset:3120
	s_waitcnt lgkmcnt(0)
	v_mul_f64 v[11:12], v[11:12], v[21:22]
	ds_write_b64 v18, v[11:12]
.LBB130_90:
	s_or_b64 exec, exec, s[8:9]
	v_cmp_eq_u32_e64 s[8:9], 3, v19
	s_and_b64 s[40:41], s[8:9], s[12:13]
	s_waitcnt lgkmcnt(0)
	s_barrier
	s_and_saveexec_b64 s[8:9], s[40:41]
	s_cbranch_execz .LBB130_92
; %bb.91:
	v_mov_b32_e32 v21, 0
	ds_read_b64 v[21:22], v21 offset:3128
	ds_read_b64 v[23:24], v18
	s_waitcnt lgkmcnt(0)
	v_fma_f64 v[11:12], v[21:22], v[23:24], v[11:12]
.LBB130_92:
	s_or_b64 exec, exec, s[8:9]
	s_barrier
	s_and_saveexec_b64 s[8:9], s[40:41]
	s_cbranch_execz .LBB130_94
; %bb.93:
	v_mov_b32_e32 v21, 0
	ds_read_b64 v[21:22], v21 offset:3640
	s_waitcnt lgkmcnt(0)
	v_mul_f64 v[11:12], v[11:12], v[21:22]
	ds_write_b64 v18, v[11:12]
.LBB130_94:
	s_or_b64 exec, exec, s[8:9]
	s_waitcnt lgkmcnt(0)
	s_barrier
	s_barrier
	s_and_saveexec_b64 s[8:9], s[2:3]
; %bb.95:
	v_xor_b32_e32 v12, 0x80000000, v12
	ds_write_b64 v16, v[11:12] offset:32
; %bb.96:
	s_or_b64 exec, exec, s[8:9]
	s_waitcnt lgkmcnt(0)
	s_barrier
	s_barrier
	s_and_saveexec_b64 s[8:9], vcc
	s_cbranch_execz .LBB130_98
; %bb.97:
	v_mov_b32_e32 v25, 0
	ds_read_b128 v[21:24], v25 offset:2080
	ds_read_b64 v[11:12], v25 offset:2600
	s_waitcnt lgkmcnt(0)
	v_mul_f64 v[11:12], v[21:22], v[11:12]
	v_mul_f64 v[11:12], v[23:24], v[11:12]
	ds_write_b64 v25, v[11:12] offset:2088
.LBB130_98:
	s_or_b64 exec, exec, s[8:9]
	v_mov_b32_e32 v11, 0
	v_mov_b32_e32 v12, 0
	s_waitcnt lgkmcnt(0)
	s_barrier
	s_and_saveexec_b64 s[10:11], s[0:1]
	s_cbranch_execz .LBB130_102
; %bb.99:
	v_mul_u32_u24_e32 v21, 0x208, v15
	ds_read_b64 v[11:12], v1 offset:2096
	ds_read_b64 v[21:22], v21 offset:2080
	v_cmp_gt_u32_e64 s[8:9], 2, v14
	s_waitcnt lgkmcnt(0)
	v_fma_f64 v[11:12], v[11:12], v[21:22], 0
	s_and_saveexec_b64 s[12:13], s[8:9]
	s_cbranch_execz .LBB130_101
; %bb.100:
	v_lshlrev_b32_e32 v21, 3, v0
	v_mov_b32_e32 v23, 0
	ds_read_b64 v[21:22], v21 offset:2608
	ds_read_b64 v[23:24], v23 offset:2088
	s_waitcnt lgkmcnt(0)
	v_fma_f64 v[11:12], v[21:22], v[23:24], v[11:12]
.LBB130_101:
	s_or_b64 exec, exec, s[12:13]
	v_xor_b32_e32 v12, 0x80000000, v12
.LBB130_102:
	s_or_b64 exec, exec, s[10:11]
	s_and_saveexec_b64 s[8:9], s[38:39]
	s_cbranch_execz .LBB130_104
; %bb.103:
	v_mov_b32_e32 v21, 0
	ds_read_b64 v[21:22], v21 offset:3120
	s_waitcnt lgkmcnt(0)
	v_mul_f64 v[11:12], v[11:12], v[21:22]
	ds_write_b64 v13, v[11:12]
.LBB130_104:
	s_or_b64 exec, exec, s[8:9]
	s_waitcnt lgkmcnt(0)
	s_barrier
	s_and_saveexec_b64 s[8:9], s[36:37]
	s_cbranch_execz .LBB130_106
; %bb.105:
	v_mov_b32_e32 v21, 0
	ds_read_b64 v[21:22], v21 offset:3128
	ds_read_b64 v[23:24], v13
	s_waitcnt lgkmcnt(0)
	v_fma_f64 v[11:12], v[21:22], v[23:24], v[11:12]
.LBB130_106:
	s_or_b64 exec, exec, s[8:9]
	s_barrier
	s_and_saveexec_b64 s[8:9], s[36:37]
	s_cbranch_execz .LBB130_108
; %bb.107:
	v_mov_b32_e32 v21, 0
	ds_read_b64 v[21:22], v21 offset:3640
	s_waitcnt lgkmcnt(0)
	v_mul_f64 v[11:12], v[11:12], v[21:22]
	ds_write_b64 v13, v[11:12]
.LBB130_108:
	s_or_b64 exec, exec, s[8:9]
	s_waitcnt lgkmcnt(0)
	s_barrier
	s_barrier
	s_and_saveexec_b64 s[8:9], s[0:1]
; %bb.109:
	v_xor_b32_e32 v12, 0x80000000, v12
	ds_write_b64 v1, v[11:12] offset:2096
; %bb.110:
	s_or_b64 exec, exec, s[8:9]
	s_waitcnt lgkmcnt(0)
	s_barrier
	s_barrier
	s_and_saveexec_b64 s[8:9], vcc
	s_cbranch_execz .LBB130_112
; %bb.111:
	v_mov_b32_e32 v25, 0
	ds_read_b128 v[21:24], v25 offset:3120
	ds_read_b64 v[11:12], v25 offset:3640
	s_waitcnt lgkmcnt(0)
	v_mul_f64 v[11:12], v[21:22], v[11:12]
	v_mul_f64 v[11:12], v[23:24], v[11:12]
	ds_write_b64 v25, v[11:12] offset:3128
.LBB130_112:
	s_or_b64 exec, exec, s[8:9]
	v_and_b32_e32 v24, 7, v0
	v_lshrrev_b32_e32 v25, 3, v14
	v_lshlrev_b32_e32 v22, 3, v24
	v_mov_b32_e32 v11, 0
	v_cmp_lt_u32_e64 s[8:9], 63, v14
	v_cmp_gt_u32_e64 s[14:15], 64, v14
	v_mov_b32_e32 v12, 0
	v_lshl_or_b32 v21, v25, 9, v22
	s_waitcnt lgkmcnt(0)
	s_barrier
	s_and_saveexec_b64 s[12:13], s[14:15]
	s_cbranch_execz .LBB130_122
; %bb.113:
	v_mul_u32_u24_e32 v23, 0x208, v25
	ds_read_b64 v[11:12], v21 offset:64
	ds_read_b64 v[26:27], v23
	v_cmp_gt_u32_e64 s[10:11], 56, v14
	s_waitcnt lgkmcnt(0)
	v_fma_f64 v[11:12], v[11:12], v[26:27], 0
	s_and_saveexec_b64 s[16:17], s[10:11]
	s_cbranch_execnz .LBB130_1038
; %bb.114:
	s_or_b64 exec, exec, s[16:17]
	v_cmp_gt_u32_e64 s[10:11], 48, v14
	s_and_saveexec_b64 s[16:17], s[10:11]
	s_cbranch_execnz .LBB130_1039
.LBB130_115:
	s_or_b64 exec, exec, s[16:17]
	v_cmp_gt_u32_e64 s[10:11], 40, v14
	s_and_saveexec_b64 s[16:17], s[10:11]
	s_cbranch_execnz .LBB130_1040
.LBB130_116:
	s_or_b64 exec, exec, s[16:17]
	v_cmp_gt_u32_e64 s[10:11], 32, v14
	s_and_saveexec_b64 s[16:17], s[10:11]
	s_cbranch_execnz .LBB130_1041
.LBB130_117:
	s_or_b64 exec, exec, s[16:17]
	v_cmp_gt_u32_e64 s[10:11], 24, v14
	s_and_saveexec_b64 s[16:17], s[10:11]
	s_cbranch_execnz .LBB130_1042
.LBB130_118:
	s_or_b64 exec, exec, s[16:17]
	v_cmp_gt_u32_e64 s[10:11], 16, v14
	s_and_saveexec_b64 s[16:17], s[10:11]
	s_cbranch_execnz .LBB130_1043
.LBB130_119:
	s_or_b64 exec, exec, s[16:17]
	v_cmp_gt_u32_e64 s[10:11], 8, v14
	s_and_saveexec_b64 s[16:17], s[10:11]
	s_cbranch_execz .LBB130_121
.LBB130_120:
	v_lshlrev_b32_e32 v23, 3, v0
	v_mov_b32_e32 v28, 0
	ds_read_b64 v[26:27], v23 offset:3648
	ds_read_b64 v[28:29], v28 offset:56
	s_waitcnt lgkmcnt(0)
	v_fma_f64 v[11:12], v[26:27], v[28:29], v[11:12]
.LBB130_121:
	s_or_b64 exec, exec, s[16:17]
	v_xor_b32_e32 v12, 0x80000000, v12
.LBB130_122:
	v_writelane_b32 v41, s52, 4
	s_or_b64 exec, exec, s[12:13]
	v_mov_b32_e32 v23, 0x8000
	v_cmp_eq_u32_e64 s[10:11], 0, v24
	s_xor_b64 s[12:13], s[8:9], -1
	v_lshl_add_u32 v23, v25, 3, v23
	s_and_b64 s[52:53], s[10:11], s[12:13]
	s_and_saveexec_b64 s[8:9], s[52:53]
	s_cbranch_execz .LBB130_124
; %bb.123:
	v_mov_b32_e32 v26, 0
	ds_read_b64 v[26:27], v26 offset:4160
	s_waitcnt lgkmcnt(0)
	v_mul_f64 v[11:12], v[11:12], v[26:27]
	ds_write_b64 v23, v[11:12]
.LBB130_124:
	s_or_b64 exec, exec, s[8:9]
	v_cmp_ne_u32_e64 s[8:9], 0, v24
	s_and_b64 s[54:55], s[8:9], s[12:13]
	s_waitcnt lgkmcnt(0)
	s_barrier
	s_and_saveexec_b64 s[8:9], s[54:55]
	s_cbranch_execz .LBB130_126
; %bb.125:
	ds_read_b64 v[26:27], v22 offset:4160
	ds_read_b64 v[28:29], v23
	s_waitcnt lgkmcnt(0)
	v_fma_f64 v[11:12], v[26:27], v[28:29], v[11:12]
.LBB130_126:
	s_or_b64 exec, exec, s[8:9]
	v_cmp_eq_u32_e64 s[8:9], 1, v24
	s_and_b64 s[56:57], s[8:9], s[12:13]
	s_barrier
	s_and_saveexec_b64 s[8:9], s[56:57]
	s_cbranch_execz .LBB130_128
; %bb.127:
	v_mov_b32_e32 v26, 0
	ds_read_b64 v[26:27], v26 offset:4680
	s_waitcnt lgkmcnt(0)
	v_mul_f64 v[11:12], v[11:12], v[26:27]
	ds_write_b64 v23, v[11:12]
.LBB130_128:
	s_or_b64 exec, exec, s[8:9]
	v_cmp_lt_u32_e64 s[8:9], 1, v24
	s_and_b64 s[58:59], s[8:9], s[12:13]
	s_waitcnt lgkmcnt(0)
	s_barrier
	s_and_saveexec_b64 s[8:9], s[58:59]
	s_cbranch_execz .LBB130_130
; %bb.129:
	ds_read_b64 v[26:27], v22 offset:4672
	ds_read_b64 v[28:29], v23
	s_waitcnt lgkmcnt(0)
	v_fma_f64 v[11:12], v[26:27], v[28:29], v[11:12]
.LBB130_130:
	s_or_b64 exec, exec, s[8:9]
	v_cmp_eq_u32_e64 s[8:9], 2, v24
	s_and_b64 s[60:61], s[8:9], s[12:13]
	s_barrier
	s_and_saveexec_b64 s[8:9], s[60:61]
	s_cbranch_execz .LBB130_132
; %bb.131:
	v_mov_b32_e32 v26, 0
	ds_read_b64 v[26:27], v26 offset:5200
	s_waitcnt lgkmcnt(0)
	v_mul_f64 v[11:12], v[11:12], v[26:27]
	ds_write_b64 v23, v[11:12]
.LBB130_132:
	s_or_b64 exec, exec, s[8:9]
	v_cmp_lt_u32_e64 s[8:9], 2, v24
	;; [unrolled: 26-line block ×5, first 2 shown]
	s_and_b64 s[76:77], s[8:9], s[12:13]
	s_waitcnt lgkmcnt(0)
	s_barrier
	s_and_saveexec_b64 s[8:9], s[76:77]
	s_cbranch_execz .LBB130_146
; %bb.145:
	ds_read_b64 v[26:27], v22 offset:6720
	ds_read_b64 v[28:29], v23
	s_waitcnt lgkmcnt(0)
	v_fma_f64 v[11:12], v[26:27], v[28:29], v[11:12]
.LBB130_146:
	s_or_b64 exec, exec, s[8:9]
	v_cmp_eq_u32_e64 s[8:9], 6, v24
	s_and_b64 s[78:79], s[8:9], s[12:13]
	s_barrier
	s_and_saveexec_b64 s[8:9], s[78:79]
	s_cbranch_execz .LBB130_148
; %bb.147:
	v_mov_b32_e32 v26, 0
	ds_read_b64 v[26:27], v26 offset:7280
	s_waitcnt lgkmcnt(0)
	v_mul_f64 v[11:12], v[11:12], v[26:27]
	ds_write_b64 v23, v[11:12]
.LBB130_148:
	s_or_b64 exec, exec, s[8:9]
	v_cmp_eq_u32_e64 s[8:9], 7, v24
	s_and_b64 s[62:63], s[8:9], s[12:13]
	s_waitcnt lgkmcnt(0)
	s_barrier
	s_and_saveexec_b64 s[8:9], s[62:63]
	s_cbranch_execz .LBB130_150
; %bb.149:
	v_mov_b32_e32 v26, 0
	ds_read_b64 v[26:27], v26 offset:7288
	ds_read_b64 v[28:29], v23
	s_waitcnt lgkmcnt(0)
	v_fma_f64 v[11:12], v[26:27], v[28:29], v[11:12]
.LBB130_150:
	s_or_b64 exec, exec, s[8:9]
	s_barrier
	s_and_saveexec_b64 s[8:9], s[62:63]
	s_cbranch_execz .LBB130_152
; %bb.151:
	v_mov_b32_e32 v26, 0
	ds_read_b64 v[26:27], v26 offset:7800
	s_waitcnt lgkmcnt(0)
	v_mul_f64 v[11:12], v[11:12], v[26:27]
	ds_write_b64 v23, v[11:12]
.LBB130_152:
	s_or_b64 exec, exec, s[8:9]
	s_waitcnt lgkmcnt(0)
	s_barrier
	s_barrier
	s_and_saveexec_b64 s[8:9], s[14:15]
; %bb.153:
	v_xor_b32_e32 v12, 0x80000000, v12
	ds_write_b64 v21, v[11:12] offset:64
; %bb.154:
	s_or_b64 exec, exec, s[8:9]
	s_waitcnt lgkmcnt(0)
	s_barrier
	s_barrier
	s_and_saveexec_b64 s[8:9], vcc
	s_cbranch_execz .LBB130_156
; %bb.155:
	v_mov_b32_e32 v30, 0
	ds_read_b128 v[26:29], v30 offset:4160
	ds_read_b64 v[11:12], v30 offset:4680
	s_waitcnt lgkmcnt(0)
	v_mul_f64 v[11:12], v[26:27], v[11:12]
	v_mul_f64 v[11:12], v[28:29], v[11:12]
	ds_write_b64 v30, v[11:12] offset:4168
.LBB130_156:
	s_or_b64 exec, exec, s[8:9]
	v_mov_b32_e32 v11, 0
	v_mov_b32_e32 v12, 0
	s_waitcnt lgkmcnt(0)
	s_barrier
	s_and_saveexec_b64 s[10:11], s[0:1]
	s_cbranch_execz .LBB130_160
; %bb.157:
	v_mul_u32_u24_e32 v26, 0x208, v15
	ds_read_b64 v[11:12], v1 offset:4176
	ds_read_b64 v[26:27], v26 offset:4160
	v_cmp_gt_u32_e64 s[8:9], 2, v14
	s_waitcnt lgkmcnt(0)
	v_fma_f64 v[11:12], v[11:12], v[26:27], 0
	s_and_saveexec_b64 s[12:13], s[8:9]
	s_cbranch_execz .LBB130_159
; %bb.158:
	v_lshlrev_b32_e32 v26, 3, v0
	v_mov_b32_e32 v28, 0
	ds_read_b64 v[26:27], v26 offset:4688
	ds_read_b64 v[28:29], v28 offset:4168
	s_waitcnt lgkmcnt(0)
	v_fma_f64 v[11:12], v[26:27], v[28:29], v[11:12]
.LBB130_159:
	s_or_b64 exec, exec, s[12:13]
	v_xor_b32_e32 v12, 0x80000000, v12
.LBB130_160:
	s_or_b64 exec, exec, s[10:11]
	s_and_saveexec_b64 s[8:9], s[38:39]
	s_cbranch_execz .LBB130_162
; %bb.161:
	v_mov_b32_e32 v26, 0
	ds_read_b64 v[26:27], v26 offset:5200
	s_waitcnt lgkmcnt(0)
	v_mul_f64 v[11:12], v[11:12], v[26:27]
	ds_write_b64 v13, v[11:12]
.LBB130_162:
	s_or_b64 exec, exec, s[8:9]
	s_waitcnt lgkmcnt(0)
	s_barrier
	s_and_saveexec_b64 s[8:9], s[36:37]
	s_cbranch_execz .LBB130_164
; %bb.163:
	v_mov_b32_e32 v26, 0
	ds_read_b64 v[26:27], v26 offset:5208
	ds_read_b64 v[28:29], v13
	s_waitcnt lgkmcnt(0)
	v_fma_f64 v[11:12], v[26:27], v[28:29], v[11:12]
.LBB130_164:
	s_or_b64 exec, exec, s[8:9]
	s_barrier
	s_and_saveexec_b64 s[8:9], s[36:37]
	s_cbranch_execz .LBB130_166
; %bb.165:
	v_mov_b32_e32 v26, 0
	ds_read_b64 v[26:27], v26 offset:5720
	s_waitcnt lgkmcnt(0)
	v_mul_f64 v[11:12], v[11:12], v[26:27]
	ds_write_b64 v13, v[11:12]
.LBB130_166:
	s_or_b64 exec, exec, s[8:9]
	s_waitcnt lgkmcnt(0)
	s_barrier
	s_barrier
	s_and_saveexec_b64 s[8:9], s[0:1]
; %bb.167:
	v_xor_b32_e32 v12, 0x80000000, v12
	ds_write_b64 v1, v[11:12] offset:4176
; %bb.168:
	s_or_b64 exec, exec, s[8:9]
	s_waitcnt lgkmcnt(0)
	s_barrier
	s_barrier
	s_and_saveexec_b64 s[8:9], vcc
	s_cbranch_execz .LBB130_170
; %bb.169:
	v_mov_b32_e32 v30, 0
	ds_read_b128 v[26:29], v30 offset:5200
	ds_read_b64 v[11:12], v30 offset:5720
	s_waitcnt lgkmcnt(0)
	v_mul_f64 v[11:12], v[26:27], v[11:12]
	v_mul_f64 v[11:12], v[28:29], v[11:12]
	ds_write_b64 v30, v[11:12] offset:5208
.LBB130_170:
	s_or_b64 exec, exec, s[8:9]
	v_mov_b32_e32 v11, 0
	v_mov_b32_e32 v12, 0
	s_waitcnt lgkmcnt(0)
	s_barrier
	s_and_saveexec_b64 s[10:11], s[2:3]
	s_cbranch_execz .LBB130_176
; %bb.171:
	v_mul_u32_u24_e32 v26, 0x208, v20
	ds_read_b64 v[11:12], v16 offset:4192
	ds_read_b64 v[27:28], v26 offset:4160
	v_cmp_gt_u32_e64 s[8:9], 12, v14
	s_waitcnt lgkmcnt(0)
	v_fma_f64 v[11:12], v[11:12], v[27:28], 0
	s_and_saveexec_b64 s[12:13], s[8:9]
	s_cbranch_execnz .LBB130_1044
; %bb.172:
	s_or_b64 exec, exec, s[12:13]
	v_cmp_gt_u32_e64 s[8:9], 8, v14
	s_and_saveexec_b64 s[12:13], s[8:9]
	s_cbranch_execnz .LBB130_1045
.LBB130_173:
	s_or_b64 exec, exec, s[12:13]
	v_cmp_gt_u32_e64 s[8:9], 4, v14
	s_and_saveexec_b64 s[12:13], s[8:9]
	s_cbranch_execz .LBB130_175
.LBB130_174:
	v_lshlrev_b32_e32 v26, 3, v0
	v_mov_b32_e32 v28, 0
	ds_read_b64 v[26:27], v26 offset:5728
	ds_read_b64 v[28:29], v28 offset:4184
	s_waitcnt lgkmcnt(0)
	v_fma_f64 v[11:12], v[26:27], v[28:29], v[11:12]
.LBB130_175:
	s_or_b64 exec, exec, s[12:13]
	v_xor_b32_e32 v12, 0x80000000, v12
.LBB130_176:
	s_or_b64 exec, exec, s[10:11]
	s_and_saveexec_b64 s[8:9], s[42:43]
	s_cbranch_execz .LBB130_178
; %bb.177:
	v_mov_b32_e32 v26, 0
	ds_read_b64 v[26:27], v26 offset:6240
	s_waitcnt lgkmcnt(0)
	v_mul_f64 v[11:12], v[11:12], v[26:27]
	ds_write_b64 v18, v[11:12]
.LBB130_178:
	s_or_b64 exec, exec, s[8:9]
	s_waitcnt lgkmcnt(0)
	s_barrier
	s_and_saveexec_b64 s[8:9], s[44:45]
	s_cbranch_execz .LBB130_180
; %bb.179:
	ds_read_b64 v[26:27], v17 offset:6240
	ds_read_b64 v[28:29], v18
	s_waitcnt lgkmcnt(0)
	v_fma_f64 v[11:12], v[26:27], v[28:29], v[11:12]
.LBB130_180:
	s_or_b64 exec, exec, s[8:9]
	s_barrier
	s_and_saveexec_b64 s[8:9], s[46:47]
	s_cbranch_execz .LBB130_182
; %bb.181:
	v_mov_b32_e32 v26, 0
	ds_read_b64 v[26:27], v26 offset:6760
	s_waitcnt lgkmcnt(0)
	v_mul_f64 v[11:12], v[11:12], v[26:27]
	ds_write_b64 v18, v[11:12]
.LBB130_182:
	s_or_b64 exec, exec, s[8:9]
	s_waitcnt lgkmcnt(0)
	s_barrier
	s_and_saveexec_b64 s[8:9], s[48:49]
	s_cbranch_execz .LBB130_184
; %bb.183:
	ds_read_b64 v[26:27], v17 offset:6752
	ds_read_b64 v[28:29], v18
	s_waitcnt lgkmcnt(0)
	v_fma_f64 v[11:12], v[26:27], v[28:29], v[11:12]
.LBB130_184:
	s_or_b64 exec, exec, s[8:9]
	s_barrier
	s_and_saveexec_b64 s[8:9], s[50:51]
	s_cbranch_execz .LBB130_186
; %bb.185:
	v_mov_b32_e32 v26, 0
	ds_read_b64 v[26:27], v26 offset:7280
	s_waitcnt lgkmcnt(0)
	v_mul_f64 v[11:12], v[11:12], v[26:27]
	ds_write_b64 v18, v[11:12]
.LBB130_186:
	s_or_b64 exec, exec, s[8:9]
	s_waitcnt lgkmcnt(0)
	s_barrier
	s_and_saveexec_b64 s[8:9], s[40:41]
	s_cbranch_execz .LBB130_188
; %bb.187:
	v_mov_b32_e32 v26, 0
	ds_read_b64 v[26:27], v26 offset:7288
	ds_read_b64 v[28:29], v18
	s_waitcnt lgkmcnt(0)
	v_fma_f64 v[11:12], v[26:27], v[28:29], v[11:12]
.LBB130_188:
	s_or_b64 exec, exec, s[8:9]
	s_barrier
	s_and_saveexec_b64 s[8:9], s[40:41]
	s_cbranch_execz .LBB130_190
; %bb.189:
	v_mov_b32_e32 v26, 0
	ds_read_b64 v[26:27], v26 offset:7800
	s_waitcnt lgkmcnt(0)
	v_mul_f64 v[11:12], v[11:12], v[26:27]
	ds_write_b64 v18, v[11:12]
.LBB130_190:
	s_or_b64 exec, exec, s[8:9]
	s_waitcnt lgkmcnt(0)
	s_barrier
	s_barrier
	s_and_saveexec_b64 s[8:9], s[2:3]
; %bb.191:
	v_xor_b32_e32 v12, 0x80000000, v12
	ds_write_b64 v16, v[11:12] offset:4192
; %bb.192:
	s_or_b64 exec, exec, s[8:9]
	s_waitcnt lgkmcnt(0)
	s_barrier
	s_barrier
	s_and_saveexec_b64 s[8:9], vcc
	s_cbranch_execz .LBB130_194
; %bb.193:
	v_mov_b32_e32 v30, 0
	ds_read_b128 v[26:29], v30 offset:6240
	ds_read_b64 v[11:12], v30 offset:6760
	s_waitcnt lgkmcnt(0)
	v_mul_f64 v[11:12], v[26:27], v[11:12]
	v_mul_f64 v[11:12], v[28:29], v[11:12]
	ds_write_b64 v30, v[11:12] offset:6248
.LBB130_194:
	s_or_b64 exec, exec, s[8:9]
	v_mov_b32_e32 v11, 0
	v_mov_b32_e32 v12, 0
	s_waitcnt lgkmcnt(0)
	s_barrier
	s_and_saveexec_b64 s[10:11], s[0:1]
	s_cbranch_execz .LBB130_198
; %bb.195:
	v_mul_u32_u24_e32 v26, 0x208, v15
	ds_read_b64 v[11:12], v1 offset:6256
	ds_read_b64 v[26:27], v26 offset:6240
	v_cmp_gt_u32_e64 s[8:9], 2, v14
	s_waitcnt lgkmcnt(0)
	v_fma_f64 v[11:12], v[11:12], v[26:27], 0
	s_and_saveexec_b64 s[12:13], s[8:9]
	s_cbranch_execz .LBB130_197
; %bb.196:
	v_lshlrev_b32_e32 v26, 3, v0
	v_mov_b32_e32 v28, 0
	ds_read_b64 v[26:27], v26 offset:6768
	ds_read_b64 v[28:29], v28 offset:6248
	s_waitcnt lgkmcnt(0)
	v_fma_f64 v[11:12], v[26:27], v[28:29], v[11:12]
.LBB130_197:
	s_or_b64 exec, exec, s[12:13]
	v_xor_b32_e32 v12, 0x80000000, v12
.LBB130_198:
	s_or_b64 exec, exec, s[10:11]
	s_and_saveexec_b64 s[8:9], s[38:39]
	s_cbranch_execz .LBB130_200
; %bb.199:
	v_mov_b32_e32 v26, 0
	ds_read_b64 v[26:27], v26 offset:7280
	s_waitcnt lgkmcnt(0)
	v_mul_f64 v[11:12], v[11:12], v[26:27]
	ds_write_b64 v13, v[11:12]
.LBB130_200:
	s_or_b64 exec, exec, s[8:9]
	s_waitcnt lgkmcnt(0)
	s_barrier
	s_and_saveexec_b64 s[8:9], s[36:37]
	s_cbranch_execz .LBB130_202
; %bb.201:
	v_mov_b32_e32 v26, 0
	ds_read_b64 v[26:27], v26 offset:7288
	ds_read_b64 v[28:29], v13
	s_waitcnt lgkmcnt(0)
	v_fma_f64 v[11:12], v[26:27], v[28:29], v[11:12]
.LBB130_202:
	s_or_b64 exec, exec, s[8:9]
	s_barrier
	s_and_saveexec_b64 s[8:9], s[36:37]
	s_cbranch_execz .LBB130_204
; %bb.203:
	v_mov_b32_e32 v26, 0
	ds_read_b64 v[26:27], v26 offset:7800
	s_waitcnt lgkmcnt(0)
	v_mul_f64 v[11:12], v[11:12], v[26:27]
	ds_write_b64 v13, v[11:12]
.LBB130_204:
	s_or_b64 exec, exec, s[8:9]
	s_waitcnt lgkmcnt(0)
	s_barrier
	s_barrier
	s_and_saveexec_b64 s[8:9], s[0:1]
; %bb.205:
	v_xor_b32_e32 v12, 0x80000000, v12
	ds_write_b64 v1, v[11:12] offset:6256
; %bb.206:
	s_or_b64 exec, exec, s[8:9]
	s_waitcnt lgkmcnt(0)
	s_barrier
	s_barrier
	s_and_saveexec_b64 s[8:9], vcc
	s_cbranch_execz .LBB130_208
; %bb.207:
	v_mov_b32_e32 v30, 0
	ds_read_b128 v[26:29], v30 offset:7280
	ds_read_b64 v[11:12], v30 offset:7800
	s_waitcnt lgkmcnt(0)
	v_mul_f64 v[11:12], v[26:27], v[11:12]
	v_mul_f64 v[11:12], v[28:29], v[11:12]
	ds_write_b64 v30, v[11:12] offset:7288
.LBB130_208:
	s_or_b64 exec, exec, s[8:9]
	v_lshrrev_b32_e32 v30, 4, v14
	v_and_b32_e32 v27, 15, v0
	s_movk_i32 s8, 0xff
	v_lshlrev_b32_e32 v29, 6, v30
	v_cmp_lt_u32_e64 s[10:11], s8, v14
	s_movk_i32 s8, 0x100
	v_or_b32_e32 v26, v29, v27
	v_mov_b32_e32 v11, 0
	v_cmp_gt_u32_e64 s[8:9], s8, v14
	v_mov_b32_e32 v12, 0
	v_lshlrev_b32_e32 v26, 3, v26
	s_waitcnt lgkmcnt(0)
	s_barrier
	s_and_saveexec_b64 s[16:17], s[8:9]
	s_cbranch_execz .LBB130_236
; %bb.209:
	v_mul_u32_u24_e32 v28, 0x208, v30
	ds_read_b64 v[11:12], v26 offset:128
	ds_read_b64 v[31:32], v28
	s_movk_i32 s12, 0xf0
	v_cmp_gt_u32_e64 s[12:13], s12, v14
	s_waitcnt lgkmcnt(0)
	v_fma_f64 v[11:12], v[11:12], v[31:32], 0
	s_and_saveexec_b64 s[28:29], s[12:13]
	s_cbranch_execz .LBB130_211
; %bb.210:
	v_lshlrev_b32_e32 v31, 3, v30
	v_sub_u32_e32 v31, v28, v31
	v_lshl_add_u32 v31, v27, 3, v31
	ds_read_b64 v[31:32], v31 offset:640
	ds_read_b64 v[33:34], v28 offset:8
	s_waitcnt lgkmcnt(0)
	v_fma_f64 v[11:12], v[31:32], v[33:34], v[11:12]
.LBB130_211:
	s_or_b64 exec, exec, s[28:29]
	s_movk_i32 s12, 0xe0
	v_cmp_gt_u32_e64 s[12:13], s12, v14
	s_and_saveexec_b64 s[28:29], s[12:13]
	s_cbranch_execz .LBB130_213
; %bb.212:
	v_lshlrev_b32_e32 v31, 3, v30
	v_sub_u32_e32 v31, v28, v31
	v_lshl_add_u32 v31, v27, 3, v31
	ds_read_b64 v[31:32], v31 offset:1152
	ds_read_b64 v[33:34], v28 offset:16
	s_waitcnt lgkmcnt(0)
	v_fma_f64 v[11:12], v[31:32], v[33:34], v[11:12]
.LBB130_213:
	s_or_b64 exec, exec, s[28:29]
	s_movk_i32 s12, 0xd0
	v_cmp_gt_u32_e64 s[12:13], s12, v14
	;; [unrolled: 14-line block ×7, first 2 shown]
	s_and_saveexec_b64 s[28:29], s[12:13]
	s_cbranch_execz .LBB130_225
; %bb.224:
	ds_read_b64 v[31:32], v26 offset:4224
	ds_read_b64 v[33:34], v28 offset:64
	s_waitcnt lgkmcnt(0)
	v_fma_f64 v[11:12], v[31:32], v[33:34], v[11:12]
.LBB130_225:
	s_or_b64 exec, exec, s[28:29]
	s_movk_i32 s12, 0x70
	v_cmp_gt_u32_e64 s[12:13], s12, v14
	s_and_saveexec_b64 s[28:29], s[12:13]
	s_cbranch_execz .LBB130_227
; %bb.226:
	v_lshlrev_b32_e32 v31, 3, v30
	v_sub_u32_e32 v31, v28, v31
	v_lshl_add_u32 v31, v27, 3, v31
	ds_read_b64 v[31:32], v31 offset:4736
	ds_read_b64 v[33:34], v28 offset:72
	s_waitcnt lgkmcnt(0)
	v_fma_f64 v[11:12], v[31:32], v[33:34], v[11:12]
.LBB130_227:
	s_or_b64 exec, exec, s[28:29]
	s_movk_i32 s12, 0x60
	v_cmp_gt_u32_e64 s[12:13], s12, v14
	s_and_saveexec_b64 s[28:29], s[12:13]
	s_cbranch_execz .LBB130_229
; %bb.228:
	v_lshlrev_b32_e32 v31, 3, v27
	v_lshl_add_u32 v31, v29, 3, v31
	ds_read_b64 v[31:32], v31 offset:5248
	ds_read_b64 v[33:34], v28 offset:80
	s_waitcnt lgkmcnt(0)
	v_fma_f64 v[11:12], v[31:32], v[33:34], v[11:12]
.LBB130_229:
	s_or_b64 exec, exec, s[28:29]
	s_movk_i32 s12, 0x50
	v_cmp_gt_u32_e64 s[12:13], s12, v14
	s_and_saveexec_b64 s[28:29], s[12:13]
	s_cbranch_execnz .LBB130_1046
; %bb.230:
	s_or_b64 exec, exec, s[28:29]
	v_cmp_gt_u32_e64 s[12:13], 64, v14
	s_and_saveexec_b64 s[28:29], s[12:13]
	s_cbranch_execnz .LBB130_1047
.LBB130_231:
	s_or_b64 exec, exec, s[28:29]
	v_cmp_gt_u32_e64 s[12:13], 48, v14
	s_and_saveexec_b64 s[28:29], s[12:13]
	s_cbranch_execnz .LBB130_1048
.LBB130_232:
	s_or_b64 exec, exec, s[28:29]
	v_cmp_gt_u32_e64 s[12:13], 32, v14
	s_and_saveexec_b64 s[28:29], s[12:13]
	s_cbranch_execnz .LBB130_1049
.LBB130_233:
	s_or_b64 exec, exec, s[28:29]
	v_cmp_gt_u32_e64 s[12:13], 16, v14
	s_and_saveexec_b64 s[28:29], s[12:13]
	s_cbranch_execz .LBB130_235
.LBB130_234:
	v_lshlrev_b32_e32 v28, 3, v0
	v_mov_b32_e32 v33, 0
	ds_read_b64 v[31:32], v28 offset:7808
	ds_read_b64 v[33:34], v33 offset:120
	s_waitcnt lgkmcnt(0)
	v_fma_f64 v[11:12], v[31:32], v[33:34], v[11:12]
.LBB130_235:
	s_or_b64 exec, exec, s[28:29]
	v_xor_b32_e32 v12, 0x80000000, v12
.LBB130_236:
	s_or_b64 exec, exec, s[16:17]
	v_mov_b32_e32 v28, 0x8000
	v_lshl_add_u32 v28, v30, 3, v28
	v_cmp_eq_u32_e64 s[12:13], 0, v27
	s_xor_b64 s[16:17], s[10:11], -1
	s_and_b64 s[12:13], s[12:13], s[16:17]
	s_mov_b64 s[10:11], exec
	v_writelane_b32 v41, s12, 5
	v_writelane_b32 v41, s13, 6
	s_and_b64 s[12:13], s[10:11], s[12:13]
	s_mov_b64 exec, s[12:13]
	s_cbranch_execz .LBB130_238
; %bb.237:
	v_mov_b32_e32 v31, 0
	ds_read_b64 v[31:32], v31 offset:8320
	s_waitcnt lgkmcnt(0)
	v_mul_f64 v[11:12], v[11:12], v[31:32]
	ds_write_b64 v28, v[11:12]
.LBB130_238:
	s_or_b64 exec, exec, s[10:11]
	v_cmp_ne_u32_e64 s[10:11], 0, v27
	s_waitcnt lgkmcnt(0)
	s_barrier
	s_and_b64 s[12:13], s[10:11], s[16:17]
	s_mov_b64 s[10:11], exec
	v_writelane_b32 v41, s12, 7
	v_writelane_b32 v41, s13, 8
	s_and_b64 s[12:13], s[10:11], s[12:13]
	s_mov_b64 exec, s[12:13]
	s_cbranch_execz .LBB130_240
; %bb.239:
	v_lshlrev_b32_e32 v31, 3, v27
	ds_read_b64 v[31:32], v31 offset:8320
	ds_read_b64 v[33:34], v28
	s_waitcnt lgkmcnt(0)
	v_fma_f64 v[11:12], v[31:32], v[33:34], v[11:12]
.LBB130_240:
	s_or_b64 exec, exec, s[10:11]
	v_cmp_eq_u32_e64 s[10:11], 1, v27
	s_barrier
	s_and_b64 s[12:13], s[10:11], s[16:17]
	s_mov_b64 s[10:11], exec
	v_writelane_b32 v41, s12, 9
	v_writelane_b32 v41, s13, 10
	s_and_b64 s[12:13], s[10:11], s[12:13]
	s_mov_b64 exec, s[12:13]
	s_cbranch_execz .LBB130_242
; %bb.241:
	v_mov_b32_e32 v31, 0
	ds_read_b64 v[31:32], v31 offset:8840
	s_waitcnt lgkmcnt(0)
	v_mul_f64 v[11:12], v[11:12], v[31:32]
	ds_write_b64 v28, v[11:12]
.LBB130_242:
	s_or_b64 exec, exec, s[10:11]
	v_cmp_lt_u32_e64 s[10:11], 1, v27
	s_waitcnt lgkmcnt(0)
	s_barrier
	s_and_b64 s[12:13], s[10:11], s[16:17]
	s_mov_b64 s[10:11], exec
	v_writelane_b32 v41, s12, 11
	v_writelane_b32 v41, s13, 12
	s_and_b64 s[12:13], s[10:11], s[12:13]
	s_mov_b64 exec, s[12:13]
	s_cbranch_execz .LBB130_244
; %bb.243:
	v_lshlrev_b32_e32 v31, 3, v27
	ds_read_b64 v[31:32], v31 offset:8832
	ds_read_b64 v[33:34], v28
	s_waitcnt lgkmcnt(0)
	v_fma_f64 v[11:12], v[31:32], v[33:34], v[11:12]
.LBB130_244:
	s_or_b64 exec, exec, s[10:11]
	v_cmp_eq_u32_e64 s[10:11], 2, v27
	s_barrier
	s_and_b64 s[12:13], s[10:11], s[16:17]
	s_mov_b64 s[10:11], exec
	v_writelane_b32 v41, s12, 13
	v_writelane_b32 v41, s13, 14
	s_and_b64 s[12:13], s[10:11], s[12:13]
	s_mov_b64 exec, s[12:13]
	s_cbranch_execz .LBB130_246
; %bb.245:
	v_mov_b32_e32 v31, 0
	ds_read_b64 v[31:32], v31 offset:9360
	s_waitcnt lgkmcnt(0)
	v_mul_f64 v[11:12], v[11:12], v[31:32]
	ds_write_b64 v28, v[11:12]
.LBB130_246:
	s_or_b64 exec, exec, s[10:11]
	v_cmp_lt_u32_e64 s[10:11], 2, v27
	s_waitcnt lgkmcnt(0)
	s_barrier
	s_and_b64 s[12:13], s[10:11], s[16:17]
	s_mov_b64 s[10:11], exec
	v_writelane_b32 v41, s12, 15
	v_writelane_b32 v41, s13, 16
	s_and_b64 s[12:13], s[10:11], s[12:13]
	s_mov_b64 exec, s[12:13]
	s_cbranch_execz .LBB130_248
; %bb.247:
	v_lshlrev_b32_e32 v31, 3, v27
	ds_read_b64 v[31:32], v31 offset:9344
	ds_read_b64 v[33:34], v28
	s_waitcnt lgkmcnt(0)
	v_fma_f64 v[11:12], v[31:32], v[33:34], v[11:12]
.LBB130_248:
	s_or_b64 exec, exec, s[10:11]
	v_cmp_eq_u32_e64 s[10:11], 3, v27
	s_barrier
	s_and_b64 s[12:13], s[10:11], s[16:17]
	s_mov_b64 s[10:11], exec
	v_writelane_b32 v41, s12, 17
	v_writelane_b32 v41, s13, 18
	s_and_b64 s[12:13], s[10:11], s[12:13]
	s_mov_b64 exec, s[12:13]
	s_cbranch_execz .LBB130_250
; %bb.249:
	v_mov_b32_e32 v31, 0
	ds_read_b64 v[31:32], v31 offset:9880
	s_waitcnt lgkmcnt(0)
	v_mul_f64 v[11:12], v[11:12], v[31:32]
	ds_write_b64 v28, v[11:12]
.LBB130_250:
	s_or_b64 exec, exec, s[10:11]
	v_cmp_lt_u32_e64 s[10:11], 3, v27
	s_waitcnt lgkmcnt(0)
	s_barrier
	s_and_b64 s[12:13], s[10:11], s[16:17]
	s_mov_b64 s[10:11], exec
	v_writelane_b32 v41, s12, 19
	v_writelane_b32 v41, s13, 20
	s_and_b64 s[12:13], s[10:11], s[12:13]
	s_mov_b64 exec, s[12:13]
	s_cbranch_execz .LBB130_252
; %bb.251:
	v_lshlrev_b32_e32 v31, 3, v27
	ds_read_b64 v[31:32], v31 offset:9856
	ds_read_b64 v[33:34], v28
	s_waitcnt lgkmcnt(0)
	v_fma_f64 v[11:12], v[31:32], v[33:34], v[11:12]
.LBB130_252:
	s_or_b64 exec, exec, s[10:11]
	v_cmp_eq_u32_e64 s[10:11], 4, v27
	s_barrier
	s_and_b64 s[12:13], s[10:11], s[16:17]
	s_mov_b64 s[10:11], exec
	v_writelane_b32 v41, s12, 21
	v_writelane_b32 v41, s13, 22
	s_and_b64 s[12:13], s[10:11], s[12:13]
	s_mov_b64 exec, s[12:13]
	s_cbranch_execz .LBB130_254
; %bb.253:
	v_mov_b32_e32 v31, 0
	ds_read_b64 v[31:32], v31 offset:10400
	s_waitcnt lgkmcnt(0)
	v_mul_f64 v[11:12], v[11:12], v[31:32]
	ds_write_b64 v28, v[11:12]
.LBB130_254:
	s_or_b64 exec, exec, s[10:11]
	v_cmp_lt_u32_e64 s[10:11], 4, v27
	s_waitcnt lgkmcnt(0)
	s_barrier
	s_and_b64 s[12:13], s[10:11], s[16:17]
	s_mov_b64 s[10:11], exec
	v_writelane_b32 v41, s12, 23
	v_writelane_b32 v41, s13, 24
	s_and_b64 s[12:13], s[10:11], s[12:13]
	s_mov_b64 exec, s[12:13]
	s_cbranch_execz .LBB130_256
; %bb.255:
	v_lshlrev_b32_e32 v31, 3, v27
	ds_read_b64 v[31:32], v31 offset:10368
	ds_read_b64 v[33:34], v28
	s_waitcnt lgkmcnt(0)
	v_fma_f64 v[11:12], v[31:32], v[33:34], v[11:12]
.LBB130_256:
	s_or_b64 exec, exec, s[10:11]
	v_cmp_eq_u32_e64 s[10:11], 5, v27
	s_barrier
	s_and_b64 s[12:13], s[10:11], s[16:17]
	s_mov_b64 s[10:11], exec
	v_writelane_b32 v41, s12, 25
	v_writelane_b32 v41, s13, 26
	s_and_b64 s[12:13], s[10:11], s[12:13]
	s_mov_b64 exec, s[12:13]
	s_cbranch_execz .LBB130_258
; %bb.257:
	v_mov_b32_e32 v31, 0
	ds_read_b64 v[31:32], v31 offset:10920
	s_waitcnt lgkmcnt(0)
	v_mul_f64 v[11:12], v[11:12], v[31:32]
	ds_write_b64 v28, v[11:12]
.LBB130_258:
	s_or_b64 exec, exec, s[10:11]
	v_cmp_lt_u32_e64 s[10:11], 5, v27
	s_waitcnt lgkmcnt(0)
	s_barrier
	s_and_b64 s[12:13], s[10:11], s[16:17]
	s_mov_b64 s[10:11], exec
	v_writelane_b32 v41, s12, 27
	v_writelane_b32 v41, s13, 28
	s_and_b64 s[12:13], s[10:11], s[12:13]
	s_mov_b64 exec, s[12:13]
	s_cbranch_execz .LBB130_260
; %bb.259:
	v_lshlrev_b32_e32 v31, 3, v27
	ds_read_b64 v[31:32], v31 offset:10880
	ds_read_b64 v[33:34], v28
	s_waitcnt lgkmcnt(0)
	v_fma_f64 v[11:12], v[31:32], v[33:34], v[11:12]
.LBB130_260:
	s_or_b64 exec, exec, s[10:11]
	v_cmp_eq_u32_e64 s[10:11], 6, v27
	s_barrier
	s_and_b64 s[12:13], s[10:11], s[16:17]
	s_mov_b64 s[10:11], exec
	v_writelane_b32 v41, s12, 29
	v_writelane_b32 v41, s13, 30
	s_and_b64 s[12:13], s[10:11], s[12:13]
	s_mov_b64 exec, s[12:13]
	s_cbranch_execz .LBB130_262
; %bb.261:
	v_mov_b32_e32 v31, 0
	ds_read_b64 v[31:32], v31 offset:11440
	s_waitcnt lgkmcnt(0)
	v_mul_f64 v[11:12], v[11:12], v[31:32]
	ds_write_b64 v28, v[11:12]
.LBB130_262:
	s_or_b64 exec, exec, s[10:11]
	v_cmp_lt_u32_e64 s[10:11], 6, v27
	s_waitcnt lgkmcnt(0)
	s_barrier
	s_and_b64 s[12:13], s[10:11], s[16:17]
	s_mov_b64 s[10:11], exec
	v_writelane_b32 v41, s12, 31
	v_writelane_b32 v41, s13, 32
	s_and_b64 s[12:13], s[10:11], s[12:13]
	s_mov_b64 exec, s[12:13]
	s_cbranch_execz .LBB130_264
; %bb.263:
	v_lshlrev_b32_e32 v31, 3, v27
	ds_read_b64 v[31:32], v31 offset:11392
	ds_read_b64 v[33:34], v28
	s_waitcnt lgkmcnt(0)
	v_fma_f64 v[11:12], v[31:32], v[33:34], v[11:12]
.LBB130_264:
	s_or_b64 exec, exec, s[10:11]
	v_cmp_eq_u32_e64 s[10:11], 7, v27
	s_barrier
	s_and_b64 s[12:13], s[10:11], s[16:17]
	s_mov_b64 s[10:11], exec
	v_writelane_b32 v41, s12, 33
	v_writelane_b32 v41, s13, 34
	s_and_b64 s[12:13], s[10:11], s[12:13]
	s_mov_b64 exec, s[12:13]
	s_cbranch_execz .LBB130_266
; %bb.265:
	v_mov_b32_e32 v31, 0
	ds_read_b64 v[31:32], v31 offset:11960
	s_waitcnt lgkmcnt(0)
	v_mul_f64 v[11:12], v[11:12], v[31:32]
	ds_write_b64 v28, v[11:12]
.LBB130_266:
	s_or_b64 exec, exec, s[10:11]
	v_cmp_lt_u32_e64 s[10:11], 7, v27
	s_waitcnt lgkmcnt(0)
	s_barrier
	s_and_b64 s[12:13], s[10:11], s[16:17]
	s_mov_b64 s[10:11], exec
	v_writelane_b32 v41, s12, 35
	v_writelane_b32 v41, s13, 36
	s_and_b64 s[12:13], s[10:11], s[12:13]
	s_mov_b64 exec, s[12:13]
	s_cbranch_execz .LBB130_268
; %bb.267:
	v_lshlrev_b32_e32 v31, 3, v27
	ds_read_b64 v[31:32], v31 offset:11904
	ds_read_b64 v[33:34], v28
	s_waitcnt lgkmcnt(0)
	v_fma_f64 v[11:12], v[31:32], v[33:34], v[11:12]
.LBB130_268:
	s_or_b64 exec, exec, s[10:11]
	v_cmp_eq_u32_e64 s[10:11], 8, v27
	s_barrier
	s_and_b64 s[12:13], s[10:11], s[16:17]
	s_mov_b64 s[10:11], exec
	v_writelane_b32 v41, s12, 37
	v_writelane_b32 v41, s13, 38
	s_and_b64 s[12:13], s[10:11], s[12:13]
	s_mov_b64 exec, s[12:13]
	s_cbranch_execz .LBB130_270
; %bb.269:
	v_mov_b32_e32 v31, 0
	ds_read_b64 v[31:32], v31 offset:12480
	s_waitcnt lgkmcnt(0)
	v_mul_f64 v[11:12], v[11:12], v[31:32]
	ds_write_b64 v28, v[11:12]
.LBB130_270:
	s_or_b64 exec, exec, s[10:11]
	v_cmp_lt_u32_e64 s[10:11], 8, v27
	s_waitcnt lgkmcnt(0)
	s_barrier
	s_and_b64 s[12:13], s[10:11], s[16:17]
	s_mov_b64 s[10:11], exec
	v_writelane_b32 v41, s12, 39
	v_writelane_b32 v41, s13, 40
	s_and_b64 s[12:13], s[10:11], s[12:13]
	s_mov_b64 exec, s[12:13]
	s_cbranch_execz .LBB130_272
; %bb.271:
	v_lshlrev_b32_e32 v31, 3, v27
	ds_read_b64 v[31:32], v31 offset:12416
	ds_read_b64 v[33:34], v28
	s_waitcnt lgkmcnt(0)
	v_fma_f64 v[11:12], v[31:32], v[33:34], v[11:12]
.LBB130_272:
	s_or_b64 exec, exec, s[10:11]
	v_cmp_eq_u32_e64 s[10:11], 9, v27
	s_barrier
	s_and_b64 s[12:13], s[10:11], s[16:17]
	s_mov_b64 s[10:11], exec
	v_writelane_b32 v41, s12, 41
	v_writelane_b32 v41, s13, 42
	s_and_b64 s[12:13], s[10:11], s[12:13]
	s_mov_b64 exec, s[12:13]
	s_cbranch_execz .LBB130_274
; %bb.273:
	v_mov_b32_e32 v31, 0
	ds_read_b64 v[31:32], v31 offset:13000
	s_waitcnt lgkmcnt(0)
	v_mul_f64 v[11:12], v[11:12], v[31:32]
	ds_write_b64 v28, v[11:12]
.LBB130_274:
	s_or_b64 exec, exec, s[10:11]
	v_cmp_lt_u32_e64 s[10:11], 9, v27
	s_waitcnt lgkmcnt(0)
	s_barrier
	s_and_b64 s[12:13], s[10:11], s[16:17]
	s_mov_b64 s[10:11], exec
	v_writelane_b32 v41, s12, 43
	v_writelane_b32 v41, s13, 44
	s_and_b64 s[12:13], s[10:11], s[12:13]
	s_mov_b64 exec, s[12:13]
	s_cbranch_execz .LBB130_276
; %bb.275:
	v_lshlrev_b32_e32 v31, 3, v27
	ds_read_b64 v[31:32], v31 offset:12928
	ds_read_b64 v[33:34], v28
	s_waitcnt lgkmcnt(0)
	v_fma_f64 v[11:12], v[31:32], v[33:34], v[11:12]
.LBB130_276:
	s_or_b64 exec, exec, s[10:11]
	v_cmp_eq_u32_e64 s[10:11], 10, v27
	s_barrier
	s_and_b64 s[12:13], s[10:11], s[16:17]
	s_mov_b64 s[10:11], exec
	v_writelane_b32 v41, s12, 45
	v_writelane_b32 v41, s13, 46
	s_and_b64 s[12:13], s[10:11], s[12:13]
	s_mov_b64 exec, s[12:13]
	s_cbranch_execz .LBB130_278
; %bb.277:
	v_mov_b32_e32 v31, 0
	ds_read_b64 v[31:32], v31 offset:13520
	s_waitcnt lgkmcnt(0)
	v_mul_f64 v[11:12], v[11:12], v[31:32]
	ds_write_b64 v28, v[11:12]
.LBB130_278:
	s_or_b64 exec, exec, s[10:11]
	v_cmp_lt_u32_e64 s[10:11], 10, v27
	s_waitcnt lgkmcnt(0)
	s_barrier
	s_and_b64 s[12:13], s[10:11], s[16:17]
	s_mov_b64 s[10:11], exec
	v_writelane_b32 v41, s12, 47
	v_writelane_b32 v41, s13, 48
	s_and_b64 s[12:13], s[10:11], s[12:13]
	s_mov_b64 exec, s[12:13]
	s_cbranch_execz .LBB130_280
; %bb.279:
	v_lshlrev_b32_e32 v31, 3, v27
	ds_read_b64 v[31:32], v31 offset:13440
	ds_read_b64 v[33:34], v28
	s_waitcnt lgkmcnt(0)
	v_fma_f64 v[11:12], v[31:32], v[33:34], v[11:12]
.LBB130_280:
	s_or_b64 exec, exec, s[10:11]
	v_cmp_eq_u32_e64 s[10:11], 11, v27
	s_barrier
	s_and_b64 s[12:13], s[10:11], s[16:17]
	s_mov_b64 s[10:11], exec
	v_writelane_b32 v41, s12, 49
	v_writelane_b32 v41, s13, 50
	s_and_b64 s[12:13], s[10:11], s[12:13]
	s_mov_b64 exec, s[12:13]
	s_cbranch_execz .LBB130_282
; %bb.281:
	v_mov_b32_e32 v31, 0
	ds_read_b64 v[31:32], v31 offset:14040
	s_waitcnt lgkmcnt(0)
	v_mul_f64 v[11:12], v[11:12], v[31:32]
	ds_write_b64 v28, v[11:12]
.LBB130_282:
	s_or_b64 exec, exec, s[10:11]
	v_cmp_lt_u32_e64 s[10:11], 11, v27
	s_waitcnt lgkmcnt(0)
	s_barrier
	s_and_b64 s[12:13], s[10:11], s[16:17]
	s_mov_b64 s[10:11], exec
	v_writelane_b32 v41, s12, 51
	v_writelane_b32 v41, s13, 52
	s_and_b64 s[12:13], s[10:11], s[12:13]
	s_mov_b64 exec, s[12:13]
	s_cbranch_execz .LBB130_284
; %bb.283:
	v_lshlrev_b32_e32 v31, 3, v27
	ds_read_b64 v[31:32], v31 offset:13952
	ds_read_b64 v[33:34], v28
	s_waitcnt lgkmcnt(0)
	v_fma_f64 v[11:12], v[31:32], v[33:34], v[11:12]
.LBB130_284:
	s_or_b64 exec, exec, s[10:11]
	v_cmp_eq_u32_e64 s[10:11], 12, v27
	s_and_b64 s[90:91], s[10:11], s[16:17]
	s_barrier
	s_and_saveexec_b64 s[10:11], s[90:91]
	s_cbranch_execz .LBB130_286
; %bb.285:
	v_mov_b32_e32 v31, 0
	ds_read_b64 v[31:32], v31 offset:14560
	s_waitcnt lgkmcnt(0)
	v_mul_f64 v[11:12], v[11:12], v[31:32]
	ds_write_b64 v28, v[11:12]
.LBB130_286:
	s_or_b64 exec, exec, s[10:11]
	v_cmp_lt_u32_e64 s[10:11], 12, v27
	s_and_b64 s[92:93], s[10:11], s[16:17]
	s_waitcnt lgkmcnt(0)
	s_barrier
	s_and_saveexec_b64 s[10:11], s[92:93]
	s_cbranch_execz .LBB130_288
; %bb.287:
	v_lshlrev_b32_e32 v31, 3, v27
	ds_read_b64 v[31:32], v31 offset:14464
	ds_read_b64 v[33:34], v28
	s_waitcnt lgkmcnt(0)
	v_fma_f64 v[11:12], v[31:32], v[33:34], v[11:12]
.LBB130_288:
	s_or_b64 exec, exec, s[10:11]
	v_cmp_eq_u32_e64 s[10:11], 13, v27
	s_and_b64 s[94:95], s[10:11], s[16:17]
	s_barrier
	s_and_saveexec_b64 s[10:11], s[94:95]
	s_cbranch_execz .LBB130_290
; %bb.289:
	v_mov_b32_e32 v31, 0
	ds_read_b64 v[31:32], v31 offset:15080
	s_waitcnt lgkmcnt(0)
	v_mul_f64 v[11:12], v[11:12], v[31:32]
	ds_write_b64 v28, v[11:12]
.LBB130_290:
	s_or_b64 exec, exec, s[10:11]
	v_cmp_lt_u32_e64 s[10:11], 13, v27
	s_and_b64 s[28:29], s[10:11], s[16:17]
	s_waitcnt lgkmcnt(0)
	s_barrier
	s_and_saveexec_b64 s[10:11], s[28:29]
	s_cbranch_execz .LBB130_292
; %bb.291:
	v_lshlrev_b32_e32 v31, 3, v27
	ds_read_b64 v[31:32], v31 offset:14976
	ds_read_b64 v[33:34], v28
	s_waitcnt lgkmcnt(0)
	v_fma_f64 v[11:12], v[31:32], v[33:34], v[11:12]
.LBB130_292:
	s_or_b64 exec, exec, s[10:11]
	v_cmp_eq_u32_e64 s[10:11], 14, v27
	s_and_b64 s[30:31], s[10:11], s[16:17]
	s_barrier
	s_and_saveexec_b64 s[10:11], s[30:31]
	s_cbranch_execz .LBB130_294
; %bb.293:
	v_mov_b32_e32 v31, 0
	ds_read_b64 v[31:32], v31 offset:15600
	s_waitcnt lgkmcnt(0)
	v_mul_f64 v[11:12], v[11:12], v[31:32]
	ds_write_b64 v28, v[11:12]
.LBB130_294:
	s_or_b64 exec, exec, s[10:11]
	v_cmp_eq_u32_e64 s[10:11], 15, v27
	s_and_b64 s[82:83], s[10:11], s[16:17]
	s_waitcnt lgkmcnt(0)
	s_barrier
	s_and_saveexec_b64 s[10:11], s[82:83]
	s_cbranch_execz .LBB130_296
; %bb.295:
	v_mov_b32_e32 v31, 0
	ds_read_b64 v[31:32], v31 offset:15608
	ds_read_b64 v[33:34], v28
	s_waitcnt lgkmcnt(0)
	v_fma_f64 v[11:12], v[31:32], v[33:34], v[11:12]
.LBB130_296:
	s_or_b64 exec, exec, s[10:11]
	s_barrier
	s_and_saveexec_b64 s[10:11], s[82:83]
	s_cbranch_execz .LBB130_298
; %bb.297:
	v_mov_b32_e32 v31, 0
	ds_read_b64 v[31:32], v31 offset:16120
	s_waitcnt lgkmcnt(0)
	v_mul_f64 v[11:12], v[11:12], v[31:32]
	ds_write_b64 v28, v[11:12]
.LBB130_298:
	s_or_b64 exec, exec, s[10:11]
	s_waitcnt lgkmcnt(0)
	s_barrier
	s_barrier
	s_and_saveexec_b64 s[10:11], s[8:9]
; %bb.299:
	v_xor_b32_e32 v12, 0x80000000, v12
	ds_write_b64 v26, v[11:12] offset:128
; %bb.300:
	s_or_b64 exec, exec, s[10:11]
	s_waitcnt lgkmcnt(0)
	s_barrier
	s_barrier
	s_and_saveexec_b64 s[10:11], vcc
	s_cbranch_execz .LBB130_302
; %bb.301:
	v_mov_b32_e32 v35, 0
	ds_read_b128 v[31:34], v35 offset:8320
	ds_read_b64 v[11:12], v35 offset:8840
	s_waitcnt lgkmcnt(0)
	v_mul_f64 v[11:12], v[31:32], v[11:12]
	v_mul_f64 v[11:12], v[33:34], v[11:12]
	ds_write_b64 v35, v[11:12] offset:8328
.LBB130_302:
	s_or_b64 exec, exec, s[10:11]
	v_mov_b32_e32 v11, 0
	v_mov_b32_e32 v12, 0
	s_waitcnt lgkmcnt(0)
	s_barrier
	s_and_saveexec_b64 s[12:13], s[0:1]
	s_cbranch_execz .LBB130_306
; %bb.303:
	v_mul_u32_u24_e32 v31, 0x208, v15
	ds_read_b64 v[11:12], v1 offset:8336
	ds_read_b64 v[31:32], v31 offset:8320
	v_cmp_gt_u32_e64 s[10:11], 2, v14
	s_waitcnt lgkmcnt(0)
	v_fma_f64 v[11:12], v[11:12], v[31:32], 0
	s_and_saveexec_b64 s[16:17], s[10:11]
	s_cbranch_execz .LBB130_305
; %bb.304:
	v_lshlrev_b32_e32 v31, 3, v0
	v_mov_b32_e32 v33, 0
	ds_read_b64 v[31:32], v31 offset:8848
	ds_read_b64 v[33:34], v33 offset:8328
	s_waitcnt lgkmcnt(0)
	v_fma_f64 v[11:12], v[31:32], v[33:34], v[11:12]
.LBB130_305:
	s_or_b64 exec, exec, s[16:17]
	v_xor_b32_e32 v12, 0x80000000, v12
.LBB130_306:
	s_or_b64 exec, exec, s[12:13]
	s_and_saveexec_b64 s[10:11], s[38:39]
	s_cbranch_execz .LBB130_308
; %bb.307:
	v_mov_b32_e32 v31, 0
	ds_read_b64 v[31:32], v31 offset:9360
	s_waitcnt lgkmcnt(0)
	v_mul_f64 v[11:12], v[11:12], v[31:32]
	ds_write_b64 v13, v[11:12]
.LBB130_308:
	s_or_b64 exec, exec, s[10:11]
	s_waitcnt lgkmcnt(0)
	s_barrier
	s_and_saveexec_b64 s[10:11], s[36:37]
	s_cbranch_execz .LBB130_310
; %bb.309:
	v_mov_b32_e32 v31, 0
	ds_read_b64 v[31:32], v31 offset:9368
	ds_read_b64 v[33:34], v13
	s_waitcnt lgkmcnt(0)
	v_fma_f64 v[11:12], v[31:32], v[33:34], v[11:12]
.LBB130_310:
	s_or_b64 exec, exec, s[10:11]
	s_barrier
	s_and_saveexec_b64 s[10:11], s[36:37]
	s_cbranch_execz .LBB130_312
; %bb.311:
	v_mov_b32_e32 v31, 0
	ds_read_b64 v[31:32], v31 offset:9880
	s_waitcnt lgkmcnt(0)
	v_mul_f64 v[11:12], v[11:12], v[31:32]
	ds_write_b64 v13, v[11:12]
.LBB130_312:
	s_or_b64 exec, exec, s[10:11]
	s_waitcnt lgkmcnt(0)
	s_barrier
	s_barrier
	s_and_saveexec_b64 s[10:11], s[0:1]
; %bb.313:
	v_xor_b32_e32 v12, 0x80000000, v12
	ds_write_b64 v1, v[11:12] offset:8336
; %bb.314:
	s_or_b64 exec, exec, s[10:11]
	s_waitcnt lgkmcnt(0)
	s_barrier
	s_barrier
	s_and_saveexec_b64 s[10:11], vcc
	s_cbranch_execz .LBB130_316
; %bb.315:
	v_mov_b32_e32 v35, 0
	ds_read_b128 v[31:34], v35 offset:9360
	ds_read_b64 v[11:12], v35 offset:9880
	s_waitcnt lgkmcnt(0)
	v_mul_f64 v[11:12], v[31:32], v[11:12]
	v_mul_f64 v[11:12], v[33:34], v[11:12]
	ds_write_b64 v35, v[11:12] offset:9368
.LBB130_316:
	s_or_b64 exec, exec, s[10:11]
	v_mov_b32_e32 v11, 0
	v_mov_b32_e32 v12, 0
	s_waitcnt lgkmcnt(0)
	s_barrier
	s_and_saveexec_b64 s[12:13], s[2:3]
	s_cbranch_execz .LBB130_322
; %bb.317:
	v_mul_u32_u24_e32 v31, 0x208, v20
	ds_read_b64 v[11:12], v16 offset:8352
	ds_read_b64 v[32:33], v31 offset:8320
	v_cmp_gt_u32_e64 s[10:11], 12, v14
	s_waitcnt lgkmcnt(0)
	v_fma_f64 v[11:12], v[11:12], v[32:33], 0
	s_and_saveexec_b64 s[16:17], s[10:11]
	s_cbranch_execnz .LBB130_1050
; %bb.318:
	s_or_b64 exec, exec, s[16:17]
	v_cmp_gt_u32_e64 s[10:11], 8, v14
	s_and_saveexec_b64 s[16:17], s[10:11]
	s_cbranch_execnz .LBB130_1051
.LBB130_319:
	s_or_b64 exec, exec, s[16:17]
	v_cmp_gt_u32_e64 s[10:11], 4, v14
	s_and_saveexec_b64 s[16:17], s[10:11]
	s_cbranch_execz .LBB130_321
.LBB130_320:
	v_lshlrev_b32_e32 v31, 3, v0
	v_mov_b32_e32 v33, 0
	ds_read_b64 v[31:32], v31 offset:9888
	ds_read_b64 v[33:34], v33 offset:8344
	s_waitcnt lgkmcnt(0)
	v_fma_f64 v[11:12], v[31:32], v[33:34], v[11:12]
.LBB130_321:
	s_or_b64 exec, exec, s[16:17]
	v_xor_b32_e32 v12, 0x80000000, v12
.LBB130_322:
	s_or_b64 exec, exec, s[12:13]
	s_and_saveexec_b64 s[10:11], s[42:43]
	s_cbranch_execz .LBB130_324
; %bb.323:
	v_mov_b32_e32 v31, 0
	ds_read_b64 v[31:32], v31 offset:10400
	s_waitcnt lgkmcnt(0)
	v_mul_f64 v[11:12], v[11:12], v[31:32]
	ds_write_b64 v18, v[11:12]
.LBB130_324:
	s_or_b64 exec, exec, s[10:11]
	s_waitcnt lgkmcnt(0)
	s_barrier
	s_and_saveexec_b64 s[10:11], s[44:45]
	s_cbranch_execz .LBB130_326
; %bb.325:
	ds_read_b64 v[31:32], v17 offset:10400
	ds_read_b64 v[33:34], v18
	s_waitcnt lgkmcnt(0)
	v_fma_f64 v[11:12], v[31:32], v[33:34], v[11:12]
.LBB130_326:
	s_or_b64 exec, exec, s[10:11]
	s_barrier
	s_and_saveexec_b64 s[10:11], s[46:47]
	s_cbranch_execz .LBB130_328
; %bb.327:
	v_mov_b32_e32 v31, 0
	ds_read_b64 v[31:32], v31 offset:10920
	s_waitcnt lgkmcnt(0)
	v_mul_f64 v[11:12], v[11:12], v[31:32]
	ds_write_b64 v18, v[11:12]
.LBB130_328:
	s_or_b64 exec, exec, s[10:11]
	s_waitcnt lgkmcnt(0)
	s_barrier
	s_and_saveexec_b64 s[10:11], s[48:49]
	s_cbranch_execz .LBB130_330
; %bb.329:
	ds_read_b64 v[31:32], v17 offset:10912
	ds_read_b64 v[33:34], v18
	s_waitcnt lgkmcnt(0)
	v_fma_f64 v[11:12], v[31:32], v[33:34], v[11:12]
.LBB130_330:
	s_or_b64 exec, exec, s[10:11]
	s_barrier
	s_and_saveexec_b64 s[10:11], s[50:51]
	s_cbranch_execz .LBB130_332
; %bb.331:
	v_mov_b32_e32 v31, 0
	ds_read_b64 v[31:32], v31 offset:11440
	s_waitcnt lgkmcnt(0)
	v_mul_f64 v[11:12], v[11:12], v[31:32]
	ds_write_b64 v18, v[11:12]
.LBB130_332:
	s_or_b64 exec, exec, s[10:11]
	s_waitcnt lgkmcnt(0)
	s_barrier
	s_and_saveexec_b64 s[10:11], s[40:41]
	s_cbranch_execz .LBB130_334
; %bb.333:
	v_mov_b32_e32 v31, 0
	ds_read_b64 v[31:32], v31 offset:11448
	ds_read_b64 v[33:34], v18
	s_waitcnt lgkmcnt(0)
	v_fma_f64 v[11:12], v[31:32], v[33:34], v[11:12]
.LBB130_334:
	s_or_b64 exec, exec, s[10:11]
	s_barrier
	s_and_saveexec_b64 s[10:11], s[40:41]
	s_cbranch_execz .LBB130_336
; %bb.335:
	v_mov_b32_e32 v31, 0
	ds_read_b64 v[31:32], v31 offset:11960
	s_waitcnt lgkmcnt(0)
	v_mul_f64 v[11:12], v[11:12], v[31:32]
	ds_write_b64 v18, v[11:12]
.LBB130_336:
	s_or_b64 exec, exec, s[10:11]
	s_waitcnt lgkmcnt(0)
	s_barrier
	s_barrier
	s_and_saveexec_b64 s[10:11], s[2:3]
; %bb.337:
	v_xor_b32_e32 v12, 0x80000000, v12
	ds_write_b64 v16, v[11:12] offset:8352
; %bb.338:
	s_or_b64 exec, exec, s[10:11]
	s_waitcnt lgkmcnt(0)
	s_barrier
	s_barrier
	s_and_saveexec_b64 s[10:11], vcc
	s_cbranch_execz .LBB130_340
; %bb.339:
	v_mov_b32_e32 v35, 0
	ds_read_b128 v[31:34], v35 offset:10400
	ds_read_b64 v[11:12], v35 offset:10920
	s_waitcnt lgkmcnt(0)
	v_mul_f64 v[11:12], v[31:32], v[11:12]
	v_mul_f64 v[11:12], v[33:34], v[11:12]
	ds_write_b64 v35, v[11:12] offset:10408
.LBB130_340:
	s_or_b64 exec, exec, s[10:11]
	v_mov_b32_e32 v11, 0
	v_mov_b32_e32 v12, 0
	s_waitcnt lgkmcnt(0)
	s_barrier
	s_and_saveexec_b64 s[12:13], s[0:1]
	s_cbranch_execz .LBB130_344
; %bb.341:
	v_mul_u32_u24_e32 v31, 0x208, v15
	ds_read_b64 v[11:12], v1 offset:10416
	ds_read_b64 v[31:32], v31 offset:10400
	v_cmp_gt_u32_e64 s[10:11], 2, v14
	s_waitcnt lgkmcnt(0)
	v_fma_f64 v[11:12], v[11:12], v[31:32], 0
	s_and_saveexec_b64 s[16:17], s[10:11]
	s_cbranch_execz .LBB130_343
; %bb.342:
	v_lshlrev_b32_e32 v31, 3, v0
	v_mov_b32_e32 v33, 0
	ds_read_b64 v[31:32], v31 offset:10928
	ds_read_b64 v[33:34], v33 offset:10408
	s_waitcnt lgkmcnt(0)
	v_fma_f64 v[11:12], v[31:32], v[33:34], v[11:12]
.LBB130_343:
	s_or_b64 exec, exec, s[16:17]
	v_xor_b32_e32 v12, 0x80000000, v12
.LBB130_344:
	s_or_b64 exec, exec, s[12:13]
	s_and_saveexec_b64 s[10:11], s[38:39]
	s_cbranch_execz .LBB130_346
; %bb.345:
	v_mov_b32_e32 v31, 0
	ds_read_b64 v[31:32], v31 offset:11440
	s_waitcnt lgkmcnt(0)
	v_mul_f64 v[11:12], v[11:12], v[31:32]
	ds_write_b64 v13, v[11:12]
.LBB130_346:
	s_or_b64 exec, exec, s[10:11]
	s_waitcnt lgkmcnt(0)
	s_barrier
	s_and_saveexec_b64 s[10:11], s[36:37]
	s_cbranch_execz .LBB130_348
; %bb.347:
	v_mov_b32_e32 v31, 0
	ds_read_b64 v[31:32], v31 offset:11448
	ds_read_b64 v[33:34], v13
	s_waitcnt lgkmcnt(0)
	v_fma_f64 v[11:12], v[31:32], v[33:34], v[11:12]
.LBB130_348:
	s_or_b64 exec, exec, s[10:11]
	s_barrier
	s_and_saveexec_b64 s[10:11], s[36:37]
	s_cbranch_execz .LBB130_350
; %bb.349:
	v_mov_b32_e32 v31, 0
	ds_read_b64 v[31:32], v31 offset:11960
	s_waitcnt lgkmcnt(0)
	v_mul_f64 v[11:12], v[11:12], v[31:32]
	ds_write_b64 v13, v[11:12]
.LBB130_350:
	s_or_b64 exec, exec, s[10:11]
	s_waitcnt lgkmcnt(0)
	s_barrier
	s_barrier
	s_and_saveexec_b64 s[10:11], s[0:1]
; %bb.351:
	v_xor_b32_e32 v12, 0x80000000, v12
	ds_write_b64 v1, v[11:12] offset:10416
; %bb.352:
	s_or_b64 exec, exec, s[10:11]
	s_waitcnt lgkmcnt(0)
	s_barrier
	s_barrier
	s_and_saveexec_b64 s[10:11], vcc
	s_cbranch_execz .LBB130_354
; %bb.353:
	v_mov_b32_e32 v35, 0
	ds_read_b128 v[31:34], v35 offset:11440
	ds_read_b64 v[11:12], v35 offset:11960
	s_waitcnt lgkmcnt(0)
	v_mul_f64 v[11:12], v[31:32], v[11:12]
	v_mul_f64 v[11:12], v[33:34], v[11:12]
	ds_write_b64 v35, v[11:12] offset:11448
.LBB130_354:
	s_or_b64 exec, exec, s[10:11]
	v_mov_b32_e32 v11, 0
	v_mov_b32_e32 v12, 0
	s_waitcnt lgkmcnt(0)
	s_barrier
	s_and_saveexec_b64 s[12:13], s[14:15]
	s_cbranch_execz .LBB130_364
; %bb.355:
	v_mul_u32_u24_e32 v31, 0x208, v25
	ds_read_b64 v[11:12], v21 offset:8384
	ds_read_b64 v[32:33], v31 offset:8320
	v_cmp_gt_u32_e64 s[10:11], 56, v14
	s_waitcnt lgkmcnt(0)
	v_fma_f64 v[11:12], v[11:12], v[32:33], 0
	s_and_saveexec_b64 s[16:17], s[10:11]
	s_cbranch_execnz .LBB130_1052
; %bb.356:
	s_or_b64 exec, exec, s[16:17]
	v_cmp_gt_u32_e64 s[10:11], 48, v14
	s_and_saveexec_b64 s[16:17], s[10:11]
	s_cbranch_execnz .LBB130_1053
.LBB130_357:
	s_or_b64 exec, exec, s[16:17]
	v_cmp_gt_u32_e64 s[10:11], 40, v14
	s_and_saveexec_b64 s[16:17], s[10:11]
	s_cbranch_execnz .LBB130_1054
.LBB130_358:
	s_or_b64 exec, exec, s[16:17]
	v_cmp_gt_u32_e64 s[10:11], 32, v14
	s_and_saveexec_b64 s[16:17], s[10:11]
	s_cbranch_execnz .LBB130_1055
.LBB130_359:
	s_or_b64 exec, exec, s[16:17]
	v_cmp_gt_u32_e64 s[10:11], 24, v14
	s_and_saveexec_b64 s[16:17], s[10:11]
	s_cbranch_execnz .LBB130_1056
.LBB130_360:
	s_or_b64 exec, exec, s[16:17]
	v_cmp_gt_u32_e64 s[10:11], 16, v14
	s_and_saveexec_b64 s[16:17], s[10:11]
	s_cbranch_execnz .LBB130_1057
.LBB130_361:
	s_or_b64 exec, exec, s[16:17]
	v_cmp_gt_u32_e64 s[10:11], 8, v14
	s_and_saveexec_b64 s[16:17], s[10:11]
	s_cbranch_execz .LBB130_363
.LBB130_362:
	v_lshlrev_b32_e32 v31, 3, v0
	v_mov_b32_e32 v33, 0
	ds_read_b64 v[31:32], v31 offset:11968
	ds_read_b64 v[33:34], v33 offset:8376
	s_waitcnt lgkmcnt(0)
	v_fma_f64 v[11:12], v[31:32], v[33:34], v[11:12]
.LBB130_363:
	s_or_b64 exec, exec, s[16:17]
	v_xor_b32_e32 v12, 0x80000000, v12
.LBB130_364:
	s_or_b64 exec, exec, s[12:13]
	s_and_saveexec_b64 s[10:11], s[52:53]
	s_cbranch_execz .LBB130_366
; %bb.365:
	v_mov_b32_e32 v31, 0
	ds_read_b64 v[31:32], v31 offset:12480
	s_waitcnt lgkmcnt(0)
	v_mul_f64 v[11:12], v[11:12], v[31:32]
	ds_write_b64 v23, v[11:12]
.LBB130_366:
	s_or_b64 exec, exec, s[10:11]
	s_waitcnt lgkmcnt(0)
	s_barrier
	s_and_saveexec_b64 s[10:11], s[54:55]
	s_cbranch_execz .LBB130_368
; %bb.367:
	ds_read_b64 v[31:32], v22 offset:12480
	ds_read_b64 v[33:34], v23
	s_waitcnt lgkmcnt(0)
	v_fma_f64 v[11:12], v[31:32], v[33:34], v[11:12]
.LBB130_368:
	s_or_b64 exec, exec, s[10:11]
	s_barrier
	s_and_saveexec_b64 s[10:11], s[56:57]
	s_cbranch_execz .LBB130_370
; %bb.369:
	v_mov_b32_e32 v31, 0
	ds_read_b64 v[31:32], v31 offset:13000
	s_waitcnt lgkmcnt(0)
	v_mul_f64 v[11:12], v[11:12], v[31:32]
	ds_write_b64 v23, v[11:12]
.LBB130_370:
	s_or_b64 exec, exec, s[10:11]
	s_waitcnt lgkmcnt(0)
	s_barrier
	s_and_saveexec_b64 s[10:11], s[58:59]
	s_cbranch_execz .LBB130_372
; %bb.371:
	ds_read_b64 v[31:32], v22 offset:12992
	ds_read_b64 v[33:34], v23
	s_waitcnt lgkmcnt(0)
	v_fma_f64 v[11:12], v[31:32], v[33:34], v[11:12]
.LBB130_372:
	s_or_b64 exec, exec, s[10:11]
	s_barrier
	;; [unrolled: 22-line block ×6, first 2 shown]
	s_and_saveexec_b64 s[10:11], s[78:79]
	s_cbranch_execz .LBB130_390
; %bb.389:
	v_mov_b32_e32 v31, 0
	ds_read_b64 v[31:32], v31 offset:15600
	s_waitcnt lgkmcnt(0)
	v_mul_f64 v[11:12], v[11:12], v[31:32]
	ds_write_b64 v23, v[11:12]
.LBB130_390:
	s_or_b64 exec, exec, s[10:11]
	s_waitcnt lgkmcnt(0)
	s_barrier
	s_and_saveexec_b64 s[10:11], s[62:63]
	s_cbranch_execz .LBB130_392
; %bb.391:
	v_mov_b32_e32 v31, 0
	ds_read_b64 v[31:32], v31 offset:15608
	ds_read_b64 v[33:34], v23
	s_waitcnt lgkmcnt(0)
	v_fma_f64 v[11:12], v[31:32], v[33:34], v[11:12]
.LBB130_392:
	s_or_b64 exec, exec, s[10:11]
	s_barrier
	s_and_saveexec_b64 s[10:11], s[62:63]
	s_cbranch_execz .LBB130_394
; %bb.393:
	v_mov_b32_e32 v31, 0
	ds_read_b64 v[31:32], v31 offset:16120
	s_waitcnt lgkmcnt(0)
	v_mul_f64 v[11:12], v[11:12], v[31:32]
	ds_write_b64 v23, v[11:12]
.LBB130_394:
	s_or_b64 exec, exec, s[10:11]
	s_waitcnt lgkmcnt(0)
	s_barrier
	s_barrier
	s_and_saveexec_b64 s[10:11], s[14:15]
; %bb.395:
	v_xor_b32_e32 v12, 0x80000000, v12
	ds_write_b64 v21, v[11:12] offset:8384
; %bb.396:
	s_or_b64 exec, exec, s[10:11]
	s_waitcnt lgkmcnt(0)
	s_barrier
	s_barrier
	s_and_saveexec_b64 s[10:11], vcc
	s_cbranch_execz .LBB130_398
; %bb.397:
	v_mov_b32_e32 v35, 0
	ds_read_b128 v[31:34], v35 offset:12480
	ds_read_b64 v[11:12], v35 offset:13000
	s_waitcnt lgkmcnt(0)
	v_mul_f64 v[11:12], v[31:32], v[11:12]
	v_mul_f64 v[11:12], v[33:34], v[11:12]
	ds_write_b64 v35, v[11:12] offset:12488
.LBB130_398:
	s_or_b64 exec, exec, s[10:11]
	v_mov_b32_e32 v11, 0
	v_mov_b32_e32 v12, 0
	s_waitcnt lgkmcnt(0)
	s_barrier
	s_and_saveexec_b64 s[12:13], s[0:1]
	s_cbranch_execz .LBB130_402
; %bb.399:
	v_mul_u32_u24_e32 v31, 0x208, v15
	ds_read_b64 v[11:12], v1 offset:12496
	ds_read_b64 v[31:32], v31 offset:12480
	v_cmp_gt_u32_e64 s[10:11], 2, v14
	s_waitcnt lgkmcnt(0)
	v_fma_f64 v[11:12], v[11:12], v[31:32], 0
	s_and_saveexec_b64 s[16:17], s[10:11]
	s_cbranch_execz .LBB130_401
; %bb.400:
	v_lshlrev_b32_e32 v31, 3, v0
	v_mov_b32_e32 v33, 0
	ds_read_b64 v[31:32], v31 offset:13008
	ds_read_b64 v[33:34], v33 offset:12488
	s_waitcnt lgkmcnt(0)
	v_fma_f64 v[11:12], v[31:32], v[33:34], v[11:12]
.LBB130_401:
	s_or_b64 exec, exec, s[16:17]
	v_xor_b32_e32 v12, 0x80000000, v12
.LBB130_402:
	s_or_b64 exec, exec, s[12:13]
	s_and_saveexec_b64 s[10:11], s[38:39]
	s_cbranch_execz .LBB130_404
; %bb.403:
	v_mov_b32_e32 v31, 0
	ds_read_b64 v[31:32], v31 offset:13520
	s_waitcnt lgkmcnt(0)
	v_mul_f64 v[11:12], v[11:12], v[31:32]
	ds_write_b64 v13, v[11:12]
.LBB130_404:
	s_or_b64 exec, exec, s[10:11]
	s_waitcnt lgkmcnt(0)
	s_barrier
	s_and_saveexec_b64 s[10:11], s[36:37]
	s_cbranch_execz .LBB130_406
; %bb.405:
	v_mov_b32_e32 v31, 0
	ds_read_b64 v[31:32], v31 offset:13528
	ds_read_b64 v[33:34], v13
	s_waitcnt lgkmcnt(0)
	v_fma_f64 v[11:12], v[31:32], v[33:34], v[11:12]
.LBB130_406:
	s_or_b64 exec, exec, s[10:11]
	s_barrier
	s_and_saveexec_b64 s[10:11], s[36:37]
	s_cbranch_execz .LBB130_408
; %bb.407:
	v_mov_b32_e32 v31, 0
	ds_read_b64 v[31:32], v31 offset:14040
	s_waitcnt lgkmcnt(0)
	v_mul_f64 v[11:12], v[11:12], v[31:32]
	ds_write_b64 v13, v[11:12]
.LBB130_408:
	s_or_b64 exec, exec, s[10:11]
	s_waitcnt lgkmcnt(0)
	s_barrier
	s_barrier
	s_and_saveexec_b64 s[10:11], s[0:1]
; %bb.409:
	v_xor_b32_e32 v12, 0x80000000, v12
	ds_write_b64 v1, v[11:12] offset:12496
; %bb.410:
	s_or_b64 exec, exec, s[10:11]
	s_waitcnt lgkmcnt(0)
	s_barrier
	s_barrier
	s_and_saveexec_b64 s[10:11], vcc
	s_cbranch_execz .LBB130_412
; %bb.411:
	v_mov_b32_e32 v35, 0
	ds_read_b128 v[31:34], v35 offset:13520
	ds_read_b64 v[11:12], v35 offset:14040
	s_waitcnt lgkmcnt(0)
	v_mul_f64 v[11:12], v[31:32], v[11:12]
	v_mul_f64 v[11:12], v[33:34], v[11:12]
	ds_write_b64 v35, v[11:12] offset:13528
.LBB130_412:
	s_or_b64 exec, exec, s[10:11]
	v_mov_b32_e32 v11, 0
	v_mov_b32_e32 v12, 0
	s_waitcnt lgkmcnt(0)
	s_barrier
	s_and_saveexec_b64 s[12:13], s[2:3]
	s_cbranch_execz .LBB130_418
; %bb.413:
	v_mul_u32_u24_e32 v31, 0x208, v20
	ds_read_b64 v[11:12], v16 offset:12512
	ds_read_b64 v[32:33], v31 offset:12480
	v_cmp_gt_u32_e64 s[10:11], 12, v14
	s_waitcnt lgkmcnt(0)
	v_fma_f64 v[11:12], v[11:12], v[32:33], 0
	s_and_saveexec_b64 s[16:17], s[10:11]
	s_cbranch_execnz .LBB130_1058
; %bb.414:
	s_or_b64 exec, exec, s[16:17]
	v_cmp_gt_u32_e64 s[10:11], 8, v14
	s_and_saveexec_b64 s[16:17], s[10:11]
	s_cbranch_execnz .LBB130_1059
.LBB130_415:
	s_or_b64 exec, exec, s[16:17]
	v_cmp_gt_u32_e64 s[10:11], 4, v14
	s_and_saveexec_b64 s[16:17], s[10:11]
	s_cbranch_execz .LBB130_417
.LBB130_416:
	v_lshlrev_b32_e32 v31, 3, v0
	v_mov_b32_e32 v33, 0
	ds_read_b64 v[31:32], v31 offset:14048
	ds_read_b64 v[33:34], v33 offset:12504
	s_waitcnt lgkmcnt(0)
	v_fma_f64 v[11:12], v[31:32], v[33:34], v[11:12]
.LBB130_417:
	s_or_b64 exec, exec, s[16:17]
	v_xor_b32_e32 v12, 0x80000000, v12
.LBB130_418:
	s_or_b64 exec, exec, s[12:13]
	s_and_saveexec_b64 s[10:11], s[42:43]
	s_cbranch_execz .LBB130_420
; %bb.419:
	v_mov_b32_e32 v31, 0
	ds_read_b64 v[31:32], v31 offset:14560
	s_waitcnt lgkmcnt(0)
	v_mul_f64 v[11:12], v[11:12], v[31:32]
	ds_write_b64 v18, v[11:12]
.LBB130_420:
	s_or_b64 exec, exec, s[10:11]
	s_waitcnt lgkmcnt(0)
	s_barrier
	s_and_saveexec_b64 s[10:11], s[44:45]
	s_cbranch_execz .LBB130_422
; %bb.421:
	ds_read_b64 v[31:32], v17 offset:14560
	ds_read_b64 v[33:34], v18
	s_waitcnt lgkmcnt(0)
	v_fma_f64 v[11:12], v[31:32], v[33:34], v[11:12]
.LBB130_422:
	s_or_b64 exec, exec, s[10:11]
	s_barrier
	s_and_saveexec_b64 s[10:11], s[46:47]
	s_cbranch_execz .LBB130_424
; %bb.423:
	v_mov_b32_e32 v31, 0
	ds_read_b64 v[31:32], v31 offset:15080
	s_waitcnt lgkmcnt(0)
	v_mul_f64 v[11:12], v[11:12], v[31:32]
	ds_write_b64 v18, v[11:12]
.LBB130_424:
	s_or_b64 exec, exec, s[10:11]
	s_waitcnt lgkmcnt(0)
	s_barrier
	s_and_saveexec_b64 s[10:11], s[48:49]
	s_cbranch_execz .LBB130_426
; %bb.425:
	ds_read_b64 v[31:32], v17 offset:15072
	ds_read_b64 v[33:34], v18
	s_waitcnt lgkmcnt(0)
	v_fma_f64 v[11:12], v[31:32], v[33:34], v[11:12]
.LBB130_426:
	s_or_b64 exec, exec, s[10:11]
	s_barrier
	s_and_saveexec_b64 s[10:11], s[50:51]
	s_cbranch_execz .LBB130_428
; %bb.427:
	v_mov_b32_e32 v31, 0
	ds_read_b64 v[31:32], v31 offset:15600
	s_waitcnt lgkmcnt(0)
	v_mul_f64 v[11:12], v[11:12], v[31:32]
	ds_write_b64 v18, v[11:12]
.LBB130_428:
	s_or_b64 exec, exec, s[10:11]
	s_waitcnt lgkmcnt(0)
	s_barrier
	s_and_saveexec_b64 s[10:11], s[40:41]
	s_cbranch_execz .LBB130_430
; %bb.429:
	v_mov_b32_e32 v31, 0
	ds_read_b64 v[31:32], v31 offset:15608
	ds_read_b64 v[33:34], v18
	s_waitcnt lgkmcnt(0)
	v_fma_f64 v[11:12], v[31:32], v[33:34], v[11:12]
.LBB130_430:
	s_or_b64 exec, exec, s[10:11]
	s_barrier
	s_and_saveexec_b64 s[10:11], s[40:41]
	s_cbranch_execz .LBB130_432
; %bb.431:
	v_mov_b32_e32 v31, 0
	ds_read_b64 v[31:32], v31 offset:16120
	s_waitcnt lgkmcnt(0)
	v_mul_f64 v[11:12], v[11:12], v[31:32]
	ds_write_b64 v18, v[11:12]
.LBB130_432:
	s_or_b64 exec, exec, s[10:11]
	s_waitcnt lgkmcnt(0)
	s_barrier
	s_barrier
	s_and_saveexec_b64 s[10:11], s[2:3]
; %bb.433:
	v_xor_b32_e32 v12, 0x80000000, v12
	ds_write_b64 v16, v[11:12] offset:12512
; %bb.434:
	s_or_b64 exec, exec, s[10:11]
	s_waitcnt lgkmcnt(0)
	s_barrier
	s_barrier
	s_and_saveexec_b64 s[10:11], vcc
	s_cbranch_execz .LBB130_436
; %bb.435:
	v_mov_b32_e32 v35, 0
	ds_read_b128 v[31:34], v35 offset:14560
	ds_read_b64 v[11:12], v35 offset:15080
	s_waitcnt lgkmcnt(0)
	v_mul_f64 v[11:12], v[31:32], v[11:12]
	v_mul_f64 v[11:12], v[33:34], v[11:12]
	ds_write_b64 v35, v[11:12] offset:14568
.LBB130_436:
	s_or_b64 exec, exec, s[10:11]
	v_mov_b32_e32 v11, 0
	v_mov_b32_e32 v12, 0
	s_waitcnt lgkmcnt(0)
	s_barrier
	s_and_saveexec_b64 s[12:13], s[0:1]
	s_cbranch_execz .LBB130_440
; %bb.437:
	v_mul_u32_u24_e32 v31, 0x208, v15
	ds_read_b64 v[11:12], v1 offset:14576
	ds_read_b64 v[31:32], v31 offset:14560
	v_cmp_gt_u32_e64 s[10:11], 2, v14
	s_waitcnt lgkmcnt(0)
	v_fma_f64 v[11:12], v[11:12], v[31:32], 0
	s_and_saveexec_b64 s[16:17], s[10:11]
	s_cbranch_execz .LBB130_439
; %bb.438:
	v_lshlrev_b32_e32 v31, 3, v0
	v_mov_b32_e32 v33, 0
	ds_read_b64 v[31:32], v31 offset:15088
	ds_read_b64 v[33:34], v33 offset:14568
	s_waitcnt lgkmcnt(0)
	v_fma_f64 v[11:12], v[31:32], v[33:34], v[11:12]
.LBB130_439:
	s_or_b64 exec, exec, s[16:17]
	v_xor_b32_e32 v12, 0x80000000, v12
.LBB130_440:
	s_or_b64 exec, exec, s[12:13]
	s_and_saveexec_b64 s[10:11], s[38:39]
	s_cbranch_execz .LBB130_442
; %bb.441:
	v_mov_b32_e32 v31, 0
	ds_read_b64 v[31:32], v31 offset:15600
	s_waitcnt lgkmcnt(0)
	v_mul_f64 v[11:12], v[11:12], v[31:32]
	ds_write_b64 v13, v[11:12]
.LBB130_442:
	s_or_b64 exec, exec, s[10:11]
	s_waitcnt lgkmcnt(0)
	s_barrier
	s_and_saveexec_b64 s[10:11], s[36:37]
	s_cbranch_execz .LBB130_444
; %bb.443:
	v_mov_b32_e32 v31, 0
	ds_read_b64 v[31:32], v31 offset:15608
	ds_read_b64 v[33:34], v13
	s_waitcnt lgkmcnt(0)
	v_fma_f64 v[11:12], v[31:32], v[33:34], v[11:12]
.LBB130_444:
	s_or_b64 exec, exec, s[10:11]
	s_barrier
	s_and_saveexec_b64 s[10:11], s[36:37]
	s_cbranch_execz .LBB130_446
; %bb.445:
	v_mov_b32_e32 v31, 0
	ds_read_b64 v[31:32], v31 offset:16120
	s_waitcnt lgkmcnt(0)
	v_mul_f64 v[11:12], v[11:12], v[31:32]
	ds_write_b64 v13, v[11:12]
.LBB130_446:
	s_or_b64 exec, exec, s[10:11]
	s_waitcnt lgkmcnt(0)
	s_barrier
	s_barrier
	s_and_saveexec_b64 s[10:11], s[0:1]
; %bb.447:
	v_xor_b32_e32 v12, 0x80000000, v12
	ds_write_b64 v1, v[11:12] offset:14576
; %bb.448:
	s_or_b64 exec, exec, s[10:11]
	s_waitcnt lgkmcnt(0)
	s_barrier
	s_barrier
	s_and_saveexec_b64 s[10:11], vcc
	s_cbranch_execz .LBB130_450
; %bb.449:
	v_mov_b32_e32 v35, 0
	ds_read_b128 v[31:34], v35 offset:15600
	ds_read_b64 v[11:12], v35 offset:16120
	s_waitcnt lgkmcnt(0)
	v_mul_f64 v[11:12], v[31:32], v[11:12]
	v_mul_f64 v[11:12], v[33:34], v[11:12]
	ds_write_b64 v35, v[11:12] offset:15608
.LBB130_450:
	s_or_b64 exec, exec, s[10:11]
	v_and_b32_e32 v32, 31, v0
	v_lshrrev_b32_e32 v33, 5, v14
	s_movk_i32 s10, 0x3ff
	v_lshlrev_b32_e32 v11, 3, v32
	v_cmp_lt_u32_e64 s[12:13], s10, v14
	s_movk_i32 s10, 0x400
	v_lshl_or_b32 v31, v33, 9, v11
	v_mov_b32_e32 v11, 0
	v_cmp_gt_u32_e64 s[10:11], s10, v14
	v_mov_b32_e32 v12, 0
	s_waitcnt lgkmcnt(0)
	s_barrier
	s_and_saveexec_b64 s[80:81], s[10:11]
	s_cbranch_execz .LBB130_512
; %bb.451:
	v_mul_u32_u24_e32 v34, 0x208, v33
	ds_read_b64 v[11:12], v31 offset:256
	ds_read_b64 v[35:36], v34
	s_movk_i32 s16, 0x3e0
	v_cmp_gt_u32_e64 s[16:17], s16, v14
	s_waitcnt lgkmcnt(0)
	v_fma_f64 v[11:12], v[11:12], v[35:36], 0
	s_and_saveexec_b64 s[84:85], s[16:17]
	s_cbranch_execz .LBB130_453
; %bb.452:
	ds_read_b64 v[35:36], v31 offset:768
	ds_read_b64 v[37:38], v34 offset:8
	s_waitcnt lgkmcnt(0)
	v_fma_f64 v[11:12], v[35:36], v[37:38], v[11:12]
.LBB130_453:
	s_or_b64 exec, exec, s[84:85]
	s_movk_i32 s16, 0x3c0
	v_cmp_gt_u32_e64 s[16:17], s16, v14
	s_and_saveexec_b64 s[84:85], s[16:17]
	s_cbranch_execz .LBB130_455
; %bb.454:
	ds_read_b64 v[35:36], v31 offset:1280
	ds_read_b64 v[37:38], v34 offset:16
	s_waitcnt lgkmcnt(0)
	v_fma_f64 v[11:12], v[35:36], v[37:38], v[11:12]
.LBB130_455:
	s_or_b64 exec, exec, s[84:85]
	s_movk_i32 s16, 0x3a0
	v_cmp_gt_u32_e64 s[16:17], s16, v14
	;; [unrolled: 11-line block ×28, first 2 shown]
	s_and_saveexec_b64 s[84:85], s[16:17]
	s_cbranch_execnz .LBB130_1060
; %bb.508:
	s_or_b64 exec, exec, s[84:85]
	v_cmp_gt_u32_e64 s[16:17], 64, v14
	s_and_saveexec_b64 s[84:85], s[16:17]
	s_cbranch_execnz .LBB130_1061
.LBB130_509:
	s_or_b64 exec, exec, s[84:85]
	v_cmp_gt_u32_e64 s[16:17], 32, v14
	s_and_saveexec_b64 s[84:85], s[16:17]
	s_cbranch_execz .LBB130_511
.LBB130_510:
	v_lshlrev_b32_e32 v34, 3, v0
	v_mov_b32_e32 v36, 0
	ds_read_b64 v[34:35], v34 offset:16128
	ds_read_b64 v[36:37], v36 offset:248
	s_waitcnt lgkmcnt(0)
	v_fma_f64 v[11:12], v[34:35], v[36:37], v[11:12]
.LBB130_511:
	s_or_b64 exec, exec, s[84:85]
	v_xor_b32_e32 v12, 0x80000000, v12
.LBB130_512:
	s_or_b64 exec, exec, s[80:81]
	v_mov_b32_e32 v34, 0x8000
	v_lshl_or_b32 v33, v33, 3, v34
	v_mul_u32_u24_e32 v34, 0x208, v32
	v_lshlrev_b32_e32 v35, 9, v32
	v_sub_u32_e32 v35, v34, v35
	v_add_u32_e32 v35, 0x4100, v35
	s_mov_b32 s80, 0
	s_xor_b64 s[16:17], s[12:13], -1
	v_mov_b32_e32 v36, v32
	s_branch .LBB130_514
.LBB130_513:                            ;   in Loop: Header=BB130_514 Depth=1
	s_or_b64 exec, exec, s[12:13]
	s_add_i32 s80, s80, 4
	v_add_u32_e32 v35, 0x800, v35
	s_cmp_eq_u32 s80, 32
	v_add_u32_e32 v36, -4, v36
	s_barrier
	s_cbranch_scc1 .LBB130_530
.LBB130_514:                            ; =>This Inner Loop Header: Depth=1
	v_cmp_eq_u32_e64 s[12:13], 0, v36
	s_and_b64 s[84:85], s[16:17], s[12:13]
	s_and_saveexec_b64 s[12:13], s[84:85]
	s_cbranch_execz .LBB130_516
; %bb.515:                              ;   in Loop: Header=BB130_514 Depth=1
	ds_read_b64 v[37:38], v34 offset:16640
	s_waitcnt lgkmcnt(0)
	v_mul_f64 v[11:12], v[11:12], v[37:38]
	ds_write_b64 v33, v[11:12]
.LBB130_516:                            ;   in Loop: Header=BB130_514 Depth=1
	s_or_b64 exec, exec, s[12:13]
	v_cmp_lt_u32_e64 s[12:13], s80, v32
	s_and_b64 s[84:85], s[16:17], s[12:13]
	s_waitcnt lgkmcnt(0)
	s_barrier
	s_and_saveexec_b64 s[12:13], s[84:85]
	s_cbranch_execz .LBB130_518
; %bb.517:                              ;   in Loop: Header=BB130_514 Depth=1
	ds_read_b64 v[37:38], v35
	ds_read_b64 v[39:40], v33
	s_waitcnt lgkmcnt(0)
	v_fma_f64 v[11:12], v[37:38], v[39:40], v[11:12]
.LBB130_518:                            ;   in Loop: Header=BB130_514 Depth=1
	s_or_b64 exec, exec, s[12:13]
	s_or_b32 s81, s80, 1
	v_cmp_eq_u32_e64 s[12:13], s81, v32
	s_and_b64 s[84:85], s[16:17], s[12:13]
	s_barrier
	s_and_saveexec_b64 s[12:13], s[84:85]
	s_cbranch_execz .LBB130_520
; %bb.519:                              ;   in Loop: Header=BB130_514 Depth=1
	ds_read_b64 v[37:38], v34 offset:16640
	s_waitcnt lgkmcnt(0)
	v_mul_f64 v[11:12], v[11:12], v[37:38]
	ds_write_b64 v33, v[11:12]
.LBB130_520:                            ;   in Loop: Header=BB130_514 Depth=1
	s_or_b64 exec, exec, s[12:13]
	v_cmp_lt_u32_e64 s[12:13], s81, v32
	s_and_b64 s[84:85], s[16:17], s[12:13]
	s_waitcnt lgkmcnt(0)
	s_barrier
	s_and_saveexec_b64 s[12:13], s[84:85]
	s_cbranch_execz .LBB130_522
; %bb.521:                              ;   in Loop: Header=BB130_514 Depth=1
	ds_read_b64 v[37:38], v35 offset:512
	ds_read_b64 v[39:40], v33
	s_waitcnt lgkmcnt(0)
	v_fma_f64 v[11:12], v[37:38], v[39:40], v[11:12]
.LBB130_522:                            ;   in Loop: Header=BB130_514 Depth=1
	s_or_b64 exec, exec, s[12:13]
	s_or_b32 s81, s80, 2
	v_cmp_eq_u32_e64 s[12:13], s81, v32
	s_and_b64 s[84:85], s[16:17], s[12:13]
	s_barrier
	s_and_saveexec_b64 s[12:13], s[84:85]
	s_cbranch_execz .LBB130_524
; %bb.523:                              ;   in Loop: Header=BB130_514 Depth=1
	ds_read_b64 v[37:38], v34 offset:16640
	s_waitcnt lgkmcnt(0)
	v_mul_f64 v[11:12], v[11:12], v[37:38]
	ds_write_b64 v33, v[11:12]
.LBB130_524:                            ;   in Loop: Header=BB130_514 Depth=1
	s_or_b64 exec, exec, s[12:13]
	v_cmp_lt_u32_e64 s[12:13], s81, v32
	s_and_b64 s[84:85], s[16:17], s[12:13]
	s_waitcnt lgkmcnt(0)
	s_barrier
	s_and_saveexec_b64 s[12:13], s[84:85]
	s_cbranch_execz .LBB130_526
; %bb.525:                              ;   in Loop: Header=BB130_514 Depth=1
	ds_read_b64 v[37:38], v35 offset:1024
	ds_read_b64 v[39:40], v33
	s_waitcnt lgkmcnt(0)
	v_fma_f64 v[11:12], v[37:38], v[39:40], v[11:12]
.LBB130_526:                            ;   in Loop: Header=BB130_514 Depth=1
	s_or_b64 exec, exec, s[12:13]
	s_or_b32 s81, s80, 3
	v_cmp_eq_u32_e64 s[12:13], s81, v32
	s_and_b64 s[84:85], s[16:17], s[12:13]
	s_barrier
	s_and_saveexec_b64 s[12:13], s[84:85]
	s_cbranch_execz .LBB130_528
; %bb.527:                              ;   in Loop: Header=BB130_514 Depth=1
	ds_read_b64 v[37:38], v34 offset:16640
	s_waitcnt lgkmcnt(0)
	v_mul_f64 v[11:12], v[11:12], v[37:38]
	ds_write_b64 v33, v[11:12]
.LBB130_528:                            ;   in Loop: Header=BB130_514 Depth=1
	s_or_b64 exec, exec, s[12:13]
	v_cmp_lt_u32_e64 s[12:13], s81, v32
	s_and_b64 s[84:85], s[16:17], s[12:13]
	s_waitcnt lgkmcnt(0)
	s_barrier
	s_and_saveexec_b64 s[12:13], s[84:85]
	s_cbranch_execz .LBB130_513
; %bb.529:                              ;   in Loop: Header=BB130_514 Depth=1
	ds_read_b64 v[37:38], v35 offset:1536
	ds_read_b64 v[39:40], v33
	s_waitcnt lgkmcnt(0)
	v_fma_f64 v[11:12], v[37:38], v[39:40], v[11:12]
	s_branch .LBB130_513
.LBB130_530:
	s_and_saveexec_b64 s[12:13], s[10:11]
; %bb.531:
	v_xor_b32_e32 v12, 0x80000000, v12
	ds_write_b64 v31, v[11:12] offset:256
; %bb.532:
	s_or_b64 exec, exec, s[12:13]
	s_waitcnt lgkmcnt(0)
	s_barrier
	s_barrier
	s_and_saveexec_b64 s[10:11], vcc
	s_cbranch_execz .LBB130_534
; %bb.533:
	v_mov_b32_e32 v35, 0
	ds_read_b128 v[31:34], v35 offset:16640
	ds_read_b64 v[11:12], v35 offset:17160
	s_waitcnt lgkmcnt(0)
	v_mul_f64 v[11:12], v[31:32], v[11:12]
	v_mul_f64 v[11:12], v[33:34], v[11:12]
	ds_write_b64 v35, v[11:12] offset:16648
.LBB130_534:
	s_or_b64 exec, exec, s[10:11]
	v_mov_b32_e32 v11, 0
	v_mov_b32_e32 v12, 0
	s_waitcnt lgkmcnt(0)
	s_barrier
	s_and_saveexec_b64 s[12:13], s[0:1]
	s_cbranch_execz .LBB130_538
; %bb.535:
	v_mul_u32_u24_e32 v31, 0x208, v15
	ds_read_b64 v[11:12], v1 offset:16656
	ds_read_b64 v[31:32], v31 offset:16640
	v_cmp_gt_u32_e64 s[10:11], 2, v14
	s_waitcnt lgkmcnt(0)
	v_fma_f64 v[11:12], v[11:12], v[31:32], 0
	s_and_saveexec_b64 s[16:17], s[10:11]
	s_cbranch_execz .LBB130_537
; %bb.536:
	v_lshlrev_b32_e32 v31, 3, v0
	v_mov_b32_e32 v33, 0
	ds_read_b64 v[31:32], v31 offset:17168
	ds_read_b64 v[33:34], v33 offset:16648
	s_waitcnt lgkmcnt(0)
	v_fma_f64 v[11:12], v[31:32], v[33:34], v[11:12]
.LBB130_537:
	s_or_b64 exec, exec, s[16:17]
	v_xor_b32_e32 v12, 0x80000000, v12
.LBB130_538:
	s_or_b64 exec, exec, s[12:13]
	s_and_saveexec_b64 s[10:11], s[38:39]
	s_cbranch_execz .LBB130_540
; %bb.539:
	v_mov_b32_e32 v31, 0
	ds_read_b64 v[31:32], v31 offset:17680
	s_waitcnt lgkmcnt(0)
	v_mul_f64 v[11:12], v[11:12], v[31:32]
	ds_write_b64 v13, v[11:12]
.LBB130_540:
	s_or_b64 exec, exec, s[10:11]
	s_waitcnt lgkmcnt(0)
	s_barrier
	s_and_saveexec_b64 s[10:11], s[36:37]
	s_cbranch_execz .LBB130_542
; %bb.541:
	v_mov_b32_e32 v31, 0
	ds_read_b64 v[31:32], v31 offset:17688
	ds_read_b64 v[33:34], v13
	s_waitcnt lgkmcnt(0)
	v_fma_f64 v[11:12], v[31:32], v[33:34], v[11:12]
.LBB130_542:
	s_or_b64 exec, exec, s[10:11]
	s_barrier
	s_and_saveexec_b64 s[10:11], s[36:37]
	s_cbranch_execz .LBB130_544
; %bb.543:
	v_mov_b32_e32 v31, 0
	ds_read_b64 v[31:32], v31 offset:18200
	s_waitcnt lgkmcnt(0)
	v_mul_f64 v[11:12], v[11:12], v[31:32]
	ds_write_b64 v13, v[11:12]
.LBB130_544:
	s_or_b64 exec, exec, s[10:11]
	s_waitcnt lgkmcnt(0)
	s_barrier
	s_barrier
	s_and_saveexec_b64 s[10:11], s[0:1]
; %bb.545:
	v_xor_b32_e32 v12, 0x80000000, v12
	ds_write_b64 v1, v[11:12] offset:16656
; %bb.546:
	s_or_b64 exec, exec, s[10:11]
	s_waitcnt lgkmcnt(0)
	s_barrier
	s_barrier
	s_and_saveexec_b64 s[10:11], vcc
	s_cbranch_execz .LBB130_548
; %bb.547:
	v_mov_b32_e32 v35, 0
	ds_read_b128 v[31:34], v35 offset:17680
	ds_read_b64 v[11:12], v35 offset:18200
	s_waitcnt lgkmcnt(0)
	v_mul_f64 v[11:12], v[31:32], v[11:12]
	v_mul_f64 v[11:12], v[33:34], v[11:12]
	ds_write_b64 v35, v[11:12] offset:17688
.LBB130_548:
	s_or_b64 exec, exec, s[10:11]
	v_mov_b32_e32 v11, 0
	v_mov_b32_e32 v12, 0
	s_waitcnt lgkmcnt(0)
	s_barrier
	s_and_saveexec_b64 s[12:13], s[2:3]
	s_cbranch_execz .LBB130_554
; %bb.549:
	v_mul_u32_u24_e32 v31, 0x208, v20
	ds_read_b64 v[11:12], v16 offset:16672
	ds_read_b64 v[32:33], v31 offset:16640
	v_cmp_gt_u32_e64 s[10:11], 12, v14
	s_waitcnt lgkmcnt(0)
	v_fma_f64 v[11:12], v[11:12], v[32:33], 0
	s_and_saveexec_b64 s[16:17], s[10:11]
	s_cbranch_execnz .LBB130_1062
; %bb.550:
	s_or_b64 exec, exec, s[16:17]
	v_cmp_gt_u32_e64 s[10:11], 8, v14
	s_and_saveexec_b64 s[16:17], s[10:11]
	s_cbranch_execnz .LBB130_1063
.LBB130_551:
	s_or_b64 exec, exec, s[16:17]
	v_cmp_gt_u32_e64 s[10:11], 4, v14
	s_and_saveexec_b64 s[16:17], s[10:11]
	s_cbranch_execz .LBB130_553
.LBB130_552:
	v_lshlrev_b32_e32 v31, 3, v0
	v_mov_b32_e32 v33, 0
	ds_read_b64 v[31:32], v31 offset:18208
	ds_read_b64 v[33:34], v33 offset:16664
	s_waitcnt lgkmcnt(0)
	v_fma_f64 v[11:12], v[31:32], v[33:34], v[11:12]
.LBB130_553:
	s_or_b64 exec, exec, s[16:17]
	v_xor_b32_e32 v12, 0x80000000, v12
.LBB130_554:
	s_or_b64 exec, exec, s[12:13]
	s_and_saveexec_b64 s[10:11], s[42:43]
	s_cbranch_execz .LBB130_556
; %bb.555:
	v_mov_b32_e32 v31, 0
	ds_read_b64 v[31:32], v31 offset:18720
	s_waitcnt lgkmcnt(0)
	v_mul_f64 v[11:12], v[11:12], v[31:32]
	ds_write_b64 v18, v[11:12]
.LBB130_556:
	s_or_b64 exec, exec, s[10:11]
	s_waitcnt lgkmcnt(0)
	s_barrier
	s_and_saveexec_b64 s[10:11], s[44:45]
	s_cbranch_execz .LBB130_558
; %bb.557:
	ds_read_b64 v[31:32], v17 offset:18720
	ds_read_b64 v[33:34], v18
	s_waitcnt lgkmcnt(0)
	v_fma_f64 v[11:12], v[31:32], v[33:34], v[11:12]
.LBB130_558:
	s_or_b64 exec, exec, s[10:11]
	s_barrier
	s_and_saveexec_b64 s[10:11], s[46:47]
	s_cbranch_execz .LBB130_560
; %bb.559:
	v_mov_b32_e32 v31, 0
	ds_read_b64 v[31:32], v31 offset:19240
	s_waitcnt lgkmcnt(0)
	v_mul_f64 v[11:12], v[11:12], v[31:32]
	ds_write_b64 v18, v[11:12]
.LBB130_560:
	s_or_b64 exec, exec, s[10:11]
	s_waitcnt lgkmcnt(0)
	s_barrier
	s_and_saveexec_b64 s[10:11], s[48:49]
	s_cbranch_execz .LBB130_562
; %bb.561:
	ds_read_b64 v[31:32], v17 offset:19232
	ds_read_b64 v[33:34], v18
	s_waitcnt lgkmcnt(0)
	v_fma_f64 v[11:12], v[31:32], v[33:34], v[11:12]
.LBB130_562:
	s_or_b64 exec, exec, s[10:11]
	s_barrier
	s_and_saveexec_b64 s[10:11], s[50:51]
	s_cbranch_execz .LBB130_564
; %bb.563:
	v_mov_b32_e32 v31, 0
	ds_read_b64 v[31:32], v31 offset:19760
	s_waitcnt lgkmcnt(0)
	v_mul_f64 v[11:12], v[11:12], v[31:32]
	ds_write_b64 v18, v[11:12]
.LBB130_564:
	s_or_b64 exec, exec, s[10:11]
	s_waitcnt lgkmcnt(0)
	s_barrier
	s_and_saveexec_b64 s[10:11], s[40:41]
	s_cbranch_execz .LBB130_566
; %bb.565:
	v_mov_b32_e32 v31, 0
	ds_read_b64 v[31:32], v31 offset:19768
	ds_read_b64 v[33:34], v18
	s_waitcnt lgkmcnt(0)
	v_fma_f64 v[11:12], v[31:32], v[33:34], v[11:12]
.LBB130_566:
	s_or_b64 exec, exec, s[10:11]
	s_barrier
	s_and_saveexec_b64 s[10:11], s[40:41]
	s_cbranch_execz .LBB130_568
; %bb.567:
	v_mov_b32_e32 v31, 0
	ds_read_b64 v[31:32], v31 offset:20280
	s_waitcnt lgkmcnt(0)
	v_mul_f64 v[11:12], v[11:12], v[31:32]
	ds_write_b64 v18, v[11:12]
.LBB130_568:
	s_or_b64 exec, exec, s[10:11]
	s_waitcnt lgkmcnt(0)
	s_barrier
	s_barrier
	s_and_saveexec_b64 s[10:11], s[2:3]
; %bb.569:
	v_xor_b32_e32 v12, 0x80000000, v12
	ds_write_b64 v16, v[11:12] offset:16672
; %bb.570:
	s_or_b64 exec, exec, s[10:11]
	s_waitcnt lgkmcnt(0)
	s_barrier
	s_barrier
	s_and_saveexec_b64 s[10:11], vcc
	s_cbranch_execz .LBB130_572
; %bb.571:
	v_mov_b32_e32 v35, 0
	ds_read_b128 v[31:34], v35 offset:18720
	ds_read_b64 v[11:12], v35 offset:19240
	s_waitcnt lgkmcnt(0)
	v_mul_f64 v[11:12], v[31:32], v[11:12]
	v_mul_f64 v[11:12], v[33:34], v[11:12]
	ds_write_b64 v35, v[11:12] offset:18728
.LBB130_572:
	s_or_b64 exec, exec, s[10:11]
	v_mov_b32_e32 v11, 0
	v_mov_b32_e32 v12, 0
	s_waitcnt lgkmcnt(0)
	s_barrier
	s_and_saveexec_b64 s[12:13], s[0:1]
	s_cbranch_execz .LBB130_576
; %bb.573:
	v_mul_u32_u24_e32 v31, 0x208, v15
	ds_read_b64 v[11:12], v1 offset:18736
	ds_read_b64 v[31:32], v31 offset:18720
	v_cmp_gt_u32_e64 s[10:11], 2, v14
	s_waitcnt lgkmcnt(0)
	v_fma_f64 v[11:12], v[11:12], v[31:32], 0
	s_and_saveexec_b64 s[16:17], s[10:11]
	s_cbranch_execz .LBB130_575
; %bb.574:
	v_lshlrev_b32_e32 v31, 3, v0
	v_mov_b32_e32 v33, 0
	ds_read_b64 v[31:32], v31 offset:19248
	ds_read_b64 v[33:34], v33 offset:18728
	s_waitcnt lgkmcnt(0)
	v_fma_f64 v[11:12], v[31:32], v[33:34], v[11:12]
.LBB130_575:
	s_or_b64 exec, exec, s[16:17]
	v_xor_b32_e32 v12, 0x80000000, v12
.LBB130_576:
	s_or_b64 exec, exec, s[12:13]
	s_and_saveexec_b64 s[10:11], s[38:39]
	s_cbranch_execz .LBB130_578
; %bb.577:
	v_mov_b32_e32 v31, 0
	ds_read_b64 v[31:32], v31 offset:19760
	s_waitcnt lgkmcnt(0)
	v_mul_f64 v[11:12], v[11:12], v[31:32]
	ds_write_b64 v13, v[11:12]
.LBB130_578:
	s_or_b64 exec, exec, s[10:11]
	s_waitcnt lgkmcnt(0)
	s_barrier
	s_and_saveexec_b64 s[10:11], s[36:37]
	s_cbranch_execz .LBB130_580
; %bb.579:
	v_mov_b32_e32 v31, 0
	ds_read_b64 v[31:32], v31 offset:19768
	ds_read_b64 v[33:34], v13
	s_waitcnt lgkmcnt(0)
	v_fma_f64 v[11:12], v[31:32], v[33:34], v[11:12]
.LBB130_580:
	s_or_b64 exec, exec, s[10:11]
	s_barrier
	s_and_saveexec_b64 s[10:11], s[36:37]
	s_cbranch_execz .LBB130_582
; %bb.581:
	v_mov_b32_e32 v31, 0
	ds_read_b64 v[31:32], v31 offset:20280
	s_waitcnt lgkmcnt(0)
	v_mul_f64 v[11:12], v[11:12], v[31:32]
	ds_write_b64 v13, v[11:12]
.LBB130_582:
	s_or_b64 exec, exec, s[10:11]
	s_waitcnt lgkmcnt(0)
	s_barrier
	s_barrier
	s_and_saveexec_b64 s[10:11], s[0:1]
; %bb.583:
	v_xor_b32_e32 v12, 0x80000000, v12
	ds_write_b64 v1, v[11:12] offset:18736
; %bb.584:
	s_or_b64 exec, exec, s[10:11]
	s_waitcnt lgkmcnt(0)
	s_barrier
	s_barrier
	s_and_saveexec_b64 s[10:11], vcc
	s_cbranch_execz .LBB130_586
; %bb.585:
	v_mov_b32_e32 v35, 0
	ds_read_b128 v[31:34], v35 offset:19760
	ds_read_b64 v[11:12], v35 offset:20280
	s_waitcnt lgkmcnt(0)
	v_mul_f64 v[11:12], v[31:32], v[11:12]
	v_mul_f64 v[11:12], v[33:34], v[11:12]
	ds_write_b64 v35, v[11:12] offset:19768
.LBB130_586:
	s_or_b64 exec, exec, s[10:11]
	v_mov_b32_e32 v11, 0
	v_mov_b32_e32 v12, 0
	s_waitcnt lgkmcnt(0)
	s_barrier
	s_and_saveexec_b64 s[12:13], s[14:15]
	s_cbranch_execz .LBB130_596
; %bb.587:
	v_mul_u32_u24_e32 v31, 0x208, v25
	ds_read_b64 v[11:12], v21 offset:16704
	ds_read_b64 v[32:33], v31 offset:16640
	v_cmp_gt_u32_e64 s[10:11], 56, v14
	s_waitcnt lgkmcnt(0)
	v_fma_f64 v[11:12], v[11:12], v[32:33], 0
	s_and_saveexec_b64 s[16:17], s[10:11]
	s_cbranch_execnz .LBB130_1064
; %bb.588:
	s_or_b64 exec, exec, s[16:17]
	v_cmp_gt_u32_e64 s[10:11], 48, v14
	s_and_saveexec_b64 s[16:17], s[10:11]
	s_cbranch_execnz .LBB130_1065
.LBB130_589:
	s_or_b64 exec, exec, s[16:17]
	v_cmp_gt_u32_e64 s[10:11], 40, v14
	s_and_saveexec_b64 s[16:17], s[10:11]
	s_cbranch_execnz .LBB130_1066
.LBB130_590:
	s_or_b64 exec, exec, s[16:17]
	v_cmp_gt_u32_e64 s[10:11], 32, v14
	s_and_saveexec_b64 s[16:17], s[10:11]
	s_cbranch_execnz .LBB130_1067
.LBB130_591:
	s_or_b64 exec, exec, s[16:17]
	v_cmp_gt_u32_e64 s[10:11], 24, v14
	s_and_saveexec_b64 s[16:17], s[10:11]
	s_cbranch_execnz .LBB130_1068
.LBB130_592:
	s_or_b64 exec, exec, s[16:17]
	v_cmp_gt_u32_e64 s[10:11], 16, v14
	s_and_saveexec_b64 s[16:17], s[10:11]
	s_cbranch_execnz .LBB130_1069
.LBB130_593:
	s_or_b64 exec, exec, s[16:17]
	v_cmp_gt_u32_e64 s[10:11], 8, v14
	s_and_saveexec_b64 s[16:17], s[10:11]
	s_cbranch_execz .LBB130_595
.LBB130_594:
	v_lshlrev_b32_e32 v31, 3, v0
	v_mov_b32_e32 v33, 0
	ds_read_b64 v[31:32], v31 offset:20288
	ds_read_b64 v[33:34], v33 offset:16696
	s_waitcnt lgkmcnt(0)
	v_fma_f64 v[11:12], v[31:32], v[33:34], v[11:12]
.LBB130_595:
	s_or_b64 exec, exec, s[16:17]
	v_xor_b32_e32 v12, 0x80000000, v12
.LBB130_596:
	s_or_b64 exec, exec, s[12:13]
	s_and_saveexec_b64 s[10:11], s[52:53]
	s_cbranch_execz .LBB130_598
; %bb.597:
	v_mov_b32_e32 v31, 0
	ds_read_b64 v[31:32], v31 offset:20800
	s_waitcnt lgkmcnt(0)
	v_mul_f64 v[11:12], v[11:12], v[31:32]
	ds_write_b64 v23, v[11:12]
.LBB130_598:
	s_or_b64 exec, exec, s[10:11]
	s_waitcnt lgkmcnt(0)
	s_barrier
	s_and_saveexec_b64 s[10:11], s[54:55]
	s_cbranch_execz .LBB130_600
; %bb.599:
	ds_read_b64 v[31:32], v22 offset:20800
	ds_read_b64 v[33:34], v23
	s_waitcnt lgkmcnt(0)
	v_fma_f64 v[11:12], v[31:32], v[33:34], v[11:12]
.LBB130_600:
	s_or_b64 exec, exec, s[10:11]
	s_barrier
	s_and_saveexec_b64 s[10:11], s[56:57]
	s_cbranch_execz .LBB130_602
; %bb.601:
	v_mov_b32_e32 v31, 0
	ds_read_b64 v[31:32], v31 offset:21320
	s_waitcnt lgkmcnt(0)
	v_mul_f64 v[11:12], v[11:12], v[31:32]
	ds_write_b64 v23, v[11:12]
.LBB130_602:
	s_or_b64 exec, exec, s[10:11]
	s_waitcnt lgkmcnt(0)
	s_barrier
	s_and_saveexec_b64 s[10:11], s[58:59]
	s_cbranch_execz .LBB130_604
; %bb.603:
	ds_read_b64 v[31:32], v22 offset:21312
	ds_read_b64 v[33:34], v23
	s_waitcnt lgkmcnt(0)
	v_fma_f64 v[11:12], v[31:32], v[33:34], v[11:12]
.LBB130_604:
	s_or_b64 exec, exec, s[10:11]
	s_barrier
	;; [unrolled: 22-line block ×6, first 2 shown]
	s_and_saveexec_b64 s[10:11], s[78:79]
	s_cbranch_execz .LBB130_622
; %bb.621:
	v_mov_b32_e32 v31, 0
	ds_read_b64 v[31:32], v31 offset:23920
	s_waitcnt lgkmcnt(0)
	v_mul_f64 v[11:12], v[11:12], v[31:32]
	ds_write_b64 v23, v[11:12]
.LBB130_622:
	s_or_b64 exec, exec, s[10:11]
	s_waitcnt lgkmcnt(0)
	s_barrier
	s_and_saveexec_b64 s[10:11], s[62:63]
	s_cbranch_execz .LBB130_624
; %bb.623:
	v_mov_b32_e32 v31, 0
	ds_read_b64 v[31:32], v31 offset:23928
	ds_read_b64 v[33:34], v23
	s_waitcnt lgkmcnt(0)
	v_fma_f64 v[11:12], v[31:32], v[33:34], v[11:12]
.LBB130_624:
	s_or_b64 exec, exec, s[10:11]
	s_barrier
	s_and_saveexec_b64 s[10:11], s[62:63]
	s_cbranch_execz .LBB130_626
; %bb.625:
	v_mov_b32_e32 v31, 0
	ds_read_b64 v[31:32], v31 offset:24440
	s_waitcnt lgkmcnt(0)
	v_mul_f64 v[11:12], v[11:12], v[31:32]
	ds_write_b64 v23, v[11:12]
.LBB130_626:
	s_or_b64 exec, exec, s[10:11]
	s_waitcnt lgkmcnt(0)
	s_barrier
	s_barrier
	s_and_saveexec_b64 s[10:11], s[14:15]
; %bb.627:
	v_xor_b32_e32 v12, 0x80000000, v12
	ds_write_b64 v21, v[11:12] offset:16704
; %bb.628:
	s_or_b64 exec, exec, s[10:11]
	s_waitcnt lgkmcnt(0)
	s_barrier
	s_barrier
	s_and_saveexec_b64 s[10:11], vcc
	s_cbranch_execz .LBB130_630
; %bb.629:
	v_mov_b32_e32 v35, 0
	ds_read_b128 v[31:34], v35 offset:20800
	ds_read_b64 v[11:12], v35 offset:21320
	s_waitcnt lgkmcnt(0)
	v_mul_f64 v[11:12], v[31:32], v[11:12]
	v_mul_f64 v[11:12], v[33:34], v[11:12]
	ds_write_b64 v35, v[11:12] offset:20808
.LBB130_630:
	s_or_b64 exec, exec, s[10:11]
	v_mov_b32_e32 v11, 0
	v_mov_b32_e32 v12, 0
	s_waitcnt lgkmcnt(0)
	s_barrier
	s_and_saveexec_b64 s[12:13], s[0:1]
	s_cbranch_execz .LBB130_634
; %bb.631:
	v_mul_u32_u24_e32 v31, 0x208, v15
	ds_read_b64 v[11:12], v1 offset:20816
	ds_read_b64 v[31:32], v31 offset:20800
	v_cmp_gt_u32_e64 s[10:11], 2, v14
	s_waitcnt lgkmcnt(0)
	v_fma_f64 v[11:12], v[11:12], v[31:32], 0
	s_and_saveexec_b64 s[16:17], s[10:11]
	s_cbranch_execz .LBB130_633
; %bb.632:
	v_lshlrev_b32_e32 v31, 3, v0
	v_mov_b32_e32 v33, 0
	ds_read_b64 v[31:32], v31 offset:21328
	ds_read_b64 v[33:34], v33 offset:20808
	s_waitcnt lgkmcnt(0)
	v_fma_f64 v[11:12], v[31:32], v[33:34], v[11:12]
.LBB130_633:
	s_or_b64 exec, exec, s[16:17]
	v_xor_b32_e32 v12, 0x80000000, v12
.LBB130_634:
	s_or_b64 exec, exec, s[12:13]
	s_and_saveexec_b64 s[10:11], s[38:39]
	s_cbranch_execz .LBB130_636
; %bb.635:
	v_mov_b32_e32 v31, 0
	ds_read_b64 v[31:32], v31 offset:21840
	s_waitcnt lgkmcnt(0)
	v_mul_f64 v[11:12], v[11:12], v[31:32]
	ds_write_b64 v13, v[11:12]
.LBB130_636:
	s_or_b64 exec, exec, s[10:11]
	s_waitcnt lgkmcnt(0)
	s_barrier
	s_and_saveexec_b64 s[10:11], s[36:37]
	s_cbranch_execz .LBB130_638
; %bb.637:
	v_mov_b32_e32 v31, 0
	ds_read_b64 v[31:32], v31 offset:21848
	ds_read_b64 v[33:34], v13
	s_waitcnt lgkmcnt(0)
	v_fma_f64 v[11:12], v[31:32], v[33:34], v[11:12]
.LBB130_638:
	s_or_b64 exec, exec, s[10:11]
	s_barrier
	s_and_saveexec_b64 s[10:11], s[36:37]
	s_cbranch_execz .LBB130_640
; %bb.639:
	v_mov_b32_e32 v31, 0
	ds_read_b64 v[31:32], v31 offset:22360
	s_waitcnt lgkmcnt(0)
	v_mul_f64 v[11:12], v[11:12], v[31:32]
	ds_write_b64 v13, v[11:12]
.LBB130_640:
	s_or_b64 exec, exec, s[10:11]
	s_waitcnt lgkmcnt(0)
	s_barrier
	s_barrier
	s_and_saveexec_b64 s[10:11], s[0:1]
; %bb.641:
	v_xor_b32_e32 v12, 0x80000000, v12
	ds_write_b64 v1, v[11:12] offset:20816
; %bb.642:
	s_or_b64 exec, exec, s[10:11]
	s_waitcnt lgkmcnt(0)
	s_barrier
	s_barrier
	s_and_saveexec_b64 s[10:11], vcc
	s_cbranch_execz .LBB130_644
; %bb.643:
	v_mov_b32_e32 v35, 0
	ds_read_b128 v[31:34], v35 offset:21840
	ds_read_b64 v[11:12], v35 offset:22360
	s_waitcnt lgkmcnt(0)
	v_mul_f64 v[11:12], v[31:32], v[11:12]
	v_mul_f64 v[11:12], v[33:34], v[11:12]
	ds_write_b64 v35, v[11:12] offset:21848
.LBB130_644:
	s_or_b64 exec, exec, s[10:11]
	v_mov_b32_e32 v11, 0
	v_mov_b32_e32 v12, 0
	s_waitcnt lgkmcnt(0)
	s_barrier
	s_and_saveexec_b64 s[12:13], s[2:3]
	s_cbranch_execz .LBB130_650
; %bb.645:
	v_mul_u32_u24_e32 v31, 0x208, v20
	ds_read_b64 v[11:12], v16 offset:20832
	ds_read_b64 v[32:33], v31 offset:20800
	v_cmp_gt_u32_e64 s[10:11], 12, v14
	s_waitcnt lgkmcnt(0)
	v_fma_f64 v[11:12], v[11:12], v[32:33], 0
	s_and_saveexec_b64 s[16:17], s[10:11]
	s_cbranch_execnz .LBB130_1070
; %bb.646:
	s_or_b64 exec, exec, s[16:17]
	v_cmp_gt_u32_e64 s[10:11], 8, v14
	s_and_saveexec_b64 s[16:17], s[10:11]
	s_cbranch_execnz .LBB130_1071
.LBB130_647:
	s_or_b64 exec, exec, s[16:17]
	v_cmp_gt_u32_e64 s[10:11], 4, v14
	s_and_saveexec_b64 s[16:17], s[10:11]
	s_cbranch_execz .LBB130_649
.LBB130_648:
	v_lshlrev_b32_e32 v31, 3, v0
	v_mov_b32_e32 v33, 0
	ds_read_b64 v[31:32], v31 offset:22368
	ds_read_b64 v[33:34], v33 offset:20824
	s_waitcnt lgkmcnt(0)
	v_fma_f64 v[11:12], v[31:32], v[33:34], v[11:12]
.LBB130_649:
	s_or_b64 exec, exec, s[16:17]
	v_xor_b32_e32 v12, 0x80000000, v12
.LBB130_650:
	s_or_b64 exec, exec, s[12:13]
	s_and_saveexec_b64 s[10:11], s[42:43]
	s_cbranch_execz .LBB130_652
; %bb.651:
	v_mov_b32_e32 v31, 0
	ds_read_b64 v[31:32], v31 offset:22880
	s_waitcnt lgkmcnt(0)
	v_mul_f64 v[11:12], v[11:12], v[31:32]
	ds_write_b64 v18, v[11:12]
.LBB130_652:
	s_or_b64 exec, exec, s[10:11]
	s_waitcnt lgkmcnt(0)
	s_barrier
	s_and_saveexec_b64 s[10:11], s[44:45]
	s_cbranch_execz .LBB130_654
; %bb.653:
	ds_read_b64 v[31:32], v17 offset:22880
	ds_read_b64 v[33:34], v18
	s_waitcnt lgkmcnt(0)
	v_fma_f64 v[11:12], v[31:32], v[33:34], v[11:12]
.LBB130_654:
	s_or_b64 exec, exec, s[10:11]
	s_barrier
	s_and_saveexec_b64 s[10:11], s[46:47]
	s_cbranch_execz .LBB130_656
; %bb.655:
	v_mov_b32_e32 v31, 0
	ds_read_b64 v[31:32], v31 offset:23400
	s_waitcnt lgkmcnt(0)
	v_mul_f64 v[11:12], v[11:12], v[31:32]
	ds_write_b64 v18, v[11:12]
.LBB130_656:
	s_or_b64 exec, exec, s[10:11]
	s_waitcnt lgkmcnt(0)
	s_barrier
	s_and_saveexec_b64 s[10:11], s[48:49]
	s_cbranch_execz .LBB130_658
; %bb.657:
	ds_read_b64 v[31:32], v17 offset:23392
	ds_read_b64 v[33:34], v18
	s_waitcnt lgkmcnt(0)
	v_fma_f64 v[11:12], v[31:32], v[33:34], v[11:12]
.LBB130_658:
	s_or_b64 exec, exec, s[10:11]
	s_barrier
	s_and_saveexec_b64 s[10:11], s[50:51]
	s_cbranch_execz .LBB130_660
; %bb.659:
	v_mov_b32_e32 v31, 0
	ds_read_b64 v[31:32], v31 offset:23920
	s_waitcnt lgkmcnt(0)
	v_mul_f64 v[11:12], v[11:12], v[31:32]
	ds_write_b64 v18, v[11:12]
.LBB130_660:
	s_or_b64 exec, exec, s[10:11]
	s_waitcnt lgkmcnt(0)
	s_barrier
	s_and_saveexec_b64 s[10:11], s[40:41]
	s_cbranch_execz .LBB130_662
; %bb.661:
	v_mov_b32_e32 v31, 0
	ds_read_b64 v[31:32], v31 offset:23928
	ds_read_b64 v[33:34], v18
	s_waitcnt lgkmcnt(0)
	v_fma_f64 v[11:12], v[31:32], v[33:34], v[11:12]
.LBB130_662:
	s_or_b64 exec, exec, s[10:11]
	s_barrier
	s_and_saveexec_b64 s[10:11], s[40:41]
	s_cbranch_execz .LBB130_664
; %bb.663:
	v_mov_b32_e32 v31, 0
	ds_read_b64 v[31:32], v31 offset:24440
	s_waitcnt lgkmcnt(0)
	v_mul_f64 v[11:12], v[11:12], v[31:32]
	ds_write_b64 v18, v[11:12]
.LBB130_664:
	s_or_b64 exec, exec, s[10:11]
	s_waitcnt lgkmcnt(0)
	s_barrier
	s_barrier
	s_and_saveexec_b64 s[10:11], s[2:3]
; %bb.665:
	v_xor_b32_e32 v12, 0x80000000, v12
	ds_write_b64 v16, v[11:12] offset:20832
; %bb.666:
	s_or_b64 exec, exec, s[10:11]
	s_waitcnt lgkmcnt(0)
	s_barrier
	s_barrier
	s_and_saveexec_b64 s[10:11], vcc
	s_cbranch_execz .LBB130_668
; %bb.667:
	v_mov_b32_e32 v35, 0
	ds_read_b128 v[31:34], v35 offset:22880
	ds_read_b64 v[11:12], v35 offset:23400
	s_waitcnt lgkmcnt(0)
	v_mul_f64 v[11:12], v[31:32], v[11:12]
	v_mul_f64 v[11:12], v[33:34], v[11:12]
	ds_write_b64 v35, v[11:12] offset:22888
.LBB130_668:
	s_or_b64 exec, exec, s[10:11]
	v_mov_b32_e32 v11, 0
	v_mov_b32_e32 v12, 0
	s_waitcnt lgkmcnt(0)
	s_barrier
	s_and_saveexec_b64 s[12:13], s[0:1]
	s_cbranch_execz .LBB130_672
; %bb.669:
	v_mul_u32_u24_e32 v31, 0x208, v15
	ds_read_b64 v[11:12], v1 offset:22896
	ds_read_b64 v[31:32], v31 offset:22880
	v_cmp_gt_u32_e64 s[10:11], 2, v14
	s_waitcnt lgkmcnt(0)
	v_fma_f64 v[11:12], v[11:12], v[31:32], 0
	s_and_saveexec_b64 s[16:17], s[10:11]
	s_cbranch_execz .LBB130_671
; %bb.670:
	v_lshlrev_b32_e32 v31, 3, v0
	v_mov_b32_e32 v33, 0
	ds_read_b64 v[31:32], v31 offset:23408
	ds_read_b64 v[33:34], v33 offset:22888
	s_waitcnt lgkmcnt(0)
	v_fma_f64 v[11:12], v[31:32], v[33:34], v[11:12]
.LBB130_671:
	s_or_b64 exec, exec, s[16:17]
	v_xor_b32_e32 v12, 0x80000000, v12
.LBB130_672:
	s_or_b64 exec, exec, s[12:13]
	s_and_saveexec_b64 s[10:11], s[38:39]
	s_cbranch_execz .LBB130_674
; %bb.673:
	v_mov_b32_e32 v31, 0
	ds_read_b64 v[31:32], v31 offset:23920
	s_waitcnt lgkmcnt(0)
	v_mul_f64 v[11:12], v[11:12], v[31:32]
	ds_write_b64 v13, v[11:12]
.LBB130_674:
	s_or_b64 exec, exec, s[10:11]
	s_waitcnt lgkmcnt(0)
	s_barrier
	s_and_saveexec_b64 s[10:11], s[36:37]
	s_cbranch_execz .LBB130_676
; %bb.675:
	v_mov_b32_e32 v31, 0
	ds_read_b64 v[31:32], v31 offset:23928
	ds_read_b64 v[33:34], v13
	s_waitcnt lgkmcnt(0)
	v_fma_f64 v[11:12], v[31:32], v[33:34], v[11:12]
.LBB130_676:
	s_or_b64 exec, exec, s[10:11]
	s_barrier
	s_and_saveexec_b64 s[10:11], s[36:37]
	s_cbranch_execz .LBB130_678
; %bb.677:
	v_mov_b32_e32 v31, 0
	ds_read_b64 v[31:32], v31 offset:24440
	s_waitcnt lgkmcnt(0)
	v_mul_f64 v[11:12], v[11:12], v[31:32]
	ds_write_b64 v13, v[11:12]
.LBB130_678:
	s_or_b64 exec, exec, s[10:11]
	s_waitcnt lgkmcnt(0)
	s_barrier
	s_barrier
	s_and_saveexec_b64 s[10:11], s[0:1]
; %bb.679:
	v_xor_b32_e32 v12, 0x80000000, v12
	ds_write_b64 v1, v[11:12] offset:22896
; %bb.680:
	s_or_b64 exec, exec, s[10:11]
	s_waitcnt lgkmcnt(0)
	s_barrier
	s_barrier
	s_and_saveexec_b64 s[10:11], vcc
	s_cbranch_execz .LBB130_682
; %bb.681:
	v_mov_b32_e32 v35, 0
	ds_read_b128 v[31:34], v35 offset:23920
	ds_read_b64 v[11:12], v35 offset:24440
	s_waitcnt lgkmcnt(0)
	v_mul_f64 v[11:12], v[31:32], v[11:12]
	v_mul_f64 v[11:12], v[33:34], v[11:12]
	ds_write_b64 v35, v[11:12] offset:23928
.LBB130_682:
	s_or_b64 exec, exec, s[10:11]
	v_mov_b32_e32 v11, 0
	v_mov_b32_e32 v12, 0
	s_waitcnt lgkmcnt(0)
	s_barrier
	s_and_saveexec_b64 s[12:13], s[8:9]
	s_cbranch_execz .LBB130_710
; %bb.683:
	v_mul_u32_u24_e32 v31, 0x208, v30
	ds_read_b64 v[11:12], v26 offset:16768
	ds_read_b64 v[32:33], v31 offset:16640
	s_movk_i32 s10, 0xf0
	v_cmp_gt_u32_e64 s[10:11], s10, v14
	s_waitcnt lgkmcnt(0)
	v_fma_f64 v[11:12], v[11:12], v[32:33], 0
	s_and_saveexec_b64 s[16:17], s[10:11]
	s_cbranch_execz .LBB130_685
; %bb.684:
	v_lshlrev_b32_e32 v32, 3, v30
	v_sub_u32_e32 v32, v31, v32
	v_lshl_add_u32 v32, v27, 3, v32
	ds_read_b64 v[32:33], v32 offset:17280
	ds_read_b64 v[34:35], v31 offset:16648
	s_waitcnt lgkmcnt(0)
	v_fma_f64 v[11:12], v[32:33], v[34:35], v[11:12]
.LBB130_685:
	s_or_b64 exec, exec, s[16:17]
	s_movk_i32 s10, 0xe0
	v_cmp_gt_u32_e64 s[10:11], s10, v14
	s_and_saveexec_b64 s[16:17], s[10:11]
	s_cbranch_execz .LBB130_687
; %bb.686:
	v_lshlrev_b32_e32 v32, 3, v30
	v_sub_u32_e32 v32, v31, v32
	v_lshl_add_u32 v32, v27, 3, v32
	ds_read_b64 v[32:33], v32 offset:17792
	ds_read_b64 v[34:35], v31 offset:16656
	s_waitcnt lgkmcnt(0)
	v_fma_f64 v[11:12], v[32:33], v[34:35], v[11:12]
.LBB130_687:
	s_or_b64 exec, exec, s[16:17]
	s_movk_i32 s10, 0xd0
	v_cmp_gt_u32_e64 s[10:11], s10, v14
	;; [unrolled: 14-line block ×7, first 2 shown]
	s_and_saveexec_b64 s[16:17], s[10:11]
	s_cbranch_execz .LBB130_699
; %bb.698:
	ds_read_b64 v[32:33], v26 offset:20864
	ds_read_b64 v[34:35], v31 offset:16704
	s_waitcnt lgkmcnt(0)
	v_fma_f64 v[11:12], v[32:33], v[34:35], v[11:12]
.LBB130_699:
	s_or_b64 exec, exec, s[16:17]
	s_movk_i32 s10, 0x70
	v_cmp_gt_u32_e64 s[10:11], s10, v14
	s_and_saveexec_b64 s[16:17], s[10:11]
	s_cbranch_execz .LBB130_701
; %bb.700:
	v_lshlrev_b32_e32 v30, 3, v27
	v_lshl_add_u32 v30, v29, 3, v30
	ds_read_b64 v[32:33], v30 offset:21376
	ds_read_b64 v[34:35], v31 offset:16712
	s_waitcnt lgkmcnt(0)
	v_fma_f64 v[11:12], v[32:33], v[34:35], v[11:12]
.LBB130_701:
	s_or_b64 exec, exec, s[16:17]
	s_movk_i32 s10, 0x60
	v_cmp_gt_u32_e64 s[10:11], s10, v14
	s_and_saveexec_b64 s[16:17], s[10:11]
	s_cbranch_execz .LBB130_703
; %bb.702:
	v_lshlrev_b32_e32 v30, 3, v27
	v_lshl_add_u32 v30, v29, 3, v30
	ds_read_b64 v[32:33], v30 offset:21888
	ds_read_b64 v[34:35], v31 offset:16720
	s_waitcnt lgkmcnt(0)
	v_fma_f64 v[11:12], v[32:33], v[34:35], v[11:12]
.LBB130_703:
	s_or_b64 exec, exec, s[16:17]
	s_movk_i32 s10, 0x50
	v_cmp_gt_u32_e64 s[10:11], s10, v14
	s_and_saveexec_b64 s[16:17], s[10:11]
	s_cbranch_execnz .LBB130_1072
; %bb.704:
	s_or_b64 exec, exec, s[16:17]
	v_cmp_gt_u32_e64 s[10:11], 64, v14
	s_and_saveexec_b64 s[16:17], s[10:11]
	s_cbranch_execnz .LBB130_1073
.LBB130_705:
	s_or_b64 exec, exec, s[16:17]
	v_cmp_gt_u32_e64 s[10:11], 48, v14
	s_and_saveexec_b64 s[16:17], s[10:11]
	s_cbranch_execnz .LBB130_1074
.LBB130_706:
	s_or_b64 exec, exec, s[16:17]
	v_cmp_gt_u32_e64 s[10:11], 32, v14
	s_and_saveexec_b64 s[16:17], s[10:11]
	s_cbranch_execnz .LBB130_1075
.LBB130_707:
	s_or_b64 exec, exec, s[16:17]
	v_cmp_gt_u32_e64 s[10:11], 16, v14
	s_and_saveexec_b64 s[16:17], s[10:11]
	s_cbranch_execz .LBB130_709
.LBB130_708:
	v_lshlrev_b32_e32 v29, 3, v0
	v_mov_b32_e32 v31, 0
	ds_read_b64 v[29:30], v29 offset:24448
	ds_read_b64 v[31:32], v31 offset:16760
	s_waitcnt lgkmcnt(0)
	v_fma_f64 v[11:12], v[29:30], v[31:32], v[11:12]
.LBB130_709:
	s_or_b64 exec, exec, s[16:17]
	v_xor_b32_e32 v12, 0x80000000, v12
.LBB130_710:
	s_or_b64 exec, exec, s[12:13]
	s_mov_b64 s[10:11], exec
	v_readlane_b32 s12, v41, 5
	v_readlane_b32 s13, v41, 6
	s_and_b64 s[12:13], s[10:11], s[12:13]
	s_mov_b64 exec, s[12:13]
	s_cbranch_execz .LBB130_712
; %bb.711:
	v_mov_b32_e32 v29, 0
	ds_read_b64 v[29:30], v29 offset:24960
	s_waitcnt lgkmcnt(0)
	v_mul_f64 v[11:12], v[11:12], v[29:30]
	ds_write_b64 v28, v[11:12]
.LBB130_712:
	s_or_b64 exec, exec, s[10:11]
	s_waitcnt lgkmcnt(0)
	s_barrier
	s_mov_b64 s[10:11], exec
	v_readlane_b32 s12, v41, 7
	v_readlane_b32 s13, v41, 8
	s_and_b64 s[12:13], s[10:11], s[12:13]
	s_mov_b64 exec, s[12:13]
	s_cbranch_execz .LBB130_714
; %bb.713:
	v_lshlrev_b32_e32 v29, 3, v27
	ds_read_b64 v[29:30], v29 offset:24960
	ds_read_b64 v[31:32], v28
	s_waitcnt lgkmcnt(0)
	v_fma_f64 v[11:12], v[29:30], v[31:32], v[11:12]
.LBB130_714:
	s_or_b64 exec, exec, s[10:11]
	s_barrier
	s_mov_b64 s[10:11], exec
	v_readlane_b32 s12, v41, 9
	v_readlane_b32 s13, v41, 10
	s_and_b64 s[12:13], s[10:11], s[12:13]
	s_mov_b64 exec, s[12:13]
	s_cbranch_execz .LBB130_716
; %bb.715:
	v_mov_b32_e32 v29, 0
	ds_read_b64 v[29:30], v29 offset:25480
	s_waitcnt lgkmcnt(0)
	v_mul_f64 v[11:12], v[11:12], v[29:30]
	ds_write_b64 v28, v[11:12]
.LBB130_716:
	s_or_b64 exec, exec, s[10:11]
	s_waitcnt lgkmcnt(0)
	s_barrier
	s_mov_b64 s[10:11], exec
	v_readlane_b32 s12, v41, 11
	v_readlane_b32 s13, v41, 12
	s_and_b64 s[12:13], s[10:11], s[12:13]
	s_mov_b64 exec, s[12:13]
	s_cbranch_execz .LBB130_718
; %bb.717:
	v_lshlrev_b32_e32 v29, 3, v27
	ds_read_b64 v[29:30], v29 offset:25472
	ds_read_b64 v[31:32], v28
	s_waitcnt lgkmcnt(0)
	v_fma_f64 v[11:12], v[29:30], v[31:32], v[11:12]
.LBB130_718:
	s_or_b64 exec, exec, s[10:11]
	s_barrier
	;; [unrolled: 31-line block ×12, first 2 shown]
	s_and_saveexec_b64 s[10:11], s[90:91]
	s_cbranch_execz .LBB130_760
; %bb.759:
	v_mov_b32_e32 v29, 0
	ds_read_b64 v[29:30], v29 offset:31200
	s_waitcnt lgkmcnt(0)
	v_mul_f64 v[11:12], v[11:12], v[29:30]
	ds_write_b64 v28, v[11:12]
.LBB130_760:
	s_or_b64 exec, exec, s[10:11]
	s_waitcnt lgkmcnt(0)
	s_barrier
	s_and_saveexec_b64 s[10:11], s[92:93]
	s_cbranch_execz .LBB130_762
; %bb.761:
	v_lshlrev_b32_e32 v29, 3, v27
	ds_read_b64 v[29:30], v29 offset:31104
	ds_read_b64 v[31:32], v28
	s_waitcnt lgkmcnt(0)
	v_fma_f64 v[11:12], v[29:30], v[31:32], v[11:12]
.LBB130_762:
	s_or_b64 exec, exec, s[10:11]
	s_barrier
	s_and_saveexec_b64 s[10:11], s[94:95]
	s_cbranch_execz .LBB130_764
; %bb.763:
	v_mov_b32_e32 v29, 0
	ds_read_b64 v[29:30], v29 offset:31720
	s_waitcnt lgkmcnt(0)
	v_mul_f64 v[11:12], v[11:12], v[29:30]
	ds_write_b64 v28, v[11:12]
.LBB130_764:
	s_or_b64 exec, exec, s[10:11]
	s_waitcnt lgkmcnt(0)
	s_barrier
	s_and_saveexec_b64 s[10:11], s[28:29]
	s_cbranch_execz .LBB130_766
; %bb.765:
	v_lshlrev_b32_e32 v27, 3, v27
	ds_read_b64 v[29:30], v27 offset:31616
	ds_read_b64 v[31:32], v28
	s_waitcnt lgkmcnt(0)
	v_fma_f64 v[11:12], v[29:30], v[31:32], v[11:12]
.LBB130_766:
	s_or_b64 exec, exec, s[10:11]
	s_barrier
	s_and_saveexec_b64 s[10:11], s[30:31]
	s_cbranch_execz .LBB130_768
; %bb.767:
	v_mov_b32_e32 v27, 0
	ds_read_b64 v[29:30], v27 offset:32240
	s_waitcnt lgkmcnt(0)
	v_mul_f64 v[11:12], v[11:12], v[29:30]
	ds_write_b64 v28, v[11:12]
.LBB130_768:
	s_or_b64 exec, exec, s[10:11]
	s_waitcnt lgkmcnt(0)
	s_barrier
	s_and_saveexec_b64 s[10:11], s[82:83]
	s_cbranch_execz .LBB130_770
; %bb.769:
	v_mov_b32_e32 v27, 0
	ds_read_b64 v[29:30], v27 offset:32248
	ds_read_b64 v[31:32], v28
	s_waitcnt lgkmcnt(0)
	v_fma_f64 v[11:12], v[29:30], v[31:32], v[11:12]
.LBB130_770:
	s_or_b64 exec, exec, s[10:11]
	s_barrier
	s_and_saveexec_b64 s[10:11], s[82:83]
	s_cbranch_execz .LBB130_772
; %bb.771:
	v_mov_b32_e32 v27, 0
	ds_read_b64 v[29:30], v27 offset:32760
	s_waitcnt lgkmcnt(0)
	v_mul_f64 v[11:12], v[11:12], v[29:30]
	ds_write_b64 v28, v[11:12]
.LBB130_772:
	s_or_b64 exec, exec, s[10:11]
	s_waitcnt lgkmcnt(0)
	s_barrier
	s_barrier
	s_and_saveexec_b64 s[10:11], s[8:9]
; %bb.773:
	v_xor_b32_e32 v12, 0x80000000, v12
	ds_write_b64 v26, v[11:12] offset:16768
; %bb.774:
	s_or_b64 exec, exec, s[10:11]
	s_waitcnt lgkmcnt(0)
	s_barrier
	s_barrier
	s_and_saveexec_b64 s[8:9], vcc
	s_cbranch_execz .LBB130_776
; %bb.775:
	v_mov_b32_e32 v30, 0
	ds_read_b128 v[26:29], v30 offset:24960
	ds_read_b64 v[11:12], v30 offset:25480
	s_waitcnt lgkmcnt(0)
	v_mul_f64 v[11:12], v[26:27], v[11:12]
	v_mul_f64 v[11:12], v[28:29], v[11:12]
	ds_write_b64 v30, v[11:12] offset:24968
.LBB130_776:
	s_or_b64 exec, exec, s[8:9]
	v_mov_b32_e32 v11, 0
	v_mov_b32_e32 v12, 0
	s_waitcnt lgkmcnt(0)
	s_barrier
	s_and_saveexec_b64 s[10:11], s[0:1]
	s_cbranch_execz .LBB130_780
; %bb.777:
	v_mul_u32_u24_e32 v26, 0x208, v15
	ds_read_b64 v[11:12], v1 offset:24976
	ds_read_b64 v[26:27], v26 offset:24960
	v_cmp_gt_u32_e64 s[8:9], 2, v14
	s_waitcnt lgkmcnt(0)
	v_fma_f64 v[11:12], v[11:12], v[26:27], 0
	s_and_saveexec_b64 s[12:13], s[8:9]
	s_cbranch_execz .LBB130_779
; %bb.778:
	v_lshlrev_b32_e32 v26, 3, v0
	v_mov_b32_e32 v28, 0
	ds_read_b64 v[26:27], v26 offset:25488
	ds_read_b64 v[28:29], v28 offset:24968
	s_waitcnt lgkmcnt(0)
	v_fma_f64 v[11:12], v[26:27], v[28:29], v[11:12]
.LBB130_779:
	s_or_b64 exec, exec, s[12:13]
	v_xor_b32_e32 v12, 0x80000000, v12
.LBB130_780:
	s_or_b64 exec, exec, s[10:11]
	s_and_saveexec_b64 s[8:9], s[38:39]
	s_cbranch_execz .LBB130_782
; %bb.781:
	v_mov_b32_e32 v26, 0
	ds_read_b64 v[26:27], v26 offset:26000
	s_waitcnt lgkmcnt(0)
	v_mul_f64 v[11:12], v[11:12], v[26:27]
	ds_write_b64 v13, v[11:12]
.LBB130_782:
	s_or_b64 exec, exec, s[8:9]
	s_waitcnt lgkmcnt(0)
	s_barrier
	s_and_saveexec_b64 s[8:9], s[36:37]
	s_cbranch_execz .LBB130_784
; %bb.783:
	v_mov_b32_e32 v26, 0
	ds_read_b64 v[26:27], v26 offset:26008
	ds_read_b64 v[28:29], v13
	s_waitcnt lgkmcnt(0)
	v_fma_f64 v[11:12], v[26:27], v[28:29], v[11:12]
.LBB130_784:
	s_or_b64 exec, exec, s[8:9]
	s_barrier
	s_and_saveexec_b64 s[8:9], s[36:37]
	s_cbranch_execz .LBB130_786
; %bb.785:
	v_mov_b32_e32 v26, 0
	ds_read_b64 v[26:27], v26 offset:26520
	s_waitcnt lgkmcnt(0)
	v_mul_f64 v[11:12], v[11:12], v[26:27]
	ds_write_b64 v13, v[11:12]
.LBB130_786:
	s_or_b64 exec, exec, s[8:9]
	s_waitcnt lgkmcnt(0)
	s_barrier
	s_barrier
	s_and_saveexec_b64 s[8:9], s[0:1]
; %bb.787:
	v_xor_b32_e32 v12, 0x80000000, v12
	ds_write_b64 v1, v[11:12] offset:24976
; %bb.788:
	s_or_b64 exec, exec, s[8:9]
	s_waitcnt lgkmcnt(0)
	s_barrier
	s_barrier
	s_and_saveexec_b64 s[8:9], vcc
	s_cbranch_execz .LBB130_790
; %bb.789:
	v_mov_b32_e32 v30, 0
	ds_read_b128 v[26:29], v30 offset:26000
	ds_read_b64 v[11:12], v30 offset:26520
	s_waitcnt lgkmcnt(0)
	v_mul_f64 v[11:12], v[26:27], v[11:12]
	v_mul_f64 v[11:12], v[28:29], v[11:12]
	ds_write_b64 v30, v[11:12] offset:26008
.LBB130_790:
	s_or_b64 exec, exec, s[8:9]
	v_mov_b32_e32 v11, 0
	v_mov_b32_e32 v12, 0
	s_waitcnt lgkmcnt(0)
	s_barrier
	s_and_saveexec_b64 s[10:11], s[2:3]
	s_cbranch_execz .LBB130_796
; %bb.791:
	v_mul_u32_u24_e32 v26, 0x208, v20
	ds_read_b64 v[11:12], v16 offset:24992
	ds_read_b64 v[27:28], v26 offset:24960
	v_cmp_gt_u32_e64 s[8:9], 12, v14
	s_waitcnt lgkmcnt(0)
	v_fma_f64 v[11:12], v[11:12], v[27:28], 0
	s_and_saveexec_b64 s[12:13], s[8:9]
	s_cbranch_execnz .LBB130_1076
; %bb.792:
	s_or_b64 exec, exec, s[12:13]
	v_cmp_gt_u32_e64 s[8:9], 8, v14
	s_and_saveexec_b64 s[12:13], s[8:9]
	s_cbranch_execnz .LBB130_1077
.LBB130_793:
	s_or_b64 exec, exec, s[12:13]
	v_cmp_gt_u32_e64 s[8:9], 4, v14
	s_and_saveexec_b64 s[12:13], s[8:9]
	s_cbranch_execz .LBB130_795
.LBB130_794:
	v_lshlrev_b32_e32 v26, 3, v0
	v_mov_b32_e32 v28, 0
	ds_read_b64 v[26:27], v26 offset:26528
	ds_read_b64 v[28:29], v28 offset:24984
	s_waitcnt lgkmcnt(0)
	v_fma_f64 v[11:12], v[26:27], v[28:29], v[11:12]
.LBB130_795:
	s_or_b64 exec, exec, s[12:13]
	v_xor_b32_e32 v12, 0x80000000, v12
.LBB130_796:
	s_or_b64 exec, exec, s[10:11]
	s_and_saveexec_b64 s[8:9], s[42:43]
	s_cbranch_execz .LBB130_798
; %bb.797:
	v_mov_b32_e32 v26, 0
	ds_read_b64 v[26:27], v26 offset:27040
	s_waitcnt lgkmcnt(0)
	v_mul_f64 v[11:12], v[11:12], v[26:27]
	ds_write_b64 v18, v[11:12]
.LBB130_798:
	s_or_b64 exec, exec, s[8:9]
	s_waitcnt lgkmcnt(0)
	s_barrier
	s_and_saveexec_b64 s[8:9], s[44:45]
	s_cbranch_execz .LBB130_800
; %bb.799:
	ds_read_b64 v[26:27], v17 offset:27040
	ds_read_b64 v[28:29], v18
	s_waitcnt lgkmcnt(0)
	v_fma_f64 v[11:12], v[26:27], v[28:29], v[11:12]
.LBB130_800:
	s_or_b64 exec, exec, s[8:9]
	s_barrier
	s_and_saveexec_b64 s[8:9], s[46:47]
	s_cbranch_execz .LBB130_802
; %bb.801:
	v_mov_b32_e32 v26, 0
	ds_read_b64 v[26:27], v26 offset:27560
	s_waitcnt lgkmcnt(0)
	v_mul_f64 v[11:12], v[11:12], v[26:27]
	ds_write_b64 v18, v[11:12]
.LBB130_802:
	s_or_b64 exec, exec, s[8:9]
	s_waitcnt lgkmcnt(0)
	s_barrier
	s_and_saveexec_b64 s[8:9], s[48:49]
	s_cbranch_execz .LBB130_804
; %bb.803:
	ds_read_b64 v[26:27], v17 offset:27552
	ds_read_b64 v[28:29], v18
	s_waitcnt lgkmcnt(0)
	v_fma_f64 v[11:12], v[26:27], v[28:29], v[11:12]
.LBB130_804:
	s_or_b64 exec, exec, s[8:9]
	s_barrier
	s_and_saveexec_b64 s[8:9], s[50:51]
	s_cbranch_execz .LBB130_806
; %bb.805:
	v_mov_b32_e32 v26, 0
	ds_read_b64 v[26:27], v26 offset:28080
	s_waitcnt lgkmcnt(0)
	v_mul_f64 v[11:12], v[11:12], v[26:27]
	ds_write_b64 v18, v[11:12]
.LBB130_806:
	s_or_b64 exec, exec, s[8:9]
	s_waitcnt lgkmcnt(0)
	s_barrier
	s_and_saveexec_b64 s[8:9], s[40:41]
	s_cbranch_execz .LBB130_808
; %bb.807:
	v_mov_b32_e32 v26, 0
	ds_read_b64 v[26:27], v26 offset:28088
	ds_read_b64 v[28:29], v18
	s_waitcnt lgkmcnt(0)
	v_fma_f64 v[11:12], v[26:27], v[28:29], v[11:12]
.LBB130_808:
	s_or_b64 exec, exec, s[8:9]
	s_barrier
	s_and_saveexec_b64 s[8:9], s[40:41]
	s_cbranch_execz .LBB130_810
; %bb.809:
	v_mov_b32_e32 v26, 0
	ds_read_b64 v[26:27], v26 offset:28600
	s_waitcnt lgkmcnt(0)
	v_mul_f64 v[11:12], v[11:12], v[26:27]
	ds_write_b64 v18, v[11:12]
.LBB130_810:
	s_or_b64 exec, exec, s[8:9]
	s_waitcnt lgkmcnt(0)
	s_barrier
	s_barrier
	s_and_saveexec_b64 s[8:9], s[2:3]
; %bb.811:
	v_xor_b32_e32 v12, 0x80000000, v12
	ds_write_b64 v16, v[11:12] offset:24992
; %bb.812:
	s_or_b64 exec, exec, s[8:9]
	s_waitcnt lgkmcnt(0)
	s_barrier
	s_barrier
	s_and_saveexec_b64 s[8:9], vcc
	s_cbranch_execz .LBB130_814
; %bb.813:
	v_mov_b32_e32 v30, 0
	ds_read_b128 v[26:29], v30 offset:27040
	ds_read_b64 v[11:12], v30 offset:27560
	s_waitcnt lgkmcnt(0)
	v_mul_f64 v[11:12], v[26:27], v[11:12]
	v_mul_f64 v[11:12], v[28:29], v[11:12]
	ds_write_b64 v30, v[11:12] offset:27048
.LBB130_814:
	s_or_b64 exec, exec, s[8:9]
	v_mov_b32_e32 v11, 0
	v_mov_b32_e32 v12, 0
	s_waitcnt lgkmcnt(0)
	s_barrier
	s_and_saveexec_b64 s[10:11], s[0:1]
	s_cbranch_execz .LBB130_818
; %bb.815:
	v_mul_u32_u24_e32 v26, 0x208, v15
	ds_read_b64 v[11:12], v1 offset:27056
	ds_read_b64 v[26:27], v26 offset:27040
	v_cmp_gt_u32_e64 s[8:9], 2, v14
	s_waitcnt lgkmcnt(0)
	v_fma_f64 v[11:12], v[11:12], v[26:27], 0
	s_and_saveexec_b64 s[12:13], s[8:9]
	s_cbranch_execz .LBB130_817
; %bb.816:
	v_lshlrev_b32_e32 v26, 3, v0
	v_mov_b32_e32 v28, 0
	ds_read_b64 v[26:27], v26 offset:27568
	ds_read_b64 v[28:29], v28 offset:27048
	s_waitcnt lgkmcnt(0)
	v_fma_f64 v[11:12], v[26:27], v[28:29], v[11:12]
.LBB130_817:
	s_or_b64 exec, exec, s[12:13]
	v_xor_b32_e32 v12, 0x80000000, v12
.LBB130_818:
	s_or_b64 exec, exec, s[10:11]
	s_and_saveexec_b64 s[8:9], s[38:39]
	s_cbranch_execz .LBB130_820
; %bb.819:
	v_mov_b32_e32 v26, 0
	ds_read_b64 v[26:27], v26 offset:28080
	s_waitcnt lgkmcnt(0)
	v_mul_f64 v[11:12], v[11:12], v[26:27]
	ds_write_b64 v13, v[11:12]
.LBB130_820:
	s_or_b64 exec, exec, s[8:9]
	s_waitcnt lgkmcnt(0)
	s_barrier
	s_and_saveexec_b64 s[8:9], s[36:37]
	s_cbranch_execz .LBB130_822
; %bb.821:
	v_mov_b32_e32 v26, 0
	ds_read_b64 v[26:27], v26 offset:28088
	ds_read_b64 v[28:29], v13
	s_waitcnt lgkmcnt(0)
	v_fma_f64 v[11:12], v[26:27], v[28:29], v[11:12]
.LBB130_822:
	s_or_b64 exec, exec, s[8:9]
	s_barrier
	s_and_saveexec_b64 s[8:9], s[36:37]
	s_cbranch_execz .LBB130_824
; %bb.823:
	v_mov_b32_e32 v26, 0
	ds_read_b64 v[26:27], v26 offset:28600
	s_waitcnt lgkmcnt(0)
	v_mul_f64 v[11:12], v[11:12], v[26:27]
	ds_write_b64 v13, v[11:12]
.LBB130_824:
	s_or_b64 exec, exec, s[8:9]
	s_waitcnt lgkmcnt(0)
	s_barrier
	s_barrier
	s_and_saveexec_b64 s[8:9], s[0:1]
; %bb.825:
	v_xor_b32_e32 v12, 0x80000000, v12
	ds_write_b64 v1, v[11:12] offset:27056
; %bb.826:
	s_or_b64 exec, exec, s[8:9]
	s_waitcnt lgkmcnt(0)
	s_barrier
	s_barrier
	s_and_saveexec_b64 s[8:9], vcc
	s_cbranch_execz .LBB130_828
; %bb.827:
	v_mov_b32_e32 v30, 0
	ds_read_b128 v[26:29], v30 offset:28080
	ds_read_b64 v[11:12], v30 offset:28600
	s_waitcnt lgkmcnt(0)
	v_mul_f64 v[11:12], v[26:27], v[11:12]
	v_mul_f64 v[11:12], v[28:29], v[11:12]
	ds_write_b64 v30, v[11:12] offset:28088
.LBB130_828:
	s_or_b64 exec, exec, s[8:9]
	v_mov_b32_e32 v11, 0
	v_mov_b32_e32 v12, 0
	s_waitcnt lgkmcnt(0)
	s_barrier
	s_and_saveexec_b64 s[10:11], s[14:15]
	s_cbranch_execz .LBB130_838
; %bb.829:
	v_mul_u32_u24_e32 v26, 0x208, v25
	ds_read_b64 v[11:12], v21 offset:25024
	ds_read_b64 v[27:28], v26 offset:24960
	v_cmp_gt_u32_e64 s[8:9], 56, v14
	s_waitcnt lgkmcnt(0)
	v_fma_f64 v[11:12], v[11:12], v[27:28], 0
	s_and_saveexec_b64 s[12:13], s[8:9]
	s_cbranch_execnz .LBB130_1078
; %bb.830:
	s_or_b64 exec, exec, s[12:13]
	v_cmp_gt_u32_e64 s[8:9], 48, v14
	s_and_saveexec_b64 s[12:13], s[8:9]
	s_cbranch_execnz .LBB130_1079
.LBB130_831:
	s_or_b64 exec, exec, s[12:13]
	v_cmp_gt_u32_e64 s[8:9], 40, v14
	s_and_saveexec_b64 s[12:13], s[8:9]
	s_cbranch_execnz .LBB130_1080
.LBB130_832:
	s_or_b64 exec, exec, s[12:13]
	v_cmp_gt_u32_e64 s[8:9], 32, v14
	s_and_saveexec_b64 s[12:13], s[8:9]
	s_cbranch_execnz .LBB130_1081
.LBB130_833:
	s_or_b64 exec, exec, s[12:13]
	v_cmp_gt_u32_e64 s[8:9], 24, v14
	s_and_saveexec_b64 s[12:13], s[8:9]
	s_cbranch_execnz .LBB130_1082
.LBB130_834:
	s_or_b64 exec, exec, s[12:13]
	v_cmp_gt_u32_e64 s[8:9], 16, v14
	s_and_saveexec_b64 s[12:13], s[8:9]
	s_cbranch_execnz .LBB130_1083
.LBB130_835:
	s_or_b64 exec, exec, s[12:13]
	v_cmp_gt_u32_e64 s[8:9], 8, v14
	s_and_saveexec_b64 s[12:13], s[8:9]
	s_cbranch_execz .LBB130_837
.LBB130_836:
	v_lshlrev_b32_e32 v24, 3, v0
	v_mov_b32_e32 v26, 0
	ds_read_b64 v[24:25], v24 offset:28608
	ds_read_b64 v[26:27], v26 offset:25016
	s_waitcnt lgkmcnt(0)
	v_fma_f64 v[11:12], v[24:25], v[26:27], v[11:12]
.LBB130_837:
	s_or_b64 exec, exec, s[12:13]
	v_xor_b32_e32 v12, 0x80000000, v12
.LBB130_838:
	s_or_b64 exec, exec, s[10:11]
	s_and_saveexec_b64 s[8:9], s[52:53]
	s_cbranch_execz .LBB130_840
; %bb.839:
	v_mov_b32_e32 v24, 0
	ds_read_b64 v[24:25], v24 offset:29120
	s_waitcnt lgkmcnt(0)
	v_mul_f64 v[11:12], v[11:12], v[24:25]
	ds_write_b64 v23, v[11:12]
.LBB130_840:
	s_or_b64 exec, exec, s[8:9]
	s_waitcnt lgkmcnt(0)
	s_barrier
	s_and_saveexec_b64 s[8:9], s[54:55]
	v_readlane_b32 s52, v41, 4
	s_cbranch_execz .LBB130_842
; %bb.841:
	ds_read_b64 v[24:25], v22 offset:29120
	ds_read_b64 v[26:27], v23
	s_waitcnt lgkmcnt(0)
	v_fma_f64 v[11:12], v[24:25], v[26:27], v[11:12]
.LBB130_842:
	s_or_b64 exec, exec, s[8:9]
	s_barrier
	s_and_saveexec_b64 s[8:9], s[56:57]
	s_cbranch_execz .LBB130_844
; %bb.843:
	v_mov_b32_e32 v24, 0
	ds_read_b64 v[24:25], v24 offset:29640
	s_waitcnt lgkmcnt(0)
	v_mul_f64 v[11:12], v[11:12], v[24:25]
	ds_write_b64 v23, v[11:12]
.LBB130_844:
	s_or_b64 exec, exec, s[8:9]
	s_waitcnt lgkmcnt(0)
	s_barrier
	s_and_saveexec_b64 s[8:9], s[58:59]
	s_cbranch_execz .LBB130_846
; %bb.845:
	ds_read_b64 v[24:25], v22 offset:29632
	ds_read_b64 v[26:27], v23
	s_waitcnt lgkmcnt(0)
	v_fma_f64 v[11:12], v[24:25], v[26:27], v[11:12]
.LBB130_846:
	s_or_b64 exec, exec, s[8:9]
	s_barrier
	s_and_saveexec_b64 s[8:9], s[60:61]
	s_cbranch_execz .LBB130_848
; %bb.847:
	v_mov_b32_e32 v24, 0
	ds_read_b64 v[24:25], v24 offset:30160
	s_waitcnt lgkmcnt(0)
	v_mul_f64 v[11:12], v[11:12], v[24:25]
	ds_write_b64 v23, v[11:12]
.LBB130_848:
	s_or_b64 exec, exec, s[8:9]
	s_waitcnt lgkmcnt(0)
	s_barrier
	s_and_saveexec_b64 s[8:9], s[64:65]
	;; [unrolled: 22-line block ×6, first 2 shown]
	s_cbranch_execz .LBB130_866
; %bb.865:
	v_mov_b32_e32 v22, 0
	ds_read_b64 v[24:25], v22 offset:32248
	ds_read_b64 v[26:27], v23
	s_waitcnt lgkmcnt(0)
	v_fma_f64 v[11:12], v[24:25], v[26:27], v[11:12]
.LBB130_866:
	s_or_b64 exec, exec, s[8:9]
	s_barrier
	s_and_saveexec_b64 s[8:9], s[62:63]
	s_cbranch_execz .LBB130_868
; %bb.867:
	v_mov_b32_e32 v22, 0
	ds_read_b64 v[24:25], v22 offset:32760
	s_waitcnt lgkmcnt(0)
	v_mul_f64 v[11:12], v[11:12], v[24:25]
	ds_write_b64 v23, v[11:12]
.LBB130_868:
	s_or_b64 exec, exec, s[8:9]
	s_waitcnt lgkmcnt(0)
	s_barrier
	s_barrier
	s_and_saveexec_b64 s[8:9], s[14:15]
; %bb.869:
	v_xor_b32_e32 v12, 0x80000000, v12
	ds_write_b64 v21, v[11:12] offset:25024
; %bb.870:
	s_or_b64 exec, exec, s[8:9]
	s_waitcnt lgkmcnt(0)
	s_barrier
	s_barrier
	s_and_saveexec_b64 s[8:9], vcc
	s_cbranch_execz .LBB130_872
; %bb.871:
	v_mov_b32_e32 v25, 0
	ds_read_b128 v[21:24], v25 offset:29120
	ds_read_b64 v[11:12], v25 offset:29640
	s_waitcnt lgkmcnt(0)
	v_mul_f64 v[11:12], v[21:22], v[11:12]
	v_mul_f64 v[11:12], v[23:24], v[11:12]
	ds_write_b64 v25, v[11:12] offset:29128
.LBB130_872:
	s_or_b64 exec, exec, s[8:9]
	v_mov_b32_e32 v11, 0
	v_mov_b32_e32 v12, 0
	s_waitcnt lgkmcnt(0)
	s_barrier
	s_and_saveexec_b64 s[10:11], s[0:1]
	s_cbranch_execz .LBB130_876
; %bb.873:
	v_mul_u32_u24_e32 v21, 0x208, v15
	ds_read_b64 v[11:12], v1 offset:29136
	ds_read_b64 v[21:22], v21 offset:29120
	v_cmp_gt_u32_e64 s[8:9], 2, v14
	s_waitcnt lgkmcnt(0)
	v_fma_f64 v[11:12], v[11:12], v[21:22], 0
	s_and_saveexec_b64 s[12:13], s[8:9]
	s_cbranch_execz .LBB130_875
; %bb.874:
	v_lshlrev_b32_e32 v21, 3, v0
	v_mov_b32_e32 v23, 0
	ds_read_b64 v[21:22], v21 offset:29648
	ds_read_b64 v[23:24], v23 offset:29128
	s_waitcnt lgkmcnt(0)
	v_fma_f64 v[11:12], v[21:22], v[23:24], v[11:12]
.LBB130_875:
	s_or_b64 exec, exec, s[12:13]
	v_xor_b32_e32 v12, 0x80000000, v12
.LBB130_876:
	s_or_b64 exec, exec, s[10:11]
	s_and_saveexec_b64 s[8:9], s[38:39]
	s_cbranch_execz .LBB130_878
; %bb.877:
	v_mov_b32_e32 v21, 0
	ds_read_b64 v[21:22], v21 offset:30160
	s_waitcnt lgkmcnt(0)
	v_mul_f64 v[11:12], v[11:12], v[21:22]
	ds_write_b64 v13, v[11:12]
.LBB130_878:
	s_or_b64 exec, exec, s[8:9]
	s_waitcnt lgkmcnt(0)
	s_barrier
	s_and_saveexec_b64 s[8:9], s[36:37]
	s_cbranch_execz .LBB130_880
; %bb.879:
	v_mov_b32_e32 v21, 0
	ds_read_b64 v[21:22], v21 offset:30168
	ds_read_b64 v[23:24], v13
	s_waitcnt lgkmcnt(0)
	v_fma_f64 v[11:12], v[21:22], v[23:24], v[11:12]
.LBB130_880:
	s_or_b64 exec, exec, s[8:9]
	s_barrier
	s_and_saveexec_b64 s[8:9], s[36:37]
	s_cbranch_execz .LBB130_882
; %bb.881:
	v_mov_b32_e32 v21, 0
	ds_read_b64 v[21:22], v21 offset:30680
	s_waitcnt lgkmcnt(0)
	v_mul_f64 v[11:12], v[11:12], v[21:22]
	ds_write_b64 v13, v[11:12]
.LBB130_882:
	s_or_b64 exec, exec, s[8:9]
	s_waitcnt lgkmcnt(0)
	s_barrier
	s_barrier
	s_and_saveexec_b64 s[8:9], s[0:1]
; %bb.883:
	v_xor_b32_e32 v12, 0x80000000, v12
	ds_write_b64 v1, v[11:12] offset:29136
; %bb.884:
	s_or_b64 exec, exec, s[8:9]
	s_waitcnt lgkmcnt(0)
	s_barrier
	s_barrier
	s_and_saveexec_b64 s[8:9], vcc
	s_cbranch_execz .LBB130_886
; %bb.885:
	v_mov_b32_e32 v25, 0
	ds_read_b128 v[21:24], v25 offset:30160
	ds_read_b64 v[11:12], v25 offset:30680
	s_waitcnt lgkmcnt(0)
	v_mul_f64 v[11:12], v[21:22], v[11:12]
	v_mul_f64 v[11:12], v[23:24], v[11:12]
	ds_write_b64 v25, v[11:12] offset:30168
.LBB130_886:
	s_or_b64 exec, exec, s[8:9]
	v_mov_b32_e32 v11, 0
	v_mov_b32_e32 v12, 0
	s_waitcnt lgkmcnt(0)
	s_barrier
	s_and_saveexec_b64 s[10:11], s[2:3]
	s_cbranch_execz .LBB130_892
; %bb.887:
	v_mul_u32_u24_e32 v21, 0x208, v20
	ds_read_b64 v[11:12], v16 offset:29152
	ds_read_b64 v[22:23], v21 offset:29120
	v_cmp_gt_u32_e64 s[8:9], 12, v14
	s_waitcnt lgkmcnt(0)
	v_fma_f64 v[11:12], v[11:12], v[22:23], 0
	s_and_saveexec_b64 s[12:13], s[8:9]
	s_cbranch_execnz .LBB130_1084
; %bb.888:
	s_or_b64 exec, exec, s[12:13]
	v_cmp_gt_u32_e64 s[8:9], 8, v14
	s_and_saveexec_b64 s[12:13], s[8:9]
	s_cbranch_execnz .LBB130_1085
.LBB130_889:
	s_or_b64 exec, exec, s[12:13]
	v_cmp_gt_u32_e64 s[8:9], 4, v14
	s_and_saveexec_b64 s[12:13], s[8:9]
	s_cbranch_execz .LBB130_891
.LBB130_890:
	v_lshlrev_b32_e32 v19, 3, v0
	v_mov_b32_e32 v21, 0
	ds_read_b64 v[19:20], v19 offset:30688
	ds_read_b64 v[21:22], v21 offset:29144
	s_waitcnt lgkmcnt(0)
	v_fma_f64 v[11:12], v[19:20], v[21:22], v[11:12]
.LBB130_891:
	s_or_b64 exec, exec, s[12:13]
	v_xor_b32_e32 v12, 0x80000000, v12
.LBB130_892:
	s_or_b64 exec, exec, s[10:11]
	s_and_saveexec_b64 s[8:9], s[42:43]
	s_cbranch_execz .LBB130_894
; %bb.893:
	v_mov_b32_e32 v19, 0
	ds_read_b64 v[19:20], v19 offset:31200
	s_waitcnt lgkmcnt(0)
	v_mul_f64 v[11:12], v[11:12], v[19:20]
	ds_write_b64 v18, v[11:12]
.LBB130_894:
	s_or_b64 exec, exec, s[8:9]
	s_waitcnt lgkmcnt(0)
	s_barrier
	s_and_saveexec_b64 s[8:9], s[44:45]
	s_cbranch_execz .LBB130_896
; %bb.895:
	ds_read_b64 v[19:20], v17 offset:31200
	ds_read_b64 v[21:22], v18
	s_waitcnt lgkmcnt(0)
	v_fma_f64 v[11:12], v[19:20], v[21:22], v[11:12]
.LBB130_896:
	s_or_b64 exec, exec, s[8:9]
	s_barrier
	s_and_saveexec_b64 s[8:9], s[46:47]
	s_cbranch_execz .LBB130_898
; %bb.897:
	v_mov_b32_e32 v19, 0
	ds_read_b64 v[19:20], v19 offset:31720
	s_waitcnt lgkmcnt(0)
	v_mul_f64 v[11:12], v[11:12], v[19:20]
	ds_write_b64 v18, v[11:12]
.LBB130_898:
	s_or_b64 exec, exec, s[8:9]
	s_waitcnt lgkmcnt(0)
	s_barrier
	s_and_saveexec_b64 s[8:9], s[48:49]
	s_cbranch_execz .LBB130_900
; %bb.899:
	ds_read_b64 v[19:20], v17 offset:31712
	ds_read_b64 v[21:22], v18
	s_waitcnt lgkmcnt(0)
	v_fma_f64 v[11:12], v[19:20], v[21:22], v[11:12]
.LBB130_900:
	s_or_b64 exec, exec, s[8:9]
	s_barrier
	s_and_saveexec_b64 s[8:9], s[50:51]
	s_cbranch_execz .LBB130_902
; %bb.901:
	v_mov_b32_e32 v17, 0
	ds_read_b64 v[19:20], v17 offset:32240
	s_waitcnt lgkmcnt(0)
	v_mul_f64 v[11:12], v[11:12], v[19:20]
	ds_write_b64 v18, v[11:12]
.LBB130_902:
	s_or_b64 exec, exec, s[8:9]
	s_waitcnt lgkmcnt(0)
	s_barrier
	s_and_saveexec_b64 s[8:9], s[40:41]
	s_cbranch_execz .LBB130_904
; %bb.903:
	v_mov_b32_e32 v17, 0
	ds_read_b64 v[19:20], v17 offset:32248
	ds_read_b64 v[21:22], v18
	s_waitcnt lgkmcnt(0)
	v_fma_f64 v[11:12], v[19:20], v[21:22], v[11:12]
.LBB130_904:
	s_or_b64 exec, exec, s[8:9]
	s_barrier
	s_and_saveexec_b64 s[8:9], s[40:41]
	s_cbranch_execz .LBB130_906
; %bb.905:
	v_mov_b32_e32 v17, 0
	ds_read_b64 v[19:20], v17 offset:32760
	s_waitcnt lgkmcnt(0)
	v_mul_f64 v[11:12], v[11:12], v[19:20]
	ds_write_b64 v18, v[11:12]
.LBB130_906:
	s_or_b64 exec, exec, s[8:9]
	s_waitcnt lgkmcnt(0)
	s_barrier
	s_barrier
	s_and_saveexec_b64 s[8:9], s[2:3]
; %bb.907:
	v_xor_b32_e32 v12, 0x80000000, v12
	ds_write_b64 v16, v[11:12] offset:29152
; %bb.908:
	s_or_b64 exec, exec, s[8:9]
	s_waitcnt lgkmcnt(0)
	s_barrier
	s_barrier
	s_and_saveexec_b64 s[2:3], vcc
	s_cbranch_execz .LBB130_910
; %bb.909:
	v_mov_b32_e32 v20, 0
	ds_read_b128 v[16:19], v20 offset:31200
	ds_read_b64 v[11:12], v20 offset:31720
	s_waitcnt lgkmcnt(0)
	v_mul_f64 v[11:12], v[16:17], v[11:12]
	v_mul_f64 v[11:12], v[18:19], v[11:12]
	ds_write_b64 v20, v[11:12] offset:31208
.LBB130_910:
	s_or_b64 exec, exec, s[2:3]
	v_mov_b32_e32 v11, 0
	v_mov_b32_e32 v12, 0
	s_waitcnt lgkmcnt(0)
	s_barrier
	s_and_saveexec_b64 s[8:9], s[0:1]
	s_cbranch_execz .LBB130_914
; %bb.911:
	v_mul_u32_u24_e32 v15, 0x208, v15
	ds_read_b64 v[11:12], v1 offset:31216
	ds_read_b64 v[15:16], v15 offset:31200
	v_cmp_gt_u32_e64 s[2:3], 2, v14
	s_waitcnt lgkmcnt(0)
	v_fma_f64 v[11:12], v[11:12], v[15:16], 0
	s_and_saveexec_b64 s[10:11], s[2:3]
	s_cbranch_execz .LBB130_913
; %bb.912:
	v_lshlrev_b32_e32 v14, 3, v0
	v_mov_b32_e32 v16, 0
	ds_read_b64 v[14:15], v14 offset:31728
	ds_read_b64 v[16:17], v16 offset:31208
	s_waitcnt lgkmcnt(0)
	v_fma_f64 v[11:12], v[14:15], v[16:17], v[11:12]
.LBB130_913:
	s_or_b64 exec, exec, s[10:11]
	v_xor_b32_e32 v12, 0x80000000, v12
.LBB130_914:
	s_or_b64 exec, exec, s[8:9]
	s_and_saveexec_b64 s[2:3], s[38:39]
	s_cbranch_execz .LBB130_916
; %bb.915:
	v_mov_b32_e32 v14, 0
	ds_read_b64 v[14:15], v14 offset:32240
	s_waitcnt lgkmcnt(0)
	v_mul_f64 v[11:12], v[11:12], v[14:15]
	ds_write_b64 v13, v[11:12]
.LBB130_916:
	s_or_b64 exec, exec, s[2:3]
	s_waitcnt lgkmcnt(0)
	s_barrier
	s_and_saveexec_b64 s[2:3], s[36:37]
	v_readlane_b32 s28, v41, 2
	v_readlane_b32 s30, v41, 0
	;; [unrolled: 1-line block ×4, first 2 shown]
	s_cbranch_execz .LBB130_918
; %bb.917:
	v_mov_b32_e32 v14, 0
	ds_read_b64 v[14:15], v14 offset:32248
	ds_read_b64 v[16:17], v13
	s_waitcnt lgkmcnt(0)
	v_fma_f64 v[11:12], v[14:15], v[16:17], v[11:12]
.LBB130_918:
	s_or_b64 exec, exec, s[2:3]
	s_barrier
	s_and_saveexec_b64 s[2:3], s[36:37]
	s_cbranch_execz .LBB130_920
; %bb.919:
	v_mov_b32_e32 v14, 0
	ds_read_b64 v[14:15], v14 offset:32760
	s_waitcnt lgkmcnt(0)
	v_mul_f64 v[11:12], v[11:12], v[14:15]
	ds_write_b64 v13, v[11:12]
.LBB130_920:
	s_or_b64 exec, exec, s[2:3]
	s_waitcnt lgkmcnt(0)
	s_barrier
	s_barrier
	s_and_saveexec_b64 s[2:3], s[0:1]
; %bb.921:
	v_xor_b32_e32 v12, 0x80000000, v12
	ds_write_b64 v1, v[11:12] offset:31216
; %bb.922:
	s_or_b64 exec, exec, s[2:3]
	s_waitcnt lgkmcnt(0)
	s_barrier
	s_barrier
	s_and_saveexec_b64 s[0:1], vcc
	s_cbranch_execz .LBB130_924
; %bb.923:
	v_mov_b32_e32 v1, 0
	ds_read_b128 v[11:14], v1 offset:32240
	ds_read_b64 v[15:16], v1 offset:32760
	s_waitcnt lgkmcnt(0)
	v_mul_f64 v[11:12], v[11:12], v[15:16]
	v_mul_f64 v[11:12], v[13:14], v[11:12]
	ds_write_b64 v1, v[11:12] offset:32248
.LBB130_924:
	s_or_b64 exec, exec, s[0:1]
.LBB130_925:
	s_lshl_b64 s[0:1], s[20:21], 3
	s_add_u32 s36, s30, s0
	v_cmp_le_i32_e32 vcc, s86, v0
	s_addc_u32 s37, s31, s1
	s_and_b64 s[14:15], vcc, s[18:19]
	v_cmp_eq_u32_e64 s[0:1], 0, v2
	s_xor_b64 s[2:3], s[14:15], -1
	v_mov_b32_e32 v11, 0
	s_and_b64 s[8:9], s[0:1], s[2:3]
	v_mov_b32_e32 v12, 0
	v_add_u32_e32 v13, s33, v0
	s_waitcnt lgkmcnt(0)
	s_barrier
	s_and_saveexec_b64 s[2:3], s[8:9]
	s_cbranch_execz .LBB130_927
; %bb.926:
	v_ashrrev_i32_e32 v1, 31, v13
	v_mul_lo_u32 v14, s23, v13
	v_mad_u64_u32 v[11:12], s[8:9], s22, v13, 0
	v_mul_lo_u32 v1, s22, v1
	v_add3_u32 v12, v12, v1, v14
	v_lshlrev_b64 v[11:12], 3, v[11:12]
	v_mov_b32_e32 v1, s37
	v_add_co_u32_e32 v11, vcc, s36, v11
	v_addc_co_u32_e32 v12, vcc, v1, v12, vcc
	flat_load_dwordx2 v[11:12], v[11:12]
	s_waitcnt vmcnt(0) lgkmcnt(0)
	v_mul_f64 v[11:12], v[11:12], -s[28:29]
.LBB130_927:
	s_or_b64 exec, exec, s[2:3]
	s_load_dwordx2 s[12:13], s[4:5], 0x50
	s_and_b32 s2, 0xffff, s89
	v_mad_u32_u24 v19, v2, s2, v0
	v_mov_b32_e32 v14, 0
	s_cmp_lt_i32 s6, 1
	v_cmp_eq_u32_e64 s[2:3], 0, v19
	s_cbranch_scc1 .LBB130_953
; %bb.928:
	v_mov_b32_e32 v15, 0xa000
	v_lshl_add_u32 v1, v19, 3, v15
	v_lshl_or_b32 v20, v2, 3, v15
	v_lshlrev_b64 v[15:16], 3, v[13:14]
	s_lshl_b64 s[4:5], s[24:25], 2
	s_waitcnt lgkmcnt(0)
	s_add_u32 s16, s12, s4
	v_cmp_gt_i32_e64 s[10:11], s7, v13
	v_mov_b32_e32 v17, s88
	v_add_co_u32_e32 v13, vcc, s87, v15
	s_mul_i32 s8, s27, 0x180
	s_mul_hi_u32 s9, s26, 0x180
	s_mov_b32 s38, 0
	s_addc_u32 s17, s13, s5
	v_cmp_gt_u32_e64 s[4:5], 64, v19
	s_add_i32 s39, s6, -1
	v_addc_co_u32_e32 v21, vcc, v17, v16, vcc
	s_lshl_b64 s[20:21], s[26:27], 7
	s_lshl_b64 s[28:29], s[26:27], 8
	s_add_i32 s40, s9, s8
	s_mul_i32 s41, s26, 0x180
	v_mov_b32_e32 v22, -1
	s_branch .LBB130_931
.LBB130_929:                            ;   in Loop: Header=BB130_931 Depth=1
	ds_read_b64 v[15:16], v20 offset:384
	s_waitcnt vmcnt(0) lgkmcnt(0)
	v_fma_f64 v[11:12], v[17:18], v[15:16], v[11:12]
.LBB130_930:                            ;   in Loop: Header=BB130_931 Depth=1
	s_or_b64 exec, exec, s[30:31]
	s_add_i32 s38, s38, 1
	s_cmp_eq_u32 s38, s6
	s_cbranch_scc1 .LBB130_953
.LBB130_931:                            ; =>This Loop Header: Depth=1
                                        ;     Child Loop BB130_933 Depth 2
	v_cmp_gt_i32_e32 vcc, s38, v22
	s_and_b64 s[30:31], s[2:3], vcc
	s_and_saveexec_b64 s[8:9], s[30:31]
	s_cbranch_execz .LBB130_934
; %bb.932:                              ;   in Loop: Header=BB130_931 Depth=1
	global_load_dword v22, v14, s[16:17]
	s_waitcnt vmcnt(0)
	v_cmp_le_i32_e32 vcc, s38, v22
	s_cbranch_vccnz .LBB130_934
.LBB130_933:                            ;   Parent Loop BB130_931 Depth=1
                                        ; =>  This Inner Loop Header: Depth=2
	buffer_wbinvl1_vol
	global_load_dword v22, v14, s[16:17]
	s_waitcnt vmcnt(0)
	v_cmp_gt_i32_e32 vcc, s38, v22
	s_cbranch_vccnz .LBB130_933
.LBB130_934:                            ;   in Loop: Header=BB130_931 Depth=1
	s_or_b64 exec, exec, s[8:9]
	s_lshl_b32 s42, s38, 6
	buffer_wbinvl1_vol
	s_barrier
	s_and_saveexec_b64 s[8:9], s[4:5]
	s_cbranch_execz .LBB130_938
; %bb.935:                              ;   in Loop: Header=BB130_931 Depth=1
	v_or_b32_e32 v17, s42, v19
	v_mov_b32_e32 v15, 0
	v_mov_b32_e32 v16, 0
	v_cmp_gt_i32_e32 vcc, s7, v17
	s_and_saveexec_b64 s[30:31], vcc
	s_cbranch_execz .LBB130_937
; %bb.936:                              ;   in Loop: Header=BB130_931 Depth=1
	v_mad_u64_u32 v[15:16], s[44:45], s22, v17, 0
	v_mad_u64_u32 v[16:17], s[44:45], s23, v17, v[16:17]
	v_mov_b32_e32 v17, s37
	v_lshlrev_b64 v[15:16], 3, v[15:16]
	v_add_co_u32_e32 v15, vcc, s36, v15
	v_addc_co_u32_e32 v16, vcc, v17, v16, vcc
	flat_load_dwordx2 v[15:16], v[15:16]
.LBB130_937:                            ;   in Loop: Header=BB130_931 Depth=1
	s_or_b64 exec, exec, s[30:31]
	s_waitcnt vmcnt(0) lgkmcnt(0)
	ds_write_b64 v1, v[15:16]
.LBB130_938:                            ;   in Loop: Header=BB130_931 Depth=1
	s_or_b64 exec, exec, s[8:9]
	v_add_u32_e32 v23, s42, v2
	v_mad_u64_u32 v[15:16], s[8:9], s26, v23, 0
	s_cmp_lg_u32 s38, s39
	s_waitcnt lgkmcnt(0)
	v_mad_u64_u32 v[16:17], s[8:9], s27, v23, v[16:17]
	s_cselect_b64 s[8:9], -1, 0
	v_cndmask_b32_e64 v17, 0, 1, s[8:9]
	v_lshlrev_b64 v[15:16], 3, v[15:16]
	v_cmp_ne_u32_e64 s[8:9], 1, v17
	v_add_co_u32_e32 v15, vcc, v13, v15
	v_addc_co_u32_e32 v16, vcc, v21, v16, vcc
	v_cmp_gt_i32_e32 vcc, s7, v23
	s_and_b64 s[42:43], s[10:11], vcc
	s_barrier
	s_and_saveexec_b64 s[30:31], s[42:43]
	s_cbranch_execz .LBB130_942
; %bb.939:                              ;   in Loop: Header=BB130_931 Depth=1
	v_mov_b32_e32 v18, v4
	s_and_b64 vcc, exec, s[8:9]
	v_mov_b32_e32 v17, v3
	s_cbranch_vccnz .LBB130_941
; %bb.940:                              ;   in Loop: Header=BB130_931 Depth=1
	flat_load_dwordx2 v[17:18], v[15:16]
.LBB130_941:                            ;   in Loop: Header=BB130_931 Depth=1
	ds_read_b64 v[24:25], v20
	s_waitcnt vmcnt(0) lgkmcnt(0)
	v_fma_f64 v[11:12], v[17:18], v[24:25], v[11:12]
.LBB130_942:                            ;   in Loop: Header=BB130_931 Depth=1
	s_or_b64 exec, exec, s[30:31]
	v_add_u32_e32 v17, 16, v23
	v_cmp_gt_i32_e32 vcc, s7, v17
	s_and_b64 s[42:43], s[10:11], vcc
	s_and_saveexec_b64 s[30:31], s[42:43]
	s_cbranch_execz .LBB130_946
; %bb.943:                              ;   in Loop: Header=BB130_931 Depth=1
	v_mov_b32_e32 v18, v6
	s_and_b64 vcc, exec, s[8:9]
	v_mov_b32_e32 v17, v5
	s_cbranch_vccnz .LBB130_945
; %bb.944:                              ;   in Loop: Header=BB130_931 Depth=1
	v_mov_b32_e32 v18, s21
	v_add_co_u32_e32 v17, vcc, s20, v15
	v_addc_co_u32_e32 v18, vcc, v16, v18, vcc
	flat_load_dwordx2 v[17:18], v[17:18]
.LBB130_945:                            ;   in Loop: Header=BB130_931 Depth=1
	ds_read_b64 v[24:25], v20 offset:128
	s_waitcnt vmcnt(0) lgkmcnt(0)
	v_fma_f64 v[11:12], v[17:18], v[24:25], v[11:12]
.LBB130_946:                            ;   in Loop: Header=BB130_931 Depth=1
	s_or_b64 exec, exec, s[30:31]
	v_add_u32_e32 v17, 32, v23
	v_cmp_gt_i32_e32 vcc, s7, v17
	s_and_b64 s[42:43], s[10:11], vcc
	s_and_saveexec_b64 s[30:31], s[42:43]
	s_cbranch_execz .LBB130_950
; %bb.947:                              ;   in Loop: Header=BB130_931 Depth=1
	v_mov_b32_e32 v18, v10
	s_and_b64 vcc, exec, s[8:9]
	v_mov_b32_e32 v17, v9
	s_cbranch_vccnz .LBB130_949
; %bb.948:                              ;   in Loop: Header=BB130_931 Depth=1
	v_mov_b32_e32 v18, s29
	v_add_co_u32_e32 v17, vcc, s28, v15
	v_addc_co_u32_e32 v18, vcc, v16, v18, vcc
	flat_load_dwordx2 v[17:18], v[17:18]
.LBB130_949:                            ;   in Loop: Header=BB130_931 Depth=1
	ds_read_b64 v[24:25], v20 offset:256
	s_waitcnt vmcnt(0) lgkmcnt(0)
	v_fma_f64 v[11:12], v[17:18], v[24:25], v[11:12]
.LBB130_950:                            ;   in Loop: Header=BB130_931 Depth=1
	s_or_b64 exec, exec, s[30:31]
	v_add_u32_e32 v17, 48, v23
	v_cmp_gt_i32_e32 vcc, s7, v17
	s_and_b64 s[42:43], s[10:11], vcc
	s_and_saveexec_b64 s[30:31], s[42:43]
	s_cbranch_execz .LBB130_930
; %bb.951:                              ;   in Loop: Header=BB130_931 Depth=1
	v_mov_b32_e32 v18, v8
	s_and_b64 vcc, exec, s[8:9]
	v_mov_b32_e32 v17, v7
	s_cbranch_vccnz .LBB130_929
; %bb.952:                              ;   in Loop: Header=BB130_931 Depth=1
	v_mov_b32_e32 v17, s40
	v_add_co_u32_e32 v15, vcc, s41, v15
	v_addc_co_u32_e32 v16, vcc, v16, v17, vcc
	flat_load_dwordx2 v[17:18], v[15:16]
	s_branch .LBB130_929
.LBB130_953:
	v_lshl_add_u32 v1, v2, 6, v0
	s_xor_b64 s[2:3], s[18:19], -1
	s_xor_b64 s[4:5], s[34:35], -1
	v_lshlrev_b32_e32 v1, 3, v1
	ds_write_b64 v1, v[11:12] offset:32768
	s_waitcnt lgkmcnt(0)
	s_barrier
	s_and_saveexec_b64 s[6:7], s[0:1]
	s_cbranch_execz .LBB130_955
; %bb.954:
	v_lshlrev_b32_e32 v15, 3, v0
	ds_read2st64_b64 v[3:6], v15 offset0:65 offset1:66
	ds_read_b64 v[13:14], v15 offset:40448
	s_waitcnt lgkmcnt(1)
	v_add_f64 v[3:4], v[11:12], v[3:4]
	v_add_f64 v[11:12], v[3:4], v[5:6]
	ds_read2st64_b64 v[3:6], v15 offset0:67 offset1:68
	ds_read2st64_b64 v[7:10], v15 offset0:69 offset1:70
	s_waitcnt lgkmcnt(1)
	v_add_f64 v[3:4], v[11:12], v[3:4]
	v_add_f64 v[3:4], v[3:4], v[5:6]
	s_waitcnt lgkmcnt(0)
	v_add_f64 v[3:4], v[3:4], v[7:8]
	v_add_f64 v[11:12], v[3:4], v[9:10]
	ds_read2st64_b64 v[3:6], v15 offset0:71 offset1:72
	ds_read2st64_b64 v[7:10], v15 offset0:73 offset1:74
	s_waitcnt lgkmcnt(1)
	v_add_f64 v[3:4], v[11:12], v[3:4]
	v_add_f64 v[3:4], v[3:4], v[5:6]
	;; [unrolled: 8-line block ×3, first 2 shown]
	s_waitcnt lgkmcnt(0)
	v_add_f64 v[3:4], v[3:4], v[7:8]
	v_add_f64 v[3:4], v[3:4], v[9:10]
	v_add_f64 v[3:4], v[3:4], v[13:14]
	v_xor_b32_e32 v4, 0x80000000, v4
	v_cndmask_b32_e64 v12, v4, 0, s[14:15]
	v_cndmask_b32_e64 v11, v3, 0, s[14:15]
.LBB130_955:
	s_or_b64 exec, exec, s[6:7]
	s_andn2_b64 vcc, exec, s[4:5]
	s_cbranch_vccnz .LBB130_968
; %bb.956:
	v_mov_b32_e32 v3, 0xa000
	v_lshl_or_b32 v5, v2, 3, v3
	s_and_saveexec_b64 s[4:5], s[0:1]
; %bb.957:
	v_lshl_add_u32 v3, v0, 3, v5
	ds_write_b64 v3, v[11:12]
; %bb.958:
	s_or_b64 exec, exec, s[4:5]
	v_mov_b32_e32 v3, 0
	v_mov_b32_e32 v4, 0
	v_cmp_ge_u32_e32 vcc, v0, v2
	s_waitcnt lgkmcnt(0)
	s_barrier
	s_and_saveexec_b64 s[4:5], vcc
	s_cbranch_execz .LBB130_960
; %bb.959:
	ds_read_b64 v[3:4], v1
	ds_read_b64 v[6:7], v5
	s_waitcnt lgkmcnt(0)
	v_fma_f64 v[3:4], v[3:4], v[6:7], 0
.LBB130_960:
	s_or_b64 exec, exec, s[4:5]
	v_add_u32_e32 v6, 16, v2
	v_cmp_ge_u32_e32 vcc, v0, v6
	s_and_saveexec_b64 s[4:5], vcc
	s_cbranch_execz .LBB130_962
; %bb.961:
	ds_read_b64 v[6:7], v1 offset:8192
	ds_read_b64 v[8:9], v5 offset:128
	s_waitcnt lgkmcnt(0)
	v_fma_f64 v[3:4], v[6:7], v[8:9], v[3:4]
.LBB130_962:
	s_or_b64 exec, exec, s[4:5]
	v_add_u32_e32 v6, 32, v2
	v_cmp_ge_u32_e32 vcc, v0, v6
	s_and_saveexec_b64 s[4:5], vcc
	s_cbranch_execz .LBB130_964
; %bb.963:
	ds_read_b64 v[6:7], v1 offset:16384
	ds_read_b64 v[8:9], v5 offset:256
	s_waitcnt lgkmcnt(0)
	v_fma_f64 v[3:4], v[6:7], v[8:9], v[3:4]
.LBB130_964:
	s_or_b64 exec, exec, s[4:5]
	v_add_u32_e32 v2, 48, v2
	v_add_u32_e32 v6, 0x8000, v1
	v_cmp_ge_u32_e32 vcc, v0, v2
	s_and_saveexec_b64 s[4:5], vcc
	s_cbranch_execz .LBB130_966
; %bb.965:
	ds_read_b64 v[1:2], v1 offset:24576
	ds_read_b64 v[7:8], v5 offset:384
	s_waitcnt lgkmcnt(0)
	v_fma_f64 v[3:4], v[1:2], v[7:8], v[3:4]
.LBB130_966:
	s_or_b64 exec, exec, s[4:5]
	s_mov_b64 s[6:7], 0
	s_mov_b64 s[4:5], 0
	ds_write_b64 v6, v[3:4]
	s_waitcnt lgkmcnt(0)
	s_barrier
                                        ; implicit-def: $vgpr5_vgpr6
                                        ; implicit-def: $vgpr1_vgpr2
	s_and_saveexec_b64 s[8:9], s[0:1]
	s_cbranch_execz .LBB130_1025
; %bb.967:
	v_lshlrev_b32_e32 v15, 3, v0
	ds_read2st64_b64 v[5:8], v15 offset0:65 offset1:66
	ds_read_b64 v[9:10], v15 offset:40448
	s_mov_b64 s[4:5], exec
	s_waitcnt lgkmcnt(1)
	v_add_f64 v[1:2], v[3:4], v[5:6]
	v_add_f64 v[13:14], v[7:8], v[1:2]
	ds_read2st64_b64 v[1:4], v15 offset0:67 offset1:68
	ds_read2st64_b64 v[5:8], v15 offset0:69 offset1:70
	s_waitcnt lgkmcnt(1)
	v_add_f64 v[1:2], v[1:2], v[13:14]
	v_add_f64 v[1:2], v[3:4], v[1:2]
	s_waitcnt lgkmcnt(0)
	v_add_f64 v[1:2], v[5:6], v[1:2]
	v_add_f64 v[13:14], v[7:8], v[1:2]
	ds_read2st64_b64 v[1:4], v15 offset0:71 offset1:72
	ds_read2st64_b64 v[5:8], v15 offset0:73 offset1:74
	s_waitcnt lgkmcnt(1)
	v_add_f64 v[1:2], v[1:2], v[13:14]
	v_add_f64 v[1:2], v[3:4], v[1:2]
	;; [unrolled: 8-line block ×3, first 2 shown]
	s_waitcnt lgkmcnt(0)
	v_add_f64 v[1:2], v[5:6], v[1:2]
	v_add_f64 v[3:4], v[7:8], v[1:2]
	v_add_u32_e32 v7, s33, v19
	v_mad_u64_u32 v[1:2], s[10:11], s22, v7, 0
	v_add_f64 v[5:6], v[9:10], v[3:4]
	v_mad_u64_u32 v[2:3], s[10:11], s23, v7, v[2:3]
	s_or_b64 exec, exec, s[8:9]
	s_and_b64 vcc, exec, s[6:7]
	s_cbranch_vccnz .LBB130_969
	s_branch .LBB130_1026
.LBB130_968:
	s_mov_b64 s[4:5], 0
                                        ; implicit-def: $vgpr5_vgpr6
                                        ; implicit-def: $vgpr1_vgpr2
	s_cbranch_execz .LBB130_1026
.LBB130_969:
	v_mul_u32_u24_e32 v1, 0x208, v0
	v_lshlrev_b32_e32 v2, 9, v0
	v_sub_u32_e32 v2, v1, v2
	s_mov_b32 s8, 0
	v_mov_b32_e32 v3, 0
	v_mov_b32_e32 v4, v0
	s_branch .LBB130_971
.LBB130_970:                            ;   in Loop: Header=BB130_971 Depth=1
	s_or_b64 exec, exec, s[6:7]
	s_add_i32 s8, s8, 4
	v_add_u32_e32 v2, 0x800, v2
	s_cmp_lg_u32 s8, 64
	v_add_u32_e32 v4, -4, v4
	s_barrier
	s_cbranch_scc0 .LBB130_987
.LBB130_971:                            ; =>This Inner Loop Header: Depth=1
	v_cmp_eq_u32_e32 vcc, 0, v4
	s_and_b64 s[10:11], s[0:1], vcc
	s_and_saveexec_b64 s[6:7], s[10:11]
	s_cbranch_execz .LBB130_973
; %bb.972:                              ;   in Loop: Header=BB130_971 Depth=1
	ds_read_b64 v[5:6], v1
	s_waitcnt lgkmcnt(0)
	v_mul_f64 v[11:12], v[11:12], v[5:6]
	ds_write_b64 v3, v[11:12] offset:41472
.LBB130_973:                            ;   in Loop: Header=BB130_971 Depth=1
	s_or_b64 exec, exec, s[6:7]
	v_cmp_lt_u32_e32 vcc, s8, v0
	s_and_b64 s[10:11], s[0:1], vcc
	s_waitcnt lgkmcnt(0)
	s_barrier
	s_and_saveexec_b64 s[6:7], s[10:11]
	s_cbranch_execz .LBB130_975
; %bb.974:                              ;   in Loop: Header=BB130_971 Depth=1
	ds_read_b64 v[5:6], v2
	ds_read_b64 v[7:8], v3 offset:41472
	s_waitcnt lgkmcnt(0)
	v_fma_f64 v[11:12], v[5:6], v[7:8], v[11:12]
.LBB130_975:                            ;   in Loop: Header=BB130_971 Depth=1
	s_or_b64 exec, exec, s[6:7]
	s_or_b32 s9, s8, 1
	v_cmp_eq_u32_e32 vcc, s9, v0
	s_and_b64 s[10:11], s[0:1], vcc
	s_barrier
	s_and_saveexec_b64 s[6:7], s[10:11]
	s_cbranch_execz .LBB130_977
; %bb.976:                              ;   in Loop: Header=BB130_971 Depth=1
	ds_read_b64 v[5:6], v1
	s_waitcnt lgkmcnt(0)
	v_mul_f64 v[11:12], v[11:12], v[5:6]
	ds_write_b64 v3, v[11:12] offset:41472
.LBB130_977:                            ;   in Loop: Header=BB130_971 Depth=1
	s_or_b64 exec, exec, s[6:7]
	v_cmp_lt_u32_e32 vcc, s9, v0
	s_and_b64 s[10:11], s[0:1], vcc
	s_waitcnt lgkmcnt(0)
	s_barrier
	s_and_saveexec_b64 s[6:7], s[10:11]
	s_cbranch_execz .LBB130_979
; %bb.978:                              ;   in Loop: Header=BB130_971 Depth=1
	ds_read_b64 v[5:6], v2 offset:512
	ds_read_b64 v[7:8], v3 offset:41472
	s_waitcnt lgkmcnt(0)
	v_fma_f64 v[11:12], v[5:6], v[7:8], v[11:12]
.LBB130_979:                            ;   in Loop: Header=BB130_971 Depth=1
	s_or_b64 exec, exec, s[6:7]
	s_or_b32 s9, s8, 2
	v_cmp_eq_u32_e32 vcc, s9, v0
	s_and_b64 s[10:11], s[0:1], vcc
	s_barrier
	s_and_saveexec_b64 s[6:7], s[10:11]
	s_cbranch_execz .LBB130_981
; %bb.980:                              ;   in Loop: Header=BB130_971 Depth=1
	ds_read_b64 v[5:6], v1
	s_waitcnt lgkmcnt(0)
	v_mul_f64 v[11:12], v[11:12], v[5:6]
	ds_write_b64 v3, v[11:12] offset:41472
.LBB130_981:                            ;   in Loop: Header=BB130_971 Depth=1
	s_or_b64 exec, exec, s[6:7]
	v_cmp_lt_u32_e32 vcc, s9, v0
	s_and_b64 s[10:11], s[0:1], vcc
	s_waitcnt lgkmcnt(0)
	s_barrier
	s_and_saveexec_b64 s[6:7], s[10:11]
	s_cbranch_execz .LBB130_983
; %bb.982:                              ;   in Loop: Header=BB130_971 Depth=1
	ds_read_b64 v[5:6], v2 offset:1024
	ds_read_b64 v[7:8], v3 offset:41472
	s_waitcnt lgkmcnt(0)
	v_fma_f64 v[11:12], v[5:6], v[7:8], v[11:12]
.LBB130_983:                            ;   in Loop: Header=BB130_971 Depth=1
	s_or_b64 exec, exec, s[6:7]
	s_or_b32 s9, s8, 3
	v_cmp_eq_u32_e32 vcc, s9, v0
	s_and_b64 s[10:11], s[0:1], vcc
	s_barrier
	s_and_saveexec_b64 s[6:7], s[10:11]
	s_cbranch_execz .LBB130_985
; %bb.984:                              ;   in Loop: Header=BB130_971 Depth=1
	ds_read_b64 v[5:6], v1
	s_waitcnt lgkmcnt(0)
	v_mul_f64 v[11:12], v[11:12], v[5:6]
	ds_write_b64 v3, v[11:12] offset:41472
.LBB130_985:                            ;   in Loop: Header=BB130_971 Depth=1
	s_or_b64 exec, exec, s[6:7]
	v_cmp_lt_u32_e32 vcc, s9, v0
	s_and_b64 s[10:11], s[0:1], vcc
	s_waitcnt lgkmcnt(0)
	s_barrier
	s_and_saveexec_b64 s[6:7], s[10:11]
	s_cbranch_execz .LBB130_970
; %bb.986:                              ;   in Loop: Header=BB130_971 Depth=1
	ds_read_b64 v[5:6], v2 offset:1536
	ds_read_b64 v[7:8], v3 offset:41472
	s_waitcnt lgkmcnt(0)
	v_fma_f64 v[11:12], v[5:6], v[7:8], v[11:12]
	s_branch .LBB130_970
.LBB130_987:
	s_and_b64 vcc, exec, s[2:3]
	s_cbranch_vccz .LBB130_1027
; %bb.988:
	s_and_b64 s[2:3], s[0:1], exec
	s_cbranch_execz .LBB130_1028
	s_branch .LBB130_1029
.LBB130_989:
	v_cmp_ne_u32_e32 vcc, v0, v2
	s_and_saveexec_b64 s[8:9], vcc
	s_xor_b64 s[8:9], exec, s[8:9]
; %bb.990:
	v_or_b32_e32 v1, v2, v0
	v_cmp_gt_u32_e32 vcc, 64, v1
	s_and_b64 s[2:3], vcc, exec
                                        ; implicit-def: $vgpr15_vgpr16
; %bb.991:
	s_or_saveexec_b64 s[8:9], s[8:9]
	v_mov_b32_e32 v13, 0
	v_mov_b32_e32 v14, 0
	s_xor_b64 exec, exec, s[8:9]
	s_cbranch_execz .LBB130_993
; %bb.992:
	v_lshlrev_b64 v[13:14], 3, v[15:16]
	v_mov_b32_e32 v1, s88
	v_add_co_u32_e32 v13, vcc, s87, v13
	v_addc_co_u32_e32 v14, vcc, v1, v14, vcc
	flat_load_dwordx2 v[13:14], v[13:14]
	s_or_b64 s[2:3], s[2:3], exec
	s_waitcnt vmcnt(0) lgkmcnt(0)
	v_div_scale_f64 v[15:16], s[10:11], v[13:14], v[13:14], 1.0
	v_div_scale_f64 v[21:22], vcc, 1.0, v[13:14], 1.0
	v_rcp_f64_e32 v[17:18], v[15:16]
	v_fma_f64 v[19:20], -v[15:16], v[17:18], 1.0
	v_fma_f64 v[17:18], v[17:18], v[19:20], v[17:18]
	v_fma_f64 v[19:20], -v[15:16], v[17:18], 1.0
	v_fma_f64 v[17:18], v[17:18], v[19:20], v[17:18]
	v_mul_f64 v[19:20], v[21:22], v[17:18]
	v_fma_f64 v[15:16], -v[15:16], v[19:20], v[21:22]
	v_div_fmas_f64 v[15:16], v[15:16], v[17:18], v[19:20]
	v_div_fixup_f64 v[13:14], v[15:16], v[13:14], 1.0
.LBB130_993:
	s_or_b64 exec, exec, s[8:9]
	s_and_b64 s[2:3], s[2:3], exec
                                        ; implicit-def: $vgpr15_vgpr16
	s_andn2_saveexec_b64 s[0:1], s[0:1]
	s_cbranch_execz .LBB130_14
.LBB130_994:
	v_lshlrev_b64 v[13:14], 3, v[15:16]
	v_mov_b32_e32 v1, s88
	v_add_co_u32_e32 v13, vcc, s87, v13
	v_addc_co_u32_e32 v14, vcc, v1, v14, vcc
	flat_load_dwordx2 v[13:14], v[13:14]
	s_or_b64 s[2:3], s[2:3], exec
	s_waitcnt vmcnt(0) lgkmcnt(0)
	v_xor_b32_e32 v14, 0x80000000, v14
	s_or_b64 exec, exec, s[0:1]
	s_and_saveexec_b64 s[0:1], s[2:3]
	s_cbranch_execnz .LBB130_15
	s_branch .LBB130_16
.LBB130_995:
	v_cmp_ne_u32_e32 vcc, v0, v1
	s_and_saveexec_b64 s[8:9], vcc
	s_xor_b64 s[8:9], exec, s[8:9]
; %bb.996:
	v_or_b32_e32 v13, v1, v0
	v_cmp_gt_u32_e32 vcc, 64, v13
	s_and_b64 s[2:3], vcc, exec
                                        ; implicit-def: $vgpr15_vgpr16
; %bb.997:
	s_or_saveexec_b64 s[8:9], s[8:9]
	v_mov_b32_e32 v13, 0
	v_mov_b32_e32 v14, 0
	s_xor_b64 exec, exec, s[8:9]
	s_cbranch_execz .LBB130_999
; %bb.998:
	v_lshlrev_b64 v[13:14], 3, v[15:16]
	v_mov_b32_e32 v15, s88
	v_add_co_u32_e32 v13, vcc, s87, v13
	v_addc_co_u32_e32 v14, vcc, v15, v14, vcc
	flat_load_dwordx2 v[13:14], v[13:14]
	s_or_b64 s[2:3], s[2:3], exec
	s_waitcnt vmcnt(0) lgkmcnt(0)
	v_div_scale_f64 v[15:16], s[10:11], v[13:14], v[13:14], 1.0
	v_div_scale_f64 v[21:22], vcc, 1.0, v[13:14], 1.0
	v_rcp_f64_e32 v[17:18], v[15:16]
	v_fma_f64 v[19:20], -v[15:16], v[17:18], 1.0
	v_fma_f64 v[17:18], v[17:18], v[19:20], v[17:18]
	v_fma_f64 v[19:20], -v[15:16], v[17:18], 1.0
	v_fma_f64 v[17:18], v[17:18], v[19:20], v[17:18]
	v_mul_f64 v[19:20], v[21:22], v[17:18]
	v_fma_f64 v[15:16], -v[15:16], v[19:20], v[21:22]
	v_div_fmas_f64 v[15:16], v[15:16], v[17:18], v[19:20]
	v_div_fixup_f64 v[13:14], v[15:16], v[13:14], 1.0
.LBB130_999:
	s_or_b64 exec, exec, s[8:9]
	s_and_b64 s[2:3], s[2:3], exec
                                        ; implicit-def: $vgpr15_vgpr16
	s_andn2_saveexec_b64 s[0:1], s[0:1]
	s_cbranch_execz .LBB130_18
.LBB130_1000:
	v_lshlrev_b64 v[13:14], 3, v[15:16]
	v_mov_b32_e32 v15, s88
	v_add_co_u32_e32 v13, vcc, s87, v13
	v_addc_co_u32_e32 v14, vcc, v15, v14, vcc
	flat_load_dwordx2 v[13:14], v[13:14]
	s_or_b64 s[2:3], s[2:3], exec
	s_waitcnt vmcnt(0) lgkmcnt(0)
	v_xor_b32_e32 v14, 0x80000000, v14
	s_or_b64 exec, exec, s[0:1]
	s_and_saveexec_b64 s[0:1], s[2:3]
	s_cbranch_execnz .LBB130_19
	s_branch .LBB130_20
.LBB130_1001:
	v_cmp_ne_u32_e32 vcc, v0, v1
	s_and_saveexec_b64 s[8:9], vcc
	s_xor_b64 s[8:9], exec, s[8:9]
; %bb.1002:
	v_or_b32_e32 v13, v1, v0
	v_cmp_gt_u32_e32 vcc, 64, v13
	s_and_b64 s[2:3], vcc, exec
                                        ; implicit-def: $vgpr15_vgpr16
; %bb.1003:
	s_or_saveexec_b64 s[8:9], s[8:9]
	v_mov_b32_e32 v13, 0
	v_mov_b32_e32 v14, 0
	s_xor_b64 exec, exec, s[8:9]
	s_cbranch_execz .LBB130_1005
; %bb.1004:
	v_lshlrev_b64 v[13:14], 3, v[15:16]
	v_mov_b32_e32 v15, s88
	v_add_co_u32_e32 v13, vcc, s87, v13
	v_addc_co_u32_e32 v14, vcc, v15, v14, vcc
	flat_load_dwordx2 v[13:14], v[13:14]
	s_or_b64 s[2:3], s[2:3], exec
	s_waitcnt vmcnt(0) lgkmcnt(0)
	v_div_scale_f64 v[15:16], s[10:11], v[13:14], v[13:14], 1.0
	v_div_scale_f64 v[21:22], vcc, 1.0, v[13:14], 1.0
	v_rcp_f64_e32 v[17:18], v[15:16]
	v_fma_f64 v[19:20], -v[15:16], v[17:18], 1.0
	v_fma_f64 v[17:18], v[17:18], v[19:20], v[17:18]
	v_fma_f64 v[19:20], -v[15:16], v[17:18], 1.0
	v_fma_f64 v[17:18], v[17:18], v[19:20], v[17:18]
	v_mul_f64 v[19:20], v[21:22], v[17:18]
	v_fma_f64 v[15:16], -v[15:16], v[19:20], v[21:22]
	v_div_fmas_f64 v[15:16], v[15:16], v[17:18], v[19:20]
	v_div_fixup_f64 v[13:14], v[15:16], v[13:14], 1.0
.LBB130_1005:
	s_or_b64 exec, exec, s[8:9]
	s_and_b64 s[2:3], s[2:3], exec
                                        ; implicit-def: $vgpr15_vgpr16
	s_andn2_saveexec_b64 s[0:1], s[0:1]
	s_cbranch_execz .LBB130_22
.LBB130_1006:
	v_lshlrev_b64 v[13:14], 3, v[15:16]
	v_mov_b32_e32 v15, s88
	v_add_co_u32_e32 v13, vcc, s87, v13
	v_addc_co_u32_e32 v14, vcc, v15, v14, vcc
	flat_load_dwordx2 v[13:14], v[13:14]
	s_or_b64 s[2:3], s[2:3], exec
	s_waitcnt vmcnt(0) lgkmcnt(0)
	v_xor_b32_e32 v14, 0x80000000, v14
	s_or_b64 exec, exec, s[0:1]
	s_and_saveexec_b64 s[0:1], s[2:3]
	s_cbranch_execnz .LBB130_23
	s_branch .LBB130_24
.LBB130_1007:
	v_cmp_ne_u32_e32 vcc, v0, v2
	s_xor_b64 s[10:11], s[0:1], -1
	s_or_b64 s[12:13], s[10:11], vcc
	s_mov_b64 s[10:11], 0
	s_and_saveexec_b64 s[14:15], s[12:13]
	s_xor_b64 s[12:13], exec, s[14:15]
; %bb.1008:
	v_or_b32_e32 v1, v2, v0
	v_cmp_gt_u32_e32 vcc, 64, v1
	s_and_b64 s[10:11], vcc, exec
                                        ; implicit-def: $vgpr13_vgpr14
; %bb.1009:
	s_or_saveexec_b64 s[12:13], s[12:13]
	v_mov_b32_e32 v15, 0
	v_mov_b32_e32 v16, 0
	s_xor_b64 exec, exec, s[12:13]
	s_cbranch_execz .LBB130_1011
; %bb.1010:
	v_lshlrev_b64 v[13:14], 3, v[13:14]
	v_mov_b32_e32 v1, s88
	v_add_co_u32_e32 v13, vcc, s87, v13
	v_addc_co_u32_e32 v14, vcc, v1, v14, vcc
	flat_load_dwordx2 v[13:14], v[13:14]
	s_or_b64 s[10:11], s[10:11], exec
	s_waitcnt vmcnt(0) lgkmcnt(0)
	v_div_scale_f64 v[15:16], s[14:15], v[13:14], v[13:14], 1.0
	v_div_scale_f64 v[21:22], vcc, 1.0, v[13:14], 1.0
	v_rcp_f64_e32 v[17:18], v[15:16]
	v_fma_f64 v[19:20], -v[15:16], v[17:18], 1.0
	v_fma_f64 v[17:18], v[17:18], v[19:20], v[17:18]
	v_fma_f64 v[19:20], -v[15:16], v[17:18], 1.0
	v_fma_f64 v[17:18], v[17:18], v[19:20], v[17:18]
	v_mul_f64 v[19:20], v[21:22], v[17:18]
	v_fma_f64 v[15:16], -v[15:16], v[19:20], v[21:22]
	v_div_fmas_f64 v[15:16], v[15:16], v[17:18], v[19:20]
	v_div_fixup_f64 v[15:16], v[15:16], v[13:14], 1.0
.LBB130_1011:
	s_or_b64 exec, exec, s[12:13]
	s_and_b64 s[10:11], s[10:11], exec
                                        ; implicit-def: $vgpr13_vgpr14
	s_andn2_saveexec_b64 s[2:3], s[2:3]
	s_cbranch_execz .LBB130_36
.LBB130_1012:
	v_lshlrev_b64 v[13:14], 3, v[13:14]
	v_mov_b32_e32 v1, s88
	v_add_co_u32_e32 v13, vcc, s87, v13
	v_addc_co_u32_e32 v14, vcc, v1, v14, vcc
	flat_load_dwordx2 v[15:16], v[13:14]
	s_or_b64 s[10:11], s[10:11], exec
	s_waitcnt vmcnt(0) lgkmcnt(0)
	v_xor_b32_e32 v16, 0x80000000, v16
	s_or_b64 exec, exec, s[2:3]
	s_and_saveexec_b64 s[2:3], s[10:11]
	s_cbranch_execnz .LBB130_37
	s_branch .LBB130_38
.LBB130_1013:
	v_cmp_ne_u32_e32 vcc, v0, v1
	s_xor_b64 s[10:11], s[0:1], -1
	s_or_b64 s[12:13], s[10:11], vcc
	s_mov_b64 s[10:11], 0
	s_and_saveexec_b64 s[14:15], s[12:13]
	s_xor_b64 s[12:13], exec, s[14:15]
; %bb.1014:
	v_or_b32_e32 v13, v1, v0
	v_cmp_gt_u32_e32 vcc, 64, v13
	s_and_b64 s[10:11], vcc, exec
                                        ; implicit-def: $vgpr13_vgpr14
; %bb.1015:
	s_or_saveexec_b64 s[12:13], s[12:13]
	v_mov_b32_e32 v15, 0
	v_mov_b32_e32 v16, 0
	s_xor_b64 exec, exec, s[12:13]
	s_cbranch_execz .LBB130_1017
; %bb.1016:
	v_lshlrev_b64 v[13:14], 3, v[13:14]
	v_mov_b32_e32 v15, s88
	v_add_co_u32_e32 v13, vcc, s87, v13
	v_addc_co_u32_e32 v14, vcc, v15, v14, vcc
	flat_load_dwordx2 v[13:14], v[13:14]
	s_or_b64 s[10:11], s[10:11], exec
	s_waitcnt vmcnt(0) lgkmcnt(0)
	v_div_scale_f64 v[15:16], s[14:15], v[13:14], v[13:14], 1.0
	v_div_scale_f64 v[21:22], vcc, 1.0, v[13:14], 1.0
	v_rcp_f64_e32 v[17:18], v[15:16]
	v_fma_f64 v[19:20], -v[15:16], v[17:18], 1.0
	v_fma_f64 v[17:18], v[17:18], v[19:20], v[17:18]
	v_fma_f64 v[19:20], -v[15:16], v[17:18], 1.0
	v_fma_f64 v[17:18], v[17:18], v[19:20], v[17:18]
	v_mul_f64 v[19:20], v[21:22], v[17:18]
	v_fma_f64 v[15:16], -v[15:16], v[19:20], v[21:22]
	v_div_fmas_f64 v[15:16], v[15:16], v[17:18], v[19:20]
	v_div_fixup_f64 v[15:16], v[15:16], v[13:14], 1.0
.LBB130_1017:
	s_or_b64 exec, exec, s[12:13]
	s_and_b64 s[10:11], s[10:11], exec
                                        ; implicit-def: $vgpr13_vgpr14
	s_andn2_saveexec_b64 s[2:3], s[2:3]
	s_cbranch_execz .LBB130_40
.LBB130_1018:
	v_lshlrev_b64 v[13:14], 3, v[13:14]
	v_mov_b32_e32 v15, s88
	v_add_co_u32_e32 v13, vcc, s87, v13
	v_addc_co_u32_e32 v14, vcc, v15, v14, vcc
	flat_load_dwordx2 v[15:16], v[13:14]
	s_or_b64 s[10:11], s[10:11], exec
	s_waitcnt vmcnt(0) lgkmcnt(0)
	v_xor_b32_e32 v16, 0x80000000, v16
	s_or_b64 exec, exec, s[2:3]
	s_and_saveexec_b64 s[2:3], s[10:11]
	s_cbranch_execnz .LBB130_41
	s_branch .LBB130_42
.LBB130_1019:
	v_cmp_ne_u32_e32 vcc, v0, v1
	s_xor_b64 s[10:11], s[0:1], -1
	s_or_b64 s[12:13], s[10:11], vcc
	s_mov_b64 s[10:11], 0
	s_and_saveexec_b64 s[14:15], s[12:13]
	s_xor_b64 s[12:13], exec, s[14:15]
; %bb.1020:
	v_or_b32_e32 v13, v1, v0
	v_cmp_gt_u32_e32 vcc, 64, v13
	s_and_b64 s[10:11], vcc, exec
                                        ; implicit-def: $vgpr13_vgpr14
; %bb.1021:
	s_or_saveexec_b64 s[12:13], s[12:13]
	v_mov_b32_e32 v15, 0
	v_mov_b32_e32 v16, 0
	s_xor_b64 exec, exec, s[12:13]
	s_cbranch_execz .LBB130_1023
; %bb.1022:
	v_lshlrev_b64 v[13:14], 3, v[13:14]
	v_mov_b32_e32 v15, s88
	v_add_co_u32_e32 v13, vcc, s87, v13
	v_addc_co_u32_e32 v14, vcc, v15, v14, vcc
	flat_load_dwordx2 v[13:14], v[13:14]
	s_or_b64 s[10:11], s[10:11], exec
	s_waitcnt vmcnt(0) lgkmcnt(0)
	v_div_scale_f64 v[15:16], s[14:15], v[13:14], v[13:14], 1.0
	v_div_scale_f64 v[21:22], vcc, 1.0, v[13:14], 1.0
	v_rcp_f64_e32 v[17:18], v[15:16]
	v_fma_f64 v[19:20], -v[15:16], v[17:18], 1.0
	v_fma_f64 v[17:18], v[17:18], v[19:20], v[17:18]
	v_fma_f64 v[19:20], -v[15:16], v[17:18], 1.0
	v_fma_f64 v[17:18], v[17:18], v[19:20], v[17:18]
	v_mul_f64 v[19:20], v[21:22], v[17:18]
	v_fma_f64 v[15:16], -v[15:16], v[19:20], v[21:22]
	v_div_fmas_f64 v[15:16], v[15:16], v[17:18], v[19:20]
	v_div_fixup_f64 v[15:16], v[15:16], v[13:14], 1.0
.LBB130_1023:
	s_or_b64 exec, exec, s[12:13]
	s_and_b64 s[10:11], s[10:11], exec
                                        ; implicit-def: $vgpr13_vgpr14
	s_andn2_saveexec_b64 s[2:3], s[2:3]
	s_cbranch_execz .LBB130_44
.LBB130_1024:
	v_lshlrev_b64 v[13:14], 3, v[13:14]
	v_mov_b32_e32 v15, s88
	v_add_co_u32_e32 v13, vcc, s87, v13
	v_addc_co_u32_e32 v14, vcc, v15, v14, vcc
	flat_load_dwordx2 v[15:16], v[13:14]
	s_or_b64 s[10:11], s[10:11], exec
	s_waitcnt vmcnt(0) lgkmcnt(0)
	v_xor_b32_e32 v16, 0x80000000, v16
	s_or_b64 exec, exec, s[2:3]
	s_and_saveexec_b64 s[2:3], s[10:11]
	s_cbranch_execnz .LBB130_45
	s_branch .LBB130_46
.LBB130_1025:
	s_or_b64 exec, exec, s[8:9]
	s_and_b64 vcc, exec, s[6:7]
	s_cbranch_vccnz .LBB130_969
.LBB130_1026:
	v_mov_b32_e32 v12, v6
	v_mov_b32_e32 v11, v5
	s_and_saveexec_b64 s[0:1], s[4:5]
	s_cbranch_execnz .LBB130_1032
	s_branch .LBB130_1033
.LBB130_1027:
	s_mov_b64 s[2:3], 0
.LBB130_1028:
	v_cmp_gt_i32_e32 vcc, s86, v0
	s_and_b64 s[0:1], s[0:1], vcc
	s_andn2_b64 s[2:3], s[2:3], exec
	s_and_b64 s[0:1], s[0:1], exec
	s_or_b64 s[2:3], s[2:3], s[0:1]
.LBB130_1029:
                                        ; implicit-def: $vgpr1_vgpr2
	s_and_saveexec_b64 s[0:1], s[2:3]
	s_cbranch_execz .LBB130_1031
; %bb.1030:
	v_mov_b32_e32 v0, s52
	v_add_co_u32_e32 v1, vcc, s33, v19
	v_addc_co_u32_e32 v0, vcc, 0, v0, vcc
	v_mul_lo_u32 v0, v0, s22
	v_mul_lo_u32 v3, v1, s23
	v_mad_u64_u32 v[1:2], s[2:3], v1, s22, 0
	s_or_b64 s[4:5], s[4:5], exec
	v_add3_u32 v2, v2, v3, v0
.LBB130_1031:
	s_or_b64 exec, exec, s[0:1]
	s_and_saveexec_b64 s[0:1], s[4:5]
	s_cbranch_execz .LBB130_1033
.LBB130_1032:
	v_lshlrev_b64 v[0:1], 3, v[1:2]
	v_mov_b32_e32 v2, s37
	v_add_co_u32_e32 v0, vcc, s36, v0
	v_addc_co_u32_e32 v1, vcc, v2, v1, vcc
	flat_store_dwordx2 v[0:1], v[11:12]
.LBB130_1033:
	s_or_b64 exec, exec, s[0:1]
	v_cmp_eq_u32_e32 vcc, 0, v19
	s_waitcnt vmcnt(0) lgkmcnt(0)
	buffer_wbinvl1_vol
	s_barrier
	s_and_saveexec_b64 s[0:1], vcc
	s_cbranch_execz .LBB130_1035
; %bb.1034:
	s_lshl_b64 s[2:3], s[24:25], 2
	s_add_u32 s2, s12, s2
	s_addc_u32 s3, s13, s3
	v_mov_b32_e32 v0, 0
	global_load_dword v1, v0, s[2:3]
	s_waitcnt vmcnt(0)
	v_add_u32_e32 v1, 1, v1
	global_store_dword v0, v1, s[2:3]
.LBB130_1035:
	s_or_b64 exec, exec, s[0:1]
	s_waitcnt vmcnt(0)
	buffer_wbinvl1_vol
	s_endpgm
.LBB130_1036:
	v_lshlrev_b32_e32 v21, 3, v20
	v_sub_u32_e32 v21, v18, v21
	v_lshl_add_u32 v21, v19, 3, v21
	ds_read_b64 v[21:22], v21 offset:544
	ds_read_b64 v[23:24], v18 offset:8
	s_waitcnt lgkmcnt(0)
	v_fma_f64 v[11:12], v[21:22], v[23:24], v[11:12]
	s_or_b64 exec, exec, s[14:15]
	v_cmp_gt_u32_e64 s[10:11], 8, v14
	s_and_saveexec_b64 s[14:15], s[10:11]
	s_cbranch_execz .LBB130_77
.LBB130_1037:
	ds_read_b64 v[21:22], v16 offset:1056
	ds_read_b64 v[23:24], v18 offset:16
	s_waitcnt lgkmcnt(0)
	v_fma_f64 v[11:12], v[21:22], v[23:24], v[11:12]
	s_or_b64 exec, exec, s[14:15]
	v_cmp_gt_u32_e64 s[10:11], 4, v14
	s_and_saveexec_b64 s[14:15], s[10:11]
	s_cbranch_execnz .LBB130_78
	s_branch .LBB130_79
.LBB130_1038:
	v_lshlrev_b32_e32 v26, 3, v25
	v_sub_u32_e32 v26, v23, v26
	v_lshl_add_u32 v26, v24, 3, v26
	ds_read_b64 v[26:27], v26 offset:576
	ds_read_b64 v[28:29], v23 offset:8
	s_waitcnt lgkmcnt(0)
	v_fma_f64 v[11:12], v[26:27], v[28:29], v[11:12]
	s_or_b64 exec, exec, s[16:17]
	v_cmp_gt_u32_e64 s[10:11], 48, v14
	s_and_saveexec_b64 s[16:17], s[10:11]
	s_cbranch_execz .LBB130_115
.LBB130_1039:
	v_lshlrev_b32_e32 v26, 3, v25
	v_sub_u32_e32 v26, v23, v26
	v_lshl_add_u32 v26, v24, 3, v26
	ds_read_b64 v[26:27], v26 offset:1088
	ds_read_b64 v[28:29], v23 offset:16
	s_waitcnt lgkmcnt(0)
	v_fma_f64 v[11:12], v[26:27], v[28:29], v[11:12]
	s_or_b64 exec, exec, s[16:17]
	v_cmp_gt_u32_e64 s[10:11], 40, v14
	s_and_saveexec_b64 s[16:17], s[10:11]
	s_cbranch_execz .LBB130_116
.LBB130_1040:
	v_lshlrev_b32_e32 v26, 3, v25
	v_sub_u32_e32 v26, v23, v26
	v_lshl_add_u32 v26, v24, 3, v26
	ds_read_b64 v[26:27], v26 offset:1600
	ds_read_b64 v[28:29], v23 offset:24
	s_waitcnt lgkmcnt(0)
	v_fma_f64 v[11:12], v[26:27], v[28:29], v[11:12]
	s_or_b64 exec, exec, s[16:17]
	v_cmp_gt_u32_e64 s[10:11], 32, v14
	s_and_saveexec_b64 s[16:17], s[10:11]
	s_cbranch_execz .LBB130_117
.LBB130_1041:
	ds_read_b64 v[26:27], v21 offset:2112
	ds_read_b64 v[28:29], v23 offset:32
	s_waitcnt lgkmcnt(0)
	v_fma_f64 v[11:12], v[26:27], v[28:29], v[11:12]
	s_or_b64 exec, exec, s[16:17]
	v_cmp_gt_u32_e64 s[10:11], 24, v14
	s_and_saveexec_b64 s[16:17], s[10:11]
	s_cbranch_execz .LBB130_118
.LBB130_1042:
	v_lshlrev_b32_e32 v26, 3, v25
	v_sub_u32_e32 v26, v23, v26
	v_lshl_add_u32 v26, v24, 3, v26
	ds_read_b64 v[26:27], v26 offset:2624
	ds_read_b64 v[28:29], v23 offset:40
	s_waitcnt lgkmcnt(0)
	v_fma_f64 v[11:12], v[26:27], v[28:29], v[11:12]
	s_or_b64 exec, exec, s[16:17]
	v_cmp_gt_u32_e64 s[10:11], 16, v14
	s_and_saveexec_b64 s[16:17], s[10:11]
	s_cbranch_execz .LBB130_119
.LBB130_1043:
	ds_read_b64 v[26:27], v21 offset:3136
	ds_read_b64 v[28:29], v23 offset:48
	s_waitcnt lgkmcnt(0)
	v_fma_f64 v[11:12], v[26:27], v[28:29], v[11:12]
	s_or_b64 exec, exec, s[16:17]
	v_cmp_gt_u32_e64 s[10:11], 8, v14
	s_and_saveexec_b64 s[16:17], s[10:11]
	s_cbranch_execnz .LBB130_120
	s_branch .LBB130_121
.LBB130_1044:
	v_lshlrev_b32_e32 v27, 3, v20
	v_sub_u32_e32 v27, v26, v27
	v_lshl_add_u32 v27, v19, 3, v27
	ds_read_b64 v[27:28], v27 offset:4704
	ds_read_b64 v[29:30], v26 offset:4168
	s_waitcnt lgkmcnt(0)
	v_fma_f64 v[11:12], v[27:28], v[29:30], v[11:12]
	s_or_b64 exec, exec, s[12:13]
	v_cmp_gt_u32_e64 s[8:9], 8, v14
	s_and_saveexec_b64 s[12:13], s[8:9]
	s_cbranch_execz .LBB130_173
.LBB130_1045:
	ds_read_b64 v[27:28], v16 offset:5216
	ds_read_b64 v[29:30], v26 offset:4176
	s_waitcnt lgkmcnt(0)
	v_fma_f64 v[11:12], v[27:28], v[29:30], v[11:12]
	s_or_b64 exec, exec, s[12:13]
	v_cmp_gt_u32_e64 s[8:9], 4, v14
	s_and_saveexec_b64 s[12:13], s[8:9]
	s_cbranch_execnz .LBB130_174
	s_branch .LBB130_175
.LBB130_1046:
	v_lshlrev_b32_e32 v31, 3, v27
	v_lshl_add_u32 v31, v29, 3, v31
	ds_read_b64 v[31:32], v31 offset:5760
	ds_read_b64 v[33:34], v28 offset:88
	s_waitcnt lgkmcnt(0)
	v_fma_f64 v[11:12], v[31:32], v[33:34], v[11:12]
	s_or_b64 exec, exec, s[28:29]
	v_cmp_gt_u32_e64 s[12:13], 64, v14
	s_and_saveexec_b64 s[28:29], s[12:13]
	s_cbranch_execz .LBB130_231
.LBB130_1047:
	ds_read_b64 v[31:32], v26 offset:6272
	ds_read_b64 v[33:34], v28 offset:96
	s_waitcnt lgkmcnt(0)
	v_fma_f64 v[11:12], v[31:32], v[33:34], v[11:12]
	s_or_b64 exec, exec, s[28:29]
	v_cmp_gt_u32_e64 s[12:13], 48, v14
	s_and_saveexec_b64 s[28:29], s[12:13]
	s_cbranch_execz .LBB130_232
.LBB130_1048:
	v_lshlrev_b32_e32 v31, 3, v27
	v_lshl_add_u32 v31, v29, 3, v31
	ds_read_b64 v[31:32], v31 offset:6784
	ds_read_b64 v[33:34], v28 offset:104
	s_waitcnt lgkmcnt(0)
	v_fma_f64 v[11:12], v[31:32], v[33:34], v[11:12]
	s_or_b64 exec, exec, s[28:29]
	v_cmp_gt_u32_e64 s[12:13], 32, v14
	s_and_saveexec_b64 s[28:29], s[12:13]
	s_cbranch_execz .LBB130_233
.LBB130_1049:
	ds_read_b64 v[31:32], v26 offset:7296
	ds_read_b64 v[33:34], v28 offset:112
	s_waitcnt lgkmcnt(0)
	v_fma_f64 v[11:12], v[31:32], v[33:34], v[11:12]
	s_or_b64 exec, exec, s[28:29]
	v_cmp_gt_u32_e64 s[12:13], 16, v14
	s_and_saveexec_b64 s[28:29], s[12:13]
	s_cbranch_execnz .LBB130_234
	s_branch .LBB130_235
.LBB130_1050:
	v_lshlrev_b32_e32 v32, 3, v20
	v_sub_u32_e32 v32, v31, v32
	v_lshl_add_u32 v32, v19, 3, v32
	ds_read_b64 v[32:33], v32 offset:8864
	ds_read_b64 v[34:35], v31 offset:8328
	s_waitcnt lgkmcnt(0)
	v_fma_f64 v[11:12], v[32:33], v[34:35], v[11:12]
	s_or_b64 exec, exec, s[16:17]
	v_cmp_gt_u32_e64 s[10:11], 8, v14
	s_and_saveexec_b64 s[16:17], s[10:11]
	s_cbranch_execz .LBB130_319
.LBB130_1051:
	ds_read_b64 v[32:33], v16 offset:9376
	ds_read_b64 v[34:35], v31 offset:8336
	s_waitcnt lgkmcnt(0)
	v_fma_f64 v[11:12], v[32:33], v[34:35], v[11:12]
	s_or_b64 exec, exec, s[16:17]
	v_cmp_gt_u32_e64 s[10:11], 4, v14
	s_and_saveexec_b64 s[16:17], s[10:11]
	s_cbranch_execnz .LBB130_320
	s_branch .LBB130_321
.LBB130_1052:
	v_lshlrev_b32_e32 v32, 3, v25
	v_sub_u32_e32 v32, v31, v32
	v_lshl_add_u32 v32, v24, 3, v32
	ds_read_b64 v[32:33], v32 offset:8896
	ds_read_b64 v[34:35], v31 offset:8328
	s_waitcnt lgkmcnt(0)
	v_fma_f64 v[11:12], v[32:33], v[34:35], v[11:12]
	s_or_b64 exec, exec, s[16:17]
	v_cmp_gt_u32_e64 s[10:11], 48, v14
	s_and_saveexec_b64 s[16:17], s[10:11]
	s_cbranch_execz .LBB130_357
.LBB130_1053:
	v_lshlrev_b32_e32 v32, 3, v25
	v_sub_u32_e32 v32, v31, v32
	v_lshl_add_u32 v32, v24, 3, v32
	ds_read_b64 v[32:33], v32 offset:9408
	ds_read_b64 v[34:35], v31 offset:8336
	s_waitcnt lgkmcnt(0)
	v_fma_f64 v[11:12], v[32:33], v[34:35], v[11:12]
	s_or_b64 exec, exec, s[16:17]
	v_cmp_gt_u32_e64 s[10:11], 40, v14
	s_and_saveexec_b64 s[16:17], s[10:11]
	s_cbranch_execz .LBB130_358
.LBB130_1054:
	v_lshlrev_b32_e32 v32, 3, v25
	v_sub_u32_e32 v32, v31, v32
	v_lshl_add_u32 v32, v24, 3, v32
	ds_read_b64 v[32:33], v32 offset:9920
	ds_read_b64 v[34:35], v31 offset:8344
	s_waitcnt lgkmcnt(0)
	v_fma_f64 v[11:12], v[32:33], v[34:35], v[11:12]
	s_or_b64 exec, exec, s[16:17]
	v_cmp_gt_u32_e64 s[10:11], 32, v14
	s_and_saveexec_b64 s[16:17], s[10:11]
	s_cbranch_execz .LBB130_359
.LBB130_1055:
	ds_read_b64 v[32:33], v21 offset:10432
	ds_read_b64 v[34:35], v31 offset:8352
	s_waitcnt lgkmcnt(0)
	v_fma_f64 v[11:12], v[32:33], v[34:35], v[11:12]
	s_or_b64 exec, exec, s[16:17]
	v_cmp_gt_u32_e64 s[10:11], 24, v14
	s_and_saveexec_b64 s[16:17], s[10:11]
	s_cbranch_execz .LBB130_360
.LBB130_1056:
	v_lshlrev_b32_e32 v32, 3, v25
	v_sub_u32_e32 v32, v31, v32
	v_lshl_add_u32 v32, v24, 3, v32
	ds_read_b64 v[32:33], v32 offset:10944
	ds_read_b64 v[34:35], v31 offset:8360
	s_waitcnt lgkmcnt(0)
	v_fma_f64 v[11:12], v[32:33], v[34:35], v[11:12]
	s_or_b64 exec, exec, s[16:17]
	v_cmp_gt_u32_e64 s[10:11], 16, v14
	s_and_saveexec_b64 s[16:17], s[10:11]
	s_cbranch_execz .LBB130_361
.LBB130_1057:
	ds_read_b64 v[32:33], v21 offset:11456
	ds_read_b64 v[34:35], v31 offset:8368
	s_waitcnt lgkmcnt(0)
	v_fma_f64 v[11:12], v[32:33], v[34:35], v[11:12]
	s_or_b64 exec, exec, s[16:17]
	v_cmp_gt_u32_e64 s[10:11], 8, v14
	s_and_saveexec_b64 s[16:17], s[10:11]
	s_cbranch_execnz .LBB130_362
	s_branch .LBB130_363
.LBB130_1058:
	v_lshlrev_b32_e32 v32, 3, v20
	v_sub_u32_e32 v32, v31, v32
	v_lshl_add_u32 v32, v19, 3, v32
	ds_read_b64 v[32:33], v32 offset:13024
	ds_read_b64 v[34:35], v31 offset:12488
	s_waitcnt lgkmcnt(0)
	v_fma_f64 v[11:12], v[32:33], v[34:35], v[11:12]
	s_or_b64 exec, exec, s[16:17]
	v_cmp_gt_u32_e64 s[10:11], 8, v14
	s_and_saveexec_b64 s[16:17], s[10:11]
	s_cbranch_execz .LBB130_415
.LBB130_1059:
	ds_read_b64 v[32:33], v16 offset:13536
	ds_read_b64 v[34:35], v31 offset:12496
	s_waitcnt lgkmcnt(0)
	v_fma_f64 v[11:12], v[32:33], v[34:35], v[11:12]
	s_or_b64 exec, exec, s[16:17]
	v_cmp_gt_u32_e64 s[10:11], 4, v14
	s_and_saveexec_b64 s[16:17], s[10:11]
	s_cbranch_execnz .LBB130_416
	s_branch .LBB130_417
.LBB130_1060:
	ds_read_b64 v[35:36], v31 offset:15104
	ds_read_b64 v[37:38], v34 offset:232
	s_waitcnt lgkmcnt(0)
	v_fma_f64 v[11:12], v[35:36], v[37:38], v[11:12]
	s_or_b64 exec, exec, s[84:85]
	v_cmp_gt_u32_e64 s[16:17], 64, v14
	s_and_saveexec_b64 s[84:85], s[16:17]
	s_cbranch_execz .LBB130_509
.LBB130_1061:
	ds_read_b64 v[35:36], v31 offset:15616
	ds_read_b64 v[37:38], v34 offset:240
	s_waitcnt lgkmcnt(0)
	v_fma_f64 v[11:12], v[35:36], v[37:38], v[11:12]
	s_or_b64 exec, exec, s[84:85]
	v_cmp_gt_u32_e64 s[16:17], 32, v14
	s_and_saveexec_b64 s[84:85], s[16:17]
	s_cbranch_execnz .LBB130_510
	s_branch .LBB130_511
.LBB130_1062:
	v_lshlrev_b32_e32 v32, 3, v20
	v_sub_u32_e32 v32, v31, v32
	v_lshl_add_u32 v32, v19, 3, v32
	ds_read_b64 v[32:33], v32 offset:17184
	ds_read_b64 v[34:35], v31 offset:16648
	s_waitcnt lgkmcnt(0)
	v_fma_f64 v[11:12], v[32:33], v[34:35], v[11:12]
	s_or_b64 exec, exec, s[16:17]
	v_cmp_gt_u32_e64 s[10:11], 8, v14
	s_and_saveexec_b64 s[16:17], s[10:11]
	s_cbranch_execz .LBB130_551
.LBB130_1063:
	ds_read_b64 v[32:33], v16 offset:17696
	ds_read_b64 v[34:35], v31 offset:16656
	s_waitcnt lgkmcnt(0)
	v_fma_f64 v[11:12], v[32:33], v[34:35], v[11:12]
	s_or_b64 exec, exec, s[16:17]
	v_cmp_gt_u32_e64 s[10:11], 4, v14
	s_and_saveexec_b64 s[16:17], s[10:11]
	s_cbranch_execnz .LBB130_552
	s_branch .LBB130_553
.LBB130_1064:
	v_lshlrev_b32_e32 v32, 3, v25
	v_sub_u32_e32 v32, v31, v32
	v_lshl_add_u32 v32, v24, 3, v32
	ds_read_b64 v[32:33], v32 offset:17216
	ds_read_b64 v[34:35], v31 offset:16648
	s_waitcnt lgkmcnt(0)
	v_fma_f64 v[11:12], v[32:33], v[34:35], v[11:12]
	s_or_b64 exec, exec, s[16:17]
	v_cmp_gt_u32_e64 s[10:11], 48, v14
	s_and_saveexec_b64 s[16:17], s[10:11]
	s_cbranch_execz .LBB130_589
.LBB130_1065:
	v_lshlrev_b32_e32 v32, 3, v25
	v_sub_u32_e32 v32, v31, v32
	v_lshl_add_u32 v32, v24, 3, v32
	ds_read_b64 v[32:33], v32 offset:17728
	ds_read_b64 v[34:35], v31 offset:16656
	s_waitcnt lgkmcnt(0)
	v_fma_f64 v[11:12], v[32:33], v[34:35], v[11:12]
	s_or_b64 exec, exec, s[16:17]
	v_cmp_gt_u32_e64 s[10:11], 40, v14
	s_and_saveexec_b64 s[16:17], s[10:11]
	s_cbranch_execz .LBB130_590
.LBB130_1066:
	v_lshlrev_b32_e32 v32, 3, v25
	v_sub_u32_e32 v32, v31, v32
	v_lshl_add_u32 v32, v24, 3, v32
	ds_read_b64 v[32:33], v32 offset:18240
	ds_read_b64 v[34:35], v31 offset:16664
	s_waitcnt lgkmcnt(0)
	v_fma_f64 v[11:12], v[32:33], v[34:35], v[11:12]
	s_or_b64 exec, exec, s[16:17]
	v_cmp_gt_u32_e64 s[10:11], 32, v14
	s_and_saveexec_b64 s[16:17], s[10:11]
	s_cbranch_execz .LBB130_591
.LBB130_1067:
	ds_read_b64 v[32:33], v21 offset:18752
	ds_read_b64 v[34:35], v31 offset:16672
	s_waitcnt lgkmcnt(0)
	v_fma_f64 v[11:12], v[32:33], v[34:35], v[11:12]
	s_or_b64 exec, exec, s[16:17]
	v_cmp_gt_u32_e64 s[10:11], 24, v14
	s_and_saveexec_b64 s[16:17], s[10:11]
	s_cbranch_execz .LBB130_592
.LBB130_1068:
	v_lshlrev_b32_e32 v32, 3, v25
	v_sub_u32_e32 v32, v31, v32
	v_lshl_add_u32 v32, v24, 3, v32
	ds_read_b64 v[32:33], v32 offset:19264
	ds_read_b64 v[34:35], v31 offset:16680
	s_waitcnt lgkmcnt(0)
	v_fma_f64 v[11:12], v[32:33], v[34:35], v[11:12]
	s_or_b64 exec, exec, s[16:17]
	v_cmp_gt_u32_e64 s[10:11], 16, v14
	s_and_saveexec_b64 s[16:17], s[10:11]
	s_cbranch_execz .LBB130_593
.LBB130_1069:
	ds_read_b64 v[32:33], v21 offset:19776
	ds_read_b64 v[34:35], v31 offset:16688
	s_waitcnt lgkmcnt(0)
	v_fma_f64 v[11:12], v[32:33], v[34:35], v[11:12]
	s_or_b64 exec, exec, s[16:17]
	v_cmp_gt_u32_e64 s[10:11], 8, v14
	s_and_saveexec_b64 s[16:17], s[10:11]
	s_cbranch_execnz .LBB130_594
	s_branch .LBB130_595
.LBB130_1070:
	v_lshlrev_b32_e32 v32, 3, v20
	v_sub_u32_e32 v32, v31, v32
	v_lshl_add_u32 v32, v19, 3, v32
	ds_read_b64 v[32:33], v32 offset:21344
	ds_read_b64 v[34:35], v31 offset:20808
	s_waitcnt lgkmcnt(0)
	v_fma_f64 v[11:12], v[32:33], v[34:35], v[11:12]
	s_or_b64 exec, exec, s[16:17]
	v_cmp_gt_u32_e64 s[10:11], 8, v14
	s_and_saveexec_b64 s[16:17], s[10:11]
	s_cbranch_execz .LBB130_647
.LBB130_1071:
	ds_read_b64 v[32:33], v16 offset:21856
	ds_read_b64 v[34:35], v31 offset:20816
	s_waitcnt lgkmcnt(0)
	v_fma_f64 v[11:12], v[32:33], v[34:35], v[11:12]
	s_or_b64 exec, exec, s[16:17]
	v_cmp_gt_u32_e64 s[10:11], 4, v14
	s_and_saveexec_b64 s[16:17], s[10:11]
	s_cbranch_execnz .LBB130_648
	s_branch .LBB130_649
.LBB130_1072:
	v_lshlrev_b32_e32 v30, 3, v27
	v_lshl_add_u32 v30, v29, 3, v30
	ds_read_b64 v[32:33], v30 offset:22400
	ds_read_b64 v[34:35], v31 offset:16728
	s_waitcnt lgkmcnt(0)
	v_fma_f64 v[11:12], v[32:33], v[34:35], v[11:12]
	s_or_b64 exec, exec, s[16:17]
	v_cmp_gt_u32_e64 s[10:11], 64, v14
	s_and_saveexec_b64 s[16:17], s[10:11]
	s_cbranch_execz .LBB130_705
.LBB130_1073:
	ds_read_b64 v[32:33], v26 offset:22912
	ds_read_b64 v[34:35], v31 offset:16736
	s_waitcnt lgkmcnt(0)
	v_fma_f64 v[11:12], v[32:33], v[34:35], v[11:12]
	s_or_b64 exec, exec, s[16:17]
	v_cmp_gt_u32_e64 s[10:11], 48, v14
	s_and_saveexec_b64 s[16:17], s[10:11]
	s_cbranch_execz .LBB130_706
.LBB130_1074:
	v_lshlrev_b32_e32 v30, 3, v27
	v_lshl_add_u32 v29, v29, 3, v30
	ds_read_b64 v[29:30], v29 offset:23424
	ds_read_b64 v[32:33], v31 offset:16744
	s_waitcnt lgkmcnt(0)
	v_fma_f64 v[11:12], v[29:30], v[32:33], v[11:12]
	s_or_b64 exec, exec, s[16:17]
	v_cmp_gt_u32_e64 s[10:11], 32, v14
	s_and_saveexec_b64 s[16:17], s[10:11]
	s_cbranch_execz .LBB130_707
.LBB130_1075:
	ds_read_b64 v[29:30], v26 offset:23936
	ds_read_b64 v[31:32], v31 offset:16752
	s_waitcnt lgkmcnt(0)
	v_fma_f64 v[11:12], v[29:30], v[31:32], v[11:12]
	s_or_b64 exec, exec, s[16:17]
	v_cmp_gt_u32_e64 s[10:11], 16, v14
	s_and_saveexec_b64 s[16:17], s[10:11]
	s_cbranch_execnz .LBB130_708
	s_branch .LBB130_709
.LBB130_1076:
	v_lshlrev_b32_e32 v27, 3, v20
	v_sub_u32_e32 v27, v26, v27
	v_lshl_add_u32 v27, v19, 3, v27
	ds_read_b64 v[27:28], v27 offset:25504
	ds_read_b64 v[29:30], v26 offset:24968
	s_waitcnt lgkmcnt(0)
	v_fma_f64 v[11:12], v[27:28], v[29:30], v[11:12]
	s_or_b64 exec, exec, s[12:13]
	v_cmp_gt_u32_e64 s[8:9], 8, v14
	s_and_saveexec_b64 s[12:13], s[8:9]
	s_cbranch_execz .LBB130_793
.LBB130_1077:
	ds_read_b64 v[27:28], v16 offset:26016
	ds_read_b64 v[29:30], v26 offset:24976
	s_waitcnt lgkmcnt(0)
	v_fma_f64 v[11:12], v[27:28], v[29:30], v[11:12]
	s_or_b64 exec, exec, s[12:13]
	v_cmp_gt_u32_e64 s[8:9], 4, v14
	s_and_saveexec_b64 s[12:13], s[8:9]
	s_cbranch_execnz .LBB130_794
	s_branch .LBB130_795
.LBB130_1078:
	v_lshlrev_b32_e32 v27, 3, v25
	v_sub_u32_e32 v27, v26, v27
	v_lshl_add_u32 v27, v24, 3, v27
	ds_read_b64 v[27:28], v27 offset:25536
	ds_read_b64 v[29:30], v26 offset:24968
	s_waitcnt lgkmcnt(0)
	v_fma_f64 v[11:12], v[27:28], v[29:30], v[11:12]
	s_or_b64 exec, exec, s[12:13]
	v_cmp_gt_u32_e64 s[8:9], 48, v14
	s_and_saveexec_b64 s[12:13], s[8:9]
	s_cbranch_execz .LBB130_831
.LBB130_1079:
	v_lshlrev_b32_e32 v27, 3, v25
	v_sub_u32_e32 v27, v26, v27
	v_lshl_add_u32 v27, v24, 3, v27
	ds_read_b64 v[27:28], v27 offset:26048
	ds_read_b64 v[29:30], v26 offset:24976
	s_waitcnt lgkmcnt(0)
	v_fma_f64 v[11:12], v[27:28], v[29:30], v[11:12]
	s_or_b64 exec, exec, s[12:13]
	v_cmp_gt_u32_e64 s[8:9], 40, v14
	s_and_saveexec_b64 s[12:13], s[8:9]
	s_cbranch_execz .LBB130_832
.LBB130_1080:
	v_lshlrev_b32_e32 v27, 3, v25
	v_sub_u32_e32 v27, v26, v27
	v_lshl_add_u32 v27, v24, 3, v27
	ds_read_b64 v[27:28], v27 offset:26560
	ds_read_b64 v[29:30], v26 offset:24984
	s_waitcnt lgkmcnt(0)
	v_fma_f64 v[11:12], v[27:28], v[29:30], v[11:12]
	s_or_b64 exec, exec, s[12:13]
	v_cmp_gt_u32_e64 s[8:9], 32, v14
	s_and_saveexec_b64 s[12:13], s[8:9]
	s_cbranch_execz .LBB130_833
.LBB130_1081:
	ds_read_b64 v[27:28], v21 offset:27072
	ds_read_b64 v[29:30], v26 offset:24992
	s_waitcnt lgkmcnt(0)
	v_fma_f64 v[11:12], v[27:28], v[29:30], v[11:12]
	s_or_b64 exec, exec, s[12:13]
	v_cmp_gt_u32_e64 s[8:9], 24, v14
	s_and_saveexec_b64 s[12:13], s[8:9]
	s_cbranch_execz .LBB130_834
.LBB130_1082:
	v_lshlrev_b32_e32 v25, 3, v25
	v_sub_u32_e32 v25, v26, v25
	v_lshl_add_u32 v24, v24, 3, v25
	ds_read_b64 v[24:25], v24 offset:27584
	ds_read_b64 v[27:28], v26 offset:25000
	s_waitcnt lgkmcnt(0)
	v_fma_f64 v[11:12], v[24:25], v[27:28], v[11:12]
	s_or_b64 exec, exec, s[12:13]
	v_cmp_gt_u32_e64 s[8:9], 16, v14
	s_and_saveexec_b64 s[12:13], s[8:9]
	s_cbranch_execz .LBB130_835
.LBB130_1083:
	ds_read_b64 v[24:25], v21 offset:28096
	ds_read_b64 v[26:27], v26 offset:25008
	s_waitcnt lgkmcnt(0)
	v_fma_f64 v[11:12], v[24:25], v[26:27], v[11:12]
	s_or_b64 exec, exec, s[12:13]
	v_cmp_gt_u32_e64 s[8:9], 8, v14
	s_and_saveexec_b64 s[12:13], s[8:9]
	s_cbranch_execnz .LBB130_836
	s_branch .LBB130_837
.LBB130_1084:
	v_lshlrev_b32_e32 v20, 3, v20
	v_sub_u32_e32 v20, v21, v20
	v_lshl_add_u32 v19, v19, 3, v20
	ds_read_b64 v[19:20], v19 offset:29664
	ds_read_b64 v[22:23], v21 offset:29128
	s_waitcnt lgkmcnt(0)
	v_fma_f64 v[11:12], v[19:20], v[22:23], v[11:12]
	s_or_b64 exec, exec, s[12:13]
	v_cmp_gt_u32_e64 s[8:9], 8, v14
	s_and_saveexec_b64 s[12:13], s[8:9]
	s_cbranch_execz .LBB130_889
.LBB130_1085:
	ds_read_b64 v[19:20], v16 offset:30176
	ds_read_b64 v[21:22], v21 offset:29136
	s_waitcnt lgkmcnt(0)
	v_fma_f64 v[11:12], v[19:20], v[21:22], v[11:12]
	s_or_b64 exec, exec, s[12:13]
	v_cmp_gt_u32_e64 s[8:9], 4, v14
	s_and_saveexec_b64 s[12:13], s[8:9]
	s_cbranch_execnz .LBB130_890
	s_branch .LBB130_891
	.section	.rodata,"a",@progbits
	.p2align	6, 0x0
	.amdhsa_kernel _ZL19rocblas_trsv_deviceILi64ELi16ELb1ELb0ELb0ELb0EdPKdPKS1_PKPdEviT7_lllT6_T8_lllPii
		.amdhsa_group_segment_fixed_size 41480
		.amdhsa_private_segment_fixed_size 0
		.amdhsa_kernarg_size 352
		.amdhsa_user_sgpr_count 6
		.amdhsa_user_sgpr_private_segment_buffer 1
		.amdhsa_user_sgpr_dispatch_ptr 0
		.amdhsa_user_sgpr_queue_ptr 0
		.amdhsa_user_sgpr_kernarg_segment_ptr 1
		.amdhsa_user_sgpr_dispatch_id 0
		.amdhsa_user_sgpr_flat_scratch_init 0
		.amdhsa_user_sgpr_private_segment_size 0
		.amdhsa_uses_dynamic_stack 0
		.amdhsa_system_sgpr_private_segment_wavefront_offset 0
		.amdhsa_system_sgpr_workgroup_id_x 1
		.amdhsa_system_sgpr_workgroup_id_y 0
		.amdhsa_system_sgpr_workgroup_id_z 1
		.amdhsa_system_sgpr_workgroup_info 0
		.amdhsa_system_vgpr_workitem_id 1
		.amdhsa_next_free_vgpr 49
		.amdhsa_next_free_sgpr 98
		.amdhsa_reserve_vcc 1
		.amdhsa_reserve_flat_scratch 0
		.amdhsa_float_round_mode_32 0
		.amdhsa_float_round_mode_16_64 0
		.amdhsa_float_denorm_mode_32 3
		.amdhsa_float_denorm_mode_16_64 3
		.amdhsa_dx10_clamp 1
		.amdhsa_ieee_mode 1
		.amdhsa_fp16_overflow 0
		.amdhsa_exception_fp_ieee_invalid_op 0
		.amdhsa_exception_fp_denorm_src 0
		.amdhsa_exception_fp_ieee_div_zero 0
		.amdhsa_exception_fp_ieee_overflow 0
		.amdhsa_exception_fp_ieee_underflow 0
		.amdhsa_exception_fp_ieee_inexact 0
		.amdhsa_exception_int_div_zero 0
	.end_amdhsa_kernel
	.section	.text._ZL19rocblas_trsv_deviceILi64ELi16ELb1ELb0ELb0ELb0EdPKdPKS1_PKPdEviT7_lllT6_T8_lllPii,"axG",@progbits,_ZL19rocblas_trsv_deviceILi64ELi16ELb1ELb0ELb0ELb0EdPKdPKS1_PKPdEviT7_lllT6_T8_lllPii,comdat
.Lfunc_end130:
	.size	_ZL19rocblas_trsv_deviceILi64ELi16ELb1ELb0ELb0ELb0EdPKdPKS1_PKPdEviT7_lllT6_T8_lllPii, .Lfunc_end130-_ZL19rocblas_trsv_deviceILi64ELi16ELb1ELb0ELb0ELb0EdPKdPKS1_PKPdEviT7_lllT6_T8_lllPii
                                        ; -- End function
	.set _ZL19rocblas_trsv_deviceILi64ELi16ELb1ELb0ELb0ELb0EdPKdPKS1_PKPdEviT7_lllT6_T8_lllPii.num_vgpr, 42
	.set _ZL19rocblas_trsv_deviceILi64ELi16ELb1ELb0ELb0ELb0EdPKdPKS1_PKPdEviT7_lllT6_T8_lllPii.num_agpr, 0
	.set _ZL19rocblas_trsv_deviceILi64ELi16ELb1ELb0ELb0ELb0EdPKdPKS1_PKPdEviT7_lllT6_T8_lllPii.numbered_sgpr, 96
	.set _ZL19rocblas_trsv_deviceILi64ELi16ELb1ELb0ELb0ELb0EdPKdPKS1_PKPdEviT7_lllT6_T8_lllPii.num_named_barrier, 0
	.set _ZL19rocblas_trsv_deviceILi64ELi16ELb1ELb0ELb0ELb0EdPKdPKS1_PKPdEviT7_lllT6_T8_lllPii.private_seg_size, 0
	.set _ZL19rocblas_trsv_deviceILi64ELi16ELb1ELb0ELb0ELb0EdPKdPKS1_PKPdEviT7_lllT6_T8_lllPii.uses_vcc, 1
	.set _ZL19rocblas_trsv_deviceILi64ELi16ELb1ELb0ELb0ELb0EdPKdPKS1_PKPdEviT7_lllT6_T8_lllPii.uses_flat_scratch, 0
	.set _ZL19rocblas_trsv_deviceILi64ELi16ELb1ELb0ELb0ELb0EdPKdPKS1_PKPdEviT7_lllT6_T8_lllPii.has_dyn_sized_stack, 0
	.set _ZL19rocblas_trsv_deviceILi64ELi16ELb1ELb0ELb0ELb0EdPKdPKS1_PKPdEviT7_lllT6_T8_lllPii.has_recursion, 0
	.set _ZL19rocblas_trsv_deviceILi64ELi16ELb1ELb0ELb0ELb0EdPKdPKS1_PKPdEviT7_lllT6_T8_lllPii.has_indirect_call, 0
	.section	.AMDGPU.csdata,"",@progbits
; Kernel info:
; codeLenInByte = 33560
; TotalNumSgprs: 100
; NumVgprs: 42
; ScratchSize: 0
; MemoryBound: 0
; FloatMode: 240
; IeeeMode: 1
; LDSByteSize: 41480 bytes/workgroup (compile time only)
; SGPRBlocks: 12
; VGPRBlocks: 12
; NumSGPRsForWavesPerEU: 102
; NumVGPRsForWavesPerEU: 49
; Occupancy: 4
; WaveLimiterHint : 1
; COMPUTE_PGM_RSRC2:SCRATCH_EN: 0
; COMPUTE_PGM_RSRC2:USER_SGPR: 6
; COMPUTE_PGM_RSRC2:TRAP_HANDLER: 0
; COMPUTE_PGM_RSRC2:TGID_X_EN: 1
; COMPUTE_PGM_RSRC2:TGID_Y_EN: 0
; COMPUTE_PGM_RSRC2:TGID_Z_EN: 1
; COMPUTE_PGM_RSRC2:TIDIG_COMP_CNT: 1
	.section	.text._ZL19rocblas_trsv_deviceILi64ELi16ELb1ELb1ELb0ELb0EdPKdPKS1_PKPdEviT7_lllT6_T8_lllPii,"axG",@progbits,_ZL19rocblas_trsv_deviceILi64ELi16ELb1ELb1ELb0ELb0EdPKdPKS1_PKPdEviT7_lllT6_T8_lllPii,comdat
	.globl	_ZL19rocblas_trsv_deviceILi64ELi16ELb1ELb1ELb0ELb0EdPKdPKS1_PKPdEviT7_lllT6_T8_lllPii ; -- Begin function _ZL19rocblas_trsv_deviceILi64ELi16ELb1ELb1ELb0ELb0EdPKdPKS1_PKPdEviT7_lllT6_T8_lllPii
	.p2align	8
	.type	_ZL19rocblas_trsv_deviceILi64ELi16ELb1ELb1ELb0ELb0EdPKdPKS1_PKPdEviT7_lllT6_T8_lllPii,@function
_ZL19rocblas_trsv_deviceILi64ELi16ELb1ELb1ELb0ELb0EdPKdPKS1_PKPdEviT7_lllT6_T8_lllPii: ; @_ZL19rocblas_trsv_deviceILi64ELi16ELb1ELb1ELb0ELb0EdPKdPKS1_PKPdEviT7_lllT6_T8_lllPii
; %bb.0:
	s_load_dwordx4 s[0:3], s[4:5], 0x8
	s_mov_b32 s28, s7
	s_mov_b32 s29, 0
	s_lshl_b64 s[8:9], s[28:29], 3
	v_mov_b32_e32 v2, v1
	s_waitcnt lgkmcnt(0)
	s_add_u32 s0, s0, s8
	s_addc_u32 s1, s1, s9
	s_load_dwordx2 s[10:11], s[0:1], 0x0
	s_load_dword s30, s[4:5], 0x0
	s_load_dwordx8 s[20:27], s[4:5], 0x28
	s_load_dwordx2 s[34:35], s[4:5], 0x18
	s_lshl_b64 s[0:1], s[2:3], 3
	s_waitcnt lgkmcnt(0)
	s_add_u32 s39, s10, s0
	s_addc_u32 s90, s11, s1
	s_add_u32 s0, s22, s8
	s_load_dword s7, s[4:5], 0x60
	s_addc_u32 s1, s23, s9
	s_load_dwordx2 s[60:61], s[0:1], 0x0
	s_load_dwordx2 s[48:49], s[20:21], 0x0
	s_load_dword s36, s[4:5], 0x6c
	s_waitcnt lgkmcnt(0)
	s_add_i32 s7, s7, -1
	s_sub_i32 s91, s7, s6
	s_cmp_lg_u32 s6, 0
	s_cbranch_scc0 .LBB131_1056
; %bb.1:
	s_lshl_b32 s33, s91, 6
	v_add_u32_e32 v1, s33, v0
	v_ashrrev_i32_e32 v3, 31, v1
	v_mul_lo_u32 v5, s34, v3
	v_mul_lo_u32 v6, s35, v1
	v_mad_u64_u32 v[3:4], s[0:1], s34, v1, 0
	v_add3_u32 v11, v2, s33, 64
	v_ashrrev_i32_e32 v12, 31, v11
	v_add3_u32 v4, v4, v5, v6
	v_lshlrev_b64 v[3:4], 3, v[3:4]
	v_cmp_gt_i32_e32 vcc, s30, v1
	v_mov_b32_e32 v1, s90
	v_add_co_u32_e64 v5, s[0:1], s39, v3
	v_addc_co_u32_e64 v1, s[0:1], v1, v4, s[0:1]
	v_lshlrev_b64 v[3:4], 3, v[11:12]
	v_add_co_u32_e64 v12, s[0:1], v5, v3
	v_addc_co_u32_e64 v13, s[0:1], v1, v4, s[0:1]
	v_cmp_gt_i32_e64 s[0:1], s30, v11
	v_mov_b32_e32 v3, 0
	v_mov_b32_e32 v5, 0
	;; [unrolled: 1-line block ×4, first 2 shown]
	s_and_b64 s[2:3], s[0:1], vcc
	s_barrier
	s_and_saveexec_b64 s[0:1], s[2:3]
	s_cbranch_execz .LBB131_3
; %bb.2:
	flat_load_dwordx2 v[5:6], v[12:13]
.LBB131_3:
	s_or_b64 exec, exec, s[0:1]
	v_add_u32_e32 v1, 16, v11
	v_cmp_gt_i32_e64 s[0:1], s30, v1
	s_and_b64 s[2:3], s[0:1], vcc
	s_waitcnt vmcnt(0) lgkmcnt(0)
	s_barrier
	s_and_saveexec_b64 s[0:1], s[2:3]
	s_cbranch_execz .LBB131_5
; %bb.4:
	flat_load_dwordx2 v[3:4], v[12:13] offset:128
.LBB131_5:
	s_or_b64 exec, exec, s[0:1]
	v_add_u32_e32 v1, 32, v11
	v_cmp_gt_i32_e64 s[0:1], s30, v1
	v_mov_b32_e32 v7, 0
	v_mov_b32_e32 v9, 0
	;; [unrolled: 1-line block ×4, first 2 shown]
	s_and_b64 s[2:3], s[0:1], vcc
	s_waitcnt vmcnt(0) lgkmcnt(0)
	s_barrier
	s_and_saveexec_b64 s[0:1], s[2:3]
	s_cbranch_execz .LBB131_7
; %bb.6:
	flat_load_dwordx2 v[9:10], v[12:13] offset:256
.LBB131_7:
	s_or_b64 exec, exec, s[0:1]
	v_add_u32_e32 v1, 48, v11
	v_cmp_gt_i32_e64 s[0:1], s30, v1
	s_and_b64 s[2:3], s[0:1], vcc
	s_waitcnt vmcnt(0) lgkmcnt(0)
	s_barrier
	s_and_saveexec_b64 s[0:1], s[2:3]
	s_cbranch_execz .LBB131_9
; %bb.8:
	flat_load_dwordx2 v[7:8], v[12:13] offset:384
.LBB131_9:
	s_or_b64 exec, exec, s[0:1]
	s_branch .LBB131_11
.LBB131_10:
	s_lshl_b32 s33, s91, 6
                                        ; implicit-def: $vgpr5_vgpr6
                                        ; implicit-def: $vgpr3_vgpr4
                                        ; implicit-def: $vgpr9_vgpr10
                                        ; implicit-def: $vgpr7_vgpr8
.LBB131_11:
	s_ashr_i32 s31, s30, 31
	s_lshr_b32 s0, s31, 26
	s_add_i32 s0, s30, s0
	s_andn2_b32 s0, s0, 63
	s_sub_i32 s38, s30, s0
	s_add_i32 s0, s30, -1
	s_ashr_i32 s1, s0, 31
	s_lshr_b32 s1, s1, 26
	s_add_i32 s0, s0, s1
	s_ashr_i32 s0, s0, 6
	s_cmp_eq_u32 s0, s91
	s_cselect_b64 s[0:1], -1, 0
	s_cmp_lg_u32 s38, 0
	s_cselect_b64 s[2:3], -1, 0
	s_and_b64 s[22:23], s[2:3], s[0:1]
	s_cmp_lt_i32 s6, 5
	s_cselect_b64 s[2:3], -1, 0
	s_or_b64 s[0:1], s[2:3], s[22:23]
	s_ashr_i32 s42, s33, 31
	s_add_u32 s10, s34, 1
	v_mov_b32_e32 v1, 0
	v_mov_b32_e32 v11, s33
	v_mad_u64_u32 v[11:12], s[8:9], s10, v11, v[0:1]
	s_addc_u32 s11, s35, 0
	s_mul_i32 s8, s10, s42
	s_mul_i32 s11, s11, s33
	s_add_i32 s8, s8, s11
	s_mov_b64 s[12:13], -1
	v_lshlrev_b32_e32 v17, 6, v0
	v_add_u32_e32 v12, s8, v12
	s_and_b64 vcc, exec, s[22:23]
	v_cmp_le_u32_e64 s[8:9], v0, v2
	s_cbranch_vccnz .LBB131_33
; %bb.12:
	v_mad_u64_u32 v[15:16], s[10:11], s34, v2, v[11:12]
	v_mov_b32_e32 v1, v16
	v_mad_u64_u32 v[13:14], s[10:11], s35, v2, v[1:2]
	s_mov_b64 s[10:11], 0
	v_mov_b32_e32 v16, v13
                                        ; implicit-def: $vgpr13_vgpr14
	s_and_saveexec_b64 s[12:13], s[8:9]
	s_xor_b64 s[8:9], exec, s[12:13]
	s_cbranch_execnz .LBB131_1057
; %bb.13:
	s_andn2_saveexec_b64 s[8:9], s[8:9]
	s_cbranch_execnz .LBB131_1062
.LBB131_14:
	s_or_b64 exec, exec, s[8:9]
	s_and_saveexec_b64 s[8:9], s[10:11]
.LBB131_15:
	v_add_u32_e32 v1, v2, v17
	v_lshl_add_u32 v15, v2, 6, v0
	v_cndmask_b32_e64 v1, v15, v1, s[2:3]
	v_lshlrev_b32_e32 v1, 3, v1
	ds_write_b64 v1, v[13:14]
.LBB131_16:
	s_or_b64 exec, exec, s[8:9]
	v_add_u32_e32 v1, 16, v2
	v_mad_u64_u32 v[15:16], s[2:3], s34, v1, v[11:12]
	v_cmp_le_u32_e32 vcc, v0, v1
	s_mov_b64 s[8:9], 0
	v_mov_b32_e32 v13, v16
	v_mad_u64_u32 v[13:14], s[2:3], s35, v1, v[13:14]
	v_mov_b32_e32 v16, v13
                                        ; implicit-def: $vgpr13_vgpr14
	s_and_saveexec_b64 s[2:3], vcc
	s_xor_b64 s[2:3], exec, s[2:3]
	s_cbranch_execnz .LBB131_1063
; %bb.17:
	s_andn2_saveexec_b64 s[2:3], s[2:3]
	s_cbranch_execnz .LBB131_1068
.LBB131_18:
	s_or_b64 exec, exec, s[2:3]
	s_and_saveexec_b64 s[2:3], s[8:9]
.LBB131_19:
	v_add_u32_e32 v15, v1, v17
	v_lshl_add_u32 v1, v1, 6, v0
	v_cndmask_b32_e64 v1, v1, v15, s[0:1]
	v_lshlrev_b32_e32 v1, 3, v1
	ds_write_b64 v1, v[13:14]
.LBB131_20:
	s_or_b64 exec, exec, s[2:3]
	v_add_u32_e32 v1, 32, v2
	v_mad_u64_u32 v[15:16], s[2:3], s34, v1, v[11:12]
	v_cmp_le_u32_e32 vcc, v0, v1
	s_mov_b64 s[8:9], 0
	v_mov_b32_e32 v13, v16
	v_mad_u64_u32 v[13:14], s[2:3], s35, v1, v[13:14]
	v_mov_b32_e32 v16, v13
                                        ; implicit-def: $vgpr13_vgpr14
	s_and_saveexec_b64 s[2:3], vcc
	s_xor_b64 s[2:3], exec, s[2:3]
	s_cbranch_execnz .LBB131_1069
; %bb.21:
	s_andn2_saveexec_b64 s[2:3], s[2:3]
	s_cbranch_execnz .LBB131_1074
.LBB131_22:
	s_or_b64 exec, exec, s[2:3]
	s_and_saveexec_b64 s[2:3], s[8:9]
.LBB131_23:
	v_add_u32_e32 v15, v1, v17
	v_lshl_add_u32 v1, v1, 6, v0
	v_cndmask_b32_e64 v1, v1, v15, s[0:1]
	v_lshlrev_b32_e32 v1, 3, v1
	ds_write_b64 v1, v[13:14]
.LBB131_24:
	s_or_b64 exec, exec, s[2:3]
	v_add_u32_e32 v1, 48, v2
	v_mad_u64_u32 v[15:16], s[2:3], s34, v1, v[11:12]
	v_cmp_le_u32_e32 vcc, v0, v1
	s_mov_b64 s[10:11], 0
	v_mov_b32_e32 v13, v16
	v_mad_u64_u32 v[13:14], s[2:3], s35, v1, v[13:14]
	v_mov_b32_e32 v16, v13
                                        ; implicit-def: $vgpr13_vgpr14
	s_and_saveexec_b64 s[2:3], vcc
	s_xor_b64 s[2:3], exec, s[2:3]
	s_cbranch_execz .LBB131_30
; %bb.25:
	v_cmp_ne_u32_e32 vcc, v0, v1
	s_mov_b64 s[8:9], 0
	s_and_saveexec_b64 s[10:11], vcc
	s_xor_b64 s[10:11], exec, s[10:11]
; %bb.26:
	v_or_b32_e32 v13, v1, v0
	v_cmp_gt_u32_e32 vcc, 64, v13
	s_and_b64 s[8:9], vcc, exec
                                        ; implicit-def: $vgpr15_vgpr16
; %bb.27:
	s_or_saveexec_b64 s[10:11], s[10:11]
	v_mov_b32_e32 v13, 0
	v_mov_b32_e32 v14, 0
	s_xor_b64 exec, exec, s[10:11]
	s_cbranch_execz .LBB131_29
; %bb.28:
	v_lshlrev_b64 v[13:14], 3, v[15:16]
	v_mov_b32_e32 v15, s90
	v_add_co_u32_e32 v13, vcc, s39, v13
	v_addc_co_u32_e32 v14, vcc, v15, v14, vcc
	flat_load_dwordx2 v[13:14], v[13:14]
	s_or_b64 s[8:9], s[8:9], exec
	s_waitcnt vmcnt(0) lgkmcnt(0)
	v_div_scale_f64 v[15:16], s[12:13], v[13:14], v[13:14], 1.0
	v_div_scale_f64 v[22:23], vcc, 1.0, v[13:14], 1.0
	v_rcp_f64_e32 v[18:19], v[15:16]
	v_fma_f64 v[20:21], -v[15:16], v[18:19], 1.0
	v_fma_f64 v[18:19], v[18:19], v[20:21], v[18:19]
	v_fma_f64 v[20:21], -v[15:16], v[18:19], 1.0
	v_fma_f64 v[18:19], v[18:19], v[20:21], v[18:19]
	v_mul_f64 v[20:21], v[22:23], v[18:19]
	v_fma_f64 v[15:16], -v[15:16], v[20:21], v[22:23]
	v_div_fmas_f64 v[15:16], v[15:16], v[18:19], v[20:21]
	v_div_fixup_f64 v[13:14], v[15:16], v[13:14], 1.0
.LBB131_29:
	s_or_b64 exec, exec, s[10:11]
	s_and_b64 s[10:11], s[8:9], exec
                                        ; implicit-def: $vgpr15_vgpr16
.LBB131_30:
	s_or_saveexec_b64 s[2:3], s[2:3]
	v_add_u32_e32 v18, v1, v17
	v_lshl_add_u32 v1, v1, 6, v0
	s_xor_b64 exec, exec, s[2:3]
	s_cbranch_execz .LBB131_32
; %bb.31:
	v_lshlrev_b64 v[13:14], 3, v[15:16]
	v_mov_b32_e32 v15, s90
	v_add_co_u32_e32 v13, vcc, s39, v13
	v_addc_co_u32_e32 v14, vcc, v15, v14, vcc
	flat_load_dwordx2 v[13:14], v[13:14]
	s_or_b64 s[10:11], s[10:11], exec
	s_waitcnt vmcnt(0) lgkmcnt(0)
	v_xor_b32_e32 v14, 0x80000000, v14
.LBB131_32:
	s_or_b64 exec, exec, s[2:3]
	v_cndmask_b32_e64 v1, v1, v18, s[0:1]
	s_branch .LBB131_55
.LBB131_33:
	s_mov_b64 s[10:11], 0
                                        ; implicit-def: $vgpr13_vgpr14
                                        ; implicit-def: $vgpr1
	s_and_b64 vcc, exec, s[12:13]
	s_cbranch_vccz .LBB131_55
; %bb.34:
	v_mad_u64_u32 v[13:14], s[2:3], s34, v2, v[11:12]
	v_cmp_le_u32_e32 vcc, v0, v2
	v_cmp_gt_i32_e64 s[2:3], s38, v0
	v_mov_b32_e32 v1, v14
	v_mad_u64_u32 v[14:15], s[8:9], s35, v2, v[1:2]
	v_max_i32_e32 v1, v2, v0
	v_cmp_le_i32_e64 s[8:9], s38, v1
	s_or_b64 s[8:9], s[8:9], vcc
	s_mov_b64 s[12:13], 0
                                        ; implicit-def: $vgpr15_vgpr16
	s_and_saveexec_b64 s[14:15], s[8:9]
	s_xor_b64 s[8:9], exec, s[14:15]
	s_cbranch_execnz .LBB131_1075
; %bb.35:
	s_andn2_saveexec_b64 s[8:9], s[8:9]
	s_cbranch_execnz .LBB131_1080
.LBB131_36:
	s_or_b64 exec, exec, s[8:9]
	s_and_saveexec_b64 s[8:9], s[12:13]
.LBB131_37:
	v_lshlrev_b32_e32 v1, 3, v17
	v_lshl_add_u32 v1, v2, 3, v1
	ds_write_b64 v1, v[15:16]
.LBB131_38:
	s_or_b64 exec, exec, s[8:9]
	v_add_u32_e32 v1, 16, v2
	v_mad_u64_u32 v[13:14], s[8:9], s34, v1, v[11:12]
	v_cmp_gt_u32_e32 vcc, v0, v1
	s_mov_b64 s[12:13], 0
	v_mad_u64_u32 v[14:15], s[8:9], s35, v1, v[14:15]
	v_cmp_gt_i32_e64 s[8:9], s38, v1
	s_and_b64 s[8:9], vcc, s[8:9]
	s_and_b64 s[8:9], s[2:3], s[8:9]
	s_xor_b64 s[8:9], s[8:9], -1
                                        ; implicit-def: $vgpr15_vgpr16
	s_and_saveexec_b64 s[14:15], s[8:9]
	s_xor_b64 s[8:9], exec, s[14:15]
	s_cbranch_execnz .LBB131_1081
; %bb.39:
	s_andn2_saveexec_b64 s[8:9], s[8:9]
	s_cbranch_execnz .LBB131_1086
.LBB131_40:
	s_or_b64 exec, exec, s[8:9]
	s_and_saveexec_b64 s[8:9], s[12:13]
.LBB131_41:
	v_add_u32_e32 v13, v1, v17
	v_lshl_add_u32 v1, v1, 6, v0
	v_cndmask_b32_e64 v1, v1, v13, s[0:1]
	v_lshlrev_b32_e32 v1, 3, v1
	ds_write_b64 v1, v[15:16]
.LBB131_42:
	s_or_b64 exec, exec, s[8:9]
	v_add_u32_e32 v1, 32, v2
	v_mad_u64_u32 v[13:14], s[8:9], s34, v1, v[11:12]
	v_cmp_gt_u32_e32 vcc, v0, v1
	s_mov_b64 s[12:13], 0
	v_mad_u64_u32 v[14:15], s[8:9], s35, v1, v[14:15]
	v_cmp_gt_i32_e64 s[8:9], s38, v1
	s_and_b64 s[8:9], vcc, s[8:9]
	s_and_b64 s[8:9], s[2:3], s[8:9]
	s_xor_b64 s[8:9], s[8:9], -1
                                        ; implicit-def: $vgpr15_vgpr16
	s_and_saveexec_b64 s[14:15], s[8:9]
	s_xor_b64 s[8:9], exec, s[14:15]
	s_cbranch_execnz .LBB131_1087
; %bb.43:
	s_andn2_saveexec_b64 s[8:9], s[8:9]
	s_cbranch_execnz .LBB131_1092
.LBB131_44:
	s_or_b64 exec, exec, s[8:9]
	s_and_saveexec_b64 s[8:9], s[12:13]
.LBB131_45:
	v_add_u32_e32 v13, v1, v17
	v_lshl_add_u32 v1, v1, 6, v0
	v_cndmask_b32_e64 v1, v1, v13, s[0:1]
	v_lshlrev_b32_e32 v1, 3, v1
	ds_write_b64 v1, v[15:16]
.LBB131_46:
	s_or_b64 exec, exec, s[8:9]
	v_add_u32_e32 v1, 48, v2
	v_mad_u64_u32 v[11:12], s[8:9], s34, v1, v[11:12]
	v_cmp_gt_u32_e32 vcc, v0, v1
	v_mad_u64_u32 v[12:13], s[8:9], s35, v1, v[12:13]
	v_cmp_gt_i32_e64 s[8:9], s38, v1
	s_and_b64 s[8:9], vcc, s[8:9]
	s_and_b64 s[8:9], s[2:3], s[8:9]
	s_xor_b64 s[8:9], s[8:9], -1
                                        ; implicit-def: $vgpr13_vgpr14
	s_and_saveexec_b64 s[12:13], s[8:9]
	s_xor_b64 s[8:9], exec, s[12:13]
	s_cbranch_execz .LBB131_52
; %bb.47:
	v_cmp_ne_u32_e32 vcc, v0, v1
	s_xor_b64 s[2:3], s[2:3], -1
	s_or_b64 s[12:13], s[2:3], vcc
	s_mov_b64 s[2:3], s[10:11]
	s_and_saveexec_b64 s[14:15], s[12:13]
	s_xor_b64 s[12:13], exec, s[14:15]
; %bb.48:
	v_or_b32_e32 v11, v1, v0
	v_cmp_gt_u32_e32 vcc, 64, v11
	s_andn2_b64 s[2:3], s[10:11], exec
	s_and_b64 s[14:15], vcc, exec
	s_or_b64 s[2:3], s[2:3], s[14:15]
                                        ; implicit-def: $vgpr11_vgpr12
; %bb.49:
	s_or_saveexec_b64 s[12:13], s[12:13]
	v_mov_b32_e32 v13, 0
	v_mov_b32_e32 v14, 0
	s_xor_b64 exec, exec, s[12:13]
	s_cbranch_execz .LBB131_51
; %bb.50:
	v_lshlrev_b64 v[11:12], 3, v[11:12]
	v_mov_b32_e32 v13, s90
	v_add_co_u32_e32 v11, vcc, s39, v11
	v_addc_co_u32_e32 v12, vcc, v13, v12, vcc
	flat_load_dwordx2 v[11:12], v[11:12]
	s_or_b64 s[2:3], s[2:3], exec
	s_waitcnt vmcnt(0) lgkmcnt(0)
	v_div_scale_f64 v[13:14], s[14:15], v[11:12], v[11:12], 1.0
	v_div_scale_f64 v[20:21], vcc, 1.0, v[11:12], 1.0
	v_rcp_f64_e32 v[15:16], v[13:14]
	v_fma_f64 v[18:19], -v[13:14], v[15:16], 1.0
	v_fma_f64 v[15:16], v[15:16], v[18:19], v[15:16]
	v_fma_f64 v[18:19], -v[13:14], v[15:16], 1.0
	v_fma_f64 v[15:16], v[15:16], v[18:19], v[15:16]
	v_mul_f64 v[18:19], v[20:21], v[15:16]
	v_fma_f64 v[13:14], -v[13:14], v[18:19], v[20:21]
	v_div_fmas_f64 v[13:14], v[13:14], v[15:16], v[18:19]
	v_div_fixup_f64 v[13:14], v[13:14], v[11:12], 1.0
.LBB131_51:
	s_or_b64 exec, exec, s[12:13]
	s_andn2_b64 s[10:11], s[10:11], exec
	s_and_b64 s[2:3], s[2:3], exec
	s_or_b64 s[10:11], s[10:11], s[2:3]
                                        ; implicit-def: $vgpr11_vgpr12
.LBB131_52:
	s_or_saveexec_b64 s[2:3], s[8:9]
	v_add_u32_e32 v15, v1, v17
	v_lshl_add_u32 v1, v1, 6, v0
	s_xor_b64 exec, exec, s[2:3]
	s_cbranch_execz .LBB131_54
; %bb.53:
	v_lshlrev_b64 v[11:12], 3, v[11:12]
	v_mov_b32_e32 v13, s90
	v_add_co_u32_e32 v11, vcc, s39, v11
	v_addc_co_u32_e32 v12, vcc, v13, v12, vcc
	flat_load_dwordx2 v[13:14], v[11:12]
	s_or_b64 s[10:11], s[10:11], exec
	s_waitcnt vmcnt(0) lgkmcnt(0)
	v_xor_b32_e32 v14, 0x80000000, v14
.LBB131_54:
	s_or_b64 exec, exec, s[2:3]
	v_cndmask_b32_e64 v1, v1, v15, s[0:1]
.LBB131_55:
	s_xor_b64 s[0:1], s[0:1], -1
	s_and_saveexec_b64 s[2:3], s[10:11]
; %bb.56:
	v_lshlrev_b32_e32 v1, 3, v1
	ds_write_b64 v1, v[13:14]
; %bb.57:
	s_or_b64 exec, exec, s[2:3]
	v_cndmask_b32_e64 v1, 0, 1, s[0:1]
	v_cmp_ne_u32_e64 s[2:3], 1, v1
                                        ; implicit-def: $vgpr42 : SGPR spill to VGPR lane
	s_andn2_b64 vcc, exec, s[0:1]
	v_writelane_b32 v42, s2, 0
	s_waitcnt vmcnt(0) lgkmcnt(0)
	s_barrier
	v_writelane_b32 v42, s3, 1
	s_cbranch_vccnz .LBB131_987
; %bb.58:
	v_or_b32_e32 v1, v0, v2
	v_cmp_eq_u32_e32 vcc, 0, v1
	s_and_saveexec_b64 s[0:1], vcc
	s_cbranch_execz .LBB131_60
; %bb.59:
	v_mov_b32_e32 v1, 0
	ds_read_b128 v[11:14], v1
	ds_read_b64 v[15:16], v1 offset:520
	s_waitcnt lgkmcnt(0)
	v_mul_f64 v[11:12], v[11:12], v[15:16]
	v_mul_f64 v[11:12], v[13:14], v[11:12]
	ds_write2_b64 v1, v[11:12], v[11:12] offset0:1 offset1:64
.LBB131_60:
	s_or_b64 exec, exec, s[0:1]
	v_lshl_add_u32 v14, v2, 6, v0
	v_and_b32_e32 v16, 1, v0
	v_lshrrev_b32_e32 v15, 1, v14
	v_lshlrev_b32_e32 v1, 3, v16
	v_mov_b32_e32 v11, 0
	v_cmp_lt_u32_e64 s[8:9], 3, v14
	v_cmp_gt_u32_e64 s[2:3], 4, v14
	v_mov_b32_e32 v12, 0
	v_lshl_or_b32 v1, v15, 9, v1
	s_waitcnt lgkmcnt(0)
	s_barrier
	s_and_saveexec_b64 s[0:1], s[2:3]
	s_cbranch_execz .LBB131_64
; %bb.61:
	v_mul_u32_u24_e32 v13, 0x208, v15
	ds_read_b64 v[11:12], v1 offset:16
	ds_read_b64 v[17:18], v13
	v_cmp_gt_u32_e64 s[10:11], 2, v14
	s_waitcnt lgkmcnt(0)
	v_fma_f64 v[11:12], v[11:12], v[17:18], 0
	s_and_saveexec_b64 s[12:13], s[10:11]
	s_cbranch_execz .LBB131_63
; %bb.62:
	v_lshlrev_b32_e32 v13, 3, v0
	v_mov_b32_e32 v19, 0
	ds_read_b64 v[17:18], v13 offset:528
	ds_read_b64 v[19:20], v19 offset:8
	s_waitcnt lgkmcnt(0)
	v_fma_f64 v[11:12], v[17:18], v[19:20], v[11:12]
.LBB131_63:
	s_or_b64 exec, exec, s[12:13]
	v_xor_b32_e32 v12, 0x80000000, v12
.LBB131_64:
	v_writelane_b32 v42, s42, 2
	s_or_b64 exec, exec, s[0:1]
	v_mov_b32_e32 v13, 0x8000
	v_cmp_eq_u32_e64 s[10:11], 0, v16
	s_xor_b64 s[0:1], s[8:9], -1
	v_lshl_add_u32 v13, v15, 3, v13
	s_and_b64 s[42:43], s[10:11], s[0:1]
	s_and_saveexec_b64 s[8:9], s[42:43]
	s_cbranch_execz .LBB131_66
; %bb.65:
	v_mov_b32_e32 v17, 0
	ds_read_b64 v[17:18], v17 offset:1040
	s_waitcnt lgkmcnt(0)
	v_mul_f64 v[11:12], v[11:12], v[17:18]
	ds_write_b64 v13, v[11:12]
.LBB131_66:
	s_or_b64 exec, exec, s[8:9]
	v_cmp_ne_u32_e64 s[8:9], 0, v16
	s_and_b64 s[40:41], s[8:9], s[0:1]
	s_waitcnt lgkmcnt(0)
	s_barrier
	s_and_saveexec_b64 s[0:1], s[40:41]
	s_cbranch_execz .LBB131_68
; %bb.67:
	v_mov_b32_e32 v16, 0
	ds_read_b64 v[16:17], v16 offset:1048
	ds_read_b64 v[18:19], v13
	s_waitcnt lgkmcnt(0)
	v_fma_f64 v[11:12], v[16:17], v[18:19], v[11:12]
.LBB131_68:
	s_or_b64 exec, exec, s[0:1]
	s_barrier
	s_and_saveexec_b64 s[0:1], s[40:41]
	s_cbranch_execz .LBB131_70
; %bb.69:
	v_mov_b32_e32 v16, 0
	ds_read_b64 v[16:17], v16 offset:1560
	s_waitcnt lgkmcnt(0)
	v_mul_f64 v[11:12], v[11:12], v[16:17]
	ds_write_b64 v13, v[11:12]
.LBB131_70:
	s_or_b64 exec, exec, s[0:1]
	s_waitcnt lgkmcnt(0)
	s_barrier
	s_barrier
	s_and_saveexec_b64 s[0:1], s[2:3]
; %bb.71:
	v_xor_b32_e32 v12, 0x80000000, v12
	ds_write_b64 v1, v[11:12] offset:16
; %bb.72:
	s_or_b64 exec, exec, s[0:1]
	v_cmp_eq_u32_e64 s[12:13], 0, v2
	v_cmp_gt_u32_e64 s[8:9], 2, v0
	s_and_b64 s[44:45], s[12:13], s[8:9]
	s_waitcnt lgkmcnt(0)
	s_barrier
	s_barrier
	s_and_saveexec_b64 s[0:1], s[44:45]
	s_cbranch_execz .LBB131_74
; %bb.73:
	v_lshlrev_b32_e32 v16, 3, v0
	s_movk_i32 s8, 0x1f8
	v_mad_u32_u24 v17, v0, s8, v16
	ds_read_b64 v[11:12], v17 offset:16
	s_waitcnt lgkmcnt(0)
	ds_write_b64 v16, v[11:12] offset:1024
	ds_read_b64 v[11:12], v17 offset:24
	s_waitcnt lgkmcnt(0)
	ds_write_b64 v16, v[11:12] offset:1536
.LBB131_74:
	s_or_b64 exec, exec, s[0:1]
	s_waitcnt lgkmcnt(0)
	s_barrier
	s_and_saveexec_b64 s[0:1], vcc
	s_cbranch_execz .LBB131_76
; %bb.75:
	v_mov_b32_e32 v20, 0
	ds_read_b128 v[16:19], v20 offset:1040
	ds_read_b64 v[11:12], v20 offset:1560
	s_waitcnt lgkmcnt(0)
	v_mul_f64 v[11:12], v[16:17], v[11:12]
	v_mul_f64 v[11:12], v[18:19], v[11:12]
	ds_write2_b64 v20, v[11:12], v[11:12] offset0:131 offset1:194
.LBB131_76:
	s_or_b64 exec, exec, s[0:1]
	v_and_b32_e32 v19, 3, v0
	v_lshrrev_b32_e32 v20, 2, v14
	v_lshlrev_b32_e32 v17, 3, v19
	v_mov_b32_e32 v11, 0
	v_cmp_lt_u32_e64 s[8:9], 15, v14
	v_cmp_gt_u32_e64 s[18:19], 16, v14
	v_mov_b32_e32 v12, 0
	v_lshl_or_b32 v16, v20, 9, v17
	s_waitcnt lgkmcnt(0)
	s_barrier
	s_and_saveexec_b64 s[0:1], s[18:19]
	s_cbranch_execz .LBB131_82
; %bb.77:
	v_mul_u32_u24_e32 v18, 0x208, v20
	ds_read_b64 v[11:12], v16 offset:32
	ds_read_b64 v[21:22], v18
	v_cmp_gt_u32_e64 s[10:11], 12, v14
	s_waitcnt lgkmcnt(0)
	v_fma_f64 v[11:12], v[11:12], v[21:22], 0
	s_and_saveexec_b64 s[14:15], s[10:11]
	s_cbranch_execnz .LBB131_1097
; %bb.78:
	s_or_b64 exec, exec, s[14:15]
	v_cmp_gt_u32_e64 s[10:11], 8, v14
	s_and_saveexec_b64 s[14:15], s[10:11]
	s_cbranch_execnz .LBB131_1098
.LBB131_79:
	s_or_b64 exec, exec, s[14:15]
	v_cmp_gt_u32_e64 s[10:11], 4, v14
	s_and_saveexec_b64 s[14:15], s[10:11]
	s_cbranch_execz .LBB131_81
.LBB131_80:
	v_lshlrev_b32_e32 v18, 3, v0
	v_mov_b32_e32 v23, 0
	ds_read_b64 v[21:22], v18 offset:1568
	ds_read_b64 v[23:24], v23 offset:24
	s_waitcnt lgkmcnt(0)
	v_fma_f64 v[11:12], v[21:22], v[23:24], v[11:12]
.LBB131_81:
	s_or_b64 exec, exec, s[14:15]
	v_xor_b32_e32 v12, 0x80000000, v12
.LBB131_82:
	v_writelane_b32 v42, s48, 3
	v_writelane_b32 v42, s49, 4
	s_or_b64 exec, exec, s[0:1]
	v_mov_b32_e32 v18, 0x8000
	v_cmp_eq_u32_e64 s[10:11], 0, v19
	s_xor_b64 s[0:1], s[8:9], -1
	v_lshl_add_u32 v18, v20, 3, v18
	s_and_b64 s[48:49], s[10:11], s[0:1]
	s_and_saveexec_b64 s[8:9], s[48:49]
	s_cbranch_execz .LBB131_84
; %bb.83:
	v_mov_b32_e32 v21, 0
	ds_read_b64 v[21:22], v21 offset:2080
	s_waitcnt lgkmcnt(0)
	v_mul_f64 v[11:12], v[11:12], v[21:22]
	ds_write_b64 v18, v[11:12]
.LBB131_84:
	s_or_b64 exec, exec, s[8:9]
	v_cmp_ne_u32_e64 s[8:9], 0, v19
	s_and_b64 s[50:51], s[8:9], s[0:1]
	s_waitcnt lgkmcnt(0)
	s_barrier
	s_and_saveexec_b64 s[8:9], s[50:51]
	s_cbranch_execz .LBB131_86
; %bb.85:
	ds_read_b64 v[21:22], v17 offset:2080
	ds_read_b64 v[23:24], v18
	s_waitcnt lgkmcnt(0)
	v_fma_f64 v[11:12], v[21:22], v[23:24], v[11:12]
.LBB131_86:
	s_or_b64 exec, exec, s[8:9]
	v_cmp_eq_u32_e64 s[8:9], 1, v19
	s_and_b64 s[52:53], s[8:9], s[0:1]
	s_barrier
	s_and_saveexec_b64 s[8:9], s[52:53]
	s_cbranch_execz .LBB131_88
; %bb.87:
	v_mov_b32_e32 v21, 0
	ds_read_b64 v[21:22], v21 offset:2600
	s_waitcnt lgkmcnt(0)
	v_mul_f64 v[11:12], v[11:12], v[21:22]
	ds_write_b64 v18, v[11:12]
.LBB131_88:
	s_or_b64 exec, exec, s[8:9]
	v_cmp_lt_u32_e64 s[8:9], 1, v19
	s_and_b64 s[54:55], s[8:9], s[0:1]
	s_waitcnt lgkmcnt(0)
	s_barrier
	s_and_saveexec_b64 s[8:9], s[54:55]
	s_cbranch_execz .LBB131_90
; %bb.89:
	ds_read_b64 v[21:22], v17 offset:2592
	ds_read_b64 v[23:24], v18
	s_waitcnt lgkmcnt(0)
	v_fma_f64 v[11:12], v[21:22], v[23:24], v[11:12]
.LBB131_90:
	s_or_b64 exec, exec, s[8:9]
	v_cmp_eq_u32_e64 s[8:9], 2, v19
	s_and_b64 s[56:57], s[8:9], s[0:1]
	s_barrier
	s_and_saveexec_b64 s[8:9], s[56:57]
	s_cbranch_execz .LBB131_92
; %bb.91:
	v_mov_b32_e32 v21, 0
	ds_read_b64 v[21:22], v21 offset:3120
	s_waitcnt lgkmcnt(0)
	v_mul_f64 v[11:12], v[11:12], v[21:22]
	ds_write_b64 v18, v[11:12]
.LBB131_92:
	s_or_b64 exec, exec, s[8:9]
	v_cmp_eq_u32_e64 s[8:9], 3, v19
	s_and_b64 s[46:47], s[8:9], s[0:1]
	s_waitcnt lgkmcnt(0)
	s_barrier
	s_and_saveexec_b64 s[0:1], s[46:47]
	s_cbranch_execz .LBB131_94
; %bb.93:
	v_mov_b32_e32 v21, 0
	ds_read_b64 v[21:22], v21 offset:3128
	ds_read_b64 v[23:24], v18
	s_waitcnt lgkmcnt(0)
	v_fma_f64 v[11:12], v[21:22], v[23:24], v[11:12]
.LBB131_94:
	s_or_b64 exec, exec, s[0:1]
	s_barrier
	s_and_saveexec_b64 s[0:1], s[46:47]
	s_cbranch_execz .LBB131_96
; %bb.95:
	v_mov_b32_e32 v21, 0
	ds_read_b64 v[21:22], v21 offset:3640
	s_waitcnt lgkmcnt(0)
	v_mul_f64 v[11:12], v[11:12], v[21:22]
	ds_write_b64 v18, v[11:12]
.LBB131_96:
	s_or_b64 exec, exec, s[0:1]
	s_waitcnt lgkmcnt(0)
	s_barrier
	s_barrier
	s_and_saveexec_b64 s[0:1], s[18:19]
; %bb.97:
	v_xor_b32_e32 v12, 0x80000000, v12
	ds_write_b64 v16, v[11:12] offset:32
; %bb.98:
	s_or_b64 exec, exec, s[0:1]
	v_cmp_gt_u32_e64 s[8:9], 4, v0
	s_and_b64 s[58:59], s[12:13], s[8:9]
	s_waitcnt lgkmcnt(0)
	s_barrier
	s_barrier
	s_and_saveexec_b64 s[0:1], s[58:59]
	s_cbranch_execz .LBB131_100
; %bb.99:
	v_lshlrev_b32_e32 v21, 9, v0
	ds_read_b64 v[11:12], v21 offset:32
	s_movk_i32 s8, 0xfe08
	v_mad_i32_i24 v22, v0, s8, v21
	s_waitcnt lgkmcnt(0)
	ds_write_b64 v22, v[11:12] offset:2048
	ds_read_b64 v[11:12], v21 offset:40
	s_waitcnt lgkmcnt(0)
	ds_write_b64 v22, v[11:12] offset:2560
	ds_read_b64 v[11:12], v21 offset:48
	;; [unrolled: 3-line block ×3, first 2 shown]
	s_waitcnt lgkmcnt(0)
	ds_write_b64 v22, v[11:12] offset:3584
.LBB131_100:
	s_or_b64 exec, exec, s[0:1]
	s_waitcnt lgkmcnt(0)
	s_barrier
	s_and_saveexec_b64 s[0:1], vcc
	s_cbranch_execz .LBB131_102
; %bb.101:
	v_mov_b32_e32 v11, 0
	ds_read_b128 v[21:24], v11 offset:2080
	ds_read_b64 v[11:12], v11 offset:2600
	s_movk_i32 s8, 0x800
	s_waitcnt lgkmcnt(0)
	v_mul_f64 v[11:12], v[21:22], v[11:12]
	v_add_u32_e64 v21, s8, 0
	v_mul_f64 v[11:12], v[23:24], v[11:12]
	ds_write2_b64 v21, v[11:12], v[11:12] offset0:5 offset1:68
.LBB131_102:
	s_or_b64 exec, exec, s[0:1]
	v_mov_b32_e32 v11, 0
	v_mov_b32_e32 v12, 0
	s_waitcnt lgkmcnt(0)
	s_barrier
	s_and_saveexec_b64 s[0:1], s[2:3]
	s_cbranch_execz .LBB131_106
; %bb.103:
	v_mul_u32_u24_e32 v21, 0x208, v15
	ds_read_b64 v[11:12], v1 offset:2096
	ds_read_b64 v[21:22], v21 offset:2080
	v_cmp_gt_u32_e64 s[8:9], 2, v14
	s_waitcnt lgkmcnt(0)
	v_fma_f64 v[11:12], v[11:12], v[21:22], 0
	s_and_saveexec_b64 s[10:11], s[8:9]
	s_cbranch_execz .LBB131_105
; %bb.104:
	v_lshlrev_b32_e32 v21, 3, v0
	v_mov_b32_e32 v23, 0
	ds_read_b64 v[21:22], v21 offset:2608
	ds_read_b64 v[23:24], v23 offset:2088
	s_waitcnt lgkmcnt(0)
	v_fma_f64 v[11:12], v[21:22], v[23:24], v[11:12]
.LBB131_105:
	s_or_b64 exec, exec, s[10:11]
	v_xor_b32_e32 v12, 0x80000000, v12
.LBB131_106:
	s_or_b64 exec, exec, s[0:1]
	s_and_saveexec_b64 s[0:1], s[42:43]
	s_cbranch_execz .LBB131_108
; %bb.107:
	v_mov_b32_e32 v21, 0
	ds_read_b64 v[21:22], v21 offset:3120
	s_waitcnt lgkmcnt(0)
	v_mul_f64 v[11:12], v[11:12], v[21:22]
	ds_write_b64 v13, v[11:12]
.LBB131_108:
	s_or_b64 exec, exec, s[0:1]
	s_waitcnt lgkmcnt(0)
	s_barrier
	s_and_saveexec_b64 s[0:1], s[40:41]
	s_cbranch_execz .LBB131_110
; %bb.109:
	v_mov_b32_e32 v21, 0
	ds_read_b64 v[21:22], v21 offset:3128
	ds_read_b64 v[23:24], v13
	s_waitcnt lgkmcnt(0)
	v_fma_f64 v[11:12], v[21:22], v[23:24], v[11:12]
.LBB131_110:
	s_or_b64 exec, exec, s[0:1]
	s_barrier
	s_and_saveexec_b64 s[0:1], s[40:41]
	s_cbranch_execz .LBB131_112
; %bb.111:
	v_mov_b32_e32 v21, 0
	ds_read_b64 v[21:22], v21 offset:3640
	s_waitcnt lgkmcnt(0)
	v_mul_f64 v[11:12], v[11:12], v[21:22]
	ds_write_b64 v13, v[11:12]
.LBB131_112:
	s_or_b64 exec, exec, s[0:1]
	s_waitcnt lgkmcnt(0)
	s_barrier
	s_barrier
	s_and_saveexec_b64 s[0:1], s[2:3]
; %bb.113:
	v_xor_b32_e32 v12, 0x80000000, v12
	ds_write_b64 v1, v[11:12] offset:2096
; %bb.114:
	s_or_b64 exec, exec, s[0:1]
	s_waitcnt lgkmcnt(0)
	s_barrier
	s_barrier
	s_and_saveexec_b64 s[0:1], s[44:45]
	s_cbranch_execz .LBB131_116
; %bb.115:
	v_lshlrev_b32_e32 v21, 3, v0
	s_movk_i32 s8, 0x1f8
	v_mad_u32_u24 v22, v0, s8, v21
	ds_read_b64 v[11:12], v22 offset:2096
	s_waitcnt lgkmcnt(0)
	ds_write_b64 v21, v[11:12] offset:3104
	ds_read_b64 v[11:12], v22 offset:2104
	s_waitcnt lgkmcnt(0)
	ds_write_b64 v21, v[11:12] offset:3616
.LBB131_116:
	s_or_b64 exec, exec, s[0:1]
	s_waitcnt lgkmcnt(0)
	s_barrier
	s_and_saveexec_b64 s[0:1], vcc
	s_cbranch_execz .LBB131_118
; %bb.117:
	v_mov_b32_e32 v11, 0
	ds_read_b128 v[21:24], v11 offset:3120
	ds_read_b64 v[11:12], v11 offset:3640
	s_movk_i32 s8, 0x800
	s_waitcnt lgkmcnt(0)
	v_mul_f64 v[11:12], v[21:22], v[11:12]
	v_add_u32_e64 v21, s8, 0
	v_mul_f64 v[11:12], v[23:24], v[11:12]
	ds_write2_b64 v21, v[11:12], v[11:12] offset0:135 offset1:198
.LBB131_118:
	s_or_b64 exec, exec, s[0:1]
	v_and_b32_e32 v24, 7, v0
	v_lshrrev_b32_e32 v25, 3, v14
	v_lshlrev_b32_e32 v22, 3, v24
	v_mov_b32_e32 v11, 0
	v_cmp_lt_u32_e64 s[10:11], 63, v14
	v_cmp_gt_u32_e64 s[8:9], 64, v14
	v_mov_b32_e32 v12, 0
	v_lshl_or_b32 v21, v25, 9, v22
	s_waitcnt lgkmcnt(0)
	s_barrier
	s_and_saveexec_b64 s[0:1], s[8:9]
	s_cbranch_execz .LBB131_128
; %bb.119:
	v_mul_u32_u24_e32 v23, 0x208, v25
	ds_read_b64 v[11:12], v21 offset:64
	ds_read_b64 v[26:27], v23
	v_cmp_gt_u32_e64 s[14:15], 56, v14
	s_waitcnt lgkmcnt(0)
	v_fma_f64 v[11:12], v[11:12], v[26:27], 0
	s_and_saveexec_b64 s[16:17], s[14:15]
	s_cbranch_execnz .LBB131_1099
; %bb.120:
	s_or_b64 exec, exec, s[16:17]
	v_cmp_gt_u32_e64 s[14:15], 48, v14
	s_and_saveexec_b64 s[16:17], s[14:15]
	s_cbranch_execnz .LBB131_1100
.LBB131_121:
	s_or_b64 exec, exec, s[16:17]
	v_cmp_gt_u32_e64 s[14:15], 40, v14
	s_and_saveexec_b64 s[16:17], s[14:15]
	s_cbranch_execnz .LBB131_1101
.LBB131_122:
	s_or_b64 exec, exec, s[16:17]
	v_cmp_gt_u32_e64 s[14:15], 32, v14
	s_and_saveexec_b64 s[16:17], s[14:15]
	s_cbranch_execnz .LBB131_1102
.LBB131_123:
	s_or_b64 exec, exec, s[16:17]
	v_cmp_gt_u32_e64 s[14:15], 24, v14
	s_and_saveexec_b64 s[16:17], s[14:15]
	s_cbranch_execnz .LBB131_1103
.LBB131_124:
	s_or_b64 exec, exec, s[16:17]
	v_cmp_gt_u32_e64 s[14:15], 16, v14
	s_and_saveexec_b64 s[16:17], s[14:15]
	s_cbranch_execnz .LBB131_1104
.LBB131_125:
	s_or_b64 exec, exec, s[16:17]
	v_cmp_gt_u32_e64 s[14:15], 8, v14
	s_and_saveexec_b64 s[16:17], s[14:15]
	s_cbranch_execz .LBB131_127
.LBB131_126:
	v_lshlrev_b32_e32 v23, 3, v0
	v_mov_b32_e32 v28, 0
	ds_read_b64 v[26:27], v23 offset:3648
	ds_read_b64 v[28:29], v28 offset:56
	s_waitcnt lgkmcnt(0)
	v_fma_f64 v[11:12], v[26:27], v[28:29], v[11:12]
.LBB131_127:
	s_or_b64 exec, exec, s[16:17]
	v_xor_b32_e32 v12, 0x80000000, v12
.LBB131_128:
	v_writelane_b32 v42, s60, 5
	v_writelane_b32 v42, s61, 6
	s_or_b64 exec, exec, s[0:1]
	v_mov_b32_e32 v23, 0x8000
	v_cmp_eq_u32_e64 s[14:15], 0, v24
	s_xor_b64 s[0:1], s[10:11], -1
	v_lshl_add_u32 v23, v25, 3, v23
	s_and_b64 s[60:61], s[14:15], s[0:1]
	s_and_saveexec_b64 s[10:11], s[60:61]
	s_cbranch_execz .LBB131_130
; %bb.129:
	v_mov_b32_e32 v26, 0
	ds_read_b64 v[26:27], v26 offset:4160
	s_waitcnt lgkmcnt(0)
	v_mul_f64 v[11:12], v[11:12], v[26:27]
	ds_write_b64 v23, v[11:12]
.LBB131_130:
	s_or_b64 exec, exec, s[10:11]
	v_cmp_ne_u32_e64 s[10:11], 0, v24
	s_and_b64 s[62:63], s[10:11], s[0:1]
	s_waitcnt lgkmcnt(0)
	s_barrier
	s_and_saveexec_b64 s[10:11], s[62:63]
	s_cbranch_execz .LBB131_132
; %bb.131:
	ds_read_b64 v[26:27], v22 offset:4160
	ds_read_b64 v[28:29], v23
	s_waitcnt lgkmcnt(0)
	v_fma_f64 v[11:12], v[26:27], v[28:29], v[11:12]
.LBB131_132:
	s_or_b64 exec, exec, s[10:11]
	v_cmp_eq_u32_e64 s[10:11], 1, v24
	s_and_b64 s[64:65], s[10:11], s[0:1]
	s_barrier
	s_and_saveexec_b64 s[10:11], s[64:65]
	s_cbranch_execz .LBB131_134
; %bb.133:
	v_mov_b32_e32 v26, 0
	ds_read_b64 v[26:27], v26 offset:4680
	s_waitcnt lgkmcnt(0)
	v_mul_f64 v[11:12], v[11:12], v[26:27]
	ds_write_b64 v23, v[11:12]
.LBB131_134:
	s_or_b64 exec, exec, s[10:11]
	v_cmp_lt_u32_e64 s[10:11], 1, v24
	s_and_b64 s[66:67], s[10:11], s[0:1]
	s_waitcnt lgkmcnt(0)
	s_barrier
	s_and_saveexec_b64 s[10:11], s[66:67]
	s_cbranch_execz .LBB131_136
; %bb.135:
	ds_read_b64 v[26:27], v22 offset:4672
	ds_read_b64 v[28:29], v23
	s_waitcnt lgkmcnt(0)
	v_fma_f64 v[11:12], v[26:27], v[28:29], v[11:12]
.LBB131_136:
	s_or_b64 exec, exec, s[10:11]
	v_cmp_eq_u32_e64 s[10:11], 2, v24
	s_and_b64 s[68:69], s[10:11], s[0:1]
	s_barrier
	s_and_saveexec_b64 s[10:11], s[68:69]
	s_cbranch_execz .LBB131_138
; %bb.137:
	v_mov_b32_e32 v26, 0
	ds_read_b64 v[26:27], v26 offset:5200
	s_waitcnt lgkmcnt(0)
	v_mul_f64 v[11:12], v[11:12], v[26:27]
	ds_write_b64 v23, v[11:12]
.LBB131_138:
	s_or_b64 exec, exec, s[10:11]
	v_cmp_lt_u32_e64 s[10:11], 2, v24
	;; [unrolled: 26-line block ×5, first 2 shown]
	s_and_b64 s[84:85], s[10:11], s[0:1]
	s_waitcnt lgkmcnt(0)
	s_barrier
	s_and_saveexec_b64 s[10:11], s[84:85]
	s_cbranch_execz .LBB131_152
; %bb.151:
	ds_read_b64 v[26:27], v22 offset:6720
	ds_read_b64 v[28:29], v23
	s_waitcnt lgkmcnt(0)
	v_fma_f64 v[11:12], v[26:27], v[28:29], v[11:12]
.LBB131_152:
	s_or_b64 exec, exec, s[10:11]
	v_cmp_eq_u32_e64 s[10:11], 6, v24
	s_and_b64 s[86:87], s[10:11], s[0:1]
	s_barrier
	s_and_saveexec_b64 s[10:11], s[86:87]
	s_cbranch_execz .LBB131_154
; %bb.153:
	v_mov_b32_e32 v26, 0
	ds_read_b64 v[26:27], v26 offset:7280
	s_waitcnt lgkmcnt(0)
	v_mul_f64 v[11:12], v[11:12], v[26:27]
	ds_write_b64 v23, v[11:12]
.LBB131_154:
	s_or_b64 exec, exec, s[10:11]
	v_cmp_eq_u32_e64 s[10:11], 7, v24
	s_and_b64 s[70:71], s[10:11], s[0:1]
	s_waitcnt lgkmcnt(0)
	s_barrier
	s_and_saveexec_b64 s[0:1], s[70:71]
	s_cbranch_execz .LBB131_156
; %bb.155:
	v_mov_b32_e32 v26, 0
	ds_read_b64 v[26:27], v26 offset:7288
	ds_read_b64 v[28:29], v23
	s_waitcnt lgkmcnt(0)
	v_fma_f64 v[11:12], v[26:27], v[28:29], v[11:12]
.LBB131_156:
	s_or_b64 exec, exec, s[0:1]
	s_barrier
	s_and_saveexec_b64 s[0:1], s[70:71]
	s_cbranch_execz .LBB131_158
; %bb.157:
	v_mov_b32_e32 v26, 0
	ds_read_b64 v[26:27], v26 offset:7800
	s_waitcnt lgkmcnt(0)
	v_mul_f64 v[11:12], v[11:12], v[26:27]
	ds_write_b64 v23, v[11:12]
.LBB131_158:
	s_or_b64 exec, exec, s[0:1]
	s_waitcnt lgkmcnt(0)
	s_barrier
	s_barrier
	s_and_saveexec_b64 s[0:1], s[8:9]
; %bb.159:
	v_xor_b32_e32 v12, 0x80000000, v12
	ds_write_b64 v21, v[11:12] offset:64
; %bb.160:
	s_or_b64 exec, exec, s[0:1]
	v_cmp_gt_u32_e64 s[10:11], 8, v0
	s_and_b64 s[88:89], s[12:13], s[10:11]
	s_waitcnt lgkmcnt(0)
	s_barrier
	s_barrier
	s_and_saveexec_b64 s[0:1], s[88:89]
	s_cbranch_execz .LBB131_162
; %bb.161:
	v_lshlrev_b32_e32 v26, 9, v0
	ds_read_b64 v[11:12], v26 offset:64
	s_movk_i32 s10, 0xfe08
	v_mad_i32_i24 v27, v0, s10, v26
	s_waitcnt lgkmcnt(0)
	ds_write_b64 v27, v[11:12] offset:4096
	ds_read_b64 v[11:12], v26 offset:72
	s_waitcnt lgkmcnt(0)
	ds_write_b64 v27, v[11:12] offset:4608
	ds_read_b64 v[11:12], v26 offset:80
	;; [unrolled: 3-line block ×7, first 2 shown]
	s_waitcnt lgkmcnt(0)
	ds_write_b64 v27, v[11:12] offset:7680
.LBB131_162:
	s_or_b64 exec, exec, s[0:1]
	s_waitcnt lgkmcnt(0)
	s_barrier
	s_and_saveexec_b64 s[0:1], vcc
	s_cbranch_execz .LBB131_164
; %bb.163:
	v_mov_b32_e32 v11, 0
	ds_read_b128 v[26:29], v11 offset:4160
	ds_read_b64 v[11:12], v11 offset:4680
	s_movk_i32 s10, 0x1000
	s_waitcnt lgkmcnt(0)
	v_mul_f64 v[11:12], v[26:27], v[11:12]
	v_add_u32_e64 v26, s10, 0
	v_mul_f64 v[11:12], v[28:29], v[11:12]
	ds_write2_b64 v26, v[11:12], v[11:12] offset0:9 offset1:72
.LBB131_164:
	s_or_b64 exec, exec, s[0:1]
	v_mov_b32_e32 v11, 0
	v_mov_b32_e32 v12, 0
	s_waitcnt lgkmcnt(0)
	s_barrier
	s_and_saveexec_b64 s[0:1], s[2:3]
	s_cbranch_execz .LBB131_168
; %bb.165:
	v_mul_u32_u24_e32 v26, 0x208, v15
	ds_read_b64 v[11:12], v1 offset:4176
	ds_read_b64 v[26:27], v26 offset:4160
	v_cmp_gt_u32_e64 s[10:11], 2, v14
	s_waitcnt lgkmcnt(0)
	v_fma_f64 v[11:12], v[11:12], v[26:27], 0
	s_and_saveexec_b64 s[14:15], s[10:11]
	s_cbranch_execz .LBB131_167
; %bb.166:
	v_lshlrev_b32_e32 v26, 3, v0
	v_mov_b32_e32 v28, 0
	ds_read_b64 v[26:27], v26 offset:4688
	ds_read_b64 v[28:29], v28 offset:4168
	s_waitcnt lgkmcnt(0)
	v_fma_f64 v[11:12], v[26:27], v[28:29], v[11:12]
.LBB131_167:
	s_or_b64 exec, exec, s[14:15]
	v_xor_b32_e32 v12, 0x80000000, v12
.LBB131_168:
	s_or_b64 exec, exec, s[0:1]
	s_and_saveexec_b64 s[0:1], s[42:43]
	s_cbranch_execz .LBB131_170
; %bb.169:
	v_mov_b32_e32 v26, 0
	ds_read_b64 v[26:27], v26 offset:5200
	s_waitcnt lgkmcnt(0)
	v_mul_f64 v[11:12], v[11:12], v[26:27]
	ds_write_b64 v13, v[11:12]
.LBB131_170:
	s_or_b64 exec, exec, s[0:1]
	s_waitcnt lgkmcnt(0)
	s_barrier
	s_and_saveexec_b64 s[0:1], s[40:41]
	s_cbranch_execz .LBB131_172
; %bb.171:
	v_mov_b32_e32 v26, 0
	ds_read_b64 v[26:27], v26 offset:5208
	ds_read_b64 v[28:29], v13
	s_waitcnt lgkmcnt(0)
	v_fma_f64 v[11:12], v[26:27], v[28:29], v[11:12]
.LBB131_172:
	s_or_b64 exec, exec, s[0:1]
	s_barrier
	s_and_saveexec_b64 s[0:1], s[40:41]
	s_cbranch_execz .LBB131_174
; %bb.173:
	v_mov_b32_e32 v26, 0
	ds_read_b64 v[26:27], v26 offset:5720
	s_waitcnt lgkmcnt(0)
	v_mul_f64 v[11:12], v[11:12], v[26:27]
	ds_write_b64 v13, v[11:12]
.LBB131_174:
	s_or_b64 exec, exec, s[0:1]
	s_waitcnt lgkmcnt(0)
	s_barrier
	s_barrier
	s_and_saveexec_b64 s[0:1], s[2:3]
; %bb.175:
	v_xor_b32_e32 v12, 0x80000000, v12
	ds_write_b64 v1, v[11:12] offset:4176
; %bb.176:
	s_or_b64 exec, exec, s[0:1]
	s_waitcnt lgkmcnt(0)
	s_barrier
	s_barrier
	s_and_saveexec_b64 s[0:1], s[44:45]
	s_cbranch_execz .LBB131_178
; %bb.177:
	v_lshlrev_b32_e32 v26, 3, v0
	s_movk_i32 s10, 0x1f8
	v_mad_u32_u24 v27, v0, s10, v26
	ds_read_b64 v[11:12], v27 offset:4176
	s_waitcnt lgkmcnt(0)
	ds_write_b64 v26, v[11:12] offset:5184
	ds_read_b64 v[11:12], v27 offset:4184
	s_waitcnt lgkmcnt(0)
	ds_write_b64 v26, v[11:12] offset:5696
.LBB131_178:
	s_or_b64 exec, exec, s[0:1]
	s_waitcnt lgkmcnt(0)
	s_barrier
	s_and_saveexec_b64 s[0:1], vcc
	s_cbranch_execz .LBB131_180
; %bb.179:
	v_mov_b32_e32 v11, 0
	ds_read_b128 v[26:29], v11 offset:5200
	ds_read_b64 v[11:12], v11 offset:5720
	s_movk_i32 s10, 0x1000
	s_waitcnt lgkmcnt(0)
	v_mul_f64 v[11:12], v[26:27], v[11:12]
	v_add_u32_e64 v26, s10, 0
	v_mul_f64 v[11:12], v[28:29], v[11:12]
	ds_write2_b64 v26, v[11:12], v[11:12] offset0:139 offset1:202
.LBB131_180:
	s_or_b64 exec, exec, s[0:1]
	v_mov_b32_e32 v11, 0
	v_mov_b32_e32 v12, 0
	s_waitcnt lgkmcnt(0)
	s_barrier
	s_and_saveexec_b64 s[0:1], s[18:19]
	s_cbranch_execz .LBB131_186
; %bb.181:
	v_mul_u32_u24_e32 v26, 0x208, v20
	ds_read_b64 v[11:12], v16 offset:4192
	ds_read_b64 v[27:28], v26 offset:4160
	v_cmp_gt_u32_e64 s[10:11], 12, v14
	s_waitcnt lgkmcnt(0)
	v_fma_f64 v[11:12], v[11:12], v[27:28], 0
	s_and_saveexec_b64 s[14:15], s[10:11]
	s_cbranch_execnz .LBB131_1105
; %bb.182:
	s_or_b64 exec, exec, s[14:15]
	v_cmp_gt_u32_e64 s[10:11], 8, v14
	s_and_saveexec_b64 s[14:15], s[10:11]
	s_cbranch_execnz .LBB131_1106
.LBB131_183:
	s_or_b64 exec, exec, s[14:15]
	v_cmp_gt_u32_e64 s[10:11], 4, v14
	s_and_saveexec_b64 s[14:15], s[10:11]
	s_cbranch_execz .LBB131_185
.LBB131_184:
	v_lshlrev_b32_e32 v26, 3, v0
	v_mov_b32_e32 v28, 0
	ds_read_b64 v[26:27], v26 offset:5728
	ds_read_b64 v[28:29], v28 offset:4184
	s_waitcnt lgkmcnt(0)
	v_fma_f64 v[11:12], v[26:27], v[28:29], v[11:12]
.LBB131_185:
	s_or_b64 exec, exec, s[14:15]
	v_xor_b32_e32 v12, 0x80000000, v12
.LBB131_186:
	s_or_b64 exec, exec, s[0:1]
	s_and_saveexec_b64 s[0:1], s[48:49]
	s_cbranch_execz .LBB131_188
; %bb.187:
	v_mov_b32_e32 v26, 0
	ds_read_b64 v[26:27], v26 offset:6240
	s_waitcnt lgkmcnt(0)
	v_mul_f64 v[11:12], v[11:12], v[26:27]
	ds_write_b64 v18, v[11:12]
.LBB131_188:
	s_or_b64 exec, exec, s[0:1]
	s_waitcnt lgkmcnt(0)
	s_barrier
	s_and_saveexec_b64 s[0:1], s[50:51]
	s_cbranch_execz .LBB131_190
; %bb.189:
	ds_read_b64 v[26:27], v17 offset:6240
	ds_read_b64 v[28:29], v18
	s_waitcnt lgkmcnt(0)
	v_fma_f64 v[11:12], v[26:27], v[28:29], v[11:12]
.LBB131_190:
	s_or_b64 exec, exec, s[0:1]
	s_barrier
	s_and_saveexec_b64 s[0:1], s[52:53]
	s_cbranch_execz .LBB131_192
; %bb.191:
	v_mov_b32_e32 v26, 0
	ds_read_b64 v[26:27], v26 offset:6760
	s_waitcnt lgkmcnt(0)
	v_mul_f64 v[11:12], v[11:12], v[26:27]
	ds_write_b64 v18, v[11:12]
.LBB131_192:
	s_or_b64 exec, exec, s[0:1]
	s_waitcnt lgkmcnt(0)
	s_barrier
	s_and_saveexec_b64 s[0:1], s[54:55]
	s_cbranch_execz .LBB131_194
; %bb.193:
	ds_read_b64 v[26:27], v17 offset:6752
	ds_read_b64 v[28:29], v18
	s_waitcnt lgkmcnt(0)
	v_fma_f64 v[11:12], v[26:27], v[28:29], v[11:12]
.LBB131_194:
	s_or_b64 exec, exec, s[0:1]
	s_barrier
	s_and_saveexec_b64 s[0:1], s[56:57]
	s_cbranch_execz .LBB131_196
; %bb.195:
	v_mov_b32_e32 v26, 0
	ds_read_b64 v[26:27], v26 offset:7280
	s_waitcnt lgkmcnt(0)
	v_mul_f64 v[11:12], v[11:12], v[26:27]
	ds_write_b64 v18, v[11:12]
.LBB131_196:
	s_or_b64 exec, exec, s[0:1]
	s_waitcnt lgkmcnt(0)
	s_barrier
	s_and_saveexec_b64 s[0:1], s[46:47]
	s_cbranch_execz .LBB131_198
; %bb.197:
	v_mov_b32_e32 v26, 0
	ds_read_b64 v[26:27], v26 offset:7288
	ds_read_b64 v[28:29], v18
	s_waitcnt lgkmcnt(0)
	v_fma_f64 v[11:12], v[26:27], v[28:29], v[11:12]
.LBB131_198:
	s_or_b64 exec, exec, s[0:1]
	s_barrier
	s_and_saveexec_b64 s[0:1], s[46:47]
	s_cbranch_execz .LBB131_200
; %bb.199:
	v_mov_b32_e32 v26, 0
	ds_read_b64 v[26:27], v26 offset:7800
	s_waitcnt lgkmcnt(0)
	v_mul_f64 v[11:12], v[11:12], v[26:27]
	ds_write_b64 v18, v[11:12]
.LBB131_200:
	s_or_b64 exec, exec, s[0:1]
	s_waitcnt lgkmcnt(0)
	s_barrier
	s_barrier
	s_and_saveexec_b64 s[0:1], s[18:19]
; %bb.201:
	v_xor_b32_e32 v12, 0x80000000, v12
	ds_write_b64 v16, v[11:12] offset:4192
; %bb.202:
	s_or_b64 exec, exec, s[0:1]
	s_waitcnt lgkmcnt(0)
	s_barrier
	s_barrier
	s_and_saveexec_b64 s[0:1], s[58:59]
	s_cbranch_execz .LBB131_204
; %bb.203:
	v_lshlrev_b32_e32 v26, 9, v0
	ds_read_b64 v[11:12], v26 offset:4192
	s_movk_i32 s10, 0xfe08
	v_mad_i32_i24 v27, v0, s10, v26
	s_waitcnt lgkmcnt(0)
	ds_write_b64 v27, v[11:12] offset:6208
	ds_read_b64 v[11:12], v26 offset:4200
	s_waitcnt lgkmcnt(0)
	ds_write_b64 v27, v[11:12] offset:6720
	ds_read_b64 v[11:12], v26 offset:4208
	;; [unrolled: 3-line block ×3, first 2 shown]
	s_waitcnt lgkmcnt(0)
	ds_write_b64 v27, v[11:12] offset:7744
.LBB131_204:
	s_or_b64 exec, exec, s[0:1]
	s_waitcnt lgkmcnt(0)
	s_barrier
	s_and_saveexec_b64 s[0:1], vcc
	s_cbranch_execz .LBB131_206
; %bb.205:
	v_mov_b32_e32 v11, 0
	ds_read_b128 v[26:29], v11 offset:6240
	ds_read_b64 v[11:12], v11 offset:6760
	s_movk_i32 s10, 0x1800
	s_waitcnt lgkmcnt(0)
	v_mul_f64 v[11:12], v[26:27], v[11:12]
	v_add_u32_e64 v26, s10, 0
	v_mul_f64 v[11:12], v[28:29], v[11:12]
	ds_write2_b64 v26, v[11:12], v[11:12] offset0:13 offset1:76
.LBB131_206:
	s_or_b64 exec, exec, s[0:1]
	v_mov_b32_e32 v11, 0
	v_mov_b32_e32 v12, 0
	s_waitcnt lgkmcnt(0)
	s_barrier
	s_and_saveexec_b64 s[0:1], s[2:3]
	s_cbranch_execz .LBB131_210
; %bb.207:
	v_mul_u32_u24_e32 v26, 0x208, v15
	ds_read_b64 v[11:12], v1 offset:6256
	ds_read_b64 v[26:27], v26 offset:6240
	v_cmp_gt_u32_e64 s[10:11], 2, v14
	s_waitcnt lgkmcnt(0)
	v_fma_f64 v[11:12], v[11:12], v[26:27], 0
	s_and_saveexec_b64 s[14:15], s[10:11]
	s_cbranch_execz .LBB131_209
; %bb.208:
	v_lshlrev_b32_e32 v26, 3, v0
	v_mov_b32_e32 v28, 0
	ds_read_b64 v[26:27], v26 offset:6768
	ds_read_b64 v[28:29], v28 offset:6248
	s_waitcnt lgkmcnt(0)
	v_fma_f64 v[11:12], v[26:27], v[28:29], v[11:12]
.LBB131_209:
	s_or_b64 exec, exec, s[14:15]
	v_xor_b32_e32 v12, 0x80000000, v12
.LBB131_210:
	s_or_b64 exec, exec, s[0:1]
	s_and_saveexec_b64 s[0:1], s[42:43]
	s_cbranch_execz .LBB131_212
; %bb.211:
	v_mov_b32_e32 v26, 0
	ds_read_b64 v[26:27], v26 offset:7280
	s_waitcnt lgkmcnt(0)
	v_mul_f64 v[11:12], v[11:12], v[26:27]
	ds_write_b64 v13, v[11:12]
.LBB131_212:
	s_or_b64 exec, exec, s[0:1]
	s_waitcnt lgkmcnt(0)
	s_barrier
	s_and_saveexec_b64 s[0:1], s[40:41]
	s_cbranch_execz .LBB131_214
; %bb.213:
	v_mov_b32_e32 v26, 0
	ds_read_b64 v[26:27], v26 offset:7288
	ds_read_b64 v[28:29], v13
	s_waitcnt lgkmcnt(0)
	v_fma_f64 v[11:12], v[26:27], v[28:29], v[11:12]
.LBB131_214:
	s_or_b64 exec, exec, s[0:1]
	s_barrier
	s_and_saveexec_b64 s[0:1], s[40:41]
	s_cbranch_execz .LBB131_216
; %bb.215:
	v_mov_b32_e32 v26, 0
	ds_read_b64 v[26:27], v26 offset:7800
	s_waitcnt lgkmcnt(0)
	v_mul_f64 v[11:12], v[11:12], v[26:27]
	ds_write_b64 v13, v[11:12]
.LBB131_216:
	s_or_b64 exec, exec, s[0:1]
	s_waitcnt lgkmcnt(0)
	s_barrier
	s_barrier
	s_and_saveexec_b64 s[0:1], s[2:3]
; %bb.217:
	v_xor_b32_e32 v12, 0x80000000, v12
	ds_write_b64 v1, v[11:12] offset:6256
; %bb.218:
	s_or_b64 exec, exec, s[0:1]
	s_waitcnt lgkmcnt(0)
	s_barrier
	s_barrier
	s_and_saveexec_b64 s[0:1], s[44:45]
	s_cbranch_execz .LBB131_220
; %bb.219:
	v_lshlrev_b32_e32 v26, 3, v0
	s_movk_i32 s10, 0x1f8
	v_mad_u32_u24 v27, v0, s10, v26
	ds_read_b64 v[11:12], v27 offset:6256
	s_waitcnt lgkmcnt(0)
	ds_write_b64 v26, v[11:12] offset:7264
	ds_read_b64 v[11:12], v27 offset:6264
	s_waitcnt lgkmcnt(0)
	ds_write_b64 v26, v[11:12] offset:7776
.LBB131_220:
	s_or_b64 exec, exec, s[0:1]
	s_waitcnt lgkmcnt(0)
	s_barrier
	s_and_saveexec_b64 s[0:1], vcc
	s_cbranch_execz .LBB131_222
; %bb.221:
	v_mov_b32_e32 v11, 0
	ds_read_b128 v[26:29], v11 offset:7280
	ds_read_b64 v[11:12], v11 offset:7800
	s_movk_i32 s10, 0x1800
	s_waitcnt lgkmcnt(0)
	v_mul_f64 v[11:12], v[26:27], v[11:12]
	v_add_u32_e64 v26, s10, 0
	v_mul_f64 v[11:12], v[28:29], v[11:12]
	ds_write2_b64 v26, v[11:12], v[11:12] offset0:143 offset1:206
.LBB131_222:
	s_or_b64 exec, exec, s[0:1]
	v_lshrrev_b32_e32 v30, 4, v14
	v_and_b32_e32 v27, 15, v0
	s_movk_i32 s0, 0xff
	v_lshlrev_b32_e32 v29, 6, v30
	v_cmp_lt_u32_e64 s[14:15], s0, v14
	s_movk_i32 s0, 0x100
	v_or_b32_e32 v26, v29, v27
	v_mov_b32_e32 v11, 0
	v_cmp_gt_u32_e64 s[10:11], s0, v14
	v_mov_b32_e32 v12, 0
	v_lshlrev_b32_e32 v26, 3, v26
	s_waitcnt lgkmcnt(0)
	s_barrier
	s_and_saveexec_b64 s[0:1], s[10:11]
	s_cbranch_execz .LBB131_250
; %bb.223:
	v_mul_u32_u24_e32 v28, 0x208, v30
	ds_read_b64 v[11:12], v26 offset:128
	ds_read_b64 v[31:32], v28
	s_movk_i32 s16, 0xf0
	v_cmp_gt_u32_e64 s[16:17], s16, v14
	s_waitcnt lgkmcnt(0)
	v_fma_f64 v[11:12], v[11:12], v[31:32], 0
	s_and_saveexec_b64 s[20:21], s[16:17]
	s_cbranch_execz .LBB131_225
; %bb.224:
	v_lshlrev_b32_e32 v31, 3, v30
	v_sub_u32_e32 v31, v28, v31
	v_lshl_add_u32 v31, v27, 3, v31
	ds_read_b64 v[31:32], v31 offset:640
	ds_read_b64 v[33:34], v28 offset:8
	s_waitcnt lgkmcnt(0)
	v_fma_f64 v[11:12], v[31:32], v[33:34], v[11:12]
.LBB131_225:
	s_or_b64 exec, exec, s[20:21]
	s_movk_i32 s16, 0xe0
	v_cmp_gt_u32_e64 s[16:17], s16, v14
	s_and_saveexec_b64 s[20:21], s[16:17]
	s_cbranch_execz .LBB131_227
; %bb.226:
	v_lshlrev_b32_e32 v31, 3, v30
	v_sub_u32_e32 v31, v28, v31
	v_lshl_add_u32 v31, v27, 3, v31
	ds_read_b64 v[31:32], v31 offset:1152
	ds_read_b64 v[33:34], v28 offset:16
	s_waitcnt lgkmcnt(0)
	v_fma_f64 v[11:12], v[31:32], v[33:34], v[11:12]
.LBB131_227:
	s_or_b64 exec, exec, s[20:21]
	s_movk_i32 s16, 0xd0
	v_cmp_gt_u32_e64 s[16:17], s16, v14
	;; [unrolled: 14-line block ×7, first 2 shown]
	s_and_saveexec_b64 s[20:21], s[16:17]
	s_cbranch_execz .LBB131_239
; %bb.238:
	ds_read_b64 v[31:32], v26 offset:4224
	ds_read_b64 v[33:34], v28 offset:64
	s_waitcnt lgkmcnt(0)
	v_fma_f64 v[11:12], v[31:32], v[33:34], v[11:12]
.LBB131_239:
	s_or_b64 exec, exec, s[20:21]
	s_movk_i32 s16, 0x70
	v_cmp_gt_u32_e64 s[16:17], s16, v14
	s_and_saveexec_b64 s[20:21], s[16:17]
	s_cbranch_execz .LBB131_241
; %bb.240:
	v_lshlrev_b32_e32 v31, 3, v30
	v_sub_u32_e32 v31, v28, v31
	v_lshl_add_u32 v31, v27, 3, v31
	ds_read_b64 v[31:32], v31 offset:4736
	ds_read_b64 v[33:34], v28 offset:72
	s_waitcnt lgkmcnt(0)
	v_fma_f64 v[11:12], v[31:32], v[33:34], v[11:12]
.LBB131_241:
	s_or_b64 exec, exec, s[20:21]
	s_movk_i32 s16, 0x60
	v_cmp_gt_u32_e64 s[16:17], s16, v14
	s_and_saveexec_b64 s[20:21], s[16:17]
	s_cbranch_execz .LBB131_243
; %bb.242:
	v_lshlrev_b32_e32 v31, 3, v27
	v_lshl_add_u32 v31, v29, 3, v31
	ds_read_b64 v[31:32], v31 offset:5248
	ds_read_b64 v[33:34], v28 offset:80
	s_waitcnt lgkmcnt(0)
	v_fma_f64 v[11:12], v[31:32], v[33:34], v[11:12]
.LBB131_243:
	s_or_b64 exec, exec, s[20:21]
	s_movk_i32 s16, 0x50
	v_cmp_gt_u32_e64 s[16:17], s16, v14
	s_and_saveexec_b64 s[20:21], s[16:17]
	s_cbranch_execnz .LBB131_1107
; %bb.244:
	s_or_b64 exec, exec, s[20:21]
	v_cmp_gt_u32_e64 s[16:17], 64, v14
	s_and_saveexec_b64 s[20:21], s[16:17]
	s_cbranch_execnz .LBB131_1108
.LBB131_245:
	s_or_b64 exec, exec, s[20:21]
	v_cmp_gt_u32_e64 s[16:17], 48, v14
	s_and_saveexec_b64 s[20:21], s[16:17]
	s_cbranch_execnz .LBB131_1109
.LBB131_246:
	s_or_b64 exec, exec, s[20:21]
	v_cmp_gt_u32_e64 s[16:17], 32, v14
	s_and_saveexec_b64 s[20:21], s[16:17]
	s_cbranch_execnz .LBB131_1110
.LBB131_247:
	s_or_b64 exec, exec, s[20:21]
	v_cmp_gt_u32_e64 s[16:17], 16, v14
	s_and_saveexec_b64 s[20:21], s[16:17]
	s_cbranch_execz .LBB131_249
.LBB131_248:
	v_lshlrev_b32_e32 v28, 3, v0
	v_mov_b32_e32 v33, 0
	ds_read_b64 v[31:32], v28 offset:7808
	ds_read_b64 v[33:34], v33 offset:120
	s_waitcnt lgkmcnt(0)
	v_fma_f64 v[11:12], v[31:32], v[33:34], v[11:12]
.LBB131_249:
	s_or_b64 exec, exec, s[20:21]
	v_xor_b32_e32 v12, 0x80000000, v12
.LBB131_250:
	s_or_b64 exec, exec, s[0:1]
	v_mov_b32_e32 v28, 0x8000
	v_lshl_add_u32 v28, v30, 3, v28
	v_cmp_eq_u32_e64 s[16:17], 0, v27
	s_xor_b64 s[20:21], s[14:15], -1
	s_and_b64 s[14:15], s[16:17], s[20:21]
	s_mov_b64 s[0:1], exec
	v_writelane_b32 v42, s14, 7
	v_writelane_b32 v42, s15, 8
	s_and_b64 s[14:15], s[0:1], s[14:15]
	s_mov_b64 exec, s[14:15]
	s_cbranch_execz .LBB131_252
; %bb.251:
	v_mov_b32_e32 v31, 0
	ds_read_b64 v[31:32], v31 offset:8320
	s_waitcnt lgkmcnt(0)
	v_mul_f64 v[11:12], v[11:12], v[31:32]
	ds_write_b64 v28, v[11:12]
.LBB131_252:
	s_or_b64 exec, exec, s[0:1]
	v_cmp_ne_u32_e64 s[14:15], 0, v27
	s_waitcnt lgkmcnt(0)
	s_barrier
	s_and_b64 s[14:15], s[14:15], s[20:21]
	s_mov_b64 s[0:1], exec
	v_writelane_b32 v42, s14, 9
	v_writelane_b32 v42, s15, 10
	s_and_b64 s[14:15], s[0:1], s[14:15]
	s_mov_b64 exec, s[14:15]
	s_cbranch_execz .LBB131_254
; %bb.253:
	v_lshlrev_b32_e32 v31, 3, v27
	ds_read_b64 v[31:32], v31 offset:8320
	ds_read_b64 v[33:34], v28
	s_waitcnt lgkmcnt(0)
	v_fma_f64 v[11:12], v[31:32], v[33:34], v[11:12]
.LBB131_254:
	s_or_b64 exec, exec, s[0:1]
	v_cmp_eq_u32_e64 s[14:15], 1, v27
	s_barrier
	s_and_b64 s[14:15], s[14:15], s[20:21]
	s_mov_b64 s[0:1], exec
	v_writelane_b32 v42, s14, 11
	v_writelane_b32 v42, s15, 12
	s_and_b64 s[14:15], s[0:1], s[14:15]
	s_mov_b64 exec, s[14:15]
	s_cbranch_execz .LBB131_256
; %bb.255:
	v_mov_b32_e32 v31, 0
	ds_read_b64 v[31:32], v31 offset:8840
	s_waitcnt lgkmcnt(0)
	v_mul_f64 v[11:12], v[11:12], v[31:32]
	ds_write_b64 v28, v[11:12]
.LBB131_256:
	s_or_b64 exec, exec, s[0:1]
	v_cmp_lt_u32_e64 s[14:15], 1, v27
	s_waitcnt lgkmcnt(0)
	s_barrier
	s_and_b64 s[14:15], s[14:15], s[20:21]
	s_mov_b64 s[0:1], exec
	v_writelane_b32 v42, s14, 13
	v_writelane_b32 v42, s15, 14
	s_and_b64 s[14:15], s[0:1], s[14:15]
	s_mov_b64 exec, s[14:15]
	s_cbranch_execz .LBB131_258
; %bb.257:
	v_lshlrev_b32_e32 v31, 3, v27
	ds_read_b64 v[31:32], v31 offset:8832
	ds_read_b64 v[33:34], v28
	s_waitcnt lgkmcnt(0)
	v_fma_f64 v[11:12], v[31:32], v[33:34], v[11:12]
.LBB131_258:
	s_or_b64 exec, exec, s[0:1]
	v_cmp_eq_u32_e64 s[14:15], 2, v27
	s_barrier
	s_and_b64 s[14:15], s[14:15], s[20:21]
	s_mov_b64 s[0:1], exec
	v_writelane_b32 v42, s14, 15
	v_writelane_b32 v42, s15, 16
	s_and_b64 s[14:15], s[0:1], s[14:15]
	s_mov_b64 exec, s[14:15]
	s_cbranch_execz .LBB131_260
; %bb.259:
	v_mov_b32_e32 v31, 0
	ds_read_b64 v[31:32], v31 offset:9360
	s_waitcnt lgkmcnt(0)
	v_mul_f64 v[11:12], v[11:12], v[31:32]
	ds_write_b64 v28, v[11:12]
.LBB131_260:
	s_or_b64 exec, exec, s[0:1]
	v_cmp_lt_u32_e64 s[14:15], 2, v27
	;; [unrolled: 35-line block ×13, first 2 shown]
	s_waitcnt lgkmcnt(0)
	s_barrier
	s_and_b64 s[14:15], s[14:15], s[20:21]
	s_mov_b64 s[0:1], exec
	v_writelane_b32 v42, s14, 61
	v_writelane_b32 v42, s15, 62
	s_and_b64 s[14:15], s[0:1], s[14:15]
	s_mov_b64 exec, s[14:15]
	s_cbranch_execz .LBB131_306
; %bb.305:
	v_lshlrev_b32_e32 v31, 3, v27
	ds_read_b64 v[31:32], v31 offset:14976
	ds_read_b64 v[33:34], v28
	s_waitcnt lgkmcnt(0)
	v_fma_f64 v[11:12], v[31:32], v[33:34], v[11:12]
.LBB131_306:
	s_or_b64 exec, exec, s[0:1]
	v_cmp_eq_u32_e64 s[14:15], 14, v27
	s_barrier
	s_and_b64 s[14:15], s[14:15], s[20:21]
	s_mov_b64 s[0:1], exec
                                        ; implicit-def: $vgpr41 : SGPR spill to VGPR lane
	v_writelane_b32 v42, s14, 63
	v_writelane_b32 v41, s15, 0
	s_and_b64 s[14:15], s[0:1], s[14:15]
	s_mov_b64 exec, s[14:15]
	s_cbranch_execz .LBB131_308
; %bb.307:
	v_mov_b32_e32 v31, 0
	ds_read_b64 v[31:32], v31 offset:15600
	s_waitcnt lgkmcnt(0)
	v_mul_f64 v[11:12], v[11:12], v[31:32]
	ds_write_b64 v28, v[11:12]
.LBB131_308:
	s_or_b64 exec, exec, s[0:1]
	v_cmp_eq_u32_e64 s[14:15], 15, v27
	s_and_b64 s[36:37], s[14:15], s[20:21]
	s_waitcnt lgkmcnt(0)
	s_barrier
	s_and_saveexec_b64 s[0:1], s[36:37]
	s_cbranch_execz .LBB131_310
; %bb.309:
	v_mov_b32_e32 v31, 0
	ds_read_b64 v[31:32], v31 offset:15608
	ds_read_b64 v[33:34], v28
	s_waitcnt lgkmcnt(0)
	v_fma_f64 v[11:12], v[31:32], v[33:34], v[11:12]
.LBB131_310:
	s_or_b64 exec, exec, s[0:1]
	s_barrier
	s_and_saveexec_b64 s[0:1], s[36:37]
	s_cbranch_execz .LBB131_312
; %bb.311:
	v_mov_b32_e32 v31, 0
	ds_read_b64 v[31:32], v31 offset:16120
	s_waitcnt lgkmcnt(0)
	v_mul_f64 v[11:12], v[11:12], v[31:32]
	ds_write_b64 v28, v[11:12]
.LBB131_312:
	s_or_b64 exec, exec, s[0:1]
	s_waitcnt lgkmcnt(0)
	s_barrier
	s_barrier
	s_and_saveexec_b64 s[0:1], s[10:11]
; %bb.313:
	v_xor_b32_e32 v12, 0x80000000, v12
	ds_write_b64 v26, v[11:12] offset:128
; %bb.314:
	s_or_b64 exec, exec, s[0:1]
	v_cmp_gt_u32_e64 s[14:15], 16, v0
	s_and_b64 s[92:93], s[12:13], s[14:15]
	s_waitcnt lgkmcnt(0)
	s_barrier
	s_barrier
	s_and_saveexec_b64 s[14:15], s[92:93]
	s_cbranch_execz .LBB131_316
; %bb.315:
	v_lshlrev_b32_e32 v31, 9, v0
	ds_read_b64 v[11:12], v31 offset:128
	s_movk_i32 s0, 0xfe08
	v_mad_i32_i24 v32, v0, s0, v31
	s_waitcnt lgkmcnt(0)
	ds_write_b64 v32, v[11:12] offset:8192
	ds_read_b64 v[11:12], v31 offset:136
	s_waitcnt lgkmcnt(0)
	ds_write_b64 v32, v[11:12] offset:8704
	ds_read_b64 v[11:12], v31 offset:144
	;; [unrolled: 3-line block ×15, first 2 shown]
	s_waitcnt lgkmcnt(0)
	ds_write_b64 v32, v[11:12] offset:15872
.LBB131_316:
	s_or_b64 exec, exec, s[14:15]
	s_waitcnt lgkmcnt(0)
	s_barrier
	s_and_saveexec_b64 s[14:15], vcc
	s_cbranch_execz .LBB131_318
; %bb.317:
	v_mov_b32_e32 v11, 0
	ds_read_b128 v[31:34], v11 offset:8320
	ds_read_b64 v[11:12], v11 offset:8840
	s_movk_i32 s0, 0x2000
	s_waitcnt lgkmcnt(0)
	v_mul_f64 v[11:12], v[31:32], v[11:12]
	v_add_u32_e64 v31, s0, 0
	v_mul_f64 v[11:12], v[33:34], v[11:12]
	ds_write2_b64 v31, v[11:12], v[11:12] offset0:17 offset1:80
.LBB131_318:
	s_or_b64 exec, exec, s[14:15]
	v_mov_b32_e32 v11, 0
	v_mov_b32_e32 v12, 0
	s_waitcnt lgkmcnt(0)
	s_barrier
	s_and_saveexec_b64 s[16:17], s[2:3]
	s_cbranch_execz .LBB131_322
; %bb.319:
	v_mul_u32_u24_e32 v31, 0x208, v15
	ds_read_b64 v[11:12], v1 offset:8336
	ds_read_b64 v[31:32], v31 offset:8320
	v_cmp_gt_u32_e64 s[14:15], 2, v14
	s_waitcnt lgkmcnt(0)
	v_fma_f64 v[11:12], v[11:12], v[31:32], 0
	s_and_saveexec_b64 s[20:21], s[14:15]
	s_cbranch_execz .LBB131_321
; %bb.320:
	v_lshlrev_b32_e32 v31, 3, v0
	v_mov_b32_e32 v33, 0
	ds_read_b64 v[31:32], v31 offset:8848
	ds_read_b64 v[33:34], v33 offset:8328
	s_waitcnt lgkmcnt(0)
	v_fma_f64 v[11:12], v[31:32], v[33:34], v[11:12]
.LBB131_321:
	s_or_b64 exec, exec, s[20:21]
	v_xor_b32_e32 v12, 0x80000000, v12
.LBB131_322:
	s_or_b64 exec, exec, s[16:17]
	s_and_saveexec_b64 s[0:1], s[42:43]
	s_cbranch_execz .LBB131_324
; %bb.323:
	v_mov_b32_e32 v31, 0
	ds_read_b64 v[31:32], v31 offset:9360
	s_waitcnt lgkmcnt(0)
	v_mul_f64 v[11:12], v[11:12], v[31:32]
	ds_write_b64 v13, v[11:12]
.LBB131_324:
	s_or_b64 exec, exec, s[0:1]
	s_waitcnt lgkmcnt(0)
	s_barrier
	s_and_saveexec_b64 s[0:1], s[40:41]
	s_cbranch_execz .LBB131_326
; %bb.325:
	v_mov_b32_e32 v31, 0
	ds_read_b64 v[31:32], v31 offset:9368
	ds_read_b64 v[33:34], v13
	s_waitcnt lgkmcnt(0)
	v_fma_f64 v[11:12], v[31:32], v[33:34], v[11:12]
.LBB131_326:
	s_or_b64 exec, exec, s[0:1]
	s_barrier
	s_and_saveexec_b64 s[0:1], s[40:41]
	s_cbranch_execz .LBB131_328
; %bb.327:
	v_mov_b32_e32 v31, 0
	ds_read_b64 v[31:32], v31 offset:9880
	s_waitcnt lgkmcnt(0)
	v_mul_f64 v[11:12], v[11:12], v[31:32]
	ds_write_b64 v13, v[11:12]
.LBB131_328:
	s_or_b64 exec, exec, s[0:1]
	s_waitcnt lgkmcnt(0)
	s_barrier
	s_barrier
	s_and_saveexec_b64 s[0:1], s[2:3]
; %bb.329:
	v_xor_b32_e32 v12, 0x80000000, v12
	ds_write_b64 v1, v[11:12] offset:8336
; %bb.330:
	s_or_b64 exec, exec, s[0:1]
	s_waitcnt lgkmcnt(0)
	s_barrier
	s_barrier
	s_and_saveexec_b64 s[14:15], s[44:45]
	s_cbranch_execz .LBB131_332
; %bb.331:
	v_lshlrev_b32_e32 v31, 3, v0
	s_movk_i32 s0, 0x1f8
	v_mad_u32_u24 v32, v0, s0, v31
	ds_read_b64 v[11:12], v32 offset:8336
	s_waitcnt lgkmcnt(0)
	ds_write_b64 v31, v[11:12] offset:9344
	ds_read_b64 v[11:12], v32 offset:8344
	s_waitcnt lgkmcnt(0)
	ds_write_b64 v31, v[11:12] offset:9856
.LBB131_332:
	s_or_b64 exec, exec, s[14:15]
	s_waitcnt lgkmcnt(0)
	s_barrier
	s_and_saveexec_b64 s[14:15], vcc
	s_cbranch_execz .LBB131_334
; %bb.333:
	v_mov_b32_e32 v11, 0
	ds_read_b128 v[31:34], v11 offset:9360
	ds_read_b64 v[11:12], v11 offset:9880
	s_movk_i32 s0, 0x2000
	s_waitcnt lgkmcnt(0)
	v_mul_f64 v[11:12], v[31:32], v[11:12]
	v_add_u32_e64 v31, s0, 0
	v_mul_f64 v[11:12], v[33:34], v[11:12]
	ds_write2_b64 v31, v[11:12], v[11:12] offset0:147 offset1:210
.LBB131_334:
	s_or_b64 exec, exec, s[14:15]
	v_mov_b32_e32 v11, 0
	v_mov_b32_e32 v12, 0
	s_waitcnt lgkmcnt(0)
	s_barrier
	s_and_saveexec_b64 s[16:17], s[18:19]
	s_cbranch_execz .LBB131_340
; %bb.335:
	v_mul_u32_u24_e32 v31, 0x208, v20
	ds_read_b64 v[11:12], v16 offset:8352
	ds_read_b64 v[32:33], v31 offset:8320
	v_cmp_gt_u32_e64 s[14:15], 12, v14
	s_waitcnt lgkmcnt(0)
	v_fma_f64 v[11:12], v[11:12], v[32:33], 0
	s_and_saveexec_b64 s[20:21], s[14:15]
	s_cbranch_execnz .LBB131_1111
; %bb.336:
	s_or_b64 exec, exec, s[20:21]
	v_cmp_gt_u32_e64 s[14:15], 8, v14
	s_and_saveexec_b64 s[0:1], s[14:15]
	s_cbranch_execnz .LBB131_1112
.LBB131_337:
	s_or_b64 exec, exec, s[0:1]
	v_cmp_gt_u32_e64 s[14:15], 4, v14
	s_and_saveexec_b64 s[20:21], s[14:15]
	s_cbranch_execz .LBB131_339
.LBB131_338:
	v_lshlrev_b32_e32 v31, 3, v0
	v_mov_b32_e32 v33, 0
	ds_read_b64 v[31:32], v31 offset:9888
	ds_read_b64 v[33:34], v33 offset:8344
	s_waitcnt lgkmcnt(0)
	v_fma_f64 v[11:12], v[31:32], v[33:34], v[11:12]
.LBB131_339:
	s_or_b64 exec, exec, s[20:21]
	v_xor_b32_e32 v12, 0x80000000, v12
.LBB131_340:
	s_or_b64 exec, exec, s[16:17]
	s_and_saveexec_b64 s[0:1], s[48:49]
	s_cbranch_execz .LBB131_342
; %bb.341:
	v_mov_b32_e32 v31, 0
	ds_read_b64 v[31:32], v31 offset:10400
	s_waitcnt lgkmcnt(0)
	v_mul_f64 v[11:12], v[11:12], v[31:32]
	ds_write_b64 v18, v[11:12]
.LBB131_342:
	s_or_b64 exec, exec, s[0:1]
	s_waitcnt lgkmcnt(0)
	s_barrier
	s_and_saveexec_b64 s[0:1], s[50:51]
	s_cbranch_execz .LBB131_344
; %bb.343:
	ds_read_b64 v[31:32], v17 offset:10400
	ds_read_b64 v[33:34], v18
	s_waitcnt lgkmcnt(0)
	v_fma_f64 v[11:12], v[31:32], v[33:34], v[11:12]
.LBB131_344:
	s_or_b64 exec, exec, s[0:1]
	s_barrier
	s_and_saveexec_b64 s[0:1], s[52:53]
	s_cbranch_execz .LBB131_346
; %bb.345:
	v_mov_b32_e32 v31, 0
	ds_read_b64 v[31:32], v31 offset:10920
	s_waitcnt lgkmcnt(0)
	v_mul_f64 v[11:12], v[11:12], v[31:32]
	ds_write_b64 v18, v[11:12]
.LBB131_346:
	s_or_b64 exec, exec, s[0:1]
	s_waitcnt lgkmcnt(0)
	s_barrier
	s_and_saveexec_b64 s[0:1], s[54:55]
	s_cbranch_execz .LBB131_348
; %bb.347:
	ds_read_b64 v[31:32], v17 offset:10912
	ds_read_b64 v[33:34], v18
	s_waitcnt lgkmcnt(0)
	v_fma_f64 v[11:12], v[31:32], v[33:34], v[11:12]
.LBB131_348:
	s_or_b64 exec, exec, s[0:1]
	s_barrier
	s_and_saveexec_b64 s[0:1], s[56:57]
	s_cbranch_execz .LBB131_350
; %bb.349:
	v_mov_b32_e32 v31, 0
	ds_read_b64 v[31:32], v31 offset:11440
	s_waitcnt lgkmcnt(0)
	v_mul_f64 v[11:12], v[11:12], v[31:32]
	ds_write_b64 v18, v[11:12]
.LBB131_350:
	s_or_b64 exec, exec, s[0:1]
	s_waitcnt lgkmcnt(0)
	s_barrier
	s_and_saveexec_b64 s[0:1], s[46:47]
	s_cbranch_execz .LBB131_352
; %bb.351:
	v_mov_b32_e32 v31, 0
	ds_read_b64 v[31:32], v31 offset:11448
	ds_read_b64 v[33:34], v18
	s_waitcnt lgkmcnt(0)
	v_fma_f64 v[11:12], v[31:32], v[33:34], v[11:12]
.LBB131_352:
	s_or_b64 exec, exec, s[0:1]
	s_barrier
	s_and_saveexec_b64 s[0:1], s[46:47]
	s_cbranch_execz .LBB131_354
; %bb.353:
	v_mov_b32_e32 v31, 0
	ds_read_b64 v[31:32], v31 offset:11960
	s_waitcnt lgkmcnt(0)
	v_mul_f64 v[11:12], v[11:12], v[31:32]
	ds_write_b64 v18, v[11:12]
.LBB131_354:
	s_or_b64 exec, exec, s[0:1]
	s_waitcnt lgkmcnt(0)
	s_barrier
	s_barrier
	s_and_saveexec_b64 s[0:1], s[18:19]
; %bb.355:
	v_xor_b32_e32 v12, 0x80000000, v12
	ds_write_b64 v16, v[11:12] offset:8352
; %bb.356:
	s_or_b64 exec, exec, s[0:1]
	s_waitcnt lgkmcnt(0)
	s_barrier
	s_barrier
	s_and_saveexec_b64 s[14:15], s[58:59]
	s_cbranch_execz .LBB131_358
; %bb.357:
	v_lshlrev_b32_e32 v31, 9, v0
	ds_read_b64 v[11:12], v31 offset:8352
	s_movk_i32 s0, 0xfe08
	v_mad_i32_i24 v32, v0, s0, v31
	s_waitcnt lgkmcnt(0)
	ds_write_b64 v32, v[11:12] offset:10368
	ds_read_b64 v[11:12], v31 offset:8360
	s_waitcnt lgkmcnt(0)
	ds_write_b64 v32, v[11:12] offset:10880
	ds_read_b64 v[11:12], v31 offset:8368
	;; [unrolled: 3-line block ×3, first 2 shown]
	s_waitcnt lgkmcnt(0)
	ds_write_b64 v32, v[11:12] offset:11904
.LBB131_358:
	s_or_b64 exec, exec, s[14:15]
	s_waitcnt lgkmcnt(0)
	s_barrier
	s_and_saveexec_b64 s[14:15], vcc
	s_cbranch_execz .LBB131_360
; %bb.359:
	v_mov_b32_e32 v11, 0
	ds_read_b128 v[31:34], v11 offset:10400
	ds_read_b64 v[11:12], v11 offset:10920
	s_movk_i32 s0, 0x2800
	s_waitcnt lgkmcnt(0)
	v_mul_f64 v[11:12], v[31:32], v[11:12]
	v_add_u32_e64 v31, s0, 0
	v_mul_f64 v[11:12], v[33:34], v[11:12]
	ds_write2_b64 v31, v[11:12], v[11:12] offset0:21 offset1:84
.LBB131_360:
	s_or_b64 exec, exec, s[14:15]
	v_mov_b32_e32 v11, 0
	v_mov_b32_e32 v12, 0
	s_waitcnt lgkmcnt(0)
	s_barrier
	s_and_saveexec_b64 s[16:17], s[2:3]
	s_cbranch_execz .LBB131_364
; %bb.361:
	v_mul_u32_u24_e32 v31, 0x208, v15
	ds_read_b64 v[11:12], v1 offset:10416
	ds_read_b64 v[31:32], v31 offset:10400
	v_cmp_gt_u32_e64 s[14:15], 2, v14
	s_waitcnt lgkmcnt(0)
	v_fma_f64 v[11:12], v[11:12], v[31:32], 0
	s_and_saveexec_b64 s[20:21], s[14:15]
	s_cbranch_execz .LBB131_363
; %bb.362:
	v_lshlrev_b32_e32 v31, 3, v0
	v_mov_b32_e32 v33, 0
	ds_read_b64 v[31:32], v31 offset:10928
	ds_read_b64 v[33:34], v33 offset:10408
	s_waitcnt lgkmcnt(0)
	v_fma_f64 v[11:12], v[31:32], v[33:34], v[11:12]
.LBB131_363:
	s_or_b64 exec, exec, s[20:21]
	v_xor_b32_e32 v12, 0x80000000, v12
.LBB131_364:
	s_or_b64 exec, exec, s[16:17]
	s_and_saveexec_b64 s[0:1], s[42:43]
	s_cbranch_execz .LBB131_366
; %bb.365:
	v_mov_b32_e32 v31, 0
	ds_read_b64 v[31:32], v31 offset:11440
	s_waitcnt lgkmcnt(0)
	v_mul_f64 v[11:12], v[11:12], v[31:32]
	ds_write_b64 v13, v[11:12]
.LBB131_366:
	s_or_b64 exec, exec, s[0:1]
	s_waitcnt lgkmcnt(0)
	s_barrier
	s_and_saveexec_b64 s[0:1], s[40:41]
	s_cbranch_execz .LBB131_368
; %bb.367:
	v_mov_b32_e32 v31, 0
	ds_read_b64 v[31:32], v31 offset:11448
	ds_read_b64 v[33:34], v13
	s_waitcnt lgkmcnt(0)
	v_fma_f64 v[11:12], v[31:32], v[33:34], v[11:12]
.LBB131_368:
	s_or_b64 exec, exec, s[0:1]
	s_barrier
	s_and_saveexec_b64 s[0:1], s[40:41]
	s_cbranch_execz .LBB131_370
; %bb.369:
	v_mov_b32_e32 v31, 0
	ds_read_b64 v[31:32], v31 offset:11960
	s_waitcnt lgkmcnt(0)
	v_mul_f64 v[11:12], v[11:12], v[31:32]
	ds_write_b64 v13, v[11:12]
.LBB131_370:
	s_or_b64 exec, exec, s[0:1]
	s_waitcnt lgkmcnt(0)
	s_barrier
	s_barrier
	s_and_saveexec_b64 s[0:1], s[2:3]
; %bb.371:
	v_xor_b32_e32 v12, 0x80000000, v12
	ds_write_b64 v1, v[11:12] offset:10416
; %bb.372:
	s_or_b64 exec, exec, s[0:1]
	s_waitcnt lgkmcnt(0)
	s_barrier
	s_barrier
	s_and_saveexec_b64 s[14:15], s[44:45]
	s_cbranch_execz .LBB131_374
; %bb.373:
	v_lshlrev_b32_e32 v31, 3, v0
	s_movk_i32 s0, 0x1f8
	v_mad_u32_u24 v32, v0, s0, v31
	ds_read_b64 v[11:12], v32 offset:10416
	s_waitcnt lgkmcnt(0)
	ds_write_b64 v31, v[11:12] offset:11424
	ds_read_b64 v[11:12], v32 offset:10424
	s_waitcnt lgkmcnt(0)
	ds_write_b64 v31, v[11:12] offset:11936
.LBB131_374:
	s_or_b64 exec, exec, s[14:15]
	s_waitcnt lgkmcnt(0)
	s_barrier
	s_and_saveexec_b64 s[14:15], vcc
	s_cbranch_execz .LBB131_376
; %bb.375:
	v_mov_b32_e32 v11, 0
	ds_read_b128 v[31:34], v11 offset:11440
	ds_read_b64 v[11:12], v11 offset:11960
	s_movk_i32 s0, 0x2800
	s_waitcnt lgkmcnt(0)
	v_mul_f64 v[11:12], v[31:32], v[11:12]
	v_add_u32_e64 v31, s0, 0
	v_mul_f64 v[11:12], v[33:34], v[11:12]
	ds_write2_b64 v31, v[11:12], v[11:12] offset0:151 offset1:214
.LBB131_376:
	s_or_b64 exec, exec, s[14:15]
	v_mov_b32_e32 v11, 0
	v_mov_b32_e32 v12, 0
	s_waitcnt lgkmcnt(0)
	s_barrier
	s_and_saveexec_b64 s[16:17], s[8:9]
	s_cbranch_execz .LBB131_386
; %bb.377:
	v_mul_u32_u24_e32 v31, 0x208, v25
	ds_read_b64 v[11:12], v21 offset:8384
	ds_read_b64 v[32:33], v31 offset:8320
	v_cmp_gt_u32_e64 s[14:15], 56, v14
	s_waitcnt lgkmcnt(0)
	v_fma_f64 v[11:12], v[11:12], v[32:33], 0
	s_and_saveexec_b64 s[20:21], s[14:15]
	s_cbranch_execnz .LBB131_1113
; %bb.378:
	s_or_b64 exec, exec, s[20:21]
	v_cmp_gt_u32_e64 s[14:15], 48, v14
	s_and_saveexec_b64 s[20:21], s[14:15]
	s_cbranch_execnz .LBB131_1114
.LBB131_379:
	s_or_b64 exec, exec, s[20:21]
	v_cmp_gt_u32_e64 s[14:15], 40, v14
	s_and_saveexec_b64 s[20:21], s[14:15]
	s_cbranch_execnz .LBB131_1115
.LBB131_380:
	s_or_b64 exec, exec, s[20:21]
	v_cmp_gt_u32_e64 s[14:15], 32, v14
	s_and_saveexec_b64 s[0:1], s[14:15]
	s_cbranch_execnz .LBB131_1116
.LBB131_381:
	s_or_b64 exec, exec, s[0:1]
	v_cmp_gt_u32_e64 s[14:15], 24, v14
	s_and_saveexec_b64 s[20:21], s[14:15]
	s_cbranch_execnz .LBB131_1117
.LBB131_382:
	s_or_b64 exec, exec, s[20:21]
	v_cmp_gt_u32_e64 s[14:15], 16, v14
	s_and_saveexec_b64 s[0:1], s[14:15]
	s_cbranch_execnz .LBB131_1118
.LBB131_383:
	s_or_b64 exec, exec, s[0:1]
	v_cmp_gt_u32_e64 s[14:15], 8, v14
	s_and_saveexec_b64 s[20:21], s[14:15]
	s_cbranch_execz .LBB131_385
.LBB131_384:
	v_lshlrev_b32_e32 v31, 3, v0
	v_mov_b32_e32 v33, 0
	ds_read_b64 v[31:32], v31 offset:11968
	ds_read_b64 v[33:34], v33 offset:8376
	s_waitcnt lgkmcnt(0)
	v_fma_f64 v[11:12], v[31:32], v[33:34], v[11:12]
.LBB131_385:
	s_or_b64 exec, exec, s[20:21]
	v_xor_b32_e32 v12, 0x80000000, v12
.LBB131_386:
	s_or_b64 exec, exec, s[16:17]
	s_and_saveexec_b64 s[0:1], s[60:61]
	s_cbranch_execz .LBB131_388
; %bb.387:
	v_mov_b32_e32 v31, 0
	ds_read_b64 v[31:32], v31 offset:12480
	s_waitcnt lgkmcnt(0)
	v_mul_f64 v[11:12], v[11:12], v[31:32]
	ds_write_b64 v23, v[11:12]
.LBB131_388:
	s_or_b64 exec, exec, s[0:1]
	s_waitcnt lgkmcnt(0)
	s_barrier
	s_and_saveexec_b64 s[0:1], s[62:63]
	s_cbranch_execz .LBB131_390
; %bb.389:
	ds_read_b64 v[31:32], v22 offset:12480
	ds_read_b64 v[33:34], v23
	s_waitcnt lgkmcnt(0)
	v_fma_f64 v[11:12], v[31:32], v[33:34], v[11:12]
.LBB131_390:
	s_or_b64 exec, exec, s[0:1]
	s_barrier
	s_and_saveexec_b64 s[0:1], s[64:65]
	s_cbranch_execz .LBB131_392
; %bb.391:
	v_mov_b32_e32 v31, 0
	ds_read_b64 v[31:32], v31 offset:13000
	s_waitcnt lgkmcnt(0)
	v_mul_f64 v[11:12], v[11:12], v[31:32]
	ds_write_b64 v23, v[11:12]
.LBB131_392:
	s_or_b64 exec, exec, s[0:1]
	s_waitcnt lgkmcnt(0)
	s_barrier
	s_and_saveexec_b64 s[0:1], s[66:67]
	s_cbranch_execz .LBB131_394
; %bb.393:
	ds_read_b64 v[31:32], v22 offset:12992
	ds_read_b64 v[33:34], v23
	s_waitcnt lgkmcnt(0)
	v_fma_f64 v[11:12], v[31:32], v[33:34], v[11:12]
.LBB131_394:
	s_or_b64 exec, exec, s[0:1]
	s_barrier
	;; [unrolled: 22-line block ×6, first 2 shown]
	s_and_saveexec_b64 s[0:1], s[86:87]
	s_cbranch_execz .LBB131_412
; %bb.411:
	v_mov_b32_e32 v31, 0
	ds_read_b64 v[31:32], v31 offset:15600
	s_waitcnt lgkmcnt(0)
	v_mul_f64 v[11:12], v[11:12], v[31:32]
	ds_write_b64 v23, v[11:12]
.LBB131_412:
	s_or_b64 exec, exec, s[0:1]
	s_waitcnt lgkmcnt(0)
	s_barrier
	s_and_saveexec_b64 s[0:1], s[70:71]
	s_cbranch_execz .LBB131_414
; %bb.413:
	v_mov_b32_e32 v31, 0
	ds_read_b64 v[31:32], v31 offset:15608
	ds_read_b64 v[33:34], v23
	s_waitcnt lgkmcnt(0)
	v_fma_f64 v[11:12], v[31:32], v[33:34], v[11:12]
.LBB131_414:
	s_or_b64 exec, exec, s[0:1]
	s_barrier
	s_and_saveexec_b64 s[0:1], s[70:71]
	s_cbranch_execz .LBB131_416
; %bb.415:
	v_mov_b32_e32 v31, 0
	ds_read_b64 v[31:32], v31 offset:16120
	s_waitcnt lgkmcnt(0)
	v_mul_f64 v[11:12], v[11:12], v[31:32]
	ds_write_b64 v23, v[11:12]
.LBB131_416:
	s_or_b64 exec, exec, s[0:1]
	s_waitcnt lgkmcnt(0)
	s_barrier
	s_barrier
	s_and_saveexec_b64 s[0:1], s[8:9]
; %bb.417:
	v_xor_b32_e32 v12, 0x80000000, v12
	ds_write_b64 v21, v[11:12] offset:8384
; %bb.418:
	s_or_b64 exec, exec, s[0:1]
	s_waitcnt lgkmcnt(0)
	s_barrier
	s_barrier
	s_and_saveexec_b64 s[14:15], s[88:89]
	s_cbranch_execz .LBB131_420
; %bb.419:
	v_lshlrev_b32_e32 v31, 9, v0
	ds_read_b64 v[11:12], v31 offset:8384
	s_movk_i32 s0, 0xfe08
	v_mad_i32_i24 v32, v0, s0, v31
	s_waitcnt lgkmcnt(0)
	ds_write_b64 v32, v[11:12] offset:12416
	ds_read_b64 v[11:12], v31 offset:8392
	s_waitcnt lgkmcnt(0)
	ds_write_b64 v32, v[11:12] offset:12928
	ds_read_b64 v[11:12], v31 offset:8400
	;; [unrolled: 3-line block ×7, first 2 shown]
	s_waitcnt lgkmcnt(0)
	ds_write_b64 v32, v[11:12] offset:16000
.LBB131_420:
	s_or_b64 exec, exec, s[14:15]
	s_waitcnt lgkmcnt(0)
	s_barrier
	s_and_saveexec_b64 s[14:15], vcc
	s_cbranch_execz .LBB131_422
; %bb.421:
	v_mov_b32_e32 v11, 0
	ds_read_b128 v[31:34], v11 offset:12480
	ds_read_b64 v[11:12], v11 offset:13000
	s_movk_i32 s0, 0x3000
	s_waitcnt lgkmcnt(0)
	v_mul_f64 v[11:12], v[31:32], v[11:12]
	v_add_u32_e64 v31, s0, 0
	v_mul_f64 v[11:12], v[33:34], v[11:12]
	ds_write2_b64 v31, v[11:12], v[11:12] offset0:25 offset1:88
.LBB131_422:
	s_or_b64 exec, exec, s[14:15]
	v_mov_b32_e32 v11, 0
	v_mov_b32_e32 v12, 0
	s_waitcnt lgkmcnt(0)
	s_barrier
	s_and_saveexec_b64 s[16:17], s[2:3]
	s_cbranch_execz .LBB131_426
; %bb.423:
	v_mul_u32_u24_e32 v31, 0x208, v15
	ds_read_b64 v[11:12], v1 offset:12496
	ds_read_b64 v[31:32], v31 offset:12480
	v_cmp_gt_u32_e64 s[14:15], 2, v14
	s_waitcnt lgkmcnt(0)
	v_fma_f64 v[11:12], v[11:12], v[31:32], 0
	s_and_saveexec_b64 s[20:21], s[14:15]
	s_cbranch_execz .LBB131_425
; %bb.424:
	v_lshlrev_b32_e32 v31, 3, v0
	v_mov_b32_e32 v33, 0
	ds_read_b64 v[31:32], v31 offset:13008
	ds_read_b64 v[33:34], v33 offset:12488
	s_waitcnt lgkmcnt(0)
	v_fma_f64 v[11:12], v[31:32], v[33:34], v[11:12]
.LBB131_425:
	s_or_b64 exec, exec, s[20:21]
	v_xor_b32_e32 v12, 0x80000000, v12
.LBB131_426:
	s_or_b64 exec, exec, s[16:17]
	s_and_saveexec_b64 s[0:1], s[42:43]
	s_cbranch_execz .LBB131_428
; %bb.427:
	v_mov_b32_e32 v31, 0
	ds_read_b64 v[31:32], v31 offset:13520
	s_waitcnt lgkmcnt(0)
	v_mul_f64 v[11:12], v[11:12], v[31:32]
	ds_write_b64 v13, v[11:12]
.LBB131_428:
	s_or_b64 exec, exec, s[0:1]
	s_waitcnt lgkmcnt(0)
	s_barrier
	s_and_saveexec_b64 s[0:1], s[40:41]
	s_cbranch_execz .LBB131_430
; %bb.429:
	v_mov_b32_e32 v31, 0
	ds_read_b64 v[31:32], v31 offset:13528
	ds_read_b64 v[33:34], v13
	s_waitcnt lgkmcnt(0)
	v_fma_f64 v[11:12], v[31:32], v[33:34], v[11:12]
.LBB131_430:
	s_or_b64 exec, exec, s[0:1]
	s_barrier
	s_and_saveexec_b64 s[0:1], s[40:41]
	s_cbranch_execz .LBB131_432
; %bb.431:
	v_mov_b32_e32 v31, 0
	ds_read_b64 v[31:32], v31 offset:14040
	s_waitcnt lgkmcnt(0)
	v_mul_f64 v[11:12], v[11:12], v[31:32]
	ds_write_b64 v13, v[11:12]
.LBB131_432:
	s_or_b64 exec, exec, s[0:1]
	s_waitcnt lgkmcnt(0)
	s_barrier
	s_barrier
	s_and_saveexec_b64 s[0:1], s[2:3]
; %bb.433:
	v_xor_b32_e32 v12, 0x80000000, v12
	ds_write_b64 v1, v[11:12] offset:12496
; %bb.434:
	s_or_b64 exec, exec, s[0:1]
	s_waitcnt lgkmcnt(0)
	s_barrier
	s_barrier
	s_and_saveexec_b64 s[14:15], s[44:45]
	s_cbranch_execz .LBB131_436
; %bb.435:
	v_lshlrev_b32_e32 v31, 3, v0
	s_movk_i32 s0, 0x1f8
	v_mad_u32_u24 v32, v0, s0, v31
	ds_read_b64 v[11:12], v32 offset:12496
	s_waitcnt lgkmcnt(0)
	ds_write_b64 v31, v[11:12] offset:13504
	ds_read_b64 v[11:12], v32 offset:12504
	s_waitcnt lgkmcnt(0)
	ds_write_b64 v31, v[11:12] offset:14016
.LBB131_436:
	s_or_b64 exec, exec, s[14:15]
	s_waitcnt lgkmcnt(0)
	s_barrier
	s_and_saveexec_b64 s[14:15], vcc
	s_cbranch_execz .LBB131_438
; %bb.437:
	v_mov_b32_e32 v11, 0
	ds_read_b128 v[31:34], v11 offset:13520
	ds_read_b64 v[11:12], v11 offset:14040
	s_movk_i32 s0, 0x3000
	s_waitcnt lgkmcnt(0)
	v_mul_f64 v[11:12], v[31:32], v[11:12]
	v_add_u32_e64 v31, s0, 0
	v_mul_f64 v[11:12], v[33:34], v[11:12]
	ds_write2_b64 v31, v[11:12], v[11:12] offset0:155 offset1:218
.LBB131_438:
	s_or_b64 exec, exec, s[14:15]
	v_mov_b32_e32 v11, 0
	v_mov_b32_e32 v12, 0
	s_waitcnt lgkmcnt(0)
	s_barrier
	s_and_saveexec_b64 s[16:17], s[18:19]
	s_cbranch_execz .LBB131_444
; %bb.439:
	v_mul_u32_u24_e32 v31, 0x208, v20
	ds_read_b64 v[11:12], v16 offset:12512
	ds_read_b64 v[32:33], v31 offset:12480
	v_cmp_gt_u32_e64 s[14:15], 12, v14
	s_waitcnt lgkmcnt(0)
	v_fma_f64 v[11:12], v[11:12], v[32:33], 0
	s_and_saveexec_b64 s[20:21], s[14:15]
	s_cbranch_execnz .LBB131_1119
; %bb.440:
	s_or_b64 exec, exec, s[20:21]
	v_cmp_gt_u32_e64 s[14:15], 8, v14
	s_and_saveexec_b64 s[0:1], s[14:15]
	s_cbranch_execnz .LBB131_1120
.LBB131_441:
	s_or_b64 exec, exec, s[0:1]
	v_cmp_gt_u32_e64 s[14:15], 4, v14
	s_and_saveexec_b64 s[20:21], s[14:15]
	s_cbranch_execz .LBB131_443
.LBB131_442:
	v_lshlrev_b32_e32 v31, 3, v0
	v_mov_b32_e32 v33, 0
	ds_read_b64 v[31:32], v31 offset:14048
	ds_read_b64 v[33:34], v33 offset:12504
	s_waitcnt lgkmcnt(0)
	v_fma_f64 v[11:12], v[31:32], v[33:34], v[11:12]
.LBB131_443:
	s_or_b64 exec, exec, s[20:21]
	v_xor_b32_e32 v12, 0x80000000, v12
.LBB131_444:
	s_or_b64 exec, exec, s[16:17]
	s_and_saveexec_b64 s[0:1], s[48:49]
	s_cbranch_execz .LBB131_446
; %bb.445:
	v_mov_b32_e32 v31, 0
	ds_read_b64 v[31:32], v31 offset:14560
	s_waitcnt lgkmcnt(0)
	v_mul_f64 v[11:12], v[11:12], v[31:32]
	ds_write_b64 v18, v[11:12]
.LBB131_446:
	s_or_b64 exec, exec, s[0:1]
	s_waitcnt lgkmcnt(0)
	s_barrier
	s_and_saveexec_b64 s[0:1], s[50:51]
	s_cbranch_execz .LBB131_448
; %bb.447:
	ds_read_b64 v[31:32], v17 offset:14560
	ds_read_b64 v[33:34], v18
	s_waitcnt lgkmcnt(0)
	v_fma_f64 v[11:12], v[31:32], v[33:34], v[11:12]
.LBB131_448:
	s_or_b64 exec, exec, s[0:1]
	s_barrier
	s_and_saveexec_b64 s[0:1], s[52:53]
	s_cbranch_execz .LBB131_450
; %bb.449:
	v_mov_b32_e32 v31, 0
	ds_read_b64 v[31:32], v31 offset:15080
	s_waitcnt lgkmcnt(0)
	v_mul_f64 v[11:12], v[11:12], v[31:32]
	ds_write_b64 v18, v[11:12]
.LBB131_450:
	s_or_b64 exec, exec, s[0:1]
	s_waitcnt lgkmcnt(0)
	s_barrier
	s_and_saveexec_b64 s[0:1], s[54:55]
	s_cbranch_execz .LBB131_452
; %bb.451:
	ds_read_b64 v[31:32], v17 offset:15072
	ds_read_b64 v[33:34], v18
	s_waitcnt lgkmcnt(0)
	v_fma_f64 v[11:12], v[31:32], v[33:34], v[11:12]
.LBB131_452:
	s_or_b64 exec, exec, s[0:1]
	s_barrier
	s_and_saveexec_b64 s[0:1], s[56:57]
	s_cbranch_execz .LBB131_454
; %bb.453:
	v_mov_b32_e32 v31, 0
	ds_read_b64 v[31:32], v31 offset:15600
	s_waitcnt lgkmcnt(0)
	v_mul_f64 v[11:12], v[11:12], v[31:32]
	ds_write_b64 v18, v[11:12]
.LBB131_454:
	s_or_b64 exec, exec, s[0:1]
	s_waitcnt lgkmcnt(0)
	s_barrier
	s_and_saveexec_b64 s[0:1], s[46:47]
	s_cbranch_execz .LBB131_456
; %bb.455:
	v_mov_b32_e32 v31, 0
	ds_read_b64 v[31:32], v31 offset:15608
	ds_read_b64 v[33:34], v18
	s_waitcnt lgkmcnt(0)
	v_fma_f64 v[11:12], v[31:32], v[33:34], v[11:12]
.LBB131_456:
	s_or_b64 exec, exec, s[0:1]
	s_barrier
	s_and_saveexec_b64 s[0:1], s[46:47]
	s_cbranch_execz .LBB131_458
; %bb.457:
	v_mov_b32_e32 v31, 0
	ds_read_b64 v[31:32], v31 offset:16120
	s_waitcnt lgkmcnt(0)
	v_mul_f64 v[11:12], v[11:12], v[31:32]
	ds_write_b64 v18, v[11:12]
.LBB131_458:
	s_or_b64 exec, exec, s[0:1]
	s_waitcnt lgkmcnt(0)
	s_barrier
	s_barrier
	s_and_saveexec_b64 s[0:1], s[18:19]
; %bb.459:
	v_xor_b32_e32 v12, 0x80000000, v12
	ds_write_b64 v16, v[11:12] offset:12512
; %bb.460:
	s_or_b64 exec, exec, s[0:1]
	s_waitcnt lgkmcnt(0)
	s_barrier
	s_barrier
	s_and_saveexec_b64 s[14:15], s[58:59]
	s_cbranch_execz .LBB131_462
; %bb.461:
	v_lshlrev_b32_e32 v31, 9, v0
	ds_read_b64 v[11:12], v31 offset:12512
	s_movk_i32 s0, 0xfe08
	v_mad_i32_i24 v32, v0, s0, v31
	s_waitcnt lgkmcnt(0)
	ds_write_b64 v32, v[11:12] offset:14528
	ds_read_b64 v[11:12], v31 offset:12520
	s_waitcnt lgkmcnt(0)
	ds_write_b64 v32, v[11:12] offset:15040
	ds_read_b64 v[11:12], v31 offset:12528
	;; [unrolled: 3-line block ×3, first 2 shown]
	s_waitcnt lgkmcnt(0)
	ds_write_b64 v32, v[11:12] offset:16064
.LBB131_462:
	s_or_b64 exec, exec, s[14:15]
	s_waitcnt lgkmcnt(0)
	s_barrier
	s_and_saveexec_b64 s[14:15], vcc
	s_cbranch_execz .LBB131_464
; %bb.463:
	v_mov_b32_e32 v11, 0
	ds_read_b128 v[31:34], v11 offset:14560
	ds_read_b64 v[11:12], v11 offset:15080
	s_movk_i32 s0, 0x3800
	s_waitcnt lgkmcnt(0)
	v_mul_f64 v[11:12], v[31:32], v[11:12]
	v_add_u32_e64 v31, s0, 0
	v_mul_f64 v[11:12], v[33:34], v[11:12]
	ds_write2_b64 v31, v[11:12], v[11:12] offset0:29 offset1:92
.LBB131_464:
	s_or_b64 exec, exec, s[14:15]
	v_mov_b32_e32 v11, 0
	v_mov_b32_e32 v12, 0
	s_waitcnt lgkmcnt(0)
	s_barrier
	s_and_saveexec_b64 s[16:17], s[2:3]
	s_cbranch_execz .LBB131_468
; %bb.465:
	v_mul_u32_u24_e32 v31, 0x208, v15
	ds_read_b64 v[11:12], v1 offset:14576
	ds_read_b64 v[31:32], v31 offset:14560
	v_cmp_gt_u32_e64 s[14:15], 2, v14
	s_waitcnt lgkmcnt(0)
	v_fma_f64 v[11:12], v[11:12], v[31:32], 0
	s_and_saveexec_b64 s[20:21], s[14:15]
	s_cbranch_execz .LBB131_467
; %bb.466:
	v_lshlrev_b32_e32 v31, 3, v0
	v_mov_b32_e32 v33, 0
	ds_read_b64 v[31:32], v31 offset:15088
	ds_read_b64 v[33:34], v33 offset:14568
	s_waitcnt lgkmcnt(0)
	v_fma_f64 v[11:12], v[31:32], v[33:34], v[11:12]
.LBB131_467:
	s_or_b64 exec, exec, s[20:21]
	v_xor_b32_e32 v12, 0x80000000, v12
.LBB131_468:
	s_or_b64 exec, exec, s[16:17]
	s_and_saveexec_b64 s[0:1], s[42:43]
	s_cbranch_execz .LBB131_470
; %bb.469:
	v_mov_b32_e32 v31, 0
	ds_read_b64 v[31:32], v31 offset:15600
	s_waitcnt lgkmcnt(0)
	v_mul_f64 v[11:12], v[11:12], v[31:32]
	ds_write_b64 v13, v[11:12]
.LBB131_470:
	s_or_b64 exec, exec, s[0:1]
	s_waitcnt lgkmcnt(0)
	s_barrier
	s_and_saveexec_b64 s[0:1], s[40:41]
	s_cbranch_execz .LBB131_472
; %bb.471:
	v_mov_b32_e32 v31, 0
	ds_read_b64 v[31:32], v31 offset:15608
	ds_read_b64 v[33:34], v13
	s_waitcnt lgkmcnt(0)
	v_fma_f64 v[11:12], v[31:32], v[33:34], v[11:12]
.LBB131_472:
	s_or_b64 exec, exec, s[0:1]
	s_barrier
	s_and_saveexec_b64 s[0:1], s[40:41]
	s_cbranch_execz .LBB131_474
; %bb.473:
	v_mov_b32_e32 v31, 0
	ds_read_b64 v[31:32], v31 offset:16120
	s_waitcnt lgkmcnt(0)
	v_mul_f64 v[11:12], v[11:12], v[31:32]
	ds_write_b64 v13, v[11:12]
.LBB131_474:
	s_or_b64 exec, exec, s[0:1]
	s_waitcnt lgkmcnt(0)
	s_barrier
	s_barrier
	s_and_saveexec_b64 s[0:1], s[2:3]
; %bb.475:
	v_xor_b32_e32 v12, 0x80000000, v12
	ds_write_b64 v1, v[11:12] offset:14576
; %bb.476:
	s_or_b64 exec, exec, s[0:1]
	s_waitcnt lgkmcnt(0)
	s_barrier
	s_barrier
	s_and_saveexec_b64 s[14:15], s[44:45]
	s_cbranch_execz .LBB131_478
; %bb.477:
	v_lshlrev_b32_e32 v31, 3, v0
	s_movk_i32 s0, 0x1f8
	v_mad_u32_u24 v32, v0, s0, v31
	ds_read_b64 v[11:12], v32 offset:14576
	s_waitcnt lgkmcnt(0)
	ds_write_b64 v31, v[11:12] offset:15584
	ds_read_b64 v[11:12], v32 offset:14584
	s_waitcnt lgkmcnt(0)
	ds_write_b64 v31, v[11:12] offset:16096
.LBB131_478:
	s_or_b64 exec, exec, s[14:15]
	s_waitcnt lgkmcnt(0)
	s_barrier
	s_and_saveexec_b64 s[14:15], vcc
	s_cbranch_execz .LBB131_480
; %bb.479:
	v_mov_b32_e32 v11, 0
	ds_read_b128 v[31:34], v11 offset:15600
	ds_read_b64 v[11:12], v11 offset:16120
	s_movk_i32 s0, 0x3800
	s_waitcnt lgkmcnt(0)
	v_mul_f64 v[11:12], v[31:32], v[11:12]
	v_add_u32_e64 v31, s0, 0
	v_mul_f64 v[11:12], v[33:34], v[11:12]
	ds_write2_b64 v31, v[11:12], v[11:12] offset0:159 offset1:222
.LBB131_480:
	s_or_b64 exec, exec, s[14:15]
	v_and_b32_e32 v32, 31, v0
	v_lshrrev_b32_e32 v33, 5, v14
	s_movk_i32 s0, 0x3ff
	v_lshlrev_b32_e32 v11, 3, v32
	v_cmp_lt_u32_e64 s[16:17], s0, v14
	s_movk_i32 s0, 0x400
	v_lshl_or_b32 v31, v33, 9, v11
	v_mov_b32_e32 v11, 0
	v_cmp_gt_u32_e64 s[14:15], s0, v14
	v_mov_b32_e32 v12, 0
	s_waitcnt lgkmcnt(0)
	s_barrier
	s_and_saveexec_b64 s[94:95], s[14:15]
	s_cbranch_execz .LBB131_542
; %bb.481:
	v_mul_u32_u24_e32 v34, 0x208, v33
	ds_read_b64 v[11:12], v31 offset:256
	ds_read_b64 v[35:36], v34
	s_movk_i32 s0, 0x3e0
	v_cmp_gt_u32_e64 s[20:21], s0, v14
	s_waitcnt lgkmcnt(0)
	v_fma_f64 v[11:12], v[11:12], v[35:36], 0
	s_and_saveexec_b64 s[0:1], s[20:21]
	s_cbranch_execz .LBB131_483
; %bb.482:
	ds_read_b64 v[35:36], v31 offset:768
	ds_read_b64 v[37:38], v34 offset:8
	s_waitcnt lgkmcnt(0)
	v_fma_f64 v[11:12], v[35:36], v[37:38], v[11:12]
.LBB131_483:
	s_or_b64 exec, exec, s[0:1]
	s_movk_i32 s0, 0x3c0
	v_cmp_gt_u32_e64 s[20:21], s0, v14
	s_and_saveexec_b64 s[0:1], s[20:21]
	s_cbranch_execz .LBB131_485
; %bb.484:
	ds_read_b64 v[35:36], v31 offset:1280
	ds_read_b64 v[37:38], v34 offset:16
	s_waitcnt lgkmcnt(0)
	v_fma_f64 v[11:12], v[35:36], v[37:38], v[11:12]
.LBB131_485:
	s_or_b64 exec, exec, s[0:1]
	s_movk_i32 s0, 0x3a0
	v_cmp_gt_u32_e64 s[20:21], s0, v14
	;; [unrolled: 11-line block ×28, first 2 shown]
	s_and_saveexec_b64 s[0:1], s[20:21]
	s_cbranch_execnz .LBB131_1121
; %bb.538:
	s_or_b64 exec, exec, s[0:1]
	v_cmp_gt_u32_e64 s[20:21], 64, v14
	s_and_saveexec_b64 s[0:1], s[20:21]
	s_cbranch_execnz .LBB131_1122
.LBB131_539:
	s_or_b64 exec, exec, s[0:1]
	v_cmp_gt_u32_e64 s[20:21], 32, v14
	s_and_saveexec_b64 s[0:1], s[20:21]
	s_cbranch_execz .LBB131_541
.LBB131_540:
	v_lshlrev_b32_e32 v34, 3, v0
	v_mov_b32_e32 v36, 0
	ds_read_b64 v[34:35], v34 offset:16128
	ds_read_b64 v[36:37], v36 offset:248
	s_waitcnt lgkmcnt(0)
	v_fma_f64 v[11:12], v[34:35], v[36:37], v[11:12]
.LBB131_541:
	s_or_b64 exec, exec, s[0:1]
	v_xor_b32_e32 v12, 0x80000000, v12
.LBB131_542:
	s_or_b64 exec, exec, s[94:95]
	v_mov_b32_e32 v34, 0x8000
	v_lshl_or_b32 v33, v33, 3, v34
	v_mul_u32_u24_e32 v34, 0x208, v32
	v_lshlrev_b32_e32 v35, 9, v32
	v_sub_u32_e32 v35, v34, v35
	v_add_u32_e32 v35, 0x4100, v35
	s_mov_b32 s94, 0
	s_xor_b64 s[20:21], s[16:17], -1
	v_mov_b32_e32 v36, v32
	s_branch .LBB131_544
.LBB131_543:                            ;   in Loop: Header=BB131_544 Depth=1
	s_or_b64 exec, exec, s[0:1]
	s_add_i32 s94, s94, 4
	v_add_u32_e32 v35, 0x800, v35
	s_cmp_eq_u32 s94, 32
	v_add_u32_e32 v36, -4, v36
	s_barrier
	s_cbranch_scc1 .LBB131_560
.LBB131_544:                            ; =>This Inner Loop Header: Depth=1
	v_cmp_eq_u32_e64 s[16:17], 0, v36
	s_and_b64 s[16:17], s[20:21], s[16:17]
	s_and_saveexec_b64 s[0:1], s[16:17]
	s_cbranch_execz .LBB131_546
; %bb.545:                              ;   in Loop: Header=BB131_544 Depth=1
	ds_read_b64 v[37:38], v34 offset:16640
	s_waitcnt lgkmcnt(0)
	v_mul_f64 v[11:12], v[11:12], v[37:38]
	ds_write_b64 v33, v[11:12]
.LBB131_546:                            ;   in Loop: Header=BB131_544 Depth=1
	s_or_b64 exec, exec, s[0:1]
	v_cmp_lt_u32_e64 s[16:17], s94, v32
	s_and_b64 s[16:17], s[20:21], s[16:17]
	s_waitcnt lgkmcnt(0)
	s_barrier
	s_and_saveexec_b64 s[0:1], s[16:17]
	s_cbranch_execz .LBB131_548
; %bb.547:                              ;   in Loop: Header=BB131_544 Depth=1
	ds_read_b64 v[37:38], v35
	ds_read_b64 v[39:40], v33
	s_waitcnt lgkmcnt(0)
	v_fma_f64 v[11:12], v[37:38], v[39:40], v[11:12]
.LBB131_548:                            ;   in Loop: Header=BB131_544 Depth=1
	s_or_b64 exec, exec, s[0:1]
	s_or_b32 s95, s94, 1
	v_cmp_eq_u32_e64 s[16:17], s95, v32
	s_and_b64 s[16:17], s[20:21], s[16:17]
	s_barrier
	s_and_saveexec_b64 s[0:1], s[16:17]
	s_cbranch_execz .LBB131_550
; %bb.549:                              ;   in Loop: Header=BB131_544 Depth=1
	ds_read_b64 v[37:38], v34 offset:16640
	s_waitcnt lgkmcnt(0)
	v_mul_f64 v[11:12], v[11:12], v[37:38]
	ds_write_b64 v33, v[11:12]
.LBB131_550:                            ;   in Loop: Header=BB131_544 Depth=1
	s_or_b64 exec, exec, s[0:1]
	v_cmp_lt_u32_e64 s[16:17], s95, v32
	s_and_b64 s[16:17], s[20:21], s[16:17]
	s_waitcnt lgkmcnt(0)
	s_barrier
	s_and_saveexec_b64 s[0:1], s[16:17]
	s_cbranch_execz .LBB131_552
; %bb.551:                              ;   in Loop: Header=BB131_544 Depth=1
	ds_read_b64 v[37:38], v35 offset:512
	ds_read_b64 v[39:40], v33
	s_waitcnt lgkmcnt(0)
	v_fma_f64 v[11:12], v[37:38], v[39:40], v[11:12]
.LBB131_552:                            ;   in Loop: Header=BB131_544 Depth=1
	s_or_b64 exec, exec, s[0:1]
	s_or_b32 s95, s94, 2
	v_cmp_eq_u32_e64 s[16:17], s95, v32
	s_and_b64 s[16:17], s[20:21], s[16:17]
	s_barrier
	s_and_saveexec_b64 s[0:1], s[16:17]
	s_cbranch_execz .LBB131_554
; %bb.553:                              ;   in Loop: Header=BB131_544 Depth=1
	ds_read_b64 v[37:38], v34 offset:16640
	s_waitcnt lgkmcnt(0)
	v_mul_f64 v[11:12], v[11:12], v[37:38]
	ds_write_b64 v33, v[11:12]
.LBB131_554:                            ;   in Loop: Header=BB131_544 Depth=1
	s_or_b64 exec, exec, s[0:1]
	v_cmp_lt_u32_e64 s[16:17], s95, v32
	s_and_b64 s[16:17], s[20:21], s[16:17]
	s_waitcnt lgkmcnt(0)
	s_barrier
	s_and_saveexec_b64 s[0:1], s[16:17]
	s_cbranch_execz .LBB131_556
; %bb.555:                              ;   in Loop: Header=BB131_544 Depth=1
	ds_read_b64 v[37:38], v35 offset:1024
	ds_read_b64 v[39:40], v33
	s_waitcnt lgkmcnt(0)
	v_fma_f64 v[11:12], v[37:38], v[39:40], v[11:12]
.LBB131_556:                            ;   in Loop: Header=BB131_544 Depth=1
	s_or_b64 exec, exec, s[0:1]
	s_or_b32 s95, s94, 3
	v_cmp_eq_u32_e64 s[16:17], s95, v32
	s_and_b64 s[16:17], s[20:21], s[16:17]
	s_barrier
	s_and_saveexec_b64 s[0:1], s[16:17]
	s_cbranch_execz .LBB131_558
; %bb.557:                              ;   in Loop: Header=BB131_544 Depth=1
	ds_read_b64 v[37:38], v34 offset:16640
	s_waitcnt lgkmcnt(0)
	v_mul_f64 v[11:12], v[11:12], v[37:38]
	ds_write_b64 v33, v[11:12]
.LBB131_558:                            ;   in Loop: Header=BB131_544 Depth=1
	s_or_b64 exec, exec, s[0:1]
	v_cmp_lt_u32_e64 s[16:17], s95, v32
	s_and_b64 s[16:17], s[20:21], s[16:17]
	s_waitcnt lgkmcnt(0)
	s_barrier
	s_and_saveexec_b64 s[0:1], s[16:17]
	s_cbranch_execz .LBB131_543
; %bb.559:                              ;   in Loop: Header=BB131_544 Depth=1
	ds_read_b64 v[37:38], v35 offset:1536
	ds_read_b64 v[39:40], v33
	s_waitcnt lgkmcnt(0)
	v_fma_f64 v[11:12], v[37:38], v[39:40], v[11:12]
	s_branch .LBB131_543
.LBB131_560:
	s_and_saveexec_b64 s[0:1], s[14:15]
; %bb.561:
	v_xor_b32_e32 v12, 0x80000000, v12
	ds_write_b64 v31, v[11:12] offset:256
; %bb.562:
	s_or_b64 exec, exec, s[0:1]
	v_cmp_gt_u32_e64 s[14:15], 32, v0
	s_and_b64 s[0:1], s[12:13], s[14:15]
	s_waitcnt lgkmcnt(0)
	s_barrier
	s_barrier
	s_and_saveexec_b64 s[12:13], s[0:1]
	s_cbranch_execz .LBB131_564
; %bb.563:
	v_lshlrev_b32_e32 v31, 9, v0
	ds_read_b64 v[11:12], v31 offset:256
	s_movk_i32 s0, 0xfe08
	v_mad_i32_i24 v32, v0, s0, v31
	s_waitcnt lgkmcnt(0)
	ds_write_b64 v32, v[11:12] offset:16384
	ds_read_b64 v[11:12], v31 offset:264
	s_waitcnt lgkmcnt(0)
	ds_write_b64 v32, v[11:12] offset:16896
	ds_read_b64 v[11:12], v31 offset:272
	;; [unrolled: 3-line block ×31, first 2 shown]
	s_waitcnt lgkmcnt(0)
	ds_write_b64 v32, v[11:12] offset:32256
.LBB131_564:
	s_or_b64 exec, exec, s[12:13]
	s_waitcnt lgkmcnt(0)
	s_barrier
	s_and_saveexec_b64 s[12:13], vcc
	s_cbranch_execz .LBB131_566
; %bb.565:
	v_mov_b32_e32 v11, 0
	ds_read_b128 v[31:34], v11 offset:16640
	ds_read_b64 v[11:12], v11 offset:17160
	s_movk_i32 s0, 0x4000
	s_waitcnt lgkmcnt(0)
	v_mul_f64 v[11:12], v[31:32], v[11:12]
	v_add_u32_e64 v31, s0, 0
	v_mul_f64 v[11:12], v[33:34], v[11:12]
	ds_write2_b64 v31, v[11:12], v[11:12] offset0:33 offset1:96
.LBB131_566:
	s_or_b64 exec, exec, s[12:13]
	v_mov_b32_e32 v11, 0
	v_mov_b32_e32 v12, 0
	s_waitcnt lgkmcnt(0)
	s_barrier
	s_and_saveexec_b64 s[14:15], s[2:3]
	s_cbranch_execz .LBB131_570
; %bb.567:
	v_mul_u32_u24_e32 v31, 0x208, v15
	ds_read_b64 v[11:12], v1 offset:16656
	ds_read_b64 v[31:32], v31 offset:16640
	v_cmp_gt_u32_e64 s[12:13], 2, v14
	s_waitcnt lgkmcnt(0)
	v_fma_f64 v[11:12], v[11:12], v[31:32], 0
	s_and_saveexec_b64 s[16:17], s[12:13]
	s_cbranch_execz .LBB131_569
; %bb.568:
	v_lshlrev_b32_e32 v31, 3, v0
	v_mov_b32_e32 v33, 0
	ds_read_b64 v[31:32], v31 offset:17168
	ds_read_b64 v[33:34], v33 offset:16648
	s_waitcnt lgkmcnt(0)
	v_fma_f64 v[11:12], v[31:32], v[33:34], v[11:12]
.LBB131_569:
	s_or_b64 exec, exec, s[16:17]
	v_xor_b32_e32 v12, 0x80000000, v12
.LBB131_570:
	s_or_b64 exec, exec, s[14:15]
	s_and_saveexec_b64 s[0:1], s[42:43]
	s_cbranch_execz .LBB131_572
; %bb.571:
	v_mov_b32_e32 v31, 0
	ds_read_b64 v[31:32], v31 offset:17680
	s_waitcnt lgkmcnt(0)
	v_mul_f64 v[11:12], v[11:12], v[31:32]
	ds_write_b64 v13, v[11:12]
.LBB131_572:
	s_or_b64 exec, exec, s[0:1]
	s_waitcnt lgkmcnt(0)
	s_barrier
	s_and_saveexec_b64 s[0:1], s[40:41]
	s_cbranch_execz .LBB131_574
; %bb.573:
	v_mov_b32_e32 v31, 0
	ds_read_b64 v[31:32], v31 offset:17688
	ds_read_b64 v[33:34], v13
	s_waitcnt lgkmcnt(0)
	v_fma_f64 v[11:12], v[31:32], v[33:34], v[11:12]
.LBB131_574:
	s_or_b64 exec, exec, s[0:1]
	s_barrier
	s_and_saveexec_b64 s[0:1], s[40:41]
	s_cbranch_execz .LBB131_576
; %bb.575:
	v_mov_b32_e32 v31, 0
	ds_read_b64 v[31:32], v31 offset:18200
	s_waitcnt lgkmcnt(0)
	v_mul_f64 v[11:12], v[11:12], v[31:32]
	ds_write_b64 v13, v[11:12]
.LBB131_576:
	s_or_b64 exec, exec, s[0:1]
	s_waitcnt lgkmcnt(0)
	s_barrier
	s_barrier
	s_and_saveexec_b64 s[0:1], s[2:3]
; %bb.577:
	v_xor_b32_e32 v12, 0x80000000, v12
	ds_write_b64 v1, v[11:12] offset:16656
; %bb.578:
	s_or_b64 exec, exec, s[0:1]
	s_waitcnt lgkmcnt(0)
	s_barrier
	s_barrier
	s_and_saveexec_b64 s[0:1], s[44:45]
	s_cbranch_execz .LBB131_580
; %bb.579:
	v_lshlrev_b32_e32 v31, 3, v0
	s_movk_i32 s12, 0x1f8
	v_mad_u32_u24 v32, v0, s12, v31
	ds_read_b64 v[11:12], v32 offset:16656
	s_waitcnt lgkmcnt(0)
	ds_write_b64 v31, v[11:12] offset:17664
	ds_read_b64 v[11:12], v32 offset:16664
	s_waitcnt lgkmcnt(0)
	ds_write_b64 v31, v[11:12] offset:18176
.LBB131_580:
	s_or_b64 exec, exec, s[0:1]
	s_waitcnt lgkmcnt(0)
	s_barrier
	s_and_saveexec_b64 s[12:13], vcc
	s_cbranch_execz .LBB131_582
; %bb.581:
	v_mov_b32_e32 v11, 0
	ds_read_b128 v[31:34], v11 offset:17680
	ds_read_b64 v[11:12], v11 offset:18200
	s_movk_i32 s0, 0x4000
	s_waitcnt lgkmcnt(0)
	v_mul_f64 v[11:12], v[31:32], v[11:12]
	v_add_u32_e64 v31, s0, 0
	v_mul_f64 v[11:12], v[33:34], v[11:12]
	ds_write2_b64 v31, v[11:12], v[11:12] offset0:163 offset1:226
.LBB131_582:
	s_or_b64 exec, exec, s[12:13]
	v_mov_b32_e32 v11, 0
	v_mov_b32_e32 v12, 0
	s_waitcnt lgkmcnt(0)
	s_barrier
	s_and_saveexec_b64 s[14:15], s[18:19]
	s_cbranch_execz .LBB131_588
; %bb.583:
	v_mul_u32_u24_e32 v31, 0x208, v20
	ds_read_b64 v[11:12], v16 offset:16672
	ds_read_b64 v[32:33], v31 offset:16640
	v_cmp_gt_u32_e64 s[12:13], 12, v14
	s_waitcnt lgkmcnt(0)
	v_fma_f64 v[11:12], v[11:12], v[32:33], 0
	s_and_saveexec_b64 s[16:17], s[12:13]
	s_cbranch_execnz .LBB131_1123
; %bb.584:
	s_or_b64 exec, exec, s[16:17]
	v_cmp_gt_u32_e64 s[12:13], 8, v14
	s_and_saveexec_b64 s[0:1], s[12:13]
	s_cbranch_execnz .LBB131_1124
.LBB131_585:
	s_or_b64 exec, exec, s[0:1]
	v_cmp_gt_u32_e64 s[12:13], 4, v14
	s_and_saveexec_b64 s[0:1], s[12:13]
	s_cbranch_execz .LBB131_587
.LBB131_586:
	v_lshlrev_b32_e32 v31, 3, v0
	v_mov_b32_e32 v33, 0
	ds_read_b64 v[31:32], v31 offset:18208
	ds_read_b64 v[33:34], v33 offset:16664
	s_waitcnt lgkmcnt(0)
	v_fma_f64 v[11:12], v[31:32], v[33:34], v[11:12]
.LBB131_587:
	s_or_b64 exec, exec, s[0:1]
	v_xor_b32_e32 v12, 0x80000000, v12
.LBB131_588:
	s_or_b64 exec, exec, s[14:15]
	s_and_saveexec_b64 s[0:1], s[48:49]
	s_cbranch_execz .LBB131_590
; %bb.589:
	v_mov_b32_e32 v31, 0
	ds_read_b64 v[31:32], v31 offset:18720
	s_waitcnt lgkmcnt(0)
	v_mul_f64 v[11:12], v[11:12], v[31:32]
	ds_write_b64 v18, v[11:12]
.LBB131_590:
	s_or_b64 exec, exec, s[0:1]
	s_waitcnt lgkmcnt(0)
	s_barrier
	s_and_saveexec_b64 s[0:1], s[50:51]
	s_cbranch_execz .LBB131_592
; %bb.591:
	ds_read_b64 v[31:32], v17 offset:18720
	ds_read_b64 v[33:34], v18
	s_waitcnt lgkmcnt(0)
	v_fma_f64 v[11:12], v[31:32], v[33:34], v[11:12]
.LBB131_592:
	s_or_b64 exec, exec, s[0:1]
	s_barrier
	s_and_saveexec_b64 s[0:1], s[52:53]
	s_cbranch_execz .LBB131_594
; %bb.593:
	v_mov_b32_e32 v31, 0
	ds_read_b64 v[31:32], v31 offset:19240
	s_waitcnt lgkmcnt(0)
	v_mul_f64 v[11:12], v[11:12], v[31:32]
	ds_write_b64 v18, v[11:12]
.LBB131_594:
	s_or_b64 exec, exec, s[0:1]
	s_waitcnt lgkmcnt(0)
	s_barrier
	s_and_saveexec_b64 s[0:1], s[54:55]
	s_cbranch_execz .LBB131_596
; %bb.595:
	ds_read_b64 v[31:32], v17 offset:19232
	ds_read_b64 v[33:34], v18
	s_waitcnt lgkmcnt(0)
	v_fma_f64 v[11:12], v[31:32], v[33:34], v[11:12]
.LBB131_596:
	s_or_b64 exec, exec, s[0:1]
	s_barrier
	s_and_saveexec_b64 s[0:1], s[56:57]
	s_cbranch_execz .LBB131_598
; %bb.597:
	v_mov_b32_e32 v31, 0
	ds_read_b64 v[31:32], v31 offset:19760
	s_waitcnt lgkmcnt(0)
	v_mul_f64 v[11:12], v[11:12], v[31:32]
	ds_write_b64 v18, v[11:12]
.LBB131_598:
	s_or_b64 exec, exec, s[0:1]
	s_waitcnt lgkmcnt(0)
	s_barrier
	s_and_saveexec_b64 s[0:1], s[46:47]
	s_cbranch_execz .LBB131_600
; %bb.599:
	v_mov_b32_e32 v31, 0
	ds_read_b64 v[31:32], v31 offset:19768
	ds_read_b64 v[33:34], v18
	s_waitcnt lgkmcnt(0)
	v_fma_f64 v[11:12], v[31:32], v[33:34], v[11:12]
.LBB131_600:
	s_or_b64 exec, exec, s[0:1]
	s_barrier
	s_and_saveexec_b64 s[0:1], s[46:47]
	s_cbranch_execz .LBB131_602
; %bb.601:
	v_mov_b32_e32 v31, 0
	ds_read_b64 v[31:32], v31 offset:20280
	s_waitcnt lgkmcnt(0)
	v_mul_f64 v[11:12], v[11:12], v[31:32]
	ds_write_b64 v18, v[11:12]
.LBB131_602:
	s_or_b64 exec, exec, s[0:1]
	s_waitcnt lgkmcnt(0)
	s_barrier
	s_barrier
	s_and_saveexec_b64 s[0:1], s[18:19]
; %bb.603:
	v_xor_b32_e32 v12, 0x80000000, v12
	ds_write_b64 v16, v[11:12] offset:16672
; %bb.604:
	s_or_b64 exec, exec, s[0:1]
	s_waitcnt lgkmcnt(0)
	s_barrier
	s_barrier
	s_and_saveexec_b64 s[12:13], s[58:59]
	s_cbranch_execz .LBB131_606
; %bb.605:
	v_lshlrev_b32_e32 v31, 9, v0
	ds_read_b64 v[11:12], v31 offset:16672
	s_movk_i32 s0, 0xfe08
	v_mad_i32_i24 v32, v0, s0, v31
	s_waitcnt lgkmcnt(0)
	ds_write_b64 v32, v[11:12] offset:18688
	ds_read_b64 v[11:12], v31 offset:16680
	s_waitcnt lgkmcnt(0)
	ds_write_b64 v32, v[11:12] offset:19200
	ds_read_b64 v[11:12], v31 offset:16688
	;; [unrolled: 3-line block ×3, first 2 shown]
	s_waitcnt lgkmcnt(0)
	ds_write_b64 v32, v[11:12] offset:20224
.LBB131_606:
	s_or_b64 exec, exec, s[12:13]
	s_waitcnt lgkmcnt(0)
	s_barrier
	s_and_saveexec_b64 s[12:13], vcc
	s_cbranch_execz .LBB131_608
; %bb.607:
	v_mov_b32_e32 v11, 0
	ds_read_b128 v[31:34], v11 offset:18720
	ds_read_b64 v[11:12], v11 offset:19240
	s_movk_i32 s0, 0x4800
	s_waitcnt lgkmcnt(0)
	v_mul_f64 v[11:12], v[31:32], v[11:12]
	v_add_u32_e64 v31, s0, 0
	v_mul_f64 v[11:12], v[33:34], v[11:12]
	ds_write2_b64 v31, v[11:12], v[11:12] offset0:37 offset1:100
.LBB131_608:
	s_or_b64 exec, exec, s[12:13]
	v_mov_b32_e32 v11, 0
	v_mov_b32_e32 v12, 0
	s_waitcnt lgkmcnt(0)
	s_barrier
	s_and_saveexec_b64 s[14:15], s[2:3]
	s_cbranch_execz .LBB131_612
; %bb.609:
	v_mul_u32_u24_e32 v31, 0x208, v15
	ds_read_b64 v[11:12], v1 offset:18736
	ds_read_b64 v[31:32], v31 offset:18720
	v_cmp_gt_u32_e64 s[12:13], 2, v14
	s_waitcnt lgkmcnt(0)
	v_fma_f64 v[11:12], v[11:12], v[31:32], 0
	s_and_saveexec_b64 s[16:17], s[12:13]
	s_cbranch_execz .LBB131_611
; %bb.610:
	v_lshlrev_b32_e32 v31, 3, v0
	v_mov_b32_e32 v33, 0
	ds_read_b64 v[31:32], v31 offset:19248
	ds_read_b64 v[33:34], v33 offset:18728
	s_waitcnt lgkmcnt(0)
	v_fma_f64 v[11:12], v[31:32], v[33:34], v[11:12]
.LBB131_611:
	s_or_b64 exec, exec, s[16:17]
	v_xor_b32_e32 v12, 0x80000000, v12
.LBB131_612:
	s_or_b64 exec, exec, s[14:15]
	s_and_saveexec_b64 s[0:1], s[42:43]
	s_cbranch_execz .LBB131_614
; %bb.613:
	v_mov_b32_e32 v31, 0
	ds_read_b64 v[31:32], v31 offset:19760
	s_waitcnt lgkmcnt(0)
	v_mul_f64 v[11:12], v[11:12], v[31:32]
	ds_write_b64 v13, v[11:12]
.LBB131_614:
	s_or_b64 exec, exec, s[0:1]
	s_waitcnt lgkmcnt(0)
	s_barrier
	s_and_saveexec_b64 s[0:1], s[40:41]
	s_cbranch_execz .LBB131_616
; %bb.615:
	v_mov_b32_e32 v31, 0
	ds_read_b64 v[31:32], v31 offset:19768
	ds_read_b64 v[33:34], v13
	s_waitcnt lgkmcnt(0)
	v_fma_f64 v[11:12], v[31:32], v[33:34], v[11:12]
.LBB131_616:
	s_or_b64 exec, exec, s[0:1]
	s_barrier
	s_and_saveexec_b64 s[0:1], s[40:41]
	s_cbranch_execz .LBB131_618
; %bb.617:
	v_mov_b32_e32 v31, 0
	ds_read_b64 v[31:32], v31 offset:20280
	s_waitcnt lgkmcnt(0)
	v_mul_f64 v[11:12], v[11:12], v[31:32]
	ds_write_b64 v13, v[11:12]
.LBB131_618:
	s_or_b64 exec, exec, s[0:1]
	s_waitcnt lgkmcnt(0)
	s_barrier
	s_barrier
	s_and_saveexec_b64 s[0:1], s[2:3]
; %bb.619:
	v_xor_b32_e32 v12, 0x80000000, v12
	ds_write_b64 v1, v[11:12] offset:18736
; %bb.620:
	s_or_b64 exec, exec, s[0:1]
	s_waitcnt lgkmcnt(0)
	s_barrier
	s_barrier
	s_and_saveexec_b64 s[0:1], s[44:45]
	s_cbranch_execz .LBB131_622
; %bb.621:
	v_lshlrev_b32_e32 v31, 3, v0
	s_movk_i32 s12, 0x1f8
	v_mad_u32_u24 v32, v0, s12, v31
	ds_read_b64 v[11:12], v32 offset:18736
	s_waitcnt lgkmcnt(0)
	ds_write_b64 v31, v[11:12] offset:19744
	ds_read_b64 v[11:12], v32 offset:18744
	s_waitcnt lgkmcnt(0)
	ds_write_b64 v31, v[11:12] offset:20256
.LBB131_622:
	s_or_b64 exec, exec, s[0:1]
	s_waitcnt lgkmcnt(0)
	s_barrier
	s_and_saveexec_b64 s[12:13], vcc
	s_cbranch_execz .LBB131_624
; %bb.623:
	v_mov_b32_e32 v11, 0
	ds_read_b128 v[31:34], v11 offset:19760
	ds_read_b64 v[11:12], v11 offset:20280
	s_movk_i32 s0, 0x4800
	s_waitcnt lgkmcnt(0)
	v_mul_f64 v[11:12], v[31:32], v[11:12]
	v_add_u32_e64 v31, s0, 0
	v_mul_f64 v[11:12], v[33:34], v[11:12]
	ds_write2_b64 v31, v[11:12], v[11:12] offset0:167 offset1:230
.LBB131_624:
	s_or_b64 exec, exec, s[12:13]
	v_mov_b32_e32 v11, 0
	v_mov_b32_e32 v12, 0
	s_waitcnt lgkmcnt(0)
	s_barrier
	s_and_saveexec_b64 s[14:15], s[8:9]
	s_cbranch_execz .LBB131_634
; %bb.625:
	v_mul_u32_u24_e32 v31, 0x208, v25
	ds_read_b64 v[11:12], v21 offset:16704
	ds_read_b64 v[32:33], v31 offset:16640
	v_cmp_gt_u32_e64 s[12:13], 56, v14
	s_waitcnt lgkmcnt(0)
	v_fma_f64 v[11:12], v[11:12], v[32:33], 0
	s_and_saveexec_b64 s[16:17], s[12:13]
	s_cbranch_execnz .LBB131_1125
; %bb.626:
	s_or_b64 exec, exec, s[16:17]
	v_cmp_gt_u32_e64 s[12:13], 48, v14
	s_and_saveexec_b64 s[0:1], s[12:13]
	s_cbranch_execnz .LBB131_1126
.LBB131_627:
	s_or_b64 exec, exec, s[0:1]
	v_cmp_gt_u32_e64 s[12:13], 40, v14
	s_and_saveexec_b64 s[0:1], s[12:13]
	s_cbranch_execnz .LBB131_1127
.LBB131_628:
	s_or_b64 exec, exec, s[0:1]
	v_cmp_gt_u32_e64 s[12:13], 32, v14
	s_and_saveexec_b64 s[0:1], s[12:13]
	s_cbranch_execnz .LBB131_1128
.LBB131_629:
	s_or_b64 exec, exec, s[0:1]
	v_cmp_gt_u32_e64 s[12:13], 24, v14
	s_and_saveexec_b64 s[0:1], s[12:13]
	s_cbranch_execnz .LBB131_1129
.LBB131_630:
	s_or_b64 exec, exec, s[0:1]
	v_cmp_gt_u32_e64 s[12:13], 16, v14
	s_and_saveexec_b64 s[0:1], s[12:13]
	s_cbranch_execnz .LBB131_1130
.LBB131_631:
	s_or_b64 exec, exec, s[0:1]
	v_cmp_gt_u32_e64 s[12:13], 8, v14
	s_and_saveexec_b64 s[0:1], s[12:13]
	s_cbranch_execz .LBB131_633
.LBB131_632:
	v_lshlrev_b32_e32 v31, 3, v0
	v_mov_b32_e32 v33, 0
	ds_read_b64 v[31:32], v31 offset:20288
	ds_read_b64 v[33:34], v33 offset:16696
	s_waitcnt lgkmcnt(0)
	v_fma_f64 v[11:12], v[31:32], v[33:34], v[11:12]
.LBB131_633:
	s_or_b64 exec, exec, s[0:1]
	v_xor_b32_e32 v12, 0x80000000, v12
.LBB131_634:
	s_or_b64 exec, exec, s[14:15]
	s_and_saveexec_b64 s[0:1], s[60:61]
	s_cbranch_execz .LBB131_636
; %bb.635:
	v_mov_b32_e32 v31, 0
	ds_read_b64 v[31:32], v31 offset:20800
	s_waitcnt lgkmcnt(0)
	v_mul_f64 v[11:12], v[11:12], v[31:32]
	ds_write_b64 v23, v[11:12]
.LBB131_636:
	s_or_b64 exec, exec, s[0:1]
	s_waitcnt lgkmcnt(0)
	s_barrier
	s_and_saveexec_b64 s[0:1], s[62:63]
	s_cbranch_execz .LBB131_638
; %bb.637:
	ds_read_b64 v[31:32], v22 offset:20800
	ds_read_b64 v[33:34], v23
	s_waitcnt lgkmcnt(0)
	v_fma_f64 v[11:12], v[31:32], v[33:34], v[11:12]
.LBB131_638:
	s_or_b64 exec, exec, s[0:1]
	s_barrier
	s_and_saveexec_b64 s[0:1], s[64:65]
	s_cbranch_execz .LBB131_640
; %bb.639:
	v_mov_b32_e32 v31, 0
	ds_read_b64 v[31:32], v31 offset:21320
	s_waitcnt lgkmcnt(0)
	v_mul_f64 v[11:12], v[11:12], v[31:32]
	ds_write_b64 v23, v[11:12]
.LBB131_640:
	s_or_b64 exec, exec, s[0:1]
	s_waitcnt lgkmcnt(0)
	s_barrier
	s_and_saveexec_b64 s[0:1], s[66:67]
	s_cbranch_execz .LBB131_642
; %bb.641:
	ds_read_b64 v[31:32], v22 offset:21312
	ds_read_b64 v[33:34], v23
	s_waitcnt lgkmcnt(0)
	v_fma_f64 v[11:12], v[31:32], v[33:34], v[11:12]
.LBB131_642:
	s_or_b64 exec, exec, s[0:1]
	s_barrier
	;; [unrolled: 22-line block ×6, first 2 shown]
	s_and_saveexec_b64 s[0:1], s[86:87]
	s_cbranch_execz .LBB131_660
; %bb.659:
	v_mov_b32_e32 v31, 0
	ds_read_b64 v[31:32], v31 offset:23920
	s_waitcnt lgkmcnt(0)
	v_mul_f64 v[11:12], v[11:12], v[31:32]
	ds_write_b64 v23, v[11:12]
.LBB131_660:
	s_or_b64 exec, exec, s[0:1]
	s_waitcnt lgkmcnt(0)
	s_barrier
	s_and_saveexec_b64 s[0:1], s[70:71]
	s_cbranch_execz .LBB131_662
; %bb.661:
	v_mov_b32_e32 v31, 0
	ds_read_b64 v[31:32], v31 offset:23928
	ds_read_b64 v[33:34], v23
	s_waitcnt lgkmcnt(0)
	v_fma_f64 v[11:12], v[31:32], v[33:34], v[11:12]
.LBB131_662:
	s_or_b64 exec, exec, s[0:1]
	s_barrier
	s_and_saveexec_b64 s[0:1], s[70:71]
	s_cbranch_execz .LBB131_664
; %bb.663:
	v_mov_b32_e32 v31, 0
	ds_read_b64 v[31:32], v31 offset:24440
	s_waitcnt lgkmcnt(0)
	v_mul_f64 v[11:12], v[11:12], v[31:32]
	ds_write_b64 v23, v[11:12]
.LBB131_664:
	s_or_b64 exec, exec, s[0:1]
	s_waitcnt lgkmcnt(0)
	s_barrier
	s_barrier
	s_and_saveexec_b64 s[0:1], s[8:9]
; %bb.665:
	v_xor_b32_e32 v12, 0x80000000, v12
	ds_write_b64 v21, v[11:12] offset:16704
; %bb.666:
	s_or_b64 exec, exec, s[0:1]
	s_waitcnt lgkmcnt(0)
	s_barrier
	s_barrier
	s_and_saveexec_b64 s[12:13], s[88:89]
	s_cbranch_execz .LBB131_668
; %bb.667:
	v_lshlrev_b32_e32 v31, 9, v0
	ds_read_b64 v[11:12], v31 offset:16704
	s_movk_i32 s0, 0xfe08
	v_mad_i32_i24 v32, v0, s0, v31
	s_waitcnt lgkmcnt(0)
	ds_write_b64 v32, v[11:12] offset:20736
	ds_read_b64 v[11:12], v31 offset:16712
	s_waitcnt lgkmcnt(0)
	ds_write_b64 v32, v[11:12] offset:21248
	ds_read_b64 v[11:12], v31 offset:16720
	;; [unrolled: 3-line block ×7, first 2 shown]
	s_waitcnt lgkmcnt(0)
	ds_write_b64 v32, v[11:12] offset:24320
.LBB131_668:
	s_or_b64 exec, exec, s[12:13]
	s_waitcnt lgkmcnt(0)
	s_barrier
	s_and_saveexec_b64 s[12:13], vcc
	s_cbranch_execz .LBB131_670
; %bb.669:
	v_mov_b32_e32 v11, 0
	ds_read_b128 v[31:34], v11 offset:20800
	ds_read_b64 v[11:12], v11 offset:21320
	s_movk_i32 s0, 0x5000
	s_waitcnt lgkmcnt(0)
	v_mul_f64 v[11:12], v[31:32], v[11:12]
	v_add_u32_e64 v31, s0, 0
	v_mul_f64 v[11:12], v[33:34], v[11:12]
	ds_write2_b64 v31, v[11:12], v[11:12] offset0:41 offset1:104
.LBB131_670:
	s_or_b64 exec, exec, s[12:13]
	v_mov_b32_e32 v11, 0
	v_mov_b32_e32 v12, 0
	s_waitcnt lgkmcnt(0)
	s_barrier
	s_and_saveexec_b64 s[14:15], s[2:3]
	s_cbranch_execz .LBB131_674
; %bb.671:
	v_mul_u32_u24_e32 v31, 0x208, v15
	ds_read_b64 v[11:12], v1 offset:20816
	ds_read_b64 v[31:32], v31 offset:20800
	v_cmp_gt_u32_e64 s[12:13], 2, v14
	s_waitcnt lgkmcnt(0)
	v_fma_f64 v[11:12], v[11:12], v[31:32], 0
	s_and_saveexec_b64 s[16:17], s[12:13]
	s_cbranch_execz .LBB131_673
; %bb.672:
	v_lshlrev_b32_e32 v31, 3, v0
	v_mov_b32_e32 v33, 0
	ds_read_b64 v[31:32], v31 offset:21328
	ds_read_b64 v[33:34], v33 offset:20808
	s_waitcnt lgkmcnt(0)
	v_fma_f64 v[11:12], v[31:32], v[33:34], v[11:12]
.LBB131_673:
	s_or_b64 exec, exec, s[16:17]
	v_xor_b32_e32 v12, 0x80000000, v12
.LBB131_674:
	s_or_b64 exec, exec, s[14:15]
	s_and_saveexec_b64 s[0:1], s[42:43]
	s_cbranch_execz .LBB131_676
; %bb.675:
	v_mov_b32_e32 v31, 0
	ds_read_b64 v[31:32], v31 offset:21840
	s_waitcnt lgkmcnt(0)
	v_mul_f64 v[11:12], v[11:12], v[31:32]
	ds_write_b64 v13, v[11:12]
.LBB131_676:
	s_or_b64 exec, exec, s[0:1]
	s_waitcnt lgkmcnt(0)
	s_barrier
	s_and_saveexec_b64 s[0:1], s[40:41]
	s_cbranch_execz .LBB131_678
; %bb.677:
	v_mov_b32_e32 v31, 0
	ds_read_b64 v[31:32], v31 offset:21848
	ds_read_b64 v[33:34], v13
	s_waitcnt lgkmcnt(0)
	v_fma_f64 v[11:12], v[31:32], v[33:34], v[11:12]
.LBB131_678:
	s_or_b64 exec, exec, s[0:1]
	s_barrier
	s_and_saveexec_b64 s[0:1], s[40:41]
	s_cbranch_execz .LBB131_680
; %bb.679:
	v_mov_b32_e32 v31, 0
	ds_read_b64 v[31:32], v31 offset:22360
	s_waitcnt lgkmcnt(0)
	v_mul_f64 v[11:12], v[11:12], v[31:32]
	ds_write_b64 v13, v[11:12]
.LBB131_680:
	s_or_b64 exec, exec, s[0:1]
	s_waitcnt lgkmcnt(0)
	s_barrier
	s_barrier
	s_and_saveexec_b64 s[0:1], s[2:3]
; %bb.681:
	v_xor_b32_e32 v12, 0x80000000, v12
	ds_write_b64 v1, v[11:12] offset:20816
; %bb.682:
	s_or_b64 exec, exec, s[0:1]
	s_waitcnt lgkmcnt(0)
	s_barrier
	s_barrier
	s_and_saveexec_b64 s[0:1], s[44:45]
	s_cbranch_execz .LBB131_684
; %bb.683:
	v_lshlrev_b32_e32 v31, 3, v0
	s_movk_i32 s12, 0x1f8
	v_mad_u32_u24 v32, v0, s12, v31
	ds_read_b64 v[11:12], v32 offset:20816
	s_waitcnt lgkmcnt(0)
	ds_write_b64 v31, v[11:12] offset:21824
	ds_read_b64 v[11:12], v32 offset:20824
	s_waitcnt lgkmcnt(0)
	ds_write_b64 v31, v[11:12] offset:22336
.LBB131_684:
	s_or_b64 exec, exec, s[0:1]
	s_waitcnt lgkmcnt(0)
	s_barrier
	s_and_saveexec_b64 s[12:13], vcc
	s_cbranch_execz .LBB131_686
; %bb.685:
	v_mov_b32_e32 v11, 0
	ds_read_b128 v[31:34], v11 offset:21840
	ds_read_b64 v[11:12], v11 offset:22360
	s_movk_i32 s0, 0x5000
	s_waitcnt lgkmcnt(0)
	v_mul_f64 v[11:12], v[31:32], v[11:12]
	v_add_u32_e64 v31, s0, 0
	v_mul_f64 v[11:12], v[33:34], v[11:12]
	ds_write2_b64 v31, v[11:12], v[11:12] offset0:171 offset1:234
.LBB131_686:
	s_or_b64 exec, exec, s[12:13]
	v_mov_b32_e32 v11, 0
	v_mov_b32_e32 v12, 0
	s_waitcnt lgkmcnt(0)
	s_barrier
	s_and_saveexec_b64 s[14:15], s[18:19]
	s_cbranch_execz .LBB131_692
; %bb.687:
	v_mul_u32_u24_e32 v31, 0x208, v20
	ds_read_b64 v[11:12], v16 offset:20832
	ds_read_b64 v[32:33], v31 offset:20800
	v_cmp_gt_u32_e64 s[12:13], 12, v14
	s_waitcnt lgkmcnt(0)
	v_fma_f64 v[11:12], v[11:12], v[32:33], 0
	s_and_saveexec_b64 s[16:17], s[12:13]
	s_cbranch_execnz .LBB131_1131
; %bb.688:
	s_or_b64 exec, exec, s[16:17]
	v_cmp_gt_u32_e64 s[12:13], 8, v14
	s_and_saveexec_b64 s[0:1], s[12:13]
	s_cbranch_execnz .LBB131_1132
.LBB131_689:
	s_or_b64 exec, exec, s[0:1]
	v_cmp_gt_u32_e64 s[12:13], 4, v14
	s_and_saveexec_b64 s[0:1], s[12:13]
	s_cbranch_execz .LBB131_691
.LBB131_690:
	v_lshlrev_b32_e32 v31, 3, v0
	v_mov_b32_e32 v33, 0
	ds_read_b64 v[31:32], v31 offset:22368
	ds_read_b64 v[33:34], v33 offset:20824
	s_waitcnt lgkmcnt(0)
	v_fma_f64 v[11:12], v[31:32], v[33:34], v[11:12]
.LBB131_691:
	s_or_b64 exec, exec, s[0:1]
	v_xor_b32_e32 v12, 0x80000000, v12
.LBB131_692:
	s_or_b64 exec, exec, s[14:15]
	s_and_saveexec_b64 s[0:1], s[48:49]
	s_cbranch_execz .LBB131_694
; %bb.693:
	v_mov_b32_e32 v31, 0
	ds_read_b64 v[31:32], v31 offset:22880
	s_waitcnt lgkmcnt(0)
	v_mul_f64 v[11:12], v[11:12], v[31:32]
	ds_write_b64 v18, v[11:12]
.LBB131_694:
	s_or_b64 exec, exec, s[0:1]
	s_waitcnt lgkmcnt(0)
	s_barrier
	s_and_saveexec_b64 s[0:1], s[50:51]
	s_cbranch_execz .LBB131_696
; %bb.695:
	ds_read_b64 v[31:32], v17 offset:22880
	ds_read_b64 v[33:34], v18
	s_waitcnt lgkmcnt(0)
	v_fma_f64 v[11:12], v[31:32], v[33:34], v[11:12]
.LBB131_696:
	s_or_b64 exec, exec, s[0:1]
	s_barrier
	s_and_saveexec_b64 s[0:1], s[52:53]
	s_cbranch_execz .LBB131_698
; %bb.697:
	v_mov_b32_e32 v31, 0
	ds_read_b64 v[31:32], v31 offset:23400
	s_waitcnt lgkmcnt(0)
	v_mul_f64 v[11:12], v[11:12], v[31:32]
	ds_write_b64 v18, v[11:12]
.LBB131_698:
	s_or_b64 exec, exec, s[0:1]
	s_waitcnt lgkmcnt(0)
	s_barrier
	s_and_saveexec_b64 s[0:1], s[54:55]
	s_cbranch_execz .LBB131_700
; %bb.699:
	ds_read_b64 v[31:32], v17 offset:23392
	ds_read_b64 v[33:34], v18
	s_waitcnt lgkmcnt(0)
	v_fma_f64 v[11:12], v[31:32], v[33:34], v[11:12]
.LBB131_700:
	s_or_b64 exec, exec, s[0:1]
	s_barrier
	s_and_saveexec_b64 s[0:1], s[56:57]
	s_cbranch_execz .LBB131_702
; %bb.701:
	v_mov_b32_e32 v31, 0
	ds_read_b64 v[31:32], v31 offset:23920
	s_waitcnt lgkmcnt(0)
	v_mul_f64 v[11:12], v[11:12], v[31:32]
	ds_write_b64 v18, v[11:12]
.LBB131_702:
	s_or_b64 exec, exec, s[0:1]
	s_waitcnt lgkmcnt(0)
	s_barrier
	s_and_saveexec_b64 s[0:1], s[46:47]
	s_cbranch_execz .LBB131_704
; %bb.703:
	v_mov_b32_e32 v31, 0
	ds_read_b64 v[31:32], v31 offset:23928
	ds_read_b64 v[33:34], v18
	s_waitcnt lgkmcnt(0)
	v_fma_f64 v[11:12], v[31:32], v[33:34], v[11:12]
.LBB131_704:
	s_or_b64 exec, exec, s[0:1]
	s_barrier
	s_and_saveexec_b64 s[0:1], s[46:47]
	s_cbranch_execz .LBB131_706
; %bb.705:
	v_mov_b32_e32 v31, 0
	ds_read_b64 v[31:32], v31 offset:24440
	s_waitcnt lgkmcnt(0)
	v_mul_f64 v[11:12], v[11:12], v[31:32]
	ds_write_b64 v18, v[11:12]
.LBB131_706:
	s_or_b64 exec, exec, s[0:1]
	s_waitcnt lgkmcnt(0)
	s_barrier
	s_barrier
	s_and_saveexec_b64 s[0:1], s[18:19]
; %bb.707:
	v_xor_b32_e32 v12, 0x80000000, v12
	ds_write_b64 v16, v[11:12] offset:20832
; %bb.708:
	s_or_b64 exec, exec, s[0:1]
	s_waitcnt lgkmcnt(0)
	s_barrier
	s_barrier
	s_and_saveexec_b64 s[12:13], s[58:59]
	s_cbranch_execz .LBB131_710
; %bb.709:
	v_lshlrev_b32_e32 v31, 9, v0
	ds_read_b64 v[11:12], v31 offset:20832
	s_movk_i32 s0, 0xfe08
	v_mad_i32_i24 v32, v0, s0, v31
	s_waitcnt lgkmcnt(0)
	ds_write_b64 v32, v[11:12] offset:22848
	ds_read_b64 v[11:12], v31 offset:20840
	s_waitcnt lgkmcnt(0)
	ds_write_b64 v32, v[11:12] offset:23360
	ds_read_b64 v[11:12], v31 offset:20848
	s_waitcnt lgkmcnt(0)
	ds_write_b64 v32, v[11:12] offset:23872
	ds_read_b64 v[11:12], v31 offset:20856
	s_waitcnt lgkmcnt(0)
	ds_write_b64 v32, v[11:12] offset:24384
.LBB131_710:
	s_or_b64 exec, exec, s[12:13]
	s_waitcnt lgkmcnt(0)
	s_barrier
	s_and_saveexec_b64 s[12:13], vcc
	s_cbranch_execz .LBB131_712
; %bb.711:
	v_mov_b32_e32 v11, 0
	ds_read_b128 v[31:34], v11 offset:22880
	ds_read_b64 v[11:12], v11 offset:23400
	s_movk_i32 s0, 0x5800
	s_waitcnt lgkmcnt(0)
	v_mul_f64 v[11:12], v[31:32], v[11:12]
	v_add_u32_e64 v31, s0, 0
	v_mul_f64 v[11:12], v[33:34], v[11:12]
	ds_write2_b64 v31, v[11:12], v[11:12] offset0:45 offset1:108
.LBB131_712:
	s_or_b64 exec, exec, s[12:13]
	v_mov_b32_e32 v11, 0
	v_mov_b32_e32 v12, 0
	s_waitcnt lgkmcnt(0)
	s_barrier
	s_and_saveexec_b64 s[14:15], s[2:3]
	s_cbranch_execz .LBB131_716
; %bb.713:
	v_mul_u32_u24_e32 v31, 0x208, v15
	ds_read_b64 v[11:12], v1 offset:22896
	ds_read_b64 v[31:32], v31 offset:22880
	v_cmp_gt_u32_e64 s[12:13], 2, v14
	s_waitcnt lgkmcnt(0)
	v_fma_f64 v[11:12], v[11:12], v[31:32], 0
	s_and_saveexec_b64 s[16:17], s[12:13]
	s_cbranch_execz .LBB131_715
; %bb.714:
	v_lshlrev_b32_e32 v31, 3, v0
	v_mov_b32_e32 v33, 0
	ds_read_b64 v[31:32], v31 offset:23408
	ds_read_b64 v[33:34], v33 offset:22888
	s_waitcnt lgkmcnt(0)
	v_fma_f64 v[11:12], v[31:32], v[33:34], v[11:12]
.LBB131_715:
	s_or_b64 exec, exec, s[16:17]
	v_xor_b32_e32 v12, 0x80000000, v12
.LBB131_716:
	s_or_b64 exec, exec, s[14:15]
	s_and_saveexec_b64 s[0:1], s[42:43]
	s_cbranch_execz .LBB131_718
; %bb.717:
	v_mov_b32_e32 v31, 0
	ds_read_b64 v[31:32], v31 offset:23920
	s_waitcnt lgkmcnt(0)
	v_mul_f64 v[11:12], v[11:12], v[31:32]
	ds_write_b64 v13, v[11:12]
.LBB131_718:
	s_or_b64 exec, exec, s[0:1]
	s_waitcnt lgkmcnt(0)
	s_barrier
	s_and_saveexec_b64 s[0:1], s[40:41]
	s_cbranch_execz .LBB131_720
; %bb.719:
	v_mov_b32_e32 v31, 0
	ds_read_b64 v[31:32], v31 offset:23928
	ds_read_b64 v[33:34], v13
	s_waitcnt lgkmcnt(0)
	v_fma_f64 v[11:12], v[31:32], v[33:34], v[11:12]
.LBB131_720:
	s_or_b64 exec, exec, s[0:1]
	s_barrier
	s_and_saveexec_b64 s[0:1], s[40:41]
	s_cbranch_execz .LBB131_722
; %bb.721:
	v_mov_b32_e32 v31, 0
	ds_read_b64 v[31:32], v31 offset:24440
	s_waitcnt lgkmcnt(0)
	v_mul_f64 v[11:12], v[11:12], v[31:32]
	ds_write_b64 v13, v[11:12]
.LBB131_722:
	s_or_b64 exec, exec, s[0:1]
	s_waitcnt lgkmcnt(0)
	s_barrier
	s_barrier
	s_and_saveexec_b64 s[0:1], s[2:3]
; %bb.723:
	v_xor_b32_e32 v12, 0x80000000, v12
	ds_write_b64 v1, v[11:12] offset:22896
; %bb.724:
	s_or_b64 exec, exec, s[0:1]
	s_waitcnt lgkmcnt(0)
	s_barrier
	s_barrier
	s_and_saveexec_b64 s[0:1], s[44:45]
	s_cbranch_execz .LBB131_726
; %bb.725:
	v_lshlrev_b32_e32 v31, 3, v0
	s_movk_i32 s12, 0x1f8
	v_mad_u32_u24 v32, v0, s12, v31
	ds_read_b64 v[11:12], v32 offset:22896
	s_waitcnt lgkmcnt(0)
	ds_write_b64 v31, v[11:12] offset:23904
	ds_read_b64 v[11:12], v32 offset:22904
	s_waitcnt lgkmcnt(0)
	ds_write_b64 v31, v[11:12] offset:24416
.LBB131_726:
	s_or_b64 exec, exec, s[0:1]
	s_waitcnt lgkmcnt(0)
	s_barrier
	s_and_saveexec_b64 s[12:13], vcc
	s_cbranch_execz .LBB131_728
; %bb.727:
	v_mov_b32_e32 v11, 0
	ds_read_b128 v[31:34], v11 offset:23920
	ds_read_b64 v[11:12], v11 offset:24440
	s_movk_i32 s0, 0x5800
	s_waitcnt lgkmcnt(0)
	v_mul_f64 v[11:12], v[31:32], v[11:12]
	v_add_u32_e64 v31, s0, 0
	v_mul_f64 v[11:12], v[33:34], v[11:12]
	ds_write2_b64 v31, v[11:12], v[11:12] offset0:175 offset1:238
.LBB131_728:
	s_or_b64 exec, exec, s[12:13]
	v_mov_b32_e32 v11, 0
	v_mov_b32_e32 v12, 0
	s_waitcnt lgkmcnt(0)
	s_barrier
	s_and_saveexec_b64 s[14:15], s[10:11]
	s_cbranch_execz .LBB131_756
; %bb.729:
	v_mul_u32_u24_e32 v31, 0x208, v30
	ds_read_b64 v[11:12], v26 offset:16768
	ds_read_b64 v[32:33], v31 offset:16640
	s_movk_i32 s0, 0xf0
	v_cmp_gt_u32_e64 s[12:13], s0, v14
	s_waitcnt lgkmcnt(0)
	v_fma_f64 v[11:12], v[11:12], v[32:33], 0
	s_and_saveexec_b64 s[16:17], s[12:13]
	s_cbranch_execz .LBB131_731
; %bb.730:
	v_lshlrev_b32_e32 v32, 3, v30
	v_sub_u32_e32 v32, v31, v32
	v_lshl_add_u32 v32, v27, 3, v32
	ds_read_b64 v[32:33], v32 offset:17280
	ds_read_b64 v[34:35], v31 offset:16648
	s_waitcnt lgkmcnt(0)
	v_fma_f64 v[11:12], v[32:33], v[34:35], v[11:12]
.LBB131_731:
	s_or_b64 exec, exec, s[16:17]
	s_movk_i32 s0, 0xe0
	v_cmp_gt_u32_e64 s[12:13], s0, v14
	s_and_saveexec_b64 s[0:1], s[12:13]
	s_cbranch_execz .LBB131_733
; %bb.732:
	v_lshlrev_b32_e32 v32, 3, v30
	v_sub_u32_e32 v32, v31, v32
	v_lshl_add_u32 v32, v27, 3, v32
	ds_read_b64 v[32:33], v32 offset:17792
	ds_read_b64 v[34:35], v31 offset:16656
	s_waitcnt lgkmcnt(0)
	v_fma_f64 v[11:12], v[32:33], v[34:35], v[11:12]
.LBB131_733:
	s_or_b64 exec, exec, s[0:1]
	s_movk_i32 s0, 0xd0
	v_cmp_gt_u32_e64 s[12:13], s0, v14
	;; [unrolled: 14-line block ×7, first 2 shown]
	s_and_saveexec_b64 s[0:1], s[12:13]
	s_cbranch_execz .LBB131_745
; %bb.744:
	ds_read_b64 v[32:33], v26 offset:20864
	ds_read_b64 v[34:35], v31 offset:16704
	s_waitcnt lgkmcnt(0)
	v_fma_f64 v[11:12], v[32:33], v[34:35], v[11:12]
.LBB131_745:
	s_or_b64 exec, exec, s[0:1]
	s_movk_i32 s0, 0x70
	v_cmp_gt_u32_e64 s[12:13], s0, v14
	s_and_saveexec_b64 s[0:1], s[12:13]
	s_cbranch_execz .LBB131_747
; %bb.746:
	v_lshlrev_b32_e32 v30, 3, v27
	v_lshl_add_u32 v30, v29, 3, v30
	ds_read_b64 v[32:33], v30 offset:21376
	ds_read_b64 v[34:35], v31 offset:16712
	s_waitcnt lgkmcnt(0)
	v_fma_f64 v[11:12], v[32:33], v[34:35], v[11:12]
.LBB131_747:
	s_or_b64 exec, exec, s[0:1]
	s_movk_i32 s0, 0x60
	v_cmp_gt_u32_e64 s[12:13], s0, v14
	s_and_saveexec_b64 s[0:1], s[12:13]
	s_cbranch_execz .LBB131_749
; %bb.748:
	v_lshlrev_b32_e32 v30, 3, v27
	v_lshl_add_u32 v30, v29, 3, v30
	ds_read_b64 v[32:33], v30 offset:21888
	ds_read_b64 v[34:35], v31 offset:16720
	s_waitcnt lgkmcnt(0)
	v_fma_f64 v[11:12], v[32:33], v[34:35], v[11:12]
.LBB131_749:
	s_or_b64 exec, exec, s[0:1]
	s_movk_i32 s0, 0x50
	v_cmp_gt_u32_e64 s[12:13], s0, v14
	s_and_saveexec_b64 s[0:1], s[12:13]
	s_cbranch_execnz .LBB131_1133
; %bb.750:
	s_or_b64 exec, exec, s[0:1]
	v_cmp_gt_u32_e64 s[12:13], 64, v14
	s_and_saveexec_b64 s[0:1], s[12:13]
	s_cbranch_execnz .LBB131_1134
.LBB131_751:
	s_or_b64 exec, exec, s[0:1]
	v_cmp_gt_u32_e64 s[12:13], 48, v14
	s_and_saveexec_b64 s[0:1], s[12:13]
	s_cbranch_execnz .LBB131_1135
.LBB131_752:
	s_or_b64 exec, exec, s[0:1]
	v_cmp_gt_u32_e64 s[12:13], 32, v14
	s_and_saveexec_b64 s[0:1], s[12:13]
	s_cbranch_execnz .LBB131_1136
.LBB131_753:
	s_or_b64 exec, exec, s[0:1]
	v_cmp_gt_u32_e64 s[12:13], 16, v14
	s_and_saveexec_b64 s[0:1], s[12:13]
	s_cbranch_execz .LBB131_755
.LBB131_754:
	v_lshlrev_b32_e32 v29, 3, v0
	v_mov_b32_e32 v31, 0
	ds_read_b64 v[29:30], v29 offset:24448
	ds_read_b64 v[31:32], v31 offset:16760
	s_waitcnt lgkmcnt(0)
	v_fma_f64 v[11:12], v[29:30], v[31:32], v[11:12]
.LBB131_755:
	s_or_b64 exec, exec, s[0:1]
	v_xor_b32_e32 v12, 0x80000000, v12
.LBB131_756:
	s_or_b64 exec, exec, s[14:15]
	s_mov_b64 s[0:1], exec
	v_readlane_b32 s12, v42, 7
	v_readlane_b32 s13, v42, 8
	s_and_b64 s[12:13], s[0:1], s[12:13]
	s_mov_b64 exec, s[12:13]
	s_cbranch_execz .LBB131_758
; %bb.757:
	v_mov_b32_e32 v29, 0
	ds_read_b64 v[29:30], v29 offset:24960
	s_waitcnt lgkmcnt(0)
	v_mul_f64 v[11:12], v[11:12], v[29:30]
	ds_write_b64 v28, v[11:12]
.LBB131_758:
	s_or_b64 exec, exec, s[0:1]
	s_waitcnt lgkmcnt(0)
	s_barrier
	s_mov_b64 s[0:1], exec
	v_readlane_b32 s12, v42, 9
	v_readlane_b32 s13, v42, 10
	s_and_b64 s[12:13], s[0:1], s[12:13]
	s_mov_b64 exec, s[12:13]
	s_cbranch_execz .LBB131_760
; %bb.759:
	v_lshlrev_b32_e32 v29, 3, v27
	ds_read_b64 v[29:30], v29 offset:24960
	ds_read_b64 v[31:32], v28
	s_waitcnt lgkmcnt(0)
	v_fma_f64 v[11:12], v[29:30], v[31:32], v[11:12]
.LBB131_760:
	s_or_b64 exec, exec, s[0:1]
	s_barrier
	s_mov_b64 s[0:1], exec
	v_readlane_b32 s12, v42, 11
	v_readlane_b32 s13, v42, 12
	s_and_b64 s[12:13], s[0:1], s[12:13]
	s_mov_b64 exec, s[12:13]
	s_cbranch_execz .LBB131_762
; %bb.761:
	v_mov_b32_e32 v29, 0
	ds_read_b64 v[29:30], v29 offset:25480
	s_waitcnt lgkmcnt(0)
	v_mul_f64 v[11:12], v[11:12], v[29:30]
	ds_write_b64 v28, v[11:12]
.LBB131_762:
	s_or_b64 exec, exec, s[0:1]
	s_waitcnt lgkmcnt(0)
	s_barrier
	s_mov_b64 s[0:1], exec
	v_readlane_b32 s12, v42, 13
	v_readlane_b32 s13, v42, 14
	s_and_b64 s[12:13], s[0:1], s[12:13]
	s_mov_b64 exec, s[12:13]
	s_cbranch_execz .LBB131_764
; %bb.763:
	v_lshlrev_b32_e32 v29, 3, v27
	ds_read_b64 v[29:30], v29 offset:25472
	ds_read_b64 v[31:32], v28
	s_waitcnt lgkmcnt(0)
	v_fma_f64 v[11:12], v[29:30], v[31:32], v[11:12]
.LBB131_764:
	s_or_b64 exec, exec, s[0:1]
	s_barrier
	;; [unrolled: 31-line block ×14, first 2 shown]
	s_mov_b64 s[0:1], exec
	v_readlane_b32 s12, v42, 63
	v_readlane_b32 s13, v41, 0
	s_and_b64 s[12:13], s[0:1], s[12:13]
	s_mov_b64 exec, s[12:13]
	s_cbranch_execz .LBB131_814
; %bb.813:
	v_mov_b32_e32 v27, 0
	ds_read_b64 v[29:30], v27 offset:32240
	s_waitcnt lgkmcnt(0)
	v_mul_f64 v[11:12], v[11:12], v[29:30]
	ds_write_b64 v28, v[11:12]
.LBB131_814:
	s_or_b64 exec, exec, s[0:1]
	s_waitcnt lgkmcnt(0)
	s_barrier
	s_and_saveexec_b64 s[0:1], s[36:37]
	s_cbranch_execz .LBB131_816
; %bb.815:
	v_mov_b32_e32 v27, 0
	ds_read_b64 v[29:30], v27 offset:32248
	ds_read_b64 v[31:32], v28
	s_waitcnt lgkmcnt(0)
	v_fma_f64 v[11:12], v[29:30], v[31:32], v[11:12]
.LBB131_816:
	s_or_b64 exec, exec, s[0:1]
	s_barrier
	s_and_saveexec_b64 s[0:1], s[36:37]
	s_cbranch_execz .LBB131_818
; %bb.817:
	v_mov_b32_e32 v27, 0
	ds_read_b64 v[29:30], v27 offset:32760
	s_waitcnt lgkmcnt(0)
	v_mul_f64 v[11:12], v[11:12], v[29:30]
	ds_write_b64 v28, v[11:12]
.LBB131_818:
	s_or_b64 exec, exec, s[0:1]
	s_waitcnt lgkmcnt(0)
	s_barrier
	s_barrier
	s_and_saveexec_b64 s[0:1], s[10:11]
; %bb.819:
	v_xor_b32_e32 v12, 0x80000000, v12
	ds_write_b64 v26, v[11:12] offset:16768
; %bb.820:
	s_or_b64 exec, exec, s[0:1]
	s_waitcnt lgkmcnt(0)
	s_barrier
	s_barrier
	s_and_saveexec_b64 s[0:1], s[92:93]
	s_cbranch_execz .LBB131_822
; %bb.821:
	v_lshlrev_b32_e32 v26, 9, v0
	ds_read_b64 v[11:12], v26 offset:16768
	s_movk_i32 s10, 0xfe08
	v_mad_i32_i24 v27, v0, s10, v26
	s_waitcnt lgkmcnt(0)
	ds_write_b64 v27, v[11:12] offset:24832
	ds_read_b64 v[11:12], v26 offset:16776
	s_waitcnt lgkmcnt(0)
	ds_write_b64 v27, v[11:12] offset:25344
	ds_read_b64 v[11:12], v26 offset:16784
	;; [unrolled: 3-line block ×15, first 2 shown]
	s_waitcnt lgkmcnt(0)
	ds_write_b64 v27, v[11:12] offset:32512
.LBB131_822:
	s_or_b64 exec, exec, s[0:1]
	s_waitcnt lgkmcnt(0)
	s_barrier
	s_and_saveexec_b64 s[0:1], vcc
	s_cbranch_execz .LBB131_824
; %bb.823:
	v_mov_b32_e32 v11, 0
	ds_read_b128 v[26:29], v11 offset:24960
	ds_read_b64 v[11:12], v11 offset:25480
	s_movk_i32 s10, 0x6000
	s_waitcnt lgkmcnt(0)
	v_mul_f64 v[11:12], v[26:27], v[11:12]
	v_add_u32_e64 v26, s10, 0
	v_mul_f64 v[11:12], v[28:29], v[11:12]
	ds_write2_b64 v26, v[11:12], v[11:12] offset0:49 offset1:112
.LBB131_824:
	s_or_b64 exec, exec, s[0:1]
	v_mov_b32_e32 v11, 0
	v_mov_b32_e32 v12, 0
	s_waitcnt lgkmcnt(0)
	s_barrier
	s_and_saveexec_b64 s[0:1], s[2:3]
	s_cbranch_execz .LBB131_828
; %bb.825:
	v_mul_u32_u24_e32 v26, 0x208, v15
	ds_read_b64 v[11:12], v1 offset:24976
	ds_read_b64 v[26:27], v26 offset:24960
	v_cmp_gt_u32_e64 s[10:11], 2, v14
	s_waitcnt lgkmcnt(0)
	v_fma_f64 v[11:12], v[11:12], v[26:27], 0
	s_and_saveexec_b64 s[12:13], s[10:11]
	s_cbranch_execz .LBB131_827
; %bb.826:
	v_lshlrev_b32_e32 v26, 3, v0
	v_mov_b32_e32 v28, 0
	ds_read_b64 v[26:27], v26 offset:25488
	ds_read_b64 v[28:29], v28 offset:24968
	s_waitcnt lgkmcnt(0)
	v_fma_f64 v[11:12], v[26:27], v[28:29], v[11:12]
.LBB131_827:
	s_or_b64 exec, exec, s[12:13]
	v_xor_b32_e32 v12, 0x80000000, v12
.LBB131_828:
	s_or_b64 exec, exec, s[0:1]
	s_and_saveexec_b64 s[0:1], s[42:43]
	s_cbranch_execz .LBB131_830
; %bb.829:
	v_mov_b32_e32 v26, 0
	ds_read_b64 v[26:27], v26 offset:26000
	s_waitcnt lgkmcnt(0)
	v_mul_f64 v[11:12], v[11:12], v[26:27]
	ds_write_b64 v13, v[11:12]
.LBB131_830:
	s_or_b64 exec, exec, s[0:1]
	s_waitcnt lgkmcnt(0)
	s_barrier
	s_and_saveexec_b64 s[0:1], s[40:41]
	s_cbranch_execz .LBB131_832
; %bb.831:
	v_mov_b32_e32 v26, 0
	ds_read_b64 v[26:27], v26 offset:26008
	ds_read_b64 v[28:29], v13
	s_waitcnt lgkmcnt(0)
	v_fma_f64 v[11:12], v[26:27], v[28:29], v[11:12]
.LBB131_832:
	s_or_b64 exec, exec, s[0:1]
	s_barrier
	s_and_saveexec_b64 s[0:1], s[40:41]
	s_cbranch_execz .LBB131_834
; %bb.833:
	v_mov_b32_e32 v26, 0
	ds_read_b64 v[26:27], v26 offset:26520
	s_waitcnt lgkmcnt(0)
	v_mul_f64 v[11:12], v[11:12], v[26:27]
	ds_write_b64 v13, v[11:12]
.LBB131_834:
	s_or_b64 exec, exec, s[0:1]
	s_waitcnt lgkmcnt(0)
	s_barrier
	s_barrier
	s_and_saveexec_b64 s[0:1], s[2:3]
; %bb.835:
	v_xor_b32_e32 v12, 0x80000000, v12
	ds_write_b64 v1, v[11:12] offset:24976
; %bb.836:
	s_or_b64 exec, exec, s[0:1]
	s_waitcnt lgkmcnt(0)
	s_barrier
	s_barrier
	s_and_saveexec_b64 s[0:1], s[44:45]
	s_cbranch_execz .LBB131_838
; %bb.837:
	v_lshlrev_b32_e32 v26, 3, v0
	s_movk_i32 s10, 0x1f8
	v_mad_u32_u24 v27, v0, s10, v26
	ds_read_b64 v[11:12], v27 offset:24976
	s_waitcnt lgkmcnt(0)
	ds_write_b64 v26, v[11:12] offset:25984
	ds_read_b64 v[11:12], v27 offset:24984
	s_waitcnt lgkmcnt(0)
	ds_write_b64 v26, v[11:12] offset:26496
.LBB131_838:
	s_or_b64 exec, exec, s[0:1]
	s_waitcnt lgkmcnt(0)
	s_barrier
	s_and_saveexec_b64 s[0:1], vcc
	s_cbranch_execz .LBB131_840
; %bb.839:
	v_mov_b32_e32 v11, 0
	ds_read_b128 v[26:29], v11 offset:26000
	ds_read_b64 v[11:12], v11 offset:26520
	s_movk_i32 s10, 0x6000
	s_waitcnt lgkmcnt(0)
	v_mul_f64 v[11:12], v[26:27], v[11:12]
	v_add_u32_e64 v26, s10, 0
	v_mul_f64 v[11:12], v[28:29], v[11:12]
	ds_write2_b64 v26, v[11:12], v[11:12] offset0:179 offset1:242
.LBB131_840:
	s_or_b64 exec, exec, s[0:1]
	v_mov_b32_e32 v11, 0
	v_mov_b32_e32 v12, 0
	s_waitcnt lgkmcnt(0)
	s_barrier
	s_and_saveexec_b64 s[0:1], s[18:19]
	s_cbranch_execz .LBB131_846
; %bb.841:
	v_mul_u32_u24_e32 v26, 0x208, v20
	ds_read_b64 v[11:12], v16 offset:24992
	ds_read_b64 v[27:28], v26 offset:24960
	v_cmp_gt_u32_e64 s[10:11], 12, v14
	s_waitcnt lgkmcnt(0)
	v_fma_f64 v[11:12], v[11:12], v[27:28], 0
	s_and_saveexec_b64 s[12:13], s[10:11]
	s_cbranch_execnz .LBB131_1137
; %bb.842:
	s_or_b64 exec, exec, s[12:13]
	v_cmp_gt_u32_e64 s[10:11], 8, v14
	s_and_saveexec_b64 s[12:13], s[10:11]
	s_cbranch_execnz .LBB131_1138
.LBB131_843:
	s_or_b64 exec, exec, s[12:13]
	v_cmp_gt_u32_e64 s[10:11], 4, v14
	s_and_saveexec_b64 s[12:13], s[10:11]
	s_cbranch_execz .LBB131_845
.LBB131_844:
	v_lshlrev_b32_e32 v26, 3, v0
	v_mov_b32_e32 v28, 0
	ds_read_b64 v[26:27], v26 offset:26528
	ds_read_b64 v[28:29], v28 offset:24984
	s_waitcnt lgkmcnt(0)
	v_fma_f64 v[11:12], v[26:27], v[28:29], v[11:12]
.LBB131_845:
	s_or_b64 exec, exec, s[12:13]
	v_xor_b32_e32 v12, 0x80000000, v12
.LBB131_846:
	s_or_b64 exec, exec, s[0:1]
	s_and_saveexec_b64 s[0:1], s[48:49]
	s_cbranch_execz .LBB131_848
; %bb.847:
	v_mov_b32_e32 v26, 0
	ds_read_b64 v[26:27], v26 offset:27040
	s_waitcnt lgkmcnt(0)
	v_mul_f64 v[11:12], v[11:12], v[26:27]
	ds_write_b64 v18, v[11:12]
.LBB131_848:
	s_or_b64 exec, exec, s[0:1]
	s_waitcnt lgkmcnt(0)
	s_barrier
	s_and_saveexec_b64 s[0:1], s[50:51]
	s_cbranch_execz .LBB131_850
; %bb.849:
	ds_read_b64 v[26:27], v17 offset:27040
	ds_read_b64 v[28:29], v18
	s_waitcnt lgkmcnt(0)
	v_fma_f64 v[11:12], v[26:27], v[28:29], v[11:12]
.LBB131_850:
	s_or_b64 exec, exec, s[0:1]
	s_barrier
	s_and_saveexec_b64 s[0:1], s[52:53]
	s_cbranch_execz .LBB131_852
; %bb.851:
	v_mov_b32_e32 v26, 0
	ds_read_b64 v[26:27], v26 offset:27560
	s_waitcnt lgkmcnt(0)
	v_mul_f64 v[11:12], v[11:12], v[26:27]
	ds_write_b64 v18, v[11:12]
.LBB131_852:
	s_or_b64 exec, exec, s[0:1]
	s_waitcnt lgkmcnt(0)
	s_barrier
	s_and_saveexec_b64 s[0:1], s[54:55]
	s_cbranch_execz .LBB131_854
; %bb.853:
	ds_read_b64 v[26:27], v17 offset:27552
	ds_read_b64 v[28:29], v18
	s_waitcnt lgkmcnt(0)
	v_fma_f64 v[11:12], v[26:27], v[28:29], v[11:12]
.LBB131_854:
	s_or_b64 exec, exec, s[0:1]
	s_barrier
	s_and_saveexec_b64 s[0:1], s[56:57]
	s_cbranch_execz .LBB131_856
; %bb.855:
	v_mov_b32_e32 v26, 0
	ds_read_b64 v[26:27], v26 offset:28080
	s_waitcnt lgkmcnt(0)
	v_mul_f64 v[11:12], v[11:12], v[26:27]
	ds_write_b64 v18, v[11:12]
.LBB131_856:
	s_or_b64 exec, exec, s[0:1]
	s_waitcnt lgkmcnt(0)
	s_barrier
	s_and_saveexec_b64 s[0:1], s[46:47]
	s_cbranch_execz .LBB131_858
; %bb.857:
	v_mov_b32_e32 v26, 0
	ds_read_b64 v[26:27], v26 offset:28088
	ds_read_b64 v[28:29], v18
	s_waitcnt lgkmcnt(0)
	v_fma_f64 v[11:12], v[26:27], v[28:29], v[11:12]
.LBB131_858:
	s_or_b64 exec, exec, s[0:1]
	s_barrier
	s_and_saveexec_b64 s[0:1], s[46:47]
	s_cbranch_execz .LBB131_860
; %bb.859:
	v_mov_b32_e32 v26, 0
	ds_read_b64 v[26:27], v26 offset:28600
	s_waitcnt lgkmcnt(0)
	v_mul_f64 v[11:12], v[11:12], v[26:27]
	ds_write_b64 v18, v[11:12]
.LBB131_860:
	s_or_b64 exec, exec, s[0:1]
	s_waitcnt lgkmcnt(0)
	s_barrier
	s_barrier
	s_and_saveexec_b64 s[0:1], s[18:19]
; %bb.861:
	v_xor_b32_e32 v12, 0x80000000, v12
	ds_write_b64 v16, v[11:12] offset:24992
; %bb.862:
	s_or_b64 exec, exec, s[0:1]
	s_waitcnt lgkmcnt(0)
	s_barrier
	s_barrier
	s_and_saveexec_b64 s[0:1], s[58:59]
	s_cbranch_execz .LBB131_864
; %bb.863:
	v_lshlrev_b32_e32 v26, 9, v0
	ds_read_b64 v[11:12], v26 offset:24992
	s_movk_i32 s10, 0xfe08
	v_mad_i32_i24 v27, v0, s10, v26
	s_waitcnt lgkmcnt(0)
	ds_write_b64 v27, v[11:12] offset:27008
	ds_read_b64 v[11:12], v26 offset:25000
	s_waitcnt lgkmcnt(0)
	ds_write_b64 v27, v[11:12] offset:27520
	ds_read_b64 v[11:12], v26 offset:25008
	;; [unrolled: 3-line block ×3, first 2 shown]
	s_waitcnt lgkmcnt(0)
	ds_write_b64 v27, v[11:12] offset:28544
.LBB131_864:
	s_or_b64 exec, exec, s[0:1]
	s_waitcnt lgkmcnt(0)
	s_barrier
	s_and_saveexec_b64 s[0:1], vcc
	s_cbranch_execz .LBB131_866
; %bb.865:
	v_mov_b32_e32 v11, 0
	ds_read_b128 v[26:29], v11 offset:27040
	ds_read_b64 v[11:12], v11 offset:27560
	s_movk_i32 s10, 0x6800
	s_waitcnt lgkmcnt(0)
	v_mul_f64 v[11:12], v[26:27], v[11:12]
	v_add_u32_e64 v26, s10, 0
	v_mul_f64 v[11:12], v[28:29], v[11:12]
	ds_write2_b64 v26, v[11:12], v[11:12] offset0:53 offset1:116
.LBB131_866:
	s_or_b64 exec, exec, s[0:1]
	v_mov_b32_e32 v11, 0
	v_mov_b32_e32 v12, 0
	s_waitcnt lgkmcnt(0)
	s_barrier
	s_and_saveexec_b64 s[0:1], s[2:3]
	s_cbranch_execz .LBB131_870
; %bb.867:
	v_mul_u32_u24_e32 v26, 0x208, v15
	ds_read_b64 v[11:12], v1 offset:27056
	ds_read_b64 v[26:27], v26 offset:27040
	v_cmp_gt_u32_e64 s[10:11], 2, v14
	s_waitcnt lgkmcnt(0)
	v_fma_f64 v[11:12], v[11:12], v[26:27], 0
	s_and_saveexec_b64 s[12:13], s[10:11]
	s_cbranch_execz .LBB131_869
; %bb.868:
	v_lshlrev_b32_e32 v26, 3, v0
	v_mov_b32_e32 v28, 0
	ds_read_b64 v[26:27], v26 offset:27568
	ds_read_b64 v[28:29], v28 offset:27048
	s_waitcnt lgkmcnt(0)
	v_fma_f64 v[11:12], v[26:27], v[28:29], v[11:12]
.LBB131_869:
	s_or_b64 exec, exec, s[12:13]
	v_xor_b32_e32 v12, 0x80000000, v12
.LBB131_870:
	s_or_b64 exec, exec, s[0:1]
	s_and_saveexec_b64 s[0:1], s[42:43]
	s_cbranch_execz .LBB131_872
; %bb.871:
	v_mov_b32_e32 v26, 0
	ds_read_b64 v[26:27], v26 offset:28080
	s_waitcnt lgkmcnt(0)
	v_mul_f64 v[11:12], v[11:12], v[26:27]
	ds_write_b64 v13, v[11:12]
.LBB131_872:
	s_or_b64 exec, exec, s[0:1]
	s_waitcnt lgkmcnt(0)
	s_barrier
	s_and_saveexec_b64 s[0:1], s[40:41]
	s_cbranch_execz .LBB131_874
; %bb.873:
	v_mov_b32_e32 v26, 0
	ds_read_b64 v[26:27], v26 offset:28088
	ds_read_b64 v[28:29], v13
	s_waitcnt lgkmcnt(0)
	v_fma_f64 v[11:12], v[26:27], v[28:29], v[11:12]
.LBB131_874:
	s_or_b64 exec, exec, s[0:1]
	s_barrier
	s_and_saveexec_b64 s[0:1], s[40:41]
	s_cbranch_execz .LBB131_876
; %bb.875:
	v_mov_b32_e32 v26, 0
	ds_read_b64 v[26:27], v26 offset:28600
	s_waitcnt lgkmcnt(0)
	v_mul_f64 v[11:12], v[11:12], v[26:27]
	ds_write_b64 v13, v[11:12]
.LBB131_876:
	s_or_b64 exec, exec, s[0:1]
	s_waitcnt lgkmcnt(0)
	s_barrier
	s_barrier
	s_and_saveexec_b64 s[0:1], s[2:3]
; %bb.877:
	v_xor_b32_e32 v12, 0x80000000, v12
	ds_write_b64 v1, v[11:12] offset:27056
; %bb.878:
	s_or_b64 exec, exec, s[0:1]
	s_waitcnt lgkmcnt(0)
	s_barrier
	s_barrier
	s_and_saveexec_b64 s[0:1], s[44:45]
	s_cbranch_execz .LBB131_880
; %bb.879:
	v_lshlrev_b32_e32 v26, 3, v0
	s_movk_i32 s10, 0x1f8
	v_mad_u32_u24 v27, v0, s10, v26
	ds_read_b64 v[11:12], v27 offset:27056
	s_waitcnt lgkmcnt(0)
	ds_write_b64 v26, v[11:12] offset:28064
	ds_read_b64 v[11:12], v27 offset:27064
	s_waitcnt lgkmcnt(0)
	ds_write_b64 v26, v[11:12] offset:28576
.LBB131_880:
	s_or_b64 exec, exec, s[0:1]
	s_waitcnt lgkmcnt(0)
	s_barrier
	s_and_saveexec_b64 s[0:1], vcc
	s_cbranch_execz .LBB131_882
; %bb.881:
	v_mov_b32_e32 v11, 0
	ds_read_b128 v[26:29], v11 offset:28080
	ds_read_b64 v[11:12], v11 offset:28600
	s_movk_i32 s10, 0x6800
	s_waitcnt lgkmcnt(0)
	v_mul_f64 v[11:12], v[26:27], v[11:12]
	v_add_u32_e64 v26, s10, 0
	v_mul_f64 v[11:12], v[28:29], v[11:12]
	ds_write2_b64 v26, v[11:12], v[11:12] offset0:183 offset1:246
.LBB131_882:
	s_or_b64 exec, exec, s[0:1]
	v_mov_b32_e32 v11, 0
	v_mov_b32_e32 v12, 0
	s_waitcnt lgkmcnt(0)
	s_barrier
	s_and_saveexec_b64 s[0:1], s[8:9]
	s_cbranch_execz .LBB131_892
; %bb.883:
	v_mul_u32_u24_e32 v26, 0x208, v25
	ds_read_b64 v[11:12], v21 offset:25024
	ds_read_b64 v[27:28], v26 offset:24960
	v_cmp_gt_u32_e64 s[10:11], 56, v14
	s_waitcnt lgkmcnt(0)
	v_fma_f64 v[11:12], v[11:12], v[27:28], 0
	s_and_saveexec_b64 s[12:13], s[10:11]
	s_cbranch_execnz .LBB131_1139
; %bb.884:
	s_or_b64 exec, exec, s[12:13]
	v_cmp_gt_u32_e64 s[10:11], 48, v14
	s_and_saveexec_b64 s[12:13], s[10:11]
	s_cbranch_execnz .LBB131_1140
.LBB131_885:
	s_or_b64 exec, exec, s[12:13]
	v_cmp_gt_u32_e64 s[10:11], 40, v14
	s_and_saveexec_b64 s[12:13], s[10:11]
	s_cbranch_execnz .LBB131_1141
.LBB131_886:
	s_or_b64 exec, exec, s[12:13]
	v_cmp_gt_u32_e64 s[10:11], 32, v14
	s_and_saveexec_b64 s[12:13], s[10:11]
	s_cbranch_execnz .LBB131_1142
.LBB131_887:
	s_or_b64 exec, exec, s[12:13]
	v_cmp_gt_u32_e64 s[10:11], 24, v14
	s_and_saveexec_b64 s[12:13], s[10:11]
	s_cbranch_execnz .LBB131_1143
.LBB131_888:
	s_or_b64 exec, exec, s[12:13]
	v_cmp_gt_u32_e64 s[10:11], 16, v14
	s_and_saveexec_b64 s[12:13], s[10:11]
	s_cbranch_execnz .LBB131_1144
.LBB131_889:
	s_or_b64 exec, exec, s[12:13]
	v_cmp_gt_u32_e64 s[10:11], 8, v14
	s_and_saveexec_b64 s[12:13], s[10:11]
	s_cbranch_execz .LBB131_891
.LBB131_890:
	v_lshlrev_b32_e32 v24, 3, v0
	v_mov_b32_e32 v26, 0
	ds_read_b64 v[24:25], v24 offset:28608
	ds_read_b64 v[26:27], v26 offset:25016
	s_waitcnt lgkmcnt(0)
	v_fma_f64 v[11:12], v[24:25], v[26:27], v[11:12]
.LBB131_891:
	s_or_b64 exec, exec, s[12:13]
	v_xor_b32_e32 v12, 0x80000000, v12
.LBB131_892:
	s_or_b64 exec, exec, s[0:1]
	s_and_saveexec_b64 s[0:1], s[60:61]
	s_cbranch_execz .LBB131_894
; %bb.893:
	v_mov_b32_e32 v24, 0
	ds_read_b64 v[24:25], v24 offset:29120
	s_waitcnt lgkmcnt(0)
	v_mul_f64 v[11:12], v[11:12], v[24:25]
	ds_write_b64 v23, v[11:12]
.LBB131_894:
	s_or_b64 exec, exec, s[0:1]
	s_waitcnt lgkmcnt(0)
	s_barrier
	s_and_saveexec_b64 s[0:1], s[62:63]
	v_readlane_b32 s60, v42, 5
	v_readlane_b32 s61, v42, 6
	s_cbranch_execz .LBB131_896
; %bb.895:
	ds_read_b64 v[24:25], v22 offset:29120
	ds_read_b64 v[26:27], v23
	s_waitcnt lgkmcnt(0)
	v_fma_f64 v[11:12], v[24:25], v[26:27], v[11:12]
.LBB131_896:
	s_or_b64 exec, exec, s[0:1]
	s_barrier
	s_and_saveexec_b64 s[0:1], s[64:65]
	s_cbranch_execz .LBB131_898
; %bb.897:
	v_mov_b32_e32 v24, 0
	ds_read_b64 v[24:25], v24 offset:29640
	s_waitcnt lgkmcnt(0)
	v_mul_f64 v[11:12], v[11:12], v[24:25]
	ds_write_b64 v23, v[11:12]
.LBB131_898:
	s_or_b64 exec, exec, s[0:1]
	s_waitcnt lgkmcnt(0)
	s_barrier
	s_and_saveexec_b64 s[0:1], s[66:67]
	s_cbranch_execz .LBB131_900
; %bb.899:
	ds_read_b64 v[24:25], v22 offset:29632
	ds_read_b64 v[26:27], v23
	s_waitcnt lgkmcnt(0)
	v_fma_f64 v[11:12], v[24:25], v[26:27], v[11:12]
.LBB131_900:
	s_or_b64 exec, exec, s[0:1]
	s_barrier
	s_and_saveexec_b64 s[0:1], s[68:69]
	s_cbranch_execz .LBB131_902
; %bb.901:
	v_mov_b32_e32 v24, 0
	ds_read_b64 v[24:25], v24 offset:30160
	s_waitcnt lgkmcnt(0)
	v_mul_f64 v[11:12], v[11:12], v[24:25]
	ds_write_b64 v23, v[11:12]
.LBB131_902:
	s_or_b64 exec, exec, s[0:1]
	s_waitcnt lgkmcnt(0)
	s_barrier
	s_and_saveexec_b64 s[0:1], s[72:73]
	;; [unrolled: 22-line block ×6, first 2 shown]
	s_cbranch_execz .LBB131_920
; %bb.919:
	v_mov_b32_e32 v22, 0
	ds_read_b64 v[24:25], v22 offset:32248
	ds_read_b64 v[26:27], v23
	s_waitcnt lgkmcnt(0)
	v_fma_f64 v[11:12], v[24:25], v[26:27], v[11:12]
.LBB131_920:
	s_or_b64 exec, exec, s[0:1]
	s_barrier
	s_and_saveexec_b64 s[0:1], s[70:71]
	s_cbranch_execz .LBB131_922
; %bb.921:
	v_mov_b32_e32 v22, 0
	ds_read_b64 v[24:25], v22 offset:32760
	s_waitcnt lgkmcnt(0)
	v_mul_f64 v[11:12], v[11:12], v[24:25]
	ds_write_b64 v23, v[11:12]
.LBB131_922:
	s_or_b64 exec, exec, s[0:1]
	s_waitcnt lgkmcnt(0)
	s_barrier
	s_barrier
	s_and_saveexec_b64 s[0:1], s[8:9]
; %bb.923:
	v_xor_b32_e32 v12, 0x80000000, v12
	ds_write_b64 v21, v[11:12] offset:25024
; %bb.924:
	s_or_b64 exec, exec, s[0:1]
	s_waitcnt lgkmcnt(0)
	s_barrier
	s_barrier
	s_and_saveexec_b64 s[0:1], s[88:89]
	s_cbranch_execz .LBB131_926
; %bb.925:
	v_lshlrev_b32_e32 v21, 9, v0
	ds_read_b64 v[11:12], v21 offset:25024
	s_movk_i32 s8, 0xfe08
	v_mad_i32_i24 v22, v0, s8, v21
	s_waitcnt lgkmcnt(0)
	ds_write_b64 v22, v[11:12] offset:29056
	ds_read_b64 v[11:12], v21 offset:25032
	s_waitcnt lgkmcnt(0)
	ds_write_b64 v22, v[11:12] offset:29568
	ds_read_b64 v[11:12], v21 offset:25040
	s_waitcnt lgkmcnt(0)
	ds_write_b64 v22, v[11:12] offset:30080
	ds_read_b64 v[11:12], v21 offset:25048
	s_waitcnt lgkmcnt(0)
	ds_write_b64 v22, v[11:12] offset:30592
	ds_read_b64 v[11:12], v21 offset:25056
	s_waitcnt lgkmcnt(0)
	ds_write_b64 v22, v[11:12] offset:31104
	ds_read_b64 v[11:12], v21 offset:25064
	s_waitcnt lgkmcnt(0)
	ds_write_b64 v22, v[11:12] offset:31616
	ds_read_b64 v[11:12], v21 offset:25072
	s_waitcnt lgkmcnt(0)
	ds_write_b64 v22, v[11:12] offset:32128
	ds_read_b64 v[11:12], v21 offset:25080
	s_waitcnt lgkmcnt(0)
	ds_write_b64 v22, v[11:12] offset:32640
.LBB131_926:
	s_or_b64 exec, exec, s[0:1]
	s_waitcnt lgkmcnt(0)
	s_barrier
	s_and_saveexec_b64 s[0:1], vcc
	s_cbranch_execz .LBB131_928
; %bb.927:
	v_mov_b32_e32 v11, 0
	ds_read_b128 v[21:24], v11 offset:29120
	ds_read_b64 v[11:12], v11 offset:29640
	s_movk_i32 s8, 0x7000
	s_waitcnt lgkmcnt(0)
	v_mul_f64 v[11:12], v[21:22], v[11:12]
	v_add_u32_e64 v21, s8, 0
	v_mul_f64 v[11:12], v[23:24], v[11:12]
	ds_write2_b64 v21, v[11:12], v[11:12] offset0:57 offset1:120
.LBB131_928:
	s_or_b64 exec, exec, s[0:1]
	v_mov_b32_e32 v11, 0
	v_mov_b32_e32 v12, 0
	s_waitcnt lgkmcnt(0)
	s_barrier
	s_and_saveexec_b64 s[0:1], s[2:3]
	s_cbranch_execz .LBB131_932
; %bb.929:
	v_mul_u32_u24_e32 v21, 0x208, v15
	ds_read_b64 v[11:12], v1 offset:29136
	ds_read_b64 v[21:22], v21 offset:29120
	v_cmp_gt_u32_e64 s[8:9], 2, v14
	s_waitcnt lgkmcnt(0)
	v_fma_f64 v[11:12], v[11:12], v[21:22], 0
	s_and_saveexec_b64 s[10:11], s[8:9]
	s_cbranch_execz .LBB131_931
; %bb.930:
	v_lshlrev_b32_e32 v21, 3, v0
	v_mov_b32_e32 v23, 0
	ds_read_b64 v[21:22], v21 offset:29648
	ds_read_b64 v[23:24], v23 offset:29128
	s_waitcnt lgkmcnt(0)
	v_fma_f64 v[11:12], v[21:22], v[23:24], v[11:12]
.LBB131_931:
	s_or_b64 exec, exec, s[10:11]
	v_xor_b32_e32 v12, 0x80000000, v12
.LBB131_932:
	s_or_b64 exec, exec, s[0:1]
	s_and_saveexec_b64 s[0:1], s[42:43]
	s_cbranch_execz .LBB131_934
; %bb.933:
	v_mov_b32_e32 v21, 0
	ds_read_b64 v[21:22], v21 offset:30160
	s_waitcnt lgkmcnt(0)
	v_mul_f64 v[11:12], v[11:12], v[21:22]
	ds_write_b64 v13, v[11:12]
.LBB131_934:
	s_or_b64 exec, exec, s[0:1]
	s_waitcnt lgkmcnt(0)
	s_barrier
	s_and_saveexec_b64 s[0:1], s[40:41]
	s_cbranch_execz .LBB131_936
; %bb.935:
	v_mov_b32_e32 v21, 0
	ds_read_b64 v[21:22], v21 offset:30168
	ds_read_b64 v[23:24], v13
	s_waitcnt lgkmcnt(0)
	v_fma_f64 v[11:12], v[21:22], v[23:24], v[11:12]
.LBB131_936:
	s_or_b64 exec, exec, s[0:1]
	s_barrier
	s_and_saveexec_b64 s[0:1], s[40:41]
	s_cbranch_execz .LBB131_938
; %bb.937:
	v_mov_b32_e32 v21, 0
	ds_read_b64 v[21:22], v21 offset:30680
	s_waitcnt lgkmcnt(0)
	v_mul_f64 v[11:12], v[11:12], v[21:22]
	ds_write_b64 v13, v[11:12]
.LBB131_938:
	s_or_b64 exec, exec, s[0:1]
	s_waitcnt lgkmcnt(0)
	s_barrier
	s_barrier
	s_and_saveexec_b64 s[0:1], s[2:3]
; %bb.939:
	v_xor_b32_e32 v12, 0x80000000, v12
	ds_write_b64 v1, v[11:12] offset:29136
; %bb.940:
	s_or_b64 exec, exec, s[0:1]
	s_waitcnt lgkmcnt(0)
	s_barrier
	s_barrier
	s_and_saveexec_b64 s[0:1], s[44:45]
	s_cbranch_execz .LBB131_942
; %bb.941:
	v_lshlrev_b32_e32 v21, 3, v0
	s_movk_i32 s8, 0x1f8
	v_mad_u32_u24 v22, v0, s8, v21
	ds_read_b64 v[11:12], v22 offset:29136
	s_waitcnt lgkmcnt(0)
	ds_write_b64 v21, v[11:12] offset:30144
	ds_read_b64 v[11:12], v22 offset:29144
	s_waitcnt lgkmcnt(0)
	ds_write_b64 v21, v[11:12] offset:30656
.LBB131_942:
	s_or_b64 exec, exec, s[0:1]
	s_waitcnt lgkmcnt(0)
	s_barrier
	s_and_saveexec_b64 s[0:1], vcc
	s_cbranch_execz .LBB131_944
; %bb.943:
	v_mov_b32_e32 v11, 0
	ds_read_b128 v[21:24], v11 offset:30160
	ds_read_b64 v[11:12], v11 offset:30680
	s_movk_i32 s8, 0x7000
	s_waitcnt lgkmcnt(0)
	v_mul_f64 v[11:12], v[21:22], v[11:12]
	v_add_u32_e64 v21, s8, 0
	v_mul_f64 v[11:12], v[23:24], v[11:12]
	ds_write2_b64 v21, v[11:12], v[11:12] offset0:187 offset1:250
.LBB131_944:
	s_or_b64 exec, exec, s[0:1]
	v_mov_b32_e32 v11, 0
	v_mov_b32_e32 v12, 0
	s_waitcnt lgkmcnt(0)
	s_barrier
	s_and_saveexec_b64 s[0:1], s[18:19]
	s_cbranch_execz .LBB131_950
; %bb.945:
	v_mul_u32_u24_e32 v21, 0x208, v20
	ds_read_b64 v[11:12], v16 offset:29152
	ds_read_b64 v[22:23], v21 offset:29120
	v_cmp_gt_u32_e64 s[8:9], 12, v14
	s_waitcnt lgkmcnt(0)
	v_fma_f64 v[11:12], v[11:12], v[22:23], 0
	s_and_saveexec_b64 s[10:11], s[8:9]
	s_cbranch_execnz .LBB131_1145
; %bb.946:
	s_or_b64 exec, exec, s[10:11]
	v_cmp_gt_u32_e64 s[8:9], 8, v14
	s_and_saveexec_b64 s[10:11], s[8:9]
	s_cbranch_execnz .LBB131_1146
.LBB131_947:
	s_or_b64 exec, exec, s[10:11]
	v_cmp_gt_u32_e64 s[8:9], 4, v14
	s_and_saveexec_b64 s[10:11], s[8:9]
	s_cbranch_execz .LBB131_949
.LBB131_948:
	v_lshlrev_b32_e32 v19, 3, v0
	v_mov_b32_e32 v21, 0
	ds_read_b64 v[19:20], v19 offset:30688
	ds_read_b64 v[21:22], v21 offset:29144
	s_waitcnt lgkmcnt(0)
	v_fma_f64 v[11:12], v[19:20], v[21:22], v[11:12]
.LBB131_949:
	s_or_b64 exec, exec, s[10:11]
	v_xor_b32_e32 v12, 0x80000000, v12
.LBB131_950:
	s_or_b64 exec, exec, s[0:1]
	s_and_saveexec_b64 s[0:1], s[48:49]
	s_cbranch_execz .LBB131_952
; %bb.951:
	v_mov_b32_e32 v19, 0
	ds_read_b64 v[19:20], v19 offset:31200
	s_waitcnt lgkmcnt(0)
	v_mul_f64 v[11:12], v[11:12], v[19:20]
	ds_write_b64 v18, v[11:12]
.LBB131_952:
	s_or_b64 exec, exec, s[0:1]
	s_waitcnt lgkmcnt(0)
	s_barrier
	s_and_saveexec_b64 s[0:1], s[50:51]
	v_readlane_b32 s48, v42, 3
	v_readlane_b32 s49, v42, 4
	s_cbranch_execz .LBB131_954
; %bb.953:
	ds_read_b64 v[19:20], v17 offset:31200
	ds_read_b64 v[21:22], v18
	s_waitcnt lgkmcnt(0)
	v_fma_f64 v[11:12], v[19:20], v[21:22], v[11:12]
.LBB131_954:
	s_or_b64 exec, exec, s[0:1]
	s_barrier
	s_and_saveexec_b64 s[0:1], s[52:53]
	s_cbranch_execz .LBB131_956
; %bb.955:
	v_mov_b32_e32 v19, 0
	ds_read_b64 v[19:20], v19 offset:31720
	s_waitcnt lgkmcnt(0)
	v_mul_f64 v[11:12], v[11:12], v[19:20]
	ds_write_b64 v18, v[11:12]
.LBB131_956:
	s_or_b64 exec, exec, s[0:1]
	s_waitcnt lgkmcnt(0)
	s_barrier
	s_and_saveexec_b64 s[0:1], s[54:55]
	s_cbranch_execz .LBB131_958
; %bb.957:
	ds_read_b64 v[19:20], v17 offset:31712
	ds_read_b64 v[21:22], v18
	s_waitcnt lgkmcnt(0)
	v_fma_f64 v[11:12], v[19:20], v[21:22], v[11:12]
.LBB131_958:
	s_or_b64 exec, exec, s[0:1]
	s_barrier
	s_and_saveexec_b64 s[0:1], s[56:57]
	s_cbranch_execz .LBB131_960
; %bb.959:
	v_mov_b32_e32 v17, 0
	ds_read_b64 v[19:20], v17 offset:32240
	s_waitcnt lgkmcnt(0)
	v_mul_f64 v[11:12], v[11:12], v[19:20]
	ds_write_b64 v18, v[11:12]
.LBB131_960:
	s_or_b64 exec, exec, s[0:1]
	s_waitcnt lgkmcnt(0)
	s_barrier
	s_and_saveexec_b64 s[0:1], s[46:47]
	s_cbranch_execz .LBB131_962
; %bb.961:
	v_mov_b32_e32 v17, 0
	ds_read_b64 v[19:20], v17 offset:32248
	ds_read_b64 v[21:22], v18
	s_waitcnt lgkmcnt(0)
	v_fma_f64 v[11:12], v[19:20], v[21:22], v[11:12]
.LBB131_962:
	s_or_b64 exec, exec, s[0:1]
	s_barrier
	s_and_saveexec_b64 s[0:1], s[46:47]
	s_cbranch_execz .LBB131_964
; %bb.963:
	v_mov_b32_e32 v17, 0
	ds_read_b64 v[19:20], v17 offset:32760
	s_waitcnt lgkmcnt(0)
	v_mul_f64 v[11:12], v[11:12], v[19:20]
	ds_write_b64 v18, v[11:12]
.LBB131_964:
	s_or_b64 exec, exec, s[0:1]
	s_waitcnt lgkmcnt(0)
	s_barrier
	s_barrier
	s_and_saveexec_b64 s[0:1], s[18:19]
; %bb.965:
	v_xor_b32_e32 v12, 0x80000000, v12
	ds_write_b64 v16, v[11:12] offset:29152
; %bb.966:
	s_or_b64 exec, exec, s[0:1]
	s_waitcnt lgkmcnt(0)
	s_barrier
	s_barrier
	s_and_saveexec_b64 s[0:1], s[58:59]
	s_cbranch_execz .LBB131_968
; %bb.967:
	v_lshlrev_b32_e32 v16, 9, v0
	ds_read_b64 v[11:12], v16 offset:29152
	s_movk_i32 s8, 0xfe08
	v_mad_i32_i24 v17, v0, s8, v16
	s_waitcnt lgkmcnt(0)
	ds_write_b64 v17, v[11:12] offset:31168
	ds_read_b64 v[11:12], v16 offset:29160
	s_waitcnt lgkmcnt(0)
	ds_write_b64 v17, v[11:12] offset:31680
	ds_read_b64 v[11:12], v16 offset:29168
	;; [unrolled: 3-line block ×3, first 2 shown]
	s_waitcnt lgkmcnt(0)
	ds_write_b64 v17, v[11:12] offset:32704
.LBB131_968:
	s_or_b64 exec, exec, s[0:1]
	s_waitcnt lgkmcnt(0)
	s_barrier
	s_and_saveexec_b64 s[0:1], vcc
	s_cbranch_execz .LBB131_970
; %bb.969:
	v_mov_b32_e32 v11, 0
	ds_read_b128 v[16:19], v11 offset:31200
	ds_read_b64 v[11:12], v11 offset:31720
	s_movk_i32 s8, 0x7800
	s_waitcnt lgkmcnt(0)
	v_mul_f64 v[11:12], v[16:17], v[11:12]
	v_add_u32_e64 v16, s8, 0
	v_mul_f64 v[11:12], v[18:19], v[11:12]
	ds_write2_b64 v16, v[11:12], v[11:12] offset0:61 offset1:124
.LBB131_970:
	s_or_b64 exec, exec, s[0:1]
	v_mov_b32_e32 v11, 0
	v_mov_b32_e32 v12, 0
	s_waitcnt lgkmcnt(0)
	s_barrier
	s_and_saveexec_b64 s[0:1], s[2:3]
	s_cbranch_execz .LBB131_974
; %bb.971:
	v_mul_u32_u24_e32 v15, 0x208, v15
	ds_read_b64 v[11:12], v1 offset:31216
	ds_read_b64 v[15:16], v15 offset:31200
	v_cmp_gt_u32_e64 s[8:9], 2, v14
	s_waitcnt lgkmcnt(0)
	v_fma_f64 v[11:12], v[11:12], v[15:16], 0
	s_and_saveexec_b64 s[10:11], s[8:9]
	s_cbranch_execz .LBB131_973
; %bb.972:
	v_lshlrev_b32_e32 v14, 3, v0
	v_mov_b32_e32 v16, 0
	ds_read_b64 v[14:15], v14 offset:31728
	ds_read_b64 v[16:17], v16 offset:31208
	s_waitcnt lgkmcnt(0)
	v_fma_f64 v[11:12], v[14:15], v[16:17], v[11:12]
.LBB131_973:
	s_or_b64 exec, exec, s[10:11]
	v_xor_b32_e32 v12, 0x80000000, v12
.LBB131_974:
	s_or_b64 exec, exec, s[0:1]
	s_and_saveexec_b64 s[0:1], s[42:43]
	s_cbranch_execz .LBB131_976
; %bb.975:
	v_mov_b32_e32 v14, 0
	ds_read_b64 v[14:15], v14 offset:32240
	s_waitcnt lgkmcnt(0)
	v_mul_f64 v[11:12], v[11:12], v[14:15]
	ds_write_b64 v13, v[11:12]
.LBB131_976:
	s_or_b64 exec, exec, s[0:1]
	s_waitcnt lgkmcnt(0)
	s_barrier
	s_and_saveexec_b64 s[0:1], s[40:41]
	s_load_dword s36, s[4:5], 0x6c
	v_readlane_b32 s42, v42, 2
	s_cbranch_execz .LBB131_978
; %bb.977:
	v_mov_b32_e32 v14, 0
	ds_read_b64 v[14:15], v14 offset:32248
	ds_read_b64 v[16:17], v13
	s_waitcnt lgkmcnt(0)
	v_fma_f64 v[11:12], v[14:15], v[16:17], v[11:12]
.LBB131_978:
	s_or_b64 exec, exec, s[0:1]
	s_waitcnt lgkmcnt(0)
	s_barrier
	s_and_saveexec_b64 s[0:1], s[40:41]
	s_cbranch_execz .LBB131_980
; %bb.979:
	v_mov_b32_e32 v14, 0
	ds_read_b64 v[14:15], v14 offset:32760
	s_waitcnt lgkmcnt(0)
	v_mul_f64 v[11:12], v[11:12], v[14:15]
	ds_write_b64 v13, v[11:12]
.LBB131_980:
	s_or_b64 exec, exec, s[0:1]
	s_waitcnt lgkmcnt(0)
	s_barrier
	s_barrier
	s_and_saveexec_b64 s[0:1], s[2:3]
; %bb.981:
	v_xor_b32_e32 v12, 0x80000000, v12
	ds_write_b64 v1, v[11:12] offset:31216
; %bb.982:
	s_or_b64 exec, exec, s[0:1]
	s_waitcnt lgkmcnt(0)
	s_barrier
	s_barrier
	s_and_saveexec_b64 s[0:1], s[44:45]
	s_cbranch_execz .LBB131_984
; %bb.983:
	v_lshlrev_b32_e32 v1, 3, v0
	s_movk_i32 s2, 0x1f8
	v_mad_u32_u24 v13, v0, s2, v1
	ds_read_b64 v[11:12], v13 offset:31216
	s_waitcnt lgkmcnt(0)
	ds_write_b64 v1, v[11:12] offset:32224
	ds_read_b64 v[11:12], v13 offset:31224
	s_waitcnt lgkmcnt(0)
	ds_write_b64 v1, v[11:12] offset:32736
.LBB131_984:
	s_or_b64 exec, exec, s[0:1]
	s_waitcnt lgkmcnt(0)
	s_barrier
	s_and_saveexec_b64 s[0:1], vcc
	s_cbranch_execz .LBB131_986
; %bb.985:
	v_mov_b32_e32 v1, 0
	ds_read_b128 v[11:14], v1 offset:32240
	ds_read_b64 v[15:16], v1 offset:32760
	s_movk_i32 s2, 0x7800
	v_add_u32_e64 v1, s2, 0
	s_waitcnt lgkmcnt(0)
	v_mul_f64 v[11:12], v[11:12], v[15:16]
	v_mul_f64 v[11:12], v[13:14], v[11:12]
	ds_write2_b64 v1, v[11:12], v[11:12] offset0:191 offset1:254
.LBB131_986:
	s_or_b64 exec, exec, s[0:1]
.LBB131_987:
	s_lshl_b64 s[0:1], s[24:25], 3
	s_add_u32 s20, s60, s0
	v_cmp_le_i32_e32 vcc, s38, v0
	s_addc_u32 s21, s61, s1
	s_and_b64 s[14:15], vcc, s[22:23]
	v_cmp_eq_u32_e64 s[2:3], 0, v2
	s_xor_b64 s[0:1], s[14:15], -1
	v_mov_b32_e32 v11, 0
	s_and_b64 s[8:9], s[2:3], s[0:1]
	v_mov_b32_e32 v12, 0
	v_add_u32_e32 v13, s33, v0
	s_waitcnt lgkmcnt(0)
	s_barrier
	s_and_saveexec_b64 s[0:1], s[8:9]
	s_cbranch_execz .LBB131_989
; %bb.988:
	v_ashrrev_i32_e32 v1, 31, v13
	v_mul_lo_u32 v14, s27, v13
	v_mad_u64_u32 v[11:12], s[8:9], s26, v13, 0
	v_mul_lo_u32 v1, s26, v1
	v_add3_u32 v12, v12, v1, v14
	v_lshlrev_b64 v[11:12], 3, v[11:12]
	v_mov_b32_e32 v1, s21
	v_add_co_u32_e32 v11, vcc, s20, v11
	v_addc_co_u32_e32 v12, vcc, v1, v12, vcc
	flat_load_dwordx2 v[11:12], v[11:12]
	s_waitcnt vmcnt(0) lgkmcnt(0)
	v_mul_f64 v[11:12], v[11:12], -s[48:49]
.LBB131_989:
	s_or_b64 exec, exec, s[0:1]
	s_load_dwordx2 s[0:1], s[4:5], 0x50
	s_and_b32 s4, 0xffff, s36
	v_mad_u32_u24 v18, v2, s4, v0
	v_mov_b32_e32 v1, 0
	s_cmp_lt_i32 s6, 1
	v_cmp_eq_u32_e64 s[4:5], 0, v18
	s_cbranch_scc1 .LBB131_1015
; %bb.990:
	v_ashrrev_i32_e32 v16, 31, v13
	v_mul_lo_u32 v17, s35, v13
	v_mad_u64_u32 v[14:15], s[8:9], s34, v13, 0
	v_mul_lo_u32 v16, s34, v16
	s_lshl_b64 s[8:9], s[28:29], 2
	s_waitcnt lgkmcnt(0)
	s_add_u32 s16, s0, s8
	s_addc_u32 s17, s1, s9
	v_add3_u32 v15, v15, v16, v17
	v_cmp_gt_i32_e64 s[8:9], s30, v13
	v_lshlrev_b64 v[13:14], 3, v[14:15]
	v_mov_b32_e32 v16, 0xa000
	v_mov_b32_e32 v15, s90
	v_add_co_u32_e32 v21, vcc, s39, v13
	s_mov_b32 s24, 0
	v_cmp_gt_u32_e64 s[12:13], 64, v18
	v_lshl_add_u32 v19, v18, 3, v16
	v_lshl_or_b32 v20, v2, 3, v16
	s_add_i32 s91, s91, 1
	v_addc_co_u32_e32 v22, vcc, v15, v14, vcc
	v_mov_b32_e32 v23, -1
	s_branch .LBB131_993
.LBB131_991:                            ;   in Loop: Header=BB131_993 Depth=1
	ds_read_b64 v[13:14], v20 offset:384
	s_waitcnt vmcnt(0) lgkmcnt(0)
	v_fma_f64 v[11:12], v[15:16], v[13:14], v[11:12]
.LBB131_992:                            ;   in Loop: Header=BB131_993 Depth=1
	s_or_b64 exec, exec, s[18:19]
	s_add_i32 s24, s24, 1
	s_cmp_eq_u32 s24, s6
	s_cbranch_scc1 .LBB131_1015
.LBB131_993:                            ; =>This Loop Header: Depth=1
                                        ;     Child Loop BB131_995 Depth 2
	v_cmp_gt_i32_e32 vcc, s24, v23
	s_and_b64 s[18:19], s[4:5], vcc
	s_and_saveexec_b64 s[10:11], s[18:19]
	s_cbranch_execz .LBB131_996
; %bb.994:                              ;   in Loop: Header=BB131_993 Depth=1
	global_load_dword v23, v1, s[16:17]
	s_waitcnt vmcnt(0)
	v_cmp_le_i32_e32 vcc, s24, v23
	s_cbranch_vccnz .LBB131_996
.LBB131_995:                            ;   Parent Loop BB131_993 Depth=1
                                        ; =>  This Inner Loop Header: Depth=2
	buffer_wbinvl1_vol
	global_load_dword v23, v1, s[16:17]
	s_waitcnt vmcnt(0)
	v_cmp_gt_i32_e32 vcc, s24, v23
	s_cbranch_vccnz .LBB131_995
.LBB131_996:                            ;   in Loop: Header=BB131_993 Depth=1
	s_or_b64 exec, exec, s[10:11]
	s_sub_i32 s25, s7, s24
	s_lshl_b32 s34, s25, 6
	buffer_wbinvl1_vol
	s_barrier
	s_and_saveexec_b64 s[10:11], s[12:13]
	s_cbranch_execz .LBB131_1000
; %bb.997:                              ;   in Loop: Header=BB131_993 Depth=1
	s_ashr_i32 s18, s34, 31
	v_mov_b32_e32 v14, s18
	v_or_b32_e32 v13, s34, v18
	v_cmp_gt_i64_e32 vcc, s[30:31], v[13:14]
	v_mov_b32_e32 v15, 0
	v_mov_b32_e32 v16, 0
	s_and_saveexec_b64 s[18:19], vcc
	s_cbranch_execz .LBB131_999
; %bb.998:                              ;   in Loop: Header=BB131_993 Depth=1
	v_mul_lo_u32 v15, v14, s26
	v_mul_lo_u32 v16, v13, s27
	v_mad_u64_u32 v[13:14], s[36:37], v13, s26, 0
	v_add3_u32 v14, v14, v16, v15
	v_lshlrev_b64 v[13:14], 3, v[13:14]
	v_mov_b32_e32 v15, s21
	v_add_co_u32_e32 v13, vcc, s20, v13
	v_addc_co_u32_e32 v14, vcc, v15, v14, vcc
	flat_load_dwordx2 v[15:16], v[13:14]
.LBB131_999:                            ;   in Loop: Header=BB131_993 Depth=1
	s_or_b64 exec, exec, s[18:19]
	s_waitcnt vmcnt(0) lgkmcnt(0)
	ds_write_b64 v19, v[15:16]
.LBB131_1000:                           ;   in Loop: Header=BB131_993 Depth=1
	s_or_b64 exec, exec, s[10:11]
	v_add_u32_e32 v15, s34, v2
	v_ashrrev_i32_e32 v16, 31, v15
	v_lshlrev_b64 v[13:14], 3, v[15:16]
	s_cmp_lg_u32 s25, s91
	v_add_co_u32_e32 v13, vcc, v21, v13
	s_cselect_b64 s[10:11], -1, 0
	v_addc_co_u32_e32 v14, vcc, v22, v14, vcc
	v_cmp_gt_i32_e32 vcc, s30, v15
	v_cndmask_b32_e64 v16, 0, 1, s[10:11]
	s_and_b64 s[34:35], vcc, s[8:9]
	v_cmp_ne_u32_e64 s[10:11], 1, v16
	s_waitcnt lgkmcnt(0)
	s_barrier
	s_and_saveexec_b64 s[18:19], s[34:35]
	s_cbranch_execz .LBB131_1004
; %bb.1001:                             ;   in Loop: Header=BB131_993 Depth=1
	v_mov_b32_e32 v17, v6
	s_and_b64 vcc, exec, s[10:11]
	v_mov_b32_e32 v16, v5
	s_cbranch_vccnz .LBB131_1003
; %bb.1002:                             ;   in Loop: Header=BB131_993 Depth=1
	flat_load_dwordx2 v[16:17], v[13:14]
.LBB131_1003:                           ;   in Loop: Header=BB131_993 Depth=1
	ds_read_b64 v[24:25], v20
	s_waitcnt vmcnt(0) lgkmcnt(0)
	v_fma_f64 v[11:12], v[16:17], v[24:25], v[11:12]
.LBB131_1004:                           ;   in Loop: Header=BB131_993 Depth=1
	s_or_b64 exec, exec, s[18:19]
	v_add_u32_e32 v16, 16, v15
	v_cmp_gt_i32_e32 vcc, s30, v16
	s_and_b64 s[34:35], vcc, s[8:9]
	s_and_saveexec_b64 s[18:19], s[34:35]
	s_cbranch_execz .LBB131_1008
; %bb.1005:                             ;   in Loop: Header=BB131_993 Depth=1
	v_mov_b32_e32 v17, v4
	s_and_b64 vcc, exec, s[10:11]
	v_mov_b32_e32 v16, v3
	s_cbranch_vccnz .LBB131_1007
; %bb.1006:                             ;   in Loop: Header=BB131_993 Depth=1
	flat_load_dwordx2 v[16:17], v[13:14] offset:128
.LBB131_1007:                           ;   in Loop: Header=BB131_993 Depth=1
	ds_read_b64 v[24:25], v20 offset:128
	s_waitcnt vmcnt(0) lgkmcnt(0)
	v_fma_f64 v[11:12], v[16:17], v[24:25], v[11:12]
.LBB131_1008:                           ;   in Loop: Header=BB131_993 Depth=1
	s_or_b64 exec, exec, s[18:19]
	v_add_u32_e32 v16, 32, v15
	v_cmp_gt_i32_e32 vcc, s30, v16
	s_and_b64 s[34:35], vcc, s[8:9]
	s_and_saveexec_b64 s[18:19], s[34:35]
	s_cbranch_execz .LBB131_1012
; %bb.1009:                             ;   in Loop: Header=BB131_993 Depth=1
	v_mov_b32_e32 v17, v10
	s_and_b64 vcc, exec, s[10:11]
	v_mov_b32_e32 v16, v9
	s_cbranch_vccnz .LBB131_1011
; %bb.1010:                             ;   in Loop: Header=BB131_993 Depth=1
	flat_load_dwordx2 v[16:17], v[13:14] offset:256
.LBB131_1011:                           ;   in Loop: Header=BB131_993 Depth=1
	ds_read_b64 v[24:25], v20 offset:256
	s_waitcnt vmcnt(0) lgkmcnt(0)
	v_fma_f64 v[11:12], v[16:17], v[24:25], v[11:12]
.LBB131_1012:                           ;   in Loop: Header=BB131_993 Depth=1
	s_or_b64 exec, exec, s[18:19]
	v_add_u32_e32 v15, 48, v15
	v_cmp_gt_i32_e32 vcc, s30, v15
	s_and_b64 s[34:35], vcc, s[8:9]
	s_and_saveexec_b64 s[18:19], s[34:35]
	s_cbranch_execz .LBB131_992
; %bb.1013:                             ;   in Loop: Header=BB131_993 Depth=1
	v_mov_b32_e32 v16, v8
	s_and_b64 vcc, exec, s[10:11]
	v_mov_b32_e32 v15, v7
	s_cbranch_vccnz .LBB131_991
; %bb.1014:                             ;   in Loop: Header=BB131_993 Depth=1
	flat_load_dwordx2 v[15:16], v[13:14] offset:384
	s_branch .LBB131_991
.LBB131_1015:
	v_lshl_add_u32 v1, v2, 6, v0
	s_xor_b64 s[4:5], s[22:23], -1
	v_lshlrev_b32_e32 v1, 3, v1
	ds_write_b64 v1, v[11:12] offset:32768
	s_waitcnt lgkmcnt(0)
	s_barrier
	s_and_saveexec_b64 s[6:7], s[2:3]
	s_cbranch_execz .LBB131_1017
; %bb.1016:
	v_lshlrev_b32_e32 v15, 3, v0
	ds_read2st64_b64 v[3:6], v15 offset0:65 offset1:66
	ds_read_b64 v[13:14], v15 offset:40448
	s_waitcnt lgkmcnt(1)
	v_add_f64 v[3:4], v[11:12], v[3:4]
	v_add_f64 v[11:12], v[3:4], v[5:6]
	ds_read2st64_b64 v[3:6], v15 offset0:67 offset1:68
	ds_read2st64_b64 v[7:10], v15 offset0:69 offset1:70
	s_waitcnt lgkmcnt(1)
	v_add_f64 v[3:4], v[11:12], v[3:4]
	v_add_f64 v[3:4], v[3:4], v[5:6]
	s_waitcnt lgkmcnt(0)
	v_add_f64 v[3:4], v[3:4], v[7:8]
	v_add_f64 v[11:12], v[3:4], v[9:10]
	ds_read2st64_b64 v[3:6], v15 offset0:71 offset1:72
	ds_read2st64_b64 v[7:10], v15 offset0:73 offset1:74
	s_waitcnt lgkmcnt(1)
	v_add_f64 v[3:4], v[11:12], v[3:4]
	v_add_f64 v[3:4], v[3:4], v[5:6]
	;; [unrolled: 8-line block ×3, first 2 shown]
	s_waitcnt lgkmcnt(0)
	v_add_f64 v[3:4], v[3:4], v[7:8]
	v_add_f64 v[3:4], v[3:4], v[9:10]
	;; [unrolled: 1-line block ×3, first 2 shown]
	v_xor_b32_e32 v4, 0x80000000, v4
	v_cndmask_b32_e64 v12, v4, 0, s[14:15]
	v_cndmask_b32_e64 v11, v3, 0, s[14:15]
.LBB131_1017:
	s_or_b64 exec, exec, s[6:7]
	v_readlane_b32 s6, v42, 0
	v_readlane_b32 s7, v42, 1
	s_and_b64 vcc, exec, s[6:7]
	s_cbranch_vccnz .LBB131_1030
; %bb.1018:
	v_mov_b32_e32 v3, 0xa000
	v_lshl_or_b32 v5, v2, 3, v3
	s_and_saveexec_b64 s[6:7], s[2:3]
; %bb.1019:
	v_lshl_add_u32 v3, v0, 3, v5
	ds_write_b64 v3, v[11:12]
; %bb.1020:
	s_or_b64 exec, exec, s[6:7]
	v_mov_b32_e32 v3, 0
	v_mov_b32_e32 v4, 0
	v_cmp_le_u32_e32 vcc, v0, v2
	s_waitcnt lgkmcnt(0)
	s_barrier
	s_and_saveexec_b64 s[6:7], vcc
	s_cbranch_execz .LBB131_1022
; %bb.1021:
	ds_read_b64 v[3:4], v1
	ds_read_b64 v[6:7], v5
	s_waitcnt lgkmcnt(0)
	v_fma_f64 v[3:4], v[3:4], v[6:7], 0
.LBB131_1022:
	s_or_b64 exec, exec, s[6:7]
	v_add_u32_e32 v6, 16, v2
	v_cmp_le_u32_e32 vcc, v0, v6
	s_and_saveexec_b64 s[6:7], vcc
	s_cbranch_execz .LBB131_1024
; %bb.1023:
	ds_read_b64 v[6:7], v1 offset:8192
	ds_read_b64 v[8:9], v5 offset:128
	s_waitcnt lgkmcnt(0)
	v_fma_f64 v[3:4], v[6:7], v[8:9], v[3:4]
.LBB131_1024:
	s_or_b64 exec, exec, s[6:7]
	v_add_u32_e32 v6, 32, v2
	v_cmp_le_u32_e32 vcc, v0, v6
	s_and_saveexec_b64 s[6:7], vcc
	s_cbranch_execz .LBB131_1026
; %bb.1025:
	ds_read_b64 v[6:7], v1 offset:16384
	ds_read_b64 v[8:9], v5 offset:256
	s_waitcnt lgkmcnt(0)
	v_fma_f64 v[3:4], v[6:7], v[8:9], v[3:4]
.LBB131_1026:
	s_or_b64 exec, exec, s[6:7]
	v_add_u32_e32 v2, 48, v2
	v_add_u32_e32 v6, 0x8000, v1
	v_cmp_le_u32_e32 vcc, v0, v2
	s_and_saveexec_b64 s[6:7], vcc
	s_cbranch_execz .LBB131_1028
; %bb.1027:
	ds_read_b64 v[1:2], v1 offset:24576
	ds_read_b64 v[7:8], v5 offset:384
	s_waitcnt lgkmcnt(0)
	v_fma_f64 v[3:4], v[1:2], v[7:8], v[3:4]
.LBB131_1028:
	s_or_b64 exec, exec, s[6:7]
	s_mov_b64 s[8:9], 0
	s_mov_b64 s[6:7], 0
	ds_write_b64 v6, v[3:4]
	s_waitcnt lgkmcnt(0)
	s_barrier
                                        ; implicit-def: $vgpr1_vgpr2
	s_and_saveexec_b64 s[10:11], s[2:3]
	s_cbranch_execz .LBB131_1093
; %bb.1029:
	v_lshlrev_b32_e32 v15, 3, v0
	ds_read2st64_b64 v[5:8], v15 offset0:65 offset1:66
	ds_read_b64 v[9:10], v15 offset:40448
	s_mov_b64 s[6:7], exec
	s_waitcnt lgkmcnt(1)
	v_add_f64 v[1:2], v[3:4], v[5:6]
	v_add_f64 v[13:14], v[7:8], v[1:2]
	ds_read2st64_b64 v[1:4], v15 offset0:67 offset1:68
	ds_read2st64_b64 v[5:8], v15 offset0:69 offset1:70
	s_waitcnt lgkmcnt(1)
	v_add_f64 v[1:2], v[1:2], v[13:14]
	v_add_f64 v[1:2], v[3:4], v[1:2]
	s_waitcnt lgkmcnt(0)
	v_add_f64 v[1:2], v[5:6], v[1:2]
	v_add_f64 v[13:14], v[7:8], v[1:2]
	ds_read2st64_b64 v[1:4], v15 offset0:71 offset1:72
	ds_read2st64_b64 v[5:8], v15 offset0:73 offset1:74
	s_waitcnt lgkmcnt(1)
	v_add_f64 v[1:2], v[1:2], v[13:14]
	v_add_f64 v[1:2], v[3:4], v[1:2]
	;; [unrolled: 8-line block ×3, first 2 shown]
	s_waitcnt lgkmcnt(0)
	v_add_f64 v[1:2], v[5:6], v[1:2]
	v_add_f64 v[1:2], v[7:8], v[1:2]
	v_add_f64 v[1:2], v[9:10], v[1:2]
	s_or_b64 exec, exec, s[10:11]
	s_and_b64 vcc, exec, s[8:9]
	s_cbranch_vccnz .LBB131_1031
	s_branch .LBB131_1094
.LBB131_1030:
	s_mov_b64 s[6:7], 0
                                        ; implicit-def: $vgpr1_vgpr2
	s_cbranch_execz .LBB131_1094
.LBB131_1031:
	s_movk_i32 s8, 0x208
	v_lshlrev_b32_e32 v2, 9, v0
	v_mov_b32_e32 v3, 0x7800
	v_mul_u32_u24_e32 v1, 0x208, v0
	v_sub_u32_e32 v2, 0, v2
	v_mad_u32_u24 v3, v0, s8, v3
	s_mov_b32 s10, 63
	s_movk_i32 s11, 0x8200
	v_mov_b32_e32 v4, 0
	s_branch .LBB131_1033
.LBB131_1032:                           ;   in Loop: Header=BB131_1033 Depth=1
	s_or_b64 exec, exec, s[8:9]
	s_add_i32 s10, s10, -4
	s_cmp_lg_u32 s12, 0
	v_add_u32_e32 v2, 0xfffff800, v2
	s_barrier
	s_cbranch_scc0 .LBB131_1049
.LBB131_1033:                           ; =>This Inner Loop Header: Depth=1
	v_cmp_eq_u32_e32 vcc, s11, v2
	s_and_b64 s[12:13], s[2:3], vcc
	s_and_saveexec_b64 s[8:9], s[12:13]
	s_cbranch_execz .LBB131_1035
; %bb.1034:                             ;   in Loop: Header=BB131_1033 Depth=1
	ds_read_b64 v[5:6], v1
	s_waitcnt lgkmcnt(0)
	v_mul_f64 v[11:12], v[11:12], v[5:6]
	ds_write_b64 v4, v[11:12] offset:41472
.LBB131_1035:                           ;   in Loop: Header=BB131_1033 Depth=1
	s_or_b64 exec, exec, s[8:9]
	v_cmp_gt_u32_e32 vcc, s10, v0
	s_and_b64 s[12:13], s[2:3], vcc
	v_add_u32_e32 v5, v3, v2
	s_waitcnt lgkmcnt(0)
	s_barrier
	s_and_saveexec_b64 s[8:9], s[12:13]
	s_cbranch_execz .LBB131_1037
; %bb.1036:                             ;   in Loop: Header=BB131_1033 Depth=1
	ds_read_b64 v[6:7], v5 offset:1536
	ds_read_b64 v[8:9], v4 offset:41472
	s_waitcnt lgkmcnt(0)
	v_fma_f64 v[11:12], v[6:7], v[8:9], v[11:12]
.LBB131_1037:                           ;   in Loop: Header=BB131_1033 Depth=1
	s_or_b64 exec, exec, s[8:9]
	s_add_i32 s12, s10, -1
	v_cmp_eq_u32_e32 vcc, s12, v0
	s_and_b64 s[14:15], s[2:3], vcc
	s_barrier
	s_and_saveexec_b64 s[8:9], s[14:15]
	s_cbranch_execz .LBB131_1039
; %bb.1038:                             ;   in Loop: Header=BB131_1033 Depth=1
	ds_read_b64 v[6:7], v1
	s_waitcnt lgkmcnt(0)
	v_mul_f64 v[11:12], v[11:12], v[6:7]
	ds_write_b64 v4, v[11:12] offset:41472
.LBB131_1039:                           ;   in Loop: Header=BB131_1033 Depth=1
	s_or_b64 exec, exec, s[8:9]
	v_cmp_gt_u32_e32 vcc, s12, v0
	s_and_b64 s[12:13], s[2:3], vcc
	s_waitcnt lgkmcnt(0)
	s_barrier
	s_and_saveexec_b64 s[8:9], s[12:13]
	s_cbranch_execz .LBB131_1041
; %bb.1040:                             ;   in Loop: Header=BB131_1033 Depth=1
	ds_read_b64 v[6:7], v5 offset:1024
	ds_read_b64 v[8:9], v4 offset:41472
	s_waitcnt lgkmcnt(0)
	v_fma_f64 v[11:12], v[6:7], v[8:9], v[11:12]
.LBB131_1041:                           ;   in Loop: Header=BB131_1033 Depth=1
	s_or_b64 exec, exec, s[8:9]
	s_add_i32 s12, s10, -2
	v_cmp_eq_u32_e32 vcc, s12, v0
	s_and_b64 s[14:15], s[2:3], vcc
	s_barrier
	s_and_saveexec_b64 s[8:9], s[14:15]
	s_cbranch_execz .LBB131_1043
; %bb.1042:                             ;   in Loop: Header=BB131_1033 Depth=1
	ds_read_b64 v[6:7], v1
	s_waitcnt lgkmcnt(0)
	v_mul_f64 v[11:12], v[11:12], v[6:7]
	ds_write_b64 v4, v[11:12] offset:41472
.LBB131_1043:                           ;   in Loop: Header=BB131_1033 Depth=1
	s_or_b64 exec, exec, s[8:9]
	v_cmp_gt_u32_e32 vcc, s12, v0
	s_and_b64 s[12:13], s[2:3], vcc
	;; [unrolled: 26-line block ×3, first 2 shown]
	s_waitcnt lgkmcnt(0)
	s_barrier
	s_and_saveexec_b64 s[8:9], s[14:15]
	s_cbranch_execz .LBB131_1032
; %bb.1048:                             ;   in Loop: Header=BB131_1033 Depth=1
	ds_read_b64 v[5:6], v5
	ds_read_b64 v[7:8], v4 offset:41472
	s_waitcnt lgkmcnt(0)
	v_fma_f64 v[11:12], v[5:6], v[7:8], v[11:12]
	s_branch .LBB131_1032
.LBB131_1049:
	s_mov_b64 s[8:9], -1
	s_and_b64 vcc, exec, s[4:5]
	s_cbranch_vccnz .LBB131_1095
; %bb.1050:
	s_andn2_b64 vcc, exec, s[8:9]
	s_cbranch_vccz .LBB131_1096
.LBB131_1051:
	s_and_saveexec_b64 s[2:3], s[6:7]
	s_cbranch_execz .LBB131_1053
.LBB131_1052:
	v_mov_b32_e32 v0, s42
	v_add_co_u32_e32 v1, vcc, s33, v18
	v_addc_co_u32_e32 v0, vcc, 0, v0, vcc
	v_mul_lo_u32 v2, v0, s26
	v_mul_lo_u32 v3, v1, s27
	v_mad_u64_u32 v[0:1], s[4:5], v1, s26, 0
	v_add3_u32 v1, v1, v3, v2
	v_lshlrev_b64 v[0:1], 3, v[0:1]
	v_mov_b32_e32 v2, s21
	v_add_co_u32_e32 v0, vcc, s20, v0
	v_addc_co_u32_e32 v1, vcc, v2, v1, vcc
	flat_store_dwordx2 v[0:1], v[11:12]
.LBB131_1053:
	s_or_b64 exec, exec, s[2:3]
	v_cmp_eq_u32_e32 vcc, 0, v18
	s_waitcnt vmcnt(0) lgkmcnt(0)
	buffer_wbinvl1_vol
	s_barrier
	s_and_saveexec_b64 s[2:3], vcc
	s_cbranch_execz .LBB131_1055
; %bb.1054:
	s_lshl_b64 s[4:5], s[28:29], 2
	s_add_u32 s0, s0, s4
	s_addc_u32 s1, s1, s5
	v_mov_b32_e32 v0, 0
	global_load_dword v1, v0, s[0:1]
	s_waitcnt vmcnt(0)
	v_add_u32_e32 v1, 1, v1
	global_store_dword v0, v1, s[0:1]
.LBB131_1055:
	s_or_b64 exec, exec, s[2:3]
	s_waitcnt vmcnt(0)
	buffer_wbinvl1_vol
	s_endpgm
.LBB131_1056:
                                        ; implicit-def: $vgpr7_vgpr8
                                        ; implicit-def: $vgpr9_vgpr10
                                        ; implicit-def: $vgpr3_vgpr4
                                        ; implicit-def: $vgpr5_vgpr6
                                        ; implicit-def: $sgpr33
	s_cbranch_execnz .LBB131_10
	s_branch .LBB131_11
.LBB131_1057:
	v_cmp_ne_u32_e32 vcc, v0, v2
	s_and_saveexec_b64 s[12:13], vcc
	s_xor_b64 s[12:13], exec, s[12:13]
; %bb.1058:
	v_or_b32_e32 v1, v2, v0
	v_cmp_gt_u32_e32 vcc, 64, v1
	s_and_b64 s[10:11], vcc, exec
                                        ; implicit-def: $vgpr15_vgpr16
; %bb.1059:
	s_or_saveexec_b64 s[12:13], s[12:13]
	v_mov_b32_e32 v13, 0
	v_mov_b32_e32 v14, 0
	s_xor_b64 exec, exec, s[12:13]
	s_cbranch_execz .LBB131_1061
; %bb.1060:
	v_lshlrev_b64 v[13:14], 3, v[15:16]
	v_mov_b32_e32 v1, s90
	v_add_co_u32_e32 v13, vcc, s39, v13
	v_addc_co_u32_e32 v14, vcc, v1, v14, vcc
	flat_load_dwordx2 v[13:14], v[13:14]
	s_or_b64 s[10:11], s[10:11], exec
	s_waitcnt vmcnt(0) lgkmcnt(0)
	v_div_scale_f64 v[15:16], s[14:15], v[13:14], v[13:14], 1.0
	v_div_scale_f64 v[22:23], vcc, 1.0, v[13:14], 1.0
	v_rcp_f64_e32 v[18:19], v[15:16]
	v_fma_f64 v[20:21], -v[15:16], v[18:19], 1.0
	v_fma_f64 v[18:19], v[18:19], v[20:21], v[18:19]
	v_fma_f64 v[20:21], -v[15:16], v[18:19], 1.0
	v_fma_f64 v[18:19], v[18:19], v[20:21], v[18:19]
	v_mul_f64 v[20:21], v[22:23], v[18:19]
	v_fma_f64 v[15:16], -v[15:16], v[20:21], v[22:23]
	v_div_fmas_f64 v[15:16], v[15:16], v[18:19], v[20:21]
	v_div_fixup_f64 v[13:14], v[15:16], v[13:14], 1.0
.LBB131_1061:
	s_or_b64 exec, exec, s[12:13]
	s_and_b64 s[10:11], s[10:11], exec
                                        ; implicit-def: $vgpr15_vgpr16
	s_andn2_saveexec_b64 s[8:9], s[8:9]
	s_cbranch_execz .LBB131_14
.LBB131_1062:
	v_lshlrev_b64 v[13:14], 3, v[15:16]
	v_mov_b32_e32 v1, s90
	v_add_co_u32_e32 v13, vcc, s39, v13
	v_addc_co_u32_e32 v14, vcc, v1, v14, vcc
	flat_load_dwordx2 v[13:14], v[13:14]
	s_or_b64 s[10:11], s[10:11], exec
	s_waitcnt vmcnt(0) lgkmcnt(0)
	v_xor_b32_e32 v14, 0x80000000, v14
	s_or_b64 exec, exec, s[8:9]
	s_and_saveexec_b64 s[8:9], s[10:11]
	s_cbranch_execnz .LBB131_15
	s_branch .LBB131_16
.LBB131_1063:
	v_cmp_ne_u32_e32 vcc, v0, v1
	s_and_saveexec_b64 s[10:11], vcc
	s_xor_b64 s[10:11], exec, s[10:11]
; %bb.1064:
	v_or_b32_e32 v13, v1, v0
	v_cmp_gt_u32_e32 vcc, 64, v13
	s_and_b64 s[8:9], vcc, exec
                                        ; implicit-def: $vgpr15_vgpr16
; %bb.1065:
	s_or_saveexec_b64 s[10:11], s[10:11]
	v_mov_b32_e32 v13, 0
	v_mov_b32_e32 v14, 0
	s_xor_b64 exec, exec, s[10:11]
	s_cbranch_execz .LBB131_1067
; %bb.1066:
	v_lshlrev_b64 v[13:14], 3, v[15:16]
	v_mov_b32_e32 v15, s90
	v_add_co_u32_e32 v13, vcc, s39, v13
	v_addc_co_u32_e32 v14, vcc, v15, v14, vcc
	flat_load_dwordx2 v[13:14], v[13:14]
	s_or_b64 s[8:9], s[8:9], exec
	s_waitcnt vmcnt(0) lgkmcnt(0)
	v_div_scale_f64 v[15:16], s[12:13], v[13:14], v[13:14], 1.0
	v_div_scale_f64 v[22:23], vcc, 1.0, v[13:14], 1.0
	v_rcp_f64_e32 v[18:19], v[15:16]
	v_fma_f64 v[20:21], -v[15:16], v[18:19], 1.0
	v_fma_f64 v[18:19], v[18:19], v[20:21], v[18:19]
	v_fma_f64 v[20:21], -v[15:16], v[18:19], 1.0
	v_fma_f64 v[18:19], v[18:19], v[20:21], v[18:19]
	v_mul_f64 v[20:21], v[22:23], v[18:19]
	v_fma_f64 v[15:16], -v[15:16], v[20:21], v[22:23]
	v_div_fmas_f64 v[15:16], v[15:16], v[18:19], v[20:21]
	v_div_fixup_f64 v[13:14], v[15:16], v[13:14], 1.0
.LBB131_1067:
	s_or_b64 exec, exec, s[10:11]
	s_and_b64 s[8:9], s[8:9], exec
                                        ; implicit-def: $vgpr15_vgpr16
	s_andn2_saveexec_b64 s[2:3], s[2:3]
	s_cbranch_execz .LBB131_18
.LBB131_1068:
	v_lshlrev_b64 v[13:14], 3, v[15:16]
	v_mov_b32_e32 v15, s90
	v_add_co_u32_e32 v13, vcc, s39, v13
	v_addc_co_u32_e32 v14, vcc, v15, v14, vcc
	flat_load_dwordx2 v[13:14], v[13:14]
	s_or_b64 s[8:9], s[8:9], exec
	s_waitcnt vmcnt(0) lgkmcnt(0)
	v_xor_b32_e32 v14, 0x80000000, v14
	s_or_b64 exec, exec, s[2:3]
	s_and_saveexec_b64 s[2:3], s[8:9]
	s_cbranch_execnz .LBB131_19
	s_branch .LBB131_20
.LBB131_1069:
	v_cmp_ne_u32_e32 vcc, v0, v1
	s_and_saveexec_b64 s[10:11], vcc
	s_xor_b64 s[10:11], exec, s[10:11]
; %bb.1070:
	v_or_b32_e32 v13, v1, v0
	v_cmp_gt_u32_e32 vcc, 64, v13
	s_and_b64 s[8:9], vcc, exec
                                        ; implicit-def: $vgpr15_vgpr16
; %bb.1071:
	s_or_saveexec_b64 s[10:11], s[10:11]
	v_mov_b32_e32 v13, 0
	v_mov_b32_e32 v14, 0
	s_xor_b64 exec, exec, s[10:11]
	s_cbranch_execz .LBB131_1073
; %bb.1072:
	v_lshlrev_b64 v[13:14], 3, v[15:16]
	v_mov_b32_e32 v15, s90
	v_add_co_u32_e32 v13, vcc, s39, v13
	v_addc_co_u32_e32 v14, vcc, v15, v14, vcc
	flat_load_dwordx2 v[13:14], v[13:14]
	s_or_b64 s[8:9], s[8:9], exec
	s_waitcnt vmcnt(0) lgkmcnt(0)
	v_div_scale_f64 v[15:16], s[12:13], v[13:14], v[13:14], 1.0
	v_div_scale_f64 v[22:23], vcc, 1.0, v[13:14], 1.0
	v_rcp_f64_e32 v[18:19], v[15:16]
	v_fma_f64 v[20:21], -v[15:16], v[18:19], 1.0
	v_fma_f64 v[18:19], v[18:19], v[20:21], v[18:19]
	v_fma_f64 v[20:21], -v[15:16], v[18:19], 1.0
	v_fma_f64 v[18:19], v[18:19], v[20:21], v[18:19]
	v_mul_f64 v[20:21], v[22:23], v[18:19]
	v_fma_f64 v[15:16], -v[15:16], v[20:21], v[22:23]
	v_div_fmas_f64 v[15:16], v[15:16], v[18:19], v[20:21]
	v_div_fixup_f64 v[13:14], v[15:16], v[13:14], 1.0
.LBB131_1073:
	s_or_b64 exec, exec, s[10:11]
	s_and_b64 s[8:9], s[8:9], exec
                                        ; implicit-def: $vgpr15_vgpr16
	s_andn2_saveexec_b64 s[2:3], s[2:3]
	s_cbranch_execz .LBB131_22
.LBB131_1074:
	v_lshlrev_b64 v[13:14], 3, v[15:16]
	v_mov_b32_e32 v15, s90
	v_add_co_u32_e32 v13, vcc, s39, v13
	v_addc_co_u32_e32 v14, vcc, v15, v14, vcc
	flat_load_dwordx2 v[13:14], v[13:14]
	s_or_b64 s[8:9], s[8:9], exec
	s_waitcnt vmcnt(0) lgkmcnt(0)
	v_xor_b32_e32 v14, 0x80000000, v14
	s_or_b64 exec, exec, s[2:3]
	s_and_saveexec_b64 s[2:3], s[8:9]
	s_cbranch_execnz .LBB131_23
	s_branch .LBB131_24
.LBB131_1075:
	v_cmp_ne_u32_e32 vcc, v0, v2
	s_xor_b64 s[12:13], s[2:3], -1
	s_or_b64 s[14:15], s[12:13], vcc
	s_mov_b64 s[12:13], 0
	s_and_saveexec_b64 s[16:17], s[14:15]
	s_xor_b64 s[14:15], exec, s[16:17]
; %bb.1076:
	v_or_b32_e32 v1, v2, v0
	v_cmp_gt_u32_e32 vcc, 64, v1
	s_and_b64 s[12:13], vcc, exec
                                        ; implicit-def: $vgpr13_vgpr14
; %bb.1077:
	s_or_saveexec_b64 s[14:15], s[14:15]
	v_mov_b32_e32 v15, 0
	v_mov_b32_e32 v16, 0
	s_xor_b64 exec, exec, s[14:15]
	s_cbranch_execz .LBB131_1079
; %bb.1078:
	v_lshlrev_b64 v[13:14], 3, v[13:14]
	v_mov_b32_e32 v1, s90
	v_add_co_u32_e32 v13, vcc, s39, v13
	v_addc_co_u32_e32 v14, vcc, v1, v14, vcc
	flat_load_dwordx2 v[13:14], v[13:14]
	s_or_b64 s[12:13], s[12:13], exec
	s_waitcnt vmcnt(0) lgkmcnt(0)
	v_div_scale_f64 v[15:16], s[16:17], v[13:14], v[13:14], 1.0
	v_div_scale_f64 v[22:23], vcc, 1.0, v[13:14], 1.0
	v_rcp_f64_e32 v[18:19], v[15:16]
	v_fma_f64 v[20:21], -v[15:16], v[18:19], 1.0
	v_fma_f64 v[18:19], v[18:19], v[20:21], v[18:19]
	v_fma_f64 v[20:21], -v[15:16], v[18:19], 1.0
	v_fma_f64 v[18:19], v[18:19], v[20:21], v[18:19]
	v_mul_f64 v[20:21], v[22:23], v[18:19]
	v_fma_f64 v[15:16], -v[15:16], v[20:21], v[22:23]
	v_div_fmas_f64 v[15:16], v[15:16], v[18:19], v[20:21]
	v_div_fixup_f64 v[15:16], v[15:16], v[13:14], 1.0
.LBB131_1079:
	s_or_b64 exec, exec, s[14:15]
	s_and_b64 s[12:13], s[12:13], exec
                                        ; implicit-def: $vgpr13_vgpr14
	s_andn2_saveexec_b64 s[8:9], s[8:9]
	s_cbranch_execz .LBB131_36
.LBB131_1080:
	v_lshlrev_b64 v[13:14], 3, v[13:14]
	v_mov_b32_e32 v1, s90
	v_add_co_u32_e32 v13, vcc, s39, v13
	v_addc_co_u32_e32 v14, vcc, v1, v14, vcc
	flat_load_dwordx2 v[15:16], v[13:14]
	s_or_b64 s[12:13], s[12:13], exec
	s_waitcnt vmcnt(0) lgkmcnt(0)
	v_xor_b32_e32 v16, 0x80000000, v16
	s_or_b64 exec, exec, s[8:9]
	s_and_saveexec_b64 s[8:9], s[12:13]
	s_cbranch_execnz .LBB131_37
	s_branch .LBB131_38
.LBB131_1081:
	v_cmp_ne_u32_e32 vcc, v0, v1
	s_xor_b64 s[12:13], s[2:3], -1
	s_or_b64 s[14:15], s[12:13], vcc
	s_mov_b64 s[12:13], 0
	s_and_saveexec_b64 s[16:17], s[14:15]
	s_xor_b64 s[14:15], exec, s[16:17]
; %bb.1082:
	v_or_b32_e32 v13, v1, v0
	v_cmp_gt_u32_e32 vcc, 64, v13
	s_and_b64 s[12:13], vcc, exec
                                        ; implicit-def: $vgpr13_vgpr14
; %bb.1083:
	s_or_saveexec_b64 s[14:15], s[14:15]
	v_mov_b32_e32 v15, 0
	v_mov_b32_e32 v16, 0
	s_xor_b64 exec, exec, s[14:15]
	s_cbranch_execz .LBB131_1085
; %bb.1084:
	v_lshlrev_b64 v[13:14], 3, v[13:14]
	v_mov_b32_e32 v15, s90
	v_add_co_u32_e32 v13, vcc, s39, v13
	v_addc_co_u32_e32 v14, vcc, v15, v14, vcc
	flat_load_dwordx2 v[13:14], v[13:14]
	s_or_b64 s[12:13], s[12:13], exec
	s_waitcnt vmcnt(0) lgkmcnt(0)
	v_div_scale_f64 v[15:16], s[16:17], v[13:14], v[13:14], 1.0
	v_div_scale_f64 v[22:23], vcc, 1.0, v[13:14], 1.0
	v_rcp_f64_e32 v[18:19], v[15:16]
	v_fma_f64 v[20:21], -v[15:16], v[18:19], 1.0
	v_fma_f64 v[18:19], v[18:19], v[20:21], v[18:19]
	v_fma_f64 v[20:21], -v[15:16], v[18:19], 1.0
	v_fma_f64 v[18:19], v[18:19], v[20:21], v[18:19]
	v_mul_f64 v[20:21], v[22:23], v[18:19]
	v_fma_f64 v[15:16], -v[15:16], v[20:21], v[22:23]
	v_div_fmas_f64 v[15:16], v[15:16], v[18:19], v[20:21]
	v_div_fixup_f64 v[15:16], v[15:16], v[13:14], 1.0
.LBB131_1085:
	s_or_b64 exec, exec, s[14:15]
	s_and_b64 s[12:13], s[12:13], exec
                                        ; implicit-def: $vgpr13_vgpr14
	s_andn2_saveexec_b64 s[8:9], s[8:9]
	s_cbranch_execz .LBB131_40
.LBB131_1086:
	v_lshlrev_b64 v[13:14], 3, v[13:14]
	v_mov_b32_e32 v15, s90
	v_add_co_u32_e32 v13, vcc, s39, v13
	v_addc_co_u32_e32 v14, vcc, v15, v14, vcc
	flat_load_dwordx2 v[15:16], v[13:14]
	s_or_b64 s[12:13], s[12:13], exec
	s_waitcnt vmcnt(0) lgkmcnt(0)
	v_xor_b32_e32 v16, 0x80000000, v16
	s_or_b64 exec, exec, s[8:9]
	s_and_saveexec_b64 s[8:9], s[12:13]
	s_cbranch_execnz .LBB131_41
	s_branch .LBB131_42
.LBB131_1087:
	v_cmp_ne_u32_e32 vcc, v0, v1
	s_xor_b64 s[12:13], s[2:3], -1
	s_or_b64 s[14:15], s[12:13], vcc
	s_mov_b64 s[12:13], 0
	s_and_saveexec_b64 s[16:17], s[14:15]
	s_xor_b64 s[14:15], exec, s[16:17]
; %bb.1088:
	v_or_b32_e32 v13, v1, v0
	v_cmp_gt_u32_e32 vcc, 64, v13
	s_and_b64 s[12:13], vcc, exec
                                        ; implicit-def: $vgpr13_vgpr14
; %bb.1089:
	s_or_saveexec_b64 s[14:15], s[14:15]
	v_mov_b32_e32 v15, 0
	v_mov_b32_e32 v16, 0
	s_xor_b64 exec, exec, s[14:15]
	s_cbranch_execz .LBB131_1091
; %bb.1090:
	v_lshlrev_b64 v[13:14], 3, v[13:14]
	v_mov_b32_e32 v15, s90
	v_add_co_u32_e32 v13, vcc, s39, v13
	v_addc_co_u32_e32 v14, vcc, v15, v14, vcc
	flat_load_dwordx2 v[13:14], v[13:14]
	s_or_b64 s[12:13], s[12:13], exec
	s_waitcnt vmcnt(0) lgkmcnt(0)
	v_div_scale_f64 v[15:16], s[16:17], v[13:14], v[13:14], 1.0
	v_div_scale_f64 v[22:23], vcc, 1.0, v[13:14], 1.0
	v_rcp_f64_e32 v[18:19], v[15:16]
	v_fma_f64 v[20:21], -v[15:16], v[18:19], 1.0
	v_fma_f64 v[18:19], v[18:19], v[20:21], v[18:19]
	v_fma_f64 v[20:21], -v[15:16], v[18:19], 1.0
	v_fma_f64 v[18:19], v[18:19], v[20:21], v[18:19]
	v_mul_f64 v[20:21], v[22:23], v[18:19]
	v_fma_f64 v[15:16], -v[15:16], v[20:21], v[22:23]
	v_div_fmas_f64 v[15:16], v[15:16], v[18:19], v[20:21]
	v_div_fixup_f64 v[15:16], v[15:16], v[13:14], 1.0
.LBB131_1091:
	s_or_b64 exec, exec, s[14:15]
	s_and_b64 s[12:13], s[12:13], exec
                                        ; implicit-def: $vgpr13_vgpr14
	s_andn2_saveexec_b64 s[8:9], s[8:9]
	s_cbranch_execz .LBB131_44
.LBB131_1092:
	v_lshlrev_b64 v[13:14], 3, v[13:14]
	v_mov_b32_e32 v15, s90
	v_add_co_u32_e32 v13, vcc, s39, v13
	v_addc_co_u32_e32 v14, vcc, v15, v14, vcc
	flat_load_dwordx2 v[15:16], v[13:14]
	s_or_b64 s[12:13], s[12:13], exec
	s_waitcnt vmcnt(0) lgkmcnt(0)
	v_xor_b32_e32 v16, 0x80000000, v16
	s_or_b64 exec, exec, s[8:9]
	s_and_saveexec_b64 s[8:9], s[12:13]
	s_cbranch_execnz .LBB131_45
	s_branch .LBB131_46
.LBB131_1093:
	s_or_b64 exec, exec, s[10:11]
	s_and_b64 vcc, exec, s[8:9]
	s_cbranch_vccnz .LBB131_1031
.LBB131_1094:
	v_mov_b32_e32 v12, v2
	v_mov_b32_e32 v11, v1
	s_and_saveexec_b64 s[2:3], s[6:7]
	s_cbranch_execnz .LBB131_1052
	s_branch .LBB131_1053
.LBB131_1095:
	s_andn2_b64 s[4:5], s[6:7], exec
	s_and_b64 s[6:7], s[2:3], exec
	s_or_b64 s[6:7], s[4:5], s[6:7]
	s_cbranch_execnz .LBB131_1051
.LBB131_1096:
	v_cmp_gt_i32_e32 vcc, s38, v0
	s_and_b64 s[2:3], s[2:3], vcc
	s_andn2_b64 s[4:5], s[6:7], exec
	s_and_b64 s[2:3], s[2:3], exec
	s_or_b64 s[6:7], s[4:5], s[2:3]
	s_and_saveexec_b64 s[2:3], s[6:7]
	s_cbranch_execnz .LBB131_1052
	s_branch .LBB131_1053
.LBB131_1097:
	v_lshlrev_b32_e32 v21, 3, v20
	v_sub_u32_e32 v21, v18, v21
	v_lshl_add_u32 v21, v19, 3, v21
	ds_read_b64 v[21:22], v21 offset:544
	ds_read_b64 v[23:24], v18 offset:8
	s_waitcnt lgkmcnt(0)
	v_fma_f64 v[11:12], v[21:22], v[23:24], v[11:12]
	s_or_b64 exec, exec, s[14:15]
	v_cmp_gt_u32_e64 s[10:11], 8, v14
	s_and_saveexec_b64 s[14:15], s[10:11]
	s_cbranch_execz .LBB131_79
.LBB131_1098:
	ds_read_b64 v[21:22], v16 offset:1056
	ds_read_b64 v[23:24], v18 offset:16
	s_waitcnt lgkmcnt(0)
	v_fma_f64 v[11:12], v[21:22], v[23:24], v[11:12]
	s_or_b64 exec, exec, s[14:15]
	v_cmp_gt_u32_e64 s[10:11], 4, v14
	s_and_saveexec_b64 s[14:15], s[10:11]
	s_cbranch_execnz .LBB131_80
	s_branch .LBB131_81
.LBB131_1099:
	v_lshlrev_b32_e32 v26, 3, v25
	v_sub_u32_e32 v26, v23, v26
	v_lshl_add_u32 v26, v24, 3, v26
	ds_read_b64 v[26:27], v26 offset:576
	ds_read_b64 v[28:29], v23 offset:8
	s_waitcnt lgkmcnt(0)
	v_fma_f64 v[11:12], v[26:27], v[28:29], v[11:12]
	s_or_b64 exec, exec, s[16:17]
	v_cmp_gt_u32_e64 s[14:15], 48, v14
	s_and_saveexec_b64 s[16:17], s[14:15]
	s_cbranch_execz .LBB131_121
.LBB131_1100:
	v_lshlrev_b32_e32 v26, 3, v25
	v_sub_u32_e32 v26, v23, v26
	v_lshl_add_u32 v26, v24, 3, v26
	ds_read_b64 v[26:27], v26 offset:1088
	ds_read_b64 v[28:29], v23 offset:16
	s_waitcnt lgkmcnt(0)
	v_fma_f64 v[11:12], v[26:27], v[28:29], v[11:12]
	s_or_b64 exec, exec, s[16:17]
	v_cmp_gt_u32_e64 s[14:15], 40, v14
	s_and_saveexec_b64 s[16:17], s[14:15]
	s_cbranch_execz .LBB131_122
.LBB131_1101:
	v_lshlrev_b32_e32 v26, 3, v25
	v_sub_u32_e32 v26, v23, v26
	v_lshl_add_u32 v26, v24, 3, v26
	ds_read_b64 v[26:27], v26 offset:1600
	ds_read_b64 v[28:29], v23 offset:24
	s_waitcnt lgkmcnt(0)
	v_fma_f64 v[11:12], v[26:27], v[28:29], v[11:12]
	s_or_b64 exec, exec, s[16:17]
	v_cmp_gt_u32_e64 s[14:15], 32, v14
	s_and_saveexec_b64 s[16:17], s[14:15]
	s_cbranch_execz .LBB131_123
.LBB131_1102:
	ds_read_b64 v[26:27], v21 offset:2112
	ds_read_b64 v[28:29], v23 offset:32
	s_waitcnt lgkmcnt(0)
	v_fma_f64 v[11:12], v[26:27], v[28:29], v[11:12]
	s_or_b64 exec, exec, s[16:17]
	v_cmp_gt_u32_e64 s[14:15], 24, v14
	s_and_saveexec_b64 s[16:17], s[14:15]
	s_cbranch_execz .LBB131_124
.LBB131_1103:
	v_lshlrev_b32_e32 v26, 3, v25
	v_sub_u32_e32 v26, v23, v26
	v_lshl_add_u32 v26, v24, 3, v26
	ds_read_b64 v[26:27], v26 offset:2624
	ds_read_b64 v[28:29], v23 offset:40
	s_waitcnt lgkmcnt(0)
	v_fma_f64 v[11:12], v[26:27], v[28:29], v[11:12]
	s_or_b64 exec, exec, s[16:17]
	v_cmp_gt_u32_e64 s[14:15], 16, v14
	s_and_saveexec_b64 s[16:17], s[14:15]
	s_cbranch_execz .LBB131_125
.LBB131_1104:
	ds_read_b64 v[26:27], v21 offset:3136
	ds_read_b64 v[28:29], v23 offset:48
	s_waitcnt lgkmcnt(0)
	v_fma_f64 v[11:12], v[26:27], v[28:29], v[11:12]
	s_or_b64 exec, exec, s[16:17]
	v_cmp_gt_u32_e64 s[14:15], 8, v14
	s_and_saveexec_b64 s[16:17], s[14:15]
	s_cbranch_execnz .LBB131_126
	s_branch .LBB131_127
.LBB131_1105:
	v_lshlrev_b32_e32 v27, 3, v20
	v_sub_u32_e32 v27, v26, v27
	v_lshl_add_u32 v27, v19, 3, v27
	ds_read_b64 v[27:28], v27 offset:4704
	ds_read_b64 v[29:30], v26 offset:4168
	s_waitcnt lgkmcnt(0)
	v_fma_f64 v[11:12], v[27:28], v[29:30], v[11:12]
	s_or_b64 exec, exec, s[14:15]
	v_cmp_gt_u32_e64 s[10:11], 8, v14
	s_and_saveexec_b64 s[14:15], s[10:11]
	s_cbranch_execz .LBB131_183
.LBB131_1106:
	ds_read_b64 v[27:28], v16 offset:5216
	ds_read_b64 v[29:30], v26 offset:4176
	s_waitcnt lgkmcnt(0)
	v_fma_f64 v[11:12], v[27:28], v[29:30], v[11:12]
	s_or_b64 exec, exec, s[14:15]
	v_cmp_gt_u32_e64 s[10:11], 4, v14
	s_and_saveexec_b64 s[14:15], s[10:11]
	s_cbranch_execnz .LBB131_184
	s_branch .LBB131_185
.LBB131_1107:
	v_lshlrev_b32_e32 v31, 3, v27
	v_lshl_add_u32 v31, v29, 3, v31
	ds_read_b64 v[31:32], v31 offset:5760
	ds_read_b64 v[33:34], v28 offset:88
	s_waitcnt lgkmcnt(0)
	v_fma_f64 v[11:12], v[31:32], v[33:34], v[11:12]
	s_or_b64 exec, exec, s[20:21]
	v_cmp_gt_u32_e64 s[16:17], 64, v14
	s_and_saveexec_b64 s[20:21], s[16:17]
	s_cbranch_execz .LBB131_245
.LBB131_1108:
	ds_read_b64 v[31:32], v26 offset:6272
	ds_read_b64 v[33:34], v28 offset:96
	s_waitcnt lgkmcnt(0)
	v_fma_f64 v[11:12], v[31:32], v[33:34], v[11:12]
	s_or_b64 exec, exec, s[20:21]
	v_cmp_gt_u32_e64 s[16:17], 48, v14
	s_and_saveexec_b64 s[20:21], s[16:17]
	s_cbranch_execz .LBB131_246
.LBB131_1109:
	v_lshlrev_b32_e32 v31, 3, v27
	v_lshl_add_u32 v31, v29, 3, v31
	ds_read_b64 v[31:32], v31 offset:6784
	ds_read_b64 v[33:34], v28 offset:104
	s_waitcnt lgkmcnt(0)
	v_fma_f64 v[11:12], v[31:32], v[33:34], v[11:12]
	s_or_b64 exec, exec, s[20:21]
	v_cmp_gt_u32_e64 s[16:17], 32, v14
	s_and_saveexec_b64 s[20:21], s[16:17]
	s_cbranch_execz .LBB131_247
.LBB131_1110:
	ds_read_b64 v[31:32], v26 offset:7296
	ds_read_b64 v[33:34], v28 offset:112
	s_waitcnt lgkmcnt(0)
	v_fma_f64 v[11:12], v[31:32], v[33:34], v[11:12]
	s_or_b64 exec, exec, s[20:21]
	v_cmp_gt_u32_e64 s[16:17], 16, v14
	s_and_saveexec_b64 s[20:21], s[16:17]
	s_cbranch_execnz .LBB131_248
	s_branch .LBB131_249
.LBB131_1111:
	v_lshlrev_b32_e32 v32, 3, v20
	v_sub_u32_e32 v32, v31, v32
	v_lshl_add_u32 v32, v19, 3, v32
	ds_read_b64 v[32:33], v32 offset:8864
	ds_read_b64 v[34:35], v31 offset:8328
	s_waitcnt lgkmcnt(0)
	v_fma_f64 v[11:12], v[32:33], v[34:35], v[11:12]
	s_or_b64 exec, exec, s[20:21]
	v_cmp_gt_u32_e64 s[14:15], 8, v14
	s_and_saveexec_b64 s[0:1], s[14:15]
	s_cbranch_execz .LBB131_337
.LBB131_1112:
	ds_read_b64 v[32:33], v16 offset:9376
	ds_read_b64 v[34:35], v31 offset:8336
	s_waitcnt lgkmcnt(0)
	v_fma_f64 v[11:12], v[32:33], v[34:35], v[11:12]
	s_or_b64 exec, exec, s[0:1]
	v_cmp_gt_u32_e64 s[14:15], 4, v14
	s_and_saveexec_b64 s[20:21], s[14:15]
	s_cbranch_execnz .LBB131_338
	s_branch .LBB131_339
.LBB131_1113:
	v_lshlrev_b32_e32 v32, 3, v25
	v_sub_u32_e32 v32, v31, v32
	v_lshl_add_u32 v32, v24, 3, v32
	ds_read_b64 v[32:33], v32 offset:8896
	ds_read_b64 v[34:35], v31 offset:8328
	s_waitcnt lgkmcnt(0)
	v_fma_f64 v[11:12], v[32:33], v[34:35], v[11:12]
	s_or_b64 exec, exec, s[20:21]
	v_cmp_gt_u32_e64 s[14:15], 48, v14
	s_and_saveexec_b64 s[20:21], s[14:15]
	s_cbranch_execz .LBB131_379
.LBB131_1114:
	v_lshlrev_b32_e32 v32, 3, v25
	v_sub_u32_e32 v32, v31, v32
	v_lshl_add_u32 v32, v24, 3, v32
	ds_read_b64 v[32:33], v32 offset:9408
	ds_read_b64 v[34:35], v31 offset:8336
	s_waitcnt lgkmcnt(0)
	v_fma_f64 v[11:12], v[32:33], v[34:35], v[11:12]
	s_or_b64 exec, exec, s[20:21]
	v_cmp_gt_u32_e64 s[14:15], 40, v14
	s_and_saveexec_b64 s[20:21], s[14:15]
	s_cbranch_execz .LBB131_380
.LBB131_1115:
	v_lshlrev_b32_e32 v32, 3, v25
	v_sub_u32_e32 v32, v31, v32
	v_lshl_add_u32 v32, v24, 3, v32
	ds_read_b64 v[32:33], v32 offset:9920
	ds_read_b64 v[34:35], v31 offset:8344
	s_waitcnt lgkmcnt(0)
	v_fma_f64 v[11:12], v[32:33], v[34:35], v[11:12]
	s_or_b64 exec, exec, s[20:21]
	v_cmp_gt_u32_e64 s[14:15], 32, v14
	s_and_saveexec_b64 s[0:1], s[14:15]
	s_cbranch_execz .LBB131_381
.LBB131_1116:
	ds_read_b64 v[32:33], v21 offset:10432
	ds_read_b64 v[34:35], v31 offset:8352
	s_waitcnt lgkmcnt(0)
	v_fma_f64 v[11:12], v[32:33], v[34:35], v[11:12]
	s_or_b64 exec, exec, s[0:1]
	v_cmp_gt_u32_e64 s[14:15], 24, v14
	s_and_saveexec_b64 s[20:21], s[14:15]
	s_cbranch_execz .LBB131_382
.LBB131_1117:
	v_lshlrev_b32_e32 v32, 3, v25
	v_sub_u32_e32 v32, v31, v32
	v_lshl_add_u32 v32, v24, 3, v32
	ds_read_b64 v[32:33], v32 offset:10944
	ds_read_b64 v[34:35], v31 offset:8360
	s_waitcnt lgkmcnt(0)
	v_fma_f64 v[11:12], v[32:33], v[34:35], v[11:12]
	s_or_b64 exec, exec, s[20:21]
	v_cmp_gt_u32_e64 s[14:15], 16, v14
	s_and_saveexec_b64 s[0:1], s[14:15]
	s_cbranch_execz .LBB131_383
.LBB131_1118:
	ds_read_b64 v[32:33], v21 offset:11456
	ds_read_b64 v[34:35], v31 offset:8368
	s_waitcnt lgkmcnt(0)
	v_fma_f64 v[11:12], v[32:33], v[34:35], v[11:12]
	s_or_b64 exec, exec, s[0:1]
	v_cmp_gt_u32_e64 s[14:15], 8, v14
	s_and_saveexec_b64 s[20:21], s[14:15]
	s_cbranch_execnz .LBB131_384
	s_branch .LBB131_385
.LBB131_1119:
	v_lshlrev_b32_e32 v32, 3, v20
	v_sub_u32_e32 v32, v31, v32
	v_lshl_add_u32 v32, v19, 3, v32
	ds_read_b64 v[32:33], v32 offset:13024
	ds_read_b64 v[34:35], v31 offset:12488
	s_waitcnt lgkmcnt(0)
	v_fma_f64 v[11:12], v[32:33], v[34:35], v[11:12]
	s_or_b64 exec, exec, s[20:21]
	v_cmp_gt_u32_e64 s[14:15], 8, v14
	s_and_saveexec_b64 s[0:1], s[14:15]
	s_cbranch_execz .LBB131_441
.LBB131_1120:
	ds_read_b64 v[32:33], v16 offset:13536
	ds_read_b64 v[34:35], v31 offset:12496
	s_waitcnt lgkmcnt(0)
	v_fma_f64 v[11:12], v[32:33], v[34:35], v[11:12]
	s_or_b64 exec, exec, s[0:1]
	v_cmp_gt_u32_e64 s[14:15], 4, v14
	s_and_saveexec_b64 s[20:21], s[14:15]
	s_cbranch_execnz .LBB131_442
	s_branch .LBB131_443
.LBB131_1121:
	ds_read_b64 v[35:36], v31 offset:15104
	ds_read_b64 v[37:38], v34 offset:232
	s_waitcnt lgkmcnt(0)
	v_fma_f64 v[11:12], v[35:36], v[37:38], v[11:12]
	s_or_b64 exec, exec, s[0:1]
	v_cmp_gt_u32_e64 s[20:21], 64, v14
	s_and_saveexec_b64 s[0:1], s[20:21]
	s_cbranch_execz .LBB131_539
.LBB131_1122:
	ds_read_b64 v[35:36], v31 offset:15616
	ds_read_b64 v[37:38], v34 offset:240
	s_waitcnt lgkmcnt(0)
	v_fma_f64 v[11:12], v[35:36], v[37:38], v[11:12]
	s_or_b64 exec, exec, s[0:1]
	v_cmp_gt_u32_e64 s[20:21], 32, v14
	s_and_saveexec_b64 s[0:1], s[20:21]
	s_cbranch_execnz .LBB131_540
	s_branch .LBB131_541
.LBB131_1123:
	v_lshlrev_b32_e32 v32, 3, v20
	v_sub_u32_e32 v32, v31, v32
	v_lshl_add_u32 v32, v19, 3, v32
	ds_read_b64 v[32:33], v32 offset:17184
	ds_read_b64 v[34:35], v31 offset:16648
	s_waitcnt lgkmcnt(0)
	v_fma_f64 v[11:12], v[32:33], v[34:35], v[11:12]
	s_or_b64 exec, exec, s[16:17]
	v_cmp_gt_u32_e64 s[12:13], 8, v14
	s_and_saveexec_b64 s[0:1], s[12:13]
	s_cbranch_execz .LBB131_585
.LBB131_1124:
	ds_read_b64 v[32:33], v16 offset:17696
	ds_read_b64 v[34:35], v31 offset:16656
	s_waitcnt lgkmcnt(0)
	v_fma_f64 v[11:12], v[32:33], v[34:35], v[11:12]
	s_or_b64 exec, exec, s[0:1]
	v_cmp_gt_u32_e64 s[12:13], 4, v14
	s_and_saveexec_b64 s[0:1], s[12:13]
	s_cbranch_execnz .LBB131_586
	s_branch .LBB131_587
.LBB131_1125:
	v_lshlrev_b32_e32 v32, 3, v25
	v_sub_u32_e32 v32, v31, v32
	v_lshl_add_u32 v32, v24, 3, v32
	ds_read_b64 v[32:33], v32 offset:17216
	ds_read_b64 v[34:35], v31 offset:16648
	s_waitcnt lgkmcnt(0)
	v_fma_f64 v[11:12], v[32:33], v[34:35], v[11:12]
	s_or_b64 exec, exec, s[16:17]
	v_cmp_gt_u32_e64 s[12:13], 48, v14
	s_and_saveexec_b64 s[0:1], s[12:13]
	s_cbranch_execz .LBB131_627
.LBB131_1126:
	v_lshlrev_b32_e32 v32, 3, v25
	v_sub_u32_e32 v32, v31, v32
	v_lshl_add_u32 v32, v24, 3, v32
	ds_read_b64 v[32:33], v32 offset:17728
	ds_read_b64 v[34:35], v31 offset:16656
	s_waitcnt lgkmcnt(0)
	v_fma_f64 v[11:12], v[32:33], v[34:35], v[11:12]
	s_or_b64 exec, exec, s[0:1]
	v_cmp_gt_u32_e64 s[12:13], 40, v14
	s_and_saveexec_b64 s[0:1], s[12:13]
	s_cbranch_execz .LBB131_628
.LBB131_1127:
	v_lshlrev_b32_e32 v32, 3, v25
	v_sub_u32_e32 v32, v31, v32
	v_lshl_add_u32 v32, v24, 3, v32
	ds_read_b64 v[32:33], v32 offset:18240
	ds_read_b64 v[34:35], v31 offset:16664
	s_waitcnt lgkmcnt(0)
	v_fma_f64 v[11:12], v[32:33], v[34:35], v[11:12]
	s_or_b64 exec, exec, s[0:1]
	v_cmp_gt_u32_e64 s[12:13], 32, v14
	s_and_saveexec_b64 s[0:1], s[12:13]
	s_cbranch_execz .LBB131_629
.LBB131_1128:
	ds_read_b64 v[32:33], v21 offset:18752
	ds_read_b64 v[34:35], v31 offset:16672
	s_waitcnt lgkmcnt(0)
	v_fma_f64 v[11:12], v[32:33], v[34:35], v[11:12]
	s_or_b64 exec, exec, s[0:1]
	v_cmp_gt_u32_e64 s[12:13], 24, v14
	s_and_saveexec_b64 s[0:1], s[12:13]
	s_cbranch_execz .LBB131_630
.LBB131_1129:
	v_lshlrev_b32_e32 v32, 3, v25
	v_sub_u32_e32 v32, v31, v32
	v_lshl_add_u32 v32, v24, 3, v32
	ds_read_b64 v[32:33], v32 offset:19264
	ds_read_b64 v[34:35], v31 offset:16680
	s_waitcnt lgkmcnt(0)
	v_fma_f64 v[11:12], v[32:33], v[34:35], v[11:12]
	s_or_b64 exec, exec, s[0:1]
	v_cmp_gt_u32_e64 s[12:13], 16, v14
	s_and_saveexec_b64 s[0:1], s[12:13]
	s_cbranch_execz .LBB131_631
.LBB131_1130:
	ds_read_b64 v[32:33], v21 offset:19776
	ds_read_b64 v[34:35], v31 offset:16688
	s_waitcnt lgkmcnt(0)
	v_fma_f64 v[11:12], v[32:33], v[34:35], v[11:12]
	s_or_b64 exec, exec, s[0:1]
	v_cmp_gt_u32_e64 s[12:13], 8, v14
	s_and_saveexec_b64 s[0:1], s[12:13]
	s_cbranch_execnz .LBB131_632
	s_branch .LBB131_633
.LBB131_1131:
	v_lshlrev_b32_e32 v32, 3, v20
	v_sub_u32_e32 v32, v31, v32
	v_lshl_add_u32 v32, v19, 3, v32
	ds_read_b64 v[32:33], v32 offset:21344
	ds_read_b64 v[34:35], v31 offset:20808
	s_waitcnt lgkmcnt(0)
	v_fma_f64 v[11:12], v[32:33], v[34:35], v[11:12]
	s_or_b64 exec, exec, s[16:17]
	v_cmp_gt_u32_e64 s[12:13], 8, v14
	s_and_saveexec_b64 s[0:1], s[12:13]
	s_cbranch_execz .LBB131_689
.LBB131_1132:
	ds_read_b64 v[32:33], v16 offset:21856
	ds_read_b64 v[34:35], v31 offset:20816
	s_waitcnt lgkmcnt(0)
	v_fma_f64 v[11:12], v[32:33], v[34:35], v[11:12]
	s_or_b64 exec, exec, s[0:1]
	v_cmp_gt_u32_e64 s[12:13], 4, v14
	s_and_saveexec_b64 s[0:1], s[12:13]
	s_cbranch_execnz .LBB131_690
	s_branch .LBB131_691
.LBB131_1133:
	v_lshlrev_b32_e32 v30, 3, v27
	v_lshl_add_u32 v30, v29, 3, v30
	ds_read_b64 v[32:33], v30 offset:22400
	ds_read_b64 v[34:35], v31 offset:16728
	s_waitcnt lgkmcnt(0)
	v_fma_f64 v[11:12], v[32:33], v[34:35], v[11:12]
	s_or_b64 exec, exec, s[0:1]
	v_cmp_gt_u32_e64 s[12:13], 64, v14
	s_and_saveexec_b64 s[0:1], s[12:13]
	s_cbranch_execz .LBB131_751
.LBB131_1134:
	ds_read_b64 v[32:33], v26 offset:22912
	ds_read_b64 v[34:35], v31 offset:16736
	s_waitcnt lgkmcnt(0)
	v_fma_f64 v[11:12], v[32:33], v[34:35], v[11:12]
	s_or_b64 exec, exec, s[0:1]
	v_cmp_gt_u32_e64 s[12:13], 48, v14
	s_and_saveexec_b64 s[0:1], s[12:13]
	s_cbranch_execz .LBB131_752
.LBB131_1135:
	v_lshlrev_b32_e32 v30, 3, v27
	v_lshl_add_u32 v29, v29, 3, v30
	ds_read_b64 v[29:30], v29 offset:23424
	ds_read_b64 v[32:33], v31 offset:16744
	s_waitcnt lgkmcnt(0)
	v_fma_f64 v[11:12], v[29:30], v[32:33], v[11:12]
	s_or_b64 exec, exec, s[0:1]
	v_cmp_gt_u32_e64 s[12:13], 32, v14
	s_and_saveexec_b64 s[0:1], s[12:13]
	s_cbranch_execz .LBB131_753
.LBB131_1136:
	ds_read_b64 v[29:30], v26 offset:23936
	ds_read_b64 v[31:32], v31 offset:16752
	s_waitcnt lgkmcnt(0)
	v_fma_f64 v[11:12], v[29:30], v[31:32], v[11:12]
	s_or_b64 exec, exec, s[0:1]
	v_cmp_gt_u32_e64 s[12:13], 16, v14
	s_and_saveexec_b64 s[0:1], s[12:13]
	s_cbranch_execnz .LBB131_754
	s_branch .LBB131_755
.LBB131_1137:
	v_lshlrev_b32_e32 v27, 3, v20
	v_sub_u32_e32 v27, v26, v27
	v_lshl_add_u32 v27, v19, 3, v27
	ds_read_b64 v[27:28], v27 offset:25504
	ds_read_b64 v[29:30], v26 offset:24968
	s_waitcnt lgkmcnt(0)
	v_fma_f64 v[11:12], v[27:28], v[29:30], v[11:12]
	s_or_b64 exec, exec, s[12:13]
	v_cmp_gt_u32_e64 s[10:11], 8, v14
	s_and_saveexec_b64 s[12:13], s[10:11]
	s_cbranch_execz .LBB131_843
.LBB131_1138:
	ds_read_b64 v[27:28], v16 offset:26016
	ds_read_b64 v[29:30], v26 offset:24976
	s_waitcnt lgkmcnt(0)
	v_fma_f64 v[11:12], v[27:28], v[29:30], v[11:12]
	s_or_b64 exec, exec, s[12:13]
	v_cmp_gt_u32_e64 s[10:11], 4, v14
	s_and_saveexec_b64 s[12:13], s[10:11]
	s_cbranch_execnz .LBB131_844
	s_branch .LBB131_845
.LBB131_1139:
	v_lshlrev_b32_e32 v27, 3, v25
	v_sub_u32_e32 v27, v26, v27
	v_lshl_add_u32 v27, v24, 3, v27
	ds_read_b64 v[27:28], v27 offset:25536
	ds_read_b64 v[29:30], v26 offset:24968
	s_waitcnt lgkmcnt(0)
	v_fma_f64 v[11:12], v[27:28], v[29:30], v[11:12]
	s_or_b64 exec, exec, s[12:13]
	v_cmp_gt_u32_e64 s[10:11], 48, v14
	s_and_saveexec_b64 s[12:13], s[10:11]
	s_cbranch_execz .LBB131_885
.LBB131_1140:
	v_lshlrev_b32_e32 v27, 3, v25
	v_sub_u32_e32 v27, v26, v27
	v_lshl_add_u32 v27, v24, 3, v27
	ds_read_b64 v[27:28], v27 offset:26048
	ds_read_b64 v[29:30], v26 offset:24976
	s_waitcnt lgkmcnt(0)
	v_fma_f64 v[11:12], v[27:28], v[29:30], v[11:12]
	s_or_b64 exec, exec, s[12:13]
	v_cmp_gt_u32_e64 s[10:11], 40, v14
	s_and_saveexec_b64 s[12:13], s[10:11]
	s_cbranch_execz .LBB131_886
.LBB131_1141:
	v_lshlrev_b32_e32 v27, 3, v25
	v_sub_u32_e32 v27, v26, v27
	v_lshl_add_u32 v27, v24, 3, v27
	ds_read_b64 v[27:28], v27 offset:26560
	ds_read_b64 v[29:30], v26 offset:24984
	s_waitcnt lgkmcnt(0)
	v_fma_f64 v[11:12], v[27:28], v[29:30], v[11:12]
	s_or_b64 exec, exec, s[12:13]
	v_cmp_gt_u32_e64 s[10:11], 32, v14
	s_and_saveexec_b64 s[12:13], s[10:11]
	s_cbranch_execz .LBB131_887
.LBB131_1142:
	ds_read_b64 v[27:28], v21 offset:27072
	ds_read_b64 v[29:30], v26 offset:24992
	s_waitcnt lgkmcnt(0)
	v_fma_f64 v[11:12], v[27:28], v[29:30], v[11:12]
	s_or_b64 exec, exec, s[12:13]
	v_cmp_gt_u32_e64 s[10:11], 24, v14
	s_and_saveexec_b64 s[12:13], s[10:11]
	s_cbranch_execz .LBB131_888
.LBB131_1143:
	v_lshlrev_b32_e32 v25, 3, v25
	v_sub_u32_e32 v25, v26, v25
	v_lshl_add_u32 v24, v24, 3, v25
	ds_read_b64 v[24:25], v24 offset:27584
	ds_read_b64 v[27:28], v26 offset:25000
	s_waitcnt lgkmcnt(0)
	v_fma_f64 v[11:12], v[24:25], v[27:28], v[11:12]
	s_or_b64 exec, exec, s[12:13]
	v_cmp_gt_u32_e64 s[10:11], 16, v14
	s_and_saveexec_b64 s[12:13], s[10:11]
	s_cbranch_execz .LBB131_889
.LBB131_1144:
	ds_read_b64 v[24:25], v21 offset:28096
	ds_read_b64 v[26:27], v26 offset:25008
	s_waitcnt lgkmcnt(0)
	v_fma_f64 v[11:12], v[24:25], v[26:27], v[11:12]
	s_or_b64 exec, exec, s[12:13]
	v_cmp_gt_u32_e64 s[10:11], 8, v14
	s_and_saveexec_b64 s[12:13], s[10:11]
	s_cbranch_execnz .LBB131_890
	s_branch .LBB131_891
.LBB131_1145:
	v_lshlrev_b32_e32 v20, 3, v20
	v_sub_u32_e32 v20, v21, v20
	v_lshl_add_u32 v19, v19, 3, v20
	ds_read_b64 v[19:20], v19 offset:29664
	ds_read_b64 v[22:23], v21 offset:29128
	s_waitcnt lgkmcnt(0)
	v_fma_f64 v[11:12], v[19:20], v[22:23], v[11:12]
	s_or_b64 exec, exec, s[10:11]
	v_cmp_gt_u32_e64 s[8:9], 8, v14
	s_and_saveexec_b64 s[10:11], s[8:9]
	s_cbranch_execz .LBB131_947
.LBB131_1146:
	ds_read_b64 v[19:20], v16 offset:30176
	ds_read_b64 v[21:22], v21 offset:29136
	s_waitcnt lgkmcnt(0)
	v_fma_f64 v[11:12], v[19:20], v[21:22], v[11:12]
	s_or_b64 exec, exec, s[10:11]
	v_cmp_gt_u32_e64 s[8:9], 4, v14
	s_and_saveexec_b64 s[10:11], s[8:9]
	s_cbranch_execnz .LBB131_948
	s_branch .LBB131_949
	.section	.rodata,"a",@progbits
	.p2align	6, 0x0
	.amdhsa_kernel _ZL19rocblas_trsv_deviceILi64ELi16ELb1ELb1ELb0ELb0EdPKdPKS1_PKPdEviT7_lllT6_T8_lllPii
		.amdhsa_group_segment_fixed_size 41480
		.amdhsa_private_segment_fixed_size 0
		.amdhsa_kernarg_size 352
		.amdhsa_user_sgpr_count 6
		.amdhsa_user_sgpr_private_segment_buffer 1
		.amdhsa_user_sgpr_dispatch_ptr 0
		.amdhsa_user_sgpr_queue_ptr 0
		.amdhsa_user_sgpr_kernarg_segment_ptr 1
		.amdhsa_user_sgpr_dispatch_id 0
		.amdhsa_user_sgpr_flat_scratch_init 0
		.amdhsa_user_sgpr_private_segment_size 0
		.amdhsa_uses_dynamic_stack 0
		.amdhsa_system_sgpr_private_segment_wavefront_offset 0
		.amdhsa_system_sgpr_workgroup_id_x 1
		.amdhsa_system_sgpr_workgroup_id_y 0
		.amdhsa_system_sgpr_workgroup_id_z 1
		.amdhsa_system_sgpr_workgroup_info 0
		.amdhsa_system_vgpr_workitem_id 1
		.amdhsa_next_free_vgpr 49
		.amdhsa_next_free_sgpr 98
		.amdhsa_reserve_vcc 1
		.amdhsa_reserve_flat_scratch 0
		.amdhsa_float_round_mode_32 0
		.amdhsa_float_round_mode_16_64 0
		.amdhsa_float_denorm_mode_32 3
		.amdhsa_float_denorm_mode_16_64 3
		.amdhsa_dx10_clamp 1
		.amdhsa_ieee_mode 1
		.amdhsa_fp16_overflow 0
		.amdhsa_exception_fp_ieee_invalid_op 0
		.amdhsa_exception_fp_denorm_src 0
		.amdhsa_exception_fp_ieee_div_zero 0
		.amdhsa_exception_fp_ieee_overflow 0
		.amdhsa_exception_fp_ieee_underflow 0
		.amdhsa_exception_fp_ieee_inexact 0
		.amdhsa_exception_int_div_zero 0
	.end_amdhsa_kernel
	.section	.text._ZL19rocblas_trsv_deviceILi64ELi16ELb1ELb1ELb0ELb0EdPKdPKS1_PKPdEviT7_lllT6_T8_lllPii,"axG",@progbits,_ZL19rocblas_trsv_deviceILi64ELi16ELb1ELb1ELb0ELb0EdPKdPKS1_PKPdEviT7_lllT6_T8_lllPii,comdat
.Lfunc_end131:
	.size	_ZL19rocblas_trsv_deviceILi64ELi16ELb1ELb1ELb0ELb0EdPKdPKS1_PKPdEviT7_lllT6_T8_lllPii, .Lfunc_end131-_ZL19rocblas_trsv_deviceILi64ELi16ELb1ELb1ELb0ELb0EdPKdPKS1_PKPdEviT7_lllT6_T8_lllPii
                                        ; -- End function
	.set _ZL19rocblas_trsv_deviceILi64ELi16ELb1ELb1ELb0ELb0EdPKdPKS1_PKPdEviT7_lllT6_T8_lllPii.num_vgpr, 43
	.set _ZL19rocblas_trsv_deviceILi64ELi16ELb1ELb1ELb0ELb0EdPKdPKS1_PKPdEviT7_lllT6_T8_lllPii.num_agpr, 0
	.set _ZL19rocblas_trsv_deviceILi64ELi16ELb1ELb1ELb0ELb0EdPKdPKS1_PKPdEviT7_lllT6_T8_lllPii.numbered_sgpr, 96
	.set _ZL19rocblas_trsv_deviceILi64ELi16ELb1ELb1ELb0ELb0EdPKdPKS1_PKPdEviT7_lllT6_T8_lllPii.num_named_barrier, 0
	.set _ZL19rocblas_trsv_deviceILi64ELi16ELb1ELb1ELb0ELb0EdPKdPKS1_PKPdEviT7_lllT6_T8_lllPii.private_seg_size, 0
	.set _ZL19rocblas_trsv_deviceILi64ELi16ELb1ELb1ELb0ELb0EdPKdPKS1_PKPdEviT7_lllT6_T8_lllPii.uses_vcc, 1
	.set _ZL19rocblas_trsv_deviceILi64ELi16ELb1ELb1ELb0ELb0EdPKdPKS1_PKPdEviT7_lllT6_T8_lllPii.uses_flat_scratch, 0
	.set _ZL19rocblas_trsv_deviceILi64ELi16ELb1ELb1ELb0ELb0EdPKdPKS1_PKPdEviT7_lllT6_T8_lllPii.has_dyn_sized_stack, 0
	.set _ZL19rocblas_trsv_deviceILi64ELi16ELb1ELb1ELb0ELb0EdPKdPKS1_PKPdEviT7_lllT6_T8_lllPii.has_recursion, 0
	.set _ZL19rocblas_trsv_deviceILi64ELi16ELb1ELb1ELb0ELb0EdPKdPKS1_PKPdEviT7_lllT6_T8_lllPii.has_indirect_call, 0
	.section	.AMDGPU.csdata,"",@progbits
; Kernel info:
; codeLenInByte = 38636
; TotalNumSgprs: 100
; NumVgprs: 43
; ScratchSize: 0
; MemoryBound: 0
; FloatMode: 240
; IeeeMode: 1
; LDSByteSize: 41480 bytes/workgroup (compile time only)
; SGPRBlocks: 12
; VGPRBlocks: 12
; NumSGPRsForWavesPerEU: 102
; NumVGPRsForWavesPerEU: 49
; Occupancy: 4
; WaveLimiterHint : 1
; COMPUTE_PGM_RSRC2:SCRATCH_EN: 0
; COMPUTE_PGM_RSRC2:USER_SGPR: 6
; COMPUTE_PGM_RSRC2:TRAP_HANDLER: 0
; COMPUTE_PGM_RSRC2:TGID_X_EN: 1
; COMPUTE_PGM_RSRC2:TGID_Y_EN: 0
; COMPUTE_PGM_RSRC2:TGID_Z_EN: 1
; COMPUTE_PGM_RSRC2:TIDIG_COMP_CNT: 1
	.section	.text._ZL19rocblas_trsv_deviceILi64ELi16ELb1ELb1ELb1ELb0EdPKdPKS1_PKPdEviT7_lllT6_T8_lllPii,"axG",@progbits,_ZL19rocblas_trsv_deviceILi64ELi16ELb1ELb1ELb1ELb0EdPKdPKS1_PKPdEviT7_lllT6_T8_lllPii,comdat
	.globl	_ZL19rocblas_trsv_deviceILi64ELi16ELb1ELb1ELb1ELb0EdPKdPKS1_PKPdEviT7_lllT6_T8_lllPii ; -- Begin function _ZL19rocblas_trsv_deviceILi64ELi16ELb1ELb1ELb1ELb0EdPKdPKS1_PKPdEviT7_lllT6_T8_lllPii
	.p2align	8
	.type	_ZL19rocblas_trsv_deviceILi64ELi16ELb1ELb1ELb1ELb0EdPKdPKS1_PKPdEviT7_lllT6_T8_lllPii,@function
_ZL19rocblas_trsv_deviceILi64ELi16ELb1ELb1ELb1ELb0EdPKdPKS1_PKPdEviT7_lllT6_T8_lllPii: ; @_ZL19rocblas_trsv_deviceILi64ELi16ELb1ELb1ELb1ELb0EdPKdPKS1_PKPdEviT7_lllT6_T8_lllPii
; %bb.0:
	s_load_dwordx4 s[0:3], s[4:5], 0x8
	s_mov_b32 s28, s7
	s_mov_b32 s29, 0
	s_lshl_b64 s[8:9], s[28:29], 3
	v_mov_b32_e32 v2, v1
	s_waitcnt lgkmcnt(0)
	s_add_u32 s0, s0, s8
	s_addc_u32 s1, s1, s9
	s_load_dwordx2 s[10:11], s[0:1], 0x0
	s_load_dword s30, s[4:5], 0x0
	s_load_dwordx8 s[20:27], s[4:5], 0x28
	s_load_dwordx2 s[34:35], s[4:5], 0x18
	s_lshl_b64 s[0:1], s[2:3], 3
	s_waitcnt lgkmcnt(0)
	s_add_u32 s39, s10, s0
	s_addc_u32 s90, s11, s1
	s_add_u32 s0, s22, s8
	s_load_dword s7, s[4:5], 0x60
	s_addc_u32 s1, s23, s9
	s_load_dwordx2 s[60:61], s[0:1], 0x0
	s_load_dwordx2 s[48:49], s[20:21], 0x0
	s_load_dword s36, s[4:5], 0x6c
	s_waitcnt lgkmcnt(0)
	s_add_i32 s7, s7, -1
	s_sub_i32 s91, s7, s6
	s_cmp_lg_u32 s6, 0
	s_cbranch_scc0 .LBB132_1056
; %bb.1:
	s_lshl_b32 s33, s91, 6
	v_add_u32_e32 v1, s33, v0
	v_ashrrev_i32_e32 v3, 31, v1
	v_mul_lo_u32 v5, s34, v3
	v_mul_lo_u32 v6, s35, v1
	v_mad_u64_u32 v[3:4], s[0:1], s34, v1, 0
	v_add3_u32 v11, v2, s33, 64
	v_ashrrev_i32_e32 v12, 31, v11
	v_add3_u32 v4, v4, v5, v6
	v_lshlrev_b64 v[3:4], 3, v[3:4]
	v_cmp_gt_i32_e32 vcc, s30, v1
	v_mov_b32_e32 v1, s90
	v_add_co_u32_e64 v5, s[0:1], s39, v3
	v_addc_co_u32_e64 v1, s[0:1], v1, v4, s[0:1]
	v_lshlrev_b64 v[3:4], 3, v[11:12]
	v_add_co_u32_e64 v12, s[0:1], v5, v3
	v_addc_co_u32_e64 v13, s[0:1], v1, v4, s[0:1]
	v_cmp_gt_i32_e64 s[0:1], s30, v11
	v_mov_b32_e32 v3, 0
	v_mov_b32_e32 v5, 0
	;; [unrolled: 1-line block ×4, first 2 shown]
	s_and_b64 s[2:3], s[0:1], vcc
	s_barrier
	s_and_saveexec_b64 s[0:1], s[2:3]
	s_cbranch_execz .LBB132_3
; %bb.2:
	flat_load_dwordx2 v[5:6], v[12:13]
.LBB132_3:
	s_or_b64 exec, exec, s[0:1]
	v_add_u32_e32 v1, 16, v11
	v_cmp_gt_i32_e64 s[0:1], s30, v1
	s_and_b64 s[2:3], s[0:1], vcc
	s_waitcnt vmcnt(0) lgkmcnt(0)
	s_barrier
	s_and_saveexec_b64 s[0:1], s[2:3]
	s_cbranch_execz .LBB132_5
; %bb.4:
	flat_load_dwordx2 v[3:4], v[12:13] offset:128
.LBB132_5:
	s_or_b64 exec, exec, s[0:1]
	v_add_u32_e32 v1, 32, v11
	v_cmp_gt_i32_e64 s[0:1], s30, v1
	v_mov_b32_e32 v7, 0
	v_mov_b32_e32 v9, 0
	;; [unrolled: 1-line block ×4, first 2 shown]
	s_and_b64 s[2:3], s[0:1], vcc
	s_waitcnt vmcnt(0) lgkmcnt(0)
	s_barrier
	s_and_saveexec_b64 s[0:1], s[2:3]
	s_cbranch_execz .LBB132_7
; %bb.6:
	flat_load_dwordx2 v[9:10], v[12:13] offset:256
.LBB132_7:
	s_or_b64 exec, exec, s[0:1]
	v_add_u32_e32 v1, 48, v11
	v_cmp_gt_i32_e64 s[0:1], s30, v1
	s_and_b64 s[2:3], s[0:1], vcc
	s_waitcnt vmcnt(0) lgkmcnt(0)
	s_barrier
	s_and_saveexec_b64 s[0:1], s[2:3]
	s_cbranch_execz .LBB132_9
; %bb.8:
	flat_load_dwordx2 v[7:8], v[12:13] offset:384
.LBB132_9:
	s_or_b64 exec, exec, s[0:1]
	s_branch .LBB132_11
.LBB132_10:
	s_lshl_b32 s33, s91, 6
                                        ; implicit-def: $vgpr5_vgpr6
                                        ; implicit-def: $vgpr3_vgpr4
                                        ; implicit-def: $vgpr9_vgpr10
                                        ; implicit-def: $vgpr7_vgpr8
.LBB132_11:
	s_ashr_i32 s31, s30, 31
	s_lshr_b32 s0, s31, 26
	s_add_i32 s0, s30, s0
	s_andn2_b32 s0, s0, 63
	s_sub_i32 s38, s30, s0
	s_add_i32 s0, s30, -1
	s_ashr_i32 s1, s0, 31
	s_lshr_b32 s1, s1, 26
	s_add_i32 s0, s0, s1
	s_ashr_i32 s0, s0, 6
	s_cmp_eq_u32 s0, s91
	s_cselect_b64 s[0:1], -1, 0
	s_cmp_lg_u32 s38, 0
	s_cselect_b64 s[2:3], -1, 0
	s_and_b64 s[22:23], s[2:3], s[0:1]
	s_cmp_lt_i32 s6, 5
	s_cselect_b64 s[2:3], -1, 0
	s_or_b64 s[0:1], s[2:3], s[22:23]
	s_ashr_i32 s42, s33, 31
	s_add_u32 s10, s34, 1
	v_mov_b32_e32 v1, 0
	v_mov_b32_e32 v11, s33
	v_mad_u64_u32 v[11:12], s[8:9], s10, v11, v[0:1]
	s_addc_u32 s11, s35, 0
	s_mul_i32 s8, s10, s42
	s_mul_i32 s11, s11, s33
	s_add_i32 s8, s8, s11
	s_mov_b64 s[12:13], -1
	v_lshlrev_b32_e32 v17, 6, v0
	v_add_u32_e32 v12, s8, v12
	s_and_b64 vcc, exec, s[22:23]
	v_cmp_le_u32_e64 s[8:9], v0, v2
	s_cbranch_vccnz .LBB132_33
; %bb.12:
	v_mad_u64_u32 v[15:16], s[10:11], s34, v2, v[11:12]
	v_mov_b32_e32 v1, v16
	v_mad_u64_u32 v[13:14], s[10:11], s35, v2, v[1:2]
	s_mov_b64 s[10:11], 0
	v_mov_b32_e32 v16, v13
                                        ; implicit-def: $vgpr13_vgpr14
	s_and_saveexec_b64 s[12:13], s[8:9]
	s_xor_b64 s[8:9], exec, s[12:13]
	s_cbranch_execnz .LBB132_1057
; %bb.13:
	s_andn2_saveexec_b64 s[8:9], s[8:9]
	s_cbranch_execnz .LBB132_1062
.LBB132_14:
	s_or_b64 exec, exec, s[8:9]
	s_and_saveexec_b64 s[8:9], s[10:11]
.LBB132_15:
	v_add_u32_e32 v1, v2, v17
	v_lshl_add_u32 v15, v2, 6, v0
	v_cndmask_b32_e64 v1, v15, v1, s[2:3]
	v_lshlrev_b32_e32 v1, 3, v1
	ds_write_b64 v1, v[13:14]
.LBB132_16:
	s_or_b64 exec, exec, s[8:9]
	v_add_u32_e32 v1, 16, v2
	v_mad_u64_u32 v[15:16], s[2:3], s34, v1, v[11:12]
	v_cmp_le_u32_e32 vcc, v0, v1
	s_mov_b64 s[8:9], 0
	v_mov_b32_e32 v13, v16
	v_mad_u64_u32 v[13:14], s[2:3], s35, v1, v[13:14]
	v_mov_b32_e32 v16, v13
                                        ; implicit-def: $vgpr13_vgpr14
	s_and_saveexec_b64 s[2:3], vcc
	s_xor_b64 s[2:3], exec, s[2:3]
	s_cbranch_execnz .LBB132_1063
; %bb.17:
	s_andn2_saveexec_b64 s[2:3], s[2:3]
	s_cbranch_execnz .LBB132_1068
.LBB132_18:
	s_or_b64 exec, exec, s[2:3]
	s_and_saveexec_b64 s[2:3], s[8:9]
.LBB132_19:
	v_add_u32_e32 v15, v1, v17
	v_lshl_add_u32 v1, v1, 6, v0
	v_cndmask_b32_e64 v1, v1, v15, s[0:1]
	v_lshlrev_b32_e32 v1, 3, v1
	ds_write_b64 v1, v[13:14]
.LBB132_20:
	s_or_b64 exec, exec, s[2:3]
	v_add_u32_e32 v1, 32, v2
	v_mad_u64_u32 v[15:16], s[2:3], s34, v1, v[11:12]
	v_cmp_le_u32_e32 vcc, v0, v1
	s_mov_b64 s[8:9], 0
	v_mov_b32_e32 v13, v16
	v_mad_u64_u32 v[13:14], s[2:3], s35, v1, v[13:14]
	v_mov_b32_e32 v16, v13
                                        ; implicit-def: $vgpr13_vgpr14
	s_and_saveexec_b64 s[2:3], vcc
	s_xor_b64 s[2:3], exec, s[2:3]
	s_cbranch_execnz .LBB132_1069
; %bb.21:
	s_andn2_saveexec_b64 s[2:3], s[2:3]
	s_cbranch_execnz .LBB132_1074
.LBB132_22:
	s_or_b64 exec, exec, s[2:3]
	s_and_saveexec_b64 s[2:3], s[8:9]
.LBB132_23:
	v_add_u32_e32 v15, v1, v17
	v_lshl_add_u32 v1, v1, 6, v0
	v_cndmask_b32_e64 v1, v1, v15, s[0:1]
	v_lshlrev_b32_e32 v1, 3, v1
	ds_write_b64 v1, v[13:14]
.LBB132_24:
	s_or_b64 exec, exec, s[2:3]
	v_add_u32_e32 v1, 48, v2
	v_mad_u64_u32 v[15:16], s[2:3], s34, v1, v[11:12]
	v_cmp_le_u32_e32 vcc, v0, v1
	s_mov_b64 s[10:11], 0
	v_mov_b32_e32 v13, v16
	v_mad_u64_u32 v[13:14], s[2:3], s35, v1, v[13:14]
	v_mov_b32_e32 v16, v13
                                        ; implicit-def: $vgpr13_vgpr14
	s_and_saveexec_b64 s[2:3], vcc
	s_xor_b64 s[2:3], exec, s[2:3]
	s_cbranch_execz .LBB132_30
; %bb.25:
	v_cmp_ne_u32_e32 vcc, v0, v1
	s_mov_b64 s[8:9], 0
	s_and_saveexec_b64 s[10:11], vcc
	s_xor_b64 s[10:11], exec, s[10:11]
; %bb.26:
	v_or_b32_e32 v13, v1, v0
	v_cmp_gt_u32_e32 vcc, 64, v13
	s_and_b64 s[8:9], vcc, exec
                                        ; implicit-def: $vgpr15_vgpr16
; %bb.27:
	s_or_saveexec_b64 s[10:11], s[10:11]
	v_mov_b32_e32 v13, 0
	v_mov_b32_e32 v14, 0
	s_xor_b64 exec, exec, s[10:11]
	s_cbranch_execz .LBB132_29
; %bb.28:
	v_lshlrev_b64 v[13:14], 3, v[15:16]
	v_mov_b32_e32 v15, s90
	v_add_co_u32_e32 v13, vcc, s39, v13
	v_addc_co_u32_e32 v14, vcc, v15, v14, vcc
	flat_load_dwordx2 v[13:14], v[13:14]
	s_or_b64 s[8:9], s[8:9], exec
	s_waitcnt vmcnt(0) lgkmcnt(0)
	v_div_scale_f64 v[15:16], s[12:13], v[13:14], v[13:14], 1.0
	v_div_scale_f64 v[22:23], vcc, 1.0, v[13:14], 1.0
	v_rcp_f64_e32 v[18:19], v[15:16]
	v_fma_f64 v[20:21], -v[15:16], v[18:19], 1.0
	v_fma_f64 v[18:19], v[18:19], v[20:21], v[18:19]
	v_fma_f64 v[20:21], -v[15:16], v[18:19], 1.0
	v_fma_f64 v[18:19], v[18:19], v[20:21], v[18:19]
	v_mul_f64 v[20:21], v[22:23], v[18:19]
	v_fma_f64 v[15:16], -v[15:16], v[20:21], v[22:23]
	v_div_fmas_f64 v[15:16], v[15:16], v[18:19], v[20:21]
	v_div_fixup_f64 v[13:14], v[15:16], v[13:14], 1.0
.LBB132_29:
	s_or_b64 exec, exec, s[10:11]
	s_and_b64 s[10:11], s[8:9], exec
                                        ; implicit-def: $vgpr15_vgpr16
.LBB132_30:
	s_or_saveexec_b64 s[2:3], s[2:3]
	v_add_u32_e32 v18, v1, v17
	v_lshl_add_u32 v1, v1, 6, v0
	s_xor_b64 exec, exec, s[2:3]
	s_cbranch_execz .LBB132_32
; %bb.31:
	v_lshlrev_b64 v[13:14], 3, v[15:16]
	v_mov_b32_e32 v15, s90
	v_add_co_u32_e32 v13, vcc, s39, v13
	v_addc_co_u32_e32 v14, vcc, v15, v14, vcc
	flat_load_dwordx2 v[13:14], v[13:14]
	s_or_b64 s[10:11], s[10:11], exec
	s_waitcnt vmcnt(0) lgkmcnt(0)
	v_xor_b32_e32 v14, 0x80000000, v14
.LBB132_32:
	s_or_b64 exec, exec, s[2:3]
	v_cndmask_b32_e64 v1, v1, v18, s[0:1]
	s_branch .LBB132_55
.LBB132_33:
	s_mov_b64 s[10:11], 0
                                        ; implicit-def: $vgpr13_vgpr14
                                        ; implicit-def: $vgpr1
	s_and_b64 vcc, exec, s[12:13]
	s_cbranch_vccz .LBB132_55
; %bb.34:
	v_mad_u64_u32 v[13:14], s[2:3], s34, v2, v[11:12]
	v_cmp_le_u32_e32 vcc, v0, v2
	v_cmp_gt_i32_e64 s[2:3], s38, v0
	v_mov_b32_e32 v1, v14
	v_mad_u64_u32 v[14:15], s[8:9], s35, v2, v[1:2]
	v_max_i32_e32 v1, v2, v0
	v_cmp_le_i32_e64 s[8:9], s38, v1
	s_or_b64 s[8:9], s[8:9], vcc
	s_mov_b64 s[12:13], 0
                                        ; implicit-def: $vgpr15_vgpr16
	s_and_saveexec_b64 s[14:15], s[8:9]
	s_xor_b64 s[8:9], exec, s[14:15]
	s_cbranch_execnz .LBB132_1075
; %bb.35:
	s_andn2_saveexec_b64 s[8:9], s[8:9]
	s_cbranch_execnz .LBB132_1080
.LBB132_36:
	s_or_b64 exec, exec, s[8:9]
	s_and_saveexec_b64 s[8:9], s[12:13]
.LBB132_37:
	v_lshlrev_b32_e32 v1, 3, v17
	v_lshl_add_u32 v1, v2, 3, v1
	ds_write_b64 v1, v[15:16]
.LBB132_38:
	s_or_b64 exec, exec, s[8:9]
	v_add_u32_e32 v1, 16, v2
	v_mad_u64_u32 v[13:14], s[8:9], s34, v1, v[11:12]
	v_cmp_gt_u32_e32 vcc, v0, v1
	s_mov_b64 s[12:13], 0
	v_mad_u64_u32 v[14:15], s[8:9], s35, v1, v[14:15]
	v_cmp_gt_i32_e64 s[8:9], s38, v1
	s_and_b64 s[8:9], vcc, s[8:9]
	s_and_b64 s[8:9], s[2:3], s[8:9]
	s_xor_b64 s[8:9], s[8:9], -1
                                        ; implicit-def: $vgpr15_vgpr16
	s_and_saveexec_b64 s[14:15], s[8:9]
	s_xor_b64 s[8:9], exec, s[14:15]
	s_cbranch_execnz .LBB132_1081
; %bb.39:
	s_andn2_saveexec_b64 s[8:9], s[8:9]
	s_cbranch_execnz .LBB132_1086
.LBB132_40:
	s_or_b64 exec, exec, s[8:9]
	s_and_saveexec_b64 s[8:9], s[12:13]
.LBB132_41:
	v_add_u32_e32 v13, v1, v17
	v_lshl_add_u32 v1, v1, 6, v0
	v_cndmask_b32_e64 v1, v1, v13, s[0:1]
	v_lshlrev_b32_e32 v1, 3, v1
	ds_write_b64 v1, v[15:16]
.LBB132_42:
	s_or_b64 exec, exec, s[8:9]
	v_add_u32_e32 v1, 32, v2
	v_mad_u64_u32 v[13:14], s[8:9], s34, v1, v[11:12]
	v_cmp_gt_u32_e32 vcc, v0, v1
	s_mov_b64 s[12:13], 0
	v_mad_u64_u32 v[14:15], s[8:9], s35, v1, v[14:15]
	v_cmp_gt_i32_e64 s[8:9], s38, v1
	s_and_b64 s[8:9], vcc, s[8:9]
	s_and_b64 s[8:9], s[2:3], s[8:9]
	s_xor_b64 s[8:9], s[8:9], -1
                                        ; implicit-def: $vgpr15_vgpr16
	s_and_saveexec_b64 s[14:15], s[8:9]
	s_xor_b64 s[8:9], exec, s[14:15]
	s_cbranch_execnz .LBB132_1087
; %bb.43:
	s_andn2_saveexec_b64 s[8:9], s[8:9]
	s_cbranch_execnz .LBB132_1092
.LBB132_44:
	s_or_b64 exec, exec, s[8:9]
	s_and_saveexec_b64 s[8:9], s[12:13]
.LBB132_45:
	v_add_u32_e32 v13, v1, v17
	v_lshl_add_u32 v1, v1, 6, v0
	v_cndmask_b32_e64 v1, v1, v13, s[0:1]
	v_lshlrev_b32_e32 v1, 3, v1
	ds_write_b64 v1, v[15:16]
.LBB132_46:
	s_or_b64 exec, exec, s[8:9]
	v_add_u32_e32 v1, 48, v2
	v_mad_u64_u32 v[11:12], s[8:9], s34, v1, v[11:12]
	v_cmp_gt_u32_e32 vcc, v0, v1
	v_mad_u64_u32 v[12:13], s[8:9], s35, v1, v[12:13]
	v_cmp_gt_i32_e64 s[8:9], s38, v1
	s_and_b64 s[8:9], vcc, s[8:9]
	s_and_b64 s[8:9], s[2:3], s[8:9]
	s_xor_b64 s[8:9], s[8:9], -1
                                        ; implicit-def: $vgpr13_vgpr14
	s_and_saveexec_b64 s[12:13], s[8:9]
	s_xor_b64 s[8:9], exec, s[12:13]
	s_cbranch_execz .LBB132_52
; %bb.47:
	v_cmp_ne_u32_e32 vcc, v0, v1
	s_xor_b64 s[2:3], s[2:3], -1
	s_or_b64 s[12:13], s[2:3], vcc
	s_mov_b64 s[2:3], s[10:11]
	s_and_saveexec_b64 s[14:15], s[12:13]
	s_xor_b64 s[12:13], exec, s[14:15]
; %bb.48:
	v_or_b32_e32 v11, v1, v0
	v_cmp_gt_u32_e32 vcc, 64, v11
	s_andn2_b64 s[2:3], s[10:11], exec
	s_and_b64 s[14:15], vcc, exec
	s_or_b64 s[2:3], s[2:3], s[14:15]
                                        ; implicit-def: $vgpr11_vgpr12
; %bb.49:
	s_or_saveexec_b64 s[12:13], s[12:13]
	v_mov_b32_e32 v13, 0
	v_mov_b32_e32 v14, 0
	s_xor_b64 exec, exec, s[12:13]
	s_cbranch_execz .LBB132_51
; %bb.50:
	v_lshlrev_b64 v[11:12], 3, v[11:12]
	v_mov_b32_e32 v13, s90
	v_add_co_u32_e32 v11, vcc, s39, v11
	v_addc_co_u32_e32 v12, vcc, v13, v12, vcc
	flat_load_dwordx2 v[11:12], v[11:12]
	s_or_b64 s[2:3], s[2:3], exec
	s_waitcnt vmcnt(0) lgkmcnt(0)
	v_div_scale_f64 v[13:14], s[14:15], v[11:12], v[11:12], 1.0
	v_div_scale_f64 v[20:21], vcc, 1.0, v[11:12], 1.0
	v_rcp_f64_e32 v[15:16], v[13:14]
	v_fma_f64 v[18:19], -v[13:14], v[15:16], 1.0
	v_fma_f64 v[15:16], v[15:16], v[18:19], v[15:16]
	v_fma_f64 v[18:19], -v[13:14], v[15:16], 1.0
	v_fma_f64 v[15:16], v[15:16], v[18:19], v[15:16]
	v_mul_f64 v[18:19], v[20:21], v[15:16]
	v_fma_f64 v[13:14], -v[13:14], v[18:19], v[20:21]
	v_div_fmas_f64 v[13:14], v[13:14], v[15:16], v[18:19]
	v_div_fixup_f64 v[13:14], v[13:14], v[11:12], 1.0
.LBB132_51:
	s_or_b64 exec, exec, s[12:13]
	s_andn2_b64 s[10:11], s[10:11], exec
	s_and_b64 s[2:3], s[2:3], exec
	s_or_b64 s[10:11], s[10:11], s[2:3]
                                        ; implicit-def: $vgpr11_vgpr12
.LBB132_52:
	s_or_saveexec_b64 s[2:3], s[8:9]
	v_add_u32_e32 v15, v1, v17
	v_lshl_add_u32 v1, v1, 6, v0
	s_xor_b64 exec, exec, s[2:3]
	s_cbranch_execz .LBB132_54
; %bb.53:
	v_lshlrev_b64 v[11:12], 3, v[11:12]
	v_mov_b32_e32 v13, s90
	v_add_co_u32_e32 v11, vcc, s39, v11
	v_addc_co_u32_e32 v12, vcc, v13, v12, vcc
	flat_load_dwordx2 v[13:14], v[11:12]
	s_or_b64 s[10:11], s[10:11], exec
	s_waitcnt vmcnt(0) lgkmcnt(0)
	v_xor_b32_e32 v14, 0x80000000, v14
.LBB132_54:
	s_or_b64 exec, exec, s[2:3]
	v_cndmask_b32_e64 v1, v1, v15, s[0:1]
.LBB132_55:
	s_xor_b64 s[0:1], s[0:1], -1
	s_and_saveexec_b64 s[2:3], s[10:11]
; %bb.56:
	v_lshlrev_b32_e32 v1, 3, v1
	ds_write_b64 v1, v[13:14]
; %bb.57:
	s_or_b64 exec, exec, s[2:3]
	v_cndmask_b32_e64 v1, 0, 1, s[0:1]
	v_cmp_ne_u32_e64 s[2:3], 1, v1
                                        ; implicit-def: $vgpr42 : SGPR spill to VGPR lane
	s_andn2_b64 vcc, exec, s[0:1]
	v_writelane_b32 v42, s2, 0
	s_waitcnt vmcnt(0) lgkmcnt(0)
	s_barrier
	v_writelane_b32 v42, s3, 1
	s_cbranch_vccnz .LBB132_987
; %bb.58:
	v_or_b32_e32 v1, v0, v2
	v_cmp_eq_u32_e32 vcc, 0, v1
	s_and_saveexec_b64 s[0:1], vcc
	s_cbranch_execz .LBB132_60
; %bb.59:
	v_mov_b32_e32 v1, 0
	ds_read_b128 v[11:14], v1
	ds_read_b64 v[15:16], v1 offset:520
	s_waitcnt lgkmcnt(0)
	v_mul_f64 v[11:12], v[11:12], v[15:16]
	v_mul_f64 v[11:12], v[13:14], v[11:12]
	ds_write2_b64 v1, v[11:12], v[11:12] offset0:1 offset1:64
.LBB132_60:
	s_or_b64 exec, exec, s[0:1]
	v_lshl_add_u32 v14, v2, 6, v0
	v_and_b32_e32 v16, 1, v0
	v_lshrrev_b32_e32 v15, 1, v14
	v_lshlrev_b32_e32 v1, 3, v16
	v_mov_b32_e32 v11, 0
	v_cmp_lt_u32_e64 s[8:9], 3, v14
	v_cmp_gt_u32_e64 s[2:3], 4, v14
	v_mov_b32_e32 v12, 0
	v_lshl_or_b32 v1, v15, 9, v1
	s_waitcnt lgkmcnt(0)
	s_barrier
	s_and_saveexec_b64 s[0:1], s[2:3]
	s_cbranch_execz .LBB132_64
; %bb.61:
	v_mul_u32_u24_e32 v13, 0x208, v15
	ds_read_b64 v[11:12], v1 offset:16
	ds_read_b64 v[17:18], v13
	v_cmp_gt_u32_e64 s[10:11], 2, v14
	s_waitcnt lgkmcnt(0)
	v_fma_f64 v[11:12], v[11:12], v[17:18], 0
	s_and_saveexec_b64 s[12:13], s[10:11]
	s_cbranch_execz .LBB132_63
; %bb.62:
	v_lshlrev_b32_e32 v13, 3, v0
	v_mov_b32_e32 v19, 0
	ds_read_b64 v[17:18], v13 offset:528
	ds_read_b64 v[19:20], v19 offset:8
	s_waitcnt lgkmcnt(0)
	v_fma_f64 v[11:12], v[17:18], v[19:20], v[11:12]
.LBB132_63:
	s_or_b64 exec, exec, s[12:13]
	v_xor_b32_e32 v12, 0x80000000, v12
.LBB132_64:
	v_writelane_b32 v42, s42, 2
	s_or_b64 exec, exec, s[0:1]
	v_mov_b32_e32 v13, 0x8000
	v_cmp_eq_u32_e64 s[10:11], 0, v16
	s_xor_b64 s[0:1], s[8:9], -1
	v_lshl_add_u32 v13, v15, 3, v13
	s_and_b64 s[42:43], s[10:11], s[0:1]
	s_and_saveexec_b64 s[8:9], s[42:43]
	s_cbranch_execz .LBB132_66
; %bb.65:
	v_mov_b32_e32 v17, 0
	ds_read_b64 v[17:18], v17 offset:1040
	s_waitcnt lgkmcnt(0)
	v_mul_f64 v[11:12], v[11:12], v[17:18]
	ds_write_b64 v13, v[11:12]
.LBB132_66:
	s_or_b64 exec, exec, s[8:9]
	v_cmp_ne_u32_e64 s[8:9], 0, v16
	s_and_b64 s[40:41], s[8:9], s[0:1]
	s_waitcnt lgkmcnt(0)
	s_barrier
	s_and_saveexec_b64 s[0:1], s[40:41]
	s_cbranch_execz .LBB132_68
; %bb.67:
	v_mov_b32_e32 v16, 0
	ds_read_b64 v[16:17], v16 offset:1048
	ds_read_b64 v[18:19], v13
	s_waitcnt lgkmcnt(0)
	v_fma_f64 v[11:12], v[16:17], v[18:19], v[11:12]
.LBB132_68:
	s_or_b64 exec, exec, s[0:1]
	s_barrier
	s_and_saveexec_b64 s[0:1], s[40:41]
	s_cbranch_execz .LBB132_70
; %bb.69:
	v_mov_b32_e32 v16, 0
	ds_read_b64 v[16:17], v16 offset:1560
	s_waitcnt lgkmcnt(0)
	v_mul_f64 v[11:12], v[11:12], v[16:17]
	ds_write_b64 v13, v[11:12]
.LBB132_70:
	s_or_b64 exec, exec, s[0:1]
	s_waitcnt lgkmcnt(0)
	s_barrier
	s_barrier
	s_and_saveexec_b64 s[0:1], s[2:3]
; %bb.71:
	v_xor_b32_e32 v12, 0x80000000, v12
	ds_write_b64 v1, v[11:12] offset:16
; %bb.72:
	s_or_b64 exec, exec, s[0:1]
	v_cmp_eq_u32_e64 s[12:13], 0, v2
	v_cmp_gt_u32_e64 s[8:9], 2, v0
	s_and_b64 s[44:45], s[12:13], s[8:9]
	s_waitcnt lgkmcnt(0)
	s_barrier
	s_barrier
	s_and_saveexec_b64 s[0:1], s[44:45]
	s_cbranch_execz .LBB132_74
; %bb.73:
	v_lshlrev_b32_e32 v16, 3, v0
	s_movk_i32 s8, 0x1f8
	v_mad_u32_u24 v17, v0, s8, v16
	ds_read_b64 v[11:12], v17 offset:16
	s_waitcnt lgkmcnt(0)
	ds_write_b64 v16, v[11:12] offset:1024
	ds_read_b64 v[11:12], v17 offset:24
	s_waitcnt lgkmcnt(0)
	ds_write_b64 v16, v[11:12] offset:1536
.LBB132_74:
	s_or_b64 exec, exec, s[0:1]
	s_waitcnt lgkmcnt(0)
	s_barrier
	s_and_saveexec_b64 s[0:1], vcc
	s_cbranch_execz .LBB132_76
; %bb.75:
	v_mov_b32_e32 v20, 0
	ds_read_b128 v[16:19], v20 offset:1040
	ds_read_b64 v[11:12], v20 offset:1560
	s_waitcnt lgkmcnt(0)
	v_mul_f64 v[11:12], v[16:17], v[11:12]
	v_mul_f64 v[11:12], v[18:19], v[11:12]
	ds_write2_b64 v20, v[11:12], v[11:12] offset0:131 offset1:194
.LBB132_76:
	s_or_b64 exec, exec, s[0:1]
	v_and_b32_e32 v19, 3, v0
	v_lshrrev_b32_e32 v20, 2, v14
	v_lshlrev_b32_e32 v17, 3, v19
	v_mov_b32_e32 v11, 0
	v_cmp_lt_u32_e64 s[8:9], 15, v14
	v_cmp_gt_u32_e64 s[18:19], 16, v14
	v_mov_b32_e32 v12, 0
	v_lshl_or_b32 v16, v20, 9, v17
	s_waitcnt lgkmcnt(0)
	s_barrier
	s_and_saveexec_b64 s[0:1], s[18:19]
	s_cbranch_execz .LBB132_82
; %bb.77:
	v_mul_u32_u24_e32 v18, 0x208, v20
	ds_read_b64 v[11:12], v16 offset:32
	ds_read_b64 v[21:22], v18
	v_cmp_gt_u32_e64 s[10:11], 12, v14
	s_waitcnt lgkmcnt(0)
	v_fma_f64 v[11:12], v[11:12], v[21:22], 0
	s_and_saveexec_b64 s[14:15], s[10:11]
	s_cbranch_execnz .LBB132_1097
; %bb.78:
	s_or_b64 exec, exec, s[14:15]
	v_cmp_gt_u32_e64 s[10:11], 8, v14
	s_and_saveexec_b64 s[14:15], s[10:11]
	s_cbranch_execnz .LBB132_1098
.LBB132_79:
	s_or_b64 exec, exec, s[14:15]
	v_cmp_gt_u32_e64 s[10:11], 4, v14
	s_and_saveexec_b64 s[14:15], s[10:11]
	s_cbranch_execz .LBB132_81
.LBB132_80:
	v_lshlrev_b32_e32 v18, 3, v0
	v_mov_b32_e32 v23, 0
	ds_read_b64 v[21:22], v18 offset:1568
	ds_read_b64 v[23:24], v23 offset:24
	s_waitcnt lgkmcnt(0)
	v_fma_f64 v[11:12], v[21:22], v[23:24], v[11:12]
.LBB132_81:
	s_or_b64 exec, exec, s[14:15]
	v_xor_b32_e32 v12, 0x80000000, v12
.LBB132_82:
	v_writelane_b32 v42, s48, 3
	v_writelane_b32 v42, s49, 4
	s_or_b64 exec, exec, s[0:1]
	v_mov_b32_e32 v18, 0x8000
	v_cmp_eq_u32_e64 s[10:11], 0, v19
	s_xor_b64 s[0:1], s[8:9], -1
	v_lshl_add_u32 v18, v20, 3, v18
	s_and_b64 s[48:49], s[10:11], s[0:1]
	s_and_saveexec_b64 s[8:9], s[48:49]
	s_cbranch_execz .LBB132_84
; %bb.83:
	v_mov_b32_e32 v21, 0
	ds_read_b64 v[21:22], v21 offset:2080
	s_waitcnt lgkmcnt(0)
	v_mul_f64 v[11:12], v[11:12], v[21:22]
	ds_write_b64 v18, v[11:12]
.LBB132_84:
	s_or_b64 exec, exec, s[8:9]
	v_cmp_ne_u32_e64 s[8:9], 0, v19
	s_and_b64 s[50:51], s[8:9], s[0:1]
	s_waitcnt lgkmcnt(0)
	s_barrier
	s_and_saveexec_b64 s[8:9], s[50:51]
	s_cbranch_execz .LBB132_86
; %bb.85:
	ds_read_b64 v[21:22], v17 offset:2080
	ds_read_b64 v[23:24], v18
	s_waitcnt lgkmcnt(0)
	v_fma_f64 v[11:12], v[21:22], v[23:24], v[11:12]
.LBB132_86:
	s_or_b64 exec, exec, s[8:9]
	v_cmp_eq_u32_e64 s[8:9], 1, v19
	s_and_b64 s[52:53], s[8:9], s[0:1]
	s_barrier
	s_and_saveexec_b64 s[8:9], s[52:53]
	s_cbranch_execz .LBB132_88
; %bb.87:
	v_mov_b32_e32 v21, 0
	ds_read_b64 v[21:22], v21 offset:2600
	s_waitcnt lgkmcnt(0)
	v_mul_f64 v[11:12], v[11:12], v[21:22]
	ds_write_b64 v18, v[11:12]
.LBB132_88:
	s_or_b64 exec, exec, s[8:9]
	v_cmp_lt_u32_e64 s[8:9], 1, v19
	s_and_b64 s[54:55], s[8:9], s[0:1]
	s_waitcnt lgkmcnt(0)
	s_barrier
	s_and_saveexec_b64 s[8:9], s[54:55]
	s_cbranch_execz .LBB132_90
; %bb.89:
	ds_read_b64 v[21:22], v17 offset:2592
	ds_read_b64 v[23:24], v18
	s_waitcnt lgkmcnt(0)
	v_fma_f64 v[11:12], v[21:22], v[23:24], v[11:12]
.LBB132_90:
	s_or_b64 exec, exec, s[8:9]
	v_cmp_eq_u32_e64 s[8:9], 2, v19
	s_and_b64 s[56:57], s[8:9], s[0:1]
	s_barrier
	s_and_saveexec_b64 s[8:9], s[56:57]
	s_cbranch_execz .LBB132_92
; %bb.91:
	v_mov_b32_e32 v21, 0
	ds_read_b64 v[21:22], v21 offset:3120
	s_waitcnt lgkmcnt(0)
	v_mul_f64 v[11:12], v[11:12], v[21:22]
	ds_write_b64 v18, v[11:12]
.LBB132_92:
	s_or_b64 exec, exec, s[8:9]
	v_cmp_eq_u32_e64 s[8:9], 3, v19
	s_and_b64 s[46:47], s[8:9], s[0:1]
	s_waitcnt lgkmcnt(0)
	s_barrier
	s_and_saveexec_b64 s[0:1], s[46:47]
	s_cbranch_execz .LBB132_94
; %bb.93:
	v_mov_b32_e32 v21, 0
	ds_read_b64 v[21:22], v21 offset:3128
	ds_read_b64 v[23:24], v18
	s_waitcnt lgkmcnt(0)
	v_fma_f64 v[11:12], v[21:22], v[23:24], v[11:12]
.LBB132_94:
	s_or_b64 exec, exec, s[0:1]
	s_barrier
	s_and_saveexec_b64 s[0:1], s[46:47]
	s_cbranch_execz .LBB132_96
; %bb.95:
	v_mov_b32_e32 v21, 0
	ds_read_b64 v[21:22], v21 offset:3640
	s_waitcnt lgkmcnt(0)
	v_mul_f64 v[11:12], v[11:12], v[21:22]
	ds_write_b64 v18, v[11:12]
.LBB132_96:
	s_or_b64 exec, exec, s[0:1]
	s_waitcnt lgkmcnt(0)
	s_barrier
	s_barrier
	s_and_saveexec_b64 s[0:1], s[18:19]
; %bb.97:
	v_xor_b32_e32 v12, 0x80000000, v12
	ds_write_b64 v16, v[11:12] offset:32
; %bb.98:
	s_or_b64 exec, exec, s[0:1]
	v_cmp_gt_u32_e64 s[8:9], 4, v0
	s_and_b64 s[58:59], s[12:13], s[8:9]
	s_waitcnt lgkmcnt(0)
	s_barrier
	s_barrier
	s_and_saveexec_b64 s[0:1], s[58:59]
	s_cbranch_execz .LBB132_100
; %bb.99:
	v_lshlrev_b32_e32 v21, 9, v0
	ds_read_b64 v[11:12], v21 offset:32
	s_movk_i32 s8, 0xfe08
	v_mad_i32_i24 v22, v0, s8, v21
	s_waitcnt lgkmcnt(0)
	ds_write_b64 v22, v[11:12] offset:2048
	ds_read_b64 v[11:12], v21 offset:40
	s_waitcnt lgkmcnt(0)
	ds_write_b64 v22, v[11:12] offset:2560
	ds_read_b64 v[11:12], v21 offset:48
	;; [unrolled: 3-line block ×3, first 2 shown]
	s_waitcnt lgkmcnt(0)
	ds_write_b64 v22, v[11:12] offset:3584
.LBB132_100:
	s_or_b64 exec, exec, s[0:1]
	s_waitcnt lgkmcnt(0)
	s_barrier
	s_and_saveexec_b64 s[0:1], vcc
	s_cbranch_execz .LBB132_102
; %bb.101:
	v_mov_b32_e32 v11, 0
	ds_read_b128 v[21:24], v11 offset:2080
	ds_read_b64 v[11:12], v11 offset:2600
	s_movk_i32 s8, 0x800
	s_waitcnt lgkmcnt(0)
	v_mul_f64 v[11:12], v[21:22], v[11:12]
	v_add_u32_e64 v21, s8, 0
	v_mul_f64 v[11:12], v[23:24], v[11:12]
	ds_write2_b64 v21, v[11:12], v[11:12] offset0:5 offset1:68
.LBB132_102:
	s_or_b64 exec, exec, s[0:1]
	v_mov_b32_e32 v11, 0
	v_mov_b32_e32 v12, 0
	s_waitcnt lgkmcnt(0)
	s_barrier
	s_and_saveexec_b64 s[0:1], s[2:3]
	s_cbranch_execz .LBB132_106
; %bb.103:
	v_mul_u32_u24_e32 v21, 0x208, v15
	ds_read_b64 v[11:12], v1 offset:2096
	ds_read_b64 v[21:22], v21 offset:2080
	v_cmp_gt_u32_e64 s[8:9], 2, v14
	s_waitcnt lgkmcnt(0)
	v_fma_f64 v[11:12], v[11:12], v[21:22], 0
	s_and_saveexec_b64 s[10:11], s[8:9]
	s_cbranch_execz .LBB132_105
; %bb.104:
	v_lshlrev_b32_e32 v21, 3, v0
	v_mov_b32_e32 v23, 0
	ds_read_b64 v[21:22], v21 offset:2608
	ds_read_b64 v[23:24], v23 offset:2088
	s_waitcnt lgkmcnt(0)
	v_fma_f64 v[11:12], v[21:22], v[23:24], v[11:12]
.LBB132_105:
	s_or_b64 exec, exec, s[10:11]
	v_xor_b32_e32 v12, 0x80000000, v12
.LBB132_106:
	s_or_b64 exec, exec, s[0:1]
	s_and_saveexec_b64 s[0:1], s[42:43]
	s_cbranch_execz .LBB132_108
; %bb.107:
	v_mov_b32_e32 v21, 0
	ds_read_b64 v[21:22], v21 offset:3120
	s_waitcnt lgkmcnt(0)
	v_mul_f64 v[11:12], v[11:12], v[21:22]
	ds_write_b64 v13, v[11:12]
.LBB132_108:
	s_or_b64 exec, exec, s[0:1]
	s_waitcnt lgkmcnt(0)
	s_barrier
	s_and_saveexec_b64 s[0:1], s[40:41]
	s_cbranch_execz .LBB132_110
; %bb.109:
	v_mov_b32_e32 v21, 0
	ds_read_b64 v[21:22], v21 offset:3128
	ds_read_b64 v[23:24], v13
	s_waitcnt lgkmcnt(0)
	v_fma_f64 v[11:12], v[21:22], v[23:24], v[11:12]
.LBB132_110:
	s_or_b64 exec, exec, s[0:1]
	s_barrier
	s_and_saveexec_b64 s[0:1], s[40:41]
	s_cbranch_execz .LBB132_112
; %bb.111:
	v_mov_b32_e32 v21, 0
	ds_read_b64 v[21:22], v21 offset:3640
	s_waitcnt lgkmcnt(0)
	v_mul_f64 v[11:12], v[11:12], v[21:22]
	ds_write_b64 v13, v[11:12]
.LBB132_112:
	s_or_b64 exec, exec, s[0:1]
	s_waitcnt lgkmcnt(0)
	s_barrier
	s_barrier
	s_and_saveexec_b64 s[0:1], s[2:3]
; %bb.113:
	v_xor_b32_e32 v12, 0x80000000, v12
	ds_write_b64 v1, v[11:12] offset:2096
; %bb.114:
	s_or_b64 exec, exec, s[0:1]
	s_waitcnt lgkmcnt(0)
	s_barrier
	s_barrier
	s_and_saveexec_b64 s[0:1], s[44:45]
	s_cbranch_execz .LBB132_116
; %bb.115:
	v_lshlrev_b32_e32 v21, 3, v0
	s_movk_i32 s8, 0x1f8
	v_mad_u32_u24 v22, v0, s8, v21
	ds_read_b64 v[11:12], v22 offset:2096
	s_waitcnt lgkmcnt(0)
	ds_write_b64 v21, v[11:12] offset:3104
	ds_read_b64 v[11:12], v22 offset:2104
	s_waitcnt lgkmcnt(0)
	ds_write_b64 v21, v[11:12] offset:3616
.LBB132_116:
	s_or_b64 exec, exec, s[0:1]
	s_waitcnt lgkmcnt(0)
	s_barrier
	s_and_saveexec_b64 s[0:1], vcc
	s_cbranch_execz .LBB132_118
; %bb.117:
	v_mov_b32_e32 v11, 0
	ds_read_b128 v[21:24], v11 offset:3120
	ds_read_b64 v[11:12], v11 offset:3640
	s_movk_i32 s8, 0x800
	s_waitcnt lgkmcnt(0)
	v_mul_f64 v[11:12], v[21:22], v[11:12]
	v_add_u32_e64 v21, s8, 0
	v_mul_f64 v[11:12], v[23:24], v[11:12]
	ds_write2_b64 v21, v[11:12], v[11:12] offset0:135 offset1:198
.LBB132_118:
	s_or_b64 exec, exec, s[0:1]
	v_and_b32_e32 v24, 7, v0
	v_lshrrev_b32_e32 v25, 3, v14
	v_lshlrev_b32_e32 v22, 3, v24
	v_mov_b32_e32 v11, 0
	v_cmp_lt_u32_e64 s[10:11], 63, v14
	v_cmp_gt_u32_e64 s[8:9], 64, v14
	v_mov_b32_e32 v12, 0
	v_lshl_or_b32 v21, v25, 9, v22
	s_waitcnt lgkmcnt(0)
	s_barrier
	s_and_saveexec_b64 s[0:1], s[8:9]
	s_cbranch_execz .LBB132_128
; %bb.119:
	v_mul_u32_u24_e32 v23, 0x208, v25
	ds_read_b64 v[11:12], v21 offset:64
	ds_read_b64 v[26:27], v23
	v_cmp_gt_u32_e64 s[14:15], 56, v14
	s_waitcnt lgkmcnt(0)
	v_fma_f64 v[11:12], v[11:12], v[26:27], 0
	s_and_saveexec_b64 s[16:17], s[14:15]
	s_cbranch_execnz .LBB132_1099
; %bb.120:
	s_or_b64 exec, exec, s[16:17]
	v_cmp_gt_u32_e64 s[14:15], 48, v14
	s_and_saveexec_b64 s[16:17], s[14:15]
	s_cbranch_execnz .LBB132_1100
.LBB132_121:
	s_or_b64 exec, exec, s[16:17]
	v_cmp_gt_u32_e64 s[14:15], 40, v14
	s_and_saveexec_b64 s[16:17], s[14:15]
	s_cbranch_execnz .LBB132_1101
.LBB132_122:
	s_or_b64 exec, exec, s[16:17]
	v_cmp_gt_u32_e64 s[14:15], 32, v14
	s_and_saveexec_b64 s[16:17], s[14:15]
	s_cbranch_execnz .LBB132_1102
.LBB132_123:
	s_or_b64 exec, exec, s[16:17]
	v_cmp_gt_u32_e64 s[14:15], 24, v14
	s_and_saveexec_b64 s[16:17], s[14:15]
	s_cbranch_execnz .LBB132_1103
.LBB132_124:
	s_or_b64 exec, exec, s[16:17]
	v_cmp_gt_u32_e64 s[14:15], 16, v14
	s_and_saveexec_b64 s[16:17], s[14:15]
	s_cbranch_execnz .LBB132_1104
.LBB132_125:
	s_or_b64 exec, exec, s[16:17]
	v_cmp_gt_u32_e64 s[14:15], 8, v14
	s_and_saveexec_b64 s[16:17], s[14:15]
	s_cbranch_execz .LBB132_127
.LBB132_126:
	v_lshlrev_b32_e32 v23, 3, v0
	v_mov_b32_e32 v28, 0
	ds_read_b64 v[26:27], v23 offset:3648
	ds_read_b64 v[28:29], v28 offset:56
	s_waitcnt lgkmcnt(0)
	v_fma_f64 v[11:12], v[26:27], v[28:29], v[11:12]
.LBB132_127:
	s_or_b64 exec, exec, s[16:17]
	v_xor_b32_e32 v12, 0x80000000, v12
.LBB132_128:
	v_writelane_b32 v42, s60, 5
	v_writelane_b32 v42, s61, 6
	s_or_b64 exec, exec, s[0:1]
	v_mov_b32_e32 v23, 0x8000
	v_cmp_eq_u32_e64 s[14:15], 0, v24
	s_xor_b64 s[0:1], s[10:11], -1
	v_lshl_add_u32 v23, v25, 3, v23
	s_and_b64 s[60:61], s[14:15], s[0:1]
	s_and_saveexec_b64 s[10:11], s[60:61]
	s_cbranch_execz .LBB132_130
; %bb.129:
	v_mov_b32_e32 v26, 0
	ds_read_b64 v[26:27], v26 offset:4160
	s_waitcnt lgkmcnt(0)
	v_mul_f64 v[11:12], v[11:12], v[26:27]
	ds_write_b64 v23, v[11:12]
.LBB132_130:
	s_or_b64 exec, exec, s[10:11]
	v_cmp_ne_u32_e64 s[10:11], 0, v24
	s_and_b64 s[62:63], s[10:11], s[0:1]
	s_waitcnt lgkmcnt(0)
	s_barrier
	s_and_saveexec_b64 s[10:11], s[62:63]
	s_cbranch_execz .LBB132_132
; %bb.131:
	ds_read_b64 v[26:27], v22 offset:4160
	ds_read_b64 v[28:29], v23
	s_waitcnt lgkmcnt(0)
	v_fma_f64 v[11:12], v[26:27], v[28:29], v[11:12]
.LBB132_132:
	s_or_b64 exec, exec, s[10:11]
	v_cmp_eq_u32_e64 s[10:11], 1, v24
	s_and_b64 s[64:65], s[10:11], s[0:1]
	s_barrier
	s_and_saveexec_b64 s[10:11], s[64:65]
	s_cbranch_execz .LBB132_134
; %bb.133:
	v_mov_b32_e32 v26, 0
	ds_read_b64 v[26:27], v26 offset:4680
	s_waitcnt lgkmcnt(0)
	v_mul_f64 v[11:12], v[11:12], v[26:27]
	ds_write_b64 v23, v[11:12]
.LBB132_134:
	s_or_b64 exec, exec, s[10:11]
	v_cmp_lt_u32_e64 s[10:11], 1, v24
	s_and_b64 s[66:67], s[10:11], s[0:1]
	s_waitcnt lgkmcnt(0)
	s_barrier
	s_and_saveexec_b64 s[10:11], s[66:67]
	s_cbranch_execz .LBB132_136
; %bb.135:
	ds_read_b64 v[26:27], v22 offset:4672
	ds_read_b64 v[28:29], v23
	s_waitcnt lgkmcnt(0)
	v_fma_f64 v[11:12], v[26:27], v[28:29], v[11:12]
.LBB132_136:
	s_or_b64 exec, exec, s[10:11]
	v_cmp_eq_u32_e64 s[10:11], 2, v24
	s_and_b64 s[68:69], s[10:11], s[0:1]
	s_barrier
	s_and_saveexec_b64 s[10:11], s[68:69]
	s_cbranch_execz .LBB132_138
; %bb.137:
	v_mov_b32_e32 v26, 0
	ds_read_b64 v[26:27], v26 offset:5200
	s_waitcnt lgkmcnt(0)
	v_mul_f64 v[11:12], v[11:12], v[26:27]
	ds_write_b64 v23, v[11:12]
.LBB132_138:
	s_or_b64 exec, exec, s[10:11]
	v_cmp_lt_u32_e64 s[10:11], 2, v24
	;; [unrolled: 26-line block ×5, first 2 shown]
	s_and_b64 s[84:85], s[10:11], s[0:1]
	s_waitcnt lgkmcnt(0)
	s_barrier
	s_and_saveexec_b64 s[10:11], s[84:85]
	s_cbranch_execz .LBB132_152
; %bb.151:
	ds_read_b64 v[26:27], v22 offset:6720
	ds_read_b64 v[28:29], v23
	s_waitcnt lgkmcnt(0)
	v_fma_f64 v[11:12], v[26:27], v[28:29], v[11:12]
.LBB132_152:
	s_or_b64 exec, exec, s[10:11]
	v_cmp_eq_u32_e64 s[10:11], 6, v24
	s_and_b64 s[86:87], s[10:11], s[0:1]
	s_barrier
	s_and_saveexec_b64 s[10:11], s[86:87]
	s_cbranch_execz .LBB132_154
; %bb.153:
	v_mov_b32_e32 v26, 0
	ds_read_b64 v[26:27], v26 offset:7280
	s_waitcnt lgkmcnt(0)
	v_mul_f64 v[11:12], v[11:12], v[26:27]
	ds_write_b64 v23, v[11:12]
.LBB132_154:
	s_or_b64 exec, exec, s[10:11]
	v_cmp_eq_u32_e64 s[10:11], 7, v24
	s_and_b64 s[70:71], s[10:11], s[0:1]
	s_waitcnt lgkmcnt(0)
	s_barrier
	s_and_saveexec_b64 s[0:1], s[70:71]
	s_cbranch_execz .LBB132_156
; %bb.155:
	v_mov_b32_e32 v26, 0
	ds_read_b64 v[26:27], v26 offset:7288
	ds_read_b64 v[28:29], v23
	s_waitcnt lgkmcnt(0)
	v_fma_f64 v[11:12], v[26:27], v[28:29], v[11:12]
.LBB132_156:
	s_or_b64 exec, exec, s[0:1]
	s_barrier
	s_and_saveexec_b64 s[0:1], s[70:71]
	s_cbranch_execz .LBB132_158
; %bb.157:
	v_mov_b32_e32 v26, 0
	ds_read_b64 v[26:27], v26 offset:7800
	s_waitcnt lgkmcnt(0)
	v_mul_f64 v[11:12], v[11:12], v[26:27]
	ds_write_b64 v23, v[11:12]
.LBB132_158:
	s_or_b64 exec, exec, s[0:1]
	s_waitcnt lgkmcnt(0)
	s_barrier
	s_barrier
	s_and_saveexec_b64 s[0:1], s[8:9]
; %bb.159:
	v_xor_b32_e32 v12, 0x80000000, v12
	ds_write_b64 v21, v[11:12] offset:64
; %bb.160:
	s_or_b64 exec, exec, s[0:1]
	v_cmp_gt_u32_e64 s[10:11], 8, v0
	s_and_b64 s[88:89], s[12:13], s[10:11]
	s_waitcnt lgkmcnt(0)
	s_barrier
	s_barrier
	s_and_saveexec_b64 s[0:1], s[88:89]
	s_cbranch_execz .LBB132_162
; %bb.161:
	v_lshlrev_b32_e32 v26, 9, v0
	ds_read_b64 v[11:12], v26 offset:64
	s_movk_i32 s10, 0xfe08
	v_mad_i32_i24 v27, v0, s10, v26
	s_waitcnt lgkmcnt(0)
	ds_write_b64 v27, v[11:12] offset:4096
	ds_read_b64 v[11:12], v26 offset:72
	s_waitcnt lgkmcnt(0)
	ds_write_b64 v27, v[11:12] offset:4608
	ds_read_b64 v[11:12], v26 offset:80
	;; [unrolled: 3-line block ×7, first 2 shown]
	s_waitcnt lgkmcnt(0)
	ds_write_b64 v27, v[11:12] offset:7680
.LBB132_162:
	s_or_b64 exec, exec, s[0:1]
	s_waitcnt lgkmcnt(0)
	s_barrier
	s_and_saveexec_b64 s[0:1], vcc
	s_cbranch_execz .LBB132_164
; %bb.163:
	v_mov_b32_e32 v11, 0
	ds_read_b128 v[26:29], v11 offset:4160
	ds_read_b64 v[11:12], v11 offset:4680
	s_movk_i32 s10, 0x1000
	s_waitcnt lgkmcnt(0)
	v_mul_f64 v[11:12], v[26:27], v[11:12]
	v_add_u32_e64 v26, s10, 0
	v_mul_f64 v[11:12], v[28:29], v[11:12]
	ds_write2_b64 v26, v[11:12], v[11:12] offset0:9 offset1:72
.LBB132_164:
	s_or_b64 exec, exec, s[0:1]
	v_mov_b32_e32 v11, 0
	v_mov_b32_e32 v12, 0
	s_waitcnt lgkmcnt(0)
	s_barrier
	s_and_saveexec_b64 s[0:1], s[2:3]
	s_cbranch_execz .LBB132_168
; %bb.165:
	v_mul_u32_u24_e32 v26, 0x208, v15
	ds_read_b64 v[11:12], v1 offset:4176
	ds_read_b64 v[26:27], v26 offset:4160
	v_cmp_gt_u32_e64 s[10:11], 2, v14
	s_waitcnt lgkmcnt(0)
	v_fma_f64 v[11:12], v[11:12], v[26:27], 0
	s_and_saveexec_b64 s[14:15], s[10:11]
	s_cbranch_execz .LBB132_167
; %bb.166:
	v_lshlrev_b32_e32 v26, 3, v0
	v_mov_b32_e32 v28, 0
	ds_read_b64 v[26:27], v26 offset:4688
	ds_read_b64 v[28:29], v28 offset:4168
	s_waitcnt lgkmcnt(0)
	v_fma_f64 v[11:12], v[26:27], v[28:29], v[11:12]
.LBB132_167:
	s_or_b64 exec, exec, s[14:15]
	v_xor_b32_e32 v12, 0x80000000, v12
.LBB132_168:
	s_or_b64 exec, exec, s[0:1]
	s_and_saveexec_b64 s[0:1], s[42:43]
	s_cbranch_execz .LBB132_170
; %bb.169:
	v_mov_b32_e32 v26, 0
	ds_read_b64 v[26:27], v26 offset:5200
	s_waitcnt lgkmcnt(0)
	v_mul_f64 v[11:12], v[11:12], v[26:27]
	ds_write_b64 v13, v[11:12]
.LBB132_170:
	s_or_b64 exec, exec, s[0:1]
	s_waitcnt lgkmcnt(0)
	s_barrier
	s_and_saveexec_b64 s[0:1], s[40:41]
	s_cbranch_execz .LBB132_172
; %bb.171:
	v_mov_b32_e32 v26, 0
	ds_read_b64 v[26:27], v26 offset:5208
	ds_read_b64 v[28:29], v13
	s_waitcnt lgkmcnt(0)
	v_fma_f64 v[11:12], v[26:27], v[28:29], v[11:12]
.LBB132_172:
	s_or_b64 exec, exec, s[0:1]
	s_barrier
	s_and_saveexec_b64 s[0:1], s[40:41]
	s_cbranch_execz .LBB132_174
; %bb.173:
	v_mov_b32_e32 v26, 0
	ds_read_b64 v[26:27], v26 offset:5720
	s_waitcnt lgkmcnt(0)
	v_mul_f64 v[11:12], v[11:12], v[26:27]
	ds_write_b64 v13, v[11:12]
.LBB132_174:
	s_or_b64 exec, exec, s[0:1]
	s_waitcnt lgkmcnt(0)
	s_barrier
	s_barrier
	s_and_saveexec_b64 s[0:1], s[2:3]
; %bb.175:
	v_xor_b32_e32 v12, 0x80000000, v12
	ds_write_b64 v1, v[11:12] offset:4176
; %bb.176:
	s_or_b64 exec, exec, s[0:1]
	s_waitcnt lgkmcnt(0)
	s_barrier
	s_barrier
	s_and_saveexec_b64 s[0:1], s[44:45]
	s_cbranch_execz .LBB132_178
; %bb.177:
	v_lshlrev_b32_e32 v26, 3, v0
	s_movk_i32 s10, 0x1f8
	v_mad_u32_u24 v27, v0, s10, v26
	ds_read_b64 v[11:12], v27 offset:4176
	s_waitcnt lgkmcnt(0)
	ds_write_b64 v26, v[11:12] offset:5184
	ds_read_b64 v[11:12], v27 offset:4184
	s_waitcnt lgkmcnt(0)
	ds_write_b64 v26, v[11:12] offset:5696
.LBB132_178:
	s_or_b64 exec, exec, s[0:1]
	s_waitcnt lgkmcnt(0)
	s_barrier
	s_and_saveexec_b64 s[0:1], vcc
	s_cbranch_execz .LBB132_180
; %bb.179:
	v_mov_b32_e32 v11, 0
	ds_read_b128 v[26:29], v11 offset:5200
	ds_read_b64 v[11:12], v11 offset:5720
	s_movk_i32 s10, 0x1000
	s_waitcnt lgkmcnt(0)
	v_mul_f64 v[11:12], v[26:27], v[11:12]
	v_add_u32_e64 v26, s10, 0
	v_mul_f64 v[11:12], v[28:29], v[11:12]
	ds_write2_b64 v26, v[11:12], v[11:12] offset0:139 offset1:202
.LBB132_180:
	s_or_b64 exec, exec, s[0:1]
	v_mov_b32_e32 v11, 0
	v_mov_b32_e32 v12, 0
	s_waitcnt lgkmcnt(0)
	s_barrier
	s_and_saveexec_b64 s[0:1], s[18:19]
	s_cbranch_execz .LBB132_186
; %bb.181:
	v_mul_u32_u24_e32 v26, 0x208, v20
	ds_read_b64 v[11:12], v16 offset:4192
	ds_read_b64 v[27:28], v26 offset:4160
	v_cmp_gt_u32_e64 s[10:11], 12, v14
	s_waitcnt lgkmcnt(0)
	v_fma_f64 v[11:12], v[11:12], v[27:28], 0
	s_and_saveexec_b64 s[14:15], s[10:11]
	s_cbranch_execnz .LBB132_1105
; %bb.182:
	s_or_b64 exec, exec, s[14:15]
	v_cmp_gt_u32_e64 s[10:11], 8, v14
	s_and_saveexec_b64 s[14:15], s[10:11]
	s_cbranch_execnz .LBB132_1106
.LBB132_183:
	s_or_b64 exec, exec, s[14:15]
	v_cmp_gt_u32_e64 s[10:11], 4, v14
	s_and_saveexec_b64 s[14:15], s[10:11]
	s_cbranch_execz .LBB132_185
.LBB132_184:
	v_lshlrev_b32_e32 v26, 3, v0
	v_mov_b32_e32 v28, 0
	ds_read_b64 v[26:27], v26 offset:5728
	ds_read_b64 v[28:29], v28 offset:4184
	s_waitcnt lgkmcnt(0)
	v_fma_f64 v[11:12], v[26:27], v[28:29], v[11:12]
.LBB132_185:
	s_or_b64 exec, exec, s[14:15]
	v_xor_b32_e32 v12, 0x80000000, v12
.LBB132_186:
	s_or_b64 exec, exec, s[0:1]
	s_and_saveexec_b64 s[0:1], s[48:49]
	s_cbranch_execz .LBB132_188
; %bb.187:
	v_mov_b32_e32 v26, 0
	ds_read_b64 v[26:27], v26 offset:6240
	s_waitcnt lgkmcnt(0)
	v_mul_f64 v[11:12], v[11:12], v[26:27]
	ds_write_b64 v18, v[11:12]
.LBB132_188:
	s_or_b64 exec, exec, s[0:1]
	s_waitcnt lgkmcnt(0)
	s_barrier
	s_and_saveexec_b64 s[0:1], s[50:51]
	s_cbranch_execz .LBB132_190
; %bb.189:
	ds_read_b64 v[26:27], v17 offset:6240
	ds_read_b64 v[28:29], v18
	s_waitcnt lgkmcnt(0)
	v_fma_f64 v[11:12], v[26:27], v[28:29], v[11:12]
.LBB132_190:
	s_or_b64 exec, exec, s[0:1]
	s_barrier
	s_and_saveexec_b64 s[0:1], s[52:53]
	s_cbranch_execz .LBB132_192
; %bb.191:
	v_mov_b32_e32 v26, 0
	ds_read_b64 v[26:27], v26 offset:6760
	s_waitcnt lgkmcnt(0)
	v_mul_f64 v[11:12], v[11:12], v[26:27]
	ds_write_b64 v18, v[11:12]
.LBB132_192:
	s_or_b64 exec, exec, s[0:1]
	s_waitcnt lgkmcnt(0)
	s_barrier
	s_and_saveexec_b64 s[0:1], s[54:55]
	s_cbranch_execz .LBB132_194
; %bb.193:
	ds_read_b64 v[26:27], v17 offset:6752
	ds_read_b64 v[28:29], v18
	s_waitcnt lgkmcnt(0)
	v_fma_f64 v[11:12], v[26:27], v[28:29], v[11:12]
.LBB132_194:
	s_or_b64 exec, exec, s[0:1]
	s_barrier
	s_and_saveexec_b64 s[0:1], s[56:57]
	s_cbranch_execz .LBB132_196
; %bb.195:
	v_mov_b32_e32 v26, 0
	ds_read_b64 v[26:27], v26 offset:7280
	s_waitcnt lgkmcnt(0)
	v_mul_f64 v[11:12], v[11:12], v[26:27]
	ds_write_b64 v18, v[11:12]
.LBB132_196:
	s_or_b64 exec, exec, s[0:1]
	s_waitcnt lgkmcnt(0)
	s_barrier
	s_and_saveexec_b64 s[0:1], s[46:47]
	s_cbranch_execz .LBB132_198
; %bb.197:
	v_mov_b32_e32 v26, 0
	ds_read_b64 v[26:27], v26 offset:7288
	ds_read_b64 v[28:29], v18
	s_waitcnt lgkmcnt(0)
	v_fma_f64 v[11:12], v[26:27], v[28:29], v[11:12]
.LBB132_198:
	s_or_b64 exec, exec, s[0:1]
	s_barrier
	s_and_saveexec_b64 s[0:1], s[46:47]
	s_cbranch_execz .LBB132_200
; %bb.199:
	v_mov_b32_e32 v26, 0
	ds_read_b64 v[26:27], v26 offset:7800
	s_waitcnt lgkmcnt(0)
	v_mul_f64 v[11:12], v[11:12], v[26:27]
	ds_write_b64 v18, v[11:12]
.LBB132_200:
	s_or_b64 exec, exec, s[0:1]
	s_waitcnt lgkmcnt(0)
	s_barrier
	s_barrier
	s_and_saveexec_b64 s[0:1], s[18:19]
; %bb.201:
	v_xor_b32_e32 v12, 0x80000000, v12
	ds_write_b64 v16, v[11:12] offset:4192
; %bb.202:
	s_or_b64 exec, exec, s[0:1]
	s_waitcnt lgkmcnt(0)
	s_barrier
	s_barrier
	s_and_saveexec_b64 s[0:1], s[58:59]
	s_cbranch_execz .LBB132_204
; %bb.203:
	v_lshlrev_b32_e32 v26, 9, v0
	ds_read_b64 v[11:12], v26 offset:4192
	s_movk_i32 s10, 0xfe08
	v_mad_i32_i24 v27, v0, s10, v26
	s_waitcnt lgkmcnt(0)
	ds_write_b64 v27, v[11:12] offset:6208
	ds_read_b64 v[11:12], v26 offset:4200
	s_waitcnt lgkmcnt(0)
	ds_write_b64 v27, v[11:12] offset:6720
	ds_read_b64 v[11:12], v26 offset:4208
	;; [unrolled: 3-line block ×3, first 2 shown]
	s_waitcnt lgkmcnt(0)
	ds_write_b64 v27, v[11:12] offset:7744
.LBB132_204:
	s_or_b64 exec, exec, s[0:1]
	s_waitcnt lgkmcnt(0)
	s_barrier
	s_and_saveexec_b64 s[0:1], vcc
	s_cbranch_execz .LBB132_206
; %bb.205:
	v_mov_b32_e32 v11, 0
	ds_read_b128 v[26:29], v11 offset:6240
	ds_read_b64 v[11:12], v11 offset:6760
	s_movk_i32 s10, 0x1800
	s_waitcnt lgkmcnt(0)
	v_mul_f64 v[11:12], v[26:27], v[11:12]
	v_add_u32_e64 v26, s10, 0
	v_mul_f64 v[11:12], v[28:29], v[11:12]
	ds_write2_b64 v26, v[11:12], v[11:12] offset0:13 offset1:76
.LBB132_206:
	s_or_b64 exec, exec, s[0:1]
	v_mov_b32_e32 v11, 0
	v_mov_b32_e32 v12, 0
	s_waitcnt lgkmcnt(0)
	s_barrier
	s_and_saveexec_b64 s[0:1], s[2:3]
	s_cbranch_execz .LBB132_210
; %bb.207:
	v_mul_u32_u24_e32 v26, 0x208, v15
	ds_read_b64 v[11:12], v1 offset:6256
	ds_read_b64 v[26:27], v26 offset:6240
	v_cmp_gt_u32_e64 s[10:11], 2, v14
	s_waitcnt lgkmcnt(0)
	v_fma_f64 v[11:12], v[11:12], v[26:27], 0
	s_and_saveexec_b64 s[14:15], s[10:11]
	s_cbranch_execz .LBB132_209
; %bb.208:
	v_lshlrev_b32_e32 v26, 3, v0
	v_mov_b32_e32 v28, 0
	ds_read_b64 v[26:27], v26 offset:6768
	ds_read_b64 v[28:29], v28 offset:6248
	s_waitcnt lgkmcnt(0)
	v_fma_f64 v[11:12], v[26:27], v[28:29], v[11:12]
.LBB132_209:
	s_or_b64 exec, exec, s[14:15]
	v_xor_b32_e32 v12, 0x80000000, v12
.LBB132_210:
	s_or_b64 exec, exec, s[0:1]
	s_and_saveexec_b64 s[0:1], s[42:43]
	s_cbranch_execz .LBB132_212
; %bb.211:
	v_mov_b32_e32 v26, 0
	ds_read_b64 v[26:27], v26 offset:7280
	s_waitcnt lgkmcnt(0)
	v_mul_f64 v[11:12], v[11:12], v[26:27]
	ds_write_b64 v13, v[11:12]
.LBB132_212:
	s_or_b64 exec, exec, s[0:1]
	s_waitcnt lgkmcnt(0)
	s_barrier
	s_and_saveexec_b64 s[0:1], s[40:41]
	s_cbranch_execz .LBB132_214
; %bb.213:
	v_mov_b32_e32 v26, 0
	ds_read_b64 v[26:27], v26 offset:7288
	ds_read_b64 v[28:29], v13
	s_waitcnt lgkmcnt(0)
	v_fma_f64 v[11:12], v[26:27], v[28:29], v[11:12]
.LBB132_214:
	s_or_b64 exec, exec, s[0:1]
	s_barrier
	s_and_saveexec_b64 s[0:1], s[40:41]
	s_cbranch_execz .LBB132_216
; %bb.215:
	v_mov_b32_e32 v26, 0
	ds_read_b64 v[26:27], v26 offset:7800
	s_waitcnt lgkmcnt(0)
	v_mul_f64 v[11:12], v[11:12], v[26:27]
	ds_write_b64 v13, v[11:12]
.LBB132_216:
	s_or_b64 exec, exec, s[0:1]
	s_waitcnt lgkmcnt(0)
	s_barrier
	s_barrier
	s_and_saveexec_b64 s[0:1], s[2:3]
; %bb.217:
	v_xor_b32_e32 v12, 0x80000000, v12
	ds_write_b64 v1, v[11:12] offset:6256
; %bb.218:
	s_or_b64 exec, exec, s[0:1]
	s_waitcnt lgkmcnt(0)
	s_barrier
	s_barrier
	s_and_saveexec_b64 s[0:1], s[44:45]
	s_cbranch_execz .LBB132_220
; %bb.219:
	v_lshlrev_b32_e32 v26, 3, v0
	s_movk_i32 s10, 0x1f8
	v_mad_u32_u24 v27, v0, s10, v26
	ds_read_b64 v[11:12], v27 offset:6256
	s_waitcnt lgkmcnt(0)
	ds_write_b64 v26, v[11:12] offset:7264
	ds_read_b64 v[11:12], v27 offset:6264
	s_waitcnt lgkmcnt(0)
	ds_write_b64 v26, v[11:12] offset:7776
.LBB132_220:
	s_or_b64 exec, exec, s[0:1]
	s_waitcnt lgkmcnt(0)
	s_barrier
	s_and_saveexec_b64 s[0:1], vcc
	s_cbranch_execz .LBB132_222
; %bb.221:
	v_mov_b32_e32 v11, 0
	ds_read_b128 v[26:29], v11 offset:7280
	ds_read_b64 v[11:12], v11 offset:7800
	s_movk_i32 s10, 0x1800
	s_waitcnt lgkmcnt(0)
	v_mul_f64 v[11:12], v[26:27], v[11:12]
	v_add_u32_e64 v26, s10, 0
	v_mul_f64 v[11:12], v[28:29], v[11:12]
	ds_write2_b64 v26, v[11:12], v[11:12] offset0:143 offset1:206
.LBB132_222:
	s_or_b64 exec, exec, s[0:1]
	v_lshrrev_b32_e32 v30, 4, v14
	v_and_b32_e32 v27, 15, v0
	s_movk_i32 s0, 0xff
	v_lshlrev_b32_e32 v29, 6, v30
	v_cmp_lt_u32_e64 s[14:15], s0, v14
	s_movk_i32 s0, 0x100
	v_or_b32_e32 v26, v29, v27
	v_mov_b32_e32 v11, 0
	v_cmp_gt_u32_e64 s[10:11], s0, v14
	v_mov_b32_e32 v12, 0
	v_lshlrev_b32_e32 v26, 3, v26
	s_waitcnt lgkmcnt(0)
	s_barrier
	s_and_saveexec_b64 s[0:1], s[10:11]
	s_cbranch_execz .LBB132_250
; %bb.223:
	v_mul_u32_u24_e32 v28, 0x208, v30
	ds_read_b64 v[11:12], v26 offset:128
	ds_read_b64 v[31:32], v28
	s_movk_i32 s16, 0xf0
	v_cmp_gt_u32_e64 s[16:17], s16, v14
	s_waitcnt lgkmcnt(0)
	v_fma_f64 v[11:12], v[11:12], v[31:32], 0
	s_and_saveexec_b64 s[20:21], s[16:17]
	s_cbranch_execz .LBB132_225
; %bb.224:
	v_lshlrev_b32_e32 v31, 3, v30
	v_sub_u32_e32 v31, v28, v31
	v_lshl_add_u32 v31, v27, 3, v31
	ds_read_b64 v[31:32], v31 offset:640
	ds_read_b64 v[33:34], v28 offset:8
	s_waitcnt lgkmcnt(0)
	v_fma_f64 v[11:12], v[31:32], v[33:34], v[11:12]
.LBB132_225:
	s_or_b64 exec, exec, s[20:21]
	s_movk_i32 s16, 0xe0
	v_cmp_gt_u32_e64 s[16:17], s16, v14
	s_and_saveexec_b64 s[20:21], s[16:17]
	s_cbranch_execz .LBB132_227
; %bb.226:
	v_lshlrev_b32_e32 v31, 3, v30
	v_sub_u32_e32 v31, v28, v31
	v_lshl_add_u32 v31, v27, 3, v31
	ds_read_b64 v[31:32], v31 offset:1152
	ds_read_b64 v[33:34], v28 offset:16
	s_waitcnt lgkmcnt(0)
	v_fma_f64 v[11:12], v[31:32], v[33:34], v[11:12]
.LBB132_227:
	s_or_b64 exec, exec, s[20:21]
	s_movk_i32 s16, 0xd0
	v_cmp_gt_u32_e64 s[16:17], s16, v14
	;; [unrolled: 14-line block ×7, first 2 shown]
	s_and_saveexec_b64 s[20:21], s[16:17]
	s_cbranch_execz .LBB132_239
; %bb.238:
	ds_read_b64 v[31:32], v26 offset:4224
	ds_read_b64 v[33:34], v28 offset:64
	s_waitcnt lgkmcnt(0)
	v_fma_f64 v[11:12], v[31:32], v[33:34], v[11:12]
.LBB132_239:
	s_or_b64 exec, exec, s[20:21]
	s_movk_i32 s16, 0x70
	v_cmp_gt_u32_e64 s[16:17], s16, v14
	s_and_saveexec_b64 s[20:21], s[16:17]
	s_cbranch_execz .LBB132_241
; %bb.240:
	v_lshlrev_b32_e32 v31, 3, v30
	v_sub_u32_e32 v31, v28, v31
	v_lshl_add_u32 v31, v27, 3, v31
	ds_read_b64 v[31:32], v31 offset:4736
	ds_read_b64 v[33:34], v28 offset:72
	s_waitcnt lgkmcnt(0)
	v_fma_f64 v[11:12], v[31:32], v[33:34], v[11:12]
.LBB132_241:
	s_or_b64 exec, exec, s[20:21]
	s_movk_i32 s16, 0x60
	v_cmp_gt_u32_e64 s[16:17], s16, v14
	s_and_saveexec_b64 s[20:21], s[16:17]
	s_cbranch_execz .LBB132_243
; %bb.242:
	v_lshlrev_b32_e32 v31, 3, v27
	v_lshl_add_u32 v31, v29, 3, v31
	ds_read_b64 v[31:32], v31 offset:5248
	ds_read_b64 v[33:34], v28 offset:80
	s_waitcnt lgkmcnt(0)
	v_fma_f64 v[11:12], v[31:32], v[33:34], v[11:12]
.LBB132_243:
	s_or_b64 exec, exec, s[20:21]
	s_movk_i32 s16, 0x50
	v_cmp_gt_u32_e64 s[16:17], s16, v14
	s_and_saveexec_b64 s[20:21], s[16:17]
	s_cbranch_execnz .LBB132_1107
; %bb.244:
	s_or_b64 exec, exec, s[20:21]
	v_cmp_gt_u32_e64 s[16:17], 64, v14
	s_and_saveexec_b64 s[20:21], s[16:17]
	s_cbranch_execnz .LBB132_1108
.LBB132_245:
	s_or_b64 exec, exec, s[20:21]
	v_cmp_gt_u32_e64 s[16:17], 48, v14
	s_and_saveexec_b64 s[20:21], s[16:17]
	s_cbranch_execnz .LBB132_1109
.LBB132_246:
	s_or_b64 exec, exec, s[20:21]
	v_cmp_gt_u32_e64 s[16:17], 32, v14
	s_and_saveexec_b64 s[20:21], s[16:17]
	s_cbranch_execnz .LBB132_1110
.LBB132_247:
	s_or_b64 exec, exec, s[20:21]
	v_cmp_gt_u32_e64 s[16:17], 16, v14
	s_and_saveexec_b64 s[20:21], s[16:17]
	s_cbranch_execz .LBB132_249
.LBB132_248:
	v_lshlrev_b32_e32 v28, 3, v0
	v_mov_b32_e32 v33, 0
	ds_read_b64 v[31:32], v28 offset:7808
	ds_read_b64 v[33:34], v33 offset:120
	s_waitcnt lgkmcnt(0)
	v_fma_f64 v[11:12], v[31:32], v[33:34], v[11:12]
.LBB132_249:
	s_or_b64 exec, exec, s[20:21]
	v_xor_b32_e32 v12, 0x80000000, v12
.LBB132_250:
	s_or_b64 exec, exec, s[0:1]
	v_mov_b32_e32 v28, 0x8000
	v_lshl_add_u32 v28, v30, 3, v28
	v_cmp_eq_u32_e64 s[16:17], 0, v27
	s_xor_b64 s[20:21], s[14:15], -1
	s_and_b64 s[14:15], s[16:17], s[20:21]
	s_mov_b64 s[0:1], exec
	v_writelane_b32 v42, s14, 7
	v_writelane_b32 v42, s15, 8
	s_and_b64 s[14:15], s[0:1], s[14:15]
	s_mov_b64 exec, s[14:15]
	s_cbranch_execz .LBB132_252
; %bb.251:
	v_mov_b32_e32 v31, 0
	ds_read_b64 v[31:32], v31 offset:8320
	s_waitcnt lgkmcnt(0)
	v_mul_f64 v[11:12], v[11:12], v[31:32]
	ds_write_b64 v28, v[11:12]
.LBB132_252:
	s_or_b64 exec, exec, s[0:1]
	v_cmp_ne_u32_e64 s[14:15], 0, v27
	s_waitcnt lgkmcnt(0)
	s_barrier
	s_and_b64 s[14:15], s[14:15], s[20:21]
	s_mov_b64 s[0:1], exec
	v_writelane_b32 v42, s14, 9
	v_writelane_b32 v42, s15, 10
	s_and_b64 s[14:15], s[0:1], s[14:15]
	s_mov_b64 exec, s[14:15]
	s_cbranch_execz .LBB132_254
; %bb.253:
	v_lshlrev_b32_e32 v31, 3, v27
	ds_read_b64 v[31:32], v31 offset:8320
	ds_read_b64 v[33:34], v28
	s_waitcnt lgkmcnt(0)
	v_fma_f64 v[11:12], v[31:32], v[33:34], v[11:12]
.LBB132_254:
	s_or_b64 exec, exec, s[0:1]
	v_cmp_eq_u32_e64 s[14:15], 1, v27
	s_barrier
	s_and_b64 s[14:15], s[14:15], s[20:21]
	s_mov_b64 s[0:1], exec
	v_writelane_b32 v42, s14, 11
	v_writelane_b32 v42, s15, 12
	s_and_b64 s[14:15], s[0:1], s[14:15]
	s_mov_b64 exec, s[14:15]
	s_cbranch_execz .LBB132_256
; %bb.255:
	v_mov_b32_e32 v31, 0
	ds_read_b64 v[31:32], v31 offset:8840
	s_waitcnt lgkmcnt(0)
	v_mul_f64 v[11:12], v[11:12], v[31:32]
	ds_write_b64 v28, v[11:12]
.LBB132_256:
	s_or_b64 exec, exec, s[0:1]
	v_cmp_lt_u32_e64 s[14:15], 1, v27
	s_waitcnt lgkmcnt(0)
	s_barrier
	s_and_b64 s[14:15], s[14:15], s[20:21]
	s_mov_b64 s[0:1], exec
	v_writelane_b32 v42, s14, 13
	v_writelane_b32 v42, s15, 14
	s_and_b64 s[14:15], s[0:1], s[14:15]
	s_mov_b64 exec, s[14:15]
	s_cbranch_execz .LBB132_258
; %bb.257:
	v_lshlrev_b32_e32 v31, 3, v27
	ds_read_b64 v[31:32], v31 offset:8832
	ds_read_b64 v[33:34], v28
	s_waitcnt lgkmcnt(0)
	v_fma_f64 v[11:12], v[31:32], v[33:34], v[11:12]
.LBB132_258:
	s_or_b64 exec, exec, s[0:1]
	v_cmp_eq_u32_e64 s[14:15], 2, v27
	s_barrier
	s_and_b64 s[14:15], s[14:15], s[20:21]
	s_mov_b64 s[0:1], exec
	v_writelane_b32 v42, s14, 15
	v_writelane_b32 v42, s15, 16
	s_and_b64 s[14:15], s[0:1], s[14:15]
	s_mov_b64 exec, s[14:15]
	s_cbranch_execz .LBB132_260
; %bb.259:
	v_mov_b32_e32 v31, 0
	ds_read_b64 v[31:32], v31 offset:9360
	s_waitcnt lgkmcnt(0)
	v_mul_f64 v[11:12], v[11:12], v[31:32]
	ds_write_b64 v28, v[11:12]
.LBB132_260:
	s_or_b64 exec, exec, s[0:1]
	v_cmp_lt_u32_e64 s[14:15], 2, v27
	;; [unrolled: 35-line block ×13, first 2 shown]
	s_waitcnt lgkmcnt(0)
	s_barrier
	s_and_b64 s[14:15], s[14:15], s[20:21]
	s_mov_b64 s[0:1], exec
	v_writelane_b32 v42, s14, 61
	v_writelane_b32 v42, s15, 62
	s_and_b64 s[14:15], s[0:1], s[14:15]
	s_mov_b64 exec, s[14:15]
	s_cbranch_execz .LBB132_306
; %bb.305:
	v_lshlrev_b32_e32 v31, 3, v27
	ds_read_b64 v[31:32], v31 offset:14976
	ds_read_b64 v[33:34], v28
	s_waitcnt lgkmcnt(0)
	v_fma_f64 v[11:12], v[31:32], v[33:34], v[11:12]
.LBB132_306:
	s_or_b64 exec, exec, s[0:1]
	v_cmp_eq_u32_e64 s[14:15], 14, v27
	s_barrier
	s_and_b64 s[14:15], s[14:15], s[20:21]
	s_mov_b64 s[0:1], exec
                                        ; implicit-def: $vgpr41 : SGPR spill to VGPR lane
	v_writelane_b32 v42, s14, 63
	v_writelane_b32 v41, s15, 0
	s_and_b64 s[14:15], s[0:1], s[14:15]
	s_mov_b64 exec, s[14:15]
	s_cbranch_execz .LBB132_308
; %bb.307:
	v_mov_b32_e32 v31, 0
	ds_read_b64 v[31:32], v31 offset:15600
	s_waitcnt lgkmcnt(0)
	v_mul_f64 v[11:12], v[11:12], v[31:32]
	ds_write_b64 v28, v[11:12]
.LBB132_308:
	s_or_b64 exec, exec, s[0:1]
	v_cmp_eq_u32_e64 s[14:15], 15, v27
	s_and_b64 s[36:37], s[14:15], s[20:21]
	s_waitcnt lgkmcnt(0)
	s_barrier
	s_and_saveexec_b64 s[0:1], s[36:37]
	s_cbranch_execz .LBB132_310
; %bb.309:
	v_mov_b32_e32 v31, 0
	ds_read_b64 v[31:32], v31 offset:15608
	ds_read_b64 v[33:34], v28
	s_waitcnt lgkmcnt(0)
	v_fma_f64 v[11:12], v[31:32], v[33:34], v[11:12]
.LBB132_310:
	s_or_b64 exec, exec, s[0:1]
	s_barrier
	s_and_saveexec_b64 s[0:1], s[36:37]
	s_cbranch_execz .LBB132_312
; %bb.311:
	v_mov_b32_e32 v31, 0
	ds_read_b64 v[31:32], v31 offset:16120
	s_waitcnt lgkmcnt(0)
	v_mul_f64 v[11:12], v[11:12], v[31:32]
	ds_write_b64 v28, v[11:12]
.LBB132_312:
	s_or_b64 exec, exec, s[0:1]
	s_waitcnt lgkmcnt(0)
	s_barrier
	s_barrier
	s_and_saveexec_b64 s[0:1], s[10:11]
; %bb.313:
	v_xor_b32_e32 v12, 0x80000000, v12
	ds_write_b64 v26, v[11:12] offset:128
; %bb.314:
	s_or_b64 exec, exec, s[0:1]
	v_cmp_gt_u32_e64 s[14:15], 16, v0
	s_and_b64 s[92:93], s[12:13], s[14:15]
	s_waitcnt lgkmcnt(0)
	s_barrier
	s_barrier
	s_and_saveexec_b64 s[14:15], s[92:93]
	s_cbranch_execz .LBB132_316
; %bb.315:
	v_lshlrev_b32_e32 v31, 9, v0
	ds_read_b64 v[11:12], v31 offset:128
	s_movk_i32 s0, 0xfe08
	v_mad_i32_i24 v32, v0, s0, v31
	s_waitcnt lgkmcnt(0)
	ds_write_b64 v32, v[11:12] offset:8192
	ds_read_b64 v[11:12], v31 offset:136
	s_waitcnt lgkmcnt(0)
	ds_write_b64 v32, v[11:12] offset:8704
	ds_read_b64 v[11:12], v31 offset:144
	;; [unrolled: 3-line block ×15, first 2 shown]
	s_waitcnt lgkmcnt(0)
	ds_write_b64 v32, v[11:12] offset:15872
.LBB132_316:
	s_or_b64 exec, exec, s[14:15]
	s_waitcnt lgkmcnt(0)
	s_barrier
	s_and_saveexec_b64 s[14:15], vcc
	s_cbranch_execz .LBB132_318
; %bb.317:
	v_mov_b32_e32 v11, 0
	ds_read_b128 v[31:34], v11 offset:8320
	ds_read_b64 v[11:12], v11 offset:8840
	s_movk_i32 s0, 0x2000
	s_waitcnt lgkmcnt(0)
	v_mul_f64 v[11:12], v[31:32], v[11:12]
	v_add_u32_e64 v31, s0, 0
	v_mul_f64 v[11:12], v[33:34], v[11:12]
	ds_write2_b64 v31, v[11:12], v[11:12] offset0:17 offset1:80
.LBB132_318:
	s_or_b64 exec, exec, s[14:15]
	v_mov_b32_e32 v11, 0
	v_mov_b32_e32 v12, 0
	s_waitcnt lgkmcnt(0)
	s_barrier
	s_and_saveexec_b64 s[16:17], s[2:3]
	s_cbranch_execz .LBB132_322
; %bb.319:
	v_mul_u32_u24_e32 v31, 0x208, v15
	ds_read_b64 v[11:12], v1 offset:8336
	ds_read_b64 v[31:32], v31 offset:8320
	v_cmp_gt_u32_e64 s[14:15], 2, v14
	s_waitcnt lgkmcnt(0)
	v_fma_f64 v[11:12], v[11:12], v[31:32], 0
	s_and_saveexec_b64 s[20:21], s[14:15]
	s_cbranch_execz .LBB132_321
; %bb.320:
	v_lshlrev_b32_e32 v31, 3, v0
	v_mov_b32_e32 v33, 0
	ds_read_b64 v[31:32], v31 offset:8848
	ds_read_b64 v[33:34], v33 offset:8328
	s_waitcnt lgkmcnt(0)
	v_fma_f64 v[11:12], v[31:32], v[33:34], v[11:12]
.LBB132_321:
	s_or_b64 exec, exec, s[20:21]
	v_xor_b32_e32 v12, 0x80000000, v12
.LBB132_322:
	s_or_b64 exec, exec, s[16:17]
	s_and_saveexec_b64 s[0:1], s[42:43]
	s_cbranch_execz .LBB132_324
; %bb.323:
	v_mov_b32_e32 v31, 0
	ds_read_b64 v[31:32], v31 offset:9360
	s_waitcnt lgkmcnt(0)
	v_mul_f64 v[11:12], v[11:12], v[31:32]
	ds_write_b64 v13, v[11:12]
.LBB132_324:
	s_or_b64 exec, exec, s[0:1]
	s_waitcnt lgkmcnt(0)
	s_barrier
	s_and_saveexec_b64 s[0:1], s[40:41]
	s_cbranch_execz .LBB132_326
; %bb.325:
	v_mov_b32_e32 v31, 0
	ds_read_b64 v[31:32], v31 offset:9368
	ds_read_b64 v[33:34], v13
	s_waitcnt lgkmcnt(0)
	v_fma_f64 v[11:12], v[31:32], v[33:34], v[11:12]
.LBB132_326:
	s_or_b64 exec, exec, s[0:1]
	s_barrier
	s_and_saveexec_b64 s[0:1], s[40:41]
	s_cbranch_execz .LBB132_328
; %bb.327:
	v_mov_b32_e32 v31, 0
	ds_read_b64 v[31:32], v31 offset:9880
	s_waitcnt lgkmcnt(0)
	v_mul_f64 v[11:12], v[11:12], v[31:32]
	ds_write_b64 v13, v[11:12]
.LBB132_328:
	s_or_b64 exec, exec, s[0:1]
	s_waitcnt lgkmcnt(0)
	s_barrier
	s_barrier
	s_and_saveexec_b64 s[0:1], s[2:3]
; %bb.329:
	v_xor_b32_e32 v12, 0x80000000, v12
	ds_write_b64 v1, v[11:12] offset:8336
; %bb.330:
	s_or_b64 exec, exec, s[0:1]
	s_waitcnt lgkmcnt(0)
	s_barrier
	s_barrier
	s_and_saveexec_b64 s[14:15], s[44:45]
	s_cbranch_execz .LBB132_332
; %bb.331:
	v_lshlrev_b32_e32 v31, 3, v0
	s_movk_i32 s0, 0x1f8
	v_mad_u32_u24 v32, v0, s0, v31
	ds_read_b64 v[11:12], v32 offset:8336
	s_waitcnt lgkmcnt(0)
	ds_write_b64 v31, v[11:12] offset:9344
	ds_read_b64 v[11:12], v32 offset:8344
	s_waitcnt lgkmcnt(0)
	ds_write_b64 v31, v[11:12] offset:9856
.LBB132_332:
	s_or_b64 exec, exec, s[14:15]
	s_waitcnt lgkmcnt(0)
	s_barrier
	s_and_saveexec_b64 s[14:15], vcc
	s_cbranch_execz .LBB132_334
; %bb.333:
	v_mov_b32_e32 v11, 0
	ds_read_b128 v[31:34], v11 offset:9360
	ds_read_b64 v[11:12], v11 offset:9880
	s_movk_i32 s0, 0x2000
	s_waitcnt lgkmcnt(0)
	v_mul_f64 v[11:12], v[31:32], v[11:12]
	v_add_u32_e64 v31, s0, 0
	v_mul_f64 v[11:12], v[33:34], v[11:12]
	ds_write2_b64 v31, v[11:12], v[11:12] offset0:147 offset1:210
.LBB132_334:
	s_or_b64 exec, exec, s[14:15]
	v_mov_b32_e32 v11, 0
	v_mov_b32_e32 v12, 0
	s_waitcnt lgkmcnt(0)
	s_barrier
	s_and_saveexec_b64 s[16:17], s[18:19]
	s_cbranch_execz .LBB132_340
; %bb.335:
	v_mul_u32_u24_e32 v31, 0x208, v20
	ds_read_b64 v[11:12], v16 offset:8352
	ds_read_b64 v[32:33], v31 offset:8320
	v_cmp_gt_u32_e64 s[14:15], 12, v14
	s_waitcnt lgkmcnt(0)
	v_fma_f64 v[11:12], v[11:12], v[32:33], 0
	s_and_saveexec_b64 s[20:21], s[14:15]
	s_cbranch_execnz .LBB132_1111
; %bb.336:
	s_or_b64 exec, exec, s[20:21]
	v_cmp_gt_u32_e64 s[14:15], 8, v14
	s_and_saveexec_b64 s[0:1], s[14:15]
	s_cbranch_execnz .LBB132_1112
.LBB132_337:
	s_or_b64 exec, exec, s[0:1]
	v_cmp_gt_u32_e64 s[14:15], 4, v14
	s_and_saveexec_b64 s[20:21], s[14:15]
	s_cbranch_execz .LBB132_339
.LBB132_338:
	v_lshlrev_b32_e32 v31, 3, v0
	v_mov_b32_e32 v33, 0
	ds_read_b64 v[31:32], v31 offset:9888
	ds_read_b64 v[33:34], v33 offset:8344
	s_waitcnt lgkmcnt(0)
	v_fma_f64 v[11:12], v[31:32], v[33:34], v[11:12]
.LBB132_339:
	s_or_b64 exec, exec, s[20:21]
	v_xor_b32_e32 v12, 0x80000000, v12
.LBB132_340:
	s_or_b64 exec, exec, s[16:17]
	s_and_saveexec_b64 s[0:1], s[48:49]
	s_cbranch_execz .LBB132_342
; %bb.341:
	v_mov_b32_e32 v31, 0
	ds_read_b64 v[31:32], v31 offset:10400
	s_waitcnt lgkmcnt(0)
	v_mul_f64 v[11:12], v[11:12], v[31:32]
	ds_write_b64 v18, v[11:12]
.LBB132_342:
	s_or_b64 exec, exec, s[0:1]
	s_waitcnt lgkmcnt(0)
	s_barrier
	s_and_saveexec_b64 s[0:1], s[50:51]
	s_cbranch_execz .LBB132_344
; %bb.343:
	ds_read_b64 v[31:32], v17 offset:10400
	ds_read_b64 v[33:34], v18
	s_waitcnt lgkmcnt(0)
	v_fma_f64 v[11:12], v[31:32], v[33:34], v[11:12]
.LBB132_344:
	s_or_b64 exec, exec, s[0:1]
	s_barrier
	s_and_saveexec_b64 s[0:1], s[52:53]
	s_cbranch_execz .LBB132_346
; %bb.345:
	v_mov_b32_e32 v31, 0
	ds_read_b64 v[31:32], v31 offset:10920
	s_waitcnt lgkmcnt(0)
	v_mul_f64 v[11:12], v[11:12], v[31:32]
	ds_write_b64 v18, v[11:12]
.LBB132_346:
	s_or_b64 exec, exec, s[0:1]
	s_waitcnt lgkmcnt(0)
	s_barrier
	s_and_saveexec_b64 s[0:1], s[54:55]
	s_cbranch_execz .LBB132_348
; %bb.347:
	ds_read_b64 v[31:32], v17 offset:10912
	ds_read_b64 v[33:34], v18
	s_waitcnt lgkmcnt(0)
	v_fma_f64 v[11:12], v[31:32], v[33:34], v[11:12]
.LBB132_348:
	s_or_b64 exec, exec, s[0:1]
	s_barrier
	s_and_saveexec_b64 s[0:1], s[56:57]
	s_cbranch_execz .LBB132_350
; %bb.349:
	v_mov_b32_e32 v31, 0
	ds_read_b64 v[31:32], v31 offset:11440
	s_waitcnt lgkmcnt(0)
	v_mul_f64 v[11:12], v[11:12], v[31:32]
	ds_write_b64 v18, v[11:12]
.LBB132_350:
	s_or_b64 exec, exec, s[0:1]
	s_waitcnt lgkmcnt(0)
	s_barrier
	s_and_saveexec_b64 s[0:1], s[46:47]
	s_cbranch_execz .LBB132_352
; %bb.351:
	v_mov_b32_e32 v31, 0
	ds_read_b64 v[31:32], v31 offset:11448
	ds_read_b64 v[33:34], v18
	s_waitcnt lgkmcnt(0)
	v_fma_f64 v[11:12], v[31:32], v[33:34], v[11:12]
.LBB132_352:
	s_or_b64 exec, exec, s[0:1]
	s_barrier
	s_and_saveexec_b64 s[0:1], s[46:47]
	s_cbranch_execz .LBB132_354
; %bb.353:
	v_mov_b32_e32 v31, 0
	ds_read_b64 v[31:32], v31 offset:11960
	s_waitcnt lgkmcnt(0)
	v_mul_f64 v[11:12], v[11:12], v[31:32]
	ds_write_b64 v18, v[11:12]
.LBB132_354:
	s_or_b64 exec, exec, s[0:1]
	s_waitcnt lgkmcnt(0)
	s_barrier
	s_barrier
	s_and_saveexec_b64 s[0:1], s[18:19]
; %bb.355:
	v_xor_b32_e32 v12, 0x80000000, v12
	ds_write_b64 v16, v[11:12] offset:8352
; %bb.356:
	s_or_b64 exec, exec, s[0:1]
	s_waitcnt lgkmcnt(0)
	s_barrier
	s_barrier
	s_and_saveexec_b64 s[14:15], s[58:59]
	s_cbranch_execz .LBB132_358
; %bb.357:
	v_lshlrev_b32_e32 v31, 9, v0
	ds_read_b64 v[11:12], v31 offset:8352
	s_movk_i32 s0, 0xfe08
	v_mad_i32_i24 v32, v0, s0, v31
	s_waitcnt lgkmcnt(0)
	ds_write_b64 v32, v[11:12] offset:10368
	ds_read_b64 v[11:12], v31 offset:8360
	s_waitcnt lgkmcnt(0)
	ds_write_b64 v32, v[11:12] offset:10880
	ds_read_b64 v[11:12], v31 offset:8368
	;; [unrolled: 3-line block ×3, first 2 shown]
	s_waitcnt lgkmcnt(0)
	ds_write_b64 v32, v[11:12] offset:11904
.LBB132_358:
	s_or_b64 exec, exec, s[14:15]
	s_waitcnt lgkmcnt(0)
	s_barrier
	s_and_saveexec_b64 s[14:15], vcc
	s_cbranch_execz .LBB132_360
; %bb.359:
	v_mov_b32_e32 v11, 0
	ds_read_b128 v[31:34], v11 offset:10400
	ds_read_b64 v[11:12], v11 offset:10920
	s_movk_i32 s0, 0x2800
	s_waitcnt lgkmcnt(0)
	v_mul_f64 v[11:12], v[31:32], v[11:12]
	v_add_u32_e64 v31, s0, 0
	v_mul_f64 v[11:12], v[33:34], v[11:12]
	ds_write2_b64 v31, v[11:12], v[11:12] offset0:21 offset1:84
.LBB132_360:
	s_or_b64 exec, exec, s[14:15]
	v_mov_b32_e32 v11, 0
	v_mov_b32_e32 v12, 0
	s_waitcnt lgkmcnt(0)
	s_barrier
	s_and_saveexec_b64 s[16:17], s[2:3]
	s_cbranch_execz .LBB132_364
; %bb.361:
	v_mul_u32_u24_e32 v31, 0x208, v15
	ds_read_b64 v[11:12], v1 offset:10416
	ds_read_b64 v[31:32], v31 offset:10400
	v_cmp_gt_u32_e64 s[14:15], 2, v14
	s_waitcnt lgkmcnt(0)
	v_fma_f64 v[11:12], v[11:12], v[31:32], 0
	s_and_saveexec_b64 s[20:21], s[14:15]
	s_cbranch_execz .LBB132_363
; %bb.362:
	v_lshlrev_b32_e32 v31, 3, v0
	v_mov_b32_e32 v33, 0
	ds_read_b64 v[31:32], v31 offset:10928
	ds_read_b64 v[33:34], v33 offset:10408
	s_waitcnt lgkmcnt(0)
	v_fma_f64 v[11:12], v[31:32], v[33:34], v[11:12]
.LBB132_363:
	s_or_b64 exec, exec, s[20:21]
	v_xor_b32_e32 v12, 0x80000000, v12
.LBB132_364:
	s_or_b64 exec, exec, s[16:17]
	s_and_saveexec_b64 s[0:1], s[42:43]
	s_cbranch_execz .LBB132_366
; %bb.365:
	v_mov_b32_e32 v31, 0
	ds_read_b64 v[31:32], v31 offset:11440
	s_waitcnt lgkmcnt(0)
	v_mul_f64 v[11:12], v[11:12], v[31:32]
	ds_write_b64 v13, v[11:12]
.LBB132_366:
	s_or_b64 exec, exec, s[0:1]
	s_waitcnt lgkmcnt(0)
	s_barrier
	s_and_saveexec_b64 s[0:1], s[40:41]
	s_cbranch_execz .LBB132_368
; %bb.367:
	v_mov_b32_e32 v31, 0
	ds_read_b64 v[31:32], v31 offset:11448
	ds_read_b64 v[33:34], v13
	s_waitcnt lgkmcnt(0)
	v_fma_f64 v[11:12], v[31:32], v[33:34], v[11:12]
.LBB132_368:
	s_or_b64 exec, exec, s[0:1]
	s_barrier
	s_and_saveexec_b64 s[0:1], s[40:41]
	s_cbranch_execz .LBB132_370
; %bb.369:
	v_mov_b32_e32 v31, 0
	ds_read_b64 v[31:32], v31 offset:11960
	s_waitcnt lgkmcnt(0)
	v_mul_f64 v[11:12], v[11:12], v[31:32]
	ds_write_b64 v13, v[11:12]
.LBB132_370:
	s_or_b64 exec, exec, s[0:1]
	s_waitcnt lgkmcnt(0)
	s_barrier
	s_barrier
	s_and_saveexec_b64 s[0:1], s[2:3]
; %bb.371:
	v_xor_b32_e32 v12, 0x80000000, v12
	ds_write_b64 v1, v[11:12] offset:10416
; %bb.372:
	s_or_b64 exec, exec, s[0:1]
	s_waitcnt lgkmcnt(0)
	s_barrier
	s_barrier
	s_and_saveexec_b64 s[14:15], s[44:45]
	s_cbranch_execz .LBB132_374
; %bb.373:
	v_lshlrev_b32_e32 v31, 3, v0
	s_movk_i32 s0, 0x1f8
	v_mad_u32_u24 v32, v0, s0, v31
	ds_read_b64 v[11:12], v32 offset:10416
	s_waitcnt lgkmcnt(0)
	ds_write_b64 v31, v[11:12] offset:11424
	ds_read_b64 v[11:12], v32 offset:10424
	s_waitcnt lgkmcnt(0)
	ds_write_b64 v31, v[11:12] offset:11936
.LBB132_374:
	s_or_b64 exec, exec, s[14:15]
	s_waitcnt lgkmcnt(0)
	s_barrier
	s_and_saveexec_b64 s[14:15], vcc
	s_cbranch_execz .LBB132_376
; %bb.375:
	v_mov_b32_e32 v11, 0
	ds_read_b128 v[31:34], v11 offset:11440
	ds_read_b64 v[11:12], v11 offset:11960
	s_movk_i32 s0, 0x2800
	s_waitcnt lgkmcnt(0)
	v_mul_f64 v[11:12], v[31:32], v[11:12]
	v_add_u32_e64 v31, s0, 0
	v_mul_f64 v[11:12], v[33:34], v[11:12]
	ds_write2_b64 v31, v[11:12], v[11:12] offset0:151 offset1:214
.LBB132_376:
	s_or_b64 exec, exec, s[14:15]
	v_mov_b32_e32 v11, 0
	v_mov_b32_e32 v12, 0
	s_waitcnt lgkmcnt(0)
	s_barrier
	s_and_saveexec_b64 s[16:17], s[8:9]
	s_cbranch_execz .LBB132_386
; %bb.377:
	v_mul_u32_u24_e32 v31, 0x208, v25
	ds_read_b64 v[11:12], v21 offset:8384
	ds_read_b64 v[32:33], v31 offset:8320
	v_cmp_gt_u32_e64 s[14:15], 56, v14
	s_waitcnt lgkmcnt(0)
	v_fma_f64 v[11:12], v[11:12], v[32:33], 0
	s_and_saveexec_b64 s[20:21], s[14:15]
	s_cbranch_execnz .LBB132_1113
; %bb.378:
	s_or_b64 exec, exec, s[20:21]
	v_cmp_gt_u32_e64 s[14:15], 48, v14
	s_and_saveexec_b64 s[20:21], s[14:15]
	s_cbranch_execnz .LBB132_1114
.LBB132_379:
	s_or_b64 exec, exec, s[20:21]
	v_cmp_gt_u32_e64 s[14:15], 40, v14
	s_and_saveexec_b64 s[20:21], s[14:15]
	s_cbranch_execnz .LBB132_1115
.LBB132_380:
	s_or_b64 exec, exec, s[20:21]
	v_cmp_gt_u32_e64 s[14:15], 32, v14
	s_and_saveexec_b64 s[0:1], s[14:15]
	s_cbranch_execnz .LBB132_1116
.LBB132_381:
	s_or_b64 exec, exec, s[0:1]
	v_cmp_gt_u32_e64 s[14:15], 24, v14
	s_and_saveexec_b64 s[20:21], s[14:15]
	s_cbranch_execnz .LBB132_1117
.LBB132_382:
	s_or_b64 exec, exec, s[20:21]
	v_cmp_gt_u32_e64 s[14:15], 16, v14
	s_and_saveexec_b64 s[0:1], s[14:15]
	s_cbranch_execnz .LBB132_1118
.LBB132_383:
	s_or_b64 exec, exec, s[0:1]
	v_cmp_gt_u32_e64 s[14:15], 8, v14
	s_and_saveexec_b64 s[20:21], s[14:15]
	s_cbranch_execz .LBB132_385
.LBB132_384:
	v_lshlrev_b32_e32 v31, 3, v0
	v_mov_b32_e32 v33, 0
	ds_read_b64 v[31:32], v31 offset:11968
	ds_read_b64 v[33:34], v33 offset:8376
	s_waitcnt lgkmcnt(0)
	v_fma_f64 v[11:12], v[31:32], v[33:34], v[11:12]
.LBB132_385:
	s_or_b64 exec, exec, s[20:21]
	v_xor_b32_e32 v12, 0x80000000, v12
.LBB132_386:
	s_or_b64 exec, exec, s[16:17]
	s_and_saveexec_b64 s[0:1], s[60:61]
	s_cbranch_execz .LBB132_388
; %bb.387:
	v_mov_b32_e32 v31, 0
	ds_read_b64 v[31:32], v31 offset:12480
	s_waitcnt lgkmcnt(0)
	v_mul_f64 v[11:12], v[11:12], v[31:32]
	ds_write_b64 v23, v[11:12]
.LBB132_388:
	s_or_b64 exec, exec, s[0:1]
	s_waitcnt lgkmcnt(0)
	s_barrier
	s_and_saveexec_b64 s[0:1], s[62:63]
	s_cbranch_execz .LBB132_390
; %bb.389:
	ds_read_b64 v[31:32], v22 offset:12480
	ds_read_b64 v[33:34], v23
	s_waitcnt lgkmcnt(0)
	v_fma_f64 v[11:12], v[31:32], v[33:34], v[11:12]
.LBB132_390:
	s_or_b64 exec, exec, s[0:1]
	s_barrier
	s_and_saveexec_b64 s[0:1], s[64:65]
	s_cbranch_execz .LBB132_392
; %bb.391:
	v_mov_b32_e32 v31, 0
	ds_read_b64 v[31:32], v31 offset:13000
	s_waitcnt lgkmcnt(0)
	v_mul_f64 v[11:12], v[11:12], v[31:32]
	ds_write_b64 v23, v[11:12]
.LBB132_392:
	s_or_b64 exec, exec, s[0:1]
	s_waitcnt lgkmcnt(0)
	s_barrier
	s_and_saveexec_b64 s[0:1], s[66:67]
	s_cbranch_execz .LBB132_394
; %bb.393:
	ds_read_b64 v[31:32], v22 offset:12992
	ds_read_b64 v[33:34], v23
	s_waitcnt lgkmcnt(0)
	v_fma_f64 v[11:12], v[31:32], v[33:34], v[11:12]
.LBB132_394:
	s_or_b64 exec, exec, s[0:1]
	s_barrier
	;; [unrolled: 22-line block ×6, first 2 shown]
	s_and_saveexec_b64 s[0:1], s[86:87]
	s_cbranch_execz .LBB132_412
; %bb.411:
	v_mov_b32_e32 v31, 0
	ds_read_b64 v[31:32], v31 offset:15600
	s_waitcnt lgkmcnt(0)
	v_mul_f64 v[11:12], v[11:12], v[31:32]
	ds_write_b64 v23, v[11:12]
.LBB132_412:
	s_or_b64 exec, exec, s[0:1]
	s_waitcnt lgkmcnt(0)
	s_barrier
	s_and_saveexec_b64 s[0:1], s[70:71]
	s_cbranch_execz .LBB132_414
; %bb.413:
	v_mov_b32_e32 v31, 0
	ds_read_b64 v[31:32], v31 offset:15608
	ds_read_b64 v[33:34], v23
	s_waitcnt lgkmcnt(0)
	v_fma_f64 v[11:12], v[31:32], v[33:34], v[11:12]
.LBB132_414:
	s_or_b64 exec, exec, s[0:1]
	s_barrier
	s_and_saveexec_b64 s[0:1], s[70:71]
	s_cbranch_execz .LBB132_416
; %bb.415:
	v_mov_b32_e32 v31, 0
	ds_read_b64 v[31:32], v31 offset:16120
	s_waitcnt lgkmcnt(0)
	v_mul_f64 v[11:12], v[11:12], v[31:32]
	ds_write_b64 v23, v[11:12]
.LBB132_416:
	s_or_b64 exec, exec, s[0:1]
	s_waitcnt lgkmcnt(0)
	s_barrier
	s_barrier
	s_and_saveexec_b64 s[0:1], s[8:9]
; %bb.417:
	v_xor_b32_e32 v12, 0x80000000, v12
	ds_write_b64 v21, v[11:12] offset:8384
; %bb.418:
	s_or_b64 exec, exec, s[0:1]
	s_waitcnt lgkmcnt(0)
	s_barrier
	s_barrier
	s_and_saveexec_b64 s[14:15], s[88:89]
	s_cbranch_execz .LBB132_420
; %bb.419:
	v_lshlrev_b32_e32 v31, 9, v0
	ds_read_b64 v[11:12], v31 offset:8384
	s_movk_i32 s0, 0xfe08
	v_mad_i32_i24 v32, v0, s0, v31
	s_waitcnt lgkmcnt(0)
	ds_write_b64 v32, v[11:12] offset:12416
	ds_read_b64 v[11:12], v31 offset:8392
	s_waitcnt lgkmcnt(0)
	ds_write_b64 v32, v[11:12] offset:12928
	ds_read_b64 v[11:12], v31 offset:8400
	;; [unrolled: 3-line block ×7, first 2 shown]
	s_waitcnt lgkmcnt(0)
	ds_write_b64 v32, v[11:12] offset:16000
.LBB132_420:
	s_or_b64 exec, exec, s[14:15]
	s_waitcnt lgkmcnt(0)
	s_barrier
	s_and_saveexec_b64 s[14:15], vcc
	s_cbranch_execz .LBB132_422
; %bb.421:
	v_mov_b32_e32 v11, 0
	ds_read_b128 v[31:34], v11 offset:12480
	ds_read_b64 v[11:12], v11 offset:13000
	s_movk_i32 s0, 0x3000
	s_waitcnt lgkmcnt(0)
	v_mul_f64 v[11:12], v[31:32], v[11:12]
	v_add_u32_e64 v31, s0, 0
	v_mul_f64 v[11:12], v[33:34], v[11:12]
	ds_write2_b64 v31, v[11:12], v[11:12] offset0:25 offset1:88
.LBB132_422:
	s_or_b64 exec, exec, s[14:15]
	v_mov_b32_e32 v11, 0
	v_mov_b32_e32 v12, 0
	s_waitcnt lgkmcnt(0)
	s_barrier
	s_and_saveexec_b64 s[16:17], s[2:3]
	s_cbranch_execz .LBB132_426
; %bb.423:
	v_mul_u32_u24_e32 v31, 0x208, v15
	ds_read_b64 v[11:12], v1 offset:12496
	ds_read_b64 v[31:32], v31 offset:12480
	v_cmp_gt_u32_e64 s[14:15], 2, v14
	s_waitcnt lgkmcnt(0)
	v_fma_f64 v[11:12], v[11:12], v[31:32], 0
	s_and_saveexec_b64 s[20:21], s[14:15]
	s_cbranch_execz .LBB132_425
; %bb.424:
	v_lshlrev_b32_e32 v31, 3, v0
	v_mov_b32_e32 v33, 0
	ds_read_b64 v[31:32], v31 offset:13008
	ds_read_b64 v[33:34], v33 offset:12488
	s_waitcnt lgkmcnt(0)
	v_fma_f64 v[11:12], v[31:32], v[33:34], v[11:12]
.LBB132_425:
	s_or_b64 exec, exec, s[20:21]
	v_xor_b32_e32 v12, 0x80000000, v12
.LBB132_426:
	s_or_b64 exec, exec, s[16:17]
	s_and_saveexec_b64 s[0:1], s[42:43]
	s_cbranch_execz .LBB132_428
; %bb.427:
	v_mov_b32_e32 v31, 0
	ds_read_b64 v[31:32], v31 offset:13520
	s_waitcnt lgkmcnt(0)
	v_mul_f64 v[11:12], v[11:12], v[31:32]
	ds_write_b64 v13, v[11:12]
.LBB132_428:
	s_or_b64 exec, exec, s[0:1]
	s_waitcnt lgkmcnt(0)
	s_barrier
	s_and_saveexec_b64 s[0:1], s[40:41]
	s_cbranch_execz .LBB132_430
; %bb.429:
	v_mov_b32_e32 v31, 0
	ds_read_b64 v[31:32], v31 offset:13528
	ds_read_b64 v[33:34], v13
	s_waitcnt lgkmcnt(0)
	v_fma_f64 v[11:12], v[31:32], v[33:34], v[11:12]
.LBB132_430:
	s_or_b64 exec, exec, s[0:1]
	s_barrier
	s_and_saveexec_b64 s[0:1], s[40:41]
	s_cbranch_execz .LBB132_432
; %bb.431:
	v_mov_b32_e32 v31, 0
	ds_read_b64 v[31:32], v31 offset:14040
	s_waitcnt lgkmcnt(0)
	v_mul_f64 v[11:12], v[11:12], v[31:32]
	ds_write_b64 v13, v[11:12]
.LBB132_432:
	s_or_b64 exec, exec, s[0:1]
	s_waitcnt lgkmcnt(0)
	s_barrier
	s_barrier
	s_and_saveexec_b64 s[0:1], s[2:3]
; %bb.433:
	v_xor_b32_e32 v12, 0x80000000, v12
	ds_write_b64 v1, v[11:12] offset:12496
; %bb.434:
	s_or_b64 exec, exec, s[0:1]
	s_waitcnt lgkmcnt(0)
	s_barrier
	s_barrier
	s_and_saveexec_b64 s[14:15], s[44:45]
	s_cbranch_execz .LBB132_436
; %bb.435:
	v_lshlrev_b32_e32 v31, 3, v0
	s_movk_i32 s0, 0x1f8
	v_mad_u32_u24 v32, v0, s0, v31
	ds_read_b64 v[11:12], v32 offset:12496
	s_waitcnt lgkmcnt(0)
	ds_write_b64 v31, v[11:12] offset:13504
	ds_read_b64 v[11:12], v32 offset:12504
	s_waitcnt lgkmcnt(0)
	ds_write_b64 v31, v[11:12] offset:14016
.LBB132_436:
	s_or_b64 exec, exec, s[14:15]
	s_waitcnt lgkmcnt(0)
	s_barrier
	s_and_saveexec_b64 s[14:15], vcc
	s_cbranch_execz .LBB132_438
; %bb.437:
	v_mov_b32_e32 v11, 0
	ds_read_b128 v[31:34], v11 offset:13520
	ds_read_b64 v[11:12], v11 offset:14040
	s_movk_i32 s0, 0x3000
	s_waitcnt lgkmcnt(0)
	v_mul_f64 v[11:12], v[31:32], v[11:12]
	v_add_u32_e64 v31, s0, 0
	v_mul_f64 v[11:12], v[33:34], v[11:12]
	ds_write2_b64 v31, v[11:12], v[11:12] offset0:155 offset1:218
.LBB132_438:
	s_or_b64 exec, exec, s[14:15]
	v_mov_b32_e32 v11, 0
	v_mov_b32_e32 v12, 0
	s_waitcnt lgkmcnt(0)
	s_barrier
	s_and_saveexec_b64 s[16:17], s[18:19]
	s_cbranch_execz .LBB132_444
; %bb.439:
	v_mul_u32_u24_e32 v31, 0x208, v20
	ds_read_b64 v[11:12], v16 offset:12512
	ds_read_b64 v[32:33], v31 offset:12480
	v_cmp_gt_u32_e64 s[14:15], 12, v14
	s_waitcnt lgkmcnt(0)
	v_fma_f64 v[11:12], v[11:12], v[32:33], 0
	s_and_saveexec_b64 s[20:21], s[14:15]
	s_cbranch_execnz .LBB132_1119
; %bb.440:
	s_or_b64 exec, exec, s[20:21]
	v_cmp_gt_u32_e64 s[14:15], 8, v14
	s_and_saveexec_b64 s[0:1], s[14:15]
	s_cbranch_execnz .LBB132_1120
.LBB132_441:
	s_or_b64 exec, exec, s[0:1]
	v_cmp_gt_u32_e64 s[14:15], 4, v14
	s_and_saveexec_b64 s[20:21], s[14:15]
	s_cbranch_execz .LBB132_443
.LBB132_442:
	v_lshlrev_b32_e32 v31, 3, v0
	v_mov_b32_e32 v33, 0
	ds_read_b64 v[31:32], v31 offset:14048
	ds_read_b64 v[33:34], v33 offset:12504
	s_waitcnt lgkmcnt(0)
	v_fma_f64 v[11:12], v[31:32], v[33:34], v[11:12]
.LBB132_443:
	s_or_b64 exec, exec, s[20:21]
	v_xor_b32_e32 v12, 0x80000000, v12
.LBB132_444:
	s_or_b64 exec, exec, s[16:17]
	s_and_saveexec_b64 s[0:1], s[48:49]
	s_cbranch_execz .LBB132_446
; %bb.445:
	v_mov_b32_e32 v31, 0
	ds_read_b64 v[31:32], v31 offset:14560
	s_waitcnt lgkmcnt(0)
	v_mul_f64 v[11:12], v[11:12], v[31:32]
	ds_write_b64 v18, v[11:12]
.LBB132_446:
	s_or_b64 exec, exec, s[0:1]
	s_waitcnt lgkmcnt(0)
	s_barrier
	s_and_saveexec_b64 s[0:1], s[50:51]
	s_cbranch_execz .LBB132_448
; %bb.447:
	ds_read_b64 v[31:32], v17 offset:14560
	ds_read_b64 v[33:34], v18
	s_waitcnt lgkmcnt(0)
	v_fma_f64 v[11:12], v[31:32], v[33:34], v[11:12]
.LBB132_448:
	s_or_b64 exec, exec, s[0:1]
	s_barrier
	s_and_saveexec_b64 s[0:1], s[52:53]
	s_cbranch_execz .LBB132_450
; %bb.449:
	v_mov_b32_e32 v31, 0
	ds_read_b64 v[31:32], v31 offset:15080
	s_waitcnt lgkmcnt(0)
	v_mul_f64 v[11:12], v[11:12], v[31:32]
	ds_write_b64 v18, v[11:12]
.LBB132_450:
	s_or_b64 exec, exec, s[0:1]
	s_waitcnt lgkmcnt(0)
	s_barrier
	s_and_saveexec_b64 s[0:1], s[54:55]
	s_cbranch_execz .LBB132_452
; %bb.451:
	ds_read_b64 v[31:32], v17 offset:15072
	ds_read_b64 v[33:34], v18
	s_waitcnt lgkmcnt(0)
	v_fma_f64 v[11:12], v[31:32], v[33:34], v[11:12]
.LBB132_452:
	s_or_b64 exec, exec, s[0:1]
	s_barrier
	s_and_saveexec_b64 s[0:1], s[56:57]
	s_cbranch_execz .LBB132_454
; %bb.453:
	v_mov_b32_e32 v31, 0
	ds_read_b64 v[31:32], v31 offset:15600
	s_waitcnt lgkmcnt(0)
	v_mul_f64 v[11:12], v[11:12], v[31:32]
	ds_write_b64 v18, v[11:12]
.LBB132_454:
	s_or_b64 exec, exec, s[0:1]
	s_waitcnt lgkmcnt(0)
	s_barrier
	s_and_saveexec_b64 s[0:1], s[46:47]
	s_cbranch_execz .LBB132_456
; %bb.455:
	v_mov_b32_e32 v31, 0
	ds_read_b64 v[31:32], v31 offset:15608
	ds_read_b64 v[33:34], v18
	s_waitcnt lgkmcnt(0)
	v_fma_f64 v[11:12], v[31:32], v[33:34], v[11:12]
.LBB132_456:
	s_or_b64 exec, exec, s[0:1]
	s_barrier
	s_and_saveexec_b64 s[0:1], s[46:47]
	s_cbranch_execz .LBB132_458
; %bb.457:
	v_mov_b32_e32 v31, 0
	ds_read_b64 v[31:32], v31 offset:16120
	s_waitcnt lgkmcnt(0)
	v_mul_f64 v[11:12], v[11:12], v[31:32]
	ds_write_b64 v18, v[11:12]
.LBB132_458:
	s_or_b64 exec, exec, s[0:1]
	s_waitcnt lgkmcnt(0)
	s_barrier
	s_barrier
	s_and_saveexec_b64 s[0:1], s[18:19]
; %bb.459:
	v_xor_b32_e32 v12, 0x80000000, v12
	ds_write_b64 v16, v[11:12] offset:12512
; %bb.460:
	s_or_b64 exec, exec, s[0:1]
	s_waitcnt lgkmcnt(0)
	s_barrier
	s_barrier
	s_and_saveexec_b64 s[14:15], s[58:59]
	s_cbranch_execz .LBB132_462
; %bb.461:
	v_lshlrev_b32_e32 v31, 9, v0
	ds_read_b64 v[11:12], v31 offset:12512
	s_movk_i32 s0, 0xfe08
	v_mad_i32_i24 v32, v0, s0, v31
	s_waitcnt lgkmcnt(0)
	ds_write_b64 v32, v[11:12] offset:14528
	ds_read_b64 v[11:12], v31 offset:12520
	s_waitcnt lgkmcnt(0)
	ds_write_b64 v32, v[11:12] offset:15040
	ds_read_b64 v[11:12], v31 offset:12528
	;; [unrolled: 3-line block ×3, first 2 shown]
	s_waitcnt lgkmcnt(0)
	ds_write_b64 v32, v[11:12] offset:16064
.LBB132_462:
	s_or_b64 exec, exec, s[14:15]
	s_waitcnt lgkmcnt(0)
	s_barrier
	s_and_saveexec_b64 s[14:15], vcc
	s_cbranch_execz .LBB132_464
; %bb.463:
	v_mov_b32_e32 v11, 0
	ds_read_b128 v[31:34], v11 offset:14560
	ds_read_b64 v[11:12], v11 offset:15080
	s_movk_i32 s0, 0x3800
	s_waitcnt lgkmcnt(0)
	v_mul_f64 v[11:12], v[31:32], v[11:12]
	v_add_u32_e64 v31, s0, 0
	v_mul_f64 v[11:12], v[33:34], v[11:12]
	ds_write2_b64 v31, v[11:12], v[11:12] offset0:29 offset1:92
.LBB132_464:
	s_or_b64 exec, exec, s[14:15]
	v_mov_b32_e32 v11, 0
	v_mov_b32_e32 v12, 0
	s_waitcnt lgkmcnt(0)
	s_barrier
	s_and_saveexec_b64 s[16:17], s[2:3]
	s_cbranch_execz .LBB132_468
; %bb.465:
	v_mul_u32_u24_e32 v31, 0x208, v15
	ds_read_b64 v[11:12], v1 offset:14576
	ds_read_b64 v[31:32], v31 offset:14560
	v_cmp_gt_u32_e64 s[14:15], 2, v14
	s_waitcnt lgkmcnt(0)
	v_fma_f64 v[11:12], v[11:12], v[31:32], 0
	s_and_saveexec_b64 s[20:21], s[14:15]
	s_cbranch_execz .LBB132_467
; %bb.466:
	v_lshlrev_b32_e32 v31, 3, v0
	v_mov_b32_e32 v33, 0
	ds_read_b64 v[31:32], v31 offset:15088
	ds_read_b64 v[33:34], v33 offset:14568
	s_waitcnt lgkmcnt(0)
	v_fma_f64 v[11:12], v[31:32], v[33:34], v[11:12]
.LBB132_467:
	s_or_b64 exec, exec, s[20:21]
	v_xor_b32_e32 v12, 0x80000000, v12
.LBB132_468:
	s_or_b64 exec, exec, s[16:17]
	s_and_saveexec_b64 s[0:1], s[42:43]
	s_cbranch_execz .LBB132_470
; %bb.469:
	v_mov_b32_e32 v31, 0
	ds_read_b64 v[31:32], v31 offset:15600
	s_waitcnt lgkmcnt(0)
	v_mul_f64 v[11:12], v[11:12], v[31:32]
	ds_write_b64 v13, v[11:12]
.LBB132_470:
	s_or_b64 exec, exec, s[0:1]
	s_waitcnt lgkmcnt(0)
	s_barrier
	s_and_saveexec_b64 s[0:1], s[40:41]
	s_cbranch_execz .LBB132_472
; %bb.471:
	v_mov_b32_e32 v31, 0
	ds_read_b64 v[31:32], v31 offset:15608
	ds_read_b64 v[33:34], v13
	s_waitcnt lgkmcnt(0)
	v_fma_f64 v[11:12], v[31:32], v[33:34], v[11:12]
.LBB132_472:
	s_or_b64 exec, exec, s[0:1]
	s_barrier
	s_and_saveexec_b64 s[0:1], s[40:41]
	s_cbranch_execz .LBB132_474
; %bb.473:
	v_mov_b32_e32 v31, 0
	ds_read_b64 v[31:32], v31 offset:16120
	s_waitcnt lgkmcnt(0)
	v_mul_f64 v[11:12], v[11:12], v[31:32]
	ds_write_b64 v13, v[11:12]
.LBB132_474:
	s_or_b64 exec, exec, s[0:1]
	s_waitcnt lgkmcnt(0)
	s_barrier
	s_barrier
	s_and_saveexec_b64 s[0:1], s[2:3]
; %bb.475:
	v_xor_b32_e32 v12, 0x80000000, v12
	ds_write_b64 v1, v[11:12] offset:14576
; %bb.476:
	s_or_b64 exec, exec, s[0:1]
	s_waitcnt lgkmcnt(0)
	s_barrier
	s_barrier
	s_and_saveexec_b64 s[14:15], s[44:45]
	s_cbranch_execz .LBB132_478
; %bb.477:
	v_lshlrev_b32_e32 v31, 3, v0
	s_movk_i32 s0, 0x1f8
	v_mad_u32_u24 v32, v0, s0, v31
	ds_read_b64 v[11:12], v32 offset:14576
	s_waitcnt lgkmcnt(0)
	ds_write_b64 v31, v[11:12] offset:15584
	ds_read_b64 v[11:12], v32 offset:14584
	s_waitcnt lgkmcnt(0)
	ds_write_b64 v31, v[11:12] offset:16096
.LBB132_478:
	s_or_b64 exec, exec, s[14:15]
	s_waitcnt lgkmcnt(0)
	s_barrier
	s_and_saveexec_b64 s[14:15], vcc
	s_cbranch_execz .LBB132_480
; %bb.479:
	v_mov_b32_e32 v11, 0
	ds_read_b128 v[31:34], v11 offset:15600
	ds_read_b64 v[11:12], v11 offset:16120
	s_movk_i32 s0, 0x3800
	s_waitcnt lgkmcnt(0)
	v_mul_f64 v[11:12], v[31:32], v[11:12]
	v_add_u32_e64 v31, s0, 0
	v_mul_f64 v[11:12], v[33:34], v[11:12]
	ds_write2_b64 v31, v[11:12], v[11:12] offset0:159 offset1:222
.LBB132_480:
	s_or_b64 exec, exec, s[14:15]
	v_and_b32_e32 v32, 31, v0
	v_lshrrev_b32_e32 v33, 5, v14
	s_movk_i32 s0, 0x3ff
	v_lshlrev_b32_e32 v11, 3, v32
	v_cmp_lt_u32_e64 s[16:17], s0, v14
	s_movk_i32 s0, 0x400
	v_lshl_or_b32 v31, v33, 9, v11
	v_mov_b32_e32 v11, 0
	v_cmp_gt_u32_e64 s[14:15], s0, v14
	v_mov_b32_e32 v12, 0
	s_waitcnt lgkmcnt(0)
	s_barrier
	s_and_saveexec_b64 s[94:95], s[14:15]
	s_cbranch_execz .LBB132_542
; %bb.481:
	v_mul_u32_u24_e32 v34, 0x208, v33
	ds_read_b64 v[11:12], v31 offset:256
	ds_read_b64 v[35:36], v34
	s_movk_i32 s0, 0x3e0
	v_cmp_gt_u32_e64 s[20:21], s0, v14
	s_waitcnt lgkmcnt(0)
	v_fma_f64 v[11:12], v[11:12], v[35:36], 0
	s_and_saveexec_b64 s[0:1], s[20:21]
	s_cbranch_execz .LBB132_483
; %bb.482:
	ds_read_b64 v[35:36], v31 offset:768
	ds_read_b64 v[37:38], v34 offset:8
	s_waitcnt lgkmcnt(0)
	v_fma_f64 v[11:12], v[35:36], v[37:38], v[11:12]
.LBB132_483:
	s_or_b64 exec, exec, s[0:1]
	s_movk_i32 s0, 0x3c0
	v_cmp_gt_u32_e64 s[20:21], s0, v14
	s_and_saveexec_b64 s[0:1], s[20:21]
	s_cbranch_execz .LBB132_485
; %bb.484:
	ds_read_b64 v[35:36], v31 offset:1280
	ds_read_b64 v[37:38], v34 offset:16
	s_waitcnt lgkmcnt(0)
	v_fma_f64 v[11:12], v[35:36], v[37:38], v[11:12]
.LBB132_485:
	s_or_b64 exec, exec, s[0:1]
	s_movk_i32 s0, 0x3a0
	v_cmp_gt_u32_e64 s[20:21], s0, v14
	;; [unrolled: 11-line block ×28, first 2 shown]
	s_and_saveexec_b64 s[0:1], s[20:21]
	s_cbranch_execnz .LBB132_1121
; %bb.538:
	s_or_b64 exec, exec, s[0:1]
	v_cmp_gt_u32_e64 s[20:21], 64, v14
	s_and_saveexec_b64 s[0:1], s[20:21]
	s_cbranch_execnz .LBB132_1122
.LBB132_539:
	s_or_b64 exec, exec, s[0:1]
	v_cmp_gt_u32_e64 s[20:21], 32, v14
	s_and_saveexec_b64 s[0:1], s[20:21]
	s_cbranch_execz .LBB132_541
.LBB132_540:
	v_lshlrev_b32_e32 v34, 3, v0
	v_mov_b32_e32 v36, 0
	ds_read_b64 v[34:35], v34 offset:16128
	ds_read_b64 v[36:37], v36 offset:248
	s_waitcnt lgkmcnt(0)
	v_fma_f64 v[11:12], v[34:35], v[36:37], v[11:12]
.LBB132_541:
	s_or_b64 exec, exec, s[0:1]
	v_xor_b32_e32 v12, 0x80000000, v12
.LBB132_542:
	s_or_b64 exec, exec, s[94:95]
	v_mov_b32_e32 v34, 0x8000
	v_lshl_or_b32 v33, v33, 3, v34
	v_mul_u32_u24_e32 v34, 0x208, v32
	v_lshlrev_b32_e32 v35, 9, v32
	v_sub_u32_e32 v35, v34, v35
	v_add_u32_e32 v35, 0x4100, v35
	s_mov_b32 s94, 0
	s_xor_b64 s[20:21], s[16:17], -1
	v_mov_b32_e32 v36, v32
	s_branch .LBB132_544
.LBB132_543:                            ;   in Loop: Header=BB132_544 Depth=1
	s_or_b64 exec, exec, s[0:1]
	s_add_i32 s94, s94, 4
	v_add_u32_e32 v35, 0x800, v35
	s_cmp_eq_u32 s94, 32
	v_add_u32_e32 v36, -4, v36
	s_barrier
	s_cbranch_scc1 .LBB132_560
.LBB132_544:                            ; =>This Inner Loop Header: Depth=1
	v_cmp_eq_u32_e64 s[16:17], 0, v36
	s_and_b64 s[16:17], s[20:21], s[16:17]
	s_and_saveexec_b64 s[0:1], s[16:17]
	s_cbranch_execz .LBB132_546
; %bb.545:                              ;   in Loop: Header=BB132_544 Depth=1
	ds_read_b64 v[37:38], v34 offset:16640
	s_waitcnt lgkmcnt(0)
	v_mul_f64 v[11:12], v[11:12], v[37:38]
	ds_write_b64 v33, v[11:12]
.LBB132_546:                            ;   in Loop: Header=BB132_544 Depth=1
	s_or_b64 exec, exec, s[0:1]
	v_cmp_lt_u32_e64 s[16:17], s94, v32
	s_and_b64 s[16:17], s[20:21], s[16:17]
	s_waitcnt lgkmcnt(0)
	s_barrier
	s_and_saveexec_b64 s[0:1], s[16:17]
	s_cbranch_execz .LBB132_548
; %bb.547:                              ;   in Loop: Header=BB132_544 Depth=1
	ds_read_b64 v[37:38], v35
	ds_read_b64 v[39:40], v33
	s_waitcnt lgkmcnt(0)
	v_fma_f64 v[11:12], v[37:38], v[39:40], v[11:12]
.LBB132_548:                            ;   in Loop: Header=BB132_544 Depth=1
	s_or_b64 exec, exec, s[0:1]
	s_or_b32 s95, s94, 1
	v_cmp_eq_u32_e64 s[16:17], s95, v32
	s_and_b64 s[16:17], s[20:21], s[16:17]
	s_barrier
	s_and_saveexec_b64 s[0:1], s[16:17]
	s_cbranch_execz .LBB132_550
; %bb.549:                              ;   in Loop: Header=BB132_544 Depth=1
	ds_read_b64 v[37:38], v34 offset:16640
	s_waitcnt lgkmcnt(0)
	v_mul_f64 v[11:12], v[11:12], v[37:38]
	ds_write_b64 v33, v[11:12]
.LBB132_550:                            ;   in Loop: Header=BB132_544 Depth=1
	s_or_b64 exec, exec, s[0:1]
	v_cmp_lt_u32_e64 s[16:17], s95, v32
	s_and_b64 s[16:17], s[20:21], s[16:17]
	s_waitcnt lgkmcnt(0)
	s_barrier
	s_and_saveexec_b64 s[0:1], s[16:17]
	s_cbranch_execz .LBB132_552
; %bb.551:                              ;   in Loop: Header=BB132_544 Depth=1
	ds_read_b64 v[37:38], v35 offset:512
	ds_read_b64 v[39:40], v33
	s_waitcnt lgkmcnt(0)
	v_fma_f64 v[11:12], v[37:38], v[39:40], v[11:12]
.LBB132_552:                            ;   in Loop: Header=BB132_544 Depth=1
	s_or_b64 exec, exec, s[0:1]
	s_or_b32 s95, s94, 2
	v_cmp_eq_u32_e64 s[16:17], s95, v32
	s_and_b64 s[16:17], s[20:21], s[16:17]
	s_barrier
	s_and_saveexec_b64 s[0:1], s[16:17]
	s_cbranch_execz .LBB132_554
; %bb.553:                              ;   in Loop: Header=BB132_544 Depth=1
	ds_read_b64 v[37:38], v34 offset:16640
	s_waitcnt lgkmcnt(0)
	v_mul_f64 v[11:12], v[11:12], v[37:38]
	ds_write_b64 v33, v[11:12]
.LBB132_554:                            ;   in Loop: Header=BB132_544 Depth=1
	s_or_b64 exec, exec, s[0:1]
	v_cmp_lt_u32_e64 s[16:17], s95, v32
	s_and_b64 s[16:17], s[20:21], s[16:17]
	s_waitcnt lgkmcnt(0)
	s_barrier
	s_and_saveexec_b64 s[0:1], s[16:17]
	s_cbranch_execz .LBB132_556
; %bb.555:                              ;   in Loop: Header=BB132_544 Depth=1
	ds_read_b64 v[37:38], v35 offset:1024
	ds_read_b64 v[39:40], v33
	s_waitcnt lgkmcnt(0)
	v_fma_f64 v[11:12], v[37:38], v[39:40], v[11:12]
.LBB132_556:                            ;   in Loop: Header=BB132_544 Depth=1
	s_or_b64 exec, exec, s[0:1]
	s_or_b32 s95, s94, 3
	v_cmp_eq_u32_e64 s[16:17], s95, v32
	s_and_b64 s[16:17], s[20:21], s[16:17]
	s_barrier
	s_and_saveexec_b64 s[0:1], s[16:17]
	s_cbranch_execz .LBB132_558
; %bb.557:                              ;   in Loop: Header=BB132_544 Depth=1
	ds_read_b64 v[37:38], v34 offset:16640
	s_waitcnt lgkmcnt(0)
	v_mul_f64 v[11:12], v[11:12], v[37:38]
	ds_write_b64 v33, v[11:12]
.LBB132_558:                            ;   in Loop: Header=BB132_544 Depth=1
	s_or_b64 exec, exec, s[0:1]
	v_cmp_lt_u32_e64 s[16:17], s95, v32
	s_and_b64 s[16:17], s[20:21], s[16:17]
	s_waitcnt lgkmcnt(0)
	s_barrier
	s_and_saveexec_b64 s[0:1], s[16:17]
	s_cbranch_execz .LBB132_543
; %bb.559:                              ;   in Loop: Header=BB132_544 Depth=1
	ds_read_b64 v[37:38], v35 offset:1536
	ds_read_b64 v[39:40], v33
	s_waitcnt lgkmcnt(0)
	v_fma_f64 v[11:12], v[37:38], v[39:40], v[11:12]
	s_branch .LBB132_543
.LBB132_560:
	s_and_saveexec_b64 s[0:1], s[14:15]
; %bb.561:
	v_xor_b32_e32 v12, 0x80000000, v12
	ds_write_b64 v31, v[11:12] offset:256
; %bb.562:
	s_or_b64 exec, exec, s[0:1]
	v_cmp_gt_u32_e64 s[14:15], 32, v0
	s_and_b64 s[0:1], s[12:13], s[14:15]
	s_waitcnt lgkmcnt(0)
	s_barrier
	s_barrier
	s_and_saveexec_b64 s[12:13], s[0:1]
	s_cbranch_execz .LBB132_564
; %bb.563:
	v_lshlrev_b32_e32 v31, 9, v0
	ds_read_b64 v[11:12], v31 offset:256
	s_movk_i32 s0, 0xfe08
	v_mad_i32_i24 v32, v0, s0, v31
	s_waitcnt lgkmcnt(0)
	ds_write_b64 v32, v[11:12] offset:16384
	ds_read_b64 v[11:12], v31 offset:264
	s_waitcnt lgkmcnt(0)
	ds_write_b64 v32, v[11:12] offset:16896
	ds_read_b64 v[11:12], v31 offset:272
	;; [unrolled: 3-line block ×31, first 2 shown]
	s_waitcnt lgkmcnt(0)
	ds_write_b64 v32, v[11:12] offset:32256
.LBB132_564:
	s_or_b64 exec, exec, s[12:13]
	s_waitcnt lgkmcnt(0)
	s_barrier
	s_and_saveexec_b64 s[12:13], vcc
	s_cbranch_execz .LBB132_566
; %bb.565:
	v_mov_b32_e32 v11, 0
	ds_read_b128 v[31:34], v11 offset:16640
	ds_read_b64 v[11:12], v11 offset:17160
	s_movk_i32 s0, 0x4000
	s_waitcnt lgkmcnt(0)
	v_mul_f64 v[11:12], v[31:32], v[11:12]
	v_add_u32_e64 v31, s0, 0
	v_mul_f64 v[11:12], v[33:34], v[11:12]
	ds_write2_b64 v31, v[11:12], v[11:12] offset0:33 offset1:96
.LBB132_566:
	s_or_b64 exec, exec, s[12:13]
	v_mov_b32_e32 v11, 0
	v_mov_b32_e32 v12, 0
	s_waitcnt lgkmcnt(0)
	s_barrier
	s_and_saveexec_b64 s[14:15], s[2:3]
	s_cbranch_execz .LBB132_570
; %bb.567:
	v_mul_u32_u24_e32 v31, 0x208, v15
	ds_read_b64 v[11:12], v1 offset:16656
	ds_read_b64 v[31:32], v31 offset:16640
	v_cmp_gt_u32_e64 s[12:13], 2, v14
	s_waitcnt lgkmcnt(0)
	v_fma_f64 v[11:12], v[11:12], v[31:32], 0
	s_and_saveexec_b64 s[16:17], s[12:13]
	s_cbranch_execz .LBB132_569
; %bb.568:
	v_lshlrev_b32_e32 v31, 3, v0
	v_mov_b32_e32 v33, 0
	ds_read_b64 v[31:32], v31 offset:17168
	ds_read_b64 v[33:34], v33 offset:16648
	s_waitcnt lgkmcnt(0)
	v_fma_f64 v[11:12], v[31:32], v[33:34], v[11:12]
.LBB132_569:
	s_or_b64 exec, exec, s[16:17]
	v_xor_b32_e32 v12, 0x80000000, v12
.LBB132_570:
	s_or_b64 exec, exec, s[14:15]
	s_and_saveexec_b64 s[0:1], s[42:43]
	s_cbranch_execz .LBB132_572
; %bb.571:
	v_mov_b32_e32 v31, 0
	ds_read_b64 v[31:32], v31 offset:17680
	s_waitcnt lgkmcnt(0)
	v_mul_f64 v[11:12], v[11:12], v[31:32]
	ds_write_b64 v13, v[11:12]
.LBB132_572:
	s_or_b64 exec, exec, s[0:1]
	s_waitcnt lgkmcnt(0)
	s_barrier
	s_and_saveexec_b64 s[0:1], s[40:41]
	s_cbranch_execz .LBB132_574
; %bb.573:
	v_mov_b32_e32 v31, 0
	ds_read_b64 v[31:32], v31 offset:17688
	ds_read_b64 v[33:34], v13
	s_waitcnt lgkmcnt(0)
	v_fma_f64 v[11:12], v[31:32], v[33:34], v[11:12]
.LBB132_574:
	s_or_b64 exec, exec, s[0:1]
	s_barrier
	s_and_saveexec_b64 s[0:1], s[40:41]
	s_cbranch_execz .LBB132_576
; %bb.575:
	v_mov_b32_e32 v31, 0
	ds_read_b64 v[31:32], v31 offset:18200
	s_waitcnt lgkmcnt(0)
	v_mul_f64 v[11:12], v[11:12], v[31:32]
	ds_write_b64 v13, v[11:12]
.LBB132_576:
	s_or_b64 exec, exec, s[0:1]
	s_waitcnt lgkmcnt(0)
	s_barrier
	s_barrier
	s_and_saveexec_b64 s[0:1], s[2:3]
; %bb.577:
	v_xor_b32_e32 v12, 0x80000000, v12
	ds_write_b64 v1, v[11:12] offset:16656
; %bb.578:
	s_or_b64 exec, exec, s[0:1]
	s_waitcnt lgkmcnt(0)
	s_barrier
	s_barrier
	s_and_saveexec_b64 s[0:1], s[44:45]
	s_cbranch_execz .LBB132_580
; %bb.579:
	v_lshlrev_b32_e32 v31, 3, v0
	s_movk_i32 s12, 0x1f8
	v_mad_u32_u24 v32, v0, s12, v31
	ds_read_b64 v[11:12], v32 offset:16656
	s_waitcnt lgkmcnt(0)
	ds_write_b64 v31, v[11:12] offset:17664
	ds_read_b64 v[11:12], v32 offset:16664
	s_waitcnt lgkmcnt(0)
	ds_write_b64 v31, v[11:12] offset:18176
.LBB132_580:
	s_or_b64 exec, exec, s[0:1]
	s_waitcnt lgkmcnt(0)
	s_barrier
	s_and_saveexec_b64 s[12:13], vcc
	s_cbranch_execz .LBB132_582
; %bb.581:
	v_mov_b32_e32 v11, 0
	ds_read_b128 v[31:34], v11 offset:17680
	ds_read_b64 v[11:12], v11 offset:18200
	s_movk_i32 s0, 0x4000
	s_waitcnt lgkmcnt(0)
	v_mul_f64 v[11:12], v[31:32], v[11:12]
	v_add_u32_e64 v31, s0, 0
	v_mul_f64 v[11:12], v[33:34], v[11:12]
	ds_write2_b64 v31, v[11:12], v[11:12] offset0:163 offset1:226
.LBB132_582:
	s_or_b64 exec, exec, s[12:13]
	v_mov_b32_e32 v11, 0
	v_mov_b32_e32 v12, 0
	s_waitcnt lgkmcnt(0)
	s_barrier
	s_and_saveexec_b64 s[14:15], s[18:19]
	s_cbranch_execz .LBB132_588
; %bb.583:
	v_mul_u32_u24_e32 v31, 0x208, v20
	ds_read_b64 v[11:12], v16 offset:16672
	ds_read_b64 v[32:33], v31 offset:16640
	v_cmp_gt_u32_e64 s[12:13], 12, v14
	s_waitcnt lgkmcnt(0)
	v_fma_f64 v[11:12], v[11:12], v[32:33], 0
	s_and_saveexec_b64 s[16:17], s[12:13]
	s_cbranch_execnz .LBB132_1123
; %bb.584:
	s_or_b64 exec, exec, s[16:17]
	v_cmp_gt_u32_e64 s[12:13], 8, v14
	s_and_saveexec_b64 s[0:1], s[12:13]
	s_cbranch_execnz .LBB132_1124
.LBB132_585:
	s_or_b64 exec, exec, s[0:1]
	v_cmp_gt_u32_e64 s[12:13], 4, v14
	s_and_saveexec_b64 s[0:1], s[12:13]
	s_cbranch_execz .LBB132_587
.LBB132_586:
	v_lshlrev_b32_e32 v31, 3, v0
	v_mov_b32_e32 v33, 0
	ds_read_b64 v[31:32], v31 offset:18208
	ds_read_b64 v[33:34], v33 offset:16664
	s_waitcnt lgkmcnt(0)
	v_fma_f64 v[11:12], v[31:32], v[33:34], v[11:12]
.LBB132_587:
	s_or_b64 exec, exec, s[0:1]
	v_xor_b32_e32 v12, 0x80000000, v12
.LBB132_588:
	s_or_b64 exec, exec, s[14:15]
	s_and_saveexec_b64 s[0:1], s[48:49]
	s_cbranch_execz .LBB132_590
; %bb.589:
	v_mov_b32_e32 v31, 0
	ds_read_b64 v[31:32], v31 offset:18720
	s_waitcnt lgkmcnt(0)
	v_mul_f64 v[11:12], v[11:12], v[31:32]
	ds_write_b64 v18, v[11:12]
.LBB132_590:
	s_or_b64 exec, exec, s[0:1]
	s_waitcnt lgkmcnt(0)
	s_barrier
	s_and_saveexec_b64 s[0:1], s[50:51]
	s_cbranch_execz .LBB132_592
; %bb.591:
	ds_read_b64 v[31:32], v17 offset:18720
	ds_read_b64 v[33:34], v18
	s_waitcnt lgkmcnt(0)
	v_fma_f64 v[11:12], v[31:32], v[33:34], v[11:12]
.LBB132_592:
	s_or_b64 exec, exec, s[0:1]
	s_barrier
	s_and_saveexec_b64 s[0:1], s[52:53]
	s_cbranch_execz .LBB132_594
; %bb.593:
	v_mov_b32_e32 v31, 0
	ds_read_b64 v[31:32], v31 offset:19240
	s_waitcnt lgkmcnt(0)
	v_mul_f64 v[11:12], v[11:12], v[31:32]
	ds_write_b64 v18, v[11:12]
.LBB132_594:
	s_or_b64 exec, exec, s[0:1]
	s_waitcnt lgkmcnt(0)
	s_barrier
	s_and_saveexec_b64 s[0:1], s[54:55]
	s_cbranch_execz .LBB132_596
; %bb.595:
	ds_read_b64 v[31:32], v17 offset:19232
	ds_read_b64 v[33:34], v18
	s_waitcnt lgkmcnt(0)
	v_fma_f64 v[11:12], v[31:32], v[33:34], v[11:12]
.LBB132_596:
	s_or_b64 exec, exec, s[0:1]
	s_barrier
	s_and_saveexec_b64 s[0:1], s[56:57]
	s_cbranch_execz .LBB132_598
; %bb.597:
	v_mov_b32_e32 v31, 0
	ds_read_b64 v[31:32], v31 offset:19760
	s_waitcnt lgkmcnt(0)
	v_mul_f64 v[11:12], v[11:12], v[31:32]
	ds_write_b64 v18, v[11:12]
.LBB132_598:
	s_or_b64 exec, exec, s[0:1]
	s_waitcnt lgkmcnt(0)
	s_barrier
	s_and_saveexec_b64 s[0:1], s[46:47]
	s_cbranch_execz .LBB132_600
; %bb.599:
	v_mov_b32_e32 v31, 0
	ds_read_b64 v[31:32], v31 offset:19768
	ds_read_b64 v[33:34], v18
	s_waitcnt lgkmcnt(0)
	v_fma_f64 v[11:12], v[31:32], v[33:34], v[11:12]
.LBB132_600:
	s_or_b64 exec, exec, s[0:1]
	s_barrier
	s_and_saveexec_b64 s[0:1], s[46:47]
	s_cbranch_execz .LBB132_602
; %bb.601:
	v_mov_b32_e32 v31, 0
	ds_read_b64 v[31:32], v31 offset:20280
	s_waitcnt lgkmcnt(0)
	v_mul_f64 v[11:12], v[11:12], v[31:32]
	ds_write_b64 v18, v[11:12]
.LBB132_602:
	s_or_b64 exec, exec, s[0:1]
	s_waitcnt lgkmcnt(0)
	s_barrier
	s_barrier
	s_and_saveexec_b64 s[0:1], s[18:19]
; %bb.603:
	v_xor_b32_e32 v12, 0x80000000, v12
	ds_write_b64 v16, v[11:12] offset:16672
; %bb.604:
	s_or_b64 exec, exec, s[0:1]
	s_waitcnt lgkmcnt(0)
	s_barrier
	s_barrier
	s_and_saveexec_b64 s[12:13], s[58:59]
	s_cbranch_execz .LBB132_606
; %bb.605:
	v_lshlrev_b32_e32 v31, 9, v0
	ds_read_b64 v[11:12], v31 offset:16672
	s_movk_i32 s0, 0xfe08
	v_mad_i32_i24 v32, v0, s0, v31
	s_waitcnt lgkmcnt(0)
	ds_write_b64 v32, v[11:12] offset:18688
	ds_read_b64 v[11:12], v31 offset:16680
	s_waitcnt lgkmcnt(0)
	ds_write_b64 v32, v[11:12] offset:19200
	ds_read_b64 v[11:12], v31 offset:16688
	;; [unrolled: 3-line block ×3, first 2 shown]
	s_waitcnt lgkmcnt(0)
	ds_write_b64 v32, v[11:12] offset:20224
.LBB132_606:
	s_or_b64 exec, exec, s[12:13]
	s_waitcnt lgkmcnt(0)
	s_barrier
	s_and_saveexec_b64 s[12:13], vcc
	s_cbranch_execz .LBB132_608
; %bb.607:
	v_mov_b32_e32 v11, 0
	ds_read_b128 v[31:34], v11 offset:18720
	ds_read_b64 v[11:12], v11 offset:19240
	s_movk_i32 s0, 0x4800
	s_waitcnt lgkmcnt(0)
	v_mul_f64 v[11:12], v[31:32], v[11:12]
	v_add_u32_e64 v31, s0, 0
	v_mul_f64 v[11:12], v[33:34], v[11:12]
	ds_write2_b64 v31, v[11:12], v[11:12] offset0:37 offset1:100
.LBB132_608:
	s_or_b64 exec, exec, s[12:13]
	v_mov_b32_e32 v11, 0
	v_mov_b32_e32 v12, 0
	s_waitcnt lgkmcnt(0)
	s_barrier
	s_and_saveexec_b64 s[14:15], s[2:3]
	s_cbranch_execz .LBB132_612
; %bb.609:
	v_mul_u32_u24_e32 v31, 0x208, v15
	ds_read_b64 v[11:12], v1 offset:18736
	ds_read_b64 v[31:32], v31 offset:18720
	v_cmp_gt_u32_e64 s[12:13], 2, v14
	s_waitcnt lgkmcnt(0)
	v_fma_f64 v[11:12], v[11:12], v[31:32], 0
	s_and_saveexec_b64 s[16:17], s[12:13]
	s_cbranch_execz .LBB132_611
; %bb.610:
	v_lshlrev_b32_e32 v31, 3, v0
	v_mov_b32_e32 v33, 0
	ds_read_b64 v[31:32], v31 offset:19248
	ds_read_b64 v[33:34], v33 offset:18728
	s_waitcnt lgkmcnt(0)
	v_fma_f64 v[11:12], v[31:32], v[33:34], v[11:12]
.LBB132_611:
	s_or_b64 exec, exec, s[16:17]
	v_xor_b32_e32 v12, 0x80000000, v12
.LBB132_612:
	s_or_b64 exec, exec, s[14:15]
	s_and_saveexec_b64 s[0:1], s[42:43]
	s_cbranch_execz .LBB132_614
; %bb.613:
	v_mov_b32_e32 v31, 0
	ds_read_b64 v[31:32], v31 offset:19760
	s_waitcnt lgkmcnt(0)
	v_mul_f64 v[11:12], v[11:12], v[31:32]
	ds_write_b64 v13, v[11:12]
.LBB132_614:
	s_or_b64 exec, exec, s[0:1]
	s_waitcnt lgkmcnt(0)
	s_barrier
	s_and_saveexec_b64 s[0:1], s[40:41]
	s_cbranch_execz .LBB132_616
; %bb.615:
	v_mov_b32_e32 v31, 0
	ds_read_b64 v[31:32], v31 offset:19768
	ds_read_b64 v[33:34], v13
	s_waitcnt lgkmcnt(0)
	v_fma_f64 v[11:12], v[31:32], v[33:34], v[11:12]
.LBB132_616:
	s_or_b64 exec, exec, s[0:1]
	s_barrier
	s_and_saveexec_b64 s[0:1], s[40:41]
	s_cbranch_execz .LBB132_618
; %bb.617:
	v_mov_b32_e32 v31, 0
	ds_read_b64 v[31:32], v31 offset:20280
	s_waitcnt lgkmcnt(0)
	v_mul_f64 v[11:12], v[11:12], v[31:32]
	ds_write_b64 v13, v[11:12]
.LBB132_618:
	s_or_b64 exec, exec, s[0:1]
	s_waitcnt lgkmcnt(0)
	s_barrier
	s_barrier
	s_and_saveexec_b64 s[0:1], s[2:3]
; %bb.619:
	v_xor_b32_e32 v12, 0x80000000, v12
	ds_write_b64 v1, v[11:12] offset:18736
; %bb.620:
	s_or_b64 exec, exec, s[0:1]
	s_waitcnt lgkmcnt(0)
	s_barrier
	s_barrier
	s_and_saveexec_b64 s[0:1], s[44:45]
	s_cbranch_execz .LBB132_622
; %bb.621:
	v_lshlrev_b32_e32 v31, 3, v0
	s_movk_i32 s12, 0x1f8
	v_mad_u32_u24 v32, v0, s12, v31
	ds_read_b64 v[11:12], v32 offset:18736
	s_waitcnt lgkmcnt(0)
	ds_write_b64 v31, v[11:12] offset:19744
	ds_read_b64 v[11:12], v32 offset:18744
	s_waitcnt lgkmcnt(0)
	ds_write_b64 v31, v[11:12] offset:20256
.LBB132_622:
	s_or_b64 exec, exec, s[0:1]
	s_waitcnt lgkmcnt(0)
	s_barrier
	s_and_saveexec_b64 s[12:13], vcc
	s_cbranch_execz .LBB132_624
; %bb.623:
	v_mov_b32_e32 v11, 0
	ds_read_b128 v[31:34], v11 offset:19760
	ds_read_b64 v[11:12], v11 offset:20280
	s_movk_i32 s0, 0x4800
	s_waitcnt lgkmcnt(0)
	v_mul_f64 v[11:12], v[31:32], v[11:12]
	v_add_u32_e64 v31, s0, 0
	v_mul_f64 v[11:12], v[33:34], v[11:12]
	ds_write2_b64 v31, v[11:12], v[11:12] offset0:167 offset1:230
.LBB132_624:
	s_or_b64 exec, exec, s[12:13]
	v_mov_b32_e32 v11, 0
	v_mov_b32_e32 v12, 0
	s_waitcnt lgkmcnt(0)
	s_barrier
	s_and_saveexec_b64 s[14:15], s[8:9]
	s_cbranch_execz .LBB132_634
; %bb.625:
	v_mul_u32_u24_e32 v31, 0x208, v25
	ds_read_b64 v[11:12], v21 offset:16704
	ds_read_b64 v[32:33], v31 offset:16640
	v_cmp_gt_u32_e64 s[12:13], 56, v14
	s_waitcnt lgkmcnt(0)
	v_fma_f64 v[11:12], v[11:12], v[32:33], 0
	s_and_saveexec_b64 s[16:17], s[12:13]
	s_cbranch_execnz .LBB132_1125
; %bb.626:
	s_or_b64 exec, exec, s[16:17]
	v_cmp_gt_u32_e64 s[12:13], 48, v14
	s_and_saveexec_b64 s[0:1], s[12:13]
	s_cbranch_execnz .LBB132_1126
.LBB132_627:
	s_or_b64 exec, exec, s[0:1]
	v_cmp_gt_u32_e64 s[12:13], 40, v14
	s_and_saveexec_b64 s[0:1], s[12:13]
	s_cbranch_execnz .LBB132_1127
.LBB132_628:
	s_or_b64 exec, exec, s[0:1]
	v_cmp_gt_u32_e64 s[12:13], 32, v14
	s_and_saveexec_b64 s[0:1], s[12:13]
	s_cbranch_execnz .LBB132_1128
.LBB132_629:
	s_or_b64 exec, exec, s[0:1]
	v_cmp_gt_u32_e64 s[12:13], 24, v14
	s_and_saveexec_b64 s[0:1], s[12:13]
	s_cbranch_execnz .LBB132_1129
.LBB132_630:
	s_or_b64 exec, exec, s[0:1]
	v_cmp_gt_u32_e64 s[12:13], 16, v14
	s_and_saveexec_b64 s[0:1], s[12:13]
	s_cbranch_execnz .LBB132_1130
.LBB132_631:
	s_or_b64 exec, exec, s[0:1]
	v_cmp_gt_u32_e64 s[12:13], 8, v14
	s_and_saveexec_b64 s[0:1], s[12:13]
	s_cbranch_execz .LBB132_633
.LBB132_632:
	v_lshlrev_b32_e32 v31, 3, v0
	v_mov_b32_e32 v33, 0
	ds_read_b64 v[31:32], v31 offset:20288
	ds_read_b64 v[33:34], v33 offset:16696
	s_waitcnt lgkmcnt(0)
	v_fma_f64 v[11:12], v[31:32], v[33:34], v[11:12]
.LBB132_633:
	s_or_b64 exec, exec, s[0:1]
	v_xor_b32_e32 v12, 0x80000000, v12
.LBB132_634:
	s_or_b64 exec, exec, s[14:15]
	s_and_saveexec_b64 s[0:1], s[60:61]
	s_cbranch_execz .LBB132_636
; %bb.635:
	v_mov_b32_e32 v31, 0
	ds_read_b64 v[31:32], v31 offset:20800
	s_waitcnt lgkmcnt(0)
	v_mul_f64 v[11:12], v[11:12], v[31:32]
	ds_write_b64 v23, v[11:12]
.LBB132_636:
	s_or_b64 exec, exec, s[0:1]
	s_waitcnt lgkmcnt(0)
	s_barrier
	s_and_saveexec_b64 s[0:1], s[62:63]
	s_cbranch_execz .LBB132_638
; %bb.637:
	ds_read_b64 v[31:32], v22 offset:20800
	ds_read_b64 v[33:34], v23
	s_waitcnt lgkmcnt(0)
	v_fma_f64 v[11:12], v[31:32], v[33:34], v[11:12]
.LBB132_638:
	s_or_b64 exec, exec, s[0:1]
	s_barrier
	s_and_saveexec_b64 s[0:1], s[64:65]
	s_cbranch_execz .LBB132_640
; %bb.639:
	v_mov_b32_e32 v31, 0
	ds_read_b64 v[31:32], v31 offset:21320
	s_waitcnt lgkmcnt(0)
	v_mul_f64 v[11:12], v[11:12], v[31:32]
	ds_write_b64 v23, v[11:12]
.LBB132_640:
	s_or_b64 exec, exec, s[0:1]
	s_waitcnt lgkmcnt(0)
	s_barrier
	s_and_saveexec_b64 s[0:1], s[66:67]
	s_cbranch_execz .LBB132_642
; %bb.641:
	ds_read_b64 v[31:32], v22 offset:21312
	ds_read_b64 v[33:34], v23
	s_waitcnt lgkmcnt(0)
	v_fma_f64 v[11:12], v[31:32], v[33:34], v[11:12]
.LBB132_642:
	s_or_b64 exec, exec, s[0:1]
	s_barrier
	;; [unrolled: 22-line block ×6, first 2 shown]
	s_and_saveexec_b64 s[0:1], s[86:87]
	s_cbranch_execz .LBB132_660
; %bb.659:
	v_mov_b32_e32 v31, 0
	ds_read_b64 v[31:32], v31 offset:23920
	s_waitcnt lgkmcnt(0)
	v_mul_f64 v[11:12], v[11:12], v[31:32]
	ds_write_b64 v23, v[11:12]
.LBB132_660:
	s_or_b64 exec, exec, s[0:1]
	s_waitcnt lgkmcnt(0)
	s_barrier
	s_and_saveexec_b64 s[0:1], s[70:71]
	s_cbranch_execz .LBB132_662
; %bb.661:
	v_mov_b32_e32 v31, 0
	ds_read_b64 v[31:32], v31 offset:23928
	ds_read_b64 v[33:34], v23
	s_waitcnt lgkmcnt(0)
	v_fma_f64 v[11:12], v[31:32], v[33:34], v[11:12]
.LBB132_662:
	s_or_b64 exec, exec, s[0:1]
	s_barrier
	s_and_saveexec_b64 s[0:1], s[70:71]
	s_cbranch_execz .LBB132_664
; %bb.663:
	v_mov_b32_e32 v31, 0
	ds_read_b64 v[31:32], v31 offset:24440
	s_waitcnt lgkmcnt(0)
	v_mul_f64 v[11:12], v[11:12], v[31:32]
	ds_write_b64 v23, v[11:12]
.LBB132_664:
	s_or_b64 exec, exec, s[0:1]
	s_waitcnt lgkmcnt(0)
	s_barrier
	s_barrier
	s_and_saveexec_b64 s[0:1], s[8:9]
; %bb.665:
	v_xor_b32_e32 v12, 0x80000000, v12
	ds_write_b64 v21, v[11:12] offset:16704
; %bb.666:
	s_or_b64 exec, exec, s[0:1]
	s_waitcnt lgkmcnt(0)
	s_barrier
	s_barrier
	s_and_saveexec_b64 s[12:13], s[88:89]
	s_cbranch_execz .LBB132_668
; %bb.667:
	v_lshlrev_b32_e32 v31, 9, v0
	ds_read_b64 v[11:12], v31 offset:16704
	s_movk_i32 s0, 0xfe08
	v_mad_i32_i24 v32, v0, s0, v31
	s_waitcnt lgkmcnt(0)
	ds_write_b64 v32, v[11:12] offset:20736
	ds_read_b64 v[11:12], v31 offset:16712
	s_waitcnt lgkmcnt(0)
	ds_write_b64 v32, v[11:12] offset:21248
	ds_read_b64 v[11:12], v31 offset:16720
	;; [unrolled: 3-line block ×7, first 2 shown]
	s_waitcnt lgkmcnt(0)
	ds_write_b64 v32, v[11:12] offset:24320
.LBB132_668:
	s_or_b64 exec, exec, s[12:13]
	s_waitcnt lgkmcnt(0)
	s_barrier
	s_and_saveexec_b64 s[12:13], vcc
	s_cbranch_execz .LBB132_670
; %bb.669:
	v_mov_b32_e32 v11, 0
	ds_read_b128 v[31:34], v11 offset:20800
	ds_read_b64 v[11:12], v11 offset:21320
	s_movk_i32 s0, 0x5000
	s_waitcnt lgkmcnt(0)
	v_mul_f64 v[11:12], v[31:32], v[11:12]
	v_add_u32_e64 v31, s0, 0
	v_mul_f64 v[11:12], v[33:34], v[11:12]
	ds_write2_b64 v31, v[11:12], v[11:12] offset0:41 offset1:104
.LBB132_670:
	s_or_b64 exec, exec, s[12:13]
	v_mov_b32_e32 v11, 0
	v_mov_b32_e32 v12, 0
	s_waitcnt lgkmcnt(0)
	s_barrier
	s_and_saveexec_b64 s[14:15], s[2:3]
	s_cbranch_execz .LBB132_674
; %bb.671:
	v_mul_u32_u24_e32 v31, 0x208, v15
	ds_read_b64 v[11:12], v1 offset:20816
	ds_read_b64 v[31:32], v31 offset:20800
	v_cmp_gt_u32_e64 s[12:13], 2, v14
	s_waitcnt lgkmcnt(0)
	v_fma_f64 v[11:12], v[11:12], v[31:32], 0
	s_and_saveexec_b64 s[16:17], s[12:13]
	s_cbranch_execz .LBB132_673
; %bb.672:
	v_lshlrev_b32_e32 v31, 3, v0
	v_mov_b32_e32 v33, 0
	ds_read_b64 v[31:32], v31 offset:21328
	ds_read_b64 v[33:34], v33 offset:20808
	s_waitcnt lgkmcnt(0)
	v_fma_f64 v[11:12], v[31:32], v[33:34], v[11:12]
.LBB132_673:
	s_or_b64 exec, exec, s[16:17]
	v_xor_b32_e32 v12, 0x80000000, v12
.LBB132_674:
	s_or_b64 exec, exec, s[14:15]
	s_and_saveexec_b64 s[0:1], s[42:43]
	s_cbranch_execz .LBB132_676
; %bb.675:
	v_mov_b32_e32 v31, 0
	ds_read_b64 v[31:32], v31 offset:21840
	s_waitcnt lgkmcnt(0)
	v_mul_f64 v[11:12], v[11:12], v[31:32]
	ds_write_b64 v13, v[11:12]
.LBB132_676:
	s_or_b64 exec, exec, s[0:1]
	s_waitcnt lgkmcnt(0)
	s_barrier
	s_and_saveexec_b64 s[0:1], s[40:41]
	s_cbranch_execz .LBB132_678
; %bb.677:
	v_mov_b32_e32 v31, 0
	ds_read_b64 v[31:32], v31 offset:21848
	ds_read_b64 v[33:34], v13
	s_waitcnt lgkmcnt(0)
	v_fma_f64 v[11:12], v[31:32], v[33:34], v[11:12]
.LBB132_678:
	s_or_b64 exec, exec, s[0:1]
	s_barrier
	s_and_saveexec_b64 s[0:1], s[40:41]
	s_cbranch_execz .LBB132_680
; %bb.679:
	v_mov_b32_e32 v31, 0
	ds_read_b64 v[31:32], v31 offset:22360
	s_waitcnt lgkmcnt(0)
	v_mul_f64 v[11:12], v[11:12], v[31:32]
	ds_write_b64 v13, v[11:12]
.LBB132_680:
	s_or_b64 exec, exec, s[0:1]
	s_waitcnt lgkmcnt(0)
	s_barrier
	s_barrier
	s_and_saveexec_b64 s[0:1], s[2:3]
; %bb.681:
	v_xor_b32_e32 v12, 0x80000000, v12
	ds_write_b64 v1, v[11:12] offset:20816
; %bb.682:
	s_or_b64 exec, exec, s[0:1]
	s_waitcnt lgkmcnt(0)
	s_barrier
	s_barrier
	s_and_saveexec_b64 s[0:1], s[44:45]
	s_cbranch_execz .LBB132_684
; %bb.683:
	v_lshlrev_b32_e32 v31, 3, v0
	s_movk_i32 s12, 0x1f8
	v_mad_u32_u24 v32, v0, s12, v31
	ds_read_b64 v[11:12], v32 offset:20816
	s_waitcnt lgkmcnt(0)
	ds_write_b64 v31, v[11:12] offset:21824
	ds_read_b64 v[11:12], v32 offset:20824
	s_waitcnt lgkmcnt(0)
	ds_write_b64 v31, v[11:12] offset:22336
.LBB132_684:
	s_or_b64 exec, exec, s[0:1]
	s_waitcnt lgkmcnt(0)
	s_barrier
	s_and_saveexec_b64 s[12:13], vcc
	s_cbranch_execz .LBB132_686
; %bb.685:
	v_mov_b32_e32 v11, 0
	ds_read_b128 v[31:34], v11 offset:21840
	ds_read_b64 v[11:12], v11 offset:22360
	s_movk_i32 s0, 0x5000
	s_waitcnt lgkmcnt(0)
	v_mul_f64 v[11:12], v[31:32], v[11:12]
	v_add_u32_e64 v31, s0, 0
	v_mul_f64 v[11:12], v[33:34], v[11:12]
	ds_write2_b64 v31, v[11:12], v[11:12] offset0:171 offset1:234
.LBB132_686:
	s_or_b64 exec, exec, s[12:13]
	v_mov_b32_e32 v11, 0
	v_mov_b32_e32 v12, 0
	s_waitcnt lgkmcnt(0)
	s_barrier
	s_and_saveexec_b64 s[14:15], s[18:19]
	s_cbranch_execz .LBB132_692
; %bb.687:
	v_mul_u32_u24_e32 v31, 0x208, v20
	ds_read_b64 v[11:12], v16 offset:20832
	ds_read_b64 v[32:33], v31 offset:20800
	v_cmp_gt_u32_e64 s[12:13], 12, v14
	s_waitcnt lgkmcnt(0)
	v_fma_f64 v[11:12], v[11:12], v[32:33], 0
	s_and_saveexec_b64 s[16:17], s[12:13]
	s_cbranch_execnz .LBB132_1131
; %bb.688:
	s_or_b64 exec, exec, s[16:17]
	v_cmp_gt_u32_e64 s[12:13], 8, v14
	s_and_saveexec_b64 s[0:1], s[12:13]
	s_cbranch_execnz .LBB132_1132
.LBB132_689:
	s_or_b64 exec, exec, s[0:1]
	v_cmp_gt_u32_e64 s[12:13], 4, v14
	s_and_saveexec_b64 s[0:1], s[12:13]
	s_cbranch_execz .LBB132_691
.LBB132_690:
	v_lshlrev_b32_e32 v31, 3, v0
	v_mov_b32_e32 v33, 0
	ds_read_b64 v[31:32], v31 offset:22368
	ds_read_b64 v[33:34], v33 offset:20824
	s_waitcnt lgkmcnt(0)
	v_fma_f64 v[11:12], v[31:32], v[33:34], v[11:12]
.LBB132_691:
	s_or_b64 exec, exec, s[0:1]
	v_xor_b32_e32 v12, 0x80000000, v12
.LBB132_692:
	s_or_b64 exec, exec, s[14:15]
	s_and_saveexec_b64 s[0:1], s[48:49]
	s_cbranch_execz .LBB132_694
; %bb.693:
	v_mov_b32_e32 v31, 0
	ds_read_b64 v[31:32], v31 offset:22880
	s_waitcnt lgkmcnt(0)
	v_mul_f64 v[11:12], v[11:12], v[31:32]
	ds_write_b64 v18, v[11:12]
.LBB132_694:
	s_or_b64 exec, exec, s[0:1]
	s_waitcnt lgkmcnt(0)
	s_barrier
	s_and_saveexec_b64 s[0:1], s[50:51]
	s_cbranch_execz .LBB132_696
; %bb.695:
	ds_read_b64 v[31:32], v17 offset:22880
	ds_read_b64 v[33:34], v18
	s_waitcnt lgkmcnt(0)
	v_fma_f64 v[11:12], v[31:32], v[33:34], v[11:12]
.LBB132_696:
	s_or_b64 exec, exec, s[0:1]
	s_barrier
	s_and_saveexec_b64 s[0:1], s[52:53]
	s_cbranch_execz .LBB132_698
; %bb.697:
	v_mov_b32_e32 v31, 0
	ds_read_b64 v[31:32], v31 offset:23400
	s_waitcnt lgkmcnt(0)
	v_mul_f64 v[11:12], v[11:12], v[31:32]
	ds_write_b64 v18, v[11:12]
.LBB132_698:
	s_or_b64 exec, exec, s[0:1]
	s_waitcnt lgkmcnt(0)
	s_barrier
	s_and_saveexec_b64 s[0:1], s[54:55]
	s_cbranch_execz .LBB132_700
; %bb.699:
	ds_read_b64 v[31:32], v17 offset:23392
	ds_read_b64 v[33:34], v18
	s_waitcnt lgkmcnt(0)
	v_fma_f64 v[11:12], v[31:32], v[33:34], v[11:12]
.LBB132_700:
	s_or_b64 exec, exec, s[0:1]
	s_barrier
	s_and_saveexec_b64 s[0:1], s[56:57]
	s_cbranch_execz .LBB132_702
; %bb.701:
	v_mov_b32_e32 v31, 0
	ds_read_b64 v[31:32], v31 offset:23920
	s_waitcnt lgkmcnt(0)
	v_mul_f64 v[11:12], v[11:12], v[31:32]
	ds_write_b64 v18, v[11:12]
.LBB132_702:
	s_or_b64 exec, exec, s[0:1]
	s_waitcnt lgkmcnt(0)
	s_barrier
	s_and_saveexec_b64 s[0:1], s[46:47]
	s_cbranch_execz .LBB132_704
; %bb.703:
	v_mov_b32_e32 v31, 0
	ds_read_b64 v[31:32], v31 offset:23928
	ds_read_b64 v[33:34], v18
	s_waitcnt lgkmcnt(0)
	v_fma_f64 v[11:12], v[31:32], v[33:34], v[11:12]
.LBB132_704:
	s_or_b64 exec, exec, s[0:1]
	s_barrier
	s_and_saveexec_b64 s[0:1], s[46:47]
	s_cbranch_execz .LBB132_706
; %bb.705:
	v_mov_b32_e32 v31, 0
	ds_read_b64 v[31:32], v31 offset:24440
	s_waitcnt lgkmcnt(0)
	v_mul_f64 v[11:12], v[11:12], v[31:32]
	ds_write_b64 v18, v[11:12]
.LBB132_706:
	s_or_b64 exec, exec, s[0:1]
	s_waitcnt lgkmcnt(0)
	s_barrier
	s_barrier
	s_and_saveexec_b64 s[0:1], s[18:19]
; %bb.707:
	v_xor_b32_e32 v12, 0x80000000, v12
	ds_write_b64 v16, v[11:12] offset:20832
; %bb.708:
	s_or_b64 exec, exec, s[0:1]
	s_waitcnt lgkmcnt(0)
	s_barrier
	s_barrier
	s_and_saveexec_b64 s[12:13], s[58:59]
	s_cbranch_execz .LBB132_710
; %bb.709:
	v_lshlrev_b32_e32 v31, 9, v0
	ds_read_b64 v[11:12], v31 offset:20832
	s_movk_i32 s0, 0xfe08
	v_mad_i32_i24 v32, v0, s0, v31
	s_waitcnt lgkmcnt(0)
	ds_write_b64 v32, v[11:12] offset:22848
	ds_read_b64 v[11:12], v31 offset:20840
	s_waitcnt lgkmcnt(0)
	ds_write_b64 v32, v[11:12] offset:23360
	ds_read_b64 v[11:12], v31 offset:20848
	;; [unrolled: 3-line block ×3, first 2 shown]
	s_waitcnt lgkmcnt(0)
	ds_write_b64 v32, v[11:12] offset:24384
.LBB132_710:
	s_or_b64 exec, exec, s[12:13]
	s_waitcnt lgkmcnt(0)
	s_barrier
	s_and_saveexec_b64 s[12:13], vcc
	s_cbranch_execz .LBB132_712
; %bb.711:
	v_mov_b32_e32 v11, 0
	ds_read_b128 v[31:34], v11 offset:22880
	ds_read_b64 v[11:12], v11 offset:23400
	s_movk_i32 s0, 0x5800
	s_waitcnt lgkmcnt(0)
	v_mul_f64 v[11:12], v[31:32], v[11:12]
	v_add_u32_e64 v31, s0, 0
	v_mul_f64 v[11:12], v[33:34], v[11:12]
	ds_write2_b64 v31, v[11:12], v[11:12] offset0:45 offset1:108
.LBB132_712:
	s_or_b64 exec, exec, s[12:13]
	v_mov_b32_e32 v11, 0
	v_mov_b32_e32 v12, 0
	s_waitcnt lgkmcnt(0)
	s_barrier
	s_and_saveexec_b64 s[14:15], s[2:3]
	s_cbranch_execz .LBB132_716
; %bb.713:
	v_mul_u32_u24_e32 v31, 0x208, v15
	ds_read_b64 v[11:12], v1 offset:22896
	ds_read_b64 v[31:32], v31 offset:22880
	v_cmp_gt_u32_e64 s[12:13], 2, v14
	s_waitcnt lgkmcnt(0)
	v_fma_f64 v[11:12], v[11:12], v[31:32], 0
	s_and_saveexec_b64 s[16:17], s[12:13]
	s_cbranch_execz .LBB132_715
; %bb.714:
	v_lshlrev_b32_e32 v31, 3, v0
	v_mov_b32_e32 v33, 0
	ds_read_b64 v[31:32], v31 offset:23408
	ds_read_b64 v[33:34], v33 offset:22888
	s_waitcnt lgkmcnt(0)
	v_fma_f64 v[11:12], v[31:32], v[33:34], v[11:12]
.LBB132_715:
	s_or_b64 exec, exec, s[16:17]
	v_xor_b32_e32 v12, 0x80000000, v12
.LBB132_716:
	s_or_b64 exec, exec, s[14:15]
	s_and_saveexec_b64 s[0:1], s[42:43]
	s_cbranch_execz .LBB132_718
; %bb.717:
	v_mov_b32_e32 v31, 0
	ds_read_b64 v[31:32], v31 offset:23920
	s_waitcnt lgkmcnt(0)
	v_mul_f64 v[11:12], v[11:12], v[31:32]
	ds_write_b64 v13, v[11:12]
.LBB132_718:
	s_or_b64 exec, exec, s[0:1]
	s_waitcnt lgkmcnt(0)
	s_barrier
	s_and_saveexec_b64 s[0:1], s[40:41]
	s_cbranch_execz .LBB132_720
; %bb.719:
	v_mov_b32_e32 v31, 0
	ds_read_b64 v[31:32], v31 offset:23928
	ds_read_b64 v[33:34], v13
	s_waitcnt lgkmcnt(0)
	v_fma_f64 v[11:12], v[31:32], v[33:34], v[11:12]
.LBB132_720:
	s_or_b64 exec, exec, s[0:1]
	s_barrier
	s_and_saveexec_b64 s[0:1], s[40:41]
	s_cbranch_execz .LBB132_722
; %bb.721:
	v_mov_b32_e32 v31, 0
	ds_read_b64 v[31:32], v31 offset:24440
	s_waitcnt lgkmcnt(0)
	v_mul_f64 v[11:12], v[11:12], v[31:32]
	ds_write_b64 v13, v[11:12]
.LBB132_722:
	s_or_b64 exec, exec, s[0:1]
	s_waitcnt lgkmcnt(0)
	s_barrier
	s_barrier
	s_and_saveexec_b64 s[0:1], s[2:3]
; %bb.723:
	v_xor_b32_e32 v12, 0x80000000, v12
	ds_write_b64 v1, v[11:12] offset:22896
; %bb.724:
	s_or_b64 exec, exec, s[0:1]
	s_waitcnt lgkmcnt(0)
	s_barrier
	s_barrier
	s_and_saveexec_b64 s[0:1], s[44:45]
	s_cbranch_execz .LBB132_726
; %bb.725:
	v_lshlrev_b32_e32 v31, 3, v0
	s_movk_i32 s12, 0x1f8
	v_mad_u32_u24 v32, v0, s12, v31
	ds_read_b64 v[11:12], v32 offset:22896
	s_waitcnt lgkmcnt(0)
	ds_write_b64 v31, v[11:12] offset:23904
	ds_read_b64 v[11:12], v32 offset:22904
	s_waitcnt lgkmcnt(0)
	ds_write_b64 v31, v[11:12] offset:24416
.LBB132_726:
	s_or_b64 exec, exec, s[0:1]
	s_waitcnt lgkmcnt(0)
	s_barrier
	s_and_saveexec_b64 s[12:13], vcc
	s_cbranch_execz .LBB132_728
; %bb.727:
	v_mov_b32_e32 v11, 0
	ds_read_b128 v[31:34], v11 offset:23920
	ds_read_b64 v[11:12], v11 offset:24440
	s_movk_i32 s0, 0x5800
	s_waitcnt lgkmcnt(0)
	v_mul_f64 v[11:12], v[31:32], v[11:12]
	v_add_u32_e64 v31, s0, 0
	v_mul_f64 v[11:12], v[33:34], v[11:12]
	ds_write2_b64 v31, v[11:12], v[11:12] offset0:175 offset1:238
.LBB132_728:
	s_or_b64 exec, exec, s[12:13]
	v_mov_b32_e32 v11, 0
	v_mov_b32_e32 v12, 0
	s_waitcnt lgkmcnt(0)
	s_barrier
	s_and_saveexec_b64 s[14:15], s[10:11]
	s_cbranch_execz .LBB132_756
; %bb.729:
	v_mul_u32_u24_e32 v31, 0x208, v30
	ds_read_b64 v[11:12], v26 offset:16768
	ds_read_b64 v[32:33], v31 offset:16640
	s_movk_i32 s0, 0xf0
	v_cmp_gt_u32_e64 s[12:13], s0, v14
	s_waitcnt lgkmcnt(0)
	v_fma_f64 v[11:12], v[11:12], v[32:33], 0
	s_and_saveexec_b64 s[16:17], s[12:13]
	s_cbranch_execz .LBB132_731
; %bb.730:
	v_lshlrev_b32_e32 v32, 3, v30
	v_sub_u32_e32 v32, v31, v32
	v_lshl_add_u32 v32, v27, 3, v32
	ds_read_b64 v[32:33], v32 offset:17280
	ds_read_b64 v[34:35], v31 offset:16648
	s_waitcnt lgkmcnt(0)
	v_fma_f64 v[11:12], v[32:33], v[34:35], v[11:12]
.LBB132_731:
	s_or_b64 exec, exec, s[16:17]
	s_movk_i32 s0, 0xe0
	v_cmp_gt_u32_e64 s[12:13], s0, v14
	s_and_saveexec_b64 s[0:1], s[12:13]
	s_cbranch_execz .LBB132_733
; %bb.732:
	v_lshlrev_b32_e32 v32, 3, v30
	v_sub_u32_e32 v32, v31, v32
	v_lshl_add_u32 v32, v27, 3, v32
	ds_read_b64 v[32:33], v32 offset:17792
	ds_read_b64 v[34:35], v31 offset:16656
	s_waitcnt lgkmcnt(0)
	v_fma_f64 v[11:12], v[32:33], v[34:35], v[11:12]
.LBB132_733:
	s_or_b64 exec, exec, s[0:1]
	s_movk_i32 s0, 0xd0
	v_cmp_gt_u32_e64 s[12:13], s0, v14
	;; [unrolled: 14-line block ×7, first 2 shown]
	s_and_saveexec_b64 s[0:1], s[12:13]
	s_cbranch_execz .LBB132_745
; %bb.744:
	ds_read_b64 v[32:33], v26 offset:20864
	ds_read_b64 v[34:35], v31 offset:16704
	s_waitcnt lgkmcnt(0)
	v_fma_f64 v[11:12], v[32:33], v[34:35], v[11:12]
.LBB132_745:
	s_or_b64 exec, exec, s[0:1]
	s_movk_i32 s0, 0x70
	v_cmp_gt_u32_e64 s[12:13], s0, v14
	s_and_saveexec_b64 s[0:1], s[12:13]
	s_cbranch_execz .LBB132_747
; %bb.746:
	v_lshlrev_b32_e32 v30, 3, v27
	v_lshl_add_u32 v30, v29, 3, v30
	ds_read_b64 v[32:33], v30 offset:21376
	ds_read_b64 v[34:35], v31 offset:16712
	s_waitcnt lgkmcnt(0)
	v_fma_f64 v[11:12], v[32:33], v[34:35], v[11:12]
.LBB132_747:
	s_or_b64 exec, exec, s[0:1]
	s_movk_i32 s0, 0x60
	v_cmp_gt_u32_e64 s[12:13], s0, v14
	s_and_saveexec_b64 s[0:1], s[12:13]
	s_cbranch_execz .LBB132_749
; %bb.748:
	v_lshlrev_b32_e32 v30, 3, v27
	v_lshl_add_u32 v30, v29, 3, v30
	ds_read_b64 v[32:33], v30 offset:21888
	ds_read_b64 v[34:35], v31 offset:16720
	s_waitcnt lgkmcnt(0)
	v_fma_f64 v[11:12], v[32:33], v[34:35], v[11:12]
.LBB132_749:
	s_or_b64 exec, exec, s[0:1]
	s_movk_i32 s0, 0x50
	v_cmp_gt_u32_e64 s[12:13], s0, v14
	s_and_saveexec_b64 s[0:1], s[12:13]
	s_cbranch_execnz .LBB132_1133
; %bb.750:
	s_or_b64 exec, exec, s[0:1]
	v_cmp_gt_u32_e64 s[12:13], 64, v14
	s_and_saveexec_b64 s[0:1], s[12:13]
	s_cbranch_execnz .LBB132_1134
.LBB132_751:
	s_or_b64 exec, exec, s[0:1]
	v_cmp_gt_u32_e64 s[12:13], 48, v14
	s_and_saveexec_b64 s[0:1], s[12:13]
	s_cbranch_execnz .LBB132_1135
.LBB132_752:
	s_or_b64 exec, exec, s[0:1]
	v_cmp_gt_u32_e64 s[12:13], 32, v14
	s_and_saveexec_b64 s[0:1], s[12:13]
	s_cbranch_execnz .LBB132_1136
.LBB132_753:
	s_or_b64 exec, exec, s[0:1]
	v_cmp_gt_u32_e64 s[12:13], 16, v14
	s_and_saveexec_b64 s[0:1], s[12:13]
	s_cbranch_execz .LBB132_755
.LBB132_754:
	v_lshlrev_b32_e32 v29, 3, v0
	v_mov_b32_e32 v31, 0
	ds_read_b64 v[29:30], v29 offset:24448
	ds_read_b64 v[31:32], v31 offset:16760
	s_waitcnt lgkmcnt(0)
	v_fma_f64 v[11:12], v[29:30], v[31:32], v[11:12]
.LBB132_755:
	s_or_b64 exec, exec, s[0:1]
	v_xor_b32_e32 v12, 0x80000000, v12
.LBB132_756:
	s_or_b64 exec, exec, s[14:15]
	s_mov_b64 s[0:1], exec
	v_readlane_b32 s12, v42, 7
	v_readlane_b32 s13, v42, 8
	s_and_b64 s[12:13], s[0:1], s[12:13]
	s_mov_b64 exec, s[12:13]
	s_cbranch_execz .LBB132_758
; %bb.757:
	v_mov_b32_e32 v29, 0
	ds_read_b64 v[29:30], v29 offset:24960
	s_waitcnt lgkmcnt(0)
	v_mul_f64 v[11:12], v[11:12], v[29:30]
	ds_write_b64 v28, v[11:12]
.LBB132_758:
	s_or_b64 exec, exec, s[0:1]
	s_waitcnt lgkmcnt(0)
	s_barrier
	s_mov_b64 s[0:1], exec
	v_readlane_b32 s12, v42, 9
	v_readlane_b32 s13, v42, 10
	s_and_b64 s[12:13], s[0:1], s[12:13]
	s_mov_b64 exec, s[12:13]
	s_cbranch_execz .LBB132_760
; %bb.759:
	v_lshlrev_b32_e32 v29, 3, v27
	ds_read_b64 v[29:30], v29 offset:24960
	ds_read_b64 v[31:32], v28
	s_waitcnt lgkmcnt(0)
	v_fma_f64 v[11:12], v[29:30], v[31:32], v[11:12]
.LBB132_760:
	s_or_b64 exec, exec, s[0:1]
	s_barrier
	s_mov_b64 s[0:1], exec
	v_readlane_b32 s12, v42, 11
	v_readlane_b32 s13, v42, 12
	s_and_b64 s[12:13], s[0:1], s[12:13]
	s_mov_b64 exec, s[12:13]
	s_cbranch_execz .LBB132_762
; %bb.761:
	v_mov_b32_e32 v29, 0
	ds_read_b64 v[29:30], v29 offset:25480
	s_waitcnt lgkmcnt(0)
	v_mul_f64 v[11:12], v[11:12], v[29:30]
	ds_write_b64 v28, v[11:12]
.LBB132_762:
	s_or_b64 exec, exec, s[0:1]
	s_waitcnt lgkmcnt(0)
	s_barrier
	s_mov_b64 s[0:1], exec
	v_readlane_b32 s12, v42, 13
	v_readlane_b32 s13, v42, 14
	s_and_b64 s[12:13], s[0:1], s[12:13]
	s_mov_b64 exec, s[12:13]
	s_cbranch_execz .LBB132_764
; %bb.763:
	v_lshlrev_b32_e32 v29, 3, v27
	ds_read_b64 v[29:30], v29 offset:25472
	ds_read_b64 v[31:32], v28
	s_waitcnt lgkmcnt(0)
	v_fma_f64 v[11:12], v[29:30], v[31:32], v[11:12]
.LBB132_764:
	s_or_b64 exec, exec, s[0:1]
	s_barrier
	;; [unrolled: 31-line block ×14, first 2 shown]
	s_mov_b64 s[0:1], exec
	v_readlane_b32 s12, v42, 63
	v_readlane_b32 s13, v41, 0
	s_and_b64 s[12:13], s[0:1], s[12:13]
	s_mov_b64 exec, s[12:13]
	s_cbranch_execz .LBB132_814
; %bb.813:
	v_mov_b32_e32 v27, 0
	ds_read_b64 v[29:30], v27 offset:32240
	s_waitcnt lgkmcnt(0)
	v_mul_f64 v[11:12], v[11:12], v[29:30]
	ds_write_b64 v28, v[11:12]
.LBB132_814:
	s_or_b64 exec, exec, s[0:1]
	s_waitcnt lgkmcnt(0)
	s_barrier
	s_and_saveexec_b64 s[0:1], s[36:37]
	s_cbranch_execz .LBB132_816
; %bb.815:
	v_mov_b32_e32 v27, 0
	ds_read_b64 v[29:30], v27 offset:32248
	ds_read_b64 v[31:32], v28
	s_waitcnt lgkmcnt(0)
	v_fma_f64 v[11:12], v[29:30], v[31:32], v[11:12]
.LBB132_816:
	s_or_b64 exec, exec, s[0:1]
	s_barrier
	s_and_saveexec_b64 s[0:1], s[36:37]
	s_cbranch_execz .LBB132_818
; %bb.817:
	v_mov_b32_e32 v27, 0
	ds_read_b64 v[29:30], v27 offset:32760
	s_waitcnt lgkmcnt(0)
	v_mul_f64 v[11:12], v[11:12], v[29:30]
	ds_write_b64 v28, v[11:12]
.LBB132_818:
	s_or_b64 exec, exec, s[0:1]
	s_waitcnt lgkmcnt(0)
	s_barrier
	s_barrier
	s_and_saveexec_b64 s[0:1], s[10:11]
; %bb.819:
	v_xor_b32_e32 v12, 0x80000000, v12
	ds_write_b64 v26, v[11:12] offset:16768
; %bb.820:
	s_or_b64 exec, exec, s[0:1]
	s_waitcnt lgkmcnt(0)
	s_barrier
	s_barrier
	s_and_saveexec_b64 s[0:1], s[92:93]
	s_cbranch_execz .LBB132_822
; %bb.821:
	v_lshlrev_b32_e32 v26, 9, v0
	ds_read_b64 v[11:12], v26 offset:16768
	s_movk_i32 s10, 0xfe08
	v_mad_i32_i24 v27, v0, s10, v26
	s_waitcnt lgkmcnt(0)
	ds_write_b64 v27, v[11:12] offset:24832
	ds_read_b64 v[11:12], v26 offset:16776
	s_waitcnt lgkmcnt(0)
	ds_write_b64 v27, v[11:12] offset:25344
	ds_read_b64 v[11:12], v26 offset:16784
	;; [unrolled: 3-line block ×15, first 2 shown]
	s_waitcnt lgkmcnt(0)
	ds_write_b64 v27, v[11:12] offset:32512
.LBB132_822:
	s_or_b64 exec, exec, s[0:1]
	s_waitcnt lgkmcnt(0)
	s_barrier
	s_and_saveexec_b64 s[0:1], vcc
	s_cbranch_execz .LBB132_824
; %bb.823:
	v_mov_b32_e32 v11, 0
	ds_read_b128 v[26:29], v11 offset:24960
	ds_read_b64 v[11:12], v11 offset:25480
	s_movk_i32 s10, 0x6000
	s_waitcnt lgkmcnt(0)
	v_mul_f64 v[11:12], v[26:27], v[11:12]
	v_add_u32_e64 v26, s10, 0
	v_mul_f64 v[11:12], v[28:29], v[11:12]
	ds_write2_b64 v26, v[11:12], v[11:12] offset0:49 offset1:112
.LBB132_824:
	s_or_b64 exec, exec, s[0:1]
	v_mov_b32_e32 v11, 0
	v_mov_b32_e32 v12, 0
	s_waitcnt lgkmcnt(0)
	s_barrier
	s_and_saveexec_b64 s[0:1], s[2:3]
	s_cbranch_execz .LBB132_828
; %bb.825:
	v_mul_u32_u24_e32 v26, 0x208, v15
	ds_read_b64 v[11:12], v1 offset:24976
	ds_read_b64 v[26:27], v26 offset:24960
	v_cmp_gt_u32_e64 s[10:11], 2, v14
	s_waitcnt lgkmcnt(0)
	v_fma_f64 v[11:12], v[11:12], v[26:27], 0
	s_and_saveexec_b64 s[12:13], s[10:11]
	s_cbranch_execz .LBB132_827
; %bb.826:
	v_lshlrev_b32_e32 v26, 3, v0
	v_mov_b32_e32 v28, 0
	ds_read_b64 v[26:27], v26 offset:25488
	ds_read_b64 v[28:29], v28 offset:24968
	s_waitcnt lgkmcnt(0)
	v_fma_f64 v[11:12], v[26:27], v[28:29], v[11:12]
.LBB132_827:
	s_or_b64 exec, exec, s[12:13]
	v_xor_b32_e32 v12, 0x80000000, v12
.LBB132_828:
	s_or_b64 exec, exec, s[0:1]
	s_and_saveexec_b64 s[0:1], s[42:43]
	s_cbranch_execz .LBB132_830
; %bb.829:
	v_mov_b32_e32 v26, 0
	ds_read_b64 v[26:27], v26 offset:26000
	s_waitcnt lgkmcnt(0)
	v_mul_f64 v[11:12], v[11:12], v[26:27]
	ds_write_b64 v13, v[11:12]
.LBB132_830:
	s_or_b64 exec, exec, s[0:1]
	s_waitcnt lgkmcnt(0)
	s_barrier
	s_and_saveexec_b64 s[0:1], s[40:41]
	s_cbranch_execz .LBB132_832
; %bb.831:
	v_mov_b32_e32 v26, 0
	ds_read_b64 v[26:27], v26 offset:26008
	ds_read_b64 v[28:29], v13
	s_waitcnt lgkmcnt(0)
	v_fma_f64 v[11:12], v[26:27], v[28:29], v[11:12]
.LBB132_832:
	s_or_b64 exec, exec, s[0:1]
	s_barrier
	s_and_saveexec_b64 s[0:1], s[40:41]
	s_cbranch_execz .LBB132_834
; %bb.833:
	v_mov_b32_e32 v26, 0
	ds_read_b64 v[26:27], v26 offset:26520
	s_waitcnt lgkmcnt(0)
	v_mul_f64 v[11:12], v[11:12], v[26:27]
	ds_write_b64 v13, v[11:12]
.LBB132_834:
	s_or_b64 exec, exec, s[0:1]
	s_waitcnt lgkmcnt(0)
	s_barrier
	s_barrier
	s_and_saveexec_b64 s[0:1], s[2:3]
; %bb.835:
	v_xor_b32_e32 v12, 0x80000000, v12
	ds_write_b64 v1, v[11:12] offset:24976
; %bb.836:
	s_or_b64 exec, exec, s[0:1]
	s_waitcnt lgkmcnt(0)
	s_barrier
	s_barrier
	s_and_saveexec_b64 s[0:1], s[44:45]
	s_cbranch_execz .LBB132_838
; %bb.837:
	v_lshlrev_b32_e32 v26, 3, v0
	s_movk_i32 s10, 0x1f8
	v_mad_u32_u24 v27, v0, s10, v26
	ds_read_b64 v[11:12], v27 offset:24976
	s_waitcnt lgkmcnt(0)
	ds_write_b64 v26, v[11:12] offset:25984
	ds_read_b64 v[11:12], v27 offset:24984
	s_waitcnt lgkmcnt(0)
	ds_write_b64 v26, v[11:12] offset:26496
.LBB132_838:
	s_or_b64 exec, exec, s[0:1]
	s_waitcnt lgkmcnt(0)
	s_barrier
	s_and_saveexec_b64 s[0:1], vcc
	s_cbranch_execz .LBB132_840
; %bb.839:
	v_mov_b32_e32 v11, 0
	ds_read_b128 v[26:29], v11 offset:26000
	ds_read_b64 v[11:12], v11 offset:26520
	s_movk_i32 s10, 0x6000
	s_waitcnt lgkmcnt(0)
	v_mul_f64 v[11:12], v[26:27], v[11:12]
	v_add_u32_e64 v26, s10, 0
	v_mul_f64 v[11:12], v[28:29], v[11:12]
	ds_write2_b64 v26, v[11:12], v[11:12] offset0:179 offset1:242
.LBB132_840:
	s_or_b64 exec, exec, s[0:1]
	v_mov_b32_e32 v11, 0
	v_mov_b32_e32 v12, 0
	s_waitcnt lgkmcnt(0)
	s_barrier
	s_and_saveexec_b64 s[0:1], s[18:19]
	s_cbranch_execz .LBB132_846
; %bb.841:
	v_mul_u32_u24_e32 v26, 0x208, v20
	ds_read_b64 v[11:12], v16 offset:24992
	ds_read_b64 v[27:28], v26 offset:24960
	v_cmp_gt_u32_e64 s[10:11], 12, v14
	s_waitcnt lgkmcnt(0)
	v_fma_f64 v[11:12], v[11:12], v[27:28], 0
	s_and_saveexec_b64 s[12:13], s[10:11]
	s_cbranch_execnz .LBB132_1137
; %bb.842:
	s_or_b64 exec, exec, s[12:13]
	v_cmp_gt_u32_e64 s[10:11], 8, v14
	s_and_saveexec_b64 s[12:13], s[10:11]
	s_cbranch_execnz .LBB132_1138
.LBB132_843:
	s_or_b64 exec, exec, s[12:13]
	v_cmp_gt_u32_e64 s[10:11], 4, v14
	s_and_saveexec_b64 s[12:13], s[10:11]
	s_cbranch_execz .LBB132_845
.LBB132_844:
	v_lshlrev_b32_e32 v26, 3, v0
	v_mov_b32_e32 v28, 0
	ds_read_b64 v[26:27], v26 offset:26528
	ds_read_b64 v[28:29], v28 offset:24984
	s_waitcnt lgkmcnt(0)
	v_fma_f64 v[11:12], v[26:27], v[28:29], v[11:12]
.LBB132_845:
	s_or_b64 exec, exec, s[12:13]
	v_xor_b32_e32 v12, 0x80000000, v12
.LBB132_846:
	s_or_b64 exec, exec, s[0:1]
	s_and_saveexec_b64 s[0:1], s[48:49]
	s_cbranch_execz .LBB132_848
; %bb.847:
	v_mov_b32_e32 v26, 0
	ds_read_b64 v[26:27], v26 offset:27040
	s_waitcnt lgkmcnt(0)
	v_mul_f64 v[11:12], v[11:12], v[26:27]
	ds_write_b64 v18, v[11:12]
.LBB132_848:
	s_or_b64 exec, exec, s[0:1]
	s_waitcnt lgkmcnt(0)
	s_barrier
	s_and_saveexec_b64 s[0:1], s[50:51]
	s_cbranch_execz .LBB132_850
; %bb.849:
	ds_read_b64 v[26:27], v17 offset:27040
	ds_read_b64 v[28:29], v18
	s_waitcnt lgkmcnt(0)
	v_fma_f64 v[11:12], v[26:27], v[28:29], v[11:12]
.LBB132_850:
	s_or_b64 exec, exec, s[0:1]
	s_barrier
	s_and_saveexec_b64 s[0:1], s[52:53]
	s_cbranch_execz .LBB132_852
; %bb.851:
	v_mov_b32_e32 v26, 0
	ds_read_b64 v[26:27], v26 offset:27560
	s_waitcnt lgkmcnt(0)
	v_mul_f64 v[11:12], v[11:12], v[26:27]
	ds_write_b64 v18, v[11:12]
.LBB132_852:
	s_or_b64 exec, exec, s[0:1]
	s_waitcnt lgkmcnt(0)
	s_barrier
	s_and_saveexec_b64 s[0:1], s[54:55]
	s_cbranch_execz .LBB132_854
; %bb.853:
	ds_read_b64 v[26:27], v17 offset:27552
	ds_read_b64 v[28:29], v18
	s_waitcnt lgkmcnt(0)
	v_fma_f64 v[11:12], v[26:27], v[28:29], v[11:12]
.LBB132_854:
	s_or_b64 exec, exec, s[0:1]
	s_barrier
	s_and_saveexec_b64 s[0:1], s[56:57]
	s_cbranch_execz .LBB132_856
; %bb.855:
	v_mov_b32_e32 v26, 0
	ds_read_b64 v[26:27], v26 offset:28080
	s_waitcnt lgkmcnt(0)
	v_mul_f64 v[11:12], v[11:12], v[26:27]
	ds_write_b64 v18, v[11:12]
.LBB132_856:
	s_or_b64 exec, exec, s[0:1]
	s_waitcnt lgkmcnt(0)
	s_barrier
	s_and_saveexec_b64 s[0:1], s[46:47]
	s_cbranch_execz .LBB132_858
; %bb.857:
	v_mov_b32_e32 v26, 0
	ds_read_b64 v[26:27], v26 offset:28088
	ds_read_b64 v[28:29], v18
	s_waitcnt lgkmcnt(0)
	v_fma_f64 v[11:12], v[26:27], v[28:29], v[11:12]
.LBB132_858:
	s_or_b64 exec, exec, s[0:1]
	s_barrier
	s_and_saveexec_b64 s[0:1], s[46:47]
	s_cbranch_execz .LBB132_860
; %bb.859:
	v_mov_b32_e32 v26, 0
	ds_read_b64 v[26:27], v26 offset:28600
	s_waitcnt lgkmcnt(0)
	v_mul_f64 v[11:12], v[11:12], v[26:27]
	ds_write_b64 v18, v[11:12]
.LBB132_860:
	s_or_b64 exec, exec, s[0:1]
	s_waitcnt lgkmcnt(0)
	s_barrier
	s_barrier
	s_and_saveexec_b64 s[0:1], s[18:19]
; %bb.861:
	v_xor_b32_e32 v12, 0x80000000, v12
	ds_write_b64 v16, v[11:12] offset:24992
; %bb.862:
	s_or_b64 exec, exec, s[0:1]
	s_waitcnt lgkmcnt(0)
	s_barrier
	s_barrier
	s_and_saveexec_b64 s[0:1], s[58:59]
	s_cbranch_execz .LBB132_864
; %bb.863:
	v_lshlrev_b32_e32 v26, 9, v0
	ds_read_b64 v[11:12], v26 offset:24992
	s_movk_i32 s10, 0xfe08
	v_mad_i32_i24 v27, v0, s10, v26
	s_waitcnt lgkmcnt(0)
	ds_write_b64 v27, v[11:12] offset:27008
	ds_read_b64 v[11:12], v26 offset:25000
	s_waitcnt lgkmcnt(0)
	ds_write_b64 v27, v[11:12] offset:27520
	ds_read_b64 v[11:12], v26 offset:25008
	;; [unrolled: 3-line block ×3, first 2 shown]
	s_waitcnt lgkmcnt(0)
	ds_write_b64 v27, v[11:12] offset:28544
.LBB132_864:
	s_or_b64 exec, exec, s[0:1]
	s_waitcnt lgkmcnt(0)
	s_barrier
	s_and_saveexec_b64 s[0:1], vcc
	s_cbranch_execz .LBB132_866
; %bb.865:
	v_mov_b32_e32 v11, 0
	ds_read_b128 v[26:29], v11 offset:27040
	ds_read_b64 v[11:12], v11 offset:27560
	s_movk_i32 s10, 0x6800
	s_waitcnt lgkmcnt(0)
	v_mul_f64 v[11:12], v[26:27], v[11:12]
	v_add_u32_e64 v26, s10, 0
	v_mul_f64 v[11:12], v[28:29], v[11:12]
	ds_write2_b64 v26, v[11:12], v[11:12] offset0:53 offset1:116
.LBB132_866:
	s_or_b64 exec, exec, s[0:1]
	v_mov_b32_e32 v11, 0
	v_mov_b32_e32 v12, 0
	s_waitcnt lgkmcnt(0)
	s_barrier
	s_and_saveexec_b64 s[0:1], s[2:3]
	s_cbranch_execz .LBB132_870
; %bb.867:
	v_mul_u32_u24_e32 v26, 0x208, v15
	ds_read_b64 v[11:12], v1 offset:27056
	ds_read_b64 v[26:27], v26 offset:27040
	v_cmp_gt_u32_e64 s[10:11], 2, v14
	s_waitcnt lgkmcnt(0)
	v_fma_f64 v[11:12], v[11:12], v[26:27], 0
	s_and_saveexec_b64 s[12:13], s[10:11]
	s_cbranch_execz .LBB132_869
; %bb.868:
	v_lshlrev_b32_e32 v26, 3, v0
	v_mov_b32_e32 v28, 0
	ds_read_b64 v[26:27], v26 offset:27568
	ds_read_b64 v[28:29], v28 offset:27048
	s_waitcnt lgkmcnt(0)
	v_fma_f64 v[11:12], v[26:27], v[28:29], v[11:12]
.LBB132_869:
	s_or_b64 exec, exec, s[12:13]
	v_xor_b32_e32 v12, 0x80000000, v12
.LBB132_870:
	s_or_b64 exec, exec, s[0:1]
	s_and_saveexec_b64 s[0:1], s[42:43]
	s_cbranch_execz .LBB132_872
; %bb.871:
	v_mov_b32_e32 v26, 0
	ds_read_b64 v[26:27], v26 offset:28080
	s_waitcnt lgkmcnt(0)
	v_mul_f64 v[11:12], v[11:12], v[26:27]
	ds_write_b64 v13, v[11:12]
.LBB132_872:
	s_or_b64 exec, exec, s[0:1]
	s_waitcnt lgkmcnt(0)
	s_barrier
	s_and_saveexec_b64 s[0:1], s[40:41]
	s_cbranch_execz .LBB132_874
; %bb.873:
	v_mov_b32_e32 v26, 0
	ds_read_b64 v[26:27], v26 offset:28088
	ds_read_b64 v[28:29], v13
	s_waitcnt lgkmcnt(0)
	v_fma_f64 v[11:12], v[26:27], v[28:29], v[11:12]
.LBB132_874:
	s_or_b64 exec, exec, s[0:1]
	s_barrier
	s_and_saveexec_b64 s[0:1], s[40:41]
	s_cbranch_execz .LBB132_876
; %bb.875:
	v_mov_b32_e32 v26, 0
	ds_read_b64 v[26:27], v26 offset:28600
	s_waitcnt lgkmcnt(0)
	v_mul_f64 v[11:12], v[11:12], v[26:27]
	ds_write_b64 v13, v[11:12]
.LBB132_876:
	s_or_b64 exec, exec, s[0:1]
	s_waitcnt lgkmcnt(0)
	s_barrier
	s_barrier
	s_and_saveexec_b64 s[0:1], s[2:3]
; %bb.877:
	v_xor_b32_e32 v12, 0x80000000, v12
	ds_write_b64 v1, v[11:12] offset:27056
; %bb.878:
	s_or_b64 exec, exec, s[0:1]
	s_waitcnt lgkmcnt(0)
	s_barrier
	s_barrier
	s_and_saveexec_b64 s[0:1], s[44:45]
	s_cbranch_execz .LBB132_880
; %bb.879:
	v_lshlrev_b32_e32 v26, 3, v0
	s_movk_i32 s10, 0x1f8
	v_mad_u32_u24 v27, v0, s10, v26
	ds_read_b64 v[11:12], v27 offset:27056
	s_waitcnt lgkmcnt(0)
	ds_write_b64 v26, v[11:12] offset:28064
	ds_read_b64 v[11:12], v27 offset:27064
	s_waitcnt lgkmcnt(0)
	ds_write_b64 v26, v[11:12] offset:28576
.LBB132_880:
	s_or_b64 exec, exec, s[0:1]
	s_waitcnt lgkmcnt(0)
	s_barrier
	s_and_saveexec_b64 s[0:1], vcc
	s_cbranch_execz .LBB132_882
; %bb.881:
	v_mov_b32_e32 v11, 0
	ds_read_b128 v[26:29], v11 offset:28080
	ds_read_b64 v[11:12], v11 offset:28600
	s_movk_i32 s10, 0x6800
	s_waitcnt lgkmcnt(0)
	v_mul_f64 v[11:12], v[26:27], v[11:12]
	v_add_u32_e64 v26, s10, 0
	v_mul_f64 v[11:12], v[28:29], v[11:12]
	ds_write2_b64 v26, v[11:12], v[11:12] offset0:183 offset1:246
.LBB132_882:
	s_or_b64 exec, exec, s[0:1]
	v_mov_b32_e32 v11, 0
	v_mov_b32_e32 v12, 0
	s_waitcnt lgkmcnt(0)
	s_barrier
	s_and_saveexec_b64 s[0:1], s[8:9]
	s_cbranch_execz .LBB132_892
; %bb.883:
	v_mul_u32_u24_e32 v26, 0x208, v25
	ds_read_b64 v[11:12], v21 offset:25024
	ds_read_b64 v[27:28], v26 offset:24960
	v_cmp_gt_u32_e64 s[10:11], 56, v14
	s_waitcnt lgkmcnt(0)
	v_fma_f64 v[11:12], v[11:12], v[27:28], 0
	s_and_saveexec_b64 s[12:13], s[10:11]
	s_cbranch_execnz .LBB132_1139
; %bb.884:
	s_or_b64 exec, exec, s[12:13]
	v_cmp_gt_u32_e64 s[10:11], 48, v14
	s_and_saveexec_b64 s[12:13], s[10:11]
	s_cbranch_execnz .LBB132_1140
.LBB132_885:
	s_or_b64 exec, exec, s[12:13]
	v_cmp_gt_u32_e64 s[10:11], 40, v14
	s_and_saveexec_b64 s[12:13], s[10:11]
	s_cbranch_execnz .LBB132_1141
.LBB132_886:
	s_or_b64 exec, exec, s[12:13]
	v_cmp_gt_u32_e64 s[10:11], 32, v14
	s_and_saveexec_b64 s[12:13], s[10:11]
	s_cbranch_execnz .LBB132_1142
.LBB132_887:
	s_or_b64 exec, exec, s[12:13]
	v_cmp_gt_u32_e64 s[10:11], 24, v14
	s_and_saveexec_b64 s[12:13], s[10:11]
	s_cbranch_execnz .LBB132_1143
.LBB132_888:
	s_or_b64 exec, exec, s[12:13]
	v_cmp_gt_u32_e64 s[10:11], 16, v14
	s_and_saveexec_b64 s[12:13], s[10:11]
	s_cbranch_execnz .LBB132_1144
.LBB132_889:
	s_or_b64 exec, exec, s[12:13]
	v_cmp_gt_u32_e64 s[10:11], 8, v14
	s_and_saveexec_b64 s[12:13], s[10:11]
	s_cbranch_execz .LBB132_891
.LBB132_890:
	v_lshlrev_b32_e32 v24, 3, v0
	v_mov_b32_e32 v26, 0
	ds_read_b64 v[24:25], v24 offset:28608
	ds_read_b64 v[26:27], v26 offset:25016
	s_waitcnt lgkmcnt(0)
	v_fma_f64 v[11:12], v[24:25], v[26:27], v[11:12]
.LBB132_891:
	s_or_b64 exec, exec, s[12:13]
	v_xor_b32_e32 v12, 0x80000000, v12
.LBB132_892:
	s_or_b64 exec, exec, s[0:1]
	s_and_saveexec_b64 s[0:1], s[60:61]
	s_cbranch_execz .LBB132_894
; %bb.893:
	v_mov_b32_e32 v24, 0
	ds_read_b64 v[24:25], v24 offset:29120
	s_waitcnt lgkmcnt(0)
	v_mul_f64 v[11:12], v[11:12], v[24:25]
	ds_write_b64 v23, v[11:12]
.LBB132_894:
	s_or_b64 exec, exec, s[0:1]
	s_waitcnt lgkmcnt(0)
	s_barrier
	s_and_saveexec_b64 s[0:1], s[62:63]
	v_readlane_b32 s60, v42, 5
	v_readlane_b32 s61, v42, 6
	s_cbranch_execz .LBB132_896
; %bb.895:
	ds_read_b64 v[24:25], v22 offset:29120
	ds_read_b64 v[26:27], v23
	s_waitcnt lgkmcnt(0)
	v_fma_f64 v[11:12], v[24:25], v[26:27], v[11:12]
.LBB132_896:
	s_or_b64 exec, exec, s[0:1]
	s_barrier
	s_and_saveexec_b64 s[0:1], s[64:65]
	s_cbranch_execz .LBB132_898
; %bb.897:
	v_mov_b32_e32 v24, 0
	ds_read_b64 v[24:25], v24 offset:29640
	s_waitcnt lgkmcnt(0)
	v_mul_f64 v[11:12], v[11:12], v[24:25]
	ds_write_b64 v23, v[11:12]
.LBB132_898:
	s_or_b64 exec, exec, s[0:1]
	s_waitcnt lgkmcnt(0)
	s_barrier
	s_and_saveexec_b64 s[0:1], s[66:67]
	s_cbranch_execz .LBB132_900
; %bb.899:
	ds_read_b64 v[24:25], v22 offset:29632
	ds_read_b64 v[26:27], v23
	s_waitcnt lgkmcnt(0)
	v_fma_f64 v[11:12], v[24:25], v[26:27], v[11:12]
.LBB132_900:
	s_or_b64 exec, exec, s[0:1]
	s_barrier
	s_and_saveexec_b64 s[0:1], s[68:69]
	s_cbranch_execz .LBB132_902
; %bb.901:
	v_mov_b32_e32 v24, 0
	ds_read_b64 v[24:25], v24 offset:30160
	s_waitcnt lgkmcnt(0)
	v_mul_f64 v[11:12], v[11:12], v[24:25]
	ds_write_b64 v23, v[11:12]
.LBB132_902:
	s_or_b64 exec, exec, s[0:1]
	s_waitcnt lgkmcnt(0)
	s_barrier
	s_and_saveexec_b64 s[0:1], s[72:73]
	;; [unrolled: 22-line block ×6, first 2 shown]
	s_cbranch_execz .LBB132_920
; %bb.919:
	v_mov_b32_e32 v22, 0
	ds_read_b64 v[24:25], v22 offset:32248
	ds_read_b64 v[26:27], v23
	s_waitcnt lgkmcnt(0)
	v_fma_f64 v[11:12], v[24:25], v[26:27], v[11:12]
.LBB132_920:
	s_or_b64 exec, exec, s[0:1]
	s_barrier
	s_and_saveexec_b64 s[0:1], s[70:71]
	s_cbranch_execz .LBB132_922
; %bb.921:
	v_mov_b32_e32 v22, 0
	ds_read_b64 v[24:25], v22 offset:32760
	s_waitcnt lgkmcnt(0)
	v_mul_f64 v[11:12], v[11:12], v[24:25]
	ds_write_b64 v23, v[11:12]
.LBB132_922:
	s_or_b64 exec, exec, s[0:1]
	s_waitcnt lgkmcnt(0)
	s_barrier
	s_barrier
	s_and_saveexec_b64 s[0:1], s[8:9]
; %bb.923:
	v_xor_b32_e32 v12, 0x80000000, v12
	ds_write_b64 v21, v[11:12] offset:25024
; %bb.924:
	s_or_b64 exec, exec, s[0:1]
	s_waitcnt lgkmcnt(0)
	s_barrier
	s_barrier
	s_and_saveexec_b64 s[0:1], s[88:89]
	s_cbranch_execz .LBB132_926
; %bb.925:
	v_lshlrev_b32_e32 v21, 9, v0
	ds_read_b64 v[11:12], v21 offset:25024
	s_movk_i32 s8, 0xfe08
	v_mad_i32_i24 v22, v0, s8, v21
	s_waitcnt lgkmcnt(0)
	ds_write_b64 v22, v[11:12] offset:29056
	ds_read_b64 v[11:12], v21 offset:25032
	s_waitcnt lgkmcnt(0)
	ds_write_b64 v22, v[11:12] offset:29568
	ds_read_b64 v[11:12], v21 offset:25040
	;; [unrolled: 3-line block ×7, first 2 shown]
	s_waitcnt lgkmcnt(0)
	ds_write_b64 v22, v[11:12] offset:32640
.LBB132_926:
	s_or_b64 exec, exec, s[0:1]
	s_waitcnt lgkmcnt(0)
	s_barrier
	s_and_saveexec_b64 s[0:1], vcc
	s_cbranch_execz .LBB132_928
; %bb.927:
	v_mov_b32_e32 v11, 0
	ds_read_b128 v[21:24], v11 offset:29120
	ds_read_b64 v[11:12], v11 offset:29640
	s_movk_i32 s8, 0x7000
	s_waitcnt lgkmcnt(0)
	v_mul_f64 v[11:12], v[21:22], v[11:12]
	v_add_u32_e64 v21, s8, 0
	v_mul_f64 v[11:12], v[23:24], v[11:12]
	ds_write2_b64 v21, v[11:12], v[11:12] offset0:57 offset1:120
.LBB132_928:
	s_or_b64 exec, exec, s[0:1]
	v_mov_b32_e32 v11, 0
	v_mov_b32_e32 v12, 0
	s_waitcnt lgkmcnt(0)
	s_barrier
	s_and_saveexec_b64 s[0:1], s[2:3]
	s_cbranch_execz .LBB132_932
; %bb.929:
	v_mul_u32_u24_e32 v21, 0x208, v15
	ds_read_b64 v[11:12], v1 offset:29136
	ds_read_b64 v[21:22], v21 offset:29120
	v_cmp_gt_u32_e64 s[8:9], 2, v14
	s_waitcnt lgkmcnt(0)
	v_fma_f64 v[11:12], v[11:12], v[21:22], 0
	s_and_saveexec_b64 s[10:11], s[8:9]
	s_cbranch_execz .LBB132_931
; %bb.930:
	v_lshlrev_b32_e32 v21, 3, v0
	v_mov_b32_e32 v23, 0
	ds_read_b64 v[21:22], v21 offset:29648
	ds_read_b64 v[23:24], v23 offset:29128
	s_waitcnt lgkmcnt(0)
	v_fma_f64 v[11:12], v[21:22], v[23:24], v[11:12]
.LBB132_931:
	s_or_b64 exec, exec, s[10:11]
	v_xor_b32_e32 v12, 0x80000000, v12
.LBB132_932:
	s_or_b64 exec, exec, s[0:1]
	s_and_saveexec_b64 s[0:1], s[42:43]
	s_cbranch_execz .LBB132_934
; %bb.933:
	v_mov_b32_e32 v21, 0
	ds_read_b64 v[21:22], v21 offset:30160
	s_waitcnt lgkmcnt(0)
	v_mul_f64 v[11:12], v[11:12], v[21:22]
	ds_write_b64 v13, v[11:12]
.LBB132_934:
	s_or_b64 exec, exec, s[0:1]
	s_waitcnt lgkmcnt(0)
	s_barrier
	s_and_saveexec_b64 s[0:1], s[40:41]
	s_cbranch_execz .LBB132_936
; %bb.935:
	v_mov_b32_e32 v21, 0
	ds_read_b64 v[21:22], v21 offset:30168
	ds_read_b64 v[23:24], v13
	s_waitcnt lgkmcnt(0)
	v_fma_f64 v[11:12], v[21:22], v[23:24], v[11:12]
.LBB132_936:
	s_or_b64 exec, exec, s[0:1]
	s_barrier
	s_and_saveexec_b64 s[0:1], s[40:41]
	s_cbranch_execz .LBB132_938
; %bb.937:
	v_mov_b32_e32 v21, 0
	ds_read_b64 v[21:22], v21 offset:30680
	s_waitcnt lgkmcnt(0)
	v_mul_f64 v[11:12], v[11:12], v[21:22]
	ds_write_b64 v13, v[11:12]
.LBB132_938:
	s_or_b64 exec, exec, s[0:1]
	s_waitcnt lgkmcnt(0)
	s_barrier
	s_barrier
	s_and_saveexec_b64 s[0:1], s[2:3]
; %bb.939:
	v_xor_b32_e32 v12, 0x80000000, v12
	ds_write_b64 v1, v[11:12] offset:29136
; %bb.940:
	s_or_b64 exec, exec, s[0:1]
	s_waitcnt lgkmcnt(0)
	s_barrier
	s_barrier
	s_and_saveexec_b64 s[0:1], s[44:45]
	s_cbranch_execz .LBB132_942
; %bb.941:
	v_lshlrev_b32_e32 v21, 3, v0
	s_movk_i32 s8, 0x1f8
	v_mad_u32_u24 v22, v0, s8, v21
	ds_read_b64 v[11:12], v22 offset:29136
	s_waitcnt lgkmcnt(0)
	ds_write_b64 v21, v[11:12] offset:30144
	ds_read_b64 v[11:12], v22 offset:29144
	s_waitcnt lgkmcnt(0)
	ds_write_b64 v21, v[11:12] offset:30656
.LBB132_942:
	s_or_b64 exec, exec, s[0:1]
	s_waitcnt lgkmcnt(0)
	s_barrier
	s_and_saveexec_b64 s[0:1], vcc
	s_cbranch_execz .LBB132_944
; %bb.943:
	v_mov_b32_e32 v11, 0
	ds_read_b128 v[21:24], v11 offset:30160
	ds_read_b64 v[11:12], v11 offset:30680
	s_movk_i32 s8, 0x7000
	s_waitcnt lgkmcnt(0)
	v_mul_f64 v[11:12], v[21:22], v[11:12]
	v_add_u32_e64 v21, s8, 0
	v_mul_f64 v[11:12], v[23:24], v[11:12]
	ds_write2_b64 v21, v[11:12], v[11:12] offset0:187 offset1:250
.LBB132_944:
	s_or_b64 exec, exec, s[0:1]
	v_mov_b32_e32 v11, 0
	v_mov_b32_e32 v12, 0
	s_waitcnt lgkmcnt(0)
	s_barrier
	s_and_saveexec_b64 s[0:1], s[18:19]
	s_cbranch_execz .LBB132_950
; %bb.945:
	v_mul_u32_u24_e32 v21, 0x208, v20
	ds_read_b64 v[11:12], v16 offset:29152
	ds_read_b64 v[22:23], v21 offset:29120
	v_cmp_gt_u32_e64 s[8:9], 12, v14
	s_waitcnt lgkmcnt(0)
	v_fma_f64 v[11:12], v[11:12], v[22:23], 0
	s_and_saveexec_b64 s[10:11], s[8:9]
	s_cbranch_execnz .LBB132_1145
; %bb.946:
	s_or_b64 exec, exec, s[10:11]
	v_cmp_gt_u32_e64 s[8:9], 8, v14
	s_and_saveexec_b64 s[10:11], s[8:9]
	s_cbranch_execnz .LBB132_1146
.LBB132_947:
	s_or_b64 exec, exec, s[10:11]
	v_cmp_gt_u32_e64 s[8:9], 4, v14
	s_and_saveexec_b64 s[10:11], s[8:9]
	s_cbranch_execz .LBB132_949
.LBB132_948:
	v_lshlrev_b32_e32 v19, 3, v0
	v_mov_b32_e32 v21, 0
	ds_read_b64 v[19:20], v19 offset:30688
	ds_read_b64 v[21:22], v21 offset:29144
	s_waitcnt lgkmcnt(0)
	v_fma_f64 v[11:12], v[19:20], v[21:22], v[11:12]
.LBB132_949:
	s_or_b64 exec, exec, s[10:11]
	v_xor_b32_e32 v12, 0x80000000, v12
.LBB132_950:
	s_or_b64 exec, exec, s[0:1]
	s_and_saveexec_b64 s[0:1], s[48:49]
	s_cbranch_execz .LBB132_952
; %bb.951:
	v_mov_b32_e32 v19, 0
	ds_read_b64 v[19:20], v19 offset:31200
	s_waitcnt lgkmcnt(0)
	v_mul_f64 v[11:12], v[11:12], v[19:20]
	ds_write_b64 v18, v[11:12]
.LBB132_952:
	s_or_b64 exec, exec, s[0:1]
	s_waitcnt lgkmcnt(0)
	s_barrier
	s_and_saveexec_b64 s[0:1], s[50:51]
	v_readlane_b32 s48, v42, 3
	v_readlane_b32 s49, v42, 4
	s_cbranch_execz .LBB132_954
; %bb.953:
	ds_read_b64 v[19:20], v17 offset:31200
	ds_read_b64 v[21:22], v18
	s_waitcnt lgkmcnt(0)
	v_fma_f64 v[11:12], v[19:20], v[21:22], v[11:12]
.LBB132_954:
	s_or_b64 exec, exec, s[0:1]
	s_barrier
	s_and_saveexec_b64 s[0:1], s[52:53]
	s_cbranch_execz .LBB132_956
; %bb.955:
	v_mov_b32_e32 v19, 0
	ds_read_b64 v[19:20], v19 offset:31720
	s_waitcnt lgkmcnt(0)
	v_mul_f64 v[11:12], v[11:12], v[19:20]
	ds_write_b64 v18, v[11:12]
.LBB132_956:
	s_or_b64 exec, exec, s[0:1]
	s_waitcnt lgkmcnt(0)
	s_barrier
	s_and_saveexec_b64 s[0:1], s[54:55]
	s_cbranch_execz .LBB132_958
; %bb.957:
	ds_read_b64 v[19:20], v17 offset:31712
	ds_read_b64 v[21:22], v18
	s_waitcnt lgkmcnt(0)
	v_fma_f64 v[11:12], v[19:20], v[21:22], v[11:12]
.LBB132_958:
	s_or_b64 exec, exec, s[0:1]
	s_barrier
	s_and_saveexec_b64 s[0:1], s[56:57]
	s_cbranch_execz .LBB132_960
; %bb.959:
	v_mov_b32_e32 v17, 0
	ds_read_b64 v[19:20], v17 offset:32240
	s_waitcnt lgkmcnt(0)
	v_mul_f64 v[11:12], v[11:12], v[19:20]
	ds_write_b64 v18, v[11:12]
.LBB132_960:
	s_or_b64 exec, exec, s[0:1]
	s_waitcnt lgkmcnt(0)
	s_barrier
	s_and_saveexec_b64 s[0:1], s[46:47]
	s_cbranch_execz .LBB132_962
; %bb.961:
	v_mov_b32_e32 v17, 0
	ds_read_b64 v[19:20], v17 offset:32248
	ds_read_b64 v[21:22], v18
	s_waitcnt lgkmcnt(0)
	v_fma_f64 v[11:12], v[19:20], v[21:22], v[11:12]
.LBB132_962:
	s_or_b64 exec, exec, s[0:1]
	s_barrier
	s_and_saveexec_b64 s[0:1], s[46:47]
	s_cbranch_execz .LBB132_964
; %bb.963:
	v_mov_b32_e32 v17, 0
	ds_read_b64 v[19:20], v17 offset:32760
	s_waitcnt lgkmcnt(0)
	v_mul_f64 v[11:12], v[11:12], v[19:20]
	ds_write_b64 v18, v[11:12]
.LBB132_964:
	s_or_b64 exec, exec, s[0:1]
	s_waitcnt lgkmcnt(0)
	s_barrier
	s_barrier
	s_and_saveexec_b64 s[0:1], s[18:19]
; %bb.965:
	v_xor_b32_e32 v12, 0x80000000, v12
	ds_write_b64 v16, v[11:12] offset:29152
; %bb.966:
	s_or_b64 exec, exec, s[0:1]
	s_waitcnt lgkmcnt(0)
	s_barrier
	s_barrier
	s_and_saveexec_b64 s[0:1], s[58:59]
	s_cbranch_execz .LBB132_968
; %bb.967:
	v_lshlrev_b32_e32 v16, 9, v0
	ds_read_b64 v[11:12], v16 offset:29152
	s_movk_i32 s8, 0xfe08
	v_mad_i32_i24 v17, v0, s8, v16
	s_waitcnt lgkmcnt(0)
	ds_write_b64 v17, v[11:12] offset:31168
	ds_read_b64 v[11:12], v16 offset:29160
	s_waitcnt lgkmcnt(0)
	ds_write_b64 v17, v[11:12] offset:31680
	ds_read_b64 v[11:12], v16 offset:29168
	;; [unrolled: 3-line block ×3, first 2 shown]
	s_waitcnt lgkmcnt(0)
	ds_write_b64 v17, v[11:12] offset:32704
.LBB132_968:
	s_or_b64 exec, exec, s[0:1]
	s_waitcnt lgkmcnt(0)
	s_barrier
	s_and_saveexec_b64 s[0:1], vcc
	s_cbranch_execz .LBB132_970
; %bb.969:
	v_mov_b32_e32 v11, 0
	ds_read_b128 v[16:19], v11 offset:31200
	ds_read_b64 v[11:12], v11 offset:31720
	s_movk_i32 s8, 0x7800
	s_waitcnt lgkmcnt(0)
	v_mul_f64 v[11:12], v[16:17], v[11:12]
	v_add_u32_e64 v16, s8, 0
	v_mul_f64 v[11:12], v[18:19], v[11:12]
	ds_write2_b64 v16, v[11:12], v[11:12] offset0:61 offset1:124
.LBB132_970:
	s_or_b64 exec, exec, s[0:1]
	v_mov_b32_e32 v11, 0
	v_mov_b32_e32 v12, 0
	s_waitcnt lgkmcnt(0)
	s_barrier
	s_and_saveexec_b64 s[0:1], s[2:3]
	s_cbranch_execz .LBB132_974
; %bb.971:
	v_mul_u32_u24_e32 v15, 0x208, v15
	ds_read_b64 v[11:12], v1 offset:31216
	ds_read_b64 v[15:16], v15 offset:31200
	v_cmp_gt_u32_e64 s[8:9], 2, v14
	s_waitcnt lgkmcnt(0)
	v_fma_f64 v[11:12], v[11:12], v[15:16], 0
	s_and_saveexec_b64 s[10:11], s[8:9]
	s_cbranch_execz .LBB132_973
; %bb.972:
	v_lshlrev_b32_e32 v14, 3, v0
	v_mov_b32_e32 v16, 0
	ds_read_b64 v[14:15], v14 offset:31728
	ds_read_b64 v[16:17], v16 offset:31208
	s_waitcnt lgkmcnt(0)
	v_fma_f64 v[11:12], v[14:15], v[16:17], v[11:12]
.LBB132_973:
	s_or_b64 exec, exec, s[10:11]
	v_xor_b32_e32 v12, 0x80000000, v12
.LBB132_974:
	s_or_b64 exec, exec, s[0:1]
	s_and_saveexec_b64 s[0:1], s[42:43]
	s_cbranch_execz .LBB132_976
; %bb.975:
	v_mov_b32_e32 v14, 0
	ds_read_b64 v[14:15], v14 offset:32240
	s_waitcnt lgkmcnt(0)
	v_mul_f64 v[11:12], v[11:12], v[14:15]
	ds_write_b64 v13, v[11:12]
.LBB132_976:
	s_or_b64 exec, exec, s[0:1]
	s_waitcnt lgkmcnt(0)
	s_barrier
	s_and_saveexec_b64 s[0:1], s[40:41]
	s_load_dword s36, s[4:5], 0x6c
	v_readlane_b32 s42, v42, 2
	s_cbranch_execz .LBB132_978
; %bb.977:
	v_mov_b32_e32 v14, 0
	ds_read_b64 v[14:15], v14 offset:32248
	ds_read_b64 v[16:17], v13
	s_waitcnt lgkmcnt(0)
	v_fma_f64 v[11:12], v[14:15], v[16:17], v[11:12]
.LBB132_978:
	s_or_b64 exec, exec, s[0:1]
	s_waitcnt lgkmcnt(0)
	s_barrier
	s_and_saveexec_b64 s[0:1], s[40:41]
	s_cbranch_execz .LBB132_980
; %bb.979:
	v_mov_b32_e32 v14, 0
	ds_read_b64 v[14:15], v14 offset:32760
	s_waitcnt lgkmcnt(0)
	v_mul_f64 v[11:12], v[11:12], v[14:15]
	ds_write_b64 v13, v[11:12]
.LBB132_980:
	s_or_b64 exec, exec, s[0:1]
	s_waitcnt lgkmcnt(0)
	s_barrier
	s_barrier
	s_and_saveexec_b64 s[0:1], s[2:3]
; %bb.981:
	v_xor_b32_e32 v12, 0x80000000, v12
	ds_write_b64 v1, v[11:12] offset:31216
; %bb.982:
	s_or_b64 exec, exec, s[0:1]
	s_waitcnt lgkmcnt(0)
	s_barrier
	s_barrier
	s_and_saveexec_b64 s[0:1], s[44:45]
	s_cbranch_execz .LBB132_984
; %bb.983:
	v_lshlrev_b32_e32 v1, 3, v0
	s_movk_i32 s2, 0x1f8
	v_mad_u32_u24 v13, v0, s2, v1
	ds_read_b64 v[11:12], v13 offset:31216
	s_waitcnt lgkmcnt(0)
	ds_write_b64 v1, v[11:12] offset:32224
	ds_read_b64 v[11:12], v13 offset:31224
	s_waitcnt lgkmcnt(0)
	ds_write_b64 v1, v[11:12] offset:32736
.LBB132_984:
	s_or_b64 exec, exec, s[0:1]
	s_waitcnt lgkmcnt(0)
	s_barrier
	s_and_saveexec_b64 s[0:1], vcc
	s_cbranch_execz .LBB132_986
; %bb.985:
	v_mov_b32_e32 v1, 0
	ds_read_b128 v[11:14], v1 offset:32240
	ds_read_b64 v[15:16], v1 offset:32760
	s_movk_i32 s2, 0x7800
	v_add_u32_e64 v1, s2, 0
	s_waitcnt lgkmcnt(0)
	v_mul_f64 v[11:12], v[11:12], v[15:16]
	v_mul_f64 v[11:12], v[13:14], v[11:12]
	ds_write2_b64 v1, v[11:12], v[11:12] offset0:191 offset1:254
.LBB132_986:
	s_or_b64 exec, exec, s[0:1]
.LBB132_987:
	s_lshl_b64 s[0:1], s[24:25], 3
	s_add_u32 s20, s60, s0
	v_cmp_le_i32_e32 vcc, s38, v0
	s_addc_u32 s21, s61, s1
	s_and_b64 s[14:15], vcc, s[22:23]
	v_cmp_eq_u32_e64 s[2:3], 0, v2
	s_xor_b64 s[0:1], s[14:15], -1
	v_mov_b32_e32 v11, 0
	s_and_b64 s[8:9], s[2:3], s[0:1]
	v_mov_b32_e32 v12, 0
	v_add_u32_e32 v13, s33, v0
	s_waitcnt lgkmcnt(0)
	s_barrier
	s_and_saveexec_b64 s[0:1], s[8:9]
	s_cbranch_execz .LBB132_989
; %bb.988:
	v_ashrrev_i32_e32 v1, 31, v13
	v_mul_lo_u32 v14, s27, v13
	v_mad_u64_u32 v[11:12], s[8:9], s26, v13, 0
	v_mul_lo_u32 v1, s26, v1
	v_add3_u32 v12, v12, v1, v14
	v_lshlrev_b64 v[11:12], 3, v[11:12]
	v_mov_b32_e32 v1, s21
	v_add_co_u32_e32 v11, vcc, s20, v11
	v_addc_co_u32_e32 v12, vcc, v1, v12, vcc
	flat_load_dwordx2 v[11:12], v[11:12]
	s_waitcnt vmcnt(0) lgkmcnt(0)
	v_mul_f64 v[11:12], v[11:12], -s[48:49]
.LBB132_989:
	s_or_b64 exec, exec, s[0:1]
	s_load_dwordx2 s[0:1], s[4:5], 0x50
	s_and_b32 s4, 0xffff, s36
	v_mad_u32_u24 v18, v2, s4, v0
	v_mov_b32_e32 v1, 0
	s_cmp_lt_i32 s6, 1
	v_cmp_eq_u32_e64 s[4:5], 0, v18
	s_cbranch_scc1 .LBB132_1015
; %bb.990:
	v_ashrrev_i32_e32 v16, 31, v13
	v_mul_lo_u32 v17, s35, v13
	v_mad_u64_u32 v[14:15], s[8:9], s34, v13, 0
	v_mul_lo_u32 v16, s34, v16
	s_lshl_b64 s[8:9], s[28:29], 2
	s_waitcnt lgkmcnt(0)
	s_add_u32 s16, s0, s8
	s_addc_u32 s17, s1, s9
	v_add3_u32 v15, v15, v16, v17
	v_cmp_gt_i32_e64 s[8:9], s30, v13
	v_lshlrev_b64 v[13:14], 3, v[14:15]
	v_mov_b32_e32 v16, 0xa000
	v_mov_b32_e32 v15, s90
	v_add_co_u32_e32 v21, vcc, s39, v13
	s_mov_b32 s24, 0
	v_cmp_gt_u32_e64 s[12:13], 64, v18
	v_lshl_add_u32 v19, v18, 3, v16
	v_lshl_or_b32 v20, v2, 3, v16
	s_add_i32 s91, s91, 1
	v_addc_co_u32_e32 v22, vcc, v15, v14, vcc
	v_mov_b32_e32 v23, -1
	s_branch .LBB132_993
.LBB132_991:                            ;   in Loop: Header=BB132_993 Depth=1
	ds_read_b64 v[13:14], v20 offset:384
	s_waitcnt vmcnt(0) lgkmcnt(0)
	v_fma_f64 v[11:12], v[15:16], v[13:14], v[11:12]
.LBB132_992:                            ;   in Loop: Header=BB132_993 Depth=1
	s_or_b64 exec, exec, s[18:19]
	s_add_i32 s24, s24, 1
	s_cmp_eq_u32 s24, s6
	s_cbranch_scc1 .LBB132_1015
.LBB132_993:                            ; =>This Loop Header: Depth=1
                                        ;     Child Loop BB132_995 Depth 2
	v_cmp_gt_i32_e32 vcc, s24, v23
	s_and_b64 s[18:19], s[4:5], vcc
	s_and_saveexec_b64 s[10:11], s[18:19]
	s_cbranch_execz .LBB132_996
; %bb.994:                              ;   in Loop: Header=BB132_993 Depth=1
	global_load_dword v23, v1, s[16:17]
	s_waitcnt vmcnt(0)
	v_cmp_le_i32_e32 vcc, s24, v23
	s_cbranch_vccnz .LBB132_996
.LBB132_995:                            ;   Parent Loop BB132_993 Depth=1
                                        ; =>  This Inner Loop Header: Depth=2
	buffer_wbinvl1_vol
	global_load_dword v23, v1, s[16:17]
	s_waitcnt vmcnt(0)
	v_cmp_gt_i32_e32 vcc, s24, v23
	s_cbranch_vccnz .LBB132_995
.LBB132_996:                            ;   in Loop: Header=BB132_993 Depth=1
	s_or_b64 exec, exec, s[10:11]
	s_sub_i32 s25, s7, s24
	s_lshl_b32 s34, s25, 6
	buffer_wbinvl1_vol
	s_barrier
	s_and_saveexec_b64 s[10:11], s[12:13]
	s_cbranch_execz .LBB132_1000
; %bb.997:                              ;   in Loop: Header=BB132_993 Depth=1
	s_ashr_i32 s18, s34, 31
	v_mov_b32_e32 v14, s18
	v_or_b32_e32 v13, s34, v18
	v_cmp_gt_i64_e32 vcc, s[30:31], v[13:14]
	v_mov_b32_e32 v15, 0
	v_mov_b32_e32 v16, 0
	s_and_saveexec_b64 s[18:19], vcc
	s_cbranch_execz .LBB132_999
; %bb.998:                              ;   in Loop: Header=BB132_993 Depth=1
	v_mul_lo_u32 v15, v14, s26
	v_mul_lo_u32 v16, v13, s27
	v_mad_u64_u32 v[13:14], s[36:37], v13, s26, 0
	v_add3_u32 v14, v14, v16, v15
	v_lshlrev_b64 v[13:14], 3, v[13:14]
	v_mov_b32_e32 v15, s21
	v_add_co_u32_e32 v13, vcc, s20, v13
	v_addc_co_u32_e32 v14, vcc, v15, v14, vcc
	flat_load_dwordx2 v[15:16], v[13:14]
.LBB132_999:                            ;   in Loop: Header=BB132_993 Depth=1
	s_or_b64 exec, exec, s[18:19]
	s_waitcnt vmcnt(0) lgkmcnt(0)
	ds_write_b64 v19, v[15:16]
.LBB132_1000:                           ;   in Loop: Header=BB132_993 Depth=1
	s_or_b64 exec, exec, s[10:11]
	v_add_u32_e32 v15, s34, v2
	v_ashrrev_i32_e32 v16, 31, v15
	v_lshlrev_b64 v[13:14], 3, v[15:16]
	s_cmp_lg_u32 s25, s91
	v_add_co_u32_e32 v13, vcc, v21, v13
	s_cselect_b64 s[10:11], -1, 0
	v_addc_co_u32_e32 v14, vcc, v22, v14, vcc
	v_cmp_gt_i32_e32 vcc, s30, v15
	v_cndmask_b32_e64 v16, 0, 1, s[10:11]
	s_and_b64 s[34:35], vcc, s[8:9]
	v_cmp_ne_u32_e64 s[10:11], 1, v16
	s_waitcnt lgkmcnt(0)
	s_barrier
	s_and_saveexec_b64 s[18:19], s[34:35]
	s_cbranch_execz .LBB132_1004
; %bb.1001:                             ;   in Loop: Header=BB132_993 Depth=1
	v_mov_b32_e32 v17, v6
	s_and_b64 vcc, exec, s[10:11]
	v_mov_b32_e32 v16, v5
	s_cbranch_vccnz .LBB132_1003
; %bb.1002:                             ;   in Loop: Header=BB132_993 Depth=1
	flat_load_dwordx2 v[16:17], v[13:14]
.LBB132_1003:                           ;   in Loop: Header=BB132_993 Depth=1
	ds_read_b64 v[24:25], v20
	s_waitcnt vmcnt(0) lgkmcnt(0)
	v_fma_f64 v[11:12], v[16:17], v[24:25], v[11:12]
.LBB132_1004:                           ;   in Loop: Header=BB132_993 Depth=1
	s_or_b64 exec, exec, s[18:19]
	v_add_u32_e32 v16, 16, v15
	v_cmp_gt_i32_e32 vcc, s30, v16
	s_and_b64 s[34:35], vcc, s[8:9]
	s_and_saveexec_b64 s[18:19], s[34:35]
	s_cbranch_execz .LBB132_1008
; %bb.1005:                             ;   in Loop: Header=BB132_993 Depth=1
	v_mov_b32_e32 v17, v4
	s_and_b64 vcc, exec, s[10:11]
	v_mov_b32_e32 v16, v3
	s_cbranch_vccnz .LBB132_1007
; %bb.1006:                             ;   in Loop: Header=BB132_993 Depth=1
	flat_load_dwordx2 v[16:17], v[13:14] offset:128
.LBB132_1007:                           ;   in Loop: Header=BB132_993 Depth=1
	ds_read_b64 v[24:25], v20 offset:128
	s_waitcnt vmcnt(0) lgkmcnt(0)
	v_fma_f64 v[11:12], v[16:17], v[24:25], v[11:12]
.LBB132_1008:                           ;   in Loop: Header=BB132_993 Depth=1
	s_or_b64 exec, exec, s[18:19]
	v_add_u32_e32 v16, 32, v15
	v_cmp_gt_i32_e32 vcc, s30, v16
	s_and_b64 s[34:35], vcc, s[8:9]
	s_and_saveexec_b64 s[18:19], s[34:35]
	s_cbranch_execz .LBB132_1012
; %bb.1009:                             ;   in Loop: Header=BB132_993 Depth=1
	v_mov_b32_e32 v17, v10
	s_and_b64 vcc, exec, s[10:11]
	v_mov_b32_e32 v16, v9
	s_cbranch_vccnz .LBB132_1011
; %bb.1010:                             ;   in Loop: Header=BB132_993 Depth=1
	flat_load_dwordx2 v[16:17], v[13:14] offset:256
.LBB132_1011:                           ;   in Loop: Header=BB132_993 Depth=1
	ds_read_b64 v[24:25], v20 offset:256
	s_waitcnt vmcnt(0) lgkmcnt(0)
	v_fma_f64 v[11:12], v[16:17], v[24:25], v[11:12]
.LBB132_1012:                           ;   in Loop: Header=BB132_993 Depth=1
	s_or_b64 exec, exec, s[18:19]
	v_add_u32_e32 v15, 48, v15
	v_cmp_gt_i32_e32 vcc, s30, v15
	s_and_b64 s[34:35], vcc, s[8:9]
	s_and_saveexec_b64 s[18:19], s[34:35]
	s_cbranch_execz .LBB132_992
; %bb.1013:                             ;   in Loop: Header=BB132_993 Depth=1
	v_mov_b32_e32 v16, v8
	s_and_b64 vcc, exec, s[10:11]
	v_mov_b32_e32 v15, v7
	s_cbranch_vccnz .LBB132_991
; %bb.1014:                             ;   in Loop: Header=BB132_993 Depth=1
	flat_load_dwordx2 v[15:16], v[13:14] offset:384
	s_branch .LBB132_991
.LBB132_1015:
	v_lshl_add_u32 v1, v2, 6, v0
	s_xor_b64 s[4:5], s[22:23], -1
	v_lshlrev_b32_e32 v1, 3, v1
	ds_write_b64 v1, v[11:12] offset:32768
	s_waitcnt lgkmcnt(0)
	s_barrier
	s_and_saveexec_b64 s[6:7], s[2:3]
	s_cbranch_execz .LBB132_1017
; %bb.1016:
	v_lshlrev_b32_e32 v15, 3, v0
	ds_read2st64_b64 v[3:6], v15 offset0:65 offset1:66
	ds_read_b64 v[13:14], v15 offset:40448
	s_waitcnt lgkmcnt(1)
	v_add_f64 v[3:4], v[11:12], v[3:4]
	v_add_f64 v[11:12], v[3:4], v[5:6]
	ds_read2st64_b64 v[3:6], v15 offset0:67 offset1:68
	ds_read2st64_b64 v[7:10], v15 offset0:69 offset1:70
	s_waitcnt lgkmcnt(1)
	v_add_f64 v[3:4], v[11:12], v[3:4]
	v_add_f64 v[3:4], v[3:4], v[5:6]
	s_waitcnt lgkmcnt(0)
	v_add_f64 v[3:4], v[3:4], v[7:8]
	v_add_f64 v[11:12], v[3:4], v[9:10]
	ds_read2st64_b64 v[3:6], v15 offset0:71 offset1:72
	ds_read2st64_b64 v[7:10], v15 offset0:73 offset1:74
	s_waitcnt lgkmcnt(1)
	v_add_f64 v[3:4], v[11:12], v[3:4]
	v_add_f64 v[3:4], v[3:4], v[5:6]
	;; [unrolled: 8-line block ×3, first 2 shown]
	s_waitcnt lgkmcnt(0)
	v_add_f64 v[3:4], v[3:4], v[7:8]
	v_add_f64 v[3:4], v[3:4], v[9:10]
	;; [unrolled: 1-line block ×3, first 2 shown]
	v_xor_b32_e32 v4, 0x80000000, v4
	v_cndmask_b32_e64 v12, v4, 0, s[14:15]
	v_cndmask_b32_e64 v11, v3, 0, s[14:15]
.LBB132_1017:
	s_or_b64 exec, exec, s[6:7]
	v_readlane_b32 s6, v42, 0
	v_readlane_b32 s7, v42, 1
	s_and_b64 vcc, exec, s[6:7]
	s_cbranch_vccnz .LBB132_1030
; %bb.1018:
	v_mov_b32_e32 v3, 0xa000
	v_lshl_or_b32 v5, v2, 3, v3
	s_and_saveexec_b64 s[6:7], s[2:3]
; %bb.1019:
	v_lshl_add_u32 v3, v0, 3, v5
	ds_write_b64 v3, v[11:12]
; %bb.1020:
	s_or_b64 exec, exec, s[6:7]
	v_mov_b32_e32 v3, 0
	v_mov_b32_e32 v4, 0
	v_cmp_le_u32_e32 vcc, v0, v2
	s_waitcnt lgkmcnt(0)
	s_barrier
	s_and_saveexec_b64 s[6:7], vcc
	s_cbranch_execz .LBB132_1022
; %bb.1021:
	ds_read_b64 v[3:4], v1
	ds_read_b64 v[6:7], v5
	s_waitcnt lgkmcnt(0)
	v_fma_f64 v[3:4], v[3:4], v[6:7], 0
.LBB132_1022:
	s_or_b64 exec, exec, s[6:7]
	v_add_u32_e32 v6, 16, v2
	v_cmp_le_u32_e32 vcc, v0, v6
	s_and_saveexec_b64 s[6:7], vcc
	s_cbranch_execz .LBB132_1024
; %bb.1023:
	ds_read_b64 v[6:7], v1 offset:8192
	ds_read_b64 v[8:9], v5 offset:128
	s_waitcnt lgkmcnt(0)
	v_fma_f64 v[3:4], v[6:7], v[8:9], v[3:4]
.LBB132_1024:
	s_or_b64 exec, exec, s[6:7]
	v_add_u32_e32 v6, 32, v2
	v_cmp_le_u32_e32 vcc, v0, v6
	s_and_saveexec_b64 s[6:7], vcc
	s_cbranch_execz .LBB132_1026
; %bb.1025:
	ds_read_b64 v[6:7], v1 offset:16384
	ds_read_b64 v[8:9], v5 offset:256
	s_waitcnt lgkmcnt(0)
	v_fma_f64 v[3:4], v[6:7], v[8:9], v[3:4]
.LBB132_1026:
	s_or_b64 exec, exec, s[6:7]
	v_add_u32_e32 v2, 48, v2
	v_add_u32_e32 v6, 0x8000, v1
	v_cmp_le_u32_e32 vcc, v0, v2
	s_and_saveexec_b64 s[6:7], vcc
	s_cbranch_execz .LBB132_1028
; %bb.1027:
	ds_read_b64 v[1:2], v1 offset:24576
	ds_read_b64 v[7:8], v5 offset:384
	s_waitcnt lgkmcnt(0)
	v_fma_f64 v[3:4], v[1:2], v[7:8], v[3:4]
.LBB132_1028:
	s_or_b64 exec, exec, s[6:7]
	s_mov_b64 s[8:9], 0
	s_mov_b64 s[6:7], 0
	ds_write_b64 v6, v[3:4]
	s_waitcnt lgkmcnt(0)
	s_barrier
                                        ; implicit-def: $vgpr1_vgpr2
	s_and_saveexec_b64 s[10:11], s[2:3]
	s_cbranch_execz .LBB132_1093
; %bb.1029:
	v_lshlrev_b32_e32 v15, 3, v0
	ds_read2st64_b64 v[5:8], v15 offset0:65 offset1:66
	ds_read_b64 v[9:10], v15 offset:40448
	s_mov_b64 s[6:7], exec
	s_waitcnt lgkmcnt(1)
	v_add_f64 v[1:2], v[3:4], v[5:6]
	v_add_f64 v[13:14], v[7:8], v[1:2]
	ds_read2st64_b64 v[1:4], v15 offset0:67 offset1:68
	ds_read2st64_b64 v[5:8], v15 offset0:69 offset1:70
	s_waitcnt lgkmcnt(1)
	v_add_f64 v[1:2], v[1:2], v[13:14]
	v_add_f64 v[1:2], v[3:4], v[1:2]
	s_waitcnt lgkmcnt(0)
	v_add_f64 v[1:2], v[5:6], v[1:2]
	v_add_f64 v[13:14], v[7:8], v[1:2]
	ds_read2st64_b64 v[1:4], v15 offset0:71 offset1:72
	ds_read2st64_b64 v[5:8], v15 offset0:73 offset1:74
	s_waitcnt lgkmcnt(1)
	v_add_f64 v[1:2], v[1:2], v[13:14]
	v_add_f64 v[1:2], v[3:4], v[1:2]
	;; [unrolled: 8-line block ×3, first 2 shown]
	s_waitcnt lgkmcnt(0)
	v_add_f64 v[1:2], v[5:6], v[1:2]
	v_add_f64 v[1:2], v[7:8], v[1:2]
	v_add_f64 v[1:2], v[9:10], v[1:2]
	s_or_b64 exec, exec, s[10:11]
	s_and_b64 vcc, exec, s[8:9]
	s_cbranch_vccnz .LBB132_1031
	s_branch .LBB132_1094
.LBB132_1030:
	s_mov_b64 s[6:7], 0
                                        ; implicit-def: $vgpr1_vgpr2
	s_cbranch_execz .LBB132_1094
.LBB132_1031:
	s_movk_i32 s8, 0x208
	v_lshlrev_b32_e32 v2, 9, v0
	v_mov_b32_e32 v3, 0x7800
	v_mul_u32_u24_e32 v1, 0x208, v0
	v_sub_u32_e32 v2, 0, v2
	v_mad_u32_u24 v3, v0, s8, v3
	s_mov_b32 s10, 63
	s_movk_i32 s11, 0x8200
	v_mov_b32_e32 v4, 0
	s_branch .LBB132_1033
.LBB132_1032:                           ;   in Loop: Header=BB132_1033 Depth=1
	s_or_b64 exec, exec, s[8:9]
	s_add_i32 s10, s10, -4
	s_cmp_lg_u32 s12, 0
	v_add_u32_e32 v2, 0xfffff800, v2
	s_barrier
	s_cbranch_scc0 .LBB132_1049
.LBB132_1033:                           ; =>This Inner Loop Header: Depth=1
	v_cmp_eq_u32_e32 vcc, s11, v2
	s_and_b64 s[12:13], s[2:3], vcc
	s_and_saveexec_b64 s[8:9], s[12:13]
	s_cbranch_execz .LBB132_1035
; %bb.1034:                             ;   in Loop: Header=BB132_1033 Depth=1
	ds_read_b64 v[5:6], v1
	s_waitcnt lgkmcnt(0)
	v_mul_f64 v[11:12], v[11:12], v[5:6]
	ds_write_b64 v4, v[11:12] offset:41472
.LBB132_1035:                           ;   in Loop: Header=BB132_1033 Depth=1
	s_or_b64 exec, exec, s[8:9]
	v_cmp_gt_u32_e32 vcc, s10, v0
	s_and_b64 s[12:13], s[2:3], vcc
	v_add_u32_e32 v5, v3, v2
	s_waitcnt lgkmcnt(0)
	s_barrier
	s_and_saveexec_b64 s[8:9], s[12:13]
	s_cbranch_execz .LBB132_1037
; %bb.1036:                             ;   in Loop: Header=BB132_1033 Depth=1
	ds_read_b64 v[6:7], v5 offset:1536
	ds_read_b64 v[8:9], v4 offset:41472
	s_waitcnt lgkmcnt(0)
	v_fma_f64 v[11:12], v[6:7], v[8:9], v[11:12]
.LBB132_1037:                           ;   in Loop: Header=BB132_1033 Depth=1
	s_or_b64 exec, exec, s[8:9]
	s_add_i32 s12, s10, -1
	v_cmp_eq_u32_e32 vcc, s12, v0
	s_and_b64 s[14:15], s[2:3], vcc
	s_barrier
	s_and_saveexec_b64 s[8:9], s[14:15]
	s_cbranch_execz .LBB132_1039
; %bb.1038:                             ;   in Loop: Header=BB132_1033 Depth=1
	ds_read_b64 v[6:7], v1
	s_waitcnt lgkmcnt(0)
	v_mul_f64 v[11:12], v[11:12], v[6:7]
	ds_write_b64 v4, v[11:12] offset:41472
.LBB132_1039:                           ;   in Loop: Header=BB132_1033 Depth=1
	s_or_b64 exec, exec, s[8:9]
	v_cmp_gt_u32_e32 vcc, s12, v0
	s_and_b64 s[12:13], s[2:3], vcc
	s_waitcnt lgkmcnt(0)
	s_barrier
	s_and_saveexec_b64 s[8:9], s[12:13]
	s_cbranch_execz .LBB132_1041
; %bb.1040:                             ;   in Loop: Header=BB132_1033 Depth=1
	ds_read_b64 v[6:7], v5 offset:1024
	ds_read_b64 v[8:9], v4 offset:41472
	s_waitcnt lgkmcnt(0)
	v_fma_f64 v[11:12], v[6:7], v[8:9], v[11:12]
.LBB132_1041:                           ;   in Loop: Header=BB132_1033 Depth=1
	s_or_b64 exec, exec, s[8:9]
	s_add_i32 s12, s10, -2
	v_cmp_eq_u32_e32 vcc, s12, v0
	s_and_b64 s[14:15], s[2:3], vcc
	s_barrier
	s_and_saveexec_b64 s[8:9], s[14:15]
	s_cbranch_execz .LBB132_1043
; %bb.1042:                             ;   in Loop: Header=BB132_1033 Depth=1
	ds_read_b64 v[6:7], v1
	s_waitcnt lgkmcnt(0)
	v_mul_f64 v[11:12], v[11:12], v[6:7]
	ds_write_b64 v4, v[11:12] offset:41472
.LBB132_1043:                           ;   in Loop: Header=BB132_1033 Depth=1
	s_or_b64 exec, exec, s[8:9]
	v_cmp_gt_u32_e32 vcc, s12, v0
	s_and_b64 s[12:13], s[2:3], vcc
	;; [unrolled: 26-line block ×3, first 2 shown]
	s_waitcnt lgkmcnt(0)
	s_barrier
	s_and_saveexec_b64 s[8:9], s[14:15]
	s_cbranch_execz .LBB132_1032
; %bb.1048:                             ;   in Loop: Header=BB132_1033 Depth=1
	ds_read_b64 v[5:6], v5
	ds_read_b64 v[7:8], v4 offset:41472
	s_waitcnt lgkmcnt(0)
	v_fma_f64 v[11:12], v[5:6], v[7:8], v[11:12]
	s_branch .LBB132_1032
.LBB132_1049:
	s_mov_b64 s[8:9], -1
	s_and_b64 vcc, exec, s[4:5]
	s_cbranch_vccnz .LBB132_1095
; %bb.1050:
	s_andn2_b64 vcc, exec, s[8:9]
	s_cbranch_vccz .LBB132_1096
.LBB132_1051:
	s_and_saveexec_b64 s[2:3], s[6:7]
	s_cbranch_execz .LBB132_1053
.LBB132_1052:
	v_mov_b32_e32 v0, s42
	v_add_co_u32_e32 v1, vcc, s33, v18
	v_addc_co_u32_e32 v0, vcc, 0, v0, vcc
	v_mul_lo_u32 v2, v0, s26
	v_mul_lo_u32 v3, v1, s27
	v_mad_u64_u32 v[0:1], s[4:5], v1, s26, 0
	v_add3_u32 v1, v1, v3, v2
	v_lshlrev_b64 v[0:1], 3, v[0:1]
	v_mov_b32_e32 v2, s21
	v_add_co_u32_e32 v0, vcc, s20, v0
	v_addc_co_u32_e32 v1, vcc, v2, v1, vcc
	flat_store_dwordx2 v[0:1], v[11:12]
.LBB132_1053:
	s_or_b64 exec, exec, s[2:3]
	v_cmp_eq_u32_e32 vcc, 0, v18
	s_waitcnt vmcnt(0) lgkmcnt(0)
	buffer_wbinvl1_vol
	s_barrier
	s_and_saveexec_b64 s[2:3], vcc
	s_cbranch_execz .LBB132_1055
; %bb.1054:
	s_lshl_b64 s[4:5], s[28:29], 2
	s_add_u32 s0, s0, s4
	s_addc_u32 s1, s1, s5
	v_mov_b32_e32 v0, 0
	global_load_dword v1, v0, s[0:1]
	s_waitcnt vmcnt(0)
	v_add_u32_e32 v1, 1, v1
	global_store_dword v0, v1, s[0:1]
.LBB132_1055:
	s_or_b64 exec, exec, s[2:3]
	s_waitcnt vmcnt(0)
	buffer_wbinvl1_vol
	s_endpgm
.LBB132_1056:
                                        ; implicit-def: $vgpr7_vgpr8
                                        ; implicit-def: $vgpr9_vgpr10
                                        ; implicit-def: $vgpr3_vgpr4
                                        ; implicit-def: $vgpr5_vgpr6
                                        ; implicit-def: $sgpr33
	s_cbranch_execnz .LBB132_10
	s_branch .LBB132_11
.LBB132_1057:
	v_cmp_ne_u32_e32 vcc, v0, v2
	s_and_saveexec_b64 s[12:13], vcc
	s_xor_b64 s[12:13], exec, s[12:13]
; %bb.1058:
	v_or_b32_e32 v1, v2, v0
	v_cmp_gt_u32_e32 vcc, 64, v1
	s_and_b64 s[10:11], vcc, exec
                                        ; implicit-def: $vgpr15_vgpr16
; %bb.1059:
	s_or_saveexec_b64 s[12:13], s[12:13]
	v_mov_b32_e32 v13, 0
	v_mov_b32_e32 v14, 0
	s_xor_b64 exec, exec, s[12:13]
	s_cbranch_execz .LBB132_1061
; %bb.1060:
	v_lshlrev_b64 v[13:14], 3, v[15:16]
	v_mov_b32_e32 v1, s90
	v_add_co_u32_e32 v13, vcc, s39, v13
	v_addc_co_u32_e32 v14, vcc, v1, v14, vcc
	flat_load_dwordx2 v[13:14], v[13:14]
	s_or_b64 s[10:11], s[10:11], exec
	s_waitcnt vmcnt(0) lgkmcnt(0)
	v_div_scale_f64 v[15:16], s[14:15], v[13:14], v[13:14], 1.0
	v_div_scale_f64 v[22:23], vcc, 1.0, v[13:14], 1.0
	v_rcp_f64_e32 v[18:19], v[15:16]
	v_fma_f64 v[20:21], -v[15:16], v[18:19], 1.0
	v_fma_f64 v[18:19], v[18:19], v[20:21], v[18:19]
	v_fma_f64 v[20:21], -v[15:16], v[18:19], 1.0
	v_fma_f64 v[18:19], v[18:19], v[20:21], v[18:19]
	v_mul_f64 v[20:21], v[22:23], v[18:19]
	v_fma_f64 v[15:16], -v[15:16], v[20:21], v[22:23]
	v_div_fmas_f64 v[15:16], v[15:16], v[18:19], v[20:21]
	v_div_fixup_f64 v[13:14], v[15:16], v[13:14], 1.0
.LBB132_1061:
	s_or_b64 exec, exec, s[12:13]
	s_and_b64 s[10:11], s[10:11], exec
                                        ; implicit-def: $vgpr15_vgpr16
	s_andn2_saveexec_b64 s[8:9], s[8:9]
	s_cbranch_execz .LBB132_14
.LBB132_1062:
	v_lshlrev_b64 v[13:14], 3, v[15:16]
	v_mov_b32_e32 v1, s90
	v_add_co_u32_e32 v13, vcc, s39, v13
	v_addc_co_u32_e32 v14, vcc, v1, v14, vcc
	flat_load_dwordx2 v[13:14], v[13:14]
	s_or_b64 s[10:11], s[10:11], exec
	s_waitcnt vmcnt(0) lgkmcnt(0)
	v_xor_b32_e32 v14, 0x80000000, v14
	s_or_b64 exec, exec, s[8:9]
	s_and_saveexec_b64 s[8:9], s[10:11]
	s_cbranch_execnz .LBB132_15
	s_branch .LBB132_16
.LBB132_1063:
	v_cmp_ne_u32_e32 vcc, v0, v1
	s_and_saveexec_b64 s[10:11], vcc
	s_xor_b64 s[10:11], exec, s[10:11]
; %bb.1064:
	v_or_b32_e32 v13, v1, v0
	v_cmp_gt_u32_e32 vcc, 64, v13
	s_and_b64 s[8:9], vcc, exec
                                        ; implicit-def: $vgpr15_vgpr16
; %bb.1065:
	s_or_saveexec_b64 s[10:11], s[10:11]
	v_mov_b32_e32 v13, 0
	v_mov_b32_e32 v14, 0
	s_xor_b64 exec, exec, s[10:11]
	s_cbranch_execz .LBB132_1067
; %bb.1066:
	v_lshlrev_b64 v[13:14], 3, v[15:16]
	v_mov_b32_e32 v15, s90
	v_add_co_u32_e32 v13, vcc, s39, v13
	v_addc_co_u32_e32 v14, vcc, v15, v14, vcc
	flat_load_dwordx2 v[13:14], v[13:14]
	s_or_b64 s[8:9], s[8:9], exec
	s_waitcnt vmcnt(0) lgkmcnt(0)
	v_div_scale_f64 v[15:16], s[12:13], v[13:14], v[13:14], 1.0
	v_div_scale_f64 v[22:23], vcc, 1.0, v[13:14], 1.0
	v_rcp_f64_e32 v[18:19], v[15:16]
	v_fma_f64 v[20:21], -v[15:16], v[18:19], 1.0
	v_fma_f64 v[18:19], v[18:19], v[20:21], v[18:19]
	v_fma_f64 v[20:21], -v[15:16], v[18:19], 1.0
	v_fma_f64 v[18:19], v[18:19], v[20:21], v[18:19]
	v_mul_f64 v[20:21], v[22:23], v[18:19]
	v_fma_f64 v[15:16], -v[15:16], v[20:21], v[22:23]
	v_div_fmas_f64 v[15:16], v[15:16], v[18:19], v[20:21]
	v_div_fixup_f64 v[13:14], v[15:16], v[13:14], 1.0
.LBB132_1067:
	s_or_b64 exec, exec, s[10:11]
	s_and_b64 s[8:9], s[8:9], exec
                                        ; implicit-def: $vgpr15_vgpr16
	s_andn2_saveexec_b64 s[2:3], s[2:3]
	s_cbranch_execz .LBB132_18
.LBB132_1068:
	v_lshlrev_b64 v[13:14], 3, v[15:16]
	v_mov_b32_e32 v15, s90
	v_add_co_u32_e32 v13, vcc, s39, v13
	v_addc_co_u32_e32 v14, vcc, v15, v14, vcc
	flat_load_dwordx2 v[13:14], v[13:14]
	s_or_b64 s[8:9], s[8:9], exec
	s_waitcnt vmcnt(0) lgkmcnt(0)
	v_xor_b32_e32 v14, 0x80000000, v14
	s_or_b64 exec, exec, s[2:3]
	s_and_saveexec_b64 s[2:3], s[8:9]
	s_cbranch_execnz .LBB132_19
	s_branch .LBB132_20
.LBB132_1069:
	v_cmp_ne_u32_e32 vcc, v0, v1
	s_and_saveexec_b64 s[10:11], vcc
	s_xor_b64 s[10:11], exec, s[10:11]
; %bb.1070:
	v_or_b32_e32 v13, v1, v0
	v_cmp_gt_u32_e32 vcc, 64, v13
	s_and_b64 s[8:9], vcc, exec
                                        ; implicit-def: $vgpr15_vgpr16
; %bb.1071:
	s_or_saveexec_b64 s[10:11], s[10:11]
	v_mov_b32_e32 v13, 0
	v_mov_b32_e32 v14, 0
	s_xor_b64 exec, exec, s[10:11]
	s_cbranch_execz .LBB132_1073
; %bb.1072:
	v_lshlrev_b64 v[13:14], 3, v[15:16]
	v_mov_b32_e32 v15, s90
	v_add_co_u32_e32 v13, vcc, s39, v13
	v_addc_co_u32_e32 v14, vcc, v15, v14, vcc
	flat_load_dwordx2 v[13:14], v[13:14]
	s_or_b64 s[8:9], s[8:9], exec
	s_waitcnt vmcnt(0) lgkmcnt(0)
	v_div_scale_f64 v[15:16], s[12:13], v[13:14], v[13:14], 1.0
	v_div_scale_f64 v[22:23], vcc, 1.0, v[13:14], 1.0
	v_rcp_f64_e32 v[18:19], v[15:16]
	v_fma_f64 v[20:21], -v[15:16], v[18:19], 1.0
	v_fma_f64 v[18:19], v[18:19], v[20:21], v[18:19]
	v_fma_f64 v[20:21], -v[15:16], v[18:19], 1.0
	v_fma_f64 v[18:19], v[18:19], v[20:21], v[18:19]
	v_mul_f64 v[20:21], v[22:23], v[18:19]
	v_fma_f64 v[15:16], -v[15:16], v[20:21], v[22:23]
	v_div_fmas_f64 v[15:16], v[15:16], v[18:19], v[20:21]
	v_div_fixup_f64 v[13:14], v[15:16], v[13:14], 1.0
.LBB132_1073:
	s_or_b64 exec, exec, s[10:11]
	s_and_b64 s[8:9], s[8:9], exec
                                        ; implicit-def: $vgpr15_vgpr16
	s_andn2_saveexec_b64 s[2:3], s[2:3]
	s_cbranch_execz .LBB132_22
.LBB132_1074:
	v_lshlrev_b64 v[13:14], 3, v[15:16]
	v_mov_b32_e32 v15, s90
	v_add_co_u32_e32 v13, vcc, s39, v13
	v_addc_co_u32_e32 v14, vcc, v15, v14, vcc
	flat_load_dwordx2 v[13:14], v[13:14]
	s_or_b64 s[8:9], s[8:9], exec
	s_waitcnt vmcnt(0) lgkmcnt(0)
	v_xor_b32_e32 v14, 0x80000000, v14
	s_or_b64 exec, exec, s[2:3]
	s_and_saveexec_b64 s[2:3], s[8:9]
	s_cbranch_execnz .LBB132_23
	s_branch .LBB132_24
.LBB132_1075:
	v_cmp_ne_u32_e32 vcc, v0, v2
	s_xor_b64 s[12:13], s[2:3], -1
	s_or_b64 s[14:15], s[12:13], vcc
	s_mov_b64 s[12:13], 0
	s_and_saveexec_b64 s[16:17], s[14:15]
	s_xor_b64 s[14:15], exec, s[16:17]
; %bb.1076:
	v_or_b32_e32 v1, v2, v0
	v_cmp_gt_u32_e32 vcc, 64, v1
	s_and_b64 s[12:13], vcc, exec
                                        ; implicit-def: $vgpr13_vgpr14
; %bb.1077:
	s_or_saveexec_b64 s[14:15], s[14:15]
	v_mov_b32_e32 v15, 0
	v_mov_b32_e32 v16, 0
	s_xor_b64 exec, exec, s[14:15]
	s_cbranch_execz .LBB132_1079
; %bb.1078:
	v_lshlrev_b64 v[13:14], 3, v[13:14]
	v_mov_b32_e32 v1, s90
	v_add_co_u32_e32 v13, vcc, s39, v13
	v_addc_co_u32_e32 v14, vcc, v1, v14, vcc
	flat_load_dwordx2 v[13:14], v[13:14]
	s_or_b64 s[12:13], s[12:13], exec
	s_waitcnt vmcnt(0) lgkmcnt(0)
	v_div_scale_f64 v[15:16], s[16:17], v[13:14], v[13:14], 1.0
	v_div_scale_f64 v[22:23], vcc, 1.0, v[13:14], 1.0
	v_rcp_f64_e32 v[18:19], v[15:16]
	v_fma_f64 v[20:21], -v[15:16], v[18:19], 1.0
	v_fma_f64 v[18:19], v[18:19], v[20:21], v[18:19]
	v_fma_f64 v[20:21], -v[15:16], v[18:19], 1.0
	v_fma_f64 v[18:19], v[18:19], v[20:21], v[18:19]
	v_mul_f64 v[20:21], v[22:23], v[18:19]
	v_fma_f64 v[15:16], -v[15:16], v[20:21], v[22:23]
	v_div_fmas_f64 v[15:16], v[15:16], v[18:19], v[20:21]
	v_div_fixup_f64 v[15:16], v[15:16], v[13:14], 1.0
.LBB132_1079:
	s_or_b64 exec, exec, s[14:15]
	s_and_b64 s[12:13], s[12:13], exec
                                        ; implicit-def: $vgpr13_vgpr14
	s_andn2_saveexec_b64 s[8:9], s[8:9]
	s_cbranch_execz .LBB132_36
.LBB132_1080:
	v_lshlrev_b64 v[13:14], 3, v[13:14]
	v_mov_b32_e32 v1, s90
	v_add_co_u32_e32 v13, vcc, s39, v13
	v_addc_co_u32_e32 v14, vcc, v1, v14, vcc
	flat_load_dwordx2 v[15:16], v[13:14]
	s_or_b64 s[12:13], s[12:13], exec
	s_waitcnt vmcnt(0) lgkmcnt(0)
	v_xor_b32_e32 v16, 0x80000000, v16
	s_or_b64 exec, exec, s[8:9]
	s_and_saveexec_b64 s[8:9], s[12:13]
	s_cbranch_execnz .LBB132_37
	s_branch .LBB132_38
.LBB132_1081:
	v_cmp_ne_u32_e32 vcc, v0, v1
	s_xor_b64 s[12:13], s[2:3], -1
	s_or_b64 s[14:15], s[12:13], vcc
	s_mov_b64 s[12:13], 0
	s_and_saveexec_b64 s[16:17], s[14:15]
	s_xor_b64 s[14:15], exec, s[16:17]
; %bb.1082:
	v_or_b32_e32 v13, v1, v0
	v_cmp_gt_u32_e32 vcc, 64, v13
	s_and_b64 s[12:13], vcc, exec
                                        ; implicit-def: $vgpr13_vgpr14
; %bb.1083:
	s_or_saveexec_b64 s[14:15], s[14:15]
	v_mov_b32_e32 v15, 0
	v_mov_b32_e32 v16, 0
	s_xor_b64 exec, exec, s[14:15]
	s_cbranch_execz .LBB132_1085
; %bb.1084:
	v_lshlrev_b64 v[13:14], 3, v[13:14]
	v_mov_b32_e32 v15, s90
	v_add_co_u32_e32 v13, vcc, s39, v13
	v_addc_co_u32_e32 v14, vcc, v15, v14, vcc
	flat_load_dwordx2 v[13:14], v[13:14]
	s_or_b64 s[12:13], s[12:13], exec
	s_waitcnt vmcnt(0) lgkmcnt(0)
	v_div_scale_f64 v[15:16], s[16:17], v[13:14], v[13:14], 1.0
	v_div_scale_f64 v[22:23], vcc, 1.0, v[13:14], 1.0
	v_rcp_f64_e32 v[18:19], v[15:16]
	v_fma_f64 v[20:21], -v[15:16], v[18:19], 1.0
	v_fma_f64 v[18:19], v[18:19], v[20:21], v[18:19]
	v_fma_f64 v[20:21], -v[15:16], v[18:19], 1.0
	v_fma_f64 v[18:19], v[18:19], v[20:21], v[18:19]
	v_mul_f64 v[20:21], v[22:23], v[18:19]
	v_fma_f64 v[15:16], -v[15:16], v[20:21], v[22:23]
	v_div_fmas_f64 v[15:16], v[15:16], v[18:19], v[20:21]
	v_div_fixup_f64 v[15:16], v[15:16], v[13:14], 1.0
.LBB132_1085:
	s_or_b64 exec, exec, s[14:15]
	s_and_b64 s[12:13], s[12:13], exec
                                        ; implicit-def: $vgpr13_vgpr14
	s_andn2_saveexec_b64 s[8:9], s[8:9]
	s_cbranch_execz .LBB132_40
.LBB132_1086:
	v_lshlrev_b64 v[13:14], 3, v[13:14]
	v_mov_b32_e32 v15, s90
	v_add_co_u32_e32 v13, vcc, s39, v13
	v_addc_co_u32_e32 v14, vcc, v15, v14, vcc
	flat_load_dwordx2 v[15:16], v[13:14]
	s_or_b64 s[12:13], s[12:13], exec
	s_waitcnt vmcnt(0) lgkmcnt(0)
	v_xor_b32_e32 v16, 0x80000000, v16
	s_or_b64 exec, exec, s[8:9]
	s_and_saveexec_b64 s[8:9], s[12:13]
	s_cbranch_execnz .LBB132_41
	s_branch .LBB132_42
.LBB132_1087:
	v_cmp_ne_u32_e32 vcc, v0, v1
	s_xor_b64 s[12:13], s[2:3], -1
	s_or_b64 s[14:15], s[12:13], vcc
	s_mov_b64 s[12:13], 0
	s_and_saveexec_b64 s[16:17], s[14:15]
	s_xor_b64 s[14:15], exec, s[16:17]
; %bb.1088:
	v_or_b32_e32 v13, v1, v0
	v_cmp_gt_u32_e32 vcc, 64, v13
	s_and_b64 s[12:13], vcc, exec
                                        ; implicit-def: $vgpr13_vgpr14
; %bb.1089:
	s_or_saveexec_b64 s[14:15], s[14:15]
	v_mov_b32_e32 v15, 0
	v_mov_b32_e32 v16, 0
	s_xor_b64 exec, exec, s[14:15]
	s_cbranch_execz .LBB132_1091
; %bb.1090:
	v_lshlrev_b64 v[13:14], 3, v[13:14]
	v_mov_b32_e32 v15, s90
	v_add_co_u32_e32 v13, vcc, s39, v13
	v_addc_co_u32_e32 v14, vcc, v15, v14, vcc
	flat_load_dwordx2 v[13:14], v[13:14]
	s_or_b64 s[12:13], s[12:13], exec
	s_waitcnt vmcnt(0) lgkmcnt(0)
	v_div_scale_f64 v[15:16], s[16:17], v[13:14], v[13:14], 1.0
	v_div_scale_f64 v[22:23], vcc, 1.0, v[13:14], 1.0
	v_rcp_f64_e32 v[18:19], v[15:16]
	v_fma_f64 v[20:21], -v[15:16], v[18:19], 1.0
	v_fma_f64 v[18:19], v[18:19], v[20:21], v[18:19]
	v_fma_f64 v[20:21], -v[15:16], v[18:19], 1.0
	v_fma_f64 v[18:19], v[18:19], v[20:21], v[18:19]
	v_mul_f64 v[20:21], v[22:23], v[18:19]
	v_fma_f64 v[15:16], -v[15:16], v[20:21], v[22:23]
	v_div_fmas_f64 v[15:16], v[15:16], v[18:19], v[20:21]
	v_div_fixup_f64 v[15:16], v[15:16], v[13:14], 1.0
.LBB132_1091:
	s_or_b64 exec, exec, s[14:15]
	s_and_b64 s[12:13], s[12:13], exec
                                        ; implicit-def: $vgpr13_vgpr14
	s_andn2_saveexec_b64 s[8:9], s[8:9]
	s_cbranch_execz .LBB132_44
.LBB132_1092:
	v_lshlrev_b64 v[13:14], 3, v[13:14]
	v_mov_b32_e32 v15, s90
	v_add_co_u32_e32 v13, vcc, s39, v13
	v_addc_co_u32_e32 v14, vcc, v15, v14, vcc
	flat_load_dwordx2 v[15:16], v[13:14]
	s_or_b64 s[12:13], s[12:13], exec
	s_waitcnt vmcnt(0) lgkmcnt(0)
	v_xor_b32_e32 v16, 0x80000000, v16
	s_or_b64 exec, exec, s[8:9]
	s_and_saveexec_b64 s[8:9], s[12:13]
	s_cbranch_execnz .LBB132_45
	s_branch .LBB132_46
.LBB132_1093:
	s_or_b64 exec, exec, s[10:11]
	s_and_b64 vcc, exec, s[8:9]
	s_cbranch_vccnz .LBB132_1031
.LBB132_1094:
	v_mov_b32_e32 v12, v2
	v_mov_b32_e32 v11, v1
	s_and_saveexec_b64 s[2:3], s[6:7]
	s_cbranch_execnz .LBB132_1052
	s_branch .LBB132_1053
.LBB132_1095:
	s_andn2_b64 s[4:5], s[6:7], exec
	s_and_b64 s[6:7], s[2:3], exec
	s_or_b64 s[6:7], s[4:5], s[6:7]
	s_cbranch_execnz .LBB132_1051
.LBB132_1096:
	v_cmp_gt_i32_e32 vcc, s38, v0
	s_and_b64 s[2:3], s[2:3], vcc
	s_andn2_b64 s[4:5], s[6:7], exec
	s_and_b64 s[2:3], s[2:3], exec
	s_or_b64 s[6:7], s[4:5], s[2:3]
	s_and_saveexec_b64 s[2:3], s[6:7]
	s_cbranch_execnz .LBB132_1052
	s_branch .LBB132_1053
.LBB132_1097:
	v_lshlrev_b32_e32 v21, 3, v20
	v_sub_u32_e32 v21, v18, v21
	v_lshl_add_u32 v21, v19, 3, v21
	ds_read_b64 v[21:22], v21 offset:544
	ds_read_b64 v[23:24], v18 offset:8
	s_waitcnt lgkmcnt(0)
	v_fma_f64 v[11:12], v[21:22], v[23:24], v[11:12]
	s_or_b64 exec, exec, s[14:15]
	v_cmp_gt_u32_e64 s[10:11], 8, v14
	s_and_saveexec_b64 s[14:15], s[10:11]
	s_cbranch_execz .LBB132_79
.LBB132_1098:
	ds_read_b64 v[21:22], v16 offset:1056
	ds_read_b64 v[23:24], v18 offset:16
	s_waitcnt lgkmcnt(0)
	v_fma_f64 v[11:12], v[21:22], v[23:24], v[11:12]
	s_or_b64 exec, exec, s[14:15]
	v_cmp_gt_u32_e64 s[10:11], 4, v14
	s_and_saveexec_b64 s[14:15], s[10:11]
	s_cbranch_execnz .LBB132_80
	s_branch .LBB132_81
.LBB132_1099:
	v_lshlrev_b32_e32 v26, 3, v25
	v_sub_u32_e32 v26, v23, v26
	v_lshl_add_u32 v26, v24, 3, v26
	ds_read_b64 v[26:27], v26 offset:576
	ds_read_b64 v[28:29], v23 offset:8
	s_waitcnt lgkmcnt(0)
	v_fma_f64 v[11:12], v[26:27], v[28:29], v[11:12]
	s_or_b64 exec, exec, s[16:17]
	v_cmp_gt_u32_e64 s[14:15], 48, v14
	s_and_saveexec_b64 s[16:17], s[14:15]
	s_cbranch_execz .LBB132_121
.LBB132_1100:
	v_lshlrev_b32_e32 v26, 3, v25
	v_sub_u32_e32 v26, v23, v26
	v_lshl_add_u32 v26, v24, 3, v26
	ds_read_b64 v[26:27], v26 offset:1088
	ds_read_b64 v[28:29], v23 offset:16
	s_waitcnt lgkmcnt(0)
	v_fma_f64 v[11:12], v[26:27], v[28:29], v[11:12]
	s_or_b64 exec, exec, s[16:17]
	v_cmp_gt_u32_e64 s[14:15], 40, v14
	s_and_saveexec_b64 s[16:17], s[14:15]
	s_cbranch_execz .LBB132_122
.LBB132_1101:
	v_lshlrev_b32_e32 v26, 3, v25
	v_sub_u32_e32 v26, v23, v26
	v_lshl_add_u32 v26, v24, 3, v26
	ds_read_b64 v[26:27], v26 offset:1600
	ds_read_b64 v[28:29], v23 offset:24
	s_waitcnt lgkmcnt(0)
	v_fma_f64 v[11:12], v[26:27], v[28:29], v[11:12]
	s_or_b64 exec, exec, s[16:17]
	v_cmp_gt_u32_e64 s[14:15], 32, v14
	s_and_saveexec_b64 s[16:17], s[14:15]
	s_cbranch_execz .LBB132_123
.LBB132_1102:
	ds_read_b64 v[26:27], v21 offset:2112
	ds_read_b64 v[28:29], v23 offset:32
	s_waitcnt lgkmcnt(0)
	v_fma_f64 v[11:12], v[26:27], v[28:29], v[11:12]
	s_or_b64 exec, exec, s[16:17]
	v_cmp_gt_u32_e64 s[14:15], 24, v14
	s_and_saveexec_b64 s[16:17], s[14:15]
	s_cbranch_execz .LBB132_124
.LBB132_1103:
	v_lshlrev_b32_e32 v26, 3, v25
	v_sub_u32_e32 v26, v23, v26
	v_lshl_add_u32 v26, v24, 3, v26
	ds_read_b64 v[26:27], v26 offset:2624
	ds_read_b64 v[28:29], v23 offset:40
	s_waitcnt lgkmcnt(0)
	v_fma_f64 v[11:12], v[26:27], v[28:29], v[11:12]
	s_or_b64 exec, exec, s[16:17]
	v_cmp_gt_u32_e64 s[14:15], 16, v14
	s_and_saveexec_b64 s[16:17], s[14:15]
	s_cbranch_execz .LBB132_125
.LBB132_1104:
	ds_read_b64 v[26:27], v21 offset:3136
	ds_read_b64 v[28:29], v23 offset:48
	s_waitcnt lgkmcnt(0)
	v_fma_f64 v[11:12], v[26:27], v[28:29], v[11:12]
	s_or_b64 exec, exec, s[16:17]
	v_cmp_gt_u32_e64 s[14:15], 8, v14
	s_and_saveexec_b64 s[16:17], s[14:15]
	s_cbranch_execnz .LBB132_126
	s_branch .LBB132_127
.LBB132_1105:
	v_lshlrev_b32_e32 v27, 3, v20
	v_sub_u32_e32 v27, v26, v27
	v_lshl_add_u32 v27, v19, 3, v27
	ds_read_b64 v[27:28], v27 offset:4704
	ds_read_b64 v[29:30], v26 offset:4168
	s_waitcnt lgkmcnt(0)
	v_fma_f64 v[11:12], v[27:28], v[29:30], v[11:12]
	s_or_b64 exec, exec, s[14:15]
	v_cmp_gt_u32_e64 s[10:11], 8, v14
	s_and_saveexec_b64 s[14:15], s[10:11]
	s_cbranch_execz .LBB132_183
.LBB132_1106:
	ds_read_b64 v[27:28], v16 offset:5216
	ds_read_b64 v[29:30], v26 offset:4176
	s_waitcnt lgkmcnt(0)
	v_fma_f64 v[11:12], v[27:28], v[29:30], v[11:12]
	s_or_b64 exec, exec, s[14:15]
	v_cmp_gt_u32_e64 s[10:11], 4, v14
	s_and_saveexec_b64 s[14:15], s[10:11]
	s_cbranch_execnz .LBB132_184
	s_branch .LBB132_185
.LBB132_1107:
	v_lshlrev_b32_e32 v31, 3, v27
	v_lshl_add_u32 v31, v29, 3, v31
	ds_read_b64 v[31:32], v31 offset:5760
	ds_read_b64 v[33:34], v28 offset:88
	s_waitcnt lgkmcnt(0)
	v_fma_f64 v[11:12], v[31:32], v[33:34], v[11:12]
	s_or_b64 exec, exec, s[20:21]
	v_cmp_gt_u32_e64 s[16:17], 64, v14
	s_and_saveexec_b64 s[20:21], s[16:17]
	s_cbranch_execz .LBB132_245
.LBB132_1108:
	ds_read_b64 v[31:32], v26 offset:6272
	ds_read_b64 v[33:34], v28 offset:96
	s_waitcnt lgkmcnt(0)
	v_fma_f64 v[11:12], v[31:32], v[33:34], v[11:12]
	s_or_b64 exec, exec, s[20:21]
	v_cmp_gt_u32_e64 s[16:17], 48, v14
	s_and_saveexec_b64 s[20:21], s[16:17]
	s_cbranch_execz .LBB132_246
.LBB132_1109:
	v_lshlrev_b32_e32 v31, 3, v27
	v_lshl_add_u32 v31, v29, 3, v31
	ds_read_b64 v[31:32], v31 offset:6784
	ds_read_b64 v[33:34], v28 offset:104
	s_waitcnt lgkmcnt(0)
	v_fma_f64 v[11:12], v[31:32], v[33:34], v[11:12]
	s_or_b64 exec, exec, s[20:21]
	v_cmp_gt_u32_e64 s[16:17], 32, v14
	s_and_saveexec_b64 s[20:21], s[16:17]
	s_cbranch_execz .LBB132_247
.LBB132_1110:
	ds_read_b64 v[31:32], v26 offset:7296
	ds_read_b64 v[33:34], v28 offset:112
	s_waitcnt lgkmcnt(0)
	v_fma_f64 v[11:12], v[31:32], v[33:34], v[11:12]
	s_or_b64 exec, exec, s[20:21]
	v_cmp_gt_u32_e64 s[16:17], 16, v14
	s_and_saveexec_b64 s[20:21], s[16:17]
	s_cbranch_execnz .LBB132_248
	s_branch .LBB132_249
.LBB132_1111:
	v_lshlrev_b32_e32 v32, 3, v20
	v_sub_u32_e32 v32, v31, v32
	v_lshl_add_u32 v32, v19, 3, v32
	ds_read_b64 v[32:33], v32 offset:8864
	ds_read_b64 v[34:35], v31 offset:8328
	s_waitcnt lgkmcnt(0)
	v_fma_f64 v[11:12], v[32:33], v[34:35], v[11:12]
	s_or_b64 exec, exec, s[20:21]
	v_cmp_gt_u32_e64 s[14:15], 8, v14
	s_and_saveexec_b64 s[0:1], s[14:15]
	s_cbranch_execz .LBB132_337
.LBB132_1112:
	ds_read_b64 v[32:33], v16 offset:9376
	ds_read_b64 v[34:35], v31 offset:8336
	s_waitcnt lgkmcnt(0)
	v_fma_f64 v[11:12], v[32:33], v[34:35], v[11:12]
	s_or_b64 exec, exec, s[0:1]
	v_cmp_gt_u32_e64 s[14:15], 4, v14
	s_and_saveexec_b64 s[20:21], s[14:15]
	s_cbranch_execnz .LBB132_338
	s_branch .LBB132_339
.LBB132_1113:
	v_lshlrev_b32_e32 v32, 3, v25
	v_sub_u32_e32 v32, v31, v32
	v_lshl_add_u32 v32, v24, 3, v32
	ds_read_b64 v[32:33], v32 offset:8896
	ds_read_b64 v[34:35], v31 offset:8328
	s_waitcnt lgkmcnt(0)
	v_fma_f64 v[11:12], v[32:33], v[34:35], v[11:12]
	s_or_b64 exec, exec, s[20:21]
	v_cmp_gt_u32_e64 s[14:15], 48, v14
	s_and_saveexec_b64 s[20:21], s[14:15]
	s_cbranch_execz .LBB132_379
.LBB132_1114:
	v_lshlrev_b32_e32 v32, 3, v25
	v_sub_u32_e32 v32, v31, v32
	v_lshl_add_u32 v32, v24, 3, v32
	ds_read_b64 v[32:33], v32 offset:9408
	ds_read_b64 v[34:35], v31 offset:8336
	s_waitcnt lgkmcnt(0)
	v_fma_f64 v[11:12], v[32:33], v[34:35], v[11:12]
	s_or_b64 exec, exec, s[20:21]
	v_cmp_gt_u32_e64 s[14:15], 40, v14
	s_and_saveexec_b64 s[20:21], s[14:15]
	s_cbranch_execz .LBB132_380
.LBB132_1115:
	v_lshlrev_b32_e32 v32, 3, v25
	v_sub_u32_e32 v32, v31, v32
	v_lshl_add_u32 v32, v24, 3, v32
	ds_read_b64 v[32:33], v32 offset:9920
	ds_read_b64 v[34:35], v31 offset:8344
	s_waitcnt lgkmcnt(0)
	v_fma_f64 v[11:12], v[32:33], v[34:35], v[11:12]
	s_or_b64 exec, exec, s[20:21]
	v_cmp_gt_u32_e64 s[14:15], 32, v14
	s_and_saveexec_b64 s[0:1], s[14:15]
	s_cbranch_execz .LBB132_381
.LBB132_1116:
	ds_read_b64 v[32:33], v21 offset:10432
	ds_read_b64 v[34:35], v31 offset:8352
	s_waitcnt lgkmcnt(0)
	v_fma_f64 v[11:12], v[32:33], v[34:35], v[11:12]
	s_or_b64 exec, exec, s[0:1]
	v_cmp_gt_u32_e64 s[14:15], 24, v14
	s_and_saveexec_b64 s[20:21], s[14:15]
	s_cbranch_execz .LBB132_382
.LBB132_1117:
	v_lshlrev_b32_e32 v32, 3, v25
	v_sub_u32_e32 v32, v31, v32
	v_lshl_add_u32 v32, v24, 3, v32
	ds_read_b64 v[32:33], v32 offset:10944
	ds_read_b64 v[34:35], v31 offset:8360
	s_waitcnt lgkmcnt(0)
	v_fma_f64 v[11:12], v[32:33], v[34:35], v[11:12]
	s_or_b64 exec, exec, s[20:21]
	v_cmp_gt_u32_e64 s[14:15], 16, v14
	s_and_saveexec_b64 s[0:1], s[14:15]
	s_cbranch_execz .LBB132_383
.LBB132_1118:
	ds_read_b64 v[32:33], v21 offset:11456
	ds_read_b64 v[34:35], v31 offset:8368
	s_waitcnt lgkmcnt(0)
	v_fma_f64 v[11:12], v[32:33], v[34:35], v[11:12]
	s_or_b64 exec, exec, s[0:1]
	v_cmp_gt_u32_e64 s[14:15], 8, v14
	s_and_saveexec_b64 s[20:21], s[14:15]
	s_cbranch_execnz .LBB132_384
	s_branch .LBB132_385
.LBB132_1119:
	v_lshlrev_b32_e32 v32, 3, v20
	v_sub_u32_e32 v32, v31, v32
	v_lshl_add_u32 v32, v19, 3, v32
	ds_read_b64 v[32:33], v32 offset:13024
	ds_read_b64 v[34:35], v31 offset:12488
	s_waitcnt lgkmcnt(0)
	v_fma_f64 v[11:12], v[32:33], v[34:35], v[11:12]
	s_or_b64 exec, exec, s[20:21]
	v_cmp_gt_u32_e64 s[14:15], 8, v14
	s_and_saveexec_b64 s[0:1], s[14:15]
	s_cbranch_execz .LBB132_441
.LBB132_1120:
	ds_read_b64 v[32:33], v16 offset:13536
	ds_read_b64 v[34:35], v31 offset:12496
	s_waitcnt lgkmcnt(0)
	v_fma_f64 v[11:12], v[32:33], v[34:35], v[11:12]
	s_or_b64 exec, exec, s[0:1]
	v_cmp_gt_u32_e64 s[14:15], 4, v14
	s_and_saveexec_b64 s[20:21], s[14:15]
	s_cbranch_execnz .LBB132_442
	s_branch .LBB132_443
.LBB132_1121:
	ds_read_b64 v[35:36], v31 offset:15104
	ds_read_b64 v[37:38], v34 offset:232
	s_waitcnt lgkmcnt(0)
	v_fma_f64 v[11:12], v[35:36], v[37:38], v[11:12]
	s_or_b64 exec, exec, s[0:1]
	v_cmp_gt_u32_e64 s[20:21], 64, v14
	s_and_saveexec_b64 s[0:1], s[20:21]
	s_cbranch_execz .LBB132_539
.LBB132_1122:
	ds_read_b64 v[35:36], v31 offset:15616
	ds_read_b64 v[37:38], v34 offset:240
	s_waitcnt lgkmcnt(0)
	v_fma_f64 v[11:12], v[35:36], v[37:38], v[11:12]
	s_or_b64 exec, exec, s[0:1]
	v_cmp_gt_u32_e64 s[20:21], 32, v14
	s_and_saveexec_b64 s[0:1], s[20:21]
	s_cbranch_execnz .LBB132_540
	s_branch .LBB132_541
.LBB132_1123:
	v_lshlrev_b32_e32 v32, 3, v20
	v_sub_u32_e32 v32, v31, v32
	v_lshl_add_u32 v32, v19, 3, v32
	ds_read_b64 v[32:33], v32 offset:17184
	ds_read_b64 v[34:35], v31 offset:16648
	s_waitcnt lgkmcnt(0)
	v_fma_f64 v[11:12], v[32:33], v[34:35], v[11:12]
	s_or_b64 exec, exec, s[16:17]
	v_cmp_gt_u32_e64 s[12:13], 8, v14
	s_and_saveexec_b64 s[0:1], s[12:13]
	s_cbranch_execz .LBB132_585
.LBB132_1124:
	ds_read_b64 v[32:33], v16 offset:17696
	ds_read_b64 v[34:35], v31 offset:16656
	s_waitcnt lgkmcnt(0)
	v_fma_f64 v[11:12], v[32:33], v[34:35], v[11:12]
	s_or_b64 exec, exec, s[0:1]
	v_cmp_gt_u32_e64 s[12:13], 4, v14
	s_and_saveexec_b64 s[0:1], s[12:13]
	s_cbranch_execnz .LBB132_586
	s_branch .LBB132_587
.LBB132_1125:
	v_lshlrev_b32_e32 v32, 3, v25
	v_sub_u32_e32 v32, v31, v32
	v_lshl_add_u32 v32, v24, 3, v32
	ds_read_b64 v[32:33], v32 offset:17216
	ds_read_b64 v[34:35], v31 offset:16648
	s_waitcnt lgkmcnt(0)
	v_fma_f64 v[11:12], v[32:33], v[34:35], v[11:12]
	s_or_b64 exec, exec, s[16:17]
	v_cmp_gt_u32_e64 s[12:13], 48, v14
	s_and_saveexec_b64 s[0:1], s[12:13]
	s_cbranch_execz .LBB132_627
.LBB132_1126:
	v_lshlrev_b32_e32 v32, 3, v25
	v_sub_u32_e32 v32, v31, v32
	v_lshl_add_u32 v32, v24, 3, v32
	ds_read_b64 v[32:33], v32 offset:17728
	ds_read_b64 v[34:35], v31 offset:16656
	s_waitcnt lgkmcnt(0)
	v_fma_f64 v[11:12], v[32:33], v[34:35], v[11:12]
	s_or_b64 exec, exec, s[0:1]
	v_cmp_gt_u32_e64 s[12:13], 40, v14
	s_and_saveexec_b64 s[0:1], s[12:13]
	s_cbranch_execz .LBB132_628
.LBB132_1127:
	v_lshlrev_b32_e32 v32, 3, v25
	v_sub_u32_e32 v32, v31, v32
	v_lshl_add_u32 v32, v24, 3, v32
	ds_read_b64 v[32:33], v32 offset:18240
	ds_read_b64 v[34:35], v31 offset:16664
	s_waitcnt lgkmcnt(0)
	v_fma_f64 v[11:12], v[32:33], v[34:35], v[11:12]
	s_or_b64 exec, exec, s[0:1]
	v_cmp_gt_u32_e64 s[12:13], 32, v14
	s_and_saveexec_b64 s[0:1], s[12:13]
	s_cbranch_execz .LBB132_629
.LBB132_1128:
	ds_read_b64 v[32:33], v21 offset:18752
	ds_read_b64 v[34:35], v31 offset:16672
	s_waitcnt lgkmcnt(0)
	v_fma_f64 v[11:12], v[32:33], v[34:35], v[11:12]
	s_or_b64 exec, exec, s[0:1]
	v_cmp_gt_u32_e64 s[12:13], 24, v14
	s_and_saveexec_b64 s[0:1], s[12:13]
	s_cbranch_execz .LBB132_630
.LBB132_1129:
	v_lshlrev_b32_e32 v32, 3, v25
	v_sub_u32_e32 v32, v31, v32
	v_lshl_add_u32 v32, v24, 3, v32
	ds_read_b64 v[32:33], v32 offset:19264
	ds_read_b64 v[34:35], v31 offset:16680
	s_waitcnt lgkmcnt(0)
	v_fma_f64 v[11:12], v[32:33], v[34:35], v[11:12]
	s_or_b64 exec, exec, s[0:1]
	v_cmp_gt_u32_e64 s[12:13], 16, v14
	s_and_saveexec_b64 s[0:1], s[12:13]
	s_cbranch_execz .LBB132_631
.LBB132_1130:
	ds_read_b64 v[32:33], v21 offset:19776
	ds_read_b64 v[34:35], v31 offset:16688
	s_waitcnt lgkmcnt(0)
	v_fma_f64 v[11:12], v[32:33], v[34:35], v[11:12]
	s_or_b64 exec, exec, s[0:1]
	v_cmp_gt_u32_e64 s[12:13], 8, v14
	s_and_saveexec_b64 s[0:1], s[12:13]
	s_cbranch_execnz .LBB132_632
	s_branch .LBB132_633
.LBB132_1131:
	v_lshlrev_b32_e32 v32, 3, v20
	v_sub_u32_e32 v32, v31, v32
	v_lshl_add_u32 v32, v19, 3, v32
	ds_read_b64 v[32:33], v32 offset:21344
	ds_read_b64 v[34:35], v31 offset:20808
	s_waitcnt lgkmcnt(0)
	v_fma_f64 v[11:12], v[32:33], v[34:35], v[11:12]
	s_or_b64 exec, exec, s[16:17]
	v_cmp_gt_u32_e64 s[12:13], 8, v14
	s_and_saveexec_b64 s[0:1], s[12:13]
	s_cbranch_execz .LBB132_689
.LBB132_1132:
	ds_read_b64 v[32:33], v16 offset:21856
	ds_read_b64 v[34:35], v31 offset:20816
	s_waitcnt lgkmcnt(0)
	v_fma_f64 v[11:12], v[32:33], v[34:35], v[11:12]
	s_or_b64 exec, exec, s[0:1]
	v_cmp_gt_u32_e64 s[12:13], 4, v14
	s_and_saveexec_b64 s[0:1], s[12:13]
	s_cbranch_execnz .LBB132_690
	s_branch .LBB132_691
.LBB132_1133:
	v_lshlrev_b32_e32 v30, 3, v27
	v_lshl_add_u32 v30, v29, 3, v30
	ds_read_b64 v[32:33], v30 offset:22400
	ds_read_b64 v[34:35], v31 offset:16728
	s_waitcnt lgkmcnt(0)
	v_fma_f64 v[11:12], v[32:33], v[34:35], v[11:12]
	s_or_b64 exec, exec, s[0:1]
	v_cmp_gt_u32_e64 s[12:13], 64, v14
	s_and_saveexec_b64 s[0:1], s[12:13]
	s_cbranch_execz .LBB132_751
.LBB132_1134:
	ds_read_b64 v[32:33], v26 offset:22912
	ds_read_b64 v[34:35], v31 offset:16736
	s_waitcnt lgkmcnt(0)
	v_fma_f64 v[11:12], v[32:33], v[34:35], v[11:12]
	s_or_b64 exec, exec, s[0:1]
	v_cmp_gt_u32_e64 s[12:13], 48, v14
	s_and_saveexec_b64 s[0:1], s[12:13]
	s_cbranch_execz .LBB132_752
.LBB132_1135:
	v_lshlrev_b32_e32 v30, 3, v27
	v_lshl_add_u32 v29, v29, 3, v30
	ds_read_b64 v[29:30], v29 offset:23424
	ds_read_b64 v[32:33], v31 offset:16744
	s_waitcnt lgkmcnt(0)
	v_fma_f64 v[11:12], v[29:30], v[32:33], v[11:12]
	s_or_b64 exec, exec, s[0:1]
	v_cmp_gt_u32_e64 s[12:13], 32, v14
	s_and_saveexec_b64 s[0:1], s[12:13]
	s_cbranch_execz .LBB132_753
.LBB132_1136:
	ds_read_b64 v[29:30], v26 offset:23936
	ds_read_b64 v[31:32], v31 offset:16752
	s_waitcnt lgkmcnt(0)
	v_fma_f64 v[11:12], v[29:30], v[31:32], v[11:12]
	s_or_b64 exec, exec, s[0:1]
	v_cmp_gt_u32_e64 s[12:13], 16, v14
	s_and_saveexec_b64 s[0:1], s[12:13]
	s_cbranch_execnz .LBB132_754
	s_branch .LBB132_755
.LBB132_1137:
	v_lshlrev_b32_e32 v27, 3, v20
	v_sub_u32_e32 v27, v26, v27
	v_lshl_add_u32 v27, v19, 3, v27
	ds_read_b64 v[27:28], v27 offset:25504
	ds_read_b64 v[29:30], v26 offset:24968
	s_waitcnt lgkmcnt(0)
	v_fma_f64 v[11:12], v[27:28], v[29:30], v[11:12]
	s_or_b64 exec, exec, s[12:13]
	v_cmp_gt_u32_e64 s[10:11], 8, v14
	s_and_saveexec_b64 s[12:13], s[10:11]
	s_cbranch_execz .LBB132_843
.LBB132_1138:
	ds_read_b64 v[27:28], v16 offset:26016
	ds_read_b64 v[29:30], v26 offset:24976
	s_waitcnt lgkmcnt(0)
	v_fma_f64 v[11:12], v[27:28], v[29:30], v[11:12]
	s_or_b64 exec, exec, s[12:13]
	v_cmp_gt_u32_e64 s[10:11], 4, v14
	s_and_saveexec_b64 s[12:13], s[10:11]
	s_cbranch_execnz .LBB132_844
	s_branch .LBB132_845
.LBB132_1139:
	v_lshlrev_b32_e32 v27, 3, v25
	v_sub_u32_e32 v27, v26, v27
	v_lshl_add_u32 v27, v24, 3, v27
	ds_read_b64 v[27:28], v27 offset:25536
	ds_read_b64 v[29:30], v26 offset:24968
	s_waitcnt lgkmcnt(0)
	v_fma_f64 v[11:12], v[27:28], v[29:30], v[11:12]
	s_or_b64 exec, exec, s[12:13]
	v_cmp_gt_u32_e64 s[10:11], 48, v14
	s_and_saveexec_b64 s[12:13], s[10:11]
	s_cbranch_execz .LBB132_885
.LBB132_1140:
	v_lshlrev_b32_e32 v27, 3, v25
	v_sub_u32_e32 v27, v26, v27
	v_lshl_add_u32 v27, v24, 3, v27
	ds_read_b64 v[27:28], v27 offset:26048
	ds_read_b64 v[29:30], v26 offset:24976
	s_waitcnt lgkmcnt(0)
	v_fma_f64 v[11:12], v[27:28], v[29:30], v[11:12]
	s_or_b64 exec, exec, s[12:13]
	v_cmp_gt_u32_e64 s[10:11], 40, v14
	s_and_saveexec_b64 s[12:13], s[10:11]
	s_cbranch_execz .LBB132_886
.LBB132_1141:
	v_lshlrev_b32_e32 v27, 3, v25
	v_sub_u32_e32 v27, v26, v27
	v_lshl_add_u32 v27, v24, 3, v27
	ds_read_b64 v[27:28], v27 offset:26560
	ds_read_b64 v[29:30], v26 offset:24984
	s_waitcnt lgkmcnt(0)
	v_fma_f64 v[11:12], v[27:28], v[29:30], v[11:12]
	s_or_b64 exec, exec, s[12:13]
	v_cmp_gt_u32_e64 s[10:11], 32, v14
	s_and_saveexec_b64 s[12:13], s[10:11]
	s_cbranch_execz .LBB132_887
.LBB132_1142:
	ds_read_b64 v[27:28], v21 offset:27072
	ds_read_b64 v[29:30], v26 offset:24992
	s_waitcnt lgkmcnt(0)
	v_fma_f64 v[11:12], v[27:28], v[29:30], v[11:12]
	s_or_b64 exec, exec, s[12:13]
	v_cmp_gt_u32_e64 s[10:11], 24, v14
	s_and_saveexec_b64 s[12:13], s[10:11]
	s_cbranch_execz .LBB132_888
.LBB132_1143:
	v_lshlrev_b32_e32 v25, 3, v25
	v_sub_u32_e32 v25, v26, v25
	v_lshl_add_u32 v24, v24, 3, v25
	ds_read_b64 v[24:25], v24 offset:27584
	ds_read_b64 v[27:28], v26 offset:25000
	s_waitcnt lgkmcnt(0)
	v_fma_f64 v[11:12], v[24:25], v[27:28], v[11:12]
	s_or_b64 exec, exec, s[12:13]
	v_cmp_gt_u32_e64 s[10:11], 16, v14
	s_and_saveexec_b64 s[12:13], s[10:11]
	s_cbranch_execz .LBB132_889
.LBB132_1144:
	ds_read_b64 v[24:25], v21 offset:28096
	ds_read_b64 v[26:27], v26 offset:25008
	s_waitcnt lgkmcnt(0)
	v_fma_f64 v[11:12], v[24:25], v[26:27], v[11:12]
	s_or_b64 exec, exec, s[12:13]
	v_cmp_gt_u32_e64 s[10:11], 8, v14
	s_and_saveexec_b64 s[12:13], s[10:11]
	s_cbranch_execnz .LBB132_890
	s_branch .LBB132_891
.LBB132_1145:
	v_lshlrev_b32_e32 v20, 3, v20
	v_sub_u32_e32 v20, v21, v20
	v_lshl_add_u32 v19, v19, 3, v20
	ds_read_b64 v[19:20], v19 offset:29664
	ds_read_b64 v[22:23], v21 offset:29128
	s_waitcnt lgkmcnt(0)
	v_fma_f64 v[11:12], v[19:20], v[22:23], v[11:12]
	s_or_b64 exec, exec, s[10:11]
	v_cmp_gt_u32_e64 s[8:9], 8, v14
	s_and_saveexec_b64 s[10:11], s[8:9]
	s_cbranch_execz .LBB132_947
.LBB132_1146:
	ds_read_b64 v[19:20], v16 offset:30176
	ds_read_b64 v[21:22], v21 offset:29136
	s_waitcnt lgkmcnt(0)
	v_fma_f64 v[11:12], v[19:20], v[21:22], v[11:12]
	s_or_b64 exec, exec, s[10:11]
	v_cmp_gt_u32_e64 s[8:9], 4, v14
	s_and_saveexec_b64 s[10:11], s[8:9]
	s_cbranch_execnz .LBB132_948
	s_branch .LBB132_949
	.section	.rodata,"a",@progbits
	.p2align	6, 0x0
	.amdhsa_kernel _ZL19rocblas_trsv_deviceILi64ELi16ELb1ELb1ELb1ELb0EdPKdPKS1_PKPdEviT7_lllT6_T8_lllPii
		.amdhsa_group_segment_fixed_size 41480
		.amdhsa_private_segment_fixed_size 0
		.amdhsa_kernarg_size 352
		.amdhsa_user_sgpr_count 6
		.amdhsa_user_sgpr_private_segment_buffer 1
		.amdhsa_user_sgpr_dispatch_ptr 0
		.amdhsa_user_sgpr_queue_ptr 0
		.amdhsa_user_sgpr_kernarg_segment_ptr 1
		.amdhsa_user_sgpr_dispatch_id 0
		.amdhsa_user_sgpr_flat_scratch_init 0
		.amdhsa_user_sgpr_private_segment_size 0
		.amdhsa_uses_dynamic_stack 0
		.amdhsa_system_sgpr_private_segment_wavefront_offset 0
		.amdhsa_system_sgpr_workgroup_id_x 1
		.amdhsa_system_sgpr_workgroup_id_y 0
		.amdhsa_system_sgpr_workgroup_id_z 1
		.amdhsa_system_sgpr_workgroup_info 0
		.amdhsa_system_vgpr_workitem_id 1
		.amdhsa_next_free_vgpr 49
		.amdhsa_next_free_sgpr 98
		.amdhsa_reserve_vcc 1
		.amdhsa_reserve_flat_scratch 0
		.amdhsa_float_round_mode_32 0
		.amdhsa_float_round_mode_16_64 0
		.amdhsa_float_denorm_mode_32 3
		.amdhsa_float_denorm_mode_16_64 3
		.amdhsa_dx10_clamp 1
		.amdhsa_ieee_mode 1
		.amdhsa_fp16_overflow 0
		.amdhsa_exception_fp_ieee_invalid_op 0
		.amdhsa_exception_fp_denorm_src 0
		.amdhsa_exception_fp_ieee_div_zero 0
		.amdhsa_exception_fp_ieee_overflow 0
		.amdhsa_exception_fp_ieee_underflow 0
		.amdhsa_exception_fp_ieee_inexact 0
		.amdhsa_exception_int_div_zero 0
	.end_amdhsa_kernel
	.section	.text._ZL19rocblas_trsv_deviceILi64ELi16ELb1ELb1ELb1ELb0EdPKdPKS1_PKPdEviT7_lllT6_T8_lllPii,"axG",@progbits,_ZL19rocblas_trsv_deviceILi64ELi16ELb1ELb1ELb1ELb0EdPKdPKS1_PKPdEviT7_lllT6_T8_lllPii,comdat
.Lfunc_end132:
	.size	_ZL19rocblas_trsv_deviceILi64ELi16ELb1ELb1ELb1ELb0EdPKdPKS1_PKPdEviT7_lllT6_T8_lllPii, .Lfunc_end132-_ZL19rocblas_trsv_deviceILi64ELi16ELb1ELb1ELb1ELb0EdPKdPKS1_PKPdEviT7_lllT6_T8_lllPii
                                        ; -- End function
	.set _ZL19rocblas_trsv_deviceILi64ELi16ELb1ELb1ELb1ELb0EdPKdPKS1_PKPdEviT7_lllT6_T8_lllPii.num_vgpr, 43
	.set _ZL19rocblas_trsv_deviceILi64ELi16ELb1ELb1ELb1ELb0EdPKdPKS1_PKPdEviT7_lllT6_T8_lllPii.num_agpr, 0
	.set _ZL19rocblas_trsv_deviceILi64ELi16ELb1ELb1ELb1ELb0EdPKdPKS1_PKPdEviT7_lllT6_T8_lllPii.numbered_sgpr, 96
	.set _ZL19rocblas_trsv_deviceILi64ELi16ELb1ELb1ELb1ELb0EdPKdPKS1_PKPdEviT7_lllT6_T8_lllPii.num_named_barrier, 0
	.set _ZL19rocblas_trsv_deviceILi64ELi16ELb1ELb1ELb1ELb0EdPKdPKS1_PKPdEviT7_lllT6_T8_lllPii.private_seg_size, 0
	.set _ZL19rocblas_trsv_deviceILi64ELi16ELb1ELb1ELb1ELb0EdPKdPKS1_PKPdEviT7_lllT6_T8_lllPii.uses_vcc, 1
	.set _ZL19rocblas_trsv_deviceILi64ELi16ELb1ELb1ELb1ELb0EdPKdPKS1_PKPdEviT7_lllT6_T8_lllPii.uses_flat_scratch, 0
	.set _ZL19rocblas_trsv_deviceILi64ELi16ELb1ELb1ELb1ELb0EdPKdPKS1_PKPdEviT7_lllT6_T8_lllPii.has_dyn_sized_stack, 0
	.set _ZL19rocblas_trsv_deviceILi64ELi16ELb1ELb1ELb1ELb0EdPKdPKS1_PKPdEviT7_lllT6_T8_lllPii.has_recursion, 0
	.set _ZL19rocblas_trsv_deviceILi64ELi16ELb1ELb1ELb1ELb0EdPKdPKS1_PKPdEviT7_lllT6_T8_lllPii.has_indirect_call, 0
	.section	.AMDGPU.csdata,"",@progbits
; Kernel info:
; codeLenInByte = 38636
; TotalNumSgprs: 100
; NumVgprs: 43
; ScratchSize: 0
; MemoryBound: 0
; FloatMode: 240
; IeeeMode: 1
; LDSByteSize: 41480 bytes/workgroup (compile time only)
; SGPRBlocks: 12
; VGPRBlocks: 12
; NumSGPRsForWavesPerEU: 102
; NumVGPRsForWavesPerEU: 49
; Occupancy: 4
; WaveLimiterHint : 1
; COMPUTE_PGM_RSRC2:SCRATCH_EN: 0
; COMPUTE_PGM_RSRC2:USER_SGPR: 6
; COMPUTE_PGM_RSRC2:TRAP_HANDLER: 0
; COMPUTE_PGM_RSRC2:TGID_X_EN: 1
; COMPUTE_PGM_RSRC2:TGID_Y_EN: 0
; COMPUTE_PGM_RSRC2:TGID_Z_EN: 1
; COMPUTE_PGM_RSRC2:TIDIG_COMP_CNT: 1
	.section	.text._ZL19rocblas_trsv_deviceILi64ELi16ELb0ELb0ELb0ELb1EddPKPKdPKPdEviT7_lllT6_T8_lllPii,"axG",@progbits,_ZL19rocblas_trsv_deviceILi64ELi16ELb0ELb0ELb0ELb1EddPKPKdPKPdEviT7_lllT6_T8_lllPii,comdat
	.globl	_ZL19rocblas_trsv_deviceILi64ELi16ELb0ELb0ELb0ELb1EddPKPKdPKPdEviT7_lllT6_T8_lllPii ; -- Begin function _ZL19rocblas_trsv_deviceILi64ELi16ELb0ELb0ELb0ELb1EddPKPKdPKPdEviT7_lllT6_T8_lllPii
	.p2align	8
	.type	_ZL19rocblas_trsv_deviceILi64ELi16ELb0ELb0ELb0ELb1EddPKPKdPKPdEviT7_lllT6_T8_lllPii,@function
_ZL19rocblas_trsv_deviceILi64ELi16ELb0ELb0ELb0ELb1EddPKPKdPKPdEviT7_lllT6_T8_lllPii: ; @_ZL19rocblas_trsv_deviceILi64ELi16ELb0ELb0ELb0ELb1EddPKPKdPKPdEviT7_lllT6_T8_lllPii
; %bb.0:
	s_load_dwordx4 s[0:3], s[4:5], 0x8
	s_mov_b32 s18, s7
	s_mov_b32 s19, 0
	s_lshl_b64 s[8:9], s[18:19], 3
	s_waitcnt lgkmcnt(0)
	s_add_u32 s0, s0, s8
	s_addc_u32 s1, s1, s9
	s_load_dwordx2 s[10:11], s[0:1], 0x0
	s_load_dword s28, s[4:5], 0x0
	s_load_dwordx2 s[30:31], s[4:5], 0x18
	s_load_dwordx8 s[20:27], s[4:5], 0x28
	s_lshl_b64 s[0:1], s[2:3], 3
	s_waitcnt lgkmcnt(0)
	s_add_u32 s93, s10, s0
	s_addc_u32 s94, s11, s1
	s_load_dword s7, s[4:5], 0x60
	s_add_u32 s0, s22, s8
	s_addc_u32 s1, s23, s9
	s_load_dwordx2 s[34:35], s[0:1], 0x0
	s_load_dword s95, s[4:5], 0x6c
	s_waitcnt lgkmcnt(0)
	s_add_i32 s7, s7, -1
	s_sub_i32 s33, s7, s6
	s_cmp_eq_u32 s6, 0
	s_cbranch_scc1 .LBB133_10
; %bb.1:
	s_lshl_b32 s2, s33, 6
	v_add3_u32 v12, v1, s2, 64
	v_ashrrev_i32_e32 v2, 31, v12
	v_mul_lo_u32 v6, s30, v2
	v_mul_lo_u32 v7, s31, v12
	v_mad_u64_u32 v[2:3], s[0:1], s30, v12, 0
	v_add_u32_e32 v4, s2, v0
	v_ashrrev_i32_e32 v5, 31, v4
	v_add3_u32 v3, v3, v6, v7
	v_lshlrev_b64 v[2:3], 3, v[2:3]
	v_mov_b32_e32 v6, s94
	v_add_co_u32_e64 v7, s[0:1], s93, v2
	v_addc_co_u32_e64 v6, s[0:1], v6, v3, s[0:1]
	v_lshlrev_b64 v[2:3], 3, v[4:5]
	v_cmp_gt_i32_e32 vcc, s28, v4
	v_add_co_u32_e64 v10, s[0:1], v7, v2
	v_addc_co_u32_e64 v11, s[0:1], v6, v3, s[0:1]
	v_cmp_gt_i32_e64 s[0:1], s28, v12
	v_mov_b32_e32 v4, 0
	v_mov_b32_e32 v2, 0
	;; [unrolled: 1-line block ×4, first 2 shown]
	s_and_b64 s[2:3], vcc, s[0:1]
	s_barrier
	s_and_saveexec_b64 s[0:1], s[2:3]
	s_cbranch_execz .LBB133_3
; %bb.2:
	flat_load_dwordx2 v[2:3], v[10:11]
.LBB133_3:
	s_or_b64 exec, exec, s[0:1]
	v_add_u32_e32 v6, 16, v12
	v_cmp_gt_i32_e64 s[0:1], s28, v6
	s_and_b64 s[0:1], vcc, s[0:1]
	s_waitcnt vmcnt(0) lgkmcnt(0)
	s_barrier
	s_and_saveexec_b64 s[2:3], s[0:1]
	s_cbranch_execz .LBB133_5
; %bb.4:
	s_lshl_b64 s[0:1], s[30:31], 7
	v_mov_b32_e32 v5, s1
	v_add_co_u32_e64 v4, s[0:1], s0, v10
	v_addc_co_u32_e64 v5, s[0:1], v11, v5, s[0:1]
	flat_load_dwordx2 v[4:5], v[4:5]
.LBB133_5:
	s_or_b64 exec, exec, s[2:3]
	v_add_u32_e32 v6, 32, v12
	v_cmp_gt_i32_e64 s[0:1], s28, v6
	v_mov_b32_e32 v6, 0
	v_mov_b32_e32 v8, 0
	;; [unrolled: 1-line block ×4, first 2 shown]
	s_and_b64 s[0:1], vcc, s[0:1]
	s_waitcnt vmcnt(0) lgkmcnt(0)
	s_barrier
	s_and_saveexec_b64 s[2:3], s[0:1]
	s_cbranch_execz .LBB133_7
; %bb.6:
	s_lshl_b64 s[0:1], s[30:31], 8
	v_mov_b32_e32 v9, s1
	v_add_co_u32_e64 v8, s[0:1], s0, v10
	v_addc_co_u32_e64 v9, s[0:1], v11, v9, s[0:1]
	flat_load_dwordx2 v[8:9], v[8:9]
.LBB133_7:
	s_or_b64 exec, exec, s[2:3]
	v_add_u32_e32 v12, 48, v12
	v_cmp_gt_i32_e64 s[0:1], s28, v12
	s_and_b64 s[2:3], vcc, s[0:1]
	s_waitcnt vmcnt(0) lgkmcnt(0)
	s_barrier
	s_and_saveexec_b64 s[0:1], s[2:3]
	s_cbranch_execz .LBB133_9
; %bb.8:
	v_mov_b32_e32 v6, 0x180
	v_mad_u64_u32 v[6:7], s[2:3], s30, v6, v[10:11]
	s_mul_i32 s2, s31, 0x180
	v_add_u32_e32 v7, s2, v7
	flat_load_dwordx2 v[6:7], v[6:7]
.LBB133_9:
	s_or_b64 exec, exec, s[0:1]
	s_branch .LBB133_11
.LBB133_10:
                                        ; implicit-def: $vgpr6_vgpr7
                                        ; implicit-def: $vgpr8_vgpr9
                                        ; implicit-def: $vgpr4_vgpr5
                                        ; implicit-def: $vgpr2_vgpr3
.LBB133_11:
	s_ashr_i32 s29, s28, 31
	s_lshr_b32 s0, s29, 26
	s_add_i32 s0, s28, s0
	s_andn2_b32 s0, s0, 63
	s_sub_i32 s92, s28, s0
	s_add_i32 s0, s28, -1
	s_ashr_i32 s1, s0, 31
	s_lshr_b32 s1, s1, 26
	s_add_i32 s0, s0, s1
	s_ashr_i32 s0, s0, 6
	s_cmp_eq_u32 s0, s33
	s_cselect_b64 s[0:1], -1, 0
	s_cmp_lg_u32 s92, 0
	s_cselect_b64 s[2:3], -1, 0
	s_and_b64 s[22:23], s[2:3], s[0:1]
	s_mov_b64 s[2:3], -1
	s_and_b64 vcc, exec, s[22:23]
	v_cmp_le_u32_e64 s[0:1], v1, v0
	s_cbranch_vccnz .LBB133_33
; %bb.12:
	s_add_u32 s2, s30, 1
	s_addc_u32 s3, s31, 0
	s_lshl_b32 s8, s33, 6
	s_ashr_i32 s9, s8, 31
	s_mul_hi_u32 s10, s2, s8
	s_mul_i32 s9, s2, s9
	s_add_i32 s9, s10, s9
	s_mul_i32 s3, s3, s8
	s_add_i32 s3, s9, s3
	s_mul_i32 s2, s2, s8
	s_lshl_b64 s[2:3], s[2:3], 3
	s_add_u32 s2, s93, s2
	s_addc_u32 s3, s94, s3
	v_lshlrev_b32_e32 v14, 3, v0
	v_mov_b32_e32 v11, s3
	v_add_co_u32_e32 v10, vcc, s2, v14
	v_addc_co_u32_e32 v11, vcc, 0, v11, vcc
	s_mov_b64 s[2:3], 0
	s_and_saveexec_b64 s[8:9], s[0:1]
	s_xor_b64 s[0:1], exec, s[8:9]
; %bb.13:
	v_or_b32_e32 v12, v1, v0
	v_cmp_gt_u32_e32 vcc, 64, v12
	s_and_b64 s[2:3], vcc, exec
; %bb.14:
	s_or_saveexec_b64 s[0:1], s[0:1]
	v_mov_b32_e32 v12, 0
	v_mov_b32_e32 v13, 0
	s_xor_b64 exec, exec, s[0:1]
	s_cbranch_execz .LBB133_16
; %bb.15:
	v_mad_u64_u32 v[12:13], s[8:9], s30, v1, 0
	s_or_b64 s[2:3], s[2:3], exec
	v_mad_u64_u32 v[15:16], s[8:9], s31, v1, v[13:14]
	v_mov_b32_e32 v13, v15
	v_lshlrev_b64 v[12:13], 3, v[12:13]
	v_add_co_u32_e32 v12, vcc, v10, v12
	v_addc_co_u32_e32 v13, vcc, v11, v13, vcc
	flat_load_dwordx2 v[12:13], v[12:13]
	s_waitcnt vmcnt(0) lgkmcnt(0)
	v_xor_b32_e32 v13, 0x80000000, v13
.LBB133_16:
	s_or_b64 exec, exec, s[0:1]
	s_and_saveexec_b64 s[0:1], s[2:3]
; %bb.17:
	v_lshl_add_u32 v15, v1, 9, v14
	ds_write_b64 v15, v[12:13]
; %bb.18:
	s_or_b64 exec, exec, s[0:1]
	v_add_u32_e32 v15, 16, v1
	v_cmp_le_u32_e32 vcc, v15, v0
	s_mov_b64 s[0:1], 0
	s_and_saveexec_b64 s[2:3], vcc
	s_xor_b64 s[2:3], exec, s[2:3]
; %bb.19:
	v_or_b32_e32 v12, v15, v0
	v_cmp_gt_u32_e32 vcc, 64, v12
	s_and_b64 s[0:1], vcc, exec
; %bb.20:
	s_or_saveexec_b64 s[2:3], s[2:3]
	v_mov_b32_e32 v12, 0
	v_mov_b32_e32 v13, 0
	s_xor_b64 exec, exec, s[2:3]
	s_cbranch_execz .LBB133_22
; %bb.21:
	v_mad_u64_u32 v[12:13], s[8:9], s30, v15, 0
	s_or_b64 s[0:1], s[0:1], exec
	v_mad_u64_u32 v[16:17], s[8:9], s31, v15, v[13:14]
	v_mov_b32_e32 v13, v16
	v_lshlrev_b64 v[12:13], 3, v[12:13]
	v_add_co_u32_e32 v12, vcc, v10, v12
	v_addc_co_u32_e32 v13, vcc, v11, v13, vcc
	flat_load_dwordx2 v[12:13], v[12:13]
	s_waitcnt vmcnt(0) lgkmcnt(0)
	v_xor_b32_e32 v13, 0x80000000, v13
.LBB133_22:
	s_or_b64 exec, exec, s[2:3]
	s_and_saveexec_b64 s[2:3], s[0:1]
; %bb.23:
	v_lshl_add_u32 v15, v15, 9, v14
	ds_write_b64 v15, v[12:13]
; %bb.24:
	s_or_b64 exec, exec, s[2:3]
	v_add_u32_e32 v15, 32, v1
	v_cmp_le_u32_e32 vcc, v15, v0
	s_mov_b64 s[0:1], 0
	s_and_saveexec_b64 s[2:3], vcc
	s_xor_b64 s[2:3], exec, s[2:3]
; %bb.25:
	v_or_b32_e32 v12, v15, v0
	v_cmp_gt_u32_e32 vcc, 64, v12
	s_and_b64 s[0:1], vcc, exec
; %bb.26:
	s_or_saveexec_b64 s[2:3], s[2:3]
	v_mov_b32_e32 v12, 0
	v_mov_b32_e32 v13, 0
	s_xor_b64 exec, exec, s[2:3]
	s_cbranch_execz .LBB133_28
; %bb.27:
	v_mad_u64_u32 v[12:13], s[8:9], s30, v15, 0
	s_or_b64 s[0:1], s[0:1], exec
	v_mad_u64_u32 v[16:17], s[8:9], s31, v15, v[13:14]
	v_mov_b32_e32 v13, v16
	v_lshlrev_b64 v[12:13], 3, v[12:13]
	v_add_co_u32_e32 v12, vcc, v10, v12
	v_addc_co_u32_e32 v13, vcc, v11, v13, vcc
	flat_load_dwordx2 v[12:13], v[12:13]
	s_waitcnt vmcnt(0) lgkmcnt(0)
	v_xor_b32_e32 v13, 0x80000000, v13
.LBB133_28:
	s_or_b64 exec, exec, s[2:3]
	s_and_saveexec_b64 s[2:3], s[0:1]
; %bb.29:
	v_lshl_add_u32 v14, v15, 9, v14
	ds_write_b64 v14, v[12:13]
; %bb.30:
	s_or_b64 exec, exec, s[2:3]
	v_add_u32_e32 v14, 48, v1
	v_cmp_le_u32_e32 vcc, v14, v0
	s_mov_b64 s[0:1], -1
	s_mov_b64 s[2:3], 0
	s_mov_b64 s[8:9], 0
	s_and_saveexec_b64 s[10:11], vcc
	s_xor_b64 s[10:11], exec, s[10:11]
; %bb.31:
	v_or_b32_e32 v12, v14, v0
	v_cmp_gt_u32_e32 vcc, 64, v12
	s_and_b64 s[8:9], vcc, exec
	s_xor_b64 s[0:1], exec, -1
; %bb.32:
	s_or_b64 exec, exec, s[10:11]
	v_lshl_add_u32 v15, v14, 6, v0
	s_and_b64 vcc, exec, s[2:3]
	s_cbranch_vccnz .LBB133_34
	s_branch .LBB133_55
.LBB133_33:
	s_mov_b64 s[0:1], 0
	s_mov_b64 s[8:9], 0
                                        ; implicit-def: $vgpr15
                                        ; implicit-def: $vgpr10_vgpr11
                                        ; implicit-def: $vgpr14
	s_and_b64 vcc, exec, s[2:3]
	s_cbranch_vccz .LBB133_55
.LBB133_34:
	s_add_u32 s0, s30, 1
	s_addc_u32 s1, s31, 0
	s_lshl_b32 s2, s33, 6
	s_ashr_i32 s3, s2, 31
	s_mul_hi_u32 s10, s0, s2
	s_mul_i32 s3, s0, s3
	s_add_i32 s3, s10, s3
	s_mul_i32 s1, s1, s2
	s_add_i32 s1, s3, s1
	s_mul_i32 s0, s0, s2
	s_lshl_b64 s[0:1], s[0:1], 3
	s_add_u32 s0, s93, s0
	s_addc_u32 s1, s94, s1
	v_lshlrev_b32_e32 v14, 3, v0
	v_mov_b32_e32 v11, s1
	v_add_co_u32_e64 v10, s[0:1], s0, v14
	v_addc_co_u32_e64 v11, s[0:1], 0, v11, s[0:1]
	v_max_i32_e32 v12, v1, v0
	v_cmp_le_u32_e64 s[0:1], v1, v0
	v_cmp_le_i32_e64 s[2:3], s92, v12
	v_cmp_gt_i32_e32 vcc, s92, v0
	s_or_b64 s[0:1], s[2:3], s[0:1]
	s_mov_b64 s[2:3], 0
	s_and_saveexec_b64 s[10:11], s[0:1]
	s_xor_b64 s[10:11], exec, s[10:11]
; %bb.35:
	v_or_b32_e32 v12, v1, v0
	v_cmp_gt_u32_e64 s[0:1], 64, v12
	s_and_b64 s[2:3], s[0:1], exec
; %bb.36:
	s_or_saveexec_b64 s[10:11], s[10:11]
	v_mov_b32_e32 v12, 0
	v_mov_b32_e32 v13, 0
	s_xor_b64 exec, exec, s[10:11]
	s_cbranch_execz .LBB133_38
; %bb.37:
	v_mad_u64_u32 v[12:13], s[0:1], s30, v1, 0
	s_or_b64 s[2:3], s[2:3], exec
	v_mad_u64_u32 v[15:16], s[0:1], s31, v1, v[13:14]
	v_mov_b32_e32 v13, v15
	v_lshlrev_b64 v[12:13], 3, v[12:13]
	v_add_co_u32_e64 v12, s[0:1], v10, v12
	v_addc_co_u32_e64 v13, s[0:1], v11, v13, s[0:1]
	flat_load_dwordx2 v[12:13], v[12:13]
	s_waitcnt vmcnt(0) lgkmcnt(0)
	v_xor_b32_e32 v13, 0x80000000, v13
.LBB133_38:
	s_or_b64 exec, exec, s[10:11]
	s_and_saveexec_b64 s[0:1], s[2:3]
; %bb.39:
	v_lshl_add_u32 v15, v1, 9, v14
	ds_write_b64 v15, v[12:13]
; %bb.40:
	s_or_b64 exec, exec, s[0:1]
	v_add_u32_e32 v15, 16, v1
	v_cmp_gt_u32_e64 s[0:1], v15, v0
	v_cmp_gt_i32_e64 s[2:3], s92, v15
	s_and_b64 s[0:1], s[0:1], s[2:3]
	s_and_b64 s[0:1], s[0:1], vcc
	s_xor_b64 s[0:1], s[0:1], -1
	s_mov_b64 s[2:3], 0
	s_and_saveexec_b64 s[10:11], s[0:1]
	s_xor_b64 s[10:11], exec, s[10:11]
; %bb.41:
	v_or_b32_e32 v12, v15, v0
	v_cmp_gt_u32_e64 s[0:1], 64, v12
	s_and_b64 s[2:3], s[0:1], exec
; %bb.42:
	s_or_saveexec_b64 s[10:11], s[10:11]
	v_mov_b32_e32 v12, 0
	v_mov_b32_e32 v13, 0
	s_xor_b64 exec, exec, s[10:11]
	s_cbranch_execz .LBB133_44
; %bb.43:
	v_mad_u64_u32 v[12:13], s[0:1], s30, v15, 0
	s_or_b64 s[2:3], s[2:3], exec
	v_mad_u64_u32 v[16:17], s[0:1], s31, v15, v[13:14]
	v_mov_b32_e32 v13, v16
	v_lshlrev_b64 v[12:13], 3, v[12:13]
	v_add_co_u32_e64 v12, s[0:1], v10, v12
	v_addc_co_u32_e64 v13, s[0:1], v11, v13, s[0:1]
	flat_load_dwordx2 v[12:13], v[12:13]
	s_waitcnt vmcnt(0) lgkmcnt(0)
	v_xor_b32_e32 v13, 0x80000000, v13
.LBB133_44:
	s_or_b64 exec, exec, s[10:11]
	s_and_saveexec_b64 s[0:1], s[2:3]
; %bb.45:
	v_lshl_add_u32 v15, v15, 9, v14
	ds_write_b64 v15, v[12:13]
; %bb.46:
	s_or_b64 exec, exec, s[0:1]
	v_add_u32_e32 v15, 32, v1
	v_cmp_gt_u32_e64 s[0:1], v15, v0
	v_cmp_gt_i32_e64 s[2:3], s92, v15
	s_and_b64 s[0:1], s[0:1], s[2:3]
	s_and_b64 s[0:1], s[0:1], vcc
	s_xor_b64 s[0:1], s[0:1], -1
	s_mov_b64 s[2:3], 0
	s_and_saveexec_b64 s[10:11], s[0:1]
	s_xor_b64 s[10:11], exec, s[10:11]
; %bb.47:
	v_or_b32_e32 v12, v15, v0
	v_cmp_gt_u32_e64 s[0:1], 64, v12
	s_and_b64 s[2:3], s[0:1], exec
; %bb.48:
	s_or_saveexec_b64 s[10:11], s[10:11]
	v_mov_b32_e32 v12, 0
	v_mov_b32_e32 v13, 0
	s_xor_b64 exec, exec, s[10:11]
	s_cbranch_execz .LBB133_50
; %bb.49:
	v_mad_u64_u32 v[12:13], s[0:1], s30, v15, 0
	s_or_b64 s[2:3], s[2:3], exec
	v_mad_u64_u32 v[16:17], s[0:1], s31, v15, v[13:14]
	v_mov_b32_e32 v13, v16
	v_lshlrev_b64 v[12:13], 3, v[12:13]
	v_add_co_u32_e64 v12, s[0:1], v10, v12
	v_addc_co_u32_e64 v13, s[0:1], v11, v13, s[0:1]
	flat_load_dwordx2 v[12:13], v[12:13]
	s_waitcnt vmcnt(0) lgkmcnt(0)
	v_xor_b32_e32 v13, 0x80000000, v13
.LBB133_50:
	s_or_b64 exec, exec, s[10:11]
	s_and_saveexec_b64 s[0:1], s[2:3]
; %bb.51:
	v_lshl_add_u32 v14, v15, 9, v14
	ds_write_b64 v14, v[12:13]
; %bb.52:
	s_or_b64 exec, exec, s[0:1]
	v_add_u32_e32 v14, 48, v1
	v_cmp_gt_u32_e64 s[0:1], v14, v0
	v_cmp_gt_i32_e64 s[2:3], s92, v14
	s_and_b64 s[0:1], s[0:1], s[2:3]
	s_and_b64 s[2:3], s[0:1], vcc
	s_mov_b64 s[0:1], -1
	s_xor_b64 s[10:11], s[2:3], -1
	s_and_saveexec_b64 s[2:3], s[10:11]
; %bb.53:
	v_or_b32_e32 v12, v14, v0
	v_cmp_gt_u32_e32 vcc, 64, v12
	s_andn2_b64 s[0:1], s[8:9], exec
	s_and_b64 s[8:9], vcc, exec
	s_or_b64 s[8:9], s[0:1], s[8:9]
	s_xor_b64 s[0:1], exec, -1
; %bb.54:
	s_or_b64 exec, exec, s[2:3]
	v_lshl_add_u32 v15, v14, 6, v0
.LBB133_55:
	v_mov_b32_e32 v12, 0
	v_mov_b32_e32 v13, 0
	s_and_saveexec_b64 s[2:3], s[0:1]
	s_cbranch_execnz .LBB133_1077
; %bb.56:
	s_or_b64 exec, exec, s[2:3]
	s_and_saveexec_b64 s[0:1], s[8:9]
.LBB133_57:
	v_lshlrev_b32_e32 v10, 3, v15
	ds_write_b64 v10, v[12:13]
.LBB133_58:
	s_or_b64 exec, exec, s[0:1]
	s_cmp_lt_i32 s6, 5
	s_cselect_b64 s[0:1], -1, 0
	s_or_b64 s[36:37], s[0:1], s[22:23]
	s_and_b64 vcc, exec, s[36:37]
	s_waitcnt vmcnt(0) lgkmcnt(0)
	s_barrier
	s_cbranch_vccnz .LBB133_1034
; %bb.59:
	v_or_b32_e32 v10, v0, v1
	s_mov_b32 s2, 0
	v_cmp_eq_u32_e32 vcc, 0, v10
	s_and_saveexec_b64 s[0:1], vcc
	s_cbranch_execz .LBB133_61
; %bb.60:
	s_mov_b32 s3, 0x3ff00000
	v_mov_b32_e32 v11, s3
	v_mov_b32_e32 v10, s2
	s_movk_i32 s2, 0x7800
	v_add_u32_e64 v12, s2, 0
	ds_write2_b64 v12, v[10:11], v[10:11] offset0:190 offset1:255
.LBB133_61:
	s_or_b64 exec, exec, s[0:1]
	v_lshlrev_b32_e32 v10, 6, v1
	v_add_u32_e32 v15, v10, v0
	v_and_b32_e32 v11, v10, v0
	v_xor_b32_e32 v10, v10, v0
	v_lshrrev_b16_e32 v10, 1, v10
	v_add_u16_e32 v14, v11, v10
	v_mov_b32_e32 v10, 0
	v_and_b32_e32 v12, 1, v0
	v_sub_u32_e32 v13, 1, v14
	v_cmp_lt_u32_e64 s[2:3], 3, v15
	v_mov_b32_e32 v11, 0
	v_cmp_gt_u32_e64 s[0:1], 4, v15
	s_waitcnt lgkmcnt(0)
	s_barrier
	buffer_wbinvl1_vol
	s_and_saveexec_b64 s[10:11], s[0:1]
	s_cbranch_execz .LBB133_65
; %bb.62:
	v_lshlrev_b32_e32 v16, 9, v13
	v_lshlrev_b32_e32 v10, 3, v12
	ds_read_b64 v[10:11], v10 offset:32224
	ds_read_b64 v[16:17], v16 offset:32240
	v_cmp_gt_u32_e64 s[8:9], 2, v15
	s_waitcnt lgkmcnt(0)
	v_fma_f64 v[10:11], v[10:11], v[16:17], 0
	s_and_saveexec_b64 s[12:13], s[8:9]
	s_cbranch_execz .LBB133_64
; %bb.63:
	v_lshlrev_b32_e32 v16, 3, v0
	v_mov_b32_e32 v18, 0
	ds_read_b64 v[16:17], v16 offset:32736
	ds_read_b64 v[18:19], v18 offset:32760
	s_waitcnt lgkmcnt(0)
	v_fma_f64 v[10:11], v[16:17], v[18:19], v[10:11]
.LBB133_64:
	s_or_b64 exec, exec, s[12:13]
.LBB133_65:
	s_or_b64 exec, exec, s[10:11]
	v_mov_b32_e32 v16, 0x8000
	v_cmp_ne_u32_e64 s[8:9], 0, v12
	s_xor_b64 s[10:11], s[2:3], -1
	v_lshl_add_u32 v14, v14, 3, v16
	s_and_b64 s[40:41], s[8:9], s[10:11]
	s_and_saveexec_b64 s[2:3], s[40:41]
; %bb.66:
	v_xor_b32_e32 v17, 0x80000000, v11
	v_mov_b32_e32 v16, v10
	ds_write_b64 v14, v[16:17]
; %bb.67:
	s_or_b64 exec, exec, s[2:3]
	v_cmp_eq_u32_e64 s[2:3], 0, v12
	s_and_b64 s[38:39], s[2:3], s[10:11]
	s_waitcnt lgkmcnt(0)
	s_barrier
	s_and_saveexec_b64 s[2:3], s[38:39]
	s_cbranch_execz .LBB133_69
; %bb.68:
	v_mov_b32_e32 v16, 0
	ds_read_b64 v[16:17], v16 offset:31712
	ds_read_b64 v[18:19], v14
	s_waitcnt lgkmcnt(0)
	v_fma_f64 v[10:11], -v[16:17], v[18:19], v[10:11]
.LBB133_69:
	s_or_b64 exec, exec, s[2:3]
	s_barrier
	s_and_saveexec_b64 s[2:3], s[38:39]
; %bb.70:
	v_xor_b32_e32 v17, 0x80000000, v11
	v_mov_b32_e32 v16, v10
	ds_write_b64 v14, v[16:17]
; %bb.71:
	s_or_b64 exec, exec, s[2:3]
	s_waitcnt lgkmcnt(0)
	s_barrier
	s_barrier
	s_and_saveexec_b64 s[2:3], s[0:1]
; %bb.72:
	v_lshlrev_b32_e32 v16, 3, v12
	v_lshl_or_b32 v16, v13, 9, v16
	ds_write_b64 v16, v[10:11] offset:32224
; %bb.73:
	s_or_b64 exec, exec, s[2:3]
	s_waitcnt lgkmcnt(0)
	s_barrier
	s_barrier
	s_and_saveexec_b64 s[2:3], vcc
	s_cbranch_execz .LBB133_75
; %bb.74:
	s_mov_b64 s[8:9], 1.0
	v_mov_b32_e32 v11, s9
	v_mov_b32_e32 v10, s8
	s_movk_i32 s8, 0x7800
	v_add_u32_e64 v16, s8, 0
	ds_write2_b64 v16, v[10:11], v[10:11] offset0:60 offset1:125
.LBB133_75:
	s_or_b64 exec, exec, s[2:3]
	v_lshrrev_b32_e32 v18, 2, v15
	v_mov_b32_e32 v10, 0
	v_and_b32_e32 v16, 3, v0
	v_sub_u32_e32 v17, 3, v18
	v_cmp_lt_u32_e64 s[8:9], 15, v15
	v_mov_b32_e32 v11, 0
	v_cmp_gt_u32_e64 s[2:3], 16, v15
	s_waitcnt lgkmcnt(0)
	s_barrier
	buffer_wbinvl1_vol
	s_and_saveexec_b64 s[12:13], s[2:3]
	s_cbranch_execz .LBB133_81
; %bb.76:
	v_lshlrev_b32_e32 v20, 3, v16
	v_lshlrev_b32_e32 v19, 9, v17
	ds_read_b64 v[10:11], v20 offset:31168
	ds_read_b64 v[21:22], v19 offset:31200
	v_cmp_gt_u32_e64 s[10:11], 12, v15
	s_waitcnt lgkmcnt(0)
	v_fma_f64 v[10:11], v[10:11], v[21:22], 0
	s_and_saveexec_b64 s[14:15], s[10:11]
	s_cbranch_execnz .LBB133_1108
; %bb.77:
	s_or_b64 exec, exec, s[14:15]
	v_cmp_gt_u32_e64 s[10:11], 8, v15
	s_and_saveexec_b64 s[14:15], s[10:11]
	s_cbranch_execnz .LBB133_1109
.LBB133_78:
	s_or_b64 exec, exec, s[14:15]
	v_cmp_gt_u32_e64 s[10:11], 4, v15
	s_and_saveexec_b64 s[14:15], s[10:11]
	s_cbranch_execz .LBB133_80
.LBB133_79:
	v_lshlrev_b32_e32 v19, 3, v0
	v_mov_b32_e32 v21, 0
	ds_read_b64 v[19:20], v19 offset:32704
	ds_read_b64 v[21:22], v21 offset:32760
	s_waitcnt lgkmcnt(0)
	v_fma_f64 v[10:11], v[19:20], v[21:22], v[10:11]
.LBB133_80:
	s_or_b64 exec, exec, s[14:15]
.LBB133_81:
	s_or_b64 exec, exec, s[12:13]
	v_mov_b32_e32 v19, 0x8000
	v_cmp_eq_u32_e64 s[10:11], 3, v16
	s_xor_b64 s[12:13], s[8:9], -1
	v_lshl_add_u32 v18, v18, 3, v19
	s_and_b64 s[44:45], s[10:11], s[12:13]
	s_and_saveexec_b64 s[8:9], s[44:45]
; %bb.82:
	v_xor_b32_e32 v20, 0x80000000, v11
	v_mov_b32_e32 v19, v10
	ds_write_b64 v18, v[19:20]
; %bb.83:
	s_or_b64 exec, exec, s[8:9]
	v_cmp_ne_u32_e64 s[8:9], 3, v16
	s_and_b64 s[46:47], s[8:9], s[12:13]
	s_waitcnt lgkmcnt(0)
	s_barrier
	s_and_saveexec_b64 s[8:9], s[46:47]
	s_cbranch_execz .LBB133_85
; %bb.84:
	v_lshlrev_b32_e32 v19, 3, v16
	ds_read_b64 v[19:20], v19 offset:30656
	ds_read_b64 v[21:22], v18
	s_waitcnt lgkmcnt(0)
	v_fma_f64 v[10:11], -v[19:20], v[21:22], v[10:11]
.LBB133_85:
	s_or_b64 exec, exec, s[8:9]
	v_cmp_eq_u32_e64 s[8:9], 2, v16
	s_and_b64 s[48:49], s[8:9], s[12:13]
	s_barrier
	s_and_saveexec_b64 s[8:9], s[48:49]
; %bb.86:
	v_xor_b32_e32 v20, 0x80000000, v11
	v_mov_b32_e32 v19, v10
	ds_write_b64 v18, v[19:20]
; %bb.87:
	s_or_b64 exec, exec, s[8:9]
	v_cmp_gt_u32_e64 s[8:9], 2, v16
	s_and_b64 s[50:51], s[8:9], s[12:13]
	s_waitcnt lgkmcnt(0)
	s_barrier
	s_and_saveexec_b64 s[8:9], s[50:51]
	s_cbranch_execz .LBB133_89
; %bb.88:
	v_lshlrev_b32_e32 v19, 3, v16
	ds_read_b64 v[19:20], v19 offset:30144
	ds_read_b64 v[21:22], v18
	s_waitcnt lgkmcnt(0)
	v_fma_f64 v[10:11], -v[19:20], v[21:22], v[10:11]
.LBB133_89:
	s_or_b64 exec, exec, s[8:9]
	v_cmp_eq_u32_e64 s[8:9], 1, v16
	s_and_b64 s[52:53], s[8:9], s[12:13]
	s_barrier
	s_and_saveexec_b64 s[8:9], s[52:53]
; %bb.90:
	v_xor_b32_e32 v20, 0x80000000, v11
	v_mov_b32_e32 v19, v10
	ds_write_b64 v18, v[19:20]
; %bb.91:
	s_or_b64 exec, exec, s[8:9]
	v_cmp_eq_u32_e64 s[8:9], 0, v16
	s_and_b64 s[42:43], s[8:9], s[12:13]
	s_waitcnt lgkmcnt(0)
	s_barrier
	s_and_saveexec_b64 s[8:9], s[42:43]
	s_cbranch_execz .LBB133_93
; %bb.92:
	v_mov_b32_e32 v19, 0
	ds_read_b64 v[19:20], v19 offset:29632
	ds_read_b64 v[21:22], v18
	s_waitcnt lgkmcnt(0)
	v_fma_f64 v[10:11], -v[19:20], v[21:22], v[10:11]
.LBB133_93:
	s_or_b64 exec, exec, s[8:9]
	s_barrier
	s_and_saveexec_b64 s[8:9], s[42:43]
; %bb.94:
	v_xor_b32_e32 v20, 0x80000000, v11
	v_mov_b32_e32 v19, v10
	ds_write_b64 v18, v[19:20]
; %bb.95:
	s_or_b64 exec, exec, s[8:9]
	s_waitcnt lgkmcnt(0)
	s_barrier
	s_barrier
	s_and_saveexec_b64 s[8:9], s[2:3]
; %bb.96:
	v_lshlrev_b32_e32 v19, 3, v16
	v_lshl_or_b32 v19, v17, 9, v19
	ds_write_b64 v19, v[10:11] offset:31168
; %bb.97:
	s_or_b64 exec, exec, s[8:9]
	s_waitcnt lgkmcnt(0)
	s_barrier
	s_barrier
	s_and_saveexec_b64 s[8:9], vcc
	s_cbranch_execz .LBB133_99
; %bb.98:
	s_mov_b64 s[10:11], 1.0
	v_mov_b32_e32 v10, s10
	v_mov_b32_e32 v11, s11
	s_movk_i32 s10, 0x7000
	v_add_u32_e64 v19, s10, 0
	ds_write2_b64 v19, v[10:11], v[10:11] offset0:186 offset1:251
.LBB133_99:
	s_or_b64 exec, exec, s[8:9]
	v_mov_b32_e32 v10, 0
	v_mov_b32_e32 v11, 0
	s_waitcnt lgkmcnt(0)
	s_barrier
	buffer_wbinvl1_vol
	s_and_saveexec_b64 s[10:11], s[0:1]
	s_cbranch_execz .LBB133_103
; %bb.100:
	v_lshlrev_b32_e32 v19, 9, v13
	v_lshlrev_b32_e32 v10, 3, v12
	ds_read_b64 v[10:11], v10 offset:30144
	ds_read_b64 v[19:20], v19 offset:30160
	v_cmp_gt_u32_e64 s[8:9], 2, v15
	s_waitcnt lgkmcnt(0)
	v_fma_f64 v[10:11], v[10:11], v[19:20], 0
	s_and_saveexec_b64 s[12:13], s[8:9]
	s_cbranch_execz .LBB133_102
; %bb.101:
	v_lshlrev_b32_e32 v19, 3, v0
	v_mov_b32_e32 v21, 0
	ds_read_b64 v[19:20], v19 offset:30656
	ds_read_b64 v[21:22], v21 offset:30680
	s_waitcnt lgkmcnt(0)
	v_fma_f64 v[10:11], v[19:20], v[21:22], v[10:11]
.LBB133_102:
	s_or_b64 exec, exec, s[12:13]
.LBB133_103:
	s_or_b64 exec, exec, s[10:11]
	s_and_saveexec_b64 s[8:9], s[40:41]
; %bb.104:
	v_xor_b32_e32 v20, 0x80000000, v11
	v_mov_b32_e32 v19, v10
	ds_write_b64 v14, v[19:20]
; %bb.105:
	s_or_b64 exec, exec, s[8:9]
	s_waitcnt lgkmcnt(0)
	s_barrier
	s_and_saveexec_b64 s[8:9], s[38:39]
	s_cbranch_execz .LBB133_107
; %bb.106:
	v_mov_b32_e32 v19, 0
	ds_read_b64 v[19:20], v19 offset:29632
	ds_read_b64 v[21:22], v14
	s_waitcnt lgkmcnt(0)
	v_fma_f64 v[10:11], -v[19:20], v[21:22], v[10:11]
.LBB133_107:
	s_or_b64 exec, exec, s[8:9]
	s_barrier
	s_and_saveexec_b64 s[8:9], s[38:39]
; %bb.108:
	v_xor_b32_e32 v20, 0x80000000, v11
	v_mov_b32_e32 v19, v10
	ds_write_b64 v14, v[19:20]
; %bb.109:
	s_or_b64 exec, exec, s[8:9]
	s_waitcnt lgkmcnt(0)
	s_barrier
	s_barrier
	s_and_saveexec_b64 s[8:9], s[0:1]
; %bb.110:
	v_lshlrev_b32_e32 v19, 3, v12
	v_lshl_or_b32 v19, v13, 9, v19
	ds_write_b64 v19, v[10:11] offset:30144
; %bb.111:
	s_or_b64 exec, exec, s[8:9]
	s_waitcnt lgkmcnt(0)
	s_barrier
	s_barrier
	s_and_saveexec_b64 s[8:9], vcc
	s_cbranch_execz .LBB133_113
; %bb.112:
	s_mov_b64 s[10:11], 1.0
	v_mov_b32_e32 v10, s10
	v_mov_b32_e32 v11, s11
	s_movk_i32 s10, 0x7000
	v_add_u32_e64 v19, s10, 0
	ds_write2_b64 v19, v[10:11], v[10:11] offset0:56 offset1:121
.LBB133_113:
	s_or_b64 exec, exec, s[8:9]
	v_lshrrev_b32_e32 v21, 3, v15
	v_mov_b32_e32 v10, 0
	v_and_b32_e32 v19, 7, v0
	v_sub_u32_e32 v20, 7, v21
	v_cmp_lt_u32_e64 s[8:9], 63, v15
	v_mov_b32_e32 v11, 0
	v_cmp_gt_u32_e64 s[14:15], 64, v15
	s_waitcnt lgkmcnt(0)
	s_barrier
	buffer_wbinvl1_vol
	s_and_saveexec_b64 s[12:13], s[14:15]
	s_cbranch_execz .LBB133_123
; %bb.114:
	v_lshlrev_b32_e32 v23, 3, v19
	v_lshlrev_b32_e32 v22, 9, v20
	ds_read_b64 v[10:11], v23 offset:29056
	ds_read_b64 v[24:25], v22 offset:29120
	v_cmp_gt_u32_e64 s[10:11], 56, v15
	s_waitcnt lgkmcnt(0)
	v_fma_f64 v[10:11], v[10:11], v[24:25], 0
	s_and_saveexec_b64 s[16:17], s[10:11]
	s_cbranch_execnz .LBB133_1110
; %bb.115:
	s_or_b64 exec, exec, s[16:17]
	v_cmp_gt_u32_e64 s[10:11], 48, v15
	s_and_saveexec_b64 s[16:17], s[10:11]
	s_cbranch_execnz .LBB133_1111
.LBB133_116:
	s_or_b64 exec, exec, s[16:17]
	v_cmp_gt_u32_e64 s[10:11], 40, v15
	s_and_saveexec_b64 s[16:17], s[10:11]
	s_cbranch_execnz .LBB133_1112
.LBB133_117:
	s_or_b64 exec, exec, s[16:17]
	v_cmp_gt_u32_e64 s[10:11], 32, v15
	s_and_saveexec_b64 s[16:17], s[10:11]
	s_cbranch_execnz .LBB133_1113
.LBB133_118:
	s_or_b64 exec, exec, s[16:17]
	v_cmp_gt_u32_e64 s[10:11], 24, v15
	s_and_saveexec_b64 s[16:17], s[10:11]
	s_cbranch_execnz .LBB133_1114
.LBB133_119:
	s_or_b64 exec, exec, s[16:17]
	s_and_saveexec_b64 s[10:11], s[2:3]
	s_cbranch_execnz .LBB133_1115
.LBB133_120:
	s_or_b64 exec, exec, s[10:11]
	v_cmp_gt_u32_e64 s[10:11], 8, v15
	s_and_saveexec_b64 s[16:17], s[10:11]
	s_cbranch_execz .LBB133_122
.LBB133_121:
	v_lshlrev_b32_e32 v22, 3, v0
	v_mov_b32_e32 v24, 0
	ds_read_b64 v[22:23], v22 offset:32640
	ds_read_b64 v[24:25], v24 offset:32760
	s_waitcnt lgkmcnt(0)
	v_fma_f64 v[10:11], v[22:23], v[24:25], v[10:11]
.LBB133_122:
	s_or_b64 exec, exec, s[16:17]
.LBB133_123:
	s_or_b64 exec, exec, s[12:13]
	v_mov_b32_e32 v22, 0x8000
	v_cmp_eq_u32_e64 s[10:11], 7, v19
	s_xor_b64 s[12:13], s[8:9], -1
	v_lshl_add_u32 v21, v21, 3, v22
	s_and_b64 s[54:55], s[10:11], s[12:13]
	s_and_saveexec_b64 s[8:9], s[54:55]
; %bb.124:
	v_xor_b32_e32 v23, 0x80000000, v11
	v_mov_b32_e32 v22, v10
	ds_write_b64 v21, v[22:23]
; %bb.125:
	s_or_b64 exec, exec, s[8:9]
	v_cmp_ne_u32_e64 s[8:9], 7, v19
	s_and_b64 s[56:57], s[8:9], s[12:13]
	s_waitcnt lgkmcnt(0)
	s_barrier
	s_and_saveexec_b64 s[8:9], s[56:57]
	s_cbranch_execz .LBB133_127
; %bb.126:
	v_lshlrev_b32_e32 v22, 3, v19
	ds_read_b64 v[22:23], v22 offset:28544
	ds_read_b64 v[24:25], v21
	s_waitcnt lgkmcnt(0)
	v_fma_f64 v[10:11], -v[22:23], v[24:25], v[10:11]
.LBB133_127:
	s_or_b64 exec, exec, s[8:9]
	v_cmp_eq_u32_e64 s[8:9], 6, v19
	s_and_b64 s[58:59], s[8:9], s[12:13]
	s_barrier
	s_and_saveexec_b64 s[8:9], s[58:59]
; %bb.128:
	v_xor_b32_e32 v23, 0x80000000, v11
	v_mov_b32_e32 v22, v10
	ds_write_b64 v21, v[22:23]
; %bb.129:
	s_or_b64 exec, exec, s[8:9]
	v_cmp_gt_u32_e64 s[8:9], 6, v19
	s_and_b64 s[60:61], s[8:9], s[12:13]
	s_waitcnt lgkmcnt(0)
	s_barrier
	s_and_saveexec_b64 s[8:9], s[60:61]
	s_cbranch_execz .LBB133_131
; %bb.130:
	v_lshlrev_b32_e32 v22, 3, v19
	ds_read_b64 v[22:23], v22 offset:28032
	ds_read_b64 v[24:25], v21
	s_waitcnt lgkmcnt(0)
	v_fma_f64 v[10:11], -v[22:23], v[24:25], v[10:11]
.LBB133_131:
	s_or_b64 exec, exec, s[8:9]
	v_cmp_eq_u32_e64 s[8:9], 5, v19
	s_and_b64 s[62:63], s[8:9], s[12:13]
	s_barrier
	s_and_saveexec_b64 s[8:9], s[62:63]
; %bb.132:
	v_xor_b32_e32 v23, 0x80000000, v11
	v_mov_b32_e32 v22, v10
	ds_write_b64 v21, v[22:23]
; %bb.133:
	s_or_b64 exec, exec, s[8:9]
	v_cmp_gt_u32_e64 s[8:9], 5, v19
	;; [unrolled: 24-line block ×5, first 2 shown]
	s_and_b64 s[78:79], s[8:9], s[12:13]
	s_waitcnt lgkmcnt(0)
	s_barrier
	s_and_saveexec_b64 s[8:9], s[78:79]
	s_cbranch_execz .LBB133_147
; %bb.146:
	v_lshlrev_b32_e32 v22, 3, v19
	ds_read_b64 v[22:23], v22 offset:25984
	ds_read_b64 v[24:25], v21
	s_waitcnt lgkmcnt(0)
	v_fma_f64 v[10:11], -v[22:23], v[24:25], v[10:11]
.LBB133_147:
	s_or_b64 exec, exec, s[8:9]
	v_cmp_eq_u32_e64 s[8:9], 1, v19
	s_and_b64 s[80:81], s[8:9], s[12:13]
	s_barrier
	s_and_saveexec_b64 s[8:9], s[80:81]
; %bb.148:
	v_xor_b32_e32 v23, 0x80000000, v11
	v_mov_b32_e32 v22, v10
	ds_write_b64 v21, v[22:23]
; %bb.149:
	s_or_b64 exec, exec, s[8:9]
	v_cmp_eq_u32_e64 s[8:9], 0, v19
	s_and_b64 s[64:65], s[8:9], s[12:13]
	s_waitcnt lgkmcnt(0)
	s_barrier
	s_and_saveexec_b64 s[8:9], s[64:65]
	s_cbranch_execz .LBB133_151
; %bb.150:
	v_mov_b32_e32 v22, 0
	ds_read_b64 v[22:23], v22 offset:25472
	ds_read_b64 v[24:25], v21
	s_waitcnt lgkmcnt(0)
	v_fma_f64 v[10:11], -v[22:23], v[24:25], v[10:11]
.LBB133_151:
	s_or_b64 exec, exec, s[8:9]
	s_barrier
	s_and_saveexec_b64 s[8:9], s[64:65]
; %bb.152:
	v_xor_b32_e32 v23, 0x80000000, v11
	v_mov_b32_e32 v22, v10
	ds_write_b64 v21, v[22:23]
; %bb.153:
	s_or_b64 exec, exec, s[8:9]
	s_waitcnt lgkmcnt(0)
	s_barrier
	s_barrier
	s_and_saveexec_b64 s[8:9], s[14:15]
; %bb.154:
	v_lshlrev_b32_e32 v22, 3, v19
	v_lshl_or_b32 v22, v20, 9, v22
	ds_write_b64 v22, v[10:11] offset:29056
; %bb.155:
	s_or_b64 exec, exec, s[8:9]
	s_waitcnt lgkmcnt(0)
	s_barrier
	s_barrier
	s_and_saveexec_b64 s[8:9], vcc
	s_cbranch_execz .LBB133_157
; %bb.156:
	s_mov_b64 s[10:11], 1.0
	v_mov_b32_e32 v10, s10
	v_mov_b32_e32 v11, s11
	s_movk_i32 s10, 0x6800
	v_add_u32_e64 v22, s10, 0
	ds_write2_b64 v22, v[10:11], v[10:11] offset0:182 offset1:247
.LBB133_157:
	s_or_b64 exec, exec, s[8:9]
	v_mov_b32_e32 v10, 0
	v_mov_b32_e32 v11, 0
	s_waitcnt lgkmcnt(0)
	s_barrier
	buffer_wbinvl1_vol
	s_and_saveexec_b64 s[10:11], s[0:1]
	s_cbranch_execz .LBB133_161
; %bb.158:
	v_lshlrev_b32_e32 v22, 9, v13
	v_lshlrev_b32_e32 v10, 3, v12
	ds_read_b64 v[10:11], v10 offset:28064
	ds_read_b64 v[22:23], v22 offset:28080
	v_cmp_gt_u32_e64 s[8:9], 2, v15
	s_waitcnt lgkmcnt(0)
	v_fma_f64 v[10:11], v[10:11], v[22:23], 0
	s_and_saveexec_b64 s[12:13], s[8:9]
	s_cbranch_execz .LBB133_160
; %bb.159:
	v_lshlrev_b32_e32 v22, 3, v0
	v_mov_b32_e32 v24, 0
	ds_read_b64 v[22:23], v22 offset:28576
	ds_read_b64 v[24:25], v24 offset:28600
	s_waitcnt lgkmcnt(0)
	v_fma_f64 v[10:11], v[22:23], v[24:25], v[10:11]
.LBB133_160:
	s_or_b64 exec, exec, s[12:13]
.LBB133_161:
	s_or_b64 exec, exec, s[10:11]
	s_and_saveexec_b64 s[8:9], s[40:41]
; %bb.162:
	v_xor_b32_e32 v23, 0x80000000, v11
	v_mov_b32_e32 v22, v10
	ds_write_b64 v14, v[22:23]
; %bb.163:
	s_or_b64 exec, exec, s[8:9]
	s_waitcnt lgkmcnt(0)
	s_barrier
	s_and_saveexec_b64 s[8:9], s[38:39]
	s_cbranch_execz .LBB133_165
; %bb.164:
	v_mov_b32_e32 v22, 0
	ds_read_b64 v[22:23], v22 offset:27552
	ds_read_b64 v[24:25], v14
	s_waitcnt lgkmcnt(0)
	v_fma_f64 v[10:11], -v[22:23], v[24:25], v[10:11]
.LBB133_165:
	s_or_b64 exec, exec, s[8:9]
	s_barrier
	s_and_saveexec_b64 s[8:9], s[38:39]
; %bb.166:
	v_xor_b32_e32 v23, 0x80000000, v11
	v_mov_b32_e32 v22, v10
	ds_write_b64 v14, v[22:23]
; %bb.167:
	s_or_b64 exec, exec, s[8:9]
	s_waitcnt lgkmcnt(0)
	s_barrier
	s_barrier
	s_and_saveexec_b64 s[8:9], s[0:1]
; %bb.168:
	v_lshlrev_b32_e32 v22, 3, v12
	v_lshl_or_b32 v22, v13, 9, v22
	ds_write_b64 v22, v[10:11] offset:28064
; %bb.169:
	s_or_b64 exec, exec, s[8:9]
	s_waitcnt lgkmcnt(0)
	s_barrier
	s_barrier
	s_and_saveexec_b64 s[8:9], vcc
	s_cbranch_execz .LBB133_171
; %bb.170:
	s_mov_b64 s[10:11], 1.0
	v_mov_b32_e32 v10, s10
	v_mov_b32_e32 v11, s11
	s_movk_i32 s10, 0x6800
	v_add_u32_e64 v22, s10, 0
	ds_write2_b64 v22, v[10:11], v[10:11] offset0:52 offset1:117
.LBB133_171:
	s_or_b64 exec, exec, s[8:9]
	v_mov_b32_e32 v10, 0
	v_mov_b32_e32 v11, 0
	s_waitcnt lgkmcnt(0)
	s_barrier
	buffer_wbinvl1_vol
	s_and_saveexec_b64 s[10:11], s[2:3]
	s_cbranch_execz .LBB133_177
; %bb.172:
	v_lshlrev_b32_e32 v23, 3, v16
	v_lshlrev_b32_e32 v22, 9, v17
	ds_read_b64 v[10:11], v23 offset:27008
	ds_read_b64 v[24:25], v22 offset:27040
	v_cmp_gt_u32_e64 s[8:9], 12, v15
	s_waitcnt lgkmcnt(0)
	v_fma_f64 v[10:11], v[10:11], v[24:25], 0
	s_and_saveexec_b64 s[12:13], s[8:9]
	s_cbranch_execnz .LBB133_1116
; %bb.173:
	s_or_b64 exec, exec, s[12:13]
	v_cmp_gt_u32_e64 s[8:9], 8, v15
	s_and_saveexec_b64 s[12:13], s[8:9]
	s_cbranch_execnz .LBB133_1117
.LBB133_174:
	s_or_b64 exec, exec, s[12:13]
	v_cmp_gt_u32_e64 s[8:9], 4, v15
	s_and_saveexec_b64 s[12:13], s[8:9]
	s_cbranch_execz .LBB133_176
.LBB133_175:
	v_lshlrev_b32_e32 v22, 3, v0
	v_mov_b32_e32 v24, 0
	ds_read_b64 v[22:23], v22 offset:28544
	ds_read_b64 v[24:25], v24 offset:28600
	s_waitcnt lgkmcnt(0)
	v_fma_f64 v[10:11], v[22:23], v[24:25], v[10:11]
.LBB133_176:
	s_or_b64 exec, exec, s[12:13]
.LBB133_177:
	s_or_b64 exec, exec, s[10:11]
	s_and_saveexec_b64 s[8:9], s[44:45]
; %bb.178:
	v_xor_b32_e32 v23, 0x80000000, v11
	v_mov_b32_e32 v22, v10
	ds_write_b64 v18, v[22:23]
; %bb.179:
	s_or_b64 exec, exec, s[8:9]
	s_waitcnt lgkmcnt(0)
	s_barrier
	s_and_saveexec_b64 s[8:9], s[46:47]
	s_cbranch_execz .LBB133_181
; %bb.180:
	v_lshlrev_b32_e32 v22, 3, v16
	ds_read_b64 v[22:23], v22 offset:26496
	ds_read_b64 v[24:25], v18
	s_waitcnt lgkmcnt(0)
	v_fma_f64 v[10:11], -v[22:23], v[24:25], v[10:11]
.LBB133_181:
	s_or_b64 exec, exec, s[8:9]
	s_barrier
	s_and_saveexec_b64 s[8:9], s[48:49]
; %bb.182:
	v_xor_b32_e32 v23, 0x80000000, v11
	v_mov_b32_e32 v22, v10
	ds_write_b64 v18, v[22:23]
; %bb.183:
	s_or_b64 exec, exec, s[8:9]
	s_waitcnt lgkmcnt(0)
	s_barrier
	s_and_saveexec_b64 s[8:9], s[50:51]
	s_cbranch_execz .LBB133_185
; %bb.184:
	v_lshlrev_b32_e32 v22, 3, v16
	ds_read_b64 v[22:23], v22 offset:25984
	ds_read_b64 v[24:25], v18
	s_waitcnt lgkmcnt(0)
	v_fma_f64 v[10:11], -v[22:23], v[24:25], v[10:11]
.LBB133_185:
	s_or_b64 exec, exec, s[8:9]
	s_barrier
	s_and_saveexec_b64 s[8:9], s[52:53]
; %bb.186:
	v_xor_b32_e32 v23, 0x80000000, v11
	v_mov_b32_e32 v22, v10
	ds_write_b64 v18, v[22:23]
; %bb.187:
	s_or_b64 exec, exec, s[8:9]
	s_waitcnt lgkmcnt(0)
	s_barrier
	s_and_saveexec_b64 s[8:9], s[42:43]
	s_cbranch_execz .LBB133_189
; %bb.188:
	v_mov_b32_e32 v22, 0
	ds_read_b64 v[22:23], v22 offset:25472
	ds_read_b64 v[24:25], v18
	s_waitcnt lgkmcnt(0)
	v_fma_f64 v[10:11], -v[22:23], v[24:25], v[10:11]
.LBB133_189:
	s_or_b64 exec, exec, s[8:9]
	s_barrier
	s_and_saveexec_b64 s[8:9], s[42:43]
; %bb.190:
	v_xor_b32_e32 v23, 0x80000000, v11
	v_mov_b32_e32 v22, v10
	ds_write_b64 v18, v[22:23]
; %bb.191:
	s_or_b64 exec, exec, s[8:9]
	s_waitcnt lgkmcnt(0)
	s_barrier
	s_barrier
	s_and_saveexec_b64 s[8:9], s[2:3]
; %bb.192:
	v_lshlrev_b32_e32 v22, 3, v16
	v_lshl_or_b32 v22, v17, 9, v22
	ds_write_b64 v22, v[10:11] offset:27008
; %bb.193:
	s_or_b64 exec, exec, s[8:9]
	s_waitcnt lgkmcnt(0)
	s_barrier
	s_barrier
	s_and_saveexec_b64 s[8:9], vcc
	s_cbranch_execz .LBB133_195
; %bb.194:
	s_mov_b64 s[10:11], 1.0
	v_mov_b32_e32 v10, s10
	v_mov_b32_e32 v11, s11
	s_movk_i32 s10, 0x6000
	v_add_u32_e64 v22, s10, 0
	ds_write2_b64 v22, v[10:11], v[10:11] offset0:178 offset1:243
.LBB133_195:
	s_or_b64 exec, exec, s[8:9]
	v_mov_b32_e32 v10, 0
	v_mov_b32_e32 v11, 0
	s_waitcnt lgkmcnt(0)
	s_barrier
	buffer_wbinvl1_vol
	s_and_saveexec_b64 s[10:11], s[0:1]
	s_cbranch_execz .LBB133_199
; %bb.196:
	v_lshlrev_b32_e32 v22, 9, v13
	v_lshlrev_b32_e32 v10, 3, v12
	ds_read_b64 v[10:11], v10 offset:25984
	ds_read_b64 v[22:23], v22 offset:26000
	v_cmp_gt_u32_e64 s[8:9], 2, v15
	s_waitcnt lgkmcnt(0)
	v_fma_f64 v[10:11], v[10:11], v[22:23], 0
	s_and_saveexec_b64 s[12:13], s[8:9]
	s_cbranch_execz .LBB133_198
; %bb.197:
	v_lshlrev_b32_e32 v22, 3, v0
	v_mov_b32_e32 v24, 0
	ds_read_b64 v[22:23], v22 offset:26496
	ds_read_b64 v[24:25], v24 offset:26520
	s_waitcnt lgkmcnt(0)
	v_fma_f64 v[10:11], v[22:23], v[24:25], v[10:11]
.LBB133_198:
	s_or_b64 exec, exec, s[12:13]
.LBB133_199:
	s_or_b64 exec, exec, s[10:11]
	s_and_saveexec_b64 s[8:9], s[40:41]
; %bb.200:
	v_xor_b32_e32 v23, 0x80000000, v11
	v_mov_b32_e32 v22, v10
	ds_write_b64 v14, v[22:23]
; %bb.201:
	s_or_b64 exec, exec, s[8:9]
	s_waitcnt lgkmcnt(0)
	s_barrier
	s_and_saveexec_b64 s[8:9], s[38:39]
	s_cbranch_execz .LBB133_203
; %bb.202:
	v_mov_b32_e32 v22, 0
	ds_read_b64 v[22:23], v22 offset:25472
	ds_read_b64 v[24:25], v14
	s_waitcnt lgkmcnt(0)
	v_fma_f64 v[10:11], -v[22:23], v[24:25], v[10:11]
.LBB133_203:
	s_or_b64 exec, exec, s[8:9]
	s_barrier
	s_and_saveexec_b64 s[8:9], s[38:39]
; %bb.204:
	v_xor_b32_e32 v23, 0x80000000, v11
	v_mov_b32_e32 v22, v10
	ds_write_b64 v14, v[22:23]
; %bb.205:
	s_or_b64 exec, exec, s[8:9]
	s_waitcnt lgkmcnt(0)
	s_barrier
	s_barrier
	s_and_saveexec_b64 s[8:9], s[0:1]
; %bb.206:
	v_lshlrev_b32_e32 v22, 3, v12
	v_lshl_or_b32 v22, v13, 9, v22
	ds_write_b64 v22, v[10:11] offset:25984
; %bb.207:
	s_or_b64 exec, exec, s[8:9]
	s_waitcnt lgkmcnt(0)
	s_barrier
	s_barrier
	s_and_saveexec_b64 s[8:9], vcc
	s_cbranch_execz .LBB133_209
; %bb.208:
	s_mov_b64 s[10:11], 1.0
	v_mov_b32_e32 v10, s10
	v_mov_b32_e32 v11, s11
	s_movk_i32 s10, 0x6000
	v_add_u32_e64 v22, s10, 0
	ds_write2_b64 v22, v[10:11], v[10:11] offset0:48 offset1:113
.LBB133_209:
	s_or_b64 exec, exec, s[8:9]
	s_movk_i32 s8, 0xff
	v_lshrrev_b32_e32 v24, 4, v15
	v_cmp_lt_u32_e64 s[10:11], s8, v15
	s_movk_i32 s8, 0x100
	v_mov_b32_e32 v10, 0
	v_and_b32_e32 v22, 15, v0
	v_sub_u32_e32 v23, 15, v24
	v_mov_b32_e32 v11, 0
	v_cmp_gt_u32_e64 s[8:9], s8, v15
	s_waitcnt lgkmcnt(0)
	s_barrier
	buffer_wbinvl1_vol
	s_and_saveexec_b64 s[16:17], s[8:9]
	s_cbranch_execz .LBB133_237
; %bb.210:
	v_lshlrev_b32_e32 v26, 3, v22
	v_lshlrev_b32_e32 v25, 9, v23
	ds_read_b64 v[10:11], v26 offset:24832
	ds_read_b64 v[27:28], v25 offset:24960
	s_movk_i32 s12, 0xf0
	v_cmp_gt_u32_e64 s[12:13], s12, v15
	s_waitcnt lgkmcnt(0)
	v_fma_f64 v[10:11], v[10:11], v[27:28], 0
	s_and_saveexec_b64 s[82:83], s[12:13]
	s_cbranch_execz .LBB133_212
; %bb.211:
	ds_read_b64 v[27:28], v26 offset:25344
	ds_read_b64 v[29:30], v25 offset:24968
	s_waitcnt lgkmcnt(0)
	v_fma_f64 v[10:11], v[27:28], v[29:30], v[10:11]
.LBB133_212:
	s_or_b64 exec, exec, s[82:83]
	s_movk_i32 s12, 0xe0
	v_cmp_gt_u32_e64 s[12:13], s12, v15
	s_and_saveexec_b64 s[82:83], s[12:13]
	s_cbranch_execz .LBB133_214
; %bb.213:
	ds_read_b64 v[27:28], v26 offset:25856
	ds_read_b64 v[29:30], v25 offset:24976
	s_waitcnt lgkmcnt(0)
	v_fma_f64 v[10:11], v[27:28], v[29:30], v[10:11]
.LBB133_214:
	s_or_b64 exec, exec, s[82:83]
	s_movk_i32 s12, 0xd0
	v_cmp_gt_u32_e64 s[12:13], s12, v15
	;; [unrolled: 11-line block ×10, first 2 shown]
	s_and_saveexec_b64 s[82:83], s[12:13]
	s_cbranch_execnz .LBB133_1118
; %bb.231:
	s_or_b64 exec, exec, s[82:83]
	s_and_saveexec_b64 s[12:13], s[14:15]
	s_cbranch_execnz .LBB133_1119
.LBB133_232:
	s_or_b64 exec, exec, s[12:13]
	v_cmp_gt_u32_e64 s[12:13], 48, v15
	s_and_saveexec_b64 s[82:83], s[12:13]
	s_cbranch_execnz .LBB133_1120
.LBB133_233:
	s_or_b64 exec, exec, s[82:83]
	v_cmp_gt_u32_e64 s[12:13], 32, v15
	s_and_saveexec_b64 s[82:83], s[12:13]
	s_cbranch_execnz .LBB133_1121
.LBB133_234:
	s_or_b64 exec, exec, s[82:83]
	v_cmp_gt_u32_e64 s[12:13], 16, v15
	s_and_saveexec_b64 s[82:83], s[12:13]
	s_cbranch_execz .LBB133_236
.LBB133_235:
	v_lshlrev_b32_e32 v25, 3, v0
	v_mov_b32_e32 v27, 0
	ds_read_b64 v[25:26], v25 offset:32512
	ds_read_b64 v[27:28], v27 offset:32760
	s_waitcnt lgkmcnt(0)
	v_fma_f64 v[10:11], v[25:26], v[27:28], v[10:11]
.LBB133_236:
	s_or_b64 exec, exec, s[82:83]
.LBB133_237:
	s_or_b64 exec, exec, s[16:17]
	v_mov_b32_e32 v25, 0x8000
	v_lshl_add_u32 v24, v24, 3, v25
	v_cmp_eq_u32_e64 s[12:13], 15, v22
	s_xor_b64 s[16:17], s[10:11], -1
	s_and_b64 s[12:13], s[12:13], s[16:17]
	s_mov_b64 s[10:11], exec
                                        ; implicit-def: $vgpr34 : SGPR spill to VGPR lane
	v_writelane_b32 v34, s12, 0
	v_writelane_b32 v34, s13, 1
	s_and_b64 s[12:13], s[10:11], s[12:13]
	s_mov_b64 exec, s[12:13]
; %bb.238:
	v_xor_b32_e32 v26, 0x80000000, v11
	v_mov_b32_e32 v25, v10
	ds_write_b64 v24, v[25:26]
; %bb.239:
	s_or_b64 exec, exec, s[10:11]
	v_cmp_ne_u32_e64 s[10:11], 15, v22
	s_waitcnt lgkmcnt(0)
	s_barrier
	s_and_b64 s[12:13], s[10:11], s[16:17]
	s_mov_b64 s[10:11], exec
	v_writelane_b32 v34, s12, 2
	v_writelane_b32 v34, s13, 3
	s_and_b64 s[12:13], s[10:11], s[12:13]
	s_mov_b64 exec, s[12:13]
	s_cbranch_execz .LBB133_241
; %bb.240:
	v_lshlrev_b32_e32 v25, 3, v22
	ds_read_b64 v[25:26], v25 offset:24320
	ds_read_b64 v[27:28], v24
	s_waitcnt lgkmcnt(0)
	v_fma_f64 v[10:11], -v[25:26], v[27:28], v[10:11]
.LBB133_241:
	s_or_b64 exec, exec, s[10:11]
	v_cmp_eq_u32_e64 s[10:11], 14, v22
	s_barrier
	s_and_b64 s[12:13], s[10:11], s[16:17]
	s_mov_b64 s[10:11], exec
	v_writelane_b32 v34, s12, 4
	v_writelane_b32 v34, s13, 5
	s_and_b64 s[12:13], s[10:11], s[12:13]
	s_mov_b64 exec, s[12:13]
; %bb.242:
	v_xor_b32_e32 v26, 0x80000000, v11
	v_mov_b32_e32 v25, v10
	ds_write_b64 v24, v[25:26]
; %bb.243:
	s_or_b64 exec, exec, s[10:11]
	v_cmp_gt_u32_e64 s[10:11], 14, v22
	s_waitcnt lgkmcnt(0)
	s_barrier
	s_and_b64 s[12:13], s[10:11], s[16:17]
	s_mov_b64 s[10:11], exec
	v_writelane_b32 v34, s12, 6
	v_writelane_b32 v34, s13, 7
	s_and_b64 s[12:13], s[10:11], s[12:13]
	s_mov_b64 exec, s[12:13]
	s_cbranch_execz .LBB133_245
; %bb.244:
	v_lshlrev_b32_e32 v25, 3, v22
	ds_read_b64 v[25:26], v25 offset:23808
	ds_read_b64 v[27:28], v24
	s_waitcnt lgkmcnt(0)
	v_fma_f64 v[10:11], -v[25:26], v[27:28], v[10:11]
.LBB133_245:
	s_or_b64 exec, exec, s[10:11]
	v_cmp_eq_u32_e64 s[10:11], 13, v22
	s_barrier
	s_and_b64 s[12:13], s[10:11], s[16:17]
	s_mov_b64 s[10:11], exec
	v_writelane_b32 v34, s12, 8
	v_writelane_b32 v34, s13, 9
	s_and_b64 s[12:13], s[10:11], s[12:13]
	s_mov_b64 exec, s[12:13]
; %bb.246:
	v_xor_b32_e32 v26, 0x80000000, v11
	v_mov_b32_e32 v25, v10
	ds_write_b64 v24, v[25:26]
; %bb.247:
	s_or_b64 exec, exec, s[10:11]
	v_cmp_gt_u32_e64 s[10:11], 13, v22
	s_waitcnt lgkmcnt(0)
	s_barrier
	s_and_b64 s[12:13], s[10:11], s[16:17]
	s_mov_b64 s[10:11], exec
	v_writelane_b32 v34, s12, 10
	v_writelane_b32 v34, s13, 11
	s_and_b64 s[12:13], s[10:11], s[12:13]
	s_mov_b64 exec, s[12:13]
	s_cbranch_execz .LBB133_249
; %bb.248:
	v_lshlrev_b32_e32 v25, 3, v22
	ds_read_b64 v[25:26], v25 offset:23296
	ds_read_b64 v[27:28], v24
	s_waitcnt lgkmcnt(0)
	v_fma_f64 v[10:11], -v[25:26], v[27:28], v[10:11]
.LBB133_249:
	s_or_b64 exec, exec, s[10:11]
	v_cmp_eq_u32_e64 s[10:11], 12, v22
	s_barrier
	s_and_b64 s[12:13], s[10:11], s[16:17]
	s_mov_b64 s[10:11], exec
	v_writelane_b32 v34, s12, 12
	v_writelane_b32 v34, s13, 13
	s_and_b64 s[12:13], s[10:11], s[12:13]
	s_mov_b64 exec, s[12:13]
; %bb.250:
	v_xor_b32_e32 v26, 0x80000000, v11
	v_mov_b32_e32 v25, v10
	ds_write_b64 v24, v[25:26]
; %bb.251:
	s_or_b64 exec, exec, s[10:11]
	v_cmp_gt_u32_e64 s[10:11], 12, v22
	s_waitcnt lgkmcnt(0)
	s_barrier
	s_and_b64 s[12:13], s[10:11], s[16:17]
	s_mov_b64 s[10:11], exec
	v_writelane_b32 v34, s12, 14
	v_writelane_b32 v34, s13, 15
	s_and_b64 s[12:13], s[10:11], s[12:13]
	s_mov_b64 exec, s[12:13]
	s_cbranch_execz .LBB133_253
; %bb.252:
	v_lshlrev_b32_e32 v25, 3, v22
	ds_read_b64 v[25:26], v25 offset:22784
	ds_read_b64 v[27:28], v24
	s_waitcnt lgkmcnt(0)
	v_fma_f64 v[10:11], -v[25:26], v[27:28], v[10:11]
.LBB133_253:
	s_or_b64 exec, exec, s[10:11]
	v_cmp_eq_u32_e64 s[10:11], 11, v22
	s_barrier
	s_and_b64 s[12:13], s[10:11], s[16:17]
	s_mov_b64 s[10:11], exec
	v_writelane_b32 v34, s12, 16
	v_writelane_b32 v34, s13, 17
	s_and_b64 s[12:13], s[10:11], s[12:13]
	s_mov_b64 exec, s[12:13]
; %bb.254:
	v_xor_b32_e32 v26, 0x80000000, v11
	v_mov_b32_e32 v25, v10
	ds_write_b64 v24, v[25:26]
; %bb.255:
	s_or_b64 exec, exec, s[10:11]
	v_cmp_gt_u32_e64 s[10:11], 11, v22
	s_waitcnt lgkmcnt(0)
	s_barrier
	s_and_b64 s[12:13], s[10:11], s[16:17]
	s_mov_b64 s[10:11], exec
	v_writelane_b32 v34, s12, 18
	v_writelane_b32 v34, s13, 19
	s_and_b64 s[12:13], s[10:11], s[12:13]
	s_mov_b64 exec, s[12:13]
	s_cbranch_execz .LBB133_257
; %bb.256:
	v_lshlrev_b32_e32 v25, 3, v22
	ds_read_b64 v[25:26], v25 offset:22272
	ds_read_b64 v[27:28], v24
	s_waitcnt lgkmcnt(0)
	v_fma_f64 v[10:11], -v[25:26], v[27:28], v[10:11]
.LBB133_257:
	s_or_b64 exec, exec, s[10:11]
	v_cmp_eq_u32_e64 s[10:11], 10, v22
	s_barrier
	s_and_b64 s[12:13], s[10:11], s[16:17]
	s_mov_b64 s[10:11], exec
	v_writelane_b32 v34, s12, 20
	v_writelane_b32 v34, s13, 21
	s_and_b64 s[12:13], s[10:11], s[12:13]
	s_mov_b64 exec, s[12:13]
; %bb.258:
	v_xor_b32_e32 v26, 0x80000000, v11
	v_mov_b32_e32 v25, v10
	ds_write_b64 v24, v[25:26]
; %bb.259:
	s_or_b64 exec, exec, s[10:11]
	v_cmp_gt_u32_e64 s[10:11], 10, v22
	s_waitcnt lgkmcnt(0)
	s_barrier
	s_and_b64 s[12:13], s[10:11], s[16:17]
	s_mov_b64 s[10:11], exec
	v_writelane_b32 v34, s12, 22
	v_writelane_b32 v34, s13, 23
	s_and_b64 s[12:13], s[10:11], s[12:13]
	s_mov_b64 exec, s[12:13]
	s_cbranch_execz .LBB133_261
; %bb.260:
	v_lshlrev_b32_e32 v25, 3, v22
	ds_read_b64 v[25:26], v25 offset:21760
	ds_read_b64 v[27:28], v24
	s_waitcnt lgkmcnt(0)
	v_fma_f64 v[10:11], -v[25:26], v[27:28], v[10:11]
.LBB133_261:
	s_or_b64 exec, exec, s[10:11]
	v_cmp_eq_u32_e64 s[10:11], 9, v22
	s_barrier
	s_and_b64 s[12:13], s[10:11], s[16:17]
	s_mov_b64 s[10:11], exec
	v_writelane_b32 v34, s12, 24
	v_writelane_b32 v34, s13, 25
	s_and_b64 s[12:13], s[10:11], s[12:13]
	s_mov_b64 exec, s[12:13]
; %bb.262:
	v_xor_b32_e32 v26, 0x80000000, v11
	v_mov_b32_e32 v25, v10
	ds_write_b64 v24, v[25:26]
; %bb.263:
	s_or_b64 exec, exec, s[10:11]
	v_cmp_gt_u32_e64 s[10:11], 9, v22
	s_waitcnt lgkmcnt(0)
	s_barrier
	s_and_b64 s[12:13], s[10:11], s[16:17]
	s_mov_b64 s[10:11], exec
	v_writelane_b32 v34, s12, 26
	v_writelane_b32 v34, s13, 27
	s_and_b64 s[12:13], s[10:11], s[12:13]
	s_mov_b64 exec, s[12:13]
	s_cbranch_execz .LBB133_265
; %bb.264:
	v_lshlrev_b32_e32 v25, 3, v22
	ds_read_b64 v[25:26], v25 offset:21248
	ds_read_b64 v[27:28], v24
	s_waitcnt lgkmcnt(0)
	v_fma_f64 v[10:11], -v[25:26], v[27:28], v[10:11]
.LBB133_265:
	s_or_b64 exec, exec, s[10:11]
	v_cmp_eq_u32_e64 s[10:11], 8, v22
	s_barrier
	s_and_b64 s[12:13], s[10:11], s[16:17]
	s_mov_b64 s[10:11], exec
	v_writelane_b32 v34, s12, 28
	v_writelane_b32 v34, s13, 29
	s_and_b64 s[12:13], s[10:11], s[12:13]
	s_mov_b64 exec, s[12:13]
; %bb.266:
	v_xor_b32_e32 v26, 0x80000000, v11
	v_mov_b32_e32 v25, v10
	ds_write_b64 v24, v[25:26]
; %bb.267:
	s_or_b64 exec, exec, s[10:11]
	v_cmp_gt_u32_e64 s[10:11], 8, v22
	s_waitcnt lgkmcnt(0)
	s_barrier
	s_and_b64 s[12:13], s[10:11], s[16:17]
	s_mov_b64 s[10:11], exec
	v_writelane_b32 v34, s12, 30
	v_writelane_b32 v34, s13, 31
	s_and_b64 s[12:13], s[10:11], s[12:13]
	s_mov_b64 exec, s[12:13]
	s_cbranch_execz .LBB133_269
; %bb.268:
	v_lshlrev_b32_e32 v25, 3, v22
	ds_read_b64 v[25:26], v25 offset:20736
	ds_read_b64 v[27:28], v24
	s_waitcnt lgkmcnt(0)
	v_fma_f64 v[10:11], -v[25:26], v[27:28], v[10:11]
.LBB133_269:
	s_or_b64 exec, exec, s[10:11]
	v_cmp_eq_u32_e64 s[10:11], 7, v22
	s_barrier
	s_and_b64 s[12:13], s[10:11], s[16:17]
	s_mov_b64 s[10:11], exec
	v_writelane_b32 v34, s12, 32
	v_writelane_b32 v34, s13, 33
	s_and_b64 s[12:13], s[10:11], s[12:13]
	s_mov_b64 exec, s[12:13]
; %bb.270:
	v_xor_b32_e32 v26, 0x80000000, v11
	v_mov_b32_e32 v25, v10
	ds_write_b64 v24, v[25:26]
; %bb.271:
	s_or_b64 exec, exec, s[10:11]
	v_cmp_gt_u32_e64 s[10:11], 7, v22
	s_waitcnt lgkmcnt(0)
	s_barrier
	s_and_b64 s[12:13], s[10:11], s[16:17]
	s_mov_b64 s[10:11], exec
	v_writelane_b32 v34, s12, 34
	v_writelane_b32 v34, s13, 35
	s_and_b64 s[12:13], s[10:11], s[12:13]
	s_mov_b64 exec, s[12:13]
	s_cbranch_execz .LBB133_273
; %bb.272:
	v_lshlrev_b32_e32 v25, 3, v22
	ds_read_b64 v[25:26], v25 offset:20224
	ds_read_b64 v[27:28], v24
	s_waitcnt lgkmcnt(0)
	v_fma_f64 v[10:11], -v[25:26], v[27:28], v[10:11]
.LBB133_273:
	s_or_b64 exec, exec, s[10:11]
	v_cmp_eq_u32_e64 s[10:11], 6, v22
	s_barrier
	s_and_b64 s[12:13], s[10:11], s[16:17]
	s_mov_b64 s[10:11], exec
	v_writelane_b32 v34, s12, 36
	v_writelane_b32 v34, s13, 37
	s_and_b64 s[12:13], s[10:11], s[12:13]
	s_mov_b64 exec, s[12:13]
; %bb.274:
	v_xor_b32_e32 v26, 0x80000000, v11
	v_mov_b32_e32 v25, v10
	ds_write_b64 v24, v[25:26]
; %bb.275:
	s_or_b64 exec, exec, s[10:11]
	v_cmp_gt_u32_e64 s[10:11], 6, v22
	s_waitcnt lgkmcnt(0)
	s_barrier
	s_and_b64 s[12:13], s[10:11], s[16:17]
	s_mov_b64 s[10:11], exec
	v_writelane_b32 v34, s12, 38
	v_writelane_b32 v34, s13, 39
	s_and_b64 s[12:13], s[10:11], s[12:13]
	s_mov_b64 exec, s[12:13]
	s_cbranch_execz .LBB133_277
; %bb.276:
	v_lshlrev_b32_e32 v25, 3, v22
	ds_read_b64 v[25:26], v25 offset:19712
	ds_read_b64 v[27:28], v24
	s_waitcnt lgkmcnt(0)
	v_fma_f64 v[10:11], -v[25:26], v[27:28], v[10:11]
.LBB133_277:
	s_or_b64 exec, exec, s[10:11]
	v_cmp_eq_u32_e64 s[10:11], 5, v22
	s_barrier
	s_and_b64 s[12:13], s[10:11], s[16:17]
	s_mov_b64 s[10:11], exec
	v_writelane_b32 v34, s12, 40
	v_writelane_b32 v34, s13, 41
	s_and_b64 s[12:13], s[10:11], s[12:13]
	s_mov_b64 exec, s[12:13]
; %bb.278:
	v_xor_b32_e32 v26, 0x80000000, v11
	v_mov_b32_e32 v25, v10
	ds_write_b64 v24, v[25:26]
; %bb.279:
	s_or_b64 exec, exec, s[10:11]
	v_cmp_gt_u32_e64 s[10:11], 5, v22
	s_waitcnt lgkmcnt(0)
	s_barrier
	s_and_b64 s[12:13], s[10:11], s[16:17]
	s_mov_b64 s[10:11], exec
	v_writelane_b32 v34, s12, 42
	v_writelane_b32 v34, s13, 43
	s_and_b64 s[12:13], s[10:11], s[12:13]
	s_mov_b64 exec, s[12:13]
	s_cbranch_execz .LBB133_281
; %bb.280:
	v_lshlrev_b32_e32 v25, 3, v22
	ds_read_b64 v[25:26], v25 offset:19200
	ds_read_b64 v[27:28], v24
	s_waitcnt lgkmcnt(0)
	v_fma_f64 v[10:11], -v[25:26], v[27:28], v[10:11]
.LBB133_281:
	s_or_b64 exec, exec, s[10:11]
	v_cmp_eq_u32_e64 s[10:11], 4, v22
	s_barrier
	s_and_b64 s[12:13], s[10:11], s[16:17]
	s_mov_b64 s[10:11], exec
	v_writelane_b32 v34, s12, 44
	v_writelane_b32 v34, s13, 45
	s_and_b64 s[12:13], s[10:11], s[12:13]
	s_mov_b64 exec, s[12:13]
; %bb.282:
	v_xor_b32_e32 v26, 0x80000000, v11
	v_mov_b32_e32 v25, v10
	ds_write_b64 v24, v[25:26]
; %bb.283:
	s_or_b64 exec, exec, s[10:11]
	v_cmp_gt_u32_e64 s[10:11], 4, v22
	s_waitcnt lgkmcnt(0)
	s_barrier
	s_and_b64 s[12:13], s[10:11], s[16:17]
	s_mov_b64 s[10:11], exec
	v_writelane_b32 v34, s12, 46
	v_writelane_b32 v34, s13, 47
	s_and_b64 s[12:13], s[10:11], s[12:13]
	s_mov_b64 exec, s[12:13]
	s_cbranch_execz .LBB133_285
; %bb.284:
	v_lshlrev_b32_e32 v25, 3, v22
	ds_read_b64 v[25:26], v25 offset:18688
	ds_read_b64 v[27:28], v24
	s_waitcnt lgkmcnt(0)
	v_fma_f64 v[10:11], -v[25:26], v[27:28], v[10:11]
.LBB133_285:
	s_or_b64 exec, exec, s[10:11]
	v_cmp_eq_u32_e64 s[10:11], 3, v22
	s_barrier
	s_and_b64 s[12:13], s[10:11], s[16:17]
	s_mov_b64 s[10:11], exec
	v_writelane_b32 v34, s12, 48
	v_writelane_b32 v34, s13, 49
	s_and_b64 s[12:13], s[10:11], s[12:13]
	s_mov_b64 exec, s[12:13]
; %bb.286:
	v_xor_b32_e32 v26, 0x80000000, v11
	v_mov_b32_e32 v25, v10
	ds_write_b64 v24, v[25:26]
; %bb.287:
	s_or_b64 exec, exec, s[10:11]
	v_cmp_gt_u32_e64 s[10:11], 3, v22
	s_waitcnt lgkmcnt(0)
	s_barrier
	s_and_b64 s[12:13], s[10:11], s[16:17]
	s_mov_b64 s[10:11], exec
	v_writelane_b32 v34, s12, 50
	v_writelane_b32 v34, s13, 51
	s_and_b64 s[12:13], s[10:11], s[12:13]
	s_mov_b64 exec, s[12:13]
	s_cbranch_execz .LBB133_289
; %bb.288:
	v_lshlrev_b32_e32 v25, 3, v22
	ds_read_b64 v[25:26], v25 offset:18176
	ds_read_b64 v[27:28], v24
	s_waitcnt lgkmcnt(0)
	v_fma_f64 v[10:11], -v[25:26], v[27:28], v[10:11]
.LBB133_289:
	s_or_b64 exec, exec, s[10:11]
	v_cmp_eq_u32_e64 s[10:11], 2, v22
	s_barrier
	s_and_b64 s[12:13], s[10:11], s[16:17]
	s_mov_b64 s[10:11], exec
	v_writelane_b32 v34, s12, 52
	v_writelane_b32 v34, s13, 53
	s_and_b64 s[12:13], s[10:11], s[12:13]
	s_mov_b64 exec, s[12:13]
; %bb.290:
	v_xor_b32_e32 v26, 0x80000000, v11
	v_mov_b32_e32 v25, v10
	ds_write_b64 v24, v[25:26]
; %bb.291:
	s_or_b64 exec, exec, s[10:11]
	v_cmp_gt_u32_e64 s[10:11], 2, v22
	s_and_b64 s[84:85], s[10:11], s[16:17]
	s_waitcnt lgkmcnt(0)
	s_barrier
	s_and_saveexec_b64 s[10:11], s[84:85]
	s_cbranch_execz .LBB133_293
; %bb.292:
	v_lshlrev_b32_e32 v25, 3, v22
	ds_read_b64 v[25:26], v25 offset:17664
	ds_read_b64 v[27:28], v24
	s_waitcnt lgkmcnt(0)
	v_fma_f64 v[10:11], -v[25:26], v[27:28], v[10:11]
.LBB133_293:
	s_or_b64 exec, exec, s[10:11]
	v_cmp_eq_u32_e64 s[10:11], 1, v22
	s_and_b64 s[86:87], s[10:11], s[16:17]
	s_barrier
	s_and_saveexec_b64 s[10:11], s[86:87]
; %bb.294:
	v_xor_b32_e32 v26, 0x80000000, v11
	v_mov_b32_e32 v25, v10
	ds_write_b64 v24, v[25:26]
; %bb.295:
	s_or_b64 exec, exec, s[10:11]
	v_cmp_eq_u32_e64 s[10:11], 0, v22
	s_and_b64 s[82:83], s[10:11], s[16:17]
	s_waitcnt lgkmcnt(0)
	s_barrier
	s_and_saveexec_b64 s[10:11], s[82:83]
	s_cbranch_execz .LBB133_297
; %bb.296:
	v_mov_b32_e32 v25, 0
	ds_read_b64 v[25:26], v25 offset:17152
	ds_read_b64 v[27:28], v24
	s_waitcnt lgkmcnt(0)
	v_fma_f64 v[10:11], -v[25:26], v[27:28], v[10:11]
.LBB133_297:
	s_or_b64 exec, exec, s[10:11]
	s_barrier
	s_and_saveexec_b64 s[10:11], s[82:83]
; %bb.298:
	v_xor_b32_e32 v26, 0x80000000, v11
	v_mov_b32_e32 v25, v10
	ds_write_b64 v24, v[25:26]
; %bb.299:
	s_or_b64 exec, exec, s[10:11]
	s_waitcnt lgkmcnt(0)
	s_barrier
	s_barrier
	s_and_saveexec_b64 s[10:11], s[8:9]
; %bb.300:
	v_lshlrev_b32_e32 v25, 3, v22
	v_lshl_or_b32 v25, v23, 9, v25
	ds_write_b64 v25, v[10:11] offset:24832
; %bb.301:
	s_or_b64 exec, exec, s[10:11]
	s_waitcnt lgkmcnt(0)
	s_barrier
	s_barrier
	s_and_saveexec_b64 s[10:11], vcc
	s_cbranch_execz .LBB133_303
; %bb.302:
	s_mov_b64 s[12:13], 1.0
	v_mov_b32_e32 v10, s12
	v_mov_b32_e32 v11, s13
	s_movk_i32 s12, 0x5800
	v_add_u32_e64 v25, s12, 0
	ds_write2_b64 v25, v[10:11], v[10:11] offset0:174 offset1:239
.LBB133_303:
	s_or_b64 exec, exec, s[10:11]
	v_mov_b32_e32 v10, 0
	v_mov_b32_e32 v11, 0
	s_waitcnt lgkmcnt(0)
	s_barrier
	buffer_wbinvl1_vol
	s_and_saveexec_b64 s[12:13], s[0:1]
	s_cbranch_execz .LBB133_307
; %bb.304:
	v_lshlrev_b32_e32 v25, 9, v13
	v_lshlrev_b32_e32 v10, 3, v12
	ds_read_b64 v[10:11], v10 offset:23904
	ds_read_b64 v[25:26], v25 offset:23920
	v_cmp_gt_u32_e64 s[10:11], 2, v15
	s_waitcnt lgkmcnt(0)
	v_fma_f64 v[10:11], v[10:11], v[25:26], 0
	s_and_saveexec_b64 s[16:17], s[10:11]
	s_cbranch_execz .LBB133_306
; %bb.305:
	v_lshlrev_b32_e32 v25, 3, v0
	v_mov_b32_e32 v27, 0
	ds_read_b64 v[25:26], v25 offset:24416
	ds_read_b64 v[27:28], v27 offset:24440
	s_waitcnt lgkmcnt(0)
	v_fma_f64 v[10:11], v[25:26], v[27:28], v[10:11]
.LBB133_306:
	s_or_b64 exec, exec, s[16:17]
.LBB133_307:
	s_or_b64 exec, exec, s[12:13]
	s_and_saveexec_b64 s[10:11], s[40:41]
; %bb.308:
	v_xor_b32_e32 v26, 0x80000000, v11
	v_mov_b32_e32 v25, v10
	ds_write_b64 v14, v[25:26]
; %bb.309:
	s_or_b64 exec, exec, s[10:11]
	s_waitcnt lgkmcnt(0)
	s_barrier
	s_and_saveexec_b64 s[10:11], s[38:39]
	s_cbranch_execz .LBB133_311
; %bb.310:
	v_mov_b32_e32 v25, 0
	ds_read_b64 v[25:26], v25 offset:23392
	ds_read_b64 v[27:28], v14
	s_waitcnt lgkmcnt(0)
	v_fma_f64 v[10:11], -v[25:26], v[27:28], v[10:11]
.LBB133_311:
	s_or_b64 exec, exec, s[10:11]
	s_barrier
	s_and_saveexec_b64 s[10:11], s[38:39]
; %bb.312:
	v_xor_b32_e32 v26, 0x80000000, v11
	v_mov_b32_e32 v25, v10
	ds_write_b64 v14, v[25:26]
; %bb.313:
	s_or_b64 exec, exec, s[10:11]
	s_waitcnt lgkmcnt(0)
	s_barrier
	s_barrier
	s_and_saveexec_b64 s[10:11], s[0:1]
; %bb.314:
	v_lshlrev_b32_e32 v25, 3, v12
	v_lshl_or_b32 v25, v13, 9, v25
	ds_write_b64 v25, v[10:11] offset:23904
; %bb.315:
	s_or_b64 exec, exec, s[10:11]
	s_waitcnt lgkmcnt(0)
	s_barrier
	s_barrier
	s_and_saveexec_b64 s[10:11], vcc
	s_cbranch_execz .LBB133_317
; %bb.316:
	s_mov_b64 s[12:13], 1.0
	v_mov_b32_e32 v10, s12
	v_mov_b32_e32 v11, s13
	s_movk_i32 s12, 0x5800
	v_add_u32_e64 v25, s12, 0
	ds_write2_b64 v25, v[10:11], v[10:11] offset0:44 offset1:109
.LBB133_317:
	s_or_b64 exec, exec, s[10:11]
	v_mov_b32_e32 v10, 0
	v_mov_b32_e32 v11, 0
	s_waitcnt lgkmcnt(0)
	s_barrier
	buffer_wbinvl1_vol
	s_and_saveexec_b64 s[12:13], s[2:3]
	s_cbranch_execz .LBB133_323
; %bb.318:
	v_lshlrev_b32_e32 v26, 3, v16
	v_lshlrev_b32_e32 v25, 9, v17
	ds_read_b64 v[10:11], v26 offset:22848
	ds_read_b64 v[27:28], v25 offset:22880
	v_cmp_gt_u32_e64 s[10:11], 12, v15
	s_waitcnt lgkmcnt(0)
	v_fma_f64 v[10:11], v[10:11], v[27:28], 0
	s_and_saveexec_b64 s[16:17], s[10:11]
	s_cbranch_execnz .LBB133_1122
; %bb.319:
	s_or_b64 exec, exec, s[16:17]
	v_cmp_gt_u32_e64 s[10:11], 8, v15
	s_and_saveexec_b64 s[16:17], s[10:11]
	s_cbranch_execnz .LBB133_1123
.LBB133_320:
	s_or_b64 exec, exec, s[16:17]
	v_cmp_gt_u32_e64 s[10:11], 4, v15
	s_and_saveexec_b64 s[16:17], s[10:11]
	s_cbranch_execz .LBB133_322
.LBB133_321:
	v_lshlrev_b32_e32 v25, 3, v0
	v_mov_b32_e32 v27, 0
	ds_read_b64 v[25:26], v25 offset:24384
	ds_read_b64 v[27:28], v27 offset:24440
	s_waitcnt lgkmcnt(0)
	v_fma_f64 v[10:11], v[25:26], v[27:28], v[10:11]
.LBB133_322:
	s_or_b64 exec, exec, s[16:17]
.LBB133_323:
	s_or_b64 exec, exec, s[12:13]
	s_and_saveexec_b64 s[10:11], s[44:45]
; %bb.324:
	v_xor_b32_e32 v26, 0x80000000, v11
	v_mov_b32_e32 v25, v10
	ds_write_b64 v18, v[25:26]
; %bb.325:
	s_or_b64 exec, exec, s[10:11]
	s_waitcnt lgkmcnt(0)
	s_barrier
	s_and_saveexec_b64 s[10:11], s[46:47]
	s_cbranch_execz .LBB133_327
; %bb.326:
	v_lshlrev_b32_e32 v25, 3, v16
	ds_read_b64 v[25:26], v25 offset:22336
	ds_read_b64 v[27:28], v18
	s_waitcnt lgkmcnt(0)
	v_fma_f64 v[10:11], -v[25:26], v[27:28], v[10:11]
.LBB133_327:
	s_or_b64 exec, exec, s[10:11]
	s_barrier
	s_and_saveexec_b64 s[10:11], s[48:49]
; %bb.328:
	v_xor_b32_e32 v26, 0x80000000, v11
	v_mov_b32_e32 v25, v10
	ds_write_b64 v18, v[25:26]
; %bb.329:
	s_or_b64 exec, exec, s[10:11]
	s_waitcnt lgkmcnt(0)
	s_barrier
	s_and_saveexec_b64 s[10:11], s[50:51]
	s_cbranch_execz .LBB133_331
; %bb.330:
	v_lshlrev_b32_e32 v25, 3, v16
	ds_read_b64 v[25:26], v25 offset:21824
	ds_read_b64 v[27:28], v18
	s_waitcnt lgkmcnt(0)
	v_fma_f64 v[10:11], -v[25:26], v[27:28], v[10:11]
.LBB133_331:
	s_or_b64 exec, exec, s[10:11]
	s_barrier
	s_and_saveexec_b64 s[10:11], s[52:53]
; %bb.332:
	v_xor_b32_e32 v26, 0x80000000, v11
	v_mov_b32_e32 v25, v10
	ds_write_b64 v18, v[25:26]
; %bb.333:
	s_or_b64 exec, exec, s[10:11]
	s_waitcnt lgkmcnt(0)
	s_barrier
	s_and_saveexec_b64 s[10:11], s[42:43]
	s_cbranch_execz .LBB133_335
; %bb.334:
	v_mov_b32_e32 v25, 0
	ds_read_b64 v[25:26], v25 offset:21312
	ds_read_b64 v[27:28], v18
	s_waitcnt lgkmcnt(0)
	v_fma_f64 v[10:11], -v[25:26], v[27:28], v[10:11]
.LBB133_335:
	s_or_b64 exec, exec, s[10:11]
	s_barrier
	s_and_saveexec_b64 s[10:11], s[42:43]
; %bb.336:
	v_xor_b32_e32 v26, 0x80000000, v11
	v_mov_b32_e32 v25, v10
	ds_write_b64 v18, v[25:26]
; %bb.337:
	s_or_b64 exec, exec, s[10:11]
	s_waitcnt lgkmcnt(0)
	s_barrier
	s_barrier
	s_and_saveexec_b64 s[10:11], s[2:3]
; %bb.338:
	v_lshlrev_b32_e32 v25, 3, v16
	v_lshl_or_b32 v25, v17, 9, v25
	ds_write_b64 v25, v[10:11] offset:22848
; %bb.339:
	s_or_b64 exec, exec, s[10:11]
	s_waitcnt lgkmcnt(0)
	s_barrier
	s_barrier
	s_and_saveexec_b64 s[10:11], vcc
	s_cbranch_execz .LBB133_341
; %bb.340:
	s_mov_b64 s[12:13], 1.0
	v_mov_b32_e32 v10, s12
	v_mov_b32_e32 v11, s13
	s_movk_i32 s12, 0x5000
	v_add_u32_e64 v25, s12, 0
	ds_write2_b64 v25, v[10:11], v[10:11] offset0:170 offset1:235
.LBB133_341:
	s_or_b64 exec, exec, s[10:11]
	v_mov_b32_e32 v10, 0
	v_mov_b32_e32 v11, 0
	s_waitcnt lgkmcnt(0)
	s_barrier
	buffer_wbinvl1_vol
	s_and_saveexec_b64 s[12:13], s[0:1]
	s_cbranch_execz .LBB133_345
; %bb.342:
	v_lshlrev_b32_e32 v25, 9, v13
	v_lshlrev_b32_e32 v10, 3, v12
	ds_read_b64 v[10:11], v10 offset:21824
	ds_read_b64 v[25:26], v25 offset:21840
	v_cmp_gt_u32_e64 s[10:11], 2, v15
	s_waitcnt lgkmcnt(0)
	v_fma_f64 v[10:11], v[10:11], v[25:26], 0
	s_and_saveexec_b64 s[16:17], s[10:11]
	s_cbranch_execz .LBB133_344
; %bb.343:
	v_lshlrev_b32_e32 v25, 3, v0
	v_mov_b32_e32 v27, 0
	ds_read_b64 v[25:26], v25 offset:22336
	ds_read_b64 v[27:28], v27 offset:22360
	s_waitcnt lgkmcnt(0)
	v_fma_f64 v[10:11], v[25:26], v[27:28], v[10:11]
.LBB133_344:
	s_or_b64 exec, exec, s[16:17]
.LBB133_345:
	s_or_b64 exec, exec, s[12:13]
	s_and_saveexec_b64 s[10:11], s[40:41]
; %bb.346:
	v_xor_b32_e32 v26, 0x80000000, v11
	v_mov_b32_e32 v25, v10
	ds_write_b64 v14, v[25:26]
; %bb.347:
	s_or_b64 exec, exec, s[10:11]
	s_waitcnt lgkmcnt(0)
	s_barrier
	s_and_saveexec_b64 s[10:11], s[38:39]
	s_cbranch_execz .LBB133_349
; %bb.348:
	v_mov_b32_e32 v25, 0
	ds_read_b64 v[25:26], v25 offset:21312
	ds_read_b64 v[27:28], v14
	s_waitcnt lgkmcnt(0)
	v_fma_f64 v[10:11], -v[25:26], v[27:28], v[10:11]
.LBB133_349:
	s_or_b64 exec, exec, s[10:11]
	s_barrier
	s_and_saveexec_b64 s[10:11], s[38:39]
; %bb.350:
	v_xor_b32_e32 v26, 0x80000000, v11
	v_mov_b32_e32 v25, v10
	ds_write_b64 v14, v[25:26]
; %bb.351:
	s_or_b64 exec, exec, s[10:11]
	s_waitcnt lgkmcnt(0)
	s_barrier
	s_barrier
	s_and_saveexec_b64 s[10:11], s[0:1]
; %bb.352:
	v_lshlrev_b32_e32 v25, 3, v12
	v_lshl_or_b32 v25, v13, 9, v25
	ds_write_b64 v25, v[10:11] offset:21824
; %bb.353:
	s_or_b64 exec, exec, s[10:11]
	s_waitcnt lgkmcnt(0)
	s_barrier
	s_barrier
	s_and_saveexec_b64 s[10:11], vcc
	s_cbranch_execz .LBB133_355
; %bb.354:
	s_mov_b64 s[12:13], 1.0
	v_mov_b32_e32 v10, s12
	v_mov_b32_e32 v11, s13
	s_movk_i32 s12, 0x5000
	v_add_u32_e64 v25, s12, 0
	ds_write2_b64 v25, v[10:11], v[10:11] offset0:40 offset1:105
.LBB133_355:
	s_or_b64 exec, exec, s[10:11]
	v_mov_b32_e32 v10, 0
	v_mov_b32_e32 v11, 0
	s_waitcnt lgkmcnt(0)
	s_barrier
	buffer_wbinvl1_vol
	s_and_saveexec_b64 s[12:13], s[14:15]
	s_cbranch_execz .LBB133_365
; %bb.356:
	v_lshlrev_b32_e32 v26, 3, v19
	v_lshlrev_b32_e32 v25, 9, v20
	ds_read_b64 v[10:11], v26 offset:20736
	ds_read_b64 v[27:28], v25 offset:20800
	v_cmp_gt_u32_e64 s[10:11], 56, v15
	s_waitcnt lgkmcnt(0)
	v_fma_f64 v[10:11], v[10:11], v[27:28], 0
	s_and_saveexec_b64 s[16:17], s[10:11]
	s_cbranch_execnz .LBB133_1124
; %bb.357:
	s_or_b64 exec, exec, s[16:17]
	v_cmp_gt_u32_e64 s[10:11], 48, v15
	s_and_saveexec_b64 s[16:17], s[10:11]
	s_cbranch_execnz .LBB133_1125
.LBB133_358:
	s_or_b64 exec, exec, s[16:17]
	v_cmp_gt_u32_e64 s[10:11], 40, v15
	s_and_saveexec_b64 s[16:17], s[10:11]
	s_cbranch_execnz .LBB133_1126
.LBB133_359:
	s_or_b64 exec, exec, s[16:17]
	v_cmp_gt_u32_e64 s[10:11], 32, v15
	s_and_saveexec_b64 s[16:17], s[10:11]
	s_cbranch_execnz .LBB133_1127
.LBB133_360:
	s_or_b64 exec, exec, s[16:17]
	v_cmp_gt_u32_e64 s[10:11], 24, v15
	s_and_saveexec_b64 s[16:17], s[10:11]
	s_cbranch_execnz .LBB133_1128
.LBB133_361:
	s_or_b64 exec, exec, s[16:17]
	s_and_saveexec_b64 s[10:11], s[2:3]
	s_cbranch_execnz .LBB133_1129
.LBB133_362:
	s_or_b64 exec, exec, s[10:11]
	v_cmp_gt_u32_e64 s[10:11], 8, v15
	s_and_saveexec_b64 s[16:17], s[10:11]
	s_cbranch_execz .LBB133_364
.LBB133_363:
	v_lshlrev_b32_e32 v25, 3, v0
	v_mov_b32_e32 v27, 0
	ds_read_b64 v[25:26], v25 offset:24320
	ds_read_b64 v[27:28], v27 offset:24440
	s_waitcnt lgkmcnt(0)
	v_fma_f64 v[10:11], v[25:26], v[27:28], v[10:11]
.LBB133_364:
	s_or_b64 exec, exec, s[16:17]
.LBB133_365:
	s_or_b64 exec, exec, s[12:13]
	s_and_saveexec_b64 s[10:11], s[54:55]
; %bb.366:
	v_xor_b32_e32 v26, 0x80000000, v11
	v_mov_b32_e32 v25, v10
	ds_write_b64 v21, v[25:26]
; %bb.367:
	s_or_b64 exec, exec, s[10:11]
	s_waitcnt lgkmcnt(0)
	s_barrier
	s_and_saveexec_b64 s[10:11], s[56:57]
	s_cbranch_execz .LBB133_369
; %bb.368:
	v_lshlrev_b32_e32 v25, 3, v19
	ds_read_b64 v[25:26], v25 offset:20224
	ds_read_b64 v[27:28], v21
	s_waitcnt lgkmcnt(0)
	v_fma_f64 v[10:11], -v[25:26], v[27:28], v[10:11]
.LBB133_369:
	s_or_b64 exec, exec, s[10:11]
	s_barrier
	s_and_saveexec_b64 s[10:11], s[58:59]
; %bb.370:
	v_xor_b32_e32 v26, 0x80000000, v11
	v_mov_b32_e32 v25, v10
	ds_write_b64 v21, v[25:26]
; %bb.371:
	s_or_b64 exec, exec, s[10:11]
	s_waitcnt lgkmcnt(0)
	s_barrier
	s_and_saveexec_b64 s[10:11], s[60:61]
	s_cbranch_execz .LBB133_373
; %bb.372:
	v_lshlrev_b32_e32 v25, 3, v19
	ds_read_b64 v[25:26], v25 offset:19712
	ds_read_b64 v[27:28], v21
	s_waitcnt lgkmcnt(0)
	v_fma_f64 v[10:11], -v[25:26], v[27:28], v[10:11]
.LBB133_373:
	s_or_b64 exec, exec, s[10:11]
	s_barrier
	;; [unrolled: 20-line block ×6, first 2 shown]
	s_and_saveexec_b64 s[10:11], s[80:81]
; %bb.390:
	v_xor_b32_e32 v26, 0x80000000, v11
	v_mov_b32_e32 v25, v10
	ds_write_b64 v21, v[25:26]
; %bb.391:
	s_or_b64 exec, exec, s[10:11]
	s_waitcnt lgkmcnt(0)
	s_barrier
	s_and_saveexec_b64 s[10:11], s[64:65]
	s_cbranch_execz .LBB133_393
; %bb.392:
	v_mov_b32_e32 v25, 0
	ds_read_b64 v[25:26], v25 offset:17152
	ds_read_b64 v[27:28], v21
	s_waitcnt lgkmcnt(0)
	v_fma_f64 v[10:11], -v[25:26], v[27:28], v[10:11]
.LBB133_393:
	s_or_b64 exec, exec, s[10:11]
	s_barrier
	s_and_saveexec_b64 s[10:11], s[64:65]
; %bb.394:
	v_xor_b32_e32 v26, 0x80000000, v11
	v_mov_b32_e32 v25, v10
	ds_write_b64 v21, v[25:26]
; %bb.395:
	s_or_b64 exec, exec, s[10:11]
	s_waitcnt lgkmcnt(0)
	s_barrier
	s_barrier
	s_and_saveexec_b64 s[10:11], s[14:15]
; %bb.396:
	v_lshlrev_b32_e32 v25, 3, v19
	v_lshl_or_b32 v25, v20, 9, v25
	ds_write_b64 v25, v[10:11] offset:20736
; %bb.397:
	s_or_b64 exec, exec, s[10:11]
	s_waitcnt lgkmcnt(0)
	s_barrier
	s_barrier
	s_and_saveexec_b64 s[10:11], vcc
	s_cbranch_execz .LBB133_399
; %bb.398:
	s_mov_b64 s[12:13], 1.0
	v_mov_b32_e32 v10, s12
	v_mov_b32_e32 v11, s13
	s_movk_i32 s12, 0x4800
	v_add_u32_e64 v25, s12, 0
	ds_write2_b64 v25, v[10:11], v[10:11] offset0:166 offset1:231
.LBB133_399:
	s_or_b64 exec, exec, s[10:11]
	v_mov_b32_e32 v10, 0
	v_mov_b32_e32 v11, 0
	s_waitcnt lgkmcnt(0)
	s_barrier
	buffer_wbinvl1_vol
	s_and_saveexec_b64 s[12:13], s[0:1]
	s_cbranch_execz .LBB133_403
; %bb.400:
	v_lshlrev_b32_e32 v25, 9, v13
	v_lshlrev_b32_e32 v10, 3, v12
	ds_read_b64 v[10:11], v10 offset:19744
	ds_read_b64 v[25:26], v25 offset:19760
	v_cmp_gt_u32_e64 s[10:11], 2, v15
	s_waitcnt lgkmcnt(0)
	v_fma_f64 v[10:11], v[10:11], v[25:26], 0
	s_and_saveexec_b64 s[16:17], s[10:11]
	s_cbranch_execz .LBB133_402
; %bb.401:
	v_lshlrev_b32_e32 v25, 3, v0
	v_mov_b32_e32 v27, 0
	ds_read_b64 v[25:26], v25 offset:20256
	ds_read_b64 v[27:28], v27 offset:20280
	s_waitcnt lgkmcnt(0)
	v_fma_f64 v[10:11], v[25:26], v[27:28], v[10:11]
.LBB133_402:
	s_or_b64 exec, exec, s[16:17]
.LBB133_403:
	s_or_b64 exec, exec, s[12:13]
	s_and_saveexec_b64 s[10:11], s[40:41]
; %bb.404:
	v_xor_b32_e32 v26, 0x80000000, v11
	v_mov_b32_e32 v25, v10
	ds_write_b64 v14, v[25:26]
; %bb.405:
	s_or_b64 exec, exec, s[10:11]
	s_waitcnt lgkmcnt(0)
	s_barrier
	s_and_saveexec_b64 s[10:11], s[38:39]
	s_cbranch_execz .LBB133_407
; %bb.406:
	v_mov_b32_e32 v25, 0
	ds_read_b64 v[25:26], v25 offset:19232
	ds_read_b64 v[27:28], v14
	s_waitcnt lgkmcnt(0)
	v_fma_f64 v[10:11], -v[25:26], v[27:28], v[10:11]
.LBB133_407:
	s_or_b64 exec, exec, s[10:11]
	s_barrier
	s_and_saveexec_b64 s[10:11], s[38:39]
; %bb.408:
	v_xor_b32_e32 v26, 0x80000000, v11
	v_mov_b32_e32 v25, v10
	ds_write_b64 v14, v[25:26]
; %bb.409:
	s_or_b64 exec, exec, s[10:11]
	s_waitcnt lgkmcnt(0)
	s_barrier
	s_barrier
	s_and_saveexec_b64 s[10:11], s[0:1]
; %bb.410:
	v_lshlrev_b32_e32 v25, 3, v12
	v_lshl_or_b32 v25, v13, 9, v25
	ds_write_b64 v25, v[10:11] offset:19744
; %bb.411:
	s_or_b64 exec, exec, s[10:11]
	s_waitcnt lgkmcnt(0)
	s_barrier
	s_barrier
	s_and_saveexec_b64 s[10:11], vcc
	s_cbranch_execz .LBB133_413
; %bb.412:
	s_mov_b64 s[12:13], 1.0
	v_mov_b32_e32 v10, s12
	v_mov_b32_e32 v11, s13
	s_movk_i32 s12, 0x4800
	v_add_u32_e64 v25, s12, 0
	ds_write2_b64 v25, v[10:11], v[10:11] offset0:36 offset1:101
.LBB133_413:
	s_or_b64 exec, exec, s[10:11]
	v_mov_b32_e32 v10, 0
	v_mov_b32_e32 v11, 0
	s_waitcnt lgkmcnt(0)
	s_barrier
	buffer_wbinvl1_vol
	s_and_saveexec_b64 s[12:13], s[2:3]
	s_cbranch_execz .LBB133_419
; %bb.414:
	v_lshlrev_b32_e32 v26, 3, v16
	v_lshlrev_b32_e32 v25, 9, v17
	ds_read_b64 v[10:11], v26 offset:18688
	ds_read_b64 v[27:28], v25 offset:18720
	v_cmp_gt_u32_e64 s[10:11], 12, v15
	s_waitcnt lgkmcnt(0)
	v_fma_f64 v[10:11], v[10:11], v[27:28], 0
	s_and_saveexec_b64 s[16:17], s[10:11]
	s_cbranch_execnz .LBB133_1130
; %bb.415:
	s_or_b64 exec, exec, s[16:17]
	v_cmp_gt_u32_e64 s[10:11], 8, v15
	s_and_saveexec_b64 s[16:17], s[10:11]
	s_cbranch_execnz .LBB133_1131
.LBB133_416:
	s_or_b64 exec, exec, s[16:17]
	v_cmp_gt_u32_e64 s[10:11], 4, v15
	s_and_saveexec_b64 s[16:17], s[10:11]
	s_cbranch_execz .LBB133_418
.LBB133_417:
	v_lshlrev_b32_e32 v25, 3, v0
	v_mov_b32_e32 v27, 0
	ds_read_b64 v[25:26], v25 offset:20224
	ds_read_b64 v[27:28], v27 offset:20280
	s_waitcnt lgkmcnt(0)
	v_fma_f64 v[10:11], v[25:26], v[27:28], v[10:11]
.LBB133_418:
	s_or_b64 exec, exec, s[16:17]
.LBB133_419:
	s_or_b64 exec, exec, s[12:13]
	s_and_saveexec_b64 s[10:11], s[44:45]
; %bb.420:
	v_xor_b32_e32 v26, 0x80000000, v11
	v_mov_b32_e32 v25, v10
	ds_write_b64 v18, v[25:26]
; %bb.421:
	s_or_b64 exec, exec, s[10:11]
	s_waitcnt lgkmcnt(0)
	s_barrier
	s_and_saveexec_b64 s[10:11], s[46:47]
	s_cbranch_execz .LBB133_423
; %bb.422:
	v_lshlrev_b32_e32 v25, 3, v16
	ds_read_b64 v[25:26], v25 offset:18176
	ds_read_b64 v[27:28], v18
	s_waitcnt lgkmcnt(0)
	v_fma_f64 v[10:11], -v[25:26], v[27:28], v[10:11]
.LBB133_423:
	s_or_b64 exec, exec, s[10:11]
	s_barrier
	s_and_saveexec_b64 s[10:11], s[48:49]
; %bb.424:
	v_xor_b32_e32 v26, 0x80000000, v11
	v_mov_b32_e32 v25, v10
	ds_write_b64 v18, v[25:26]
; %bb.425:
	s_or_b64 exec, exec, s[10:11]
	s_waitcnt lgkmcnt(0)
	s_barrier
	s_and_saveexec_b64 s[10:11], s[50:51]
	s_cbranch_execz .LBB133_427
; %bb.426:
	v_lshlrev_b32_e32 v25, 3, v16
	ds_read_b64 v[25:26], v25 offset:17664
	ds_read_b64 v[27:28], v18
	s_waitcnt lgkmcnt(0)
	v_fma_f64 v[10:11], -v[25:26], v[27:28], v[10:11]
.LBB133_427:
	s_or_b64 exec, exec, s[10:11]
	s_barrier
	s_and_saveexec_b64 s[10:11], s[52:53]
; %bb.428:
	v_xor_b32_e32 v26, 0x80000000, v11
	v_mov_b32_e32 v25, v10
	ds_write_b64 v18, v[25:26]
; %bb.429:
	s_or_b64 exec, exec, s[10:11]
	s_waitcnt lgkmcnt(0)
	s_barrier
	s_and_saveexec_b64 s[10:11], s[42:43]
	s_cbranch_execz .LBB133_431
; %bb.430:
	v_mov_b32_e32 v25, 0
	ds_read_b64 v[25:26], v25 offset:17152
	ds_read_b64 v[27:28], v18
	s_waitcnt lgkmcnt(0)
	v_fma_f64 v[10:11], -v[25:26], v[27:28], v[10:11]
.LBB133_431:
	s_or_b64 exec, exec, s[10:11]
	s_barrier
	s_and_saveexec_b64 s[10:11], s[42:43]
; %bb.432:
	v_xor_b32_e32 v26, 0x80000000, v11
	v_mov_b32_e32 v25, v10
	ds_write_b64 v18, v[25:26]
; %bb.433:
	s_or_b64 exec, exec, s[10:11]
	s_waitcnt lgkmcnt(0)
	s_barrier
	s_barrier
	s_and_saveexec_b64 s[10:11], s[2:3]
; %bb.434:
	v_lshlrev_b32_e32 v25, 3, v16
	v_lshl_or_b32 v25, v17, 9, v25
	ds_write_b64 v25, v[10:11] offset:18688
; %bb.435:
	s_or_b64 exec, exec, s[10:11]
	s_waitcnt lgkmcnt(0)
	s_barrier
	s_barrier
	s_and_saveexec_b64 s[10:11], vcc
	s_cbranch_execz .LBB133_437
; %bb.436:
	s_mov_b64 s[12:13], 1.0
	v_mov_b32_e32 v10, s12
	v_mov_b32_e32 v11, s13
	s_movk_i32 s12, 0x4000
	v_add_u32_e64 v25, s12, 0
	ds_write2_b64 v25, v[10:11], v[10:11] offset0:162 offset1:227
.LBB133_437:
	s_or_b64 exec, exec, s[10:11]
	v_mov_b32_e32 v10, 0
	v_mov_b32_e32 v11, 0
	s_waitcnt lgkmcnt(0)
	s_barrier
	buffer_wbinvl1_vol
	s_and_saveexec_b64 s[12:13], s[0:1]
	s_cbranch_execz .LBB133_441
; %bb.438:
	v_lshlrev_b32_e32 v25, 9, v13
	v_lshlrev_b32_e32 v10, 3, v12
	ds_read_b64 v[10:11], v10 offset:17664
	ds_read_b64 v[25:26], v25 offset:17680
	v_cmp_gt_u32_e64 s[10:11], 2, v15
	s_waitcnt lgkmcnt(0)
	v_fma_f64 v[10:11], v[10:11], v[25:26], 0
	s_and_saveexec_b64 s[16:17], s[10:11]
	s_cbranch_execz .LBB133_440
; %bb.439:
	v_lshlrev_b32_e32 v25, 3, v0
	v_mov_b32_e32 v27, 0
	ds_read_b64 v[25:26], v25 offset:18176
	ds_read_b64 v[27:28], v27 offset:18200
	s_waitcnt lgkmcnt(0)
	v_fma_f64 v[10:11], v[25:26], v[27:28], v[10:11]
.LBB133_440:
	s_or_b64 exec, exec, s[16:17]
.LBB133_441:
	s_or_b64 exec, exec, s[12:13]
	s_and_saveexec_b64 s[10:11], s[40:41]
; %bb.442:
	v_xor_b32_e32 v26, 0x80000000, v11
	v_mov_b32_e32 v25, v10
	ds_write_b64 v14, v[25:26]
; %bb.443:
	s_or_b64 exec, exec, s[10:11]
	s_waitcnt lgkmcnt(0)
	s_barrier
	s_and_saveexec_b64 s[10:11], s[38:39]
	s_cbranch_execz .LBB133_445
; %bb.444:
	v_mov_b32_e32 v25, 0
	ds_read_b64 v[25:26], v25 offset:17152
	ds_read_b64 v[27:28], v14
	s_waitcnt lgkmcnt(0)
	v_fma_f64 v[10:11], -v[25:26], v[27:28], v[10:11]
.LBB133_445:
	s_or_b64 exec, exec, s[10:11]
	s_barrier
	s_and_saveexec_b64 s[10:11], s[38:39]
; %bb.446:
	v_xor_b32_e32 v26, 0x80000000, v11
	v_mov_b32_e32 v25, v10
	ds_write_b64 v14, v[25:26]
; %bb.447:
	s_or_b64 exec, exec, s[10:11]
	s_waitcnt lgkmcnt(0)
	s_barrier
	s_barrier
	s_and_saveexec_b64 s[10:11], s[0:1]
; %bb.448:
	v_lshlrev_b32_e32 v25, 3, v12
	v_lshl_or_b32 v25, v13, 9, v25
	ds_write_b64 v25, v[10:11] offset:17664
; %bb.449:
	s_or_b64 exec, exec, s[10:11]
	s_waitcnt lgkmcnt(0)
	s_barrier
	s_barrier
	s_and_saveexec_b64 s[10:11], vcc
	s_cbranch_execz .LBB133_451
; %bb.450:
	s_mov_b64 s[12:13], 1.0
	v_mov_b32_e32 v10, s12
	v_mov_b32_e32 v11, s13
	s_movk_i32 s12, 0x4000
	v_add_u32_e64 v25, s12, 0
	ds_write2_b64 v25, v[10:11], v[10:11] offset0:32 offset1:97
.LBB133_451:
	s_or_b64 exec, exec, s[10:11]
	s_movk_i32 s10, 0x3ff
	v_and_b32_e32 v27, 31, v0
	v_lshrrev_b32_e32 v28, 5, v15
	v_cmp_lt_u32_e64 s[12:13], s10, v15
	s_movk_i32 s10, 0x400
	v_mov_b32_e32 v10, 0
	v_sub_u32_e32 v25, 31, v28
	v_cmp_gt_u32_e64 s[10:11], s10, v15
	v_mov_b32_e32 v11, 0
	v_lshlrev_b32_e32 v26, 3, v27
	s_waitcnt lgkmcnt(0)
	s_barrier
	buffer_wbinvl1_vol
	s_and_saveexec_b64 s[88:89], s[10:11]
	s_cbranch_execz .LBB133_513
; %bb.452:
	v_lshlrev_b32_e32 v29, 9, v25
	ds_read_b64 v[10:11], v26 offset:16384
	ds_read_b64 v[30:31], v29 offset:16640
	s_movk_i32 s16, 0x3e0
	v_cmp_gt_u32_e64 s[16:17], s16, v15
	s_waitcnt lgkmcnt(0)
	v_fma_f64 v[10:11], v[10:11], v[30:31], 0
	s_and_saveexec_b64 s[90:91], s[16:17]
	s_cbranch_execz .LBB133_454
; %bb.453:
	ds_read_b64 v[30:31], v26 offset:16896
	ds_read_b64 v[32:33], v29 offset:16648
	s_waitcnt lgkmcnt(0)
	v_fma_f64 v[10:11], v[30:31], v[32:33], v[10:11]
.LBB133_454:
	s_or_b64 exec, exec, s[90:91]
	s_movk_i32 s16, 0x3c0
	v_cmp_gt_u32_e64 s[16:17], s16, v15
	s_and_saveexec_b64 s[90:91], s[16:17]
	s_cbranch_execz .LBB133_456
; %bb.455:
	ds_read_b64 v[30:31], v26 offset:17408
	ds_read_b64 v[32:33], v29 offset:16656
	s_waitcnt lgkmcnt(0)
	v_fma_f64 v[10:11], v[30:31], v[32:33], v[10:11]
.LBB133_456:
	s_or_b64 exec, exec, s[90:91]
	s_movk_i32 s16, 0x3a0
	v_cmp_gt_u32_e64 s[16:17], s16, v15
	;; [unrolled: 11-line block ×22, first 2 shown]
	s_and_saveexec_b64 s[90:91], s[16:17]
	s_cbranch_execz .LBB133_498
; %bb.497:
	ds_read_b64 v[30:31], v26 offset:28160
	ds_read_b64 v[32:33], v29 offset:16824
	s_waitcnt lgkmcnt(0)
	v_fma_f64 v[10:11], v[30:31], v[32:33], v[10:11]
.LBB133_498:
	s_or_b64 exec, exec, s[90:91]
	s_and_saveexec_b64 s[16:17], s[8:9]
	s_cbranch_execz .LBB133_500
; %bb.499:
	ds_read_b64 v[30:31], v26 offset:28672
	ds_read_b64 v[32:33], v29 offset:16832
	s_waitcnt lgkmcnt(0)
	v_fma_f64 v[10:11], v[30:31], v[32:33], v[10:11]
.LBB133_500:
	s_or_b64 exec, exec, s[16:17]
	s_movk_i32 s16, 0xe0
	v_cmp_gt_u32_e64 s[16:17], s16, v15
	s_and_saveexec_b64 s[90:91], s[16:17]
	s_cbranch_execz .LBB133_502
; %bb.501:
	ds_read_b64 v[30:31], v26 offset:29184
	ds_read_b64 v[32:33], v29 offset:16840
	s_waitcnt lgkmcnt(0)
	v_fma_f64 v[10:11], v[30:31], v[32:33], v[10:11]
.LBB133_502:
	s_or_b64 exec, exec, s[90:91]
	s_movk_i32 s16, 0xc0
	v_cmp_gt_u32_e64 s[16:17], s16, v15
	;; [unrolled: 11-line block ×5, first 2 shown]
	s_and_saveexec_b64 s[90:91], s[16:17]
	s_cbranch_execnz .LBB133_1132
; %bb.509:
	s_or_b64 exec, exec, s[90:91]
	s_and_saveexec_b64 s[16:17], s[14:15]
	s_cbranch_execnz .LBB133_1133
.LBB133_510:
	s_or_b64 exec, exec, s[16:17]
	v_cmp_gt_u32_e64 s[16:17], 32, v15
	s_and_saveexec_b64 s[90:91], s[16:17]
	s_cbranch_execz .LBB133_512
.LBB133_511:
	v_lshlrev_b32_e32 v29, 3, v0
	v_mov_b32_e32 v31, 0
	ds_read_b64 v[29:30], v29 offset:32256
	ds_read_b64 v[31:32], v31 offset:32760
	s_waitcnt lgkmcnt(0)
	v_fma_f64 v[10:11], v[29:30], v[31:32], v[10:11]
.LBB133_512:
	s_or_b64 exec, exec, s[90:91]
.LBB133_513:
	s_or_b64 exec, exec, s[88:89]
	v_mov_b32_e32 v29, 0x8000
	v_cmp_eq_u32_e64 s[16:17], 31, v27
	s_xor_b64 s[88:89], s[12:13], -1
	v_lshl_add_u32 v28, v28, 3, v29
	s_and_b64 s[16:17], s[88:89], s[16:17]
	s_and_saveexec_b64 s[12:13], s[16:17]
; %bb.514:
	v_xor_b32_e32 v30, 0x80000000, v11
	v_mov_b32_e32 v29, v10
	ds_write_b64 v28, v[29:30]
; %bb.515:
	s_or_b64 exec, exec, s[12:13]
	v_cmp_ne_u32_e64 s[12:13], 31, v27
	s_and_b64 s[16:17], s[88:89], s[12:13]
	s_waitcnt lgkmcnt(0)
	s_barrier
	s_and_saveexec_b64 s[12:13], s[16:17]
	s_cbranch_execz .LBB133_517
; %bb.516:
	ds_read_b64 v[29:30], v26 offset:15872
	ds_read_b64 v[31:32], v28
	s_waitcnt lgkmcnt(0)
	v_fma_f64 v[10:11], -v[29:30], v[31:32], v[10:11]
.LBB133_517:
	s_or_b64 exec, exec, s[12:13]
	v_cmp_eq_u32_e64 s[12:13], 30, v27
	s_and_b64 s[16:17], s[88:89], s[12:13]
	s_barrier
	s_and_saveexec_b64 s[12:13], s[16:17]
; %bb.518:
	v_xor_b32_e32 v30, 0x80000000, v11
	v_mov_b32_e32 v29, v10
	ds_write_b64 v28, v[29:30]
; %bb.519:
	s_or_b64 exec, exec, s[12:13]
	v_cmp_gt_u32_e64 s[12:13], 30, v27
	s_and_b64 s[16:17], s[88:89], s[12:13]
	s_waitcnt lgkmcnt(0)
	s_barrier
	s_and_saveexec_b64 s[12:13], s[16:17]
	s_cbranch_execz .LBB133_521
; %bb.520:
	ds_read_b64 v[29:30], v26 offset:15360
	ds_read_b64 v[31:32], v28
	s_waitcnt lgkmcnt(0)
	v_fma_f64 v[10:11], -v[29:30], v[31:32], v[10:11]
.LBB133_521:
	s_or_b64 exec, exec, s[12:13]
	v_cmp_eq_u32_e64 s[12:13], 29, v27
	s_and_b64 s[16:17], s[88:89], s[12:13]
	s_barrier
	s_and_saveexec_b64 s[12:13], s[16:17]
; %bb.522:
	v_xor_b32_e32 v30, 0x80000000, v11
	v_mov_b32_e32 v29, v10
	ds_write_b64 v28, v[29:30]
; %bb.523:
	s_or_b64 exec, exec, s[12:13]
	v_cmp_gt_u32_e64 s[12:13], 29, v27
	;; [unrolled: 23-line block ×29, first 2 shown]
	s_and_b64 s[16:17], s[88:89], s[12:13]
	s_waitcnt lgkmcnt(0)
	s_barrier
	s_and_saveexec_b64 s[12:13], s[16:17]
	s_cbranch_execz .LBB133_633
; %bb.632:
	ds_read_b64 v[29:30], v26 offset:1024
	ds_read_b64 v[31:32], v28
	s_waitcnt lgkmcnt(0)
	v_fma_f64 v[10:11], -v[29:30], v[31:32], v[10:11]
.LBB133_633:
	s_or_b64 exec, exec, s[12:13]
	v_cmp_eq_u32_e64 s[12:13], 1, v27
	s_and_b64 s[16:17], s[88:89], s[12:13]
	s_barrier
	s_and_saveexec_b64 s[12:13], s[16:17]
; %bb.634:
	v_xor_b32_e32 v30, 0x80000000, v11
	v_mov_b32_e32 v29, v10
	ds_write_b64 v28, v[29:30]
; %bb.635:
	s_or_b64 exec, exec, s[12:13]
	v_cmp_eq_u32_e64 s[12:13], 0, v27
	s_and_b64 s[12:13], s[88:89], s[12:13]
	s_waitcnt lgkmcnt(0)
	s_barrier
	s_and_saveexec_b64 s[16:17], s[12:13]
	s_cbranch_execz .LBB133_637
; %bb.636:
	ds_read_b64 v[29:30], v26 offset:512
	ds_read_b64 v[31:32], v28
	s_waitcnt lgkmcnt(0)
	v_fma_f64 v[10:11], -v[29:30], v[31:32], v[10:11]
.LBB133_637:
	s_or_b64 exec, exec, s[16:17]
	s_barrier
	s_and_saveexec_b64 s[16:17], s[12:13]
; %bb.638:
	v_xor_b32_e32 v30, 0x80000000, v11
	v_mov_b32_e32 v29, v10
	ds_write_b64 v28, v[29:30]
; %bb.639:
	s_or_b64 exec, exec, s[16:17]
	s_waitcnt lgkmcnt(0)
	s_barrier
	s_barrier
	s_and_saveexec_b64 s[12:13], s[10:11]
; %bb.640:
	v_lshl_or_b32 v25, v25, 9, v26
	ds_write_b64 v25, v[10:11] offset:16384
; %bb.641:
	s_or_b64 exec, exec, s[12:13]
	s_waitcnt lgkmcnt(0)
	s_barrier
	s_barrier
	s_and_saveexec_b64 s[10:11], vcc
	s_cbranch_execz .LBB133_643
; %bb.642:
	s_mov_b64 s[12:13], 1.0
	v_mov_b32_e32 v10, s12
	v_mov_b32_e32 v11, s13
	s_movk_i32 s12, 0x3800
	v_add_u32_e64 v25, s12, 0
	ds_write2_b64 v25, v[10:11], v[10:11] offset0:158 offset1:223
.LBB133_643:
	s_or_b64 exec, exec, s[10:11]
	v_mov_b32_e32 v10, 0
	v_mov_b32_e32 v11, 0
	s_waitcnt lgkmcnt(0)
	s_barrier
	buffer_wbinvl1_vol
	s_and_saveexec_b64 s[12:13], s[0:1]
	s_cbranch_execz .LBB133_647
; %bb.644:
	v_lshlrev_b32_e32 v25, 9, v13
	v_lshlrev_b32_e32 v10, 3, v12
	ds_read_b64 v[10:11], v10 offset:15584
	ds_read_b64 v[25:26], v25 offset:15600
	v_cmp_gt_u32_e64 s[10:11], 2, v15
	s_waitcnt lgkmcnt(0)
	v_fma_f64 v[10:11], v[10:11], v[25:26], 0
	s_and_saveexec_b64 s[16:17], s[10:11]
	s_cbranch_execz .LBB133_646
; %bb.645:
	v_lshlrev_b32_e32 v25, 3, v0
	v_mov_b32_e32 v27, 0
	ds_read_b64 v[25:26], v25 offset:16096
	ds_read_b64 v[27:28], v27 offset:16120
	s_waitcnt lgkmcnt(0)
	v_fma_f64 v[10:11], v[25:26], v[27:28], v[10:11]
.LBB133_646:
	s_or_b64 exec, exec, s[16:17]
.LBB133_647:
	s_or_b64 exec, exec, s[12:13]
	s_and_saveexec_b64 s[10:11], s[40:41]
; %bb.648:
	v_xor_b32_e32 v26, 0x80000000, v11
	v_mov_b32_e32 v25, v10
	ds_write_b64 v14, v[25:26]
; %bb.649:
	s_or_b64 exec, exec, s[10:11]
	s_waitcnt lgkmcnt(0)
	s_barrier
	s_and_saveexec_b64 s[10:11], s[38:39]
	s_cbranch_execz .LBB133_651
; %bb.650:
	v_mov_b32_e32 v25, 0
	ds_read_b64 v[25:26], v25 offset:15072
	ds_read_b64 v[27:28], v14
	s_waitcnt lgkmcnt(0)
	v_fma_f64 v[10:11], -v[25:26], v[27:28], v[10:11]
.LBB133_651:
	s_or_b64 exec, exec, s[10:11]
	s_barrier
	s_and_saveexec_b64 s[10:11], s[38:39]
; %bb.652:
	v_xor_b32_e32 v26, 0x80000000, v11
	v_mov_b32_e32 v25, v10
	ds_write_b64 v14, v[25:26]
; %bb.653:
	s_or_b64 exec, exec, s[10:11]
	s_waitcnt lgkmcnt(0)
	s_barrier
	s_barrier
	s_and_saveexec_b64 s[10:11], s[0:1]
; %bb.654:
	v_lshlrev_b32_e32 v25, 3, v12
	v_lshl_or_b32 v25, v13, 9, v25
	ds_write_b64 v25, v[10:11] offset:15584
; %bb.655:
	s_or_b64 exec, exec, s[10:11]
	s_waitcnt lgkmcnt(0)
	s_barrier
	s_barrier
	s_and_saveexec_b64 s[10:11], vcc
	s_cbranch_execz .LBB133_657
; %bb.656:
	s_mov_b64 s[12:13], 1.0
	v_mov_b32_e32 v10, s12
	v_mov_b32_e32 v11, s13
	s_movk_i32 s12, 0x3800
	v_add_u32_e64 v25, s12, 0
	ds_write2_b64 v25, v[10:11], v[10:11] offset0:28 offset1:93
.LBB133_657:
	s_or_b64 exec, exec, s[10:11]
	v_mov_b32_e32 v10, 0
	v_mov_b32_e32 v11, 0
	s_waitcnt lgkmcnt(0)
	s_barrier
	buffer_wbinvl1_vol
	s_and_saveexec_b64 s[12:13], s[2:3]
	s_cbranch_execz .LBB133_663
; %bb.658:
	v_lshlrev_b32_e32 v26, 3, v16
	v_lshlrev_b32_e32 v25, 9, v17
	ds_read_b64 v[10:11], v26 offset:14528
	ds_read_b64 v[27:28], v25 offset:14560
	v_cmp_gt_u32_e64 s[10:11], 12, v15
	s_waitcnt lgkmcnt(0)
	v_fma_f64 v[10:11], v[10:11], v[27:28], 0
	s_and_saveexec_b64 s[16:17], s[10:11]
	s_cbranch_execnz .LBB133_1134
; %bb.659:
	s_or_b64 exec, exec, s[16:17]
	v_cmp_gt_u32_e64 s[10:11], 8, v15
	s_and_saveexec_b64 s[16:17], s[10:11]
	s_cbranch_execnz .LBB133_1135
.LBB133_660:
	s_or_b64 exec, exec, s[16:17]
	v_cmp_gt_u32_e64 s[10:11], 4, v15
	s_and_saveexec_b64 s[16:17], s[10:11]
	s_cbranch_execz .LBB133_662
.LBB133_661:
	v_lshlrev_b32_e32 v25, 3, v0
	v_mov_b32_e32 v27, 0
	ds_read_b64 v[25:26], v25 offset:16064
	ds_read_b64 v[27:28], v27 offset:16120
	s_waitcnt lgkmcnt(0)
	v_fma_f64 v[10:11], v[25:26], v[27:28], v[10:11]
.LBB133_662:
	s_or_b64 exec, exec, s[16:17]
.LBB133_663:
	s_or_b64 exec, exec, s[12:13]
	s_and_saveexec_b64 s[10:11], s[44:45]
; %bb.664:
	v_xor_b32_e32 v26, 0x80000000, v11
	v_mov_b32_e32 v25, v10
	ds_write_b64 v18, v[25:26]
; %bb.665:
	s_or_b64 exec, exec, s[10:11]
	s_waitcnt lgkmcnt(0)
	s_barrier
	s_and_saveexec_b64 s[10:11], s[46:47]
	s_cbranch_execz .LBB133_667
; %bb.666:
	v_lshlrev_b32_e32 v25, 3, v16
	ds_read_b64 v[25:26], v25 offset:14016
	ds_read_b64 v[27:28], v18
	s_waitcnt lgkmcnt(0)
	v_fma_f64 v[10:11], -v[25:26], v[27:28], v[10:11]
.LBB133_667:
	s_or_b64 exec, exec, s[10:11]
	s_barrier
	s_and_saveexec_b64 s[10:11], s[48:49]
; %bb.668:
	v_xor_b32_e32 v26, 0x80000000, v11
	v_mov_b32_e32 v25, v10
	ds_write_b64 v18, v[25:26]
; %bb.669:
	s_or_b64 exec, exec, s[10:11]
	s_waitcnt lgkmcnt(0)
	s_barrier
	s_and_saveexec_b64 s[10:11], s[50:51]
	s_cbranch_execz .LBB133_671
; %bb.670:
	v_lshlrev_b32_e32 v25, 3, v16
	ds_read_b64 v[25:26], v25 offset:13504
	ds_read_b64 v[27:28], v18
	s_waitcnt lgkmcnt(0)
	v_fma_f64 v[10:11], -v[25:26], v[27:28], v[10:11]
.LBB133_671:
	s_or_b64 exec, exec, s[10:11]
	s_barrier
	s_and_saveexec_b64 s[10:11], s[52:53]
; %bb.672:
	v_xor_b32_e32 v26, 0x80000000, v11
	v_mov_b32_e32 v25, v10
	ds_write_b64 v18, v[25:26]
; %bb.673:
	s_or_b64 exec, exec, s[10:11]
	s_waitcnt lgkmcnt(0)
	s_barrier
	s_and_saveexec_b64 s[10:11], s[42:43]
	s_cbranch_execz .LBB133_675
; %bb.674:
	v_mov_b32_e32 v25, 0
	ds_read_b64 v[25:26], v25 offset:12992
	ds_read_b64 v[27:28], v18
	s_waitcnt lgkmcnt(0)
	v_fma_f64 v[10:11], -v[25:26], v[27:28], v[10:11]
.LBB133_675:
	s_or_b64 exec, exec, s[10:11]
	s_barrier
	s_and_saveexec_b64 s[10:11], s[42:43]
; %bb.676:
	v_xor_b32_e32 v26, 0x80000000, v11
	v_mov_b32_e32 v25, v10
	ds_write_b64 v18, v[25:26]
; %bb.677:
	s_or_b64 exec, exec, s[10:11]
	s_waitcnt lgkmcnt(0)
	s_barrier
	s_barrier
	s_and_saveexec_b64 s[10:11], s[2:3]
; %bb.678:
	v_lshlrev_b32_e32 v25, 3, v16
	v_lshl_or_b32 v25, v17, 9, v25
	ds_write_b64 v25, v[10:11] offset:14528
; %bb.679:
	s_or_b64 exec, exec, s[10:11]
	s_waitcnt lgkmcnt(0)
	s_barrier
	s_barrier
	s_and_saveexec_b64 s[10:11], vcc
	s_cbranch_execz .LBB133_681
; %bb.680:
	s_mov_b64 s[12:13], 1.0
	v_mov_b32_e32 v10, s12
	v_mov_b32_e32 v11, s13
	s_movk_i32 s12, 0x3000
	v_add_u32_e64 v25, s12, 0
	ds_write2_b64 v25, v[10:11], v[10:11] offset0:154 offset1:219
.LBB133_681:
	s_or_b64 exec, exec, s[10:11]
	v_mov_b32_e32 v10, 0
	v_mov_b32_e32 v11, 0
	s_waitcnt lgkmcnt(0)
	s_barrier
	buffer_wbinvl1_vol
	s_and_saveexec_b64 s[12:13], s[0:1]
	s_cbranch_execz .LBB133_685
; %bb.682:
	v_lshlrev_b32_e32 v25, 9, v13
	v_lshlrev_b32_e32 v10, 3, v12
	ds_read_b64 v[10:11], v10 offset:13504
	ds_read_b64 v[25:26], v25 offset:13520
	v_cmp_gt_u32_e64 s[10:11], 2, v15
	s_waitcnt lgkmcnt(0)
	v_fma_f64 v[10:11], v[10:11], v[25:26], 0
	s_and_saveexec_b64 s[16:17], s[10:11]
	s_cbranch_execz .LBB133_684
; %bb.683:
	v_lshlrev_b32_e32 v25, 3, v0
	v_mov_b32_e32 v27, 0
	ds_read_b64 v[25:26], v25 offset:14016
	ds_read_b64 v[27:28], v27 offset:14040
	s_waitcnt lgkmcnt(0)
	v_fma_f64 v[10:11], v[25:26], v[27:28], v[10:11]
.LBB133_684:
	s_or_b64 exec, exec, s[16:17]
.LBB133_685:
	s_or_b64 exec, exec, s[12:13]
	s_and_saveexec_b64 s[10:11], s[40:41]
; %bb.686:
	v_xor_b32_e32 v26, 0x80000000, v11
	v_mov_b32_e32 v25, v10
	ds_write_b64 v14, v[25:26]
; %bb.687:
	s_or_b64 exec, exec, s[10:11]
	s_waitcnt lgkmcnt(0)
	s_barrier
	s_and_saveexec_b64 s[10:11], s[38:39]
	s_cbranch_execz .LBB133_689
; %bb.688:
	v_mov_b32_e32 v25, 0
	ds_read_b64 v[25:26], v25 offset:12992
	ds_read_b64 v[27:28], v14
	s_waitcnt lgkmcnt(0)
	v_fma_f64 v[10:11], -v[25:26], v[27:28], v[10:11]
.LBB133_689:
	s_or_b64 exec, exec, s[10:11]
	s_barrier
	s_and_saveexec_b64 s[10:11], s[38:39]
; %bb.690:
	v_xor_b32_e32 v26, 0x80000000, v11
	v_mov_b32_e32 v25, v10
	ds_write_b64 v14, v[25:26]
; %bb.691:
	s_or_b64 exec, exec, s[10:11]
	s_waitcnt lgkmcnt(0)
	s_barrier
	s_barrier
	s_and_saveexec_b64 s[10:11], s[0:1]
; %bb.692:
	v_lshlrev_b32_e32 v25, 3, v12
	v_lshl_or_b32 v25, v13, 9, v25
	ds_write_b64 v25, v[10:11] offset:13504
; %bb.693:
	s_or_b64 exec, exec, s[10:11]
	s_waitcnt lgkmcnt(0)
	s_barrier
	s_barrier
	s_and_saveexec_b64 s[10:11], vcc
	s_cbranch_execz .LBB133_695
; %bb.694:
	s_mov_b64 s[12:13], 1.0
	v_mov_b32_e32 v10, s12
	v_mov_b32_e32 v11, s13
	s_movk_i32 s12, 0x3000
	v_add_u32_e64 v25, s12, 0
	ds_write2_b64 v25, v[10:11], v[10:11] offset0:24 offset1:89
.LBB133_695:
	s_or_b64 exec, exec, s[10:11]
	v_mov_b32_e32 v10, 0
	v_mov_b32_e32 v11, 0
	s_waitcnt lgkmcnt(0)
	s_barrier
	buffer_wbinvl1_vol
	s_and_saveexec_b64 s[12:13], s[14:15]
	s_cbranch_execz .LBB133_705
; %bb.696:
	v_lshlrev_b32_e32 v26, 3, v19
	v_lshlrev_b32_e32 v25, 9, v20
	ds_read_b64 v[10:11], v26 offset:12416
	ds_read_b64 v[27:28], v25 offset:12480
	v_cmp_gt_u32_e64 s[10:11], 56, v15
	s_waitcnt lgkmcnt(0)
	v_fma_f64 v[10:11], v[10:11], v[27:28], 0
	s_and_saveexec_b64 s[16:17], s[10:11]
	s_cbranch_execnz .LBB133_1136
; %bb.697:
	s_or_b64 exec, exec, s[16:17]
	v_cmp_gt_u32_e64 s[10:11], 48, v15
	s_and_saveexec_b64 s[16:17], s[10:11]
	s_cbranch_execnz .LBB133_1137
.LBB133_698:
	s_or_b64 exec, exec, s[16:17]
	v_cmp_gt_u32_e64 s[10:11], 40, v15
	s_and_saveexec_b64 s[16:17], s[10:11]
	s_cbranch_execnz .LBB133_1138
.LBB133_699:
	s_or_b64 exec, exec, s[16:17]
	v_cmp_gt_u32_e64 s[10:11], 32, v15
	s_and_saveexec_b64 s[16:17], s[10:11]
	s_cbranch_execnz .LBB133_1139
.LBB133_700:
	s_or_b64 exec, exec, s[16:17]
	v_cmp_gt_u32_e64 s[10:11], 24, v15
	s_and_saveexec_b64 s[16:17], s[10:11]
	s_cbranch_execnz .LBB133_1140
.LBB133_701:
	s_or_b64 exec, exec, s[16:17]
	s_and_saveexec_b64 s[10:11], s[2:3]
	s_cbranch_execnz .LBB133_1141
.LBB133_702:
	s_or_b64 exec, exec, s[10:11]
	v_cmp_gt_u32_e64 s[10:11], 8, v15
	s_and_saveexec_b64 s[16:17], s[10:11]
	s_cbranch_execz .LBB133_704
.LBB133_703:
	v_lshlrev_b32_e32 v25, 3, v0
	v_mov_b32_e32 v27, 0
	ds_read_b64 v[25:26], v25 offset:16000
	ds_read_b64 v[27:28], v27 offset:16120
	s_waitcnt lgkmcnt(0)
	v_fma_f64 v[10:11], v[25:26], v[27:28], v[10:11]
.LBB133_704:
	s_or_b64 exec, exec, s[16:17]
.LBB133_705:
	s_or_b64 exec, exec, s[12:13]
	s_and_saveexec_b64 s[10:11], s[54:55]
; %bb.706:
	v_xor_b32_e32 v26, 0x80000000, v11
	v_mov_b32_e32 v25, v10
	ds_write_b64 v21, v[25:26]
; %bb.707:
	s_or_b64 exec, exec, s[10:11]
	s_waitcnt lgkmcnt(0)
	s_barrier
	s_and_saveexec_b64 s[10:11], s[56:57]
	s_cbranch_execz .LBB133_709
; %bb.708:
	v_lshlrev_b32_e32 v25, 3, v19
	ds_read_b64 v[25:26], v25 offset:11904
	ds_read_b64 v[27:28], v21
	s_waitcnt lgkmcnt(0)
	v_fma_f64 v[10:11], -v[25:26], v[27:28], v[10:11]
.LBB133_709:
	s_or_b64 exec, exec, s[10:11]
	s_barrier
	s_and_saveexec_b64 s[10:11], s[58:59]
; %bb.710:
	v_xor_b32_e32 v26, 0x80000000, v11
	v_mov_b32_e32 v25, v10
	ds_write_b64 v21, v[25:26]
; %bb.711:
	s_or_b64 exec, exec, s[10:11]
	s_waitcnt lgkmcnt(0)
	s_barrier
	s_and_saveexec_b64 s[10:11], s[60:61]
	s_cbranch_execz .LBB133_713
; %bb.712:
	v_lshlrev_b32_e32 v25, 3, v19
	ds_read_b64 v[25:26], v25 offset:11392
	ds_read_b64 v[27:28], v21
	s_waitcnt lgkmcnt(0)
	v_fma_f64 v[10:11], -v[25:26], v[27:28], v[10:11]
.LBB133_713:
	s_or_b64 exec, exec, s[10:11]
	s_barrier
	;; [unrolled: 20-line block ×6, first 2 shown]
	s_and_saveexec_b64 s[10:11], s[80:81]
; %bb.730:
	v_xor_b32_e32 v26, 0x80000000, v11
	v_mov_b32_e32 v25, v10
	ds_write_b64 v21, v[25:26]
; %bb.731:
	s_or_b64 exec, exec, s[10:11]
	s_waitcnt lgkmcnt(0)
	s_barrier
	s_and_saveexec_b64 s[10:11], s[64:65]
	s_cbranch_execz .LBB133_733
; %bb.732:
	v_mov_b32_e32 v25, 0
	ds_read_b64 v[25:26], v25 offset:8832
	ds_read_b64 v[27:28], v21
	s_waitcnt lgkmcnt(0)
	v_fma_f64 v[10:11], -v[25:26], v[27:28], v[10:11]
.LBB133_733:
	s_or_b64 exec, exec, s[10:11]
	s_barrier
	s_and_saveexec_b64 s[10:11], s[64:65]
; %bb.734:
	v_xor_b32_e32 v26, 0x80000000, v11
	v_mov_b32_e32 v25, v10
	ds_write_b64 v21, v[25:26]
; %bb.735:
	s_or_b64 exec, exec, s[10:11]
	s_waitcnt lgkmcnt(0)
	s_barrier
	s_barrier
	s_and_saveexec_b64 s[10:11], s[14:15]
; %bb.736:
	v_lshlrev_b32_e32 v25, 3, v19
	v_lshl_or_b32 v25, v20, 9, v25
	ds_write_b64 v25, v[10:11] offset:12416
; %bb.737:
	s_or_b64 exec, exec, s[10:11]
	s_waitcnt lgkmcnt(0)
	s_barrier
	s_barrier
	s_and_saveexec_b64 s[10:11], vcc
	s_cbranch_execz .LBB133_739
; %bb.738:
	s_mov_b64 s[12:13], 1.0
	v_mov_b32_e32 v10, s12
	v_mov_b32_e32 v11, s13
	s_movk_i32 s12, 0x2800
	v_add_u32_e64 v25, s12, 0
	ds_write2_b64 v25, v[10:11], v[10:11] offset0:150 offset1:215
.LBB133_739:
	s_or_b64 exec, exec, s[10:11]
	v_mov_b32_e32 v10, 0
	v_mov_b32_e32 v11, 0
	s_waitcnt lgkmcnt(0)
	s_barrier
	buffer_wbinvl1_vol
	s_and_saveexec_b64 s[12:13], s[0:1]
	s_cbranch_execz .LBB133_743
; %bb.740:
	v_lshlrev_b32_e32 v25, 9, v13
	v_lshlrev_b32_e32 v10, 3, v12
	ds_read_b64 v[10:11], v10 offset:11424
	ds_read_b64 v[25:26], v25 offset:11440
	v_cmp_gt_u32_e64 s[10:11], 2, v15
	s_waitcnt lgkmcnt(0)
	v_fma_f64 v[10:11], v[10:11], v[25:26], 0
	s_and_saveexec_b64 s[16:17], s[10:11]
	s_cbranch_execz .LBB133_742
; %bb.741:
	v_lshlrev_b32_e32 v25, 3, v0
	v_mov_b32_e32 v27, 0
	ds_read_b64 v[25:26], v25 offset:11936
	ds_read_b64 v[27:28], v27 offset:11960
	s_waitcnt lgkmcnt(0)
	v_fma_f64 v[10:11], v[25:26], v[27:28], v[10:11]
.LBB133_742:
	s_or_b64 exec, exec, s[16:17]
.LBB133_743:
	s_or_b64 exec, exec, s[12:13]
	s_and_saveexec_b64 s[10:11], s[40:41]
; %bb.744:
	v_xor_b32_e32 v26, 0x80000000, v11
	v_mov_b32_e32 v25, v10
	ds_write_b64 v14, v[25:26]
; %bb.745:
	s_or_b64 exec, exec, s[10:11]
	s_waitcnt lgkmcnt(0)
	s_barrier
	s_and_saveexec_b64 s[10:11], s[38:39]
	s_cbranch_execz .LBB133_747
; %bb.746:
	v_mov_b32_e32 v25, 0
	ds_read_b64 v[25:26], v25 offset:10912
	ds_read_b64 v[27:28], v14
	s_waitcnt lgkmcnt(0)
	v_fma_f64 v[10:11], -v[25:26], v[27:28], v[10:11]
.LBB133_747:
	s_or_b64 exec, exec, s[10:11]
	s_barrier
	s_and_saveexec_b64 s[10:11], s[38:39]
; %bb.748:
	v_xor_b32_e32 v26, 0x80000000, v11
	v_mov_b32_e32 v25, v10
	ds_write_b64 v14, v[25:26]
; %bb.749:
	s_or_b64 exec, exec, s[10:11]
	s_waitcnt lgkmcnt(0)
	s_barrier
	s_barrier
	s_and_saveexec_b64 s[10:11], s[0:1]
; %bb.750:
	v_lshlrev_b32_e32 v25, 3, v12
	v_lshl_or_b32 v25, v13, 9, v25
	ds_write_b64 v25, v[10:11] offset:11424
; %bb.751:
	s_or_b64 exec, exec, s[10:11]
	s_waitcnt lgkmcnt(0)
	s_barrier
	s_barrier
	s_and_saveexec_b64 s[10:11], vcc
	s_cbranch_execz .LBB133_753
; %bb.752:
	s_mov_b64 s[12:13], 1.0
	v_mov_b32_e32 v10, s12
	v_mov_b32_e32 v11, s13
	s_movk_i32 s12, 0x2800
	v_add_u32_e64 v25, s12, 0
	ds_write2_b64 v25, v[10:11], v[10:11] offset0:20 offset1:85
.LBB133_753:
	s_or_b64 exec, exec, s[10:11]
	v_mov_b32_e32 v10, 0
	v_mov_b32_e32 v11, 0
	s_waitcnt lgkmcnt(0)
	s_barrier
	buffer_wbinvl1_vol
	s_and_saveexec_b64 s[12:13], s[2:3]
	s_cbranch_execz .LBB133_759
; %bb.754:
	v_lshlrev_b32_e32 v26, 3, v16
	v_lshlrev_b32_e32 v25, 9, v17
	ds_read_b64 v[10:11], v26 offset:10368
	ds_read_b64 v[27:28], v25 offset:10400
	v_cmp_gt_u32_e64 s[10:11], 12, v15
	s_waitcnt lgkmcnt(0)
	v_fma_f64 v[10:11], v[10:11], v[27:28], 0
	s_and_saveexec_b64 s[16:17], s[10:11]
	s_cbranch_execnz .LBB133_1142
; %bb.755:
	s_or_b64 exec, exec, s[16:17]
	v_cmp_gt_u32_e64 s[10:11], 8, v15
	s_and_saveexec_b64 s[16:17], s[10:11]
	s_cbranch_execnz .LBB133_1143
.LBB133_756:
	s_or_b64 exec, exec, s[16:17]
	v_cmp_gt_u32_e64 s[10:11], 4, v15
	s_and_saveexec_b64 s[16:17], s[10:11]
	s_cbranch_execz .LBB133_758
.LBB133_757:
	v_lshlrev_b32_e32 v25, 3, v0
	v_mov_b32_e32 v27, 0
	ds_read_b64 v[25:26], v25 offset:11904
	ds_read_b64 v[27:28], v27 offset:11960
	s_waitcnt lgkmcnt(0)
	v_fma_f64 v[10:11], v[25:26], v[27:28], v[10:11]
.LBB133_758:
	s_or_b64 exec, exec, s[16:17]
.LBB133_759:
	s_or_b64 exec, exec, s[12:13]
	s_and_saveexec_b64 s[10:11], s[44:45]
; %bb.760:
	v_xor_b32_e32 v26, 0x80000000, v11
	v_mov_b32_e32 v25, v10
	ds_write_b64 v18, v[25:26]
; %bb.761:
	s_or_b64 exec, exec, s[10:11]
	s_waitcnt lgkmcnt(0)
	s_barrier
	s_and_saveexec_b64 s[10:11], s[46:47]
	s_cbranch_execz .LBB133_763
; %bb.762:
	v_lshlrev_b32_e32 v25, 3, v16
	ds_read_b64 v[25:26], v25 offset:9856
	ds_read_b64 v[27:28], v18
	s_waitcnt lgkmcnt(0)
	v_fma_f64 v[10:11], -v[25:26], v[27:28], v[10:11]
.LBB133_763:
	s_or_b64 exec, exec, s[10:11]
	s_barrier
	s_and_saveexec_b64 s[10:11], s[48:49]
; %bb.764:
	v_xor_b32_e32 v26, 0x80000000, v11
	v_mov_b32_e32 v25, v10
	ds_write_b64 v18, v[25:26]
; %bb.765:
	s_or_b64 exec, exec, s[10:11]
	s_waitcnt lgkmcnt(0)
	s_barrier
	s_and_saveexec_b64 s[10:11], s[50:51]
	s_cbranch_execz .LBB133_767
; %bb.766:
	v_lshlrev_b32_e32 v25, 3, v16
	ds_read_b64 v[25:26], v25 offset:9344
	ds_read_b64 v[27:28], v18
	s_waitcnt lgkmcnt(0)
	v_fma_f64 v[10:11], -v[25:26], v[27:28], v[10:11]
.LBB133_767:
	s_or_b64 exec, exec, s[10:11]
	s_barrier
	s_and_saveexec_b64 s[10:11], s[52:53]
; %bb.768:
	v_xor_b32_e32 v26, 0x80000000, v11
	v_mov_b32_e32 v25, v10
	ds_write_b64 v18, v[25:26]
; %bb.769:
	s_or_b64 exec, exec, s[10:11]
	s_waitcnt lgkmcnt(0)
	s_barrier
	s_and_saveexec_b64 s[10:11], s[42:43]
	s_cbranch_execz .LBB133_771
; %bb.770:
	v_mov_b32_e32 v25, 0
	ds_read_b64 v[25:26], v25 offset:8832
	ds_read_b64 v[27:28], v18
	s_waitcnt lgkmcnt(0)
	v_fma_f64 v[10:11], -v[25:26], v[27:28], v[10:11]
.LBB133_771:
	s_or_b64 exec, exec, s[10:11]
	s_barrier
	s_and_saveexec_b64 s[10:11], s[42:43]
; %bb.772:
	v_xor_b32_e32 v26, 0x80000000, v11
	v_mov_b32_e32 v25, v10
	ds_write_b64 v18, v[25:26]
; %bb.773:
	s_or_b64 exec, exec, s[10:11]
	s_waitcnt lgkmcnt(0)
	s_barrier
	s_barrier
	s_and_saveexec_b64 s[10:11], s[2:3]
; %bb.774:
	v_lshlrev_b32_e32 v25, 3, v16
	v_lshl_or_b32 v25, v17, 9, v25
	ds_write_b64 v25, v[10:11] offset:10368
; %bb.775:
	s_or_b64 exec, exec, s[10:11]
	s_waitcnt lgkmcnt(0)
	s_barrier
	s_barrier
	s_and_saveexec_b64 s[10:11], vcc
	s_cbranch_execz .LBB133_777
; %bb.776:
	s_mov_b64 s[12:13], 1.0
	v_mov_b32_e32 v10, s12
	v_mov_b32_e32 v11, s13
	s_movk_i32 s12, 0x2000
	v_add_u32_e64 v25, s12, 0
	ds_write2_b64 v25, v[10:11], v[10:11] offset0:146 offset1:211
.LBB133_777:
	s_or_b64 exec, exec, s[10:11]
	v_mov_b32_e32 v10, 0
	v_mov_b32_e32 v11, 0
	s_waitcnt lgkmcnt(0)
	s_barrier
	buffer_wbinvl1_vol
	s_and_saveexec_b64 s[12:13], s[0:1]
	s_cbranch_execz .LBB133_781
; %bb.778:
	v_lshlrev_b32_e32 v25, 9, v13
	v_lshlrev_b32_e32 v10, 3, v12
	ds_read_b64 v[10:11], v10 offset:9344
	ds_read_b64 v[25:26], v25 offset:9360
	v_cmp_gt_u32_e64 s[10:11], 2, v15
	s_waitcnt lgkmcnt(0)
	v_fma_f64 v[10:11], v[10:11], v[25:26], 0
	s_and_saveexec_b64 s[16:17], s[10:11]
	s_cbranch_execz .LBB133_780
; %bb.779:
	v_lshlrev_b32_e32 v25, 3, v0
	v_mov_b32_e32 v27, 0
	ds_read_b64 v[25:26], v25 offset:9856
	ds_read_b64 v[27:28], v27 offset:9880
	s_waitcnt lgkmcnt(0)
	v_fma_f64 v[10:11], v[25:26], v[27:28], v[10:11]
.LBB133_780:
	s_or_b64 exec, exec, s[16:17]
.LBB133_781:
	s_or_b64 exec, exec, s[12:13]
	s_and_saveexec_b64 s[10:11], s[40:41]
; %bb.782:
	v_xor_b32_e32 v26, 0x80000000, v11
	v_mov_b32_e32 v25, v10
	ds_write_b64 v14, v[25:26]
; %bb.783:
	s_or_b64 exec, exec, s[10:11]
	s_waitcnt lgkmcnt(0)
	s_barrier
	s_and_saveexec_b64 s[10:11], s[38:39]
	s_cbranch_execz .LBB133_785
; %bb.784:
	v_mov_b32_e32 v25, 0
	ds_read_b64 v[25:26], v25 offset:8832
	ds_read_b64 v[27:28], v14
	s_waitcnt lgkmcnt(0)
	v_fma_f64 v[10:11], -v[25:26], v[27:28], v[10:11]
.LBB133_785:
	s_or_b64 exec, exec, s[10:11]
	s_barrier
	s_and_saveexec_b64 s[10:11], s[38:39]
; %bb.786:
	v_xor_b32_e32 v26, 0x80000000, v11
	v_mov_b32_e32 v25, v10
	ds_write_b64 v14, v[25:26]
; %bb.787:
	s_or_b64 exec, exec, s[10:11]
	s_waitcnt lgkmcnt(0)
	s_barrier
	s_barrier
	s_and_saveexec_b64 s[10:11], s[0:1]
; %bb.788:
	v_lshlrev_b32_e32 v25, 3, v12
	v_lshl_or_b32 v25, v13, 9, v25
	ds_write_b64 v25, v[10:11] offset:9344
; %bb.789:
	s_or_b64 exec, exec, s[10:11]
	s_waitcnt lgkmcnt(0)
	s_barrier
	s_barrier
	s_and_saveexec_b64 s[10:11], vcc
	s_cbranch_execz .LBB133_791
; %bb.790:
	s_mov_b64 s[12:13], 1.0
	v_mov_b32_e32 v10, s12
	v_mov_b32_e32 v11, s13
	s_movk_i32 s12, 0x2000
	v_add_u32_e64 v25, s12, 0
	ds_write2_b64 v25, v[10:11], v[10:11] offset0:16 offset1:81
.LBB133_791:
	s_or_b64 exec, exec, s[10:11]
	v_mov_b32_e32 v10, 0
	v_mov_b32_e32 v11, 0
	s_waitcnt lgkmcnt(0)
	s_barrier
	buffer_wbinvl1_vol
	s_and_saveexec_b64 s[12:13], s[8:9]
	s_cbranch_execz .LBB133_819
; %bb.792:
	v_lshlrev_b32_e32 v26, 3, v22
	v_lshlrev_b32_e32 v25, 9, v23
	ds_read_b64 v[10:11], v26 offset:8192
	ds_read_b64 v[27:28], v25 offset:8320
	s_movk_i32 s10, 0xf0
	v_cmp_gt_u32_e64 s[10:11], s10, v15
	s_waitcnt lgkmcnt(0)
	v_fma_f64 v[10:11], v[10:11], v[27:28], 0
	s_and_saveexec_b64 s[16:17], s[10:11]
	s_cbranch_execz .LBB133_794
; %bb.793:
	ds_read_b64 v[27:28], v26 offset:8704
	ds_read_b64 v[29:30], v25 offset:8328
	s_waitcnt lgkmcnt(0)
	v_fma_f64 v[10:11], v[27:28], v[29:30], v[10:11]
.LBB133_794:
	s_or_b64 exec, exec, s[16:17]
	s_movk_i32 s10, 0xe0
	v_cmp_gt_u32_e64 s[10:11], s10, v15
	s_and_saveexec_b64 s[16:17], s[10:11]
	s_cbranch_execz .LBB133_796
; %bb.795:
	ds_read_b64 v[27:28], v26 offset:9216
	ds_read_b64 v[29:30], v25 offset:8336
	s_waitcnt lgkmcnt(0)
	v_fma_f64 v[10:11], v[27:28], v[29:30], v[10:11]
.LBB133_796:
	s_or_b64 exec, exec, s[16:17]
	s_movk_i32 s10, 0xd0
	v_cmp_gt_u32_e64 s[10:11], s10, v15
	;; [unrolled: 11-line block ×10, first 2 shown]
	s_and_saveexec_b64 s[16:17], s[10:11]
	s_cbranch_execnz .LBB133_1144
; %bb.813:
	s_or_b64 exec, exec, s[16:17]
	s_and_saveexec_b64 s[10:11], s[14:15]
	s_cbranch_execnz .LBB133_1145
.LBB133_814:
	s_or_b64 exec, exec, s[10:11]
	v_cmp_gt_u32_e64 s[10:11], 48, v15
	s_and_saveexec_b64 s[16:17], s[10:11]
	s_cbranch_execnz .LBB133_1146
.LBB133_815:
	s_or_b64 exec, exec, s[16:17]
	v_cmp_gt_u32_e64 s[10:11], 32, v15
	s_and_saveexec_b64 s[16:17], s[10:11]
	s_cbranch_execnz .LBB133_1147
.LBB133_816:
	s_or_b64 exec, exec, s[16:17]
	v_cmp_gt_u32_e64 s[10:11], 16, v15
	s_and_saveexec_b64 s[16:17], s[10:11]
	s_cbranch_execz .LBB133_818
.LBB133_817:
	v_lshlrev_b32_e32 v25, 3, v0
	v_mov_b32_e32 v27, 0
	ds_read_b64 v[25:26], v25 offset:15872
	ds_read_b64 v[27:28], v27 offset:16120
	s_waitcnt lgkmcnt(0)
	v_fma_f64 v[10:11], v[25:26], v[27:28], v[10:11]
.LBB133_818:
	s_or_b64 exec, exec, s[16:17]
.LBB133_819:
	s_or_b64 exec, exec, s[12:13]
	s_mov_b64 s[10:11], exec
	v_readlane_b32 s12, v34, 0
	v_readlane_b32 s13, v34, 1
	s_and_b64 s[12:13], s[10:11], s[12:13]
	s_mov_b64 exec, s[12:13]
; %bb.820:
	v_xor_b32_e32 v26, 0x80000000, v11
	v_mov_b32_e32 v25, v10
	ds_write_b64 v24, v[25:26]
; %bb.821:
	s_or_b64 exec, exec, s[10:11]
	s_waitcnt lgkmcnt(0)
	s_barrier
	s_mov_b64 s[10:11], exec
	v_readlane_b32 s12, v34, 2
	v_readlane_b32 s13, v34, 3
	s_and_b64 s[12:13], s[10:11], s[12:13]
	s_mov_b64 exec, s[12:13]
	s_cbranch_execz .LBB133_823
; %bb.822:
	v_lshlrev_b32_e32 v25, 3, v22
	ds_read_b64 v[25:26], v25 offset:7680
	ds_read_b64 v[27:28], v24
	s_waitcnt lgkmcnt(0)
	v_fma_f64 v[10:11], -v[25:26], v[27:28], v[10:11]
.LBB133_823:
	s_or_b64 exec, exec, s[10:11]
	s_barrier
	s_mov_b64 s[10:11], exec
	v_readlane_b32 s12, v34, 4
	v_readlane_b32 s13, v34, 5
	s_and_b64 s[12:13], s[10:11], s[12:13]
	s_mov_b64 exec, s[12:13]
; %bb.824:
	v_xor_b32_e32 v26, 0x80000000, v11
	v_mov_b32_e32 v25, v10
	ds_write_b64 v24, v[25:26]
; %bb.825:
	s_or_b64 exec, exec, s[10:11]
	s_waitcnt lgkmcnt(0)
	s_barrier
	s_mov_b64 s[10:11], exec
	v_readlane_b32 s12, v34, 6
	v_readlane_b32 s13, v34, 7
	s_and_b64 s[12:13], s[10:11], s[12:13]
	s_mov_b64 exec, s[12:13]
	s_cbranch_execz .LBB133_827
; %bb.826:
	v_lshlrev_b32_e32 v25, 3, v22
	ds_read_b64 v[25:26], v25 offset:7168
	ds_read_b64 v[27:28], v24
	s_waitcnt lgkmcnt(0)
	v_fma_f64 v[10:11], -v[25:26], v[27:28], v[10:11]
.LBB133_827:
	s_or_b64 exec, exec, s[10:11]
	s_barrier
	;; [unrolled: 28-line block ×13, first 2 shown]
	s_mov_b64 s[10:11], exec
	v_readlane_b32 s12, v34, 52
	v_readlane_b32 s13, v34, 53
	s_and_b64 s[12:13], s[10:11], s[12:13]
	s_mov_b64 exec, s[12:13]
; %bb.872:
	v_xor_b32_e32 v26, 0x80000000, v11
	v_mov_b32_e32 v25, v10
	ds_write_b64 v24, v[25:26]
; %bb.873:
	s_or_b64 exec, exec, s[10:11]
	s_waitcnt lgkmcnt(0)
	s_barrier
	s_and_saveexec_b64 s[10:11], s[84:85]
	s_cbranch_execz .LBB133_875
; %bb.874:
	v_lshlrev_b32_e32 v25, 3, v22
	ds_read_b64 v[25:26], v25 offset:1024
	ds_read_b64 v[27:28], v24
	s_waitcnt lgkmcnt(0)
	v_fma_f64 v[10:11], -v[25:26], v[27:28], v[10:11]
.LBB133_875:
	s_or_b64 exec, exec, s[10:11]
	s_barrier
	s_and_saveexec_b64 s[10:11], s[86:87]
; %bb.876:
	v_xor_b32_e32 v26, 0x80000000, v11
	v_mov_b32_e32 v25, v10
	ds_write_b64 v24, v[25:26]
; %bb.877:
	s_or_b64 exec, exec, s[10:11]
	s_waitcnt lgkmcnt(0)
	s_barrier
	s_and_saveexec_b64 s[10:11], s[82:83]
	s_cbranch_execz .LBB133_879
; %bb.878:
	v_mov_b32_e32 v25, 0
	ds_read_b64 v[25:26], v25 offset:512
	ds_read_b64 v[27:28], v24
	s_waitcnt lgkmcnt(0)
	v_fma_f64 v[10:11], -v[25:26], v[27:28], v[10:11]
.LBB133_879:
	s_or_b64 exec, exec, s[10:11]
	s_barrier
	s_and_saveexec_b64 s[10:11], s[82:83]
; %bb.880:
	v_xor_b32_e32 v26, 0x80000000, v11
	v_mov_b32_e32 v25, v10
	ds_write_b64 v24, v[25:26]
; %bb.881:
	s_or_b64 exec, exec, s[10:11]
	s_waitcnt lgkmcnt(0)
	s_barrier
	s_barrier
	s_and_saveexec_b64 s[10:11], s[8:9]
; %bb.882:
	v_lshlrev_b32_e32 v22, 3, v22
	v_lshl_or_b32 v22, v23, 9, v22
	ds_write_b64 v22, v[10:11] offset:8192
; %bb.883:
	s_or_b64 exec, exec, s[10:11]
	s_waitcnt lgkmcnt(0)
	s_barrier
	s_barrier
	s_and_saveexec_b64 s[8:9], vcc
	s_cbranch_execz .LBB133_885
; %bb.884:
	s_mov_b64 s[10:11], 1.0
	v_mov_b32_e32 v10, s10
	v_mov_b32_e32 v11, s11
	s_movk_i32 s10, 0x1800
	v_add_u32_e64 v22, s10, 0
	ds_write2_b64 v22, v[10:11], v[10:11] offset0:142 offset1:207
.LBB133_885:
	s_or_b64 exec, exec, s[8:9]
	v_mov_b32_e32 v10, 0
	v_mov_b32_e32 v11, 0
	s_waitcnt lgkmcnt(0)
	s_barrier
	buffer_wbinvl1_vol
	s_and_saveexec_b64 s[10:11], s[0:1]
	s_cbranch_execz .LBB133_889
; %bb.886:
	v_lshlrev_b32_e32 v22, 9, v13
	v_lshlrev_b32_e32 v10, 3, v12
	ds_read_b64 v[10:11], v10 offset:7264
	ds_read_b64 v[22:23], v22 offset:7280
	v_cmp_gt_u32_e64 s[8:9], 2, v15
	s_waitcnt lgkmcnt(0)
	v_fma_f64 v[10:11], v[10:11], v[22:23], 0
	s_and_saveexec_b64 s[12:13], s[8:9]
	s_cbranch_execz .LBB133_888
; %bb.887:
	v_lshlrev_b32_e32 v22, 3, v0
	v_mov_b32_e32 v24, 0
	ds_read_b64 v[22:23], v22 offset:7776
	ds_read_b64 v[24:25], v24 offset:7800
	s_waitcnt lgkmcnt(0)
	v_fma_f64 v[10:11], v[22:23], v[24:25], v[10:11]
.LBB133_888:
	s_or_b64 exec, exec, s[12:13]
.LBB133_889:
	s_or_b64 exec, exec, s[10:11]
	s_and_saveexec_b64 s[8:9], s[40:41]
; %bb.890:
	v_xor_b32_e32 v23, 0x80000000, v11
	v_mov_b32_e32 v22, v10
	ds_write_b64 v14, v[22:23]
; %bb.891:
	s_or_b64 exec, exec, s[8:9]
	s_waitcnt lgkmcnt(0)
	s_barrier
	s_and_saveexec_b64 s[8:9], s[38:39]
	s_cbranch_execz .LBB133_893
; %bb.892:
	v_mov_b32_e32 v22, 0
	ds_read_b64 v[22:23], v22 offset:6752
	ds_read_b64 v[24:25], v14
	s_waitcnt lgkmcnt(0)
	v_fma_f64 v[10:11], -v[22:23], v[24:25], v[10:11]
.LBB133_893:
	s_or_b64 exec, exec, s[8:9]
	s_barrier
	s_and_saveexec_b64 s[8:9], s[38:39]
; %bb.894:
	v_xor_b32_e32 v23, 0x80000000, v11
	v_mov_b32_e32 v22, v10
	ds_write_b64 v14, v[22:23]
; %bb.895:
	s_or_b64 exec, exec, s[8:9]
	s_waitcnt lgkmcnt(0)
	s_barrier
	s_barrier
	s_and_saveexec_b64 s[8:9], s[0:1]
; %bb.896:
	v_lshlrev_b32_e32 v22, 3, v12
	v_lshl_or_b32 v22, v13, 9, v22
	ds_write_b64 v22, v[10:11] offset:7264
; %bb.897:
	s_or_b64 exec, exec, s[8:9]
	s_waitcnt lgkmcnt(0)
	s_barrier
	s_barrier
	s_and_saveexec_b64 s[8:9], vcc
	s_cbranch_execz .LBB133_899
; %bb.898:
	s_mov_b64 s[10:11], 1.0
	v_mov_b32_e32 v10, s10
	v_mov_b32_e32 v11, s11
	s_movk_i32 s10, 0x1800
	v_add_u32_e64 v22, s10, 0
	ds_write2_b64 v22, v[10:11], v[10:11] offset0:12 offset1:77
.LBB133_899:
	s_or_b64 exec, exec, s[8:9]
	v_mov_b32_e32 v10, 0
	v_mov_b32_e32 v11, 0
	s_waitcnt lgkmcnt(0)
	s_barrier
	buffer_wbinvl1_vol
	s_and_saveexec_b64 s[10:11], s[2:3]
	s_cbranch_execz .LBB133_905
; %bb.900:
	v_lshlrev_b32_e32 v23, 3, v16
	v_lshlrev_b32_e32 v22, 9, v17
	ds_read_b64 v[10:11], v23 offset:6208
	ds_read_b64 v[24:25], v22 offset:6240
	v_cmp_gt_u32_e64 s[8:9], 12, v15
	s_waitcnt lgkmcnt(0)
	v_fma_f64 v[10:11], v[10:11], v[24:25], 0
	s_and_saveexec_b64 s[12:13], s[8:9]
	s_cbranch_execnz .LBB133_1148
; %bb.901:
	s_or_b64 exec, exec, s[12:13]
	v_cmp_gt_u32_e64 s[8:9], 8, v15
	s_and_saveexec_b64 s[12:13], s[8:9]
	s_cbranch_execnz .LBB133_1149
.LBB133_902:
	s_or_b64 exec, exec, s[12:13]
	v_cmp_gt_u32_e64 s[8:9], 4, v15
	s_and_saveexec_b64 s[12:13], s[8:9]
	s_cbranch_execz .LBB133_904
.LBB133_903:
	v_lshlrev_b32_e32 v22, 3, v0
	v_mov_b32_e32 v24, 0
	ds_read_b64 v[22:23], v22 offset:7744
	ds_read_b64 v[24:25], v24 offset:7800
	s_waitcnt lgkmcnt(0)
	v_fma_f64 v[10:11], v[22:23], v[24:25], v[10:11]
.LBB133_904:
	s_or_b64 exec, exec, s[12:13]
.LBB133_905:
	s_or_b64 exec, exec, s[10:11]
	s_and_saveexec_b64 s[8:9], s[44:45]
; %bb.906:
	v_xor_b32_e32 v23, 0x80000000, v11
	v_mov_b32_e32 v22, v10
	ds_write_b64 v18, v[22:23]
; %bb.907:
	s_or_b64 exec, exec, s[8:9]
	s_waitcnt lgkmcnt(0)
	s_barrier
	s_and_saveexec_b64 s[8:9], s[46:47]
	s_cbranch_execz .LBB133_909
; %bb.908:
	v_lshlrev_b32_e32 v22, 3, v16
	ds_read_b64 v[22:23], v22 offset:5696
	ds_read_b64 v[24:25], v18
	s_waitcnt lgkmcnt(0)
	v_fma_f64 v[10:11], -v[22:23], v[24:25], v[10:11]
.LBB133_909:
	s_or_b64 exec, exec, s[8:9]
	s_barrier
	s_and_saveexec_b64 s[8:9], s[48:49]
; %bb.910:
	v_xor_b32_e32 v23, 0x80000000, v11
	v_mov_b32_e32 v22, v10
	ds_write_b64 v18, v[22:23]
; %bb.911:
	s_or_b64 exec, exec, s[8:9]
	s_waitcnt lgkmcnt(0)
	s_barrier
	s_and_saveexec_b64 s[8:9], s[50:51]
	s_cbranch_execz .LBB133_913
; %bb.912:
	v_lshlrev_b32_e32 v22, 3, v16
	ds_read_b64 v[22:23], v22 offset:5184
	ds_read_b64 v[24:25], v18
	s_waitcnt lgkmcnt(0)
	v_fma_f64 v[10:11], -v[22:23], v[24:25], v[10:11]
.LBB133_913:
	s_or_b64 exec, exec, s[8:9]
	s_barrier
	s_and_saveexec_b64 s[8:9], s[52:53]
; %bb.914:
	v_xor_b32_e32 v23, 0x80000000, v11
	v_mov_b32_e32 v22, v10
	ds_write_b64 v18, v[22:23]
; %bb.915:
	s_or_b64 exec, exec, s[8:9]
	s_waitcnt lgkmcnt(0)
	s_barrier
	s_and_saveexec_b64 s[8:9], s[42:43]
	s_cbranch_execz .LBB133_917
; %bb.916:
	v_mov_b32_e32 v22, 0
	ds_read_b64 v[22:23], v22 offset:4672
	ds_read_b64 v[24:25], v18
	s_waitcnt lgkmcnt(0)
	v_fma_f64 v[10:11], -v[22:23], v[24:25], v[10:11]
.LBB133_917:
	s_or_b64 exec, exec, s[8:9]
	s_barrier
	s_and_saveexec_b64 s[8:9], s[42:43]
; %bb.918:
	v_xor_b32_e32 v23, 0x80000000, v11
	v_mov_b32_e32 v22, v10
	ds_write_b64 v18, v[22:23]
; %bb.919:
	s_or_b64 exec, exec, s[8:9]
	s_waitcnt lgkmcnt(0)
	s_barrier
	s_barrier
	s_and_saveexec_b64 s[8:9], s[2:3]
; %bb.920:
	v_lshlrev_b32_e32 v22, 3, v16
	v_lshl_or_b32 v22, v17, 9, v22
	ds_write_b64 v22, v[10:11] offset:6208
; %bb.921:
	s_or_b64 exec, exec, s[8:9]
	s_waitcnt lgkmcnt(0)
	s_barrier
	s_barrier
	s_and_saveexec_b64 s[8:9], vcc
	s_cbranch_execz .LBB133_923
; %bb.922:
	s_mov_b64 s[10:11], 1.0
	v_mov_b32_e32 v10, s10
	v_mov_b32_e32 v11, s11
	s_movk_i32 s10, 0x1000
	v_add_u32_e64 v22, s10, 0
	ds_write2_b64 v22, v[10:11], v[10:11] offset0:138 offset1:203
.LBB133_923:
	s_or_b64 exec, exec, s[8:9]
	v_mov_b32_e32 v10, 0
	v_mov_b32_e32 v11, 0
	s_waitcnt lgkmcnt(0)
	s_barrier
	buffer_wbinvl1_vol
	s_and_saveexec_b64 s[10:11], s[0:1]
	s_cbranch_execz .LBB133_927
; %bb.924:
	v_lshlrev_b32_e32 v22, 9, v13
	v_lshlrev_b32_e32 v10, 3, v12
	ds_read_b64 v[10:11], v10 offset:5184
	ds_read_b64 v[22:23], v22 offset:5200
	v_cmp_gt_u32_e64 s[8:9], 2, v15
	s_waitcnt lgkmcnt(0)
	v_fma_f64 v[10:11], v[10:11], v[22:23], 0
	s_and_saveexec_b64 s[12:13], s[8:9]
	s_cbranch_execz .LBB133_926
; %bb.925:
	v_lshlrev_b32_e32 v22, 3, v0
	v_mov_b32_e32 v24, 0
	ds_read_b64 v[22:23], v22 offset:5696
	ds_read_b64 v[24:25], v24 offset:5720
	s_waitcnt lgkmcnt(0)
	v_fma_f64 v[10:11], v[22:23], v[24:25], v[10:11]
.LBB133_926:
	s_or_b64 exec, exec, s[12:13]
.LBB133_927:
	s_or_b64 exec, exec, s[10:11]
	s_and_saveexec_b64 s[8:9], s[40:41]
; %bb.928:
	v_xor_b32_e32 v23, 0x80000000, v11
	v_mov_b32_e32 v22, v10
	ds_write_b64 v14, v[22:23]
; %bb.929:
	s_or_b64 exec, exec, s[8:9]
	s_waitcnt lgkmcnt(0)
	s_barrier
	s_and_saveexec_b64 s[8:9], s[38:39]
	s_cbranch_execz .LBB133_931
; %bb.930:
	v_mov_b32_e32 v22, 0
	ds_read_b64 v[22:23], v22 offset:4672
	ds_read_b64 v[24:25], v14
	s_waitcnt lgkmcnt(0)
	v_fma_f64 v[10:11], -v[22:23], v[24:25], v[10:11]
.LBB133_931:
	s_or_b64 exec, exec, s[8:9]
	s_barrier
	s_and_saveexec_b64 s[8:9], s[38:39]
; %bb.932:
	v_xor_b32_e32 v23, 0x80000000, v11
	v_mov_b32_e32 v22, v10
	ds_write_b64 v14, v[22:23]
; %bb.933:
	s_or_b64 exec, exec, s[8:9]
	s_waitcnt lgkmcnt(0)
	s_barrier
	s_barrier
	s_and_saveexec_b64 s[8:9], s[0:1]
; %bb.934:
	v_lshlrev_b32_e32 v22, 3, v12
	v_lshl_or_b32 v22, v13, 9, v22
	ds_write_b64 v22, v[10:11] offset:5184
; %bb.935:
	s_or_b64 exec, exec, s[8:9]
	s_waitcnt lgkmcnt(0)
	s_barrier
	s_barrier
	s_and_saveexec_b64 s[8:9], vcc
	s_cbranch_execz .LBB133_937
; %bb.936:
	s_mov_b64 s[10:11], 1.0
	v_mov_b32_e32 v10, s10
	v_mov_b32_e32 v11, s11
	s_movk_i32 s10, 0x1000
	v_add_u32_e64 v22, s10, 0
	ds_write2_b64 v22, v[10:11], v[10:11] offset0:8 offset1:73
.LBB133_937:
	s_or_b64 exec, exec, s[8:9]
	v_mov_b32_e32 v10, 0
	v_mov_b32_e32 v11, 0
	s_waitcnt lgkmcnt(0)
	s_barrier
	buffer_wbinvl1_vol
	s_and_saveexec_b64 s[10:11], s[14:15]
	s_cbranch_execz .LBB133_947
; %bb.938:
	v_lshlrev_b32_e32 v23, 3, v19
	v_lshlrev_b32_e32 v22, 9, v20
	ds_read_b64 v[10:11], v23 offset:4096
	ds_read_b64 v[24:25], v22 offset:4160
	v_cmp_gt_u32_e64 s[8:9], 56, v15
	s_waitcnt lgkmcnt(0)
	v_fma_f64 v[10:11], v[10:11], v[24:25], 0
	s_and_saveexec_b64 s[12:13], s[8:9]
	s_cbranch_execnz .LBB133_1150
; %bb.939:
	s_or_b64 exec, exec, s[12:13]
	v_cmp_gt_u32_e64 s[8:9], 48, v15
	s_and_saveexec_b64 s[12:13], s[8:9]
	s_cbranch_execnz .LBB133_1151
.LBB133_940:
	s_or_b64 exec, exec, s[12:13]
	v_cmp_gt_u32_e64 s[8:9], 40, v15
	s_and_saveexec_b64 s[12:13], s[8:9]
	s_cbranch_execnz .LBB133_1152
.LBB133_941:
	s_or_b64 exec, exec, s[12:13]
	v_cmp_gt_u32_e64 s[8:9], 32, v15
	s_and_saveexec_b64 s[12:13], s[8:9]
	s_cbranch_execnz .LBB133_1153
.LBB133_942:
	s_or_b64 exec, exec, s[12:13]
	v_cmp_gt_u32_e64 s[8:9], 24, v15
	s_and_saveexec_b64 s[12:13], s[8:9]
	s_cbranch_execnz .LBB133_1154
.LBB133_943:
	s_or_b64 exec, exec, s[12:13]
	s_and_saveexec_b64 s[8:9], s[2:3]
	s_cbranch_execnz .LBB133_1155
.LBB133_944:
	s_or_b64 exec, exec, s[8:9]
	v_cmp_gt_u32_e64 s[8:9], 8, v15
	s_and_saveexec_b64 s[12:13], s[8:9]
	s_cbranch_execz .LBB133_946
.LBB133_945:
	v_lshlrev_b32_e32 v22, 3, v0
	v_mov_b32_e32 v24, 0
	ds_read_b64 v[22:23], v22 offset:7680
	ds_read_b64 v[24:25], v24 offset:7800
	s_waitcnt lgkmcnt(0)
	v_fma_f64 v[10:11], v[22:23], v[24:25], v[10:11]
.LBB133_946:
	s_or_b64 exec, exec, s[12:13]
.LBB133_947:
	s_or_b64 exec, exec, s[10:11]
	s_and_saveexec_b64 s[8:9], s[54:55]
; %bb.948:
	v_xor_b32_e32 v23, 0x80000000, v11
	v_mov_b32_e32 v22, v10
	ds_write_b64 v21, v[22:23]
; %bb.949:
	s_or_b64 exec, exec, s[8:9]
	s_waitcnt lgkmcnt(0)
	s_barrier
	s_and_saveexec_b64 s[8:9], s[56:57]
	s_cbranch_execz .LBB133_951
; %bb.950:
	v_lshlrev_b32_e32 v22, 3, v19
	ds_read_b64 v[22:23], v22 offset:3584
	ds_read_b64 v[24:25], v21
	s_waitcnt lgkmcnt(0)
	v_fma_f64 v[10:11], -v[22:23], v[24:25], v[10:11]
.LBB133_951:
	s_or_b64 exec, exec, s[8:9]
	s_barrier
	s_and_saveexec_b64 s[8:9], s[58:59]
; %bb.952:
	v_xor_b32_e32 v23, 0x80000000, v11
	v_mov_b32_e32 v22, v10
	ds_write_b64 v21, v[22:23]
; %bb.953:
	s_or_b64 exec, exec, s[8:9]
	s_waitcnt lgkmcnt(0)
	s_barrier
	s_and_saveexec_b64 s[8:9], s[60:61]
	s_cbranch_execz .LBB133_955
; %bb.954:
	v_lshlrev_b32_e32 v22, 3, v19
	ds_read_b64 v[22:23], v22 offset:3072
	ds_read_b64 v[24:25], v21
	s_waitcnt lgkmcnt(0)
	v_fma_f64 v[10:11], -v[22:23], v[24:25], v[10:11]
.LBB133_955:
	s_or_b64 exec, exec, s[8:9]
	s_barrier
	;; [unrolled: 20-line block ×6, first 2 shown]
	s_and_saveexec_b64 s[8:9], s[80:81]
; %bb.972:
	v_xor_b32_e32 v23, 0x80000000, v11
	v_mov_b32_e32 v22, v10
	ds_write_b64 v21, v[22:23]
; %bb.973:
	s_or_b64 exec, exec, s[8:9]
	s_waitcnt lgkmcnt(0)
	s_barrier
	s_and_saveexec_b64 s[8:9], s[64:65]
	s_cbranch_execz .LBB133_975
; %bb.974:
	v_mov_b32_e32 v22, 0
	ds_read_b64 v[22:23], v22 offset:512
	ds_read_b64 v[24:25], v21
	s_waitcnt lgkmcnt(0)
	v_fma_f64 v[10:11], -v[22:23], v[24:25], v[10:11]
.LBB133_975:
	s_or_b64 exec, exec, s[8:9]
	s_barrier
	s_and_saveexec_b64 s[8:9], s[64:65]
; %bb.976:
	v_xor_b32_e32 v23, 0x80000000, v11
	v_mov_b32_e32 v22, v10
	ds_write_b64 v21, v[22:23]
; %bb.977:
	s_or_b64 exec, exec, s[8:9]
	s_waitcnt lgkmcnt(0)
	s_barrier
	s_barrier
	s_and_saveexec_b64 s[8:9], s[14:15]
; %bb.978:
	v_lshlrev_b32_e32 v19, 3, v19
	v_lshl_or_b32 v19, v20, 9, v19
	ds_write_b64 v19, v[10:11] offset:4096
; %bb.979:
	s_or_b64 exec, exec, s[8:9]
	s_waitcnt lgkmcnt(0)
	s_barrier
	s_barrier
	s_and_saveexec_b64 s[8:9], vcc
	s_cbranch_execz .LBB133_981
; %bb.980:
	s_mov_b64 s[10:11], 1.0
	v_mov_b32_e32 v10, s10
	v_mov_b32_e32 v11, s11
	s_movk_i32 s10, 0x800
	v_add_u32_e64 v19, s10, 0
	ds_write2_b64 v19, v[10:11], v[10:11] offset0:134 offset1:199
.LBB133_981:
	s_or_b64 exec, exec, s[8:9]
	v_mov_b32_e32 v10, 0
	v_mov_b32_e32 v11, 0
	s_waitcnt lgkmcnt(0)
	s_barrier
	buffer_wbinvl1_vol
	s_and_saveexec_b64 s[10:11], s[0:1]
	s_cbranch_execz .LBB133_985
; %bb.982:
	v_lshlrev_b32_e32 v19, 9, v13
	v_lshlrev_b32_e32 v10, 3, v12
	ds_read_b64 v[10:11], v10 offset:3104
	ds_read_b64 v[19:20], v19 offset:3120
	v_cmp_gt_u32_e64 s[8:9], 2, v15
	s_waitcnt lgkmcnt(0)
	v_fma_f64 v[10:11], v[10:11], v[19:20], 0
	s_and_saveexec_b64 s[12:13], s[8:9]
	s_cbranch_execz .LBB133_984
; %bb.983:
	v_lshlrev_b32_e32 v19, 3, v0
	v_mov_b32_e32 v21, 0
	ds_read_b64 v[19:20], v19 offset:3616
	ds_read_b64 v[21:22], v21 offset:3640
	s_waitcnt lgkmcnt(0)
	v_fma_f64 v[10:11], v[19:20], v[21:22], v[10:11]
.LBB133_984:
	s_or_b64 exec, exec, s[12:13]
.LBB133_985:
	s_or_b64 exec, exec, s[10:11]
	s_and_saveexec_b64 s[8:9], s[40:41]
; %bb.986:
	v_xor_b32_e32 v20, 0x80000000, v11
	v_mov_b32_e32 v19, v10
	ds_write_b64 v14, v[19:20]
; %bb.987:
	s_or_b64 exec, exec, s[8:9]
	s_waitcnt lgkmcnt(0)
	s_barrier
	s_and_saveexec_b64 s[8:9], s[38:39]
	s_cbranch_execz .LBB133_989
; %bb.988:
	v_mov_b32_e32 v19, 0
	ds_read_b64 v[19:20], v19 offset:2592
	ds_read_b64 v[21:22], v14
	s_waitcnt lgkmcnt(0)
	v_fma_f64 v[10:11], -v[19:20], v[21:22], v[10:11]
.LBB133_989:
	s_or_b64 exec, exec, s[8:9]
	s_barrier
	s_and_saveexec_b64 s[8:9], s[38:39]
; %bb.990:
	v_xor_b32_e32 v20, 0x80000000, v11
	v_mov_b32_e32 v19, v10
	ds_write_b64 v14, v[19:20]
; %bb.991:
	s_or_b64 exec, exec, s[8:9]
	s_waitcnt lgkmcnt(0)
	s_barrier
	s_barrier
	s_and_saveexec_b64 s[8:9], s[0:1]
; %bb.992:
	v_lshlrev_b32_e32 v19, 3, v12
	v_lshl_or_b32 v19, v13, 9, v19
	ds_write_b64 v19, v[10:11] offset:3104
; %bb.993:
	s_or_b64 exec, exec, s[8:9]
	s_waitcnt lgkmcnt(0)
	s_barrier
	s_barrier
	s_and_saveexec_b64 s[8:9], vcc
	s_cbranch_execz .LBB133_995
; %bb.994:
	s_mov_b64 s[10:11], 1.0
	v_mov_b32_e32 v10, s10
	v_mov_b32_e32 v11, s11
	s_movk_i32 s10, 0x800
	v_add_u32_e64 v19, s10, 0
	ds_write2_b64 v19, v[10:11], v[10:11] offset0:4 offset1:69
.LBB133_995:
	s_or_b64 exec, exec, s[8:9]
	v_mov_b32_e32 v10, 0
	v_mov_b32_e32 v11, 0
	s_waitcnt lgkmcnt(0)
	s_barrier
	buffer_wbinvl1_vol
	s_and_saveexec_b64 s[10:11], s[2:3]
	s_cbranch_execz .LBB133_1001
; %bb.996:
	v_lshlrev_b32_e32 v20, 3, v16
	v_lshlrev_b32_e32 v19, 9, v17
	ds_read_b64 v[10:11], v20 offset:2048
	ds_read_b64 v[21:22], v19 offset:2080
	v_cmp_gt_u32_e64 s[8:9], 12, v15
	s_waitcnt lgkmcnt(0)
	v_fma_f64 v[10:11], v[10:11], v[21:22], 0
	s_and_saveexec_b64 s[12:13], s[8:9]
	s_cbranch_execnz .LBB133_1156
; %bb.997:
	s_or_b64 exec, exec, s[12:13]
	v_cmp_gt_u32_e64 s[8:9], 8, v15
	s_and_saveexec_b64 s[12:13], s[8:9]
	s_cbranch_execnz .LBB133_1157
.LBB133_998:
	s_or_b64 exec, exec, s[12:13]
	v_cmp_gt_u32_e64 s[8:9], 4, v15
	s_and_saveexec_b64 s[12:13], s[8:9]
	s_cbranch_execz .LBB133_1000
.LBB133_999:
	v_lshlrev_b32_e32 v19, 3, v0
	v_mov_b32_e32 v21, 0
	ds_read_b64 v[19:20], v19 offset:3584
	ds_read_b64 v[21:22], v21 offset:3640
	s_waitcnt lgkmcnt(0)
	v_fma_f64 v[10:11], v[19:20], v[21:22], v[10:11]
.LBB133_1000:
	s_or_b64 exec, exec, s[12:13]
.LBB133_1001:
	s_or_b64 exec, exec, s[10:11]
	s_and_saveexec_b64 s[8:9], s[44:45]
; %bb.1002:
	v_xor_b32_e32 v20, 0x80000000, v11
	v_mov_b32_e32 v19, v10
	ds_write_b64 v18, v[19:20]
; %bb.1003:
	s_or_b64 exec, exec, s[8:9]
	s_waitcnt lgkmcnt(0)
	s_barrier
	s_and_saveexec_b64 s[8:9], s[46:47]
	s_cbranch_execz .LBB133_1005
; %bb.1004:
	v_lshlrev_b32_e32 v19, 3, v16
	ds_read_b64 v[19:20], v19 offset:1536
	ds_read_b64 v[21:22], v18
	s_waitcnt lgkmcnt(0)
	v_fma_f64 v[10:11], -v[19:20], v[21:22], v[10:11]
.LBB133_1005:
	s_or_b64 exec, exec, s[8:9]
	s_barrier
	s_and_saveexec_b64 s[8:9], s[48:49]
; %bb.1006:
	v_xor_b32_e32 v20, 0x80000000, v11
	v_mov_b32_e32 v19, v10
	ds_write_b64 v18, v[19:20]
; %bb.1007:
	s_or_b64 exec, exec, s[8:9]
	s_waitcnt lgkmcnt(0)
	s_barrier
	s_and_saveexec_b64 s[8:9], s[50:51]
	s_cbranch_execz .LBB133_1009
; %bb.1008:
	v_lshlrev_b32_e32 v19, 3, v16
	ds_read_b64 v[19:20], v19 offset:1024
	ds_read_b64 v[21:22], v18
	s_waitcnt lgkmcnt(0)
	v_fma_f64 v[10:11], -v[19:20], v[21:22], v[10:11]
.LBB133_1009:
	s_or_b64 exec, exec, s[8:9]
	s_barrier
	s_and_saveexec_b64 s[8:9], s[52:53]
; %bb.1010:
	v_xor_b32_e32 v20, 0x80000000, v11
	v_mov_b32_e32 v19, v10
	ds_write_b64 v18, v[19:20]
; %bb.1011:
	s_or_b64 exec, exec, s[8:9]
	s_waitcnt lgkmcnt(0)
	s_barrier
	s_and_saveexec_b64 s[8:9], s[42:43]
	s_cbranch_execz .LBB133_1013
; %bb.1012:
	v_mov_b32_e32 v19, 0
	ds_read_b64 v[19:20], v19 offset:512
	ds_read_b64 v[21:22], v18
	s_waitcnt lgkmcnt(0)
	v_fma_f64 v[10:11], -v[19:20], v[21:22], v[10:11]
.LBB133_1013:
	s_or_b64 exec, exec, s[8:9]
	s_barrier
	s_and_saveexec_b64 s[8:9], s[42:43]
; %bb.1014:
	v_xor_b32_e32 v20, 0x80000000, v11
	v_mov_b32_e32 v19, v10
	ds_write_b64 v18, v[19:20]
; %bb.1015:
	s_or_b64 exec, exec, s[8:9]
	s_waitcnt lgkmcnt(0)
	s_barrier
	s_barrier
	s_and_saveexec_b64 s[8:9], s[2:3]
; %bb.1016:
	v_lshlrev_b32_e32 v16, 3, v16
	v_lshl_or_b32 v16, v17, 9, v16
	ds_write_b64 v16, v[10:11] offset:2048
; %bb.1017:
	s_or_b64 exec, exec, s[8:9]
	s_waitcnt lgkmcnt(0)
	s_barrier
	s_barrier
	s_and_saveexec_b64 s[2:3], vcc
; %bb.1018:
	s_mov_b64 s[8:9], 1.0
	v_mov_b32_e32 v11, s9
	v_mov_b32_e32 v16, 0
	;; [unrolled: 1-line block ×3, first 2 shown]
	ds_write2_b64 v16, v[10:11], v[10:11] offset0:130 offset1:195
; %bb.1019:
	s_or_b64 exec, exec, s[2:3]
	v_mov_b32_e32 v10, 0
	v_mov_b32_e32 v11, 0
	s_waitcnt lgkmcnt(0)
	s_barrier
	buffer_wbinvl1_vol
	s_and_saveexec_b64 s[8:9], s[0:1]
	s_cbranch_execz .LBB133_1023
; %bb.1020:
	v_lshlrev_b32_e32 v16, 9, v13
	v_lshlrev_b32_e32 v10, 3, v12
	ds_read_b64 v[10:11], v10 offset:1024
	ds_read_b64 v[16:17], v16 offset:1040
	v_cmp_gt_u32_e64 s[2:3], 2, v15
	s_waitcnt lgkmcnt(0)
	v_fma_f64 v[10:11], v[10:11], v[16:17], 0
	s_and_saveexec_b64 s[10:11], s[2:3]
	s_cbranch_execz .LBB133_1022
; %bb.1021:
	v_lshlrev_b32_e32 v15, 3, v0
	v_mov_b32_e32 v17, 0
	ds_read_b64 v[15:16], v15 offset:1536
	ds_read_b64 v[17:18], v17 offset:1560
	s_waitcnt lgkmcnt(0)
	v_fma_f64 v[10:11], v[15:16], v[17:18], v[10:11]
.LBB133_1022:
	s_or_b64 exec, exec, s[10:11]
.LBB133_1023:
	s_or_b64 exec, exec, s[8:9]
	s_and_saveexec_b64 s[2:3], s[40:41]
; %bb.1024:
	v_xor_b32_e32 v16, 0x80000000, v11
	v_mov_b32_e32 v15, v10
	ds_write_b64 v14, v[15:16]
; %bb.1025:
	s_or_b64 exec, exec, s[2:3]
	s_waitcnt lgkmcnt(0)
	s_barrier
	s_and_saveexec_b64 s[2:3], s[38:39]
	s_cbranch_execz .LBB133_1027
; %bb.1026:
	v_mov_b32_e32 v15, 0
	ds_read_b64 v[15:16], v15 offset:512
	ds_read_b64 v[17:18], v14
	s_waitcnt lgkmcnt(0)
	v_fma_f64 v[10:11], -v[15:16], v[17:18], v[10:11]
.LBB133_1027:
	s_or_b64 exec, exec, s[2:3]
	s_barrier
	s_and_saveexec_b64 s[2:3], s[38:39]
; %bb.1028:
	v_xor_b32_e32 v16, 0x80000000, v11
	v_mov_b32_e32 v15, v10
	ds_write_b64 v14, v[15:16]
; %bb.1029:
	s_or_b64 exec, exec, s[2:3]
	s_waitcnt lgkmcnt(0)
	s_barrier
	s_barrier
	s_and_saveexec_b64 s[2:3], s[0:1]
; %bb.1030:
	v_lshlrev_b32_e32 v12, 3, v12
	v_lshl_or_b32 v12, v13, 9, v12
	ds_write_b64 v12, v[10:11] offset:1024
; %bb.1031:
	s_or_b64 exec, exec, s[2:3]
	s_waitcnt lgkmcnt(0)
	s_barrier
	s_barrier
	s_and_saveexec_b64 s[0:1], vcc
; %bb.1032:
	s_mov_b64 s[2:3], 1.0
	v_mov_b32_e32 v11, s3
	v_mov_b32_e32 v12, 0
	;; [unrolled: 1-line block ×3, first 2 shown]
	ds_write2_b64 v12, v[10:11], v[10:11] offset1:65
; %bb.1033:
	s_or_b64 exec, exec, s[0:1]
.LBB133_1034:
	s_lshl_b64 s[0:1], s[24:25], 3
	s_add_u32 s38, s34, s0
	v_cmp_le_i32_e32 vcc, s92, v0
	s_addc_u32 s39, s35, s1
	s_and_b64 s[14:15], vcc, s[22:23]
	v_cmp_eq_u32_e64 s[0:1], 0, v1
	s_xor_b64 s[2:3], s[14:15], -1
	v_mov_b32_e32 v10, 0
	s_and_b64 s[8:9], s[0:1], s[2:3]
	v_mov_b32_e32 v11, 0
	v_lshl_add_u32 v12, s33, 6, v0
	s_waitcnt lgkmcnt(0)
	s_barrier
	s_and_saveexec_b64 s[2:3], s[8:9]
	s_cbranch_execz .LBB133_1036
; %bb.1035:
	v_ashrrev_i32_e32 v13, 31, v12
	v_mul_lo_u32 v14, s27, v12
	v_mad_u64_u32 v[10:11], s[8:9], s26, v12, 0
	v_mul_lo_u32 v13, s26, v13
	v_add3_u32 v11, v11, v13, v14
	v_lshlrev_b64 v[10:11], 3, v[10:11]
	v_mov_b32_e32 v13, s39
	v_add_co_u32_e32 v10, vcc, s38, v10
	v_addc_co_u32_e32 v11, vcc, v13, v11, vcc
	flat_load_dwordx2 v[10:11], v[10:11]
	s_waitcnt vmcnt(0) lgkmcnt(0)
	v_mul_f64 v[10:11], v[10:11], -s[20:21]
.LBB133_1036:
	s_or_b64 exec, exec, s[2:3]
	s_load_dwordx2 s[12:13], s[4:5], 0x50
	s_and_b32 s2, 0xffff, s95
	v_mad_u32_u24 v16, v1, s2, v0
	v_mov_b32_e32 v17, 0
	s_cmp_lt_i32 s6, 1
	v_cmp_eq_u32_e64 s[2:3], 0, v16
	s_cbranch_scc1 .LBB133_1062
; %bb.1037:
	v_ashrrev_i32_e32 v13, 31, v12
	v_cmp_gt_i32_e64 s[10:11], s28, v12
	v_lshlrev_b64 v[12:13], 3, v[12:13]
	s_lshl_b64 s[4:5], s[18:19], 2
	v_mov_b32_e32 v14, 0xa000
	s_waitcnt lgkmcnt(0)
	s_add_u32 s16, s12, s4
	v_lshl_add_u32 v18, v16, 3, v14
	v_lshl_or_b32 v19, v1, 3, v14
	v_mov_b32_e32 v14, s94
	v_add_co_u32_e32 v20, vcc, s93, v12
	s_mul_i32 s8, s31, 0x180
	s_mul_hi_u32 s9, s30, 0x180
	s_mov_b32 s40, 0
	s_addc_u32 s17, s13, s5
	v_cmp_gt_u32_e64 s[4:5], 64, v16
	s_add_i32 s41, s33, 1
	v_addc_co_u32_e32 v21, vcc, v14, v13, vcc
	s_lshl_b64 s[20:21], s[30:31], 7
	s_lshl_b64 s[24:25], s[30:31], 8
	s_add_i32 s42, s9, s8
	s_mul_i32 s43, s30, 0x180
	v_mov_b32_e32 v22, -1
	s_branch .LBB133_1040
.LBB133_1038:                           ;   in Loop: Header=BB133_1040 Depth=1
	ds_read_b64 v[12:13], v19 offset:384
	s_waitcnt vmcnt(0) lgkmcnt(0)
	v_fma_f64 v[10:11], v[14:15], v[12:13], v[10:11]
.LBB133_1039:                           ;   in Loop: Header=BB133_1040 Depth=1
	s_or_b64 exec, exec, s[34:35]
	s_add_i32 s40, s40, 1
	s_cmp_eq_u32 s40, s6
	s_cbranch_scc1 .LBB133_1062
.LBB133_1040:                           ; =>This Loop Header: Depth=1
                                        ;     Child Loop BB133_1042 Depth 2
	v_cmp_gt_i32_e32 vcc, s40, v22
	s_and_b64 s[34:35], s[2:3], vcc
	s_and_saveexec_b64 s[8:9], s[34:35]
	s_cbranch_execz .LBB133_1043
; %bb.1041:                             ;   in Loop: Header=BB133_1040 Depth=1
	global_load_dword v22, v17, s[16:17]
	s_waitcnt vmcnt(0)
	v_cmp_le_i32_e32 vcc, s40, v22
	s_cbranch_vccnz .LBB133_1043
.LBB133_1042:                           ;   Parent Loop BB133_1040 Depth=1
                                        ; =>  This Inner Loop Header: Depth=2
	buffer_wbinvl1_vol
	global_load_dword v22, v17, s[16:17]
	s_waitcnt vmcnt(0)
	v_cmp_gt_i32_e32 vcc, s40, v22
	s_cbranch_vccnz .LBB133_1042
.LBB133_1043:                           ;   in Loop: Header=BB133_1040 Depth=1
	s_or_b64 exec, exec, s[8:9]
	s_sub_i32 s44, s7, s40
	s_lshl_b32 s45, s44, 6
	buffer_wbinvl1_vol
	s_barrier
	s_and_saveexec_b64 s[8:9], s[4:5]
	s_cbranch_execz .LBB133_1047
; %bb.1044:                             ;   in Loop: Header=BB133_1040 Depth=1
	s_ashr_i32 s34, s45, 31
	v_mov_b32_e32 v13, s34
	v_or_b32_e32 v12, s45, v16
	v_cmp_gt_i64_e32 vcc, s[28:29], v[12:13]
	v_mov_b32_e32 v14, 0
	v_mov_b32_e32 v15, 0
	s_and_saveexec_b64 s[34:35], vcc
	s_cbranch_execz .LBB133_1046
; %bb.1045:                             ;   in Loop: Header=BB133_1040 Depth=1
	v_mul_lo_u32 v14, v13, s26
	v_mul_lo_u32 v15, v12, s27
	v_mad_u64_u32 v[12:13], s[46:47], v12, s26, 0
	v_add3_u32 v13, v13, v15, v14
	v_lshlrev_b64 v[12:13], 3, v[12:13]
	v_mov_b32_e32 v14, s39
	v_add_co_u32_e32 v12, vcc, s38, v12
	v_addc_co_u32_e32 v13, vcc, v14, v13, vcc
	flat_load_dwordx2 v[14:15], v[12:13]
.LBB133_1046:                           ;   in Loop: Header=BB133_1040 Depth=1
	s_or_b64 exec, exec, s[34:35]
	s_waitcnt vmcnt(0) lgkmcnt(0)
	ds_write_b64 v18, v[14:15]
.LBB133_1047:                           ;   in Loop: Header=BB133_1040 Depth=1
	s_or_b64 exec, exec, s[8:9]
	v_add_u32_e32 v23, s45, v1
	v_ashrrev_i32_e32 v14, 31, v23
	v_mul_lo_u32 v15, s31, v23
	v_mad_u64_u32 v[12:13], s[8:9], s30, v23, 0
	v_mul_lo_u32 v14, s30, v14
	s_cmp_lg_u32 s44, s41
	s_cselect_b64 s[8:9], -1, 0
	s_waitcnt lgkmcnt(0)
	v_add3_u32 v13, v13, v14, v15
	v_lshlrev_b64 v[12:13], 3, v[12:13]
	v_cndmask_b32_e64 v14, 0, 1, s[8:9]
	v_add_co_u32_e32 v12, vcc, v20, v12
	v_addc_co_u32_e32 v13, vcc, v21, v13, vcc
	v_cmp_gt_i32_e32 vcc, s28, v23
	s_and_b64 s[44:45], s[10:11], vcc
	v_cmp_ne_u32_e64 s[8:9], 1, v14
	s_barrier
	s_and_saveexec_b64 s[34:35], s[44:45]
	s_cbranch_execz .LBB133_1051
; %bb.1048:                             ;   in Loop: Header=BB133_1040 Depth=1
	v_mov_b32_e32 v15, v3
	s_and_b64 vcc, exec, s[8:9]
	v_mov_b32_e32 v14, v2
	s_cbranch_vccnz .LBB133_1050
; %bb.1049:                             ;   in Loop: Header=BB133_1040 Depth=1
	flat_load_dwordx2 v[14:15], v[12:13]
.LBB133_1050:                           ;   in Loop: Header=BB133_1040 Depth=1
	ds_read_b64 v[24:25], v19
	s_waitcnt vmcnt(0) lgkmcnt(0)
	v_fma_f64 v[10:11], v[14:15], v[24:25], v[10:11]
.LBB133_1051:                           ;   in Loop: Header=BB133_1040 Depth=1
	s_or_b64 exec, exec, s[34:35]
	v_add_u32_e32 v14, 16, v23
	v_cmp_gt_i32_e32 vcc, s28, v14
	s_and_b64 s[44:45], s[10:11], vcc
	s_and_saveexec_b64 s[34:35], s[44:45]
	s_cbranch_execz .LBB133_1055
; %bb.1052:                             ;   in Loop: Header=BB133_1040 Depth=1
	v_mov_b32_e32 v15, v5
	s_and_b64 vcc, exec, s[8:9]
	v_mov_b32_e32 v14, v4
	s_cbranch_vccnz .LBB133_1054
; %bb.1053:                             ;   in Loop: Header=BB133_1040 Depth=1
	v_mov_b32_e32 v15, s21
	v_add_co_u32_e32 v14, vcc, s20, v12
	v_addc_co_u32_e32 v15, vcc, v13, v15, vcc
	flat_load_dwordx2 v[14:15], v[14:15]
.LBB133_1054:                           ;   in Loop: Header=BB133_1040 Depth=1
	ds_read_b64 v[24:25], v19 offset:128
	s_waitcnt vmcnt(0) lgkmcnt(0)
	v_fma_f64 v[10:11], v[14:15], v[24:25], v[10:11]
.LBB133_1055:                           ;   in Loop: Header=BB133_1040 Depth=1
	s_or_b64 exec, exec, s[34:35]
	v_add_u32_e32 v14, 32, v23
	v_cmp_gt_i32_e32 vcc, s28, v14
	s_and_b64 s[44:45], s[10:11], vcc
	s_and_saveexec_b64 s[34:35], s[44:45]
	s_cbranch_execz .LBB133_1059
; %bb.1056:                             ;   in Loop: Header=BB133_1040 Depth=1
	v_mov_b32_e32 v15, v9
	s_and_b64 vcc, exec, s[8:9]
	v_mov_b32_e32 v14, v8
	s_cbranch_vccnz .LBB133_1058
; %bb.1057:                             ;   in Loop: Header=BB133_1040 Depth=1
	v_mov_b32_e32 v15, s25
	v_add_co_u32_e32 v14, vcc, s24, v12
	v_addc_co_u32_e32 v15, vcc, v13, v15, vcc
	flat_load_dwordx2 v[14:15], v[14:15]
.LBB133_1058:                           ;   in Loop: Header=BB133_1040 Depth=1
	ds_read_b64 v[24:25], v19 offset:256
	s_waitcnt vmcnt(0) lgkmcnt(0)
	v_fma_f64 v[10:11], v[14:15], v[24:25], v[10:11]
.LBB133_1059:                           ;   in Loop: Header=BB133_1040 Depth=1
	s_or_b64 exec, exec, s[34:35]
	v_add_u32_e32 v14, 48, v23
	v_cmp_gt_i32_e32 vcc, s28, v14
	s_and_b64 s[44:45], s[10:11], vcc
	s_and_saveexec_b64 s[34:35], s[44:45]
	s_cbranch_execz .LBB133_1039
; %bb.1060:                             ;   in Loop: Header=BB133_1040 Depth=1
	v_mov_b32_e32 v15, v7
	s_and_b64 vcc, exec, s[8:9]
	v_mov_b32_e32 v14, v6
	s_cbranch_vccnz .LBB133_1038
; %bb.1061:                             ;   in Loop: Header=BB133_1040 Depth=1
	v_mov_b32_e32 v14, s42
	v_add_co_u32_e32 v12, vcc, s43, v12
	v_addc_co_u32_e32 v13, vcc, v13, v14, vcc
	flat_load_dwordx2 v[14:15], v[12:13]
	s_branch .LBB133_1038
.LBB133_1062:
	v_lshl_add_u32 v2, v1, 6, v0
	s_xor_b64 s[2:3], s[22:23], -1
	s_xor_b64 s[4:5], s[36:37], -1
	v_lshlrev_b32_e32 v4, 3, v2
	ds_write_b64 v4, v[10:11] offset:32768
	s_waitcnt lgkmcnt(0)
	s_barrier
	s_and_saveexec_b64 s[6:7], s[0:1]
	s_cbranch_execz .LBB133_1064
; %bb.1063:
	v_lshlrev_b32_e32 v15, 3, v0
	ds_read2st64_b64 v[5:8], v15 offset0:65 offset1:66
	ds_read_b64 v[2:3], v15 offset:40448
	s_waitcnt lgkmcnt(1)
	v_add_f64 v[5:6], v[10:11], v[5:6]
	v_add_f64 v[13:14], v[5:6], v[7:8]
	ds_read2st64_b64 v[5:8], v15 offset0:67 offset1:68
	ds_read2st64_b64 v[9:12], v15 offset0:69 offset1:70
	s_waitcnt lgkmcnt(1)
	v_add_f64 v[5:6], v[13:14], v[5:6]
	v_add_f64 v[5:6], v[5:6], v[7:8]
	s_waitcnt lgkmcnt(0)
	v_add_f64 v[5:6], v[5:6], v[9:10]
	v_add_f64 v[13:14], v[5:6], v[11:12]
	ds_read2st64_b64 v[5:8], v15 offset0:71 offset1:72
	ds_read2st64_b64 v[9:12], v15 offset0:73 offset1:74
	s_waitcnt lgkmcnt(1)
	v_add_f64 v[5:6], v[13:14], v[5:6]
	v_add_f64 v[5:6], v[5:6], v[7:8]
	;; [unrolled: 8-line block ×3, first 2 shown]
	s_waitcnt lgkmcnt(0)
	v_add_f64 v[5:6], v[5:6], v[9:10]
	v_add_f64 v[5:6], v[5:6], v[11:12]
	;; [unrolled: 1-line block ×3, first 2 shown]
	v_xor_b32_e32 v3, 0x80000000, v3
	v_cndmask_b32_e64 v11, v3, 0, s[14:15]
	v_cndmask_b32_e64 v10, v2, 0, s[14:15]
.LBB133_1064:
	s_or_b64 exec, exec, s[6:7]
	s_andn2_b64 vcc, exec, s[4:5]
	s_cbranch_vccnz .LBB133_1078
; %bb.1065:
	v_mov_b32_e32 v2, 0xa000
	v_lshl_or_b32 v5, v1, 3, v2
	s_and_saveexec_b64 s[4:5], s[0:1]
; %bb.1066:
	v_lshl_add_u32 v2, v0, 3, v5
	ds_write_b64 v2, v[10:11]
; %bb.1067:
	s_or_b64 exec, exec, s[4:5]
	v_mov_b32_e32 v2, 0
	v_mov_b32_e32 v3, 0
	v_cmp_le_u32_e32 vcc, v0, v1
	s_waitcnt lgkmcnt(0)
	s_barrier
	s_and_saveexec_b64 s[4:5], vcc
	s_cbranch_execz .LBB133_1069
; %bb.1068:
	ds_read_b64 v[2:3], v4
	ds_read_b64 v[6:7], v5
	s_waitcnt lgkmcnt(0)
	v_fma_f64 v[2:3], v[2:3], v[6:7], 0
.LBB133_1069:
	s_or_b64 exec, exec, s[4:5]
	v_add_u32_e32 v6, 16, v1
	v_cmp_le_u32_e32 vcc, v0, v6
	s_and_saveexec_b64 s[4:5], vcc
	s_cbranch_execz .LBB133_1071
; %bb.1070:
	ds_read_b64 v[6:7], v4 offset:8192
	ds_read_b64 v[8:9], v5 offset:128
	s_waitcnt lgkmcnt(0)
	v_fma_f64 v[2:3], v[6:7], v[8:9], v[2:3]
.LBB133_1071:
	s_or_b64 exec, exec, s[4:5]
	v_add_u32_e32 v6, 32, v1
	v_cmp_le_u32_e32 vcc, v0, v6
	s_and_saveexec_b64 s[4:5], vcc
	s_cbranch_execz .LBB133_1073
; %bb.1072:
	ds_read_b64 v[6:7], v4 offset:16384
	ds_read_b64 v[8:9], v5 offset:256
	s_waitcnt lgkmcnt(0)
	v_fma_f64 v[2:3], v[6:7], v[8:9], v[2:3]
.LBB133_1073:
	s_or_b64 exec, exec, s[4:5]
	v_add_u32_e32 v1, 48, v1
	v_add_u32_e32 v6, 0x8000, v4
	v_cmp_le_u32_e32 vcc, v0, v1
	s_and_saveexec_b64 s[4:5], vcc
	s_cbranch_execz .LBB133_1075
; %bb.1074:
	ds_read_b64 v[7:8], v4 offset:24576
	ds_read_b64 v[4:5], v5 offset:384
	s_waitcnt lgkmcnt(0)
	v_fma_f64 v[2:3], v[7:8], v[4:5], v[2:3]
.LBB133_1075:
	s_or_b64 exec, exec, s[4:5]
	s_mov_b64 s[6:7], 0
	s_mov_b64 s[4:5], 0
	ds_write_b64 v6, v[2:3]
	s_waitcnt lgkmcnt(0)
	s_barrier
                                        ; implicit-def: $vgpr4_vgpr5
	s_and_saveexec_b64 s[8:9], s[0:1]
	s_cbranch_execz .LBB133_1104
; %bb.1076:
	v_lshlrev_b32_e32 v9, 3, v0
	ds_read2st64_b64 v[4:7], v9 offset0:65 offset1:66
	ds_read_b64 v[12:13], v9 offset:40448
	s_mov_b64 s[4:5], exec
	s_waitcnt lgkmcnt(1)
	v_add_f64 v[1:2], v[2:3], v[4:5]
	v_add_f64 v[14:15], v[6:7], v[1:2]
	ds_read2st64_b64 v[1:4], v9 offset0:67 offset1:68
	ds_read2st64_b64 v[5:8], v9 offset0:69 offset1:70
	s_waitcnt lgkmcnt(1)
	v_add_f64 v[1:2], v[1:2], v[14:15]
	v_add_f64 v[1:2], v[3:4], v[1:2]
	s_waitcnt lgkmcnt(0)
	v_add_f64 v[1:2], v[5:6], v[1:2]
	v_add_f64 v[14:15], v[7:8], v[1:2]
	ds_read2st64_b64 v[1:4], v9 offset0:71 offset1:72
	ds_read2st64_b64 v[5:8], v9 offset0:73 offset1:74
	s_waitcnt lgkmcnt(1)
	v_add_f64 v[1:2], v[1:2], v[14:15]
	v_add_f64 v[1:2], v[3:4], v[1:2]
	;; [unrolled: 8-line block ×3, first 2 shown]
	s_waitcnt lgkmcnt(0)
	v_add_f64 v[1:2], v[5:6], v[1:2]
	v_add_f64 v[1:2], v[7:8], v[1:2]
	;; [unrolled: 1-line block ×3, first 2 shown]
	s_or_b64 exec, exec, s[8:9]
	s_and_b64 vcc, exec, s[6:7]
	s_cbranch_vccnz .LBB133_1079
	s_branch .LBB133_1105
.LBB133_1077:
	v_mad_u64_u32 v[12:13], s[0:1], s30, v14, 0
	s_or_b64 s[8:9], s[8:9], exec
	v_mad_u64_u32 v[13:14], s[0:1], s31, v14, v[13:14]
	v_lshlrev_b64 v[12:13], 3, v[12:13]
	v_add_co_u32_e32 v10, vcc, v10, v12
	v_addc_co_u32_e32 v11, vcc, v11, v13, vcc
	flat_load_dwordx2 v[12:13], v[10:11]
	s_waitcnt vmcnt(0) lgkmcnt(0)
	v_xor_b32_e32 v13, 0x80000000, v13
	s_or_b64 exec, exec, s[2:3]
	s_and_saveexec_b64 s[0:1], s[8:9]
	s_cbranch_execnz .LBB133_57
	s_branch .LBB133_58
.LBB133_1078:
	s_mov_b64 s[4:5], 0
                                        ; implicit-def: $vgpr4_vgpr5
	s_cbranch_execz .LBB133_1105
.LBB133_1079:
	v_mov_b32_e32 v1, 0x7800
	v_lshl_add_u32 v1, v0, 3, v1
	v_mov_b32_e32 v3, 63
	v_mov_b32_e32 v2, 0
	s_branch .LBB133_1081
.LBB133_1080:                           ;   in Loop: Header=BB133_1081 Depth=1
	s_or_b64 exec, exec, s[6:7]
	v_subrev_co_u32_e32 v3, vcc, 1, v3
	s_andn2_b64 vcc, exec, vcc
	v_add_u32_e32 v1, 0xfffff800, v1
	s_barrier
	s_cbranch_vccz .LBB133_1097
.LBB133_1081:                           ; =>This Inner Loop Header: Depth=1
	v_cmp_eq_u32_e32 vcc, v0, v3
	s_and_b64 s[8:9], s[0:1], vcc
	s_and_saveexec_b64 s[6:7], s[8:9]
; %bb.1082:                             ;   in Loop: Header=BB133_1081 Depth=1
	ds_write_b64 v2, v[10:11] offset:41472
; %bb.1083:                             ;   in Loop: Header=BB133_1081 Depth=1
	s_or_b64 exec, exec, s[6:7]
	v_cmp_lt_u32_e32 vcc, v0, v3
	s_and_b64 s[8:9], s[0:1], vcc
	s_waitcnt lgkmcnt(0)
	s_barrier
	s_and_saveexec_b64 s[6:7], s[8:9]
	s_cbranch_execz .LBB133_1085
; %bb.1084:                             ;   in Loop: Header=BB133_1081 Depth=1
	ds_read_b64 v[4:5], v1 offset:1536
	ds_read_b64 v[6:7], v2 offset:41472
	s_waitcnt lgkmcnt(0)
	v_fma_f64 v[10:11], v[4:5], v[6:7], v[10:11]
.LBB133_1085:                           ;   in Loop: Header=BB133_1081 Depth=1
	s_or_b64 exec, exec, s[6:7]
	v_add_u32_e32 v3, -1, v3
	v_cmp_eq_u32_e32 vcc, v0, v3
	s_and_b64 s[8:9], s[0:1], vcc
	s_barrier
	s_and_saveexec_b64 s[6:7], s[8:9]
; %bb.1086:                             ;   in Loop: Header=BB133_1081 Depth=1
	ds_write_b64 v2, v[10:11] offset:41472
; %bb.1087:                             ;   in Loop: Header=BB133_1081 Depth=1
	s_or_b64 exec, exec, s[6:7]
	v_cmp_lt_u32_e32 vcc, v0, v3
	s_and_b64 s[8:9], s[0:1], vcc
	s_waitcnt lgkmcnt(0)
	s_barrier
	s_and_saveexec_b64 s[6:7], s[8:9]
	s_cbranch_execz .LBB133_1089
; %bb.1088:                             ;   in Loop: Header=BB133_1081 Depth=1
	ds_read_b64 v[4:5], v1 offset:1024
	ds_read_b64 v[6:7], v2 offset:41472
	s_waitcnt lgkmcnt(0)
	v_fma_f64 v[10:11], v[4:5], v[6:7], v[10:11]
.LBB133_1089:                           ;   in Loop: Header=BB133_1081 Depth=1
	s_or_b64 exec, exec, s[6:7]
	v_add_u32_e32 v3, -1, v3
	v_cmp_eq_u32_e32 vcc, v0, v3
	s_and_b64 s[8:9], s[0:1], vcc
	s_barrier
	;; [unrolled: 22-line block ×3, first 2 shown]
	s_and_saveexec_b64 s[6:7], s[8:9]
; %bb.1094:                             ;   in Loop: Header=BB133_1081 Depth=1
	ds_write_b64 v2, v[10:11] offset:41472
; %bb.1095:                             ;   in Loop: Header=BB133_1081 Depth=1
	s_or_b64 exec, exec, s[6:7]
	v_cmp_lt_u32_e32 vcc, v0, v3
	s_and_b64 s[8:9], s[0:1], vcc
	s_waitcnt lgkmcnt(0)
	s_barrier
	s_and_saveexec_b64 s[6:7], s[8:9]
	s_cbranch_execz .LBB133_1080
; %bb.1096:                             ;   in Loop: Header=BB133_1081 Depth=1
	ds_read_b64 v[4:5], v1
	ds_read_b64 v[6:7], v2 offset:41472
	s_waitcnt lgkmcnt(0)
	v_fma_f64 v[10:11], v[4:5], v[6:7], v[10:11]
	s_branch .LBB133_1080
.LBB133_1097:
	s_mov_b64 s[6:7], -1
	s_and_b64 vcc, exec, s[2:3]
	s_cbranch_vccnz .LBB133_1106
; %bb.1098:
	s_andn2_b64 vcc, exec, s[6:7]
	s_cbranch_vccz .LBB133_1107
.LBB133_1099:
	s_and_saveexec_b64 s[0:1], s[4:5]
	s_cbranch_execz .LBB133_1101
.LBB133_1100:
	s_lshl_b32 s2, s33, 6
	s_ashr_i32 s3, s2, 31
	v_mov_b32_e32 v0, s3
	v_add_co_u32_e32 v1, vcc, s2, v16
	v_addc_co_u32_e32 v0, vcc, 0, v0, vcc
	v_mul_lo_u32 v2, v0, s26
	v_mul_lo_u32 v3, v1, s27
	v_mad_u64_u32 v[0:1], s[2:3], v1, s26, 0
	v_add3_u32 v1, v1, v3, v2
	v_lshlrev_b64 v[0:1], 3, v[0:1]
	v_mov_b32_e32 v2, s39
	v_add_co_u32_e32 v0, vcc, s38, v0
	v_addc_co_u32_e32 v1, vcc, v2, v1, vcc
	flat_store_dwordx2 v[0:1], v[10:11]
.LBB133_1101:
	s_or_b64 exec, exec, s[0:1]
	v_cmp_eq_u32_e32 vcc, 0, v16
	s_waitcnt vmcnt(0) lgkmcnt(0)
	buffer_wbinvl1_vol
	s_barrier
	s_and_saveexec_b64 s[0:1], vcc
	s_cbranch_execz .LBB133_1103
; %bb.1102:
	s_lshl_b64 s[2:3], s[18:19], 2
	s_add_u32 s2, s12, s2
	s_addc_u32 s3, s13, s3
	v_mov_b32_e32 v0, 0
	global_load_dword v1, v0, s[2:3]
	s_waitcnt vmcnt(0)
	v_add_u32_e32 v1, 1, v1
	global_store_dword v0, v1, s[2:3]
.LBB133_1103:
	s_or_b64 exec, exec, s[0:1]
	s_waitcnt vmcnt(0)
	buffer_wbinvl1_vol
	s_endpgm
.LBB133_1104:
	s_or_b64 exec, exec, s[8:9]
	s_and_b64 vcc, exec, s[6:7]
	s_cbranch_vccnz .LBB133_1079
.LBB133_1105:
	v_mov_b32_e32 v11, v5
	v_mov_b32_e32 v10, v4
	s_and_saveexec_b64 s[0:1], s[4:5]
	s_cbranch_execnz .LBB133_1100
	s_branch .LBB133_1101
.LBB133_1106:
	s_andn2_b64 s[2:3], s[4:5], exec
	s_and_b64 s[4:5], s[0:1], exec
	s_or_b64 s[4:5], s[2:3], s[4:5]
	s_cbranch_execnz .LBB133_1099
.LBB133_1107:
	v_cmp_gt_i32_e32 vcc, s92, v0
	s_and_b64 s[0:1], s[0:1], vcc
	s_andn2_b64 s[2:3], s[4:5], exec
	s_and_b64 s[0:1], s[0:1], exec
	s_or_b64 s[4:5], s[2:3], s[0:1]
	s_and_saveexec_b64 s[0:1], s[4:5]
	s_cbranch_execnz .LBB133_1100
	s_branch .LBB133_1101
.LBB133_1108:
	ds_read_b64 v[21:22], v20 offset:31680
	ds_read_b64 v[23:24], v19 offset:31208
	s_waitcnt lgkmcnt(0)
	v_fma_f64 v[10:11], v[21:22], v[23:24], v[10:11]
	s_or_b64 exec, exec, s[14:15]
	v_cmp_gt_u32_e64 s[10:11], 8, v15
	s_and_saveexec_b64 s[14:15], s[10:11]
	s_cbranch_execz .LBB133_78
.LBB133_1109:
	ds_read_b64 v[20:21], v20 offset:32192
	ds_read_b64 v[22:23], v19 offset:31216
	s_waitcnt lgkmcnt(0)
	v_fma_f64 v[10:11], v[20:21], v[22:23], v[10:11]
	s_or_b64 exec, exec, s[14:15]
	v_cmp_gt_u32_e64 s[10:11], 4, v15
	s_and_saveexec_b64 s[14:15], s[10:11]
	s_cbranch_execnz .LBB133_79
	s_branch .LBB133_80
.LBB133_1110:
	ds_read_b64 v[24:25], v23 offset:29568
	ds_read_b64 v[26:27], v22 offset:29128
	s_waitcnt lgkmcnt(0)
	v_fma_f64 v[10:11], v[24:25], v[26:27], v[10:11]
	s_or_b64 exec, exec, s[16:17]
	v_cmp_gt_u32_e64 s[10:11], 48, v15
	s_and_saveexec_b64 s[16:17], s[10:11]
	s_cbranch_execz .LBB133_116
.LBB133_1111:
	ds_read_b64 v[24:25], v23 offset:30080
	ds_read_b64 v[26:27], v22 offset:29136
	s_waitcnt lgkmcnt(0)
	v_fma_f64 v[10:11], v[24:25], v[26:27], v[10:11]
	s_or_b64 exec, exec, s[16:17]
	v_cmp_gt_u32_e64 s[10:11], 40, v15
	s_and_saveexec_b64 s[16:17], s[10:11]
	s_cbranch_execz .LBB133_117
.LBB133_1112:
	ds_read_b64 v[24:25], v23 offset:30592
	ds_read_b64 v[26:27], v22 offset:29144
	s_waitcnt lgkmcnt(0)
	v_fma_f64 v[10:11], v[24:25], v[26:27], v[10:11]
	s_or_b64 exec, exec, s[16:17]
	v_cmp_gt_u32_e64 s[10:11], 32, v15
	s_and_saveexec_b64 s[16:17], s[10:11]
	s_cbranch_execz .LBB133_118
.LBB133_1113:
	ds_read_b64 v[24:25], v23 offset:31104
	ds_read_b64 v[26:27], v22 offset:29152
	s_waitcnt lgkmcnt(0)
	v_fma_f64 v[10:11], v[24:25], v[26:27], v[10:11]
	s_or_b64 exec, exec, s[16:17]
	v_cmp_gt_u32_e64 s[10:11], 24, v15
	s_and_saveexec_b64 s[16:17], s[10:11]
	s_cbranch_execz .LBB133_119
.LBB133_1114:
	ds_read_b64 v[24:25], v23 offset:31616
	ds_read_b64 v[26:27], v22 offset:29160
	s_waitcnt lgkmcnt(0)
	v_fma_f64 v[10:11], v[24:25], v[26:27], v[10:11]
	s_or_b64 exec, exec, s[16:17]
	s_and_saveexec_b64 s[10:11], s[2:3]
	s_cbranch_execz .LBB133_120
.LBB133_1115:
	ds_read_b64 v[23:24], v23 offset:32128
	ds_read_b64 v[25:26], v22 offset:29168
	s_waitcnt lgkmcnt(0)
	v_fma_f64 v[10:11], v[23:24], v[25:26], v[10:11]
	s_or_b64 exec, exec, s[10:11]
	v_cmp_gt_u32_e64 s[10:11], 8, v15
	s_and_saveexec_b64 s[16:17], s[10:11]
	s_cbranch_execnz .LBB133_121
	s_branch .LBB133_122
.LBB133_1116:
	ds_read_b64 v[24:25], v23 offset:27520
	ds_read_b64 v[26:27], v22 offset:27048
	s_waitcnt lgkmcnt(0)
	v_fma_f64 v[10:11], v[24:25], v[26:27], v[10:11]
	s_or_b64 exec, exec, s[12:13]
	v_cmp_gt_u32_e64 s[8:9], 8, v15
	s_and_saveexec_b64 s[12:13], s[8:9]
	s_cbranch_execz .LBB133_174
.LBB133_1117:
	ds_read_b64 v[23:24], v23 offset:28032
	ds_read_b64 v[25:26], v22 offset:27056
	s_waitcnt lgkmcnt(0)
	v_fma_f64 v[10:11], v[23:24], v[25:26], v[10:11]
	s_or_b64 exec, exec, s[12:13]
	v_cmp_gt_u32_e64 s[8:9], 4, v15
	s_and_saveexec_b64 s[12:13], s[8:9]
	s_cbranch_execnz .LBB133_175
	s_branch .LBB133_176
.LBB133_1118:
	ds_read_b64 v[27:28], v26 offset:30464
	ds_read_b64 v[29:30], v25 offset:25048
	s_waitcnt lgkmcnt(0)
	v_fma_f64 v[10:11], v[27:28], v[29:30], v[10:11]
	s_or_b64 exec, exec, s[82:83]
	s_and_saveexec_b64 s[12:13], s[14:15]
	s_cbranch_execz .LBB133_232
.LBB133_1119:
	ds_read_b64 v[27:28], v26 offset:30976
	ds_read_b64 v[29:30], v25 offset:25056
	s_waitcnt lgkmcnt(0)
	v_fma_f64 v[10:11], v[27:28], v[29:30], v[10:11]
	s_or_b64 exec, exec, s[12:13]
	v_cmp_gt_u32_e64 s[12:13], 48, v15
	s_and_saveexec_b64 s[82:83], s[12:13]
	s_cbranch_execz .LBB133_233
.LBB133_1120:
	ds_read_b64 v[27:28], v26 offset:31488
	ds_read_b64 v[29:30], v25 offset:25064
	s_waitcnt lgkmcnt(0)
	v_fma_f64 v[10:11], v[27:28], v[29:30], v[10:11]
	s_or_b64 exec, exec, s[82:83]
	v_cmp_gt_u32_e64 s[12:13], 32, v15
	s_and_saveexec_b64 s[82:83], s[12:13]
	s_cbranch_execz .LBB133_234
.LBB133_1121:
	ds_read_b64 v[26:27], v26 offset:32000
	ds_read_b64 v[28:29], v25 offset:25072
	s_waitcnt lgkmcnt(0)
	v_fma_f64 v[10:11], v[26:27], v[28:29], v[10:11]
	s_or_b64 exec, exec, s[82:83]
	v_cmp_gt_u32_e64 s[12:13], 16, v15
	s_and_saveexec_b64 s[82:83], s[12:13]
	s_cbranch_execnz .LBB133_235
	s_branch .LBB133_236
.LBB133_1122:
	ds_read_b64 v[27:28], v26 offset:23360
	ds_read_b64 v[29:30], v25 offset:22888
	s_waitcnt lgkmcnt(0)
	v_fma_f64 v[10:11], v[27:28], v[29:30], v[10:11]
	s_or_b64 exec, exec, s[16:17]
	v_cmp_gt_u32_e64 s[10:11], 8, v15
	s_and_saveexec_b64 s[16:17], s[10:11]
	s_cbranch_execz .LBB133_320
.LBB133_1123:
	ds_read_b64 v[26:27], v26 offset:23872
	ds_read_b64 v[28:29], v25 offset:22896
	s_waitcnt lgkmcnt(0)
	v_fma_f64 v[10:11], v[26:27], v[28:29], v[10:11]
	s_or_b64 exec, exec, s[16:17]
	v_cmp_gt_u32_e64 s[10:11], 4, v15
	s_and_saveexec_b64 s[16:17], s[10:11]
	s_cbranch_execnz .LBB133_321
	s_branch .LBB133_322
.LBB133_1124:
	ds_read_b64 v[27:28], v26 offset:21248
	ds_read_b64 v[29:30], v25 offset:20808
	s_waitcnt lgkmcnt(0)
	v_fma_f64 v[10:11], v[27:28], v[29:30], v[10:11]
	s_or_b64 exec, exec, s[16:17]
	v_cmp_gt_u32_e64 s[10:11], 48, v15
	s_and_saveexec_b64 s[16:17], s[10:11]
	s_cbranch_execz .LBB133_358
.LBB133_1125:
	ds_read_b64 v[27:28], v26 offset:21760
	ds_read_b64 v[29:30], v25 offset:20816
	s_waitcnt lgkmcnt(0)
	v_fma_f64 v[10:11], v[27:28], v[29:30], v[10:11]
	s_or_b64 exec, exec, s[16:17]
	v_cmp_gt_u32_e64 s[10:11], 40, v15
	s_and_saveexec_b64 s[16:17], s[10:11]
	s_cbranch_execz .LBB133_359
.LBB133_1126:
	ds_read_b64 v[27:28], v26 offset:22272
	ds_read_b64 v[29:30], v25 offset:20824
	s_waitcnt lgkmcnt(0)
	v_fma_f64 v[10:11], v[27:28], v[29:30], v[10:11]
	s_or_b64 exec, exec, s[16:17]
	v_cmp_gt_u32_e64 s[10:11], 32, v15
	s_and_saveexec_b64 s[16:17], s[10:11]
	s_cbranch_execz .LBB133_360
.LBB133_1127:
	ds_read_b64 v[27:28], v26 offset:22784
	ds_read_b64 v[29:30], v25 offset:20832
	s_waitcnt lgkmcnt(0)
	v_fma_f64 v[10:11], v[27:28], v[29:30], v[10:11]
	s_or_b64 exec, exec, s[16:17]
	v_cmp_gt_u32_e64 s[10:11], 24, v15
	s_and_saveexec_b64 s[16:17], s[10:11]
	s_cbranch_execz .LBB133_361
.LBB133_1128:
	ds_read_b64 v[27:28], v26 offset:23296
	ds_read_b64 v[29:30], v25 offset:20840
	s_waitcnt lgkmcnt(0)
	v_fma_f64 v[10:11], v[27:28], v[29:30], v[10:11]
	s_or_b64 exec, exec, s[16:17]
	s_and_saveexec_b64 s[10:11], s[2:3]
	s_cbranch_execz .LBB133_362
.LBB133_1129:
	ds_read_b64 v[26:27], v26 offset:23808
	ds_read_b64 v[28:29], v25 offset:20848
	s_waitcnt lgkmcnt(0)
	v_fma_f64 v[10:11], v[26:27], v[28:29], v[10:11]
	s_or_b64 exec, exec, s[10:11]
	v_cmp_gt_u32_e64 s[10:11], 8, v15
	s_and_saveexec_b64 s[16:17], s[10:11]
	s_cbranch_execnz .LBB133_363
	s_branch .LBB133_364
.LBB133_1130:
	ds_read_b64 v[27:28], v26 offset:19200
	ds_read_b64 v[29:30], v25 offset:18728
	s_waitcnt lgkmcnt(0)
	v_fma_f64 v[10:11], v[27:28], v[29:30], v[10:11]
	s_or_b64 exec, exec, s[16:17]
	v_cmp_gt_u32_e64 s[10:11], 8, v15
	s_and_saveexec_b64 s[16:17], s[10:11]
	s_cbranch_execz .LBB133_416
.LBB133_1131:
	ds_read_b64 v[26:27], v26 offset:19712
	ds_read_b64 v[28:29], v25 offset:18736
	s_waitcnt lgkmcnt(0)
	v_fma_f64 v[10:11], v[26:27], v[28:29], v[10:11]
	s_or_b64 exec, exec, s[16:17]
	v_cmp_gt_u32_e64 s[10:11], 4, v15
	s_and_saveexec_b64 s[16:17], s[10:11]
	s_cbranch_execnz .LBB133_417
	s_branch .LBB133_418
.LBB133_1132:
	ds_read_b64 v[30:31], v26 offset:31232
	ds_read_b64 v[32:33], v29 offset:16872
	s_waitcnt lgkmcnt(0)
	v_fma_f64 v[10:11], v[30:31], v[32:33], v[10:11]
	s_or_b64 exec, exec, s[90:91]
	s_and_saveexec_b64 s[16:17], s[14:15]
	s_cbranch_execz .LBB133_510
.LBB133_1133:
	ds_read_b64 v[30:31], v26 offset:31744
	ds_read_b64 v[32:33], v29 offset:16880
	s_waitcnt lgkmcnt(0)
	v_fma_f64 v[10:11], v[30:31], v[32:33], v[10:11]
	s_or_b64 exec, exec, s[16:17]
	v_cmp_gt_u32_e64 s[16:17], 32, v15
	s_and_saveexec_b64 s[90:91], s[16:17]
	s_cbranch_execnz .LBB133_511
	s_branch .LBB133_512
.LBB133_1134:
	ds_read_b64 v[27:28], v26 offset:15040
	ds_read_b64 v[29:30], v25 offset:14568
	s_waitcnt lgkmcnt(0)
	v_fma_f64 v[10:11], v[27:28], v[29:30], v[10:11]
	s_or_b64 exec, exec, s[16:17]
	v_cmp_gt_u32_e64 s[10:11], 8, v15
	s_and_saveexec_b64 s[16:17], s[10:11]
	s_cbranch_execz .LBB133_660
.LBB133_1135:
	ds_read_b64 v[26:27], v26 offset:15552
	ds_read_b64 v[28:29], v25 offset:14576
	s_waitcnt lgkmcnt(0)
	v_fma_f64 v[10:11], v[26:27], v[28:29], v[10:11]
	s_or_b64 exec, exec, s[16:17]
	v_cmp_gt_u32_e64 s[10:11], 4, v15
	s_and_saveexec_b64 s[16:17], s[10:11]
	s_cbranch_execnz .LBB133_661
	s_branch .LBB133_662
.LBB133_1136:
	ds_read_b64 v[27:28], v26 offset:12928
	ds_read_b64 v[29:30], v25 offset:12488
	s_waitcnt lgkmcnt(0)
	v_fma_f64 v[10:11], v[27:28], v[29:30], v[10:11]
	s_or_b64 exec, exec, s[16:17]
	v_cmp_gt_u32_e64 s[10:11], 48, v15
	s_and_saveexec_b64 s[16:17], s[10:11]
	s_cbranch_execz .LBB133_698
.LBB133_1137:
	ds_read_b64 v[27:28], v26 offset:13440
	ds_read_b64 v[29:30], v25 offset:12496
	s_waitcnt lgkmcnt(0)
	v_fma_f64 v[10:11], v[27:28], v[29:30], v[10:11]
	s_or_b64 exec, exec, s[16:17]
	v_cmp_gt_u32_e64 s[10:11], 40, v15
	s_and_saveexec_b64 s[16:17], s[10:11]
	s_cbranch_execz .LBB133_699
.LBB133_1138:
	ds_read_b64 v[27:28], v26 offset:13952
	ds_read_b64 v[29:30], v25 offset:12504
	s_waitcnt lgkmcnt(0)
	v_fma_f64 v[10:11], v[27:28], v[29:30], v[10:11]
	s_or_b64 exec, exec, s[16:17]
	v_cmp_gt_u32_e64 s[10:11], 32, v15
	s_and_saveexec_b64 s[16:17], s[10:11]
	s_cbranch_execz .LBB133_700
.LBB133_1139:
	ds_read_b64 v[27:28], v26 offset:14464
	ds_read_b64 v[29:30], v25 offset:12512
	s_waitcnt lgkmcnt(0)
	v_fma_f64 v[10:11], v[27:28], v[29:30], v[10:11]
	s_or_b64 exec, exec, s[16:17]
	v_cmp_gt_u32_e64 s[10:11], 24, v15
	s_and_saveexec_b64 s[16:17], s[10:11]
	s_cbranch_execz .LBB133_701
.LBB133_1140:
	ds_read_b64 v[27:28], v26 offset:14976
	ds_read_b64 v[29:30], v25 offset:12520
	s_waitcnt lgkmcnt(0)
	v_fma_f64 v[10:11], v[27:28], v[29:30], v[10:11]
	s_or_b64 exec, exec, s[16:17]
	s_and_saveexec_b64 s[10:11], s[2:3]
	s_cbranch_execz .LBB133_702
.LBB133_1141:
	ds_read_b64 v[26:27], v26 offset:15488
	ds_read_b64 v[28:29], v25 offset:12528
	s_waitcnt lgkmcnt(0)
	v_fma_f64 v[10:11], v[26:27], v[28:29], v[10:11]
	s_or_b64 exec, exec, s[10:11]
	v_cmp_gt_u32_e64 s[10:11], 8, v15
	s_and_saveexec_b64 s[16:17], s[10:11]
	s_cbranch_execnz .LBB133_703
	s_branch .LBB133_704
.LBB133_1142:
	ds_read_b64 v[27:28], v26 offset:10880
	ds_read_b64 v[29:30], v25 offset:10408
	s_waitcnt lgkmcnt(0)
	v_fma_f64 v[10:11], v[27:28], v[29:30], v[10:11]
	s_or_b64 exec, exec, s[16:17]
	v_cmp_gt_u32_e64 s[10:11], 8, v15
	s_and_saveexec_b64 s[16:17], s[10:11]
	s_cbranch_execz .LBB133_756
.LBB133_1143:
	ds_read_b64 v[26:27], v26 offset:11392
	ds_read_b64 v[28:29], v25 offset:10416
	s_waitcnt lgkmcnt(0)
	v_fma_f64 v[10:11], v[26:27], v[28:29], v[10:11]
	s_or_b64 exec, exec, s[16:17]
	v_cmp_gt_u32_e64 s[10:11], 4, v15
	s_and_saveexec_b64 s[16:17], s[10:11]
	s_cbranch_execnz .LBB133_757
	s_branch .LBB133_758
.LBB133_1144:
	ds_read_b64 v[27:28], v26 offset:13824
	ds_read_b64 v[29:30], v25 offset:8408
	s_waitcnt lgkmcnt(0)
	v_fma_f64 v[10:11], v[27:28], v[29:30], v[10:11]
	s_or_b64 exec, exec, s[16:17]
	s_and_saveexec_b64 s[10:11], s[14:15]
	s_cbranch_execz .LBB133_814
.LBB133_1145:
	ds_read_b64 v[27:28], v26 offset:14336
	ds_read_b64 v[29:30], v25 offset:8416
	s_waitcnt lgkmcnt(0)
	v_fma_f64 v[10:11], v[27:28], v[29:30], v[10:11]
	s_or_b64 exec, exec, s[10:11]
	v_cmp_gt_u32_e64 s[10:11], 48, v15
	s_and_saveexec_b64 s[16:17], s[10:11]
	s_cbranch_execz .LBB133_815
.LBB133_1146:
	ds_read_b64 v[27:28], v26 offset:14848
	ds_read_b64 v[29:30], v25 offset:8424
	s_waitcnt lgkmcnt(0)
	v_fma_f64 v[10:11], v[27:28], v[29:30], v[10:11]
	s_or_b64 exec, exec, s[16:17]
	v_cmp_gt_u32_e64 s[10:11], 32, v15
	s_and_saveexec_b64 s[16:17], s[10:11]
	s_cbranch_execz .LBB133_816
.LBB133_1147:
	ds_read_b64 v[26:27], v26 offset:15360
	ds_read_b64 v[28:29], v25 offset:8432
	s_waitcnt lgkmcnt(0)
	v_fma_f64 v[10:11], v[26:27], v[28:29], v[10:11]
	s_or_b64 exec, exec, s[16:17]
	v_cmp_gt_u32_e64 s[10:11], 16, v15
	s_and_saveexec_b64 s[16:17], s[10:11]
	s_cbranch_execnz .LBB133_817
	s_branch .LBB133_818
.LBB133_1148:
	ds_read_b64 v[24:25], v23 offset:6720
	ds_read_b64 v[26:27], v22 offset:6248
	s_waitcnt lgkmcnt(0)
	v_fma_f64 v[10:11], v[24:25], v[26:27], v[10:11]
	s_or_b64 exec, exec, s[12:13]
	v_cmp_gt_u32_e64 s[8:9], 8, v15
	s_and_saveexec_b64 s[12:13], s[8:9]
	s_cbranch_execz .LBB133_902
.LBB133_1149:
	ds_read_b64 v[23:24], v23 offset:7232
	ds_read_b64 v[25:26], v22 offset:6256
	s_waitcnt lgkmcnt(0)
	v_fma_f64 v[10:11], v[23:24], v[25:26], v[10:11]
	s_or_b64 exec, exec, s[12:13]
	v_cmp_gt_u32_e64 s[8:9], 4, v15
	s_and_saveexec_b64 s[12:13], s[8:9]
	s_cbranch_execnz .LBB133_903
	s_branch .LBB133_904
.LBB133_1150:
	ds_read_b64 v[24:25], v23 offset:4608
	ds_read_b64 v[26:27], v22 offset:4168
	s_waitcnt lgkmcnt(0)
	v_fma_f64 v[10:11], v[24:25], v[26:27], v[10:11]
	s_or_b64 exec, exec, s[12:13]
	v_cmp_gt_u32_e64 s[8:9], 48, v15
	s_and_saveexec_b64 s[12:13], s[8:9]
	s_cbranch_execz .LBB133_940
.LBB133_1151:
	ds_read_b64 v[24:25], v23 offset:5120
	ds_read_b64 v[26:27], v22 offset:4176
	s_waitcnt lgkmcnt(0)
	v_fma_f64 v[10:11], v[24:25], v[26:27], v[10:11]
	s_or_b64 exec, exec, s[12:13]
	v_cmp_gt_u32_e64 s[8:9], 40, v15
	s_and_saveexec_b64 s[12:13], s[8:9]
	s_cbranch_execz .LBB133_941
.LBB133_1152:
	ds_read_b64 v[24:25], v23 offset:5632
	ds_read_b64 v[26:27], v22 offset:4184
	s_waitcnt lgkmcnt(0)
	v_fma_f64 v[10:11], v[24:25], v[26:27], v[10:11]
	s_or_b64 exec, exec, s[12:13]
	v_cmp_gt_u32_e64 s[8:9], 32, v15
	s_and_saveexec_b64 s[12:13], s[8:9]
	s_cbranch_execz .LBB133_942
.LBB133_1153:
	ds_read_b64 v[24:25], v23 offset:6144
	ds_read_b64 v[26:27], v22 offset:4192
	s_waitcnt lgkmcnt(0)
	v_fma_f64 v[10:11], v[24:25], v[26:27], v[10:11]
	s_or_b64 exec, exec, s[12:13]
	v_cmp_gt_u32_e64 s[8:9], 24, v15
	s_and_saveexec_b64 s[12:13], s[8:9]
	s_cbranch_execz .LBB133_943
.LBB133_1154:
	ds_read_b64 v[24:25], v23 offset:6656
	ds_read_b64 v[26:27], v22 offset:4200
	s_waitcnt lgkmcnt(0)
	v_fma_f64 v[10:11], v[24:25], v[26:27], v[10:11]
	s_or_b64 exec, exec, s[12:13]
	s_and_saveexec_b64 s[8:9], s[2:3]
	s_cbranch_execz .LBB133_944
.LBB133_1155:
	ds_read_b64 v[23:24], v23 offset:7168
	ds_read_b64 v[25:26], v22 offset:4208
	s_waitcnt lgkmcnt(0)
	v_fma_f64 v[10:11], v[23:24], v[25:26], v[10:11]
	s_or_b64 exec, exec, s[8:9]
	v_cmp_gt_u32_e64 s[8:9], 8, v15
	s_and_saveexec_b64 s[12:13], s[8:9]
	s_cbranch_execnz .LBB133_945
	s_branch .LBB133_946
.LBB133_1156:
	ds_read_b64 v[21:22], v20 offset:2560
	ds_read_b64 v[23:24], v19 offset:2088
	s_waitcnt lgkmcnt(0)
	v_fma_f64 v[10:11], v[21:22], v[23:24], v[10:11]
	s_or_b64 exec, exec, s[12:13]
	v_cmp_gt_u32_e64 s[8:9], 8, v15
	s_and_saveexec_b64 s[12:13], s[8:9]
	s_cbranch_execz .LBB133_998
.LBB133_1157:
	ds_read_b64 v[20:21], v20 offset:3072
	ds_read_b64 v[22:23], v19 offset:2096
	s_waitcnt lgkmcnt(0)
	v_fma_f64 v[10:11], v[20:21], v[22:23], v[10:11]
	s_or_b64 exec, exec, s[12:13]
	v_cmp_gt_u32_e64 s[8:9], 4, v15
	s_and_saveexec_b64 s[12:13], s[8:9]
	s_cbranch_execnz .LBB133_999
	s_branch .LBB133_1000
	.section	.rodata,"a",@progbits
	.p2align	6, 0x0
	.amdhsa_kernel _ZL19rocblas_trsv_deviceILi64ELi16ELb0ELb0ELb0ELb1EddPKPKdPKPdEviT7_lllT6_T8_lllPii
		.amdhsa_group_segment_fixed_size 41480
		.amdhsa_private_segment_fixed_size 0
		.amdhsa_kernarg_size 352
		.amdhsa_user_sgpr_count 6
		.amdhsa_user_sgpr_private_segment_buffer 1
		.amdhsa_user_sgpr_dispatch_ptr 0
		.amdhsa_user_sgpr_queue_ptr 0
		.amdhsa_user_sgpr_kernarg_segment_ptr 1
		.amdhsa_user_sgpr_dispatch_id 0
		.amdhsa_user_sgpr_flat_scratch_init 0
		.amdhsa_user_sgpr_private_segment_size 0
		.amdhsa_uses_dynamic_stack 0
		.amdhsa_system_sgpr_private_segment_wavefront_offset 0
		.amdhsa_system_sgpr_workgroup_id_x 1
		.amdhsa_system_sgpr_workgroup_id_y 0
		.amdhsa_system_sgpr_workgroup_id_z 1
		.amdhsa_system_sgpr_workgroup_info 0
		.amdhsa_system_vgpr_workitem_id 1
		.amdhsa_next_free_vgpr 49
		.amdhsa_next_free_sgpr 98
		.amdhsa_reserve_vcc 1
		.amdhsa_reserve_flat_scratch 0
		.amdhsa_float_round_mode_32 0
		.amdhsa_float_round_mode_16_64 0
		.amdhsa_float_denorm_mode_32 3
		.amdhsa_float_denorm_mode_16_64 3
		.amdhsa_dx10_clamp 1
		.amdhsa_ieee_mode 1
		.amdhsa_fp16_overflow 0
		.amdhsa_exception_fp_ieee_invalid_op 0
		.amdhsa_exception_fp_denorm_src 0
		.amdhsa_exception_fp_ieee_div_zero 0
		.amdhsa_exception_fp_ieee_overflow 0
		.amdhsa_exception_fp_ieee_underflow 0
		.amdhsa_exception_fp_ieee_inexact 0
		.amdhsa_exception_int_div_zero 0
	.end_amdhsa_kernel
	.section	.text._ZL19rocblas_trsv_deviceILi64ELi16ELb0ELb0ELb0ELb1EddPKPKdPKPdEviT7_lllT6_T8_lllPii,"axG",@progbits,_ZL19rocblas_trsv_deviceILi64ELi16ELb0ELb0ELb0ELb1EddPKPKdPKPdEviT7_lllT6_T8_lllPii,comdat
.Lfunc_end133:
	.size	_ZL19rocblas_trsv_deviceILi64ELi16ELb0ELb0ELb0ELb1EddPKPKdPKPdEviT7_lllT6_T8_lllPii, .Lfunc_end133-_ZL19rocblas_trsv_deviceILi64ELi16ELb0ELb0ELb0ELb1EddPKPKdPKPdEviT7_lllT6_T8_lllPii
                                        ; -- End function
	.set _ZL19rocblas_trsv_deviceILi64ELi16ELb0ELb0ELb0ELb1EddPKPKdPKPdEviT7_lllT6_T8_lllPii.num_vgpr, 35
	.set _ZL19rocblas_trsv_deviceILi64ELi16ELb0ELb0ELb0ELb1EddPKPKdPKPdEviT7_lllT6_T8_lllPii.num_agpr, 0
	.set _ZL19rocblas_trsv_deviceILi64ELi16ELb0ELb0ELb0ELb1EddPKPKdPKPdEviT7_lllT6_T8_lllPii.numbered_sgpr, 96
	.set _ZL19rocblas_trsv_deviceILi64ELi16ELb0ELb0ELb0ELb1EddPKPKdPKPdEviT7_lllT6_T8_lllPii.num_named_barrier, 0
	.set _ZL19rocblas_trsv_deviceILi64ELi16ELb0ELb0ELb0ELb1EddPKPKdPKPdEviT7_lllT6_T8_lllPii.private_seg_size, 0
	.set _ZL19rocblas_trsv_deviceILi64ELi16ELb0ELb0ELb0ELb1EddPKPKdPKPdEviT7_lllT6_T8_lllPii.uses_vcc, 1
	.set _ZL19rocblas_trsv_deviceILi64ELi16ELb0ELb0ELb0ELb1EddPKPKdPKPdEviT7_lllT6_T8_lllPii.uses_flat_scratch, 0
	.set _ZL19rocblas_trsv_deviceILi64ELi16ELb0ELb0ELb0ELb1EddPKPKdPKPdEviT7_lllT6_T8_lllPii.has_dyn_sized_stack, 0
	.set _ZL19rocblas_trsv_deviceILi64ELi16ELb0ELb0ELb0ELb1EddPKPKdPKPdEviT7_lllT6_T8_lllPii.has_recursion, 0
	.set _ZL19rocblas_trsv_deviceILi64ELi16ELb0ELb0ELb0ELb1EddPKPKdPKPdEviT7_lllT6_T8_lllPii.has_indirect_call, 0
	.section	.AMDGPU.csdata,"",@progbits
; Kernel info:
; codeLenInByte = 31768
; TotalNumSgprs: 100
; NumVgprs: 35
; ScratchSize: 0
; MemoryBound: 0
; FloatMode: 240
; IeeeMode: 1
; LDSByteSize: 41480 bytes/workgroup (compile time only)
; SGPRBlocks: 12
; VGPRBlocks: 12
; NumSGPRsForWavesPerEU: 102
; NumVGPRsForWavesPerEU: 49
; Occupancy: 4
; WaveLimiterHint : 1
; COMPUTE_PGM_RSRC2:SCRATCH_EN: 0
; COMPUTE_PGM_RSRC2:USER_SGPR: 6
; COMPUTE_PGM_RSRC2:TRAP_HANDLER: 0
; COMPUTE_PGM_RSRC2:TGID_X_EN: 1
; COMPUTE_PGM_RSRC2:TGID_Y_EN: 0
; COMPUTE_PGM_RSRC2:TGID_Z_EN: 1
; COMPUTE_PGM_RSRC2:TIDIG_COMP_CNT: 1
	.section	.text._ZL19rocblas_trsv_deviceILi64ELi16ELb0ELb1ELb0ELb1EddPKPKdPKPdEviT7_lllT6_T8_lllPii,"axG",@progbits,_ZL19rocblas_trsv_deviceILi64ELi16ELb0ELb1ELb0ELb1EddPKPKdPKPdEviT7_lllT6_T8_lllPii,comdat
	.globl	_ZL19rocblas_trsv_deviceILi64ELi16ELb0ELb1ELb0ELb1EddPKPKdPKPdEviT7_lllT6_T8_lllPii ; -- Begin function _ZL19rocblas_trsv_deviceILi64ELi16ELb0ELb1ELb0ELb1EddPKPKdPKPdEviT7_lllT6_T8_lllPii
	.p2align	8
	.type	_ZL19rocblas_trsv_deviceILi64ELi16ELb0ELb1ELb0ELb1EddPKPKdPKPdEviT7_lllT6_T8_lllPii,@function
_ZL19rocblas_trsv_deviceILi64ELi16ELb0ELb1ELb0ELb1EddPKPKdPKPdEviT7_lllT6_T8_lllPii: ; @_ZL19rocblas_trsv_deviceILi64ELi16ELb0ELb1ELb0ELb1EddPKPKdPKPdEviT7_lllT6_T8_lllPii
; %bb.0:
	s_load_dwordx4 s[0:3], s[4:5], 0x8
	s_mov_b32 s22, s7
	s_mov_b32 s23, 0
	s_lshl_b64 s[8:9], s[22:23], 3
	s_waitcnt lgkmcnt(0)
	s_add_u32 s0, s0, s8
	s_addc_u32 s1, s1, s9
	s_load_dwordx2 s[10:11], s[0:1], 0x0
	s_load_dword s33, s[4:5], 0x0
	s_load_dwordx8 s[24:31], s[4:5], 0x28
	s_load_dwordx2 s[34:35], s[4:5], 0x18
	s_lshl_b64 s[0:1], s[2:3], 3
	s_waitcnt lgkmcnt(0)
	s_add_u32 s88, s10, s0
	s_addc_u32 s89, s11, s1
	s_add_u32 s0, s26, s8
	s_addc_u32 s1, s27, s9
	s_load_dwordx2 s[36:37], s[0:1], 0x0
	s_load_dword s16, s[4:5], 0x6c
	s_cmp_eq_u32 s6, 0
	s_cbranch_scc1 .LBB134_10
; %bb.1:
	s_lshl_b32 s2, s6, 6
	v_add_u32_e32 v4, s2, v0
	v_ashrrev_i32_e32 v2, 31, v4
	v_mul_lo_u32 v5, s34, v2
	v_mul_lo_u32 v6, s35, v4
	v_mad_u64_u32 v[2:3], s[0:1], s34, v4, 0
	v_add_u32_e32 v7, s2, v1
	v_subrev_u32_e32 v10, 64, v7
	v_add3_u32 v3, v3, v5, v6
	v_lshlrev_b64 v[2:3], 3, v[2:3]
	v_ashrrev_i32_e32 v11, 31, v10
	v_cmp_gt_i32_e32 vcc, s33, v4
	v_mov_b32_e32 v4, s89
	v_add_co_u32_e64 v5, s[0:1], s88, v2
	v_addc_co_u32_e64 v4, s[0:1], v4, v3, s[0:1]
	v_lshlrev_b64 v[2:3], 3, v[10:11]
	s_waitcnt lgkmcnt(0)
	v_add_co_u32_e64 v11, s[0:1], v5, v2
	v_addc_co_u32_e64 v12, s[0:1], v4, v3, s[0:1]
	v_cmp_gt_i32_e64 s[0:1], s33, v10
	v_mov_b32_e32 v2, 0
	v_mov_b32_e32 v4, 0
	;; [unrolled: 1-line block ×4, first 2 shown]
	s_and_b64 s[2:3], s[0:1], vcc
	s_barrier
	s_and_saveexec_b64 s[0:1], s[2:3]
	s_cbranch_execz .LBB134_3
; %bb.2:
	flat_load_dwordx2 v[4:5], v[11:12]
.LBB134_3:
	s_or_b64 exec, exec, s[0:1]
	v_add_u32_e32 v6, 16, v10
	v_cmp_gt_i32_e64 s[0:1], s33, v6
	s_and_b64 s[2:3], s[0:1], vcc
	s_waitcnt vmcnt(0) lgkmcnt(0)
	s_barrier
	s_and_saveexec_b64 s[0:1], s[2:3]
	s_cbranch_execz .LBB134_5
; %bb.4:
	flat_load_dwordx2 v[2:3], v[11:12] offset:128
.LBB134_5:
	s_or_b64 exec, exec, s[0:1]
	v_add_u32_e32 v6, 32, v10
	v_cmp_gt_i32_e64 s[0:1], s33, v6
	v_mov_b32_e32 v6, 0
	v_mov_b32_e32 v8, 0
	;; [unrolled: 1-line block ×4, first 2 shown]
	s_and_b64 s[2:3], s[0:1], vcc
	s_waitcnt vmcnt(0) lgkmcnt(0)
	s_barrier
	s_and_saveexec_b64 s[0:1], s[2:3]
	s_cbranch_execz .LBB134_7
; %bb.6:
	flat_load_dwordx2 v[8:9], v[11:12] offset:256
.LBB134_7:
	s_or_b64 exec, exec, s[0:1]
	v_add_u32_e32 v10, 48, v10
	v_cmp_gt_i32_e64 s[0:1], s33, v10
	s_and_b64 s[2:3], s[0:1], vcc
	s_waitcnt vmcnt(0) lgkmcnt(0)
	s_barrier
	s_and_saveexec_b64 s[0:1], s[2:3]
	s_cbranch_execz .LBB134_9
; %bb.8:
	flat_load_dwordx2 v[6:7], v[11:12] offset:384
.LBB134_9:
	s_or_b64 exec, exec, s[0:1]
	s_branch .LBB134_11
.LBB134_10:
                                        ; implicit-def: $vgpr6_vgpr7
                                        ; implicit-def: $vgpr8_vgpr9
                                        ; implicit-def: $vgpr2_vgpr3
                                        ; implicit-def: $vgpr4_vgpr5
.LBB134_11:
	s_ashr_i32 s0, s33, 31
	s_lshr_b32 s0, s0, 26
	s_add_i32 s0, s33, s0
	s_andn2_b32 s0, s0, 63
	s_sub_i32 s7, s33, s0
	s_add_i32 s0, s33, -1
	s_ashr_i32 s1, s0, 31
	s_lshr_b32 s1, s1, 26
	s_add_i32 s0, s0, s1
	s_ashr_i32 s0, s0, 6
	s_cmp_eq_u32 s0, s6
	s_cselect_b64 s[0:1], -1, 0
	s_cmp_lg_u32 s7, 0
	s_cselect_b64 s[2:3], -1, 0
	s_and_b64 s[26:27], s[2:3], s[0:1]
	s_cmp_lt_i32 s6, 5
	s_cselect_b64 s[2:3], -1, 0
	s_mov_b64 s[12:13], -1
	s_or_b64 s[0:1], s[2:3], s[26:27]
	v_lshlrev_b32_e32 v14, 6, v0
	s_and_b64 vcc, exec, s[26:27]
	v_cmp_le_u32_e64 s[8:9], v1, v0
	v_lshlrev_b32_e32 v18, 3, v0
	s_cbranch_vccnz .LBB134_33
; %bb.12:
	s_add_u32 s10, s34, 1
	s_addc_u32 s11, s35, 0
	s_lshl_b32 s12, s6, 6
	s_ashr_i32 s13, s12, 31
	s_mul_hi_u32 s14, s10, s12
	s_mul_i32 s13, s10, s13
	s_add_i32 s13, s14, s13
	s_mul_i32 s11, s11, s12
	s_add_i32 s11, s13, s11
	s_mul_i32 s10, s10, s12
	s_lshl_b64 s[10:11], s[10:11], 3
	s_add_u32 s10, s88, s10
	s_addc_u32 s11, s89, s11
	v_lshlrev_b32_e32 v10, 3, v0
	v_mov_b32_e32 v11, s11
	v_add_co_u32_e32 v10, vcc, s10, v10
	v_addc_co_u32_e32 v11, vcc, 0, v11, vcc
	s_mov_b64 s[10:11], 0
	s_and_saveexec_b64 s[12:13], s[8:9]
	s_xor_b64 s[8:9], exec, s[12:13]
; %bb.13:
	v_or_b32_e32 v12, v1, v0
	v_cmp_gt_u32_e32 vcc, 64, v12
	s_and_b64 s[10:11], vcc, exec
; %bb.14:
	s_or_saveexec_b64 s[8:9], s[8:9]
	v_mov_b32_e32 v12, 0
	v_mov_b32_e32 v13, 0
	s_xor_b64 exec, exec, s[8:9]
	s_cbranch_execz .LBB134_16
; %bb.15:
	v_mad_u64_u32 v[12:13], s[12:13], s34, v1, 0
	s_or_b64 s[10:11], s[10:11], exec
	v_mad_u64_u32 v[15:16], s[12:13], s35, v1, v[13:14]
	v_mov_b32_e32 v13, v15
	v_lshlrev_b64 v[12:13], 3, v[12:13]
	v_add_co_u32_e32 v12, vcc, v10, v12
	v_addc_co_u32_e32 v13, vcc, v11, v13, vcc
	flat_load_dwordx2 v[12:13], v[12:13]
	s_waitcnt vmcnt(0) lgkmcnt(0)
	v_xor_b32_e32 v13, 0x80000000, v13
.LBB134_16:
	s_or_b64 exec, exec, s[8:9]
	s_and_saveexec_b64 s[8:9], s[10:11]
; %bb.17:
	v_add_u32_e32 v15, v1, v14
	v_lshl_add_u32 v16, v1, 6, v0
	v_cndmask_b32_e64 v15, v16, v15, s[2:3]
	v_lshlrev_b32_e32 v15, 3, v15
	ds_write_b64 v15, v[12:13]
; %bb.18:
	s_or_b64 exec, exec, s[8:9]
	v_add_u32_e32 v15, 16, v1
	v_cmp_le_u32_e32 vcc, v15, v0
	s_mov_b64 s[2:3], 0
	s_and_saveexec_b64 s[8:9], vcc
	s_xor_b64 s[8:9], exec, s[8:9]
; %bb.19:
	v_or_b32_e32 v12, v15, v0
	v_cmp_gt_u32_e32 vcc, 64, v12
	s_and_b64 s[2:3], vcc, exec
; %bb.20:
	s_or_saveexec_b64 s[8:9], s[8:9]
	v_mov_b32_e32 v12, 0
	v_mov_b32_e32 v13, 0
	s_xor_b64 exec, exec, s[8:9]
	s_cbranch_execz .LBB134_22
; %bb.21:
	v_mad_u64_u32 v[12:13], s[10:11], s34, v15, 0
	s_or_b64 s[2:3], s[2:3], exec
	v_mad_u64_u32 v[16:17], s[10:11], s35, v15, v[13:14]
	v_mov_b32_e32 v13, v16
	v_lshlrev_b64 v[12:13], 3, v[12:13]
	v_add_co_u32_e32 v12, vcc, v10, v12
	v_addc_co_u32_e32 v13, vcc, v11, v13, vcc
	flat_load_dwordx2 v[12:13], v[12:13]
	s_waitcnt vmcnt(0) lgkmcnt(0)
	v_xor_b32_e32 v13, 0x80000000, v13
.LBB134_22:
	s_or_b64 exec, exec, s[8:9]
	s_and_saveexec_b64 s[8:9], s[2:3]
; %bb.23:
	v_add_u32_e32 v16, v15, v14
	v_lshl_add_u32 v15, v15, 6, v0
	v_cndmask_b32_e64 v15, v15, v16, s[0:1]
	v_lshlrev_b32_e32 v15, 3, v15
	ds_write_b64 v15, v[12:13]
; %bb.24:
	s_or_b64 exec, exec, s[8:9]
	v_add_u32_e32 v15, 32, v1
	v_cmp_le_u32_e32 vcc, v15, v0
	s_mov_b64 s[2:3], 0
	s_and_saveexec_b64 s[8:9], vcc
	s_xor_b64 s[8:9], exec, s[8:9]
; %bb.25:
	v_or_b32_e32 v12, v15, v0
	v_cmp_gt_u32_e32 vcc, 64, v12
	s_and_b64 s[2:3], vcc, exec
; %bb.26:
	s_or_saveexec_b64 s[8:9], s[8:9]
	v_mov_b32_e32 v12, 0
	v_mov_b32_e32 v13, 0
	s_xor_b64 exec, exec, s[8:9]
	s_cbranch_execz .LBB134_28
; %bb.27:
	v_mad_u64_u32 v[12:13], s[10:11], s34, v15, 0
	s_or_b64 s[2:3], s[2:3], exec
	v_mad_u64_u32 v[16:17], s[10:11], s35, v15, v[13:14]
	v_mov_b32_e32 v13, v16
	v_lshlrev_b64 v[12:13], 3, v[12:13]
	v_add_co_u32_e32 v12, vcc, v10, v12
	v_addc_co_u32_e32 v13, vcc, v11, v13, vcc
	flat_load_dwordx2 v[12:13], v[12:13]
	s_waitcnt vmcnt(0) lgkmcnt(0)
	v_xor_b32_e32 v13, 0x80000000, v13
.LBB134_28:
	s_or_b64 exec, exec, s[8:9]
	s_and_saveexec_b64 s[8:9], s[2:3]
; %bb.29:
	v_add_u32_e32 v16, v15, v14
	v_lshl_add_u32 v15, v15, 6, v0
	v_cndmask_b32_e64 v15, v15, v16, s[0:1]
	v_lshlrev_b32_e32 v15, 3, v15
	ds_write_b64 v15, v[12:13]
; %bb.30:
	s_or_b64 exec, exec, s[8:9]
	v_add_u32_e32 v15, 48, v1
	v_add_u32_e32 v12, v15, v14
	v_lshl_add_u32 v13, v15, 6, v0
	v_cmp_le_u32_e32 vcc, v15, v0
	s_mov_b64 s[2:3], -1
	s_mov_b64 s[12:13], 0
	s_mov_b64 s[10:11], 0
	s_and_saveexec_b64 s[8:9], vcc
	s_xor_b64 s[8:9], exec, s[8:9]
; %bb.31:
	v_or_b32_e32 v16, v15, v0
	v_cmp_gt_u32_e32 vcc, 64, v16
	s_and_b64 s[10:11], vcc, exec
	s_xor_b64 s[2:3], exec, -1
; %bb.32:
	s_or_b64 exec, exec, s[8:9]
	v_cndmask_b32_e64 v16, v13, v12, s[0:1]
	s_and_b64 vcc, exec, s[12:13]
	s_cbranch_vccnz .LBB134_34
	s_branch .LBB134_55
.LBB134_33:
	s_mov_b64 s[2:3], 0
	s_mov_b64 s[10:11], 0
                                        ; implicit-def: $vgpr16
                                        ; implicit-def: $vgpr10_vgpr11
                                        ; implicit-def: $vgpr15
	s_and_b64 vcc, exec, s[12:13]
	s_cbranch_vccz .LBB134_55
.LBB134_34:
	s_add_u32 s2, s34, 1
	s_addc_u32 s3, s35, 0
	s_lshl_b32 s8, s6, 6
	s_ashr_i32 s9, s8, 31
	s_mul_hi_u32 s12, s2, s8
	s_mul_i32 s9, s2, s9
	s_add_i32 s9, s12, s9
	s_mul_i32 s3, s3, s8
	s_add_i32 s3, s9, s3
	s_mul_i32 s2, s2, s8
	s_lshl_b64 s[2:3], s[2:3], 3
	s_add_u32 s2, s88, s2
	s_addc_u32 s3, s89, s3
	v_lshlrev_b32_e32 v10, 3, v0
	v_mov_b32_e32 v11, s3
	v_add_co_u32_e64 v10, s[2:3], s2, v10
	v_addc_co_u32_e64 v11, s[2:3], 0, v11, s[2:3]
	v_max_i32_e32 v12, v1, v0
	v_cmp_le_u32_e64 s[2:3], v1, v0
	v_cmp_le_i32_e64 s[8:9], s7, v12
	v_cmp_gt_i32_e32 vcc, s7, v0
	s_or_b64 s[2:3], s[8:9], s[2:3]
	s_mov_b64 s[8:9], 0
	s_and_saveexec_b64 s[12:13], s[2:3]
	s_xor_b64 s[12:13], exec, s[12:13]
; %bb.35:
	v_or_b32_e32 v12, v1, v0
	v_cmp_gt_u32_e64 s[2:3], 64, v12
	s_and_b64 s[8:9], s[2:3], exec
; %bb.36:
	s_or_saveexec_b64 s[12:13], s[12:13]
	v_mov_b32_e32 v12, 0
	v_mov_b32_e32 v13, 0
	s_xor_b64 exec, exec, s[12:13]
	s_cbranch_execz .LBB134_38
; %bb.37:
	v_mad_u64_u32 v[12:13], s[2:3], s34, v1, 0
	s_or_b64 s[8:9], s[8:9], exec
	v_mad_u64_u32 v[15:16], s[2:3], s35, v1, v[13:14]
	v_mov_b32_e32 v13, v15
	v_lshlrev_b64 v[12:13], 3, v[12:13]
	v_add_co_u32_e64 v12, s[2:3], v10, v12
	v_addc_co_u32_e64 v13, s[2:3], v11, v13, s[2:3]
	flat_load_dwordx2 v[12:13], v[12:13]
	s_waitcnt vmcnt(0) lgkmcnt(0)
	v_xor_b32_e32 v13, 0x80000000, v13
.LBB134_38:
	s_or_b64 exec, exec, s[12:13]
	s_and_saveexec_b64 s[2:3], s[8:9]
; %bb.39:
	v_lshlrev_b32_e32 v15, 3, v14
	v_lshl_add_u32 v15, v1, 3, v15
	ds_write_b64 v15, v[12:13]
; %bb.40:
	s_or_b64 exec, exec, s[2:3]
	v_add_u32_e32 v15, 16, v1
	v_cmp_gt_u32_e64 s[2:3], v15, v0
	v_cmp_gt_i32_e64 s[8:9], s7, v15
	s_and_b64 s[2:3], s[2:3], s[8:9]
	s_and_b64 s[2:3], s[2:3], vcc
	s_xor_b64 s[2:3], s[2:3], -1
	s_mov_b64 s[8:9], 0
	s_and_saveexec_b64 s[12:13], s[2:3]
	s_xor_b64 s[12:13], exec, s[12:13]
; %bb.41:
	v_or_b32_e32 v12, v15, v0
	v_cmp_gt_u32_e64 s[2:3], 64, v12
	s_and_b64 s[8:9], s[2:3], exec
; %bb.42:
	s_or_saveexec_b64 s[12:13], s[12:13]
	v_mov_b32_e32 v12, 0
	v_mov_b32_e32 v13, 0
	s_xor_b64 exec, exec, s[12:13]
	s_cbranch_execz .LBB134_44
; %bb.43:
	v_mad_u64_u32 v[12:13], s[2:3], s34, v15, 0
	s_or_b64 s[8:9], s[8:9], exec
	v_mad_u64_u32 v[16:17], s[2:3], s35, v15, v[13:14]
	v_mov_b32_e32 v13, v16
	v_lshlrev_b64 v[12:13], 3, v[12:13]
	v_add_co_u32_e64 v12, s[2:3], v10, v12
	v_addc_co_u32_e64 v13, s[2:3], v11, v13, s[2:3]
	flat_load_dwordx2 v[12:13], v[12:13]
	s_waitcnt vmcnt(0) lgkmcnt(0)
	v_xor_b32_e32 v13, 0x80000000, v13
.LBB134_44:
	s_or_b64 exec, exec, s[12:13]
	s_and_saveexec_b64 s[2:3], s[8:9]
; %bb.45:
	v_add_u32_e32 v16, v15, v14
	v_lshl_add_u32 v15, v15, 6, v0
	v_cndmask_b32_e64 v15, v15, v16, s[0:1]
	v_lshlrev_b32_e32 v15, 3, v15
	ds_write_b64 v15, v[12:13]
; %bb.46:
	s_or_b64 exec, exec, s[2:3]
	v_add_u32_e32 v15, 32, v1
	v_cmp_gt_u32_e64 s[2:3], v15, v0
	v_cmp_gt_i32_e64 s[8:9], s7, v15
	s_and_b64 s[2:3], s[2:3], s[8:9]
	s_and_b64 s[2:3], s[2:3], vcc
	s_xor_b64 s[2:3], s[2:3], -1
	s_mov_b64 s[8:9], 0
	s_and_saveexec_b64 s[12:13], s[2:3]
	s_xor_b64 s[12:13], exec, s[12:13]
; %bb.47:
	v_or_b32_e32 v12, v15, v0
	v_cmp_gt_u32_e64 s[2:3], 64, v12
	s_and_b64 s[8:9], s[2:3], exec
; %bb.48:
	s_or_saveexec_b64 s[12:13], s[12:13]
	v_mov_b32_e32 v12, 0
	v_mov_b32_e32 v13, 0
	s_xor_b64 exec, exec, s[12:13]
	s_cbranch_execz .LBB134_50
; %bb.49:
	v_mad_u64_u32 v[12:13], s[2:3], s34, v15, 0
	s_or_b64 s[8:9], s[8:9], exec
	v_mad_u64_u32 v[16:17], s[2:3], s35, v15, v[13:14]
	v_mov_b32_e32 v13, v16
	v_lshlrev_b64 v[12:13], 3, v[12:13]
	v_add_co_u32_e64 v12, s[2:3], v10, v12
	v_addc_co_u32_e64 v13, s[2:3], v11, v13, s[2:3]
	flat_load_dwordx2 v[12:13], v[12:13]
	s_waitcnt vmcnt(0) lgkmcnt(0)
	v_xor_b32_e32 v13, 0x80000000, v13
.LBB134_50:
	s_or_b64 exec, exec, s[12:13]
	s_and_saveexec_b64 s[2:3], s[8:9]
; %bb.51:
	v_add_u32_e32 v16, v15, v14
	v_lshl_add_u32 v15, v15, 6, v0
	v_cndmask_b32_e64 v15, v15, v16, s[0:1]
	v_lshlrev_b32_e32 v15, 3, v15
	ds_write_b64 v15, v[12:13]
; %bb.52:
	s_or_b64 exec, exec, s[2:3]
	v_add_u32_e32 v15, 48, v1
	v_cmp_gt_u32_e64 s[2:3], v15, v0
	v_cmp_gt_i32_e64 s[8:9], s7, v15
	s_and_b64 s[2:3], s[2:3], s[8:9]
	s_and_b64 s[8:9], s[2:3], vcc
	v_add_u32_e32 v12, v15, v14
	v_lshl_add_u32 v13, v15, 6, v0
	s_mov_b64 s[2:3], -1
	s_xor_b64 s[12:13], s[8:9], -1
	s_and_saveexec_b64 s[8:9], s[12:13]
; %bb.53:
	v_or_b32_e32 v14, v15, v0
	v_cmp_gt_u32_e32 vcc, 64, v14
	s_andn2_b64 s[2:3], s[10:11], exec
	s_and_b64 s[10:11], vcc, exec
	s_or_b64 s[10:11], s[2:3], s[10:11]
	s_xor_b64 s[2:3], exec, -1
; %bb.54:
	s_or_b64 exec, exec, s[8:9]
	v_cndmask_b32_e64 v16, v13, v12, s[0:1]
.LBB134_55:
	v_mov_b32_e32 v12, 0
	v_mov_b32_e32 v13, 0
	s_and_saveexec_b64 s[8:9], s[2:3]
	s_cbranch_execnz .LBB134_1139
; %bb.56:
	s_or_b64 exec, exec, s[8:9]
	s_xor_b64 s[0:1], s[0:1], -1
	s_and_saveexec_b64 s[2:3], s[10:11]
.LBB134_57:
	v_lshlrev_b32_e32 v10, 3, v16
	ds_write_b64 v10, v[12:13]
.LBB134_58:
	s_or_b64 exec, exec, s[2:3]
	v_cndmask_b32_e64 v10, 0, 1, s[0:1]
	v_cmp_ne_u32_e64 s[46:47], 1, v10
	s_andn2_b64 vcc, exec, s[0:1]
	s_waitcnt vmcnt(0) lgkmcnt(0)
	s_barrier
	s_cbranch_vccnz .LBB134_1096
; %bb.59:
	v_or_b32_e32 v10, v0, v1
	v_cmp_eq_u32_e32 vcc, 0, v10
	s_and_saveexec_b64 s[0:1], vcc
	s_cbranch_execz .LBB134_61
; %bb.60:
	v_mov_b32_e32 v10, 0
	ds_read_b64 v[12:13], v10 offset:32752
	v_mov_b32_e32 v11, 0x3ff00000
	ds_write_b64 v10, v[10:11] offset:32760
	s_waitcnt lgkmcnt(1)
	ds_write_b128 v10, v[10:13] offset:32240
.LBB134_61:
	s_or_b64 exec, exec, s[0:1]
	v_lshlrev_b32_e32 v10, 6, v1
	v_add_u32_e32 v15, v10, v0
	v_and_b32_e32 v11, v10, v0
	v_xor_b32_e32 v10, v10, v0
	v_lshrrev_b16_e32 v10, 1, v10
	v_add_u16_e32 v14, v11, v10
	v_mov_b32_e32 v10, 0
	v_and_b32_e32 v12, 1, v0
	v_sub_u32_e32 v13, 1, v14
	v_cmp_lt_u32_e64 s[8:9], 3, v15
	v_mov_b32_e32 v11, 0
	v_cmp_gt_u32_e64 s[2:3], 4, v15
	s_waitcnt lgkmcnt(0)
	s_barrier
	buffer_wbinvl1_vol
	s_and_saveexec_b64 s[0:1], s[2:3]
	s_cbranch_execz .LBB134_65
; %bb.62:
	v_lshlrev_b32_e32 v16, 9, v13
	v_lshlrev_b32_e32 v10, 3, v12
	ds_read_b64 v[10:11], v10 offset:32224
	ds_read_b64 v[16:17], v16 offset:32240
	v_cmp_gt_u32_e64 s[10:11], 2, v15
	s_waitcnt lgkmcnt(0)
	v_fma_f64 v[10:11], v[10:11], v[16:17], 0
	s_and_saveexec_b64 s[12:13], s[10:11]
	s_cbranch_execz .LBB134_64
; %bb.63:
	v_lshlrev_b32_e32 v16, 3, v0
	v_mov_b32_e32 v19, 0
	ds_read_b64 v[16:17], v16 offset:32736
	ds_read_b64 v[19:20], v19 offset:32760
	s_waitcnt lgkmcnt(0)
	v_fma_f64 v[10:11], v[16:17], v[19:20], v[10:11]
.LBB134_64:
	s_or_b64 exec, exec, s[12:13]
.LBB134_65:
	s_or_b64 exec, exec, s[0:1]
	v_mov_b32_e32 v16, 0x8000
	v_cmp_ne_u32_e64 s[10:11], 0, v12
	s_xor_b64 s[0:1], s[8:9], -1
	v_lshl_add_u32 v14, v14, 3, v16
	s_and_b64 s[40:41], s[10:11], s[0:1]
	s_and_saveexec_b64 s[8:9], s[40:41]
; %bb.66:
	v_xor_b32_e32 v17, 0x80000000, v11
	v_mov_b32_e32 v16, v10
	ds_write_b64 v14, v[16:17]
; %bb.67:
	s_or_b64 exec, exec, s[8:9]
	v_cmp_eq_u32_e64 s[8:9], 0, v12
	s_and_b64 s[38:39], s[8:9], s[0:1]
	s_waitcnt lgkmcnt(0)
	s_barrier
	s_and_saveexec_b64 s[0:1], s[38:39]
	s_cbranch_execz .LBB134_69
; %bb.68:
	v_mov_b32_e32 v16, 0
	ds_read_b64 v[16:17], v16 offset:31712
	ds_read_b64 v[19:20], v14
	s_waitcnt lgkmcnt(0)
	v_fma_f64 v[10:11], -v[16:17], v[19:20], v[10:11]
.LBB134_69:
	s_or_b64 exec, exec, s[0:1]
	s_barrier
	s_and_saveexec_b64 s[0:1], s[38:39]
; %bb.70:
	v_xor_b32_e32 v17, 0x80000000, v11
	v_mov_b32_e32 v16, v10
	ds_write_b64 v14, v[16:17]
; %bb.71:
	s_or_b64 exec, exec, s[0:1]
	s_waitcnt lgkmcnt(0)
	s_barrier
	s_barrier
	s_and_saveexec_b64 s[0:1], s[2:3]
; %bb.72:
	v_lshlrev_b32_e32 v16, 3, v12
	v_lshl_or_b32 v16, v13, 9, v16
	ds_write_b64 v16, v[10:11] offset:32224
; %bb.73:
	s_or_b64 exec, exec, s[0:1]
	v_cmp_eq_u32_e64 s[12:13], 0, v1
	v_cmp_gt_u32_e64 s[8:9], 2, v0
	s_and_b64 s[42:43], s[12:13], s[8:9]
	s_waitcnt lgkmcnt(0)
	s_barrier
	s_barrier
	s_and_saveexec_b64 s[0:1], s[42:43]
	s_cbranch_execz .LBB134_75
; %bb.74:
	v_lshlrev_b32_e32 v16, 3, v0
	s_movk_i32 s8, 0x1f8
	v_mad_u32_u24 v17, v0, s8, v16
	ds_read_b64 v[10:11], v17 offset:32224
	s_waitcnt lgkmcnt(0)
	ds_write_b64 v16, v[10:11] offset:31216
	ds_read_b64 v[10:11], v17 offset:32232
	s_waitcnt lgkmcnt(0)
	ds_write_b64 v16, v[10:11] offset:31728
.LBB134_75:
	s_or_b64 exec, exec, s[0:1]
	s_waitcnt lgkmcnt(0)
	s_barrier
	s_and_saveexec_b64 s[0:1], vcc
	s_cbranch_execz .LBB134_77
; %bb.76:
	v_mov_b32_e32 v19, 0
	ds_read_b64 v[21:22], v19 offset:31712
	v_mov_b32_e32 v20, 0x3ff00000
	ds_write_b64 v19, v[19:20] offset:31720
	s_waitcnt lgkmcnt(1)
	ds_write_b128 v19, v[19:22] offset:31200
.LBB134_77:
	s_or_b64 exec, exec, s[0:1]
	v_lshrrev_b32_e32 v19, 2, v15
	v_mov_b32_e32 v10, 0
	v_and_b32_e32 v16, 3, v0
	v_sub_u32_e32 v17, 3, v19
	v_cmp_lt_u32_e64 s[8:9], 15, v15
	v_mov_b32_e32 v11, 0
	v_cmp_gt_u32_e64 s[18:19], 16, v15
	s_waitcnt lgkmcnt(0)
	s_barrier
	buffer_wbinvl1_vol
	s_and_saveexec_b64 s[0:1], s[18:19]
	s_cbranch_execz .LBB134_83
; %bb.78:
	v_lshlrev_b32_e32 v21, 3, v16
	v_lshlrev_b32_e32 v20, 9, v17
	ds_read_b64 v[10:11], v21 offset:31168
	ds_read_b64 v[22:23], v20 offset:31200
	v_cmp_gt_u32_e64 s[10:11], 12, v15
	s_waitcnt lgkmcnt(0)
	v_fma_f64 v[10:11], v[10:11], v[22:23], 0
	s_and_saveexec_b64 s[14:15], s[10:11]
	s_cbranch_execnz .LBB134_1172
; %bb.79:
	s_or_b64 exec, exec, s[14:15]
	v_cmp_gt_u32_e64 s[10:11], 8, v15
	s_and_saveexec_b64 s[14:15], s[10:11]
	s_cbranch_execnz .LBB134_1173
.LBB134_80:
	s_or_b64 exec, exec, s[14:15]
	v_cmp_gt_u32_e64 s[10:11], 4, v15
	s_and_saveexec_b64 s[14:15], s[10:11]
	s_cbranch_execz .LBB134_82
.LBB134_81:
	v_lshlrev_b32_e32 v20, 3, v0
	v_mov_b32_e32 v22, 0
	ds_read_b64 v[20:21], v20 offset:32704
	ds_read_b64 v[22:23], v22 offset:32760
	s_waitcnt lgkmcnt(0)
	v_fma_f64 v[10:11], v[20:21], v[22:23], v[10:11]
.LBB134_82:
	s_or_b64 exec, exec, s[14:15]
.LBB134_83:
                                        ; implicit-def: $vgpr35 : SGPR spill to VGPR lane
	v_writelane_b32 v35, s46, 0
	v_writelane_b32 v35, s47, 1
	s_or_b64 exec, exec, s[0:1]
	v_mov_b32_e32 v20, 0x8000
	v_cmp_eq_u32_e64 s[10:11], 3, v16
	s_xor_b64 s[0:1], s[8:9], -1
	v_lshl_add_u32 v19, v19, 3, v20
	s_and_b64 s[46:47], s[10:11], s[0:1]
	s_and_saveexec_b64 s[8:9], s[46:47]
; %bb.84:
	v_xor_b32_e32 v21, 0x80000000, v11
	v_mov_b32_e32 v20, v10
	ds_write_b64 v19, v[20:21]
; %bb.85:
	s_or_b64 exec, exec, s[8:9]
	v_cmp_ne_u32_e64 s[8:9], 3, v16
	s_and_b64 s[48:49], s[8:9], s[0:1]
	s_waitcnt lgkmcnt(0)
	s_barrier
	s_and_saveexec_b64 s[8:9], s[48:49]
	s_cbranch_execz .LBB134_87
; %bb.86:
	v_lshlrev_b32_e32 v20, 3, v16
	ds_read_b64 v[20:21], v20 offset:30656
	ds_read_b64 v[22:23], v19
	s_waitcnt lgkmcnt(0)
	v_fma_f64 v[10:11], -v[20:21], v[22:23], v[10:11]
.LBB134_87:
	s_or_b64 exec, exec, s[8:9]
	v_cmp_eq_u32_e64 s[8:9], 2, v16
	s_and_b64 s[50:51], s[8:9], s[0:1]
	s_barrier
	s_and_saveexec_b64 s[8:9], s[50:51]
; %bb.88:
	v_xor_b32_e32 v21, 0x80000000, v11
	v_mov_b32_e32 v20, v10
	ds_write_b64 v19, v[20:21]
; %bb.89:
	s_or_b64 exec, exec, s[8:9]
	v_cmp_gt_u32_e64 s[8:9], 2, v16
	s_and_b64 s[52:53], s[8:9], s[0:1]
	s_waitcnt lgkmcnt(0)
	s_barrier
	s_and_saveexec_b64 s[8:9], s[52:53]
	s_cbranch_execz .LBB134_91
; %bb.90:
	v_lshlrev_b32_e32 v20, 3, v16
	ds_read_b64 v[20:21], v20 offset:30144
	ds_read_b64 v[22:23], v19
	s_waitcnt lgkmcnt(0)
	v_fma_f64 v[10:11], -v[20:21], v[22:23], v[10:11]
.LBB134_91:
	s_or_b64 exec, exec, s[8:9]
	v_cmp_eq_u32_e64 s[8:9], 1, v16
	s_and_b64 s[54:55], s[8:9], s[0:1]
	s_barrier
	s_and_saveexec_b64 s[8:9], s[54:55]
; %bb.92:
	v_xor_b32_e32 v21, 0x80000000, v11
	v_mov_b32_e32 v20, v10
	ds_write_b64 v19, v[20:21]
; %bb.93:
	s_or_b64 exec, exec, s[8:9]
	v_cmp_eq_u32_e64 s[8:9], 0, v16
	s_and_b64 s[44:45], s[8:9], s[0:1]
	s_waitcnt lgkmcnt(0)
	s_barrier
	s_and_saveexec_b64 s[0:1], s[44:45]
	s_cbranch_execz .LBB134_95
; %bb.94:
	v_mov_b32_e32 v20, 0
	ds_read_b64 v[20:21], v20 offset:29632
	ds_read_b64 v[22:23], v19
	s_waitcnt lgkmcnt(0)
	v_fma_f64 v[10:11], -v[20:21], v[22:23], v[10:11]
.LBB134_95:
	s_or_b64 exec, exec, s[0:1]
	s_barrier
	s_and_saveexec_b64 s[0:1], s[44:45]
; %bb.96:
	v_xor_b32_e32 v21, 0x80000000, v11
	v_mov_b32_e32 v20, v10
	ds_write_b64 v19, v[20:21]
; %bb.97:
	s_or_b64 exec, exec, s[0:1]
	s_waitcnt lgkmcnt(0)
	s_barrier
	s_barrier
	s_and_saveexec_b64 s[0:1], s[18:19]
; %bb.98:
	v_lshlrev_b32_e32 v20, 3, v16
	v_lshl_or_b32 v20, v17, 9, v20
	ds_write_b64 v20, v[10:11] offset:31168
; %bb.99:
	s_or_b64 exec, exec, s[0:1]
	v_cmp_gt_u32_e64 s[8:9], 4, v0
	s_and_b64 s[56:57], s[12:13], s[8:9]
	s_waitcnt lgkmcnt(0)
	s_barrier
	s_barrier
	s_and_saveexec_b64 s[0:1], s[56:57]
	s_cbranch_execz .LBB134_101
; %bb.100:
	v_lshlrev_b32_e32 v20, 9, v0
	ds_read_b64 v[10:11], v20 offset:31168
	s_movk_i32 s8, 0xfe08
	v_mad_i32_i24 v21, v0, s8, v20
	s_waitcnt lgkmcnt(0)
	ds_write_b64 v21, v[10:11] offset:29152
	ds_read_b64 v[10:11], v20 offset:31176
	s_waitcnt lgkmcnt(0)
	ds_write_b64 v21, v[10:11] offset:29664
	ds_read_b64 v[10:11], v20 offset:31184
	;; [unrolled: 3-line block ×3, first 2 shown]
	s_waitcnt lgkmcnt(0)
	ds_write_b64 v21, v[10:11] offset:30688
.LBB134_101:
	s_or_b64 exec, exec, s[0:1]
	s_waitcnt lgkmcnt(0)
	s_barrier
	s_and_saveexec_b64 s[0:1], vcc
	s_cbranch_execz .LBB134_103
; %bb.102:
	v_mov_b32_e32 v20, 0
	ds_read_b64 v[22:23], v20 offset:30672
	v_mov_b32_e32 v21, 0x3ff00000
	ds_write_b64 v20, v[20:21] offset:30680
	s_waitcnt lgkmcnt(1)
	ds_write_b128 v20, v[20:23] offset:30160
.LBB134_103:
	s_or_b64 exec, exec, s[0:1]
	v_mov_b32_e32 v10, 0
	v_mov_b32_e32 v11, 0
	s_waitcnt lgkmcnt(0)
	s_barrier
	buffer_wbinvl1_vol
	s_and_saveexec_b64 s[0:1], s[2:3]
	s_cbranch_execz .LBB134_107
; %bb.104:
	v_lshlrev_b32_e32 v20, 9, v13
	v_lshlrev_b32_e32 v10, 3, v12
	ds_read_b64 v[10:11], v10 offset:30144
	ds_read_b64 v[20:21], v20 offset:30160
	v_cmp_gt_u32_e64 s[8:9], 2, v15
	s_waitcnt lgkmcnt(0)
	v_fma_f64 v[10:11], v[10:11], v[20:21], 0
	s_and_saveexec_b64 s[10:11], s[8:9]
	s_cbranch_execz .LBB134_106
; %bb.105:
	v_lshlrev_b32_e32 v20, 3, v0
	v_mov_b32_e32 v22, 0
	ds_read_b64 v[20:21], v20 offset:30656
	ds_read_b64 v[22:23], v22 offset:30680
	s_waitcnt lgkmcnt(0)
	v_fma_f64 v[10:11], v[20:21], v[22:23], v[10:11]
.LBB134_106:
	s_or_b64 exec, exec, s[10:11]
.LBB134_107:
	s_or_b64 exec, exec, s[0:1]
	s_and_saveexec_b64 s[0:1], s[40:41]
; %bb.108:
	v_xor_b32_e32 v21, 0x80000000, v11
	v_mov_b32_e32 v20, v10
	ds_write_b64 v14, v[20:21]
; %bb.109:
	s_or_b64 exec, exec, s[0:1]
	s_waitcnt lgkmcnt(0)
	s_barrier
	s_and_saveexec_b64 s[0:1], s[38:39]
	s_cbranch_execz .LBB134_111
; %bb.110:
	v_mov_b32_e32 v20, 0
	ds_read_b64 v[20:21], v20 offset:29632
	ds_read_b64 v[22:23], v14
	s_waitcnt lgkmcnt(0)
	v_fma_f64 v[10:11], -v[20:21], v[22:23], v[10:11]
.LBB134_111:
	s_or_b64 exec, exec, s[0:1]
	s_barrier
	s_and_saveexec_b64 s[0:1], s[38:39]
; %bb.112:
	v_xor_b32_e32 v21, 0x80000000, v11
	v_mov_b32_e32 v20, v10
	ds_write_b64 v14, v[20:21]
; %bb.113:
	s_or_b64 exec, exec, s[0:1]
	s_waitcnt lgkmcnt(0)
	s_barrier
	s_barrier
	s_and_saveexec_b64 s[0:1], s[2:3]
; %bb.114:
	v_lshlrev_b32_e32 v20, 3, v12
	v_lshl_or_b32 v20, v13, 9, v20
	ds_write_b64 v20, v[10:11] offset:30144
; %bb.115:
	s_or_b64 exec, exec, s[0:1]
	s_waitcnt lgkmcnt(0)
	s_barrier
	s_barrier
	s_and_saveexec_b64 s[0:1], s[42:43]
	s_cbranch_execz .LBB134_117
; %bb.116:
	v_lshlrev_b32_e32 v20, 3, v0
	s_movk_i32 s8, 0x1f8
	v_mad_u32_u24 v21, v0, s8, v20
	ds_read_b64 v[10:11], v21 offset:30144
	s_waitcnt lgkmcnt(0)
	ds_write_b64 v20, v[10:11] offset:29136
	ds_read_b64 v[10:11], v21 offset:30152
	s_waitcnt lgkmcnt(0)
	ds_write_b64 v20, v[10:11] offset:29648
.LBB134_117:
	s_or_b64 exec, exec, s[0:1]
	s_waitcnt lgkmcnt(0)
	s_barrier
	s_and_saveexec_b64 s[0:1], vcc
	s_cbranch_execz .LBB134_119
; %bb.118:
	v_mov_b32_e32 v20, 0
	ds_read_b64 v[22:23], v20 offset:29632
	v_mov_b32_e32 v21, 0x3ff00000
	ds_write_b64 v20, v[20:21] offset:29640
	s_waitcnt lgkmcnt(1)
	ds_write_b128 v20, v[20:23] offset:29120
.LBB134_119:
	s_or_b64 exec, exec, s[0:1]
	v_lshrrev_b32_e32 v22, 3, v15
	v_mov_b32_e32 v10, 0
	v_and_b32_e32 v20, 7, v0
	v_sub_u32_e32 v21, 7, v22
	v_cmp_lt_u32_e64 s[10:11], 63, v15
	v_mov_b32_e32 v11, 0
	v_cmp_gt_u32_e64 s[8:9], 64, v15
	s_waitcnt lgkmcnt(0)
	s_barrier
	buffer_wbinvl1_vol
	s_and_saveexec_b64 s[0:1], s[8:9]
	s_cbranch_execz .LBB134_129
; %bb.120:
	v_lshlrev_b32_e32 v24, 3, v20
	v_lshlrev_b32_e32 v23, 9, v21
	ds_read_b64 v[10:11], v24 offset:29056
	ds_read_b64 v[25:26], v23 offset:29120
	v_cmp_gt_u32_e64 s[14:15], 56, v15
	s_waitcnt lgkmcnt(0)
	v_fma_f64 v[10:11], v[10:11], v[25:26], 0
	s_and_saveexec_b64 s[16:17], s[14:15]
	s_cbranch_execnz .LBB134_1174
; %bb.121:
	s_or_b64 exec, exec, s[16:17]
	v_cmp_gt_u32_e64 s[14:15], 48, v15
	s_and_saveexec_b64 s[16:17], s[14:15]
	s_cbranch_execnz .LBB134_1175
.LBB134_122:
	s_or_b64 exec, exec, s[16:17]
	v_cmp_gt_u32_e64 s[14:15], 40, v15
	s_and_saveexec_b64 s[16:17], s[14:15]
	s_cbranch_execnz .LBB134_1176
.LBB134_123:
	s_or_b64 exec, exec, s[16:17]
	v_cmp_gt_u32_e64 s[14:15], 32, v15
	s_and_saveexec_b64 s[16:17], s[14:15]
	s_cbranch_execnz .LBB134_1177
.LBB134_124:
	s_or_b64 exec, exec, s[16:17]
	v_cmp_gt_u32_e64 s[14:15], 24, v15
	s_and_saveexec_b64 s[16:17], s[14:15]
	s_cbranch_execnz .LBB134_1178
.LBB134_125:
	s_or_b64 exec, exec, s[16:17]
	s_and_saveexec_b64 s[14:15], s[18:19]
	s_cbranch_execnz .LBB134_1179
.LBB134_126:
	s_or_b64 exec, exec, s[14:15]
	v_cmp_gt_u32_e64 s[14:15], 8, v15
	s_and_saveexec_b64 s[16:17], s[14:15]
	s_cbranch_execz .LBB134_128
.LBB134_127:
	v_lshlrev_b32_e32 v23, 3, v0
	v_mov_b32_e32 v25, 0
	ds_read_b64 v[23:24], v23 offset:32640
	ds_read_b64 v[25:26], v25 offset:32760
	s_waitcnt lgkmcnt(0)
	v_fma_f64 v[10:11], v[23:24], v[25:26], v[10:11]
.LBB134_128:
	s_or_b64 exec, exec, s[16:17]
.LBB134_129:
	s_or_b64 exec, exec, s[0:1]
	v_mov_b32_e32 v23, 0x8000
	v_cmp_eq_u32_e64 s[14:15], 7, v20
	s_xor_b64 s[0:1], s[10:11], -1
	v_lshl_add_u32 v22, v22, 3, v23
	s_and_b64 s[58:59], s[14:15], s[0:1]
	s_and_saveexec_b64 s[10:11], s[58:59]
; %bb.130:
	v_xor_b32_e32 v24, 0x80000000, v11
	v_mov_b32_e32 v23, v10
	ds_write_b64 v22, v[23:24]
; %bb.131:
	s_or_b64 exec, exec, s[10:11]
	v_cmp_ne_u32_e64 s[10:11], 7, v20
	s_and_b64 s[60:61], s[10:11], s[0:1]
	s_waitcnt lgkmcnt(0)
	s_barrier
	s_and_saveexec_b64 s[10:11], s[60:61]
	s_cbranch_execz .LBB134_133
; %bb.132:
	v_lshlrev_b32_e32 v23, 3, v20
	ds_read_b64 v[23:24], v23 offset:28544
	ds_read_b64 v[25:26], v22
	s_waitcnt lgkmcnt(0)
	v_fma_f64 v[10:11], -v[23:24], v[25:26], v[10:11]
.LBB134_133:
	s_or_b64 exec, exec, s[10:11]
	v_cmp_eq_u32_e64 s[10:11], 6, v20
	s_and_b64 s[62:63], s[10:11], s[0:1]
	s_barrier
	s_and_saveexec_b64 s[10:11], s[62:63]
; %bb.134:
	v_xor_b32_e32 v24, 0x80000000, v11
	v_mov_b32_e32 v23, v10
	ds_write_b64 v22, v[23:24]
; %bb.135:
	s_or_b64 exec, exec, s[10:11]
	v_cmp_gt_u32_e64 s[10:11], 6, v20
	s_and_b64 s[64:65], s[10:11], s[0:1]
	s_waitcnt lgkmcnt(0)
	s_barrier
	s_and_saveexec_b64 s[10:11], s[64:65]
	s_cbranch_execz .LBB134_137
; %bb.136:
	v_lshlrev_b32_e32 v23, 3, v20
	ds_read_b64 v[23:24], v23 offset:28032
	ds_read_b64 v[25:26], v22
	s_waitcnt lgkmcnt(0)
	v_fma_f64 v[10:11], -v[23:24], v[25:26], v[10:11]
.LBB134_137:
	s_or_b64 exec, exec, s[10:11]
	v_cmp_eq_u32_e64 s[10:11], 5, v20
	s_and_b64 s[66:67], s[10:11], s[0:1]
	s_barrier
	s_and_saveexec_b64 s[10:11], s[66:67]
; %bb.138:
	v_xor_b32_e32 v24, 0x80000000, v11
	v_mov_b32_e32 v23, v10
	ds_write_b64 v22, v[23:24]
; %bb.139:
	s_or_b64 exec, exec, s[10:11]
	v_cmp_gt_u32_e64 s[10:11], 5, v20
	;; [unrolled: 24-line block ×5, first 2 shown]
	s_and_b64 s[82:83], s[10:11], s[0:1]
	s_waitcnt lgkmcnt(0)
	s_barrier
	s_and_saveexec_b64 s[10:11], s[82:83]
	s_cbranch_execz .LBB134_153
; %bb.152:
	v_lshlrev_b32_e32 v23, 3, v20
	ds_read_b64 v[23:24], v23 offset:25984
	ds_read_b64 v[25:26], v22
	s_waitcnt lgkmcnt(0)
	v_fma_f64 v[10:11], -v[23:24], v[25:26], v[10:11]
.LBB134_153:
	s_or_b64 exec, exec, s[10:11]
	v_cmp_eq_u32_e64 s[10:11], 1, v20
	s_and_b64 s[84:85], s[10:11], s[0:1]
	s_barrier
	s_and_saveexec_b64 s[10:11], s[84:85]
; %bb.154:
	v_xor_b32_e32 v24, 0x80000000, v11
	v_mov_b32_e32 v23, v10
	ds_write_b64 v22, v[23:24]
; %bb.155:
	s_or_b64 exec, exec, s[10:11]
	v_cmp_eq_u32_e64 s[10:11], 0, v20
	s_and_b64 s[68:69], s[10:11], s[0:1]
	s_waitcnt lgkmcnt(0)
	s_barrier
	s_and_saveexec_b64 s[0:1], s[68:69]
	s_cbranch_execz .LBB134_157
; %bb.156:
	v_mov_b32_e32 v23, 0
	ds_read_b64 v[23:24], v23 offset:25472
	ds_read_b64 v[25:26], v22
	s_waitcnt lgkmcnt(0)
	v_fma_f64 v[10:11], -v[23:24], v[25:26], v[10:11]
.LBB134_157:
	s_or_b64 exec, exec, s[0:1]
	s_barrier
	s_and_saveexec_b64 s[0:1], s[68:69]
; %bb.158:
	v_xor_b32_e32 v24, 0x80000000, v11
	v_mov_b32_e32 v23, v10
	ds_write_b64 v22, v[23:24]
; %bb.159:
	s_or_b64 exec, exec, s[0:1]
	s_waitcnt lgkmcnt(0)
	s_barrier
	s_barrier
	s_and_saveexec_b64 s[0:1], s[8:9]
; %bb.160:
	v_lshlrev_b32_e32 v23, 3, v20
	v_lshl_or_b32 v23, v21, 9, v23
	ds_write_b64 v23, v[10:11] offset:29056
; %bb.161:
	s_or_b64 exec, exec, s[0:1]
	v_cmp_gt_u32_e64 s[10:11], 8, v0
	s_and_b64 s[86:87], s[12:13], s[10:11]
	s_waitcnt lgkmcnt(0)
	s_barrier
	s_barrier
	s_and_saveexec_b64 s[0:1], s[86:87]
	s_cbranch_execz .LBB134_163
; %bb.162:
	v_lshlrev_b32_e32 v23, 9, v0
	ds_read_b64 v[10:11], v23 offset:29056
	s_movk_i32 s10, 0xfe08
	v_mad_i32_i24 v24, v0, s10, v23
	s_waitcnt lgkmcnt(0)
	ds_write_b64 v24, v[10:11] offset:25024
	ds_read_b64 v[10:11], v23 offset:29064
	s_waitcnt lgkmcnt(0)
	ds_write_b64 v24, v[10:11] offset:25536
	ds_read_b64 v[10:11], v23 offset:29072
	;; [unrolled: 3-line block ×7, first 2 shown]
	s_waitcnt lgkmcnt(0)
	ds_write_b64 v24, v[10:11] offset:28608
.LBB134_163:
	s_or_b64 exec, exec, s[0:1]
	s_waitcnt lgkmcnt(0)
	s_barrier
	s_and_saveexec_b64 s[0:1], vcc
	s_cbranch_execz .LBB134_165
; %bb.164:
	v_mov_b32_e32 v23, 0
	ds_read_b64 v[25:26], v23 offset:28592
	v_mov_b32_e32 v24, 0x3ff00000
	ds_write_b64 v23, v[23:24] offset:28600
	s_waitcnt lgkmcnt(1)
	ds_write_b128 v23, v[23:26] offset:28080
.LBB134_165:
	s_or_b64 exec, exec, s[0:1]
	v_mov_b32_e32 v10, 0
	v_mov_b32_e32 v11, 0
	s_waitcnt lgkmcnt(0)
	s_barrier
	buffer_wbinvl1_vol
	s_and_saveexec_b64 s[0:1], s[2:3]
	s_cbranch_execz .LBB134_169
; %bb.166:
	v_lshlrev_b32_e32 v23, 9, v13
	v_lshlrev_b32_e32 v10, 3, v12
	ds_read_b64 v[10:11], v10 offset:28064
	ds_read_b64 v[23:24], v23 offset:28080
	v_cmp_gt_u32_e64 s[10:11], 2, v15
	s_waitcnt lgkmcnt(0)
	v_fma_f64 v[10:11], v[10:11], v[23:24], 0
	s_and_saveexec_b64 s[14:15], s[10:11]
	s_cbranch_execz .LBB134_168
; %bb.167:
	v_lshlrev_b32_e32 v23, 3, v0
	v_mov_b32_e32 v25, 0
	ds_read_b64 v[23:24], v23 offset:28576
	ds_read_b64 v[25:26], v25 offset:28600
	s_waitcnt lgkmcnt(0)
	v_fma_f64 v[10:11], v[23:24], v[25:26], v[10:11]
.LBB134_168:
	s_or_b64 exec, exec, s[14:15]
.LBB134_169:
	s_or_b64 exec, exec, s[0:1]
	s_and_saveexec_b64 s[0:1], s[40:41]
; %bb.170:
	v_xor_b32_e32 v24, 0x80000000, v11
	v_mov_b32_e32 v23, v10
	ds_write_b64 v14, v[23:24]
; %bb.171:
	s_or_b64 exec, exec, s[0:1]
	s_waitcnt lgkmcnt(0)
	s_barrier
	s_and_saveexec_b64 s[0:1], s[38:39]
	s_cbranch_execz .LBB134_173
; %bb.172:
	v_mov_b32_e32 v23, 0
	ds_read_b64 v[23:24], v23 offset:27552
	ds_read_b64 v[25:26], v14
	s_waitcnt lgkmcnt(0)
	v_fma_f64 v[10:11], -v[23:24], v[25:26], v[10:11]
.LBB134_173:
	s_or_b64 exec, exec, s[0:1]
	s_barrier
	s_and_saveexec_b64 s[0:1], s[38:39]
; %bb.174:
	v_xor_b32_e32 v24, 0x80000000, v11
	v_mov_b32_e32 v23, v10
	ds_write_b64 v14, v[23:24]
; %bb.175:
	s_or_b64 exec, exec, s[0:1]
	s_waitcnt lgkmcnt(0)
	s_barrier
	s_barrier
	s_and_saveexec_b64 s[0:1], s[2:3]
; %bb.176:
	v_lshlrev_b32_e32 v23, 3, v12
	v_lshl_or_b32 v23, v13, 9, v23
	ds_write_b64 v23, v[10:11] offset:28064
; %bb.177:
	s_or_b64 exec, exec, s[0:1]
	s_waitcnt lgkmcnt(0)
	s_barrier
	s_barrier
	s_and_saveexec_b64 s[0:1], s[42:43]
	s_cbranch_execz .LBB134_179
; %bb.178:
	v_lshlrev_b32_e32 v23, 3, v0
	s_movk_i32 s10, 0x1f8
	v_mad_u32_u24 v24, v0, s10, v23
	ds_read_b64 v[10:11], v24 offset:28064
	s_waitcnt lgkmcnt(0)
	ds_write_b64 v23, v[10:11] offset:27056
	ds_read_b64 v[10:11], v24 offset:28072
	s_waitcnt lgkmcnt(0)
	ds_write_b64 v23, v[10:11] offset:27568
.LBB134_179:
	s_or_b64 exec, exec, s[0:1]
	s_waitcnt lgkmcnt(0)
	s_barrier
	s_and_saveexec_b64 s[0:1], vcc
	s_cbranch_execz .LBB134_181
; %bb.180:
	v_mov_b32_e32 v23, 0
	ds_read_b64 v[25:26], v23 offset:27552
	v_mov_b32_e32 v24, 0x3ff00000
	ds_write_b64 v23, v[23:24] offset:27560
	s_waitcnt lgkmcnt(1)
	ds_write_b128 v23, v[23:26] offset:27040
.LBB134_181:
	s_or_b64 exec, exec, s[0:1]
	v_mov_b32_e32 v10, 0
	v_mov_b32_e32 v11, 0
	s_waitcnt lgkmcnt(0)
	s_barrier
	buffer_wbinvl1_vol
	s_and_saveexec_b64 s[0:1], s[18:19]
	s_cbranch_execz .LBB134_187
; %bb.182:
	v_lshlrev_b32_e32 v24, 3, v16
	v_lshlrev_b32_e32 v23, 9, v17
	ds_read_b64 v[10:11], v24 offset:27008
	ds_read_b64 v[25:26], v23 offset:27040
	v_cmp_gt_u32_e64 s[10:11], 12, v15
	s_waitcnt lgkmcnt(0)
	v_fma_f64 v[10:11], v[10:11], v[25:26], 0
	s_and_saveexec_b64 s[14:15], s[10:11]
	s_cbranch_execnz .LBB134_1180
; %bb.183:
	s_or_b64 exec, exec, s[14:15]
	v_cmp_gt_u32_e64 s[10:11], 8, v15
	s_and_saveexec_b64 s[14:15], s[10:11]
	s_cbranch_execnz .LBB134_1181
.LBB134_184:
	s_or_b64 exec, exec, s[14:15]
	v_cmp_gt_u32_e64 s[10:11], 4, v15
	s_and_saveexec_b64 s[14:15], s[10:11]
	s_cbranch_execz .LBB134_186
.LBB134_185:
	v_lshlrev_b32_e32 v23, 3, v0
	v_mov_b32_e32 v25, 0
	ds_read_b64 v[23:24], v23 offset:28544
	ds_read_b64 v[25:26], v25 offset:28600
	s_waitcnt lgkmcnt(0)
	v_fma_f64 v[10:11], v[23:24], v[25:26], v[10:11]
.LBB134_186:
	s_or_b64 exec, exec, s[14:15]
.LBB134_187:
	s_or_b64 exec, exec, s[0:1]
	s_and_saveexec_b64 s[0:1], s[46:47]
; %bb.188:
	v_xor_b32_e32 v24, 0x80000000, v11
	v_mov_b32_e32 v23, v10
	ds_write_b64 v19, v[23:24]
; %bb.189:
	s_or_b64 exec, exec, s[0:1]
	s_waitcnt lgkmcnt(0)
	s_barrier
	s_and_saveexec_b64 s[0:1], s[48:49]
	s_cbranch_execz .LBB134_191
; %bb.190:
	v_lshlrev_b32_e32 v23, 3, v16
	ds_read_b64 v[23:24], v23 offset:26496
	ds_read_b64 v[25:26], v19
	s_waitcnt lgkmcnt(0)
	v_fma_f64 v[10:11], -v[23:24], v[25:26], v[10:11]
.LBB134_191:
	s_or_b64 exec, exec, s[0:1]
	s_barrier
	s_and_saveexec_b64 s[0:1], s[50:51]
; %bb.192:
	v_xor_b32_e32 v24, 0x80000000, v11
	v_mov_b32_e32 v23, v10
	ds_write_b64 v19, v[23:24]
; %bb.193:
	s_or_b64 exec, exec, s[0:1]
	s_waitcnt lgkmcnt(0)
	s_barrier
	s_and_saveexec_b64 s[0:1], s[52:53]
	s_cbranch_execz .LBB134_195
; %bb.194:
	v_lshlrev_b32_e32 v23, 3, v16
	ds_read_b64 v[23:24], v23 offset:25984
	ds_read_b64 v[25:26], v19
	s_waitcnt lgkmcnt(0)
	v_fma_f64 v[10:11], -v[23:24], v[25:26], v[10:11]
.LBB134_195:
	s_or_b64 exec, exec, s[0:1]
	s_barrier
	s_and_saveexec_b64 s[0:1], s[54:55]
; %bb.196:
	v_xor_b32_e32 v24, 0x80000000, v11
	v_mov_b32_e32 v23, v10
	ds_write_b64 v19, v[23:24]
; %bb.197:
	s_or_b64 exec, exec, s[0:1]
	s_waitcnt lgkmcnt(0)
	s_barrier
	s_and_saveexec_b64 s[0:1], s[44:45]
	s_cbranch_execz .LBB134_199
; %bb.198:
	v_mov_b32_e32 v23, 0
	ds_read_b64 v[23:24], v23 offset:25472
	ds_read_b64 v[25:26], v19
	s_waitcnt lgkmcnt(0)
	v_fma_f64 v[10:11], -v[23:24], v[25:26], v[10:11]
.LBB134_199:
	s_or_b64 exec, exec, s[0:1]
	s_barrier
	s_and_saveexec_b64 s[0:1], s[44:45]
; %bb.200:
	v_xor_b32_e32 v24, 0x80000000, v11
	v_mov_b32_e32 v23, v10
	ds_write_b64 v19, v[23:24]
; %bb.201:
	s_or_b64 exec, exec, s[0:1]
	s_waitcnt lgkmcnt(0)
	s_barrier
	s_barrier
	s_and_saveexec_b64 s[0:1], s[18:19]
; %bb.202:
	v_lshlrev_b32_e32 v23, 3, v16
	v_lshl_or_b32 v23, v17, 9, v23
	ds_write_b64 v23, v[10:11] offset:27008
; %bb.203:
	s_or_b64 exec, exec, s[0:1]
	s_waitcnt lgkmcnt(0)
	s_barrier
	s_barrier
	s_and_saveexec_b64 s[0:1], s[56:57]
	s_cbranch_execz .LBB134_205
; %bb.204:
	v_lshlrev_b32_e32 v23, 9, v0
	ds_read_b64 v[10:11], v23 offset:27008
	s_movk_i32 s10, 0xfe08
	v_mad_i32_i24 v24, v0, s10, v23
	s_waitcnt lgkmcnt(0)
	ds_write_b64 v24, v[10:11] offset:24992
	ds_read_b64 v[10:11], v23 offset:27016
	s_waitcnt lgkmcnt(0)
	ds_write_b64 v24, v[10:11] offset:25504
	ds_read_b64 v[10:11], v23 offset:27024
	;; [unrolled: 3-line block ×3, first 2 shown]
	s_waitcnt lgkmcnt(0)
	ds_write_b64 v24, v[10:11] offset:26528
.LBB134_205:
	s_or_b64 exec, exec, s[0:1]
	s_waitcnt lgkmcnt(0)
	s_barrier
	s_and_saveexec_b64 s[0:1], vcc
	s_cbranch_execz .LBB134_207
; %bb.206:
	v_mov_b32_e32 v23, 0
	ds_read_b64 v[25:26], v23 offset:26512
	v_mov_b32_e32 v24, 0x3ff00000
	ds_write_b64 v23, v[23:24] offset:26520
	s_waitcnt lgkmcnt(1)
	ds_write_b128 v23, v[23:26] offset:26000
.LBB134_207:
	s_or_b64 exec, exec, s[0:1]
	v_mov_b32_e32 v10, 0
	v_mov_b32_e32 v11, 0
	s_waitcnt lgkmcnt(0)
	s_barrier
	buffer_wbinvl1_vol
	s_and_saveexec_b64 s[0:1], s[2:3]
	s_cbranch_execz .LBB134_211
; %bb.208:
	v_lshlrev_b32_e32 v23, 9, v13
	v_lshlrev_b32_e32 v10, 3, v12
	ds_read_b64 v[10:11], v10 offset:25984
	ds_read_b64 v[23:24], v23 offset:26000
	v_cmp_gt_u32_e64 s[10:11], 2, v15
	s_waitcnt lgkmcnt(0)
	v_fma_f64 v[10:11], v[10:11], v[23:24], 0
	s_and_saveexec_b64 s[14:15], s[10:11]
	s_cbranch_execz .LBB134_210
; %bb.209:
	v_lshlrev_b32_e32 v23, 3, v0
	v_mov_b32_e32 v25, 0
	ds_read_b64 v[23:24], v23 offset:26496
	ds_read_b64 v[25:26], v25 offset:26520
	s_waitcnt lgkmcnt(0)
	v_fma_f64 v[10:11], v[23:24], v[25:26], v[10:11]
.LBB134_210:
	s_or_b64 exec, exec, s[14:15]
.LBB134_211:
	s_or_b64 exec, exec, s[0:1]
	s_and_saveexec_b64 s[0:1], s[40:41]
; %bb.212:
	v_xor_b32_e32 v24, 0x80000000, v11
	v_mov_b32_e32 v23, v10
	ds_write_b64 v14, v[23:24]
; %bb.213:
	s_or_b64 exec, exec, s[0:1]
	s_waitcnt lgkmcnt(0)
	s_barrier
	s_and_saveexec_b64 s[0:1], s[38:39]
	s_cbranch_execz .LBB134_215
; %bb.214:
	v_mov_b32_e32 v23, 0
	ds_read_b64 v[23:24], v23 offset:25472
	ds_read_b64 v[25:26], v14
	s_waitcnt lgkmcnt(0)
	v_fma_f64 v[10:11], -v[23:24], v[25:26], v[10:11]
.LBB134_215:
	s_or_b64 exec, exec, s[0:1]
	s_barrier
	s_and_saveexec_b64 s[0:1], s[38:39]
; %bb.216:
	v_xor_b32_e32 v24, 0x80000000, v11
	v_mov_b32_e32 v23, v10
	ds_write_b64 v14, v[23:24]
; %bb.217:
	s_or_b64 exec, exec, s[0:1]
	s_waitcnt lgkmcnt(0)
	s_barrier
	s_barrier
	s_and_saveexec_b64 s[0:1], s[2:3]
; %bb.218:
	v_lshlrev_b32_e32 v23, 3, v12
	v_lshl_or_b32 v23, v13, 9, v23
	ds_write_b64 v23, v[10:11] offset:25984
; %bb.219:
	s_or_b64 exec, exec, s[0:1]
	s_waitcnt lgkmcnt(0)
	s_barrier
	s_barrier
	s_and_saveexec_b64 s[0:1], s[42:43]
	s_cbranch_execz .LBB134_221
; %bb.220:
	v_lshlrev_b32_e32 v23, 3, v0
	s_movk_i32 s10, 0x1f8
	v_mad_u32_u24 v24, v0, s10, v23
	ds_read_b64 v[10:11], v24 offset:25984
	s_waitcnt lgkmcnt(0)
	ds_write_b64 v23, v[10:11] offset:24976
	ds_read_b64 v[10:11], v24 offset:25992
	s_waitcnt lgkmcnt(0)
	ds_write_b64 v23, v[10:11] offset:25488
.LBB134_221:
	s_or_b64 exec, exec, s[0:1]
	s_waitcnt lgkmcnt(0)
	s_barrier
	s_and_saveexec_b64 s[0:1], vcc
	s_cbranch_execz .LBB134_223
; %bb.222:
	v_mov_b32_e32 v23, 0
	ds_read_b64 v[25:26], v23 offset:25472
	v_mov_b32_e32 v24, 0x3ff00000
	ds_write_b64 v23, v[23:24] offset:25480
	s_waitcnt lgkmcnt(1)
	ds_write_b128 v23, v[23:26] offset:24960
.LBB134_223:
	s_or_b64 exec, exec, s[0:1]
	s_movk_i32 s0, 0xff
	v_lshrrev_b32_e32 v25, 4, v15
	v_cmp_lt_u32_e64 s[14:15], s0, v15
	s_movk_i32 s0, 0x100
	v_mov_b32_e32 v10, 0
	v_and_b32_e32 v23, 15, v0
	v_sub_u32_e32 v24, 15, v25
	v_mov_b32_e32 v11, 0
	v_cmp_gt_u32_e64 s[10:11], s0, v15
	s_waitcnt lgkmcnt(0)
	s_barrier
	buffer_wbinvl1_vol
	s_and_saveexec_b64 s[0:1], s[10:11]
	s_cbranch_execz .LBB134_251
; %bb.224:
	v_lshlrev_b32_e32 v27, 3, v23
	v_lshlrev_b32_e32 v26, 9, v24
	ds_read_b64 v[10:11], v27 offset:24832
	ds_read_b64 v[28:29], v26 offset:24960
	s_movk_i32 s16, 0xf0
	v_cmp_gt_u32_e64 s[16:17], s16, v15
	s_waitcnt lgkmcnt(0)
	v_fma_f64 v[10:11], v[10:11], v[28:29], 0
	s_and_saveexec_b64 s[20:21], s[16:17]
	s_cbranch_execz .LBB134_226
; %bb.225:
	ds_read_b64 v[28:29], v27 offset:25344
	ds_read_b64 v[30:31], v26 offset:24968
	s_waitcnt lgkmcnt(0)
	v_fma_f64 v[10:11], v[28:29], v[30:31], v[10:11]
.LBB134_226:
	s_or_b64 exec, exec, s[20:21]
	s_movk_i32 s16, 0xe0
	v_cmp_gt_u32_e64 s[16:17], s16, v15
	s_and_saveexec_b64 s[20:21], s[16:17]
	s_cbranch_execz .LBB134_228
; %bb.227:
	ds_read_b64 v[28:29], v27 offset:25856
	ds_read_b64 v[30:31], v26 offset:24976
	s_waitcnt lgkmcnt(0)
	v_fma_f64 v[10:11], v[28:29], v[30:31], v[10:11]
.LBB134_228:
	s_or_b64 exec, exec, s[20:21]
	s_movk_i32 s16, 0xd0
	v_cmp_gt_u32_e64 s[16:17], s16, v15
	;; [unrolled: 11-line block ×10, first 2 shown]
	s_and_saveexec_b64 s[20:21], s[16:17]
	s_cbranch_execnz .LBB134_1182
; %bb.245:
	s_or_b64 exec, exec, s[20:21]
	s_and_saveexec_b64 s[16:17], s[8:9]
	s_cbranch_execnz .LBB134_1183
.LBB134_246:
	s_or_b64 exec, exec, s[16:17]
	v_cmp_gt_u32_e64 s[16:17], 48, v15
	s_and_saveexec_b64 s[20:21], s[16:17]
	s_cbranch_execnz .LBB134_1184
.LBB134_247:
	s_or_b64 exec, exec, s[20:21]
	v_cmp_gt_u32_e64 s[16:17], 32, v15
	s_and_saveexec_b64 s[20:21], s[16:17]
	s_cbranch_execnz .LBB134_1185
.LBB134_248:
	s_or_b64 exec, exec, s[20:21]
	v_cmp_gt_u32_e64 s[16:17], 16, v15
	s_and_saveexec_b64 s[20:21], s[16:17]
	s_cbranch_execz .LBB134_250
.LBB134_249:
	v_lshlrev_b32_e32 v26, 3, v0
	v_mov_b32_e32 v28, 0
	ds_read_b64 v[26:27], v26 offset:32512
	ds_read_b64 v[28:29], v28 offset:32760
	s_waitcnt lgkmcnt(0)
	v_fma_f64 v[10:11], v[26:27], v[28:29], v[10:11]
.LBB134_250:
	s_or_b64 exec, exec, s[20:21]
.LBB134_251:
	s_or_b64 exec, exec, s[0:1]
	v_mov_b32_e32 v26, 0x8000
	v_lshl_add_u32 v25, v25, 3, v26
	v_cmp_eq_u32_e64 s[16:17], 15, v23
	s_xor_b64 s[20:21], s[14:15], -1
	s_and_b64 s[14:15], s[16:17], s[20:21]
	s_mov_b64 s[0:1], exec
	v_writelane_b32 v35, s14, 2
	v_writelane_b32 v35, s15, 3
	s_and_b64 s[14:15], s[0:1], s[14:15]
	s_mov_b64 exec, s[14:15]
; %bb.252:
	v_xor_b32_e32 v27, 0x80000000, v11
	v_mov_b32_e32 v26, v10
	ds_write_b64 v25, v[26:27]
; %bb.253:
	s_or_b64 exec, exec, s[0:1]
	v_cmp_ne_u32_e64 s[14:15], 15, v23
	s_waitcnt lgkmcnt(0)
	s_barrier
	s_and_b64 s[14:15], s[14:15], s[20:21]
	s_mov_b64 s[0:1], exec
	v_writelane_b32 v35, s14, 4
	v_writelane_b32 v35, s15, 5
	s_and_b64 s[14:15], s[0:1], s[14:15]
	s_mov_b64 exec, s[14:15]
	s_cbranch_execz .LBB134_255
; %bb.254:
	v_lshlrev_b32_e32 v26, 3, v23
	ds_read_b64 v[26:27], v26 offset:24320
	ds_read_b64 v[28:29], v25
	s_waitcnt lgkmcnt(0)
	v_fma_f64 v[10:11], -v[26:27], v[28:29], v[10:11]
.LBB134_255:
	s_or_b64 exec, exec, s[0:1]
	v_cmp_eq_u32_e64 s[14:15], 14, v23
	s_barrier
	s_and_b64 s[14:15], s[14:15], s[20:21]
	s_mov_b64 s[0:1], exec
	v_writelane_b32 v35, s14, 6
	v_writelane_b32 v35, s15, 7
	s_and_b64 s[14:15], s[0:1], s[14:15]
	s_mov_b64 exec, s[14:15]
; %bb.256:
	v_xor_b32_e32 v27, 0x80000000, v11
	v_mov_b32_e32 v26, v10
	ds_write_b64 v25, v[26:27]
; %bb.257:
	s_or_b64 exec, exec, s[0:1]
	v_cmp_gt_u32_e64 s[14:15], 14, v23
	s_waitcnt lgkmcnt(0)
	s_barrier
	s_and_b64 s[14:15], s[14:15], s[20:21]
	s_mov_b64 s[0:1], exec
	v_writelane_b32 v35, s14, 8
	v_writelane_b32 v35, s15, 9
	s_and_b64 s[14:15], s[0:1], s[14:15]
	s_mov_b64 exec, s[14:15]
	s_cbranch_execz .LBB134_259
; %bb.258:
	v_lshlrev_b32_e32 v26, 3, v23
	ds_read_b64 v[26:27], v26 offset:23808
	ds_read_b64 v[28:29], v25
	s_waitcnt lgkmcnt(0)
	v_fma_f64 v[10:11], -v[26:27], v[28:29], v[10:11]
.LBB134_259:
	s_or_b64 exec, exec, s[0:1]
	v_cmp_eq_u32_e64 s[14:15], 13, v23
	s_barrier
	s_and_b64 s[14:15], s[14:15], s[20:21]
	s_mov_b64 s[0:1], exec
	v_writelane_b32 v35, s14, 10
	v_writelane_b32 v35, s15, 11
	s_and_b64 s[14:15], s[0:1], s[14:15]
	s_mov_b64 exec, s[14:15]
; %bb.260:
	v_xor_b32_e32 v27, 0x80000000, v11
	v_mov_b32_e32 v26, v10
	ds_write_b64 v25, v[26:27]
; %bb.261:
	s_or_b64 exec, exec, s[0:1]
	v_cmp_gt_u32_e64 s[14:15], 13, v23
	;; [unrolled: 32-line block ×13, first 2 shown]
	s_waitcnt lgkmcnt(0)
	s_barrier
	s_and_b64 s[14:15], s[14:15], s[20:21]
	s_mov_b64 s[0:1], exec
	v_writelane_b32 v35, s14, 56
	v_writelane_b32 v35, s15, 57
	s_and_b64 s[14:15], s[0:1], s[14:15]
	s_mov_b64 exec, s[14:15]
	s_cbranch_execz .LBB134_307
; %bb.306:
	v_lshlrev_b32_e32 v26, 3, v23
	ds_read_b64 v[26:27], v26 offset:17664
	ds_read_b64 v[28:29], v25
	s_waitcnt lgkmcnt(0)
	v_fma_f64 v[10:11], -v[26:27], v[28:29], v[10:11]
.LBB134_307:
	s_or_b64 exec, exec, s[0:1]
	v_cmp_eq_u32_e64 s[14:15], 1, v23
	s_barrier
	s_and_b64 s[14:15], s[14:15], s[20:21]
	s_mov_b64 s[0:1], exec
	v_writelane_b32 v35, s14, 58
	v_writelane_b32 v35, s15, 59
	s_and_b64 s[14:15], s[0:1], s[14:15]
	s_mov_b64 exec, s[14:15]
; %bb.308:
	v_xor_b32_e32 v27, 0x80000000, v11
	v_mov_b32_e32 v26, v10
	ds_write_b64 v25, v[26:27]
; %bb.309:
	s_or_b64 exec, exec, s[0:1]
	v_cmp_eq_u32_e64 s[14:15], 0, v23
	s_and_b64 s[90:91], s[14:15], s[20:21]
	s_waitcnt lgkmcnt(0)
	s_barrier
	s_and_saveexec_b64 s[0:1], s[90:91]
	s_cbranch_execz .LBB134_311
; %bb.310:
	v_mov_b32_e32 v26, 0
	ds_read_b64 v[26:27], v26 offset:17152
	ds_read_b64 v[28:29], v25
	s_waitcnt lgkmcnt(0)
	v_fma_f64 v[10:11], -v[26:27], v[28:29], v[10:11]
.LBB134_311:
	s_or_b64 exec, exec, s[0:1]
	s_barrier
	s_and_saveexec_b64 s[0:1], s[90:91]
; %bb.312:
	v_xor_b32_e32 v27, 0x80000000, v11
	v_mov_b32_e32 v26, v10
	ds_write_b64 v25, v[26:27]
; %bb.313:
	s_or_b64 exec, exec, s[0:1]
	s_waitcnt lgkmcnt(0)
	s_barrier
	s_barrier
	s_and_saveexec_b64 s[0:1], s[10:11]
; %bb.314:
	v_lshlrev_b32_e32 v26, 3, v23
	v_lshl_or_b32 v26, v24, 9, v26
	ds_write_b64 v26, v[10:11] offset:24832
; %bb.315:
	s_or_b64 exec, exec, s[0:1]
	v_cmp_gt_u32_e64 s[14:15], 16, v0
	s_and_b64 s[92:93], s[12:13], s[14:15]
	s_waitcnt lgkmcnt(0)
	s_barrier
	s_barrier
	s_and_saveexec_b64 s[14:15], s[92:93]
	s_cbranch_execz .LBB134_317
; %bb.316:
	v_lshlrev_b32_e32 v26, 9, v0
	ds_read_b64 v[10:11], v26 offset:24832
	s_movk_i32 s0, 0xfe08
	v_mad_i32_i24 v27, v0, s0, v26
	s_waitcnt lgkmcnt(0)
	ds_write_b64 v27, v[10:11] offset:16768
	ds_read_b64 v[10:11], v26 offset:24840
	s_waitcnt lgkmcnt(0)
	ds_write_b64 v27, v[10:11] offset:17280
	ds_read_b64 v[10:11], v26 offset:24848
	;; [unrolled: 3-line block ×15, first 2 shown]
	s_waitcnt lgkmcnt(0)
	ds_write_b64 v27, v[10:11] offset:24448
.LBB134_317:
	s_or_b64 exec, exec, s[14:15]
	s_waitcnt lgkmcnt(0)
	s_barrier
	s_and_saveexec_b64 s[14:15], vcc
	s_cbranch_execz .LBB134_319
; %bb.318:
	v_mov_b32_e32 v26, 0
	ds_read_b64 v[28:29], v26 offset:24432
	v_mov_b32_e32 v27, 0x3ff00000
	ds_write_b64 v26, v[26:27] offset:24440
	s_waitcnt lgkmcnt(1)
	ds_write_b128 v26, v[26:29] offset:23920
.LBB134_319:
	s_or_b64 exec, exec, s[14:15]
	v_mov_b32_e32 v10, 0
	v_mov_b32_e32 v11, 0
	s_waitcnt lgkmcnt(0)
	s_barrier
	buffer_wbinvl1_vol
	s_and_saveexec_b64 s[16:17], s[2:3]
	s_cbranch_execz .LBB134_323
; %bb.320:
	v_lshlrev_b32_e32 v26, 9, v13
	v_lshlrev_b32_e32 v10, 3, v12
	ds_read_b64 v[10:11], v10 offset:23904
	ds_read_b64 v[26:27], v26 offset:23920
	v_cmp_gt_u32_e64 s[14:15], 2, v15
	s_waitcnt lgkmcnt(0)
	v_fma_f64 v[10:11], v[10:11], v[26:27], 0
	s_and_saveexec_b64 s[20:21], s[14:15]
	s_cbranch_execz .LBB134_322
; %bb.321:
	v_lshlrev_b32_e32 v26, 3, v0
	v_mov_b32_e32 v28, 0
	ds_read_b64 v[26:27], v26 offset:24416
	ds_read_b64 v[28:29], v28 offset:24440
	s_waitcnt lgkmcnt(0)
	v_fma_f64 v[10:11], v[26:27], v[28:29], v[10:11]
.LBB134_322:
	s_or_b64 exec, exec, s[20:21]
.LBB134_323:
	s_or_b64 exec, exec, s[16:17]
	s_and_saveexec_b64 s[0:1], s[40:41]
; %bb.324:
	v_xor_b32_e32 v27, 0x80000000, v11
	v_mov_b32_e32 v26, v10
	ds_write_b64 v14, v[26:27]
; %bb.325:
	s_or_b64 exec, exec, s[0:1]
	s_waitcnt lgkmcnt(0)
	s_barrier
	s_and_saveexec_b64 s[0:1], s[38:39]
	s_cbranch_execz .LBB134_327
; %bb.326:
	v_mov_b32_e32 v26, 0
	ds_read_b64 v[26:27], v26 offset:23392
	ds_read_b64 v[28:29], v14
	s_waitcnt lgkmcnt(0)
	v_fma_f64 v[10:11], -v[26:27], v[28:29], v[10:11]
.LBB134_327:
	s_or_b64 exec, exec, s[0:1]
	s_barrier
	s_and_saveexec_b64 s[0:1], s[38:39]
; %bb.328:
	v_xor_b32_e32 v27, 0x80000000, v11
	v_mov_b32_e32 v26, v10
	ds_write_b64 v14, v[26:27]
; %bb.329:
	s_or_b64 exec, exec, s[0:1]
	s_waitcnt lgkmcnt(0)
	s_barrier
	s_barrier
	s_and_saveexec_b64 s[0:1], s[2:3]
; %bb.330:
	v_lshlrev_b32_e32 v26, 3, v12
	v_lshl_or_b32 v26, v13, 9, v26
	ds_write_b64 v26, v[10:11] offset:23904
; %bb.331:
	s_or_b64 exec, exec, s[0:1]
	s_waitcnt lgkmcnt(0)
	s_barrier
	s_barrier
	s_and_saveexec_b64 s[14:15], s[42:43]
	s_cbranch_execz .LBB134_333
; %bb.332:
	v_lshlrev_b32_e32 v26, 3, v0
	s_movk_i32 s0, 0x1f8
	v_mad_u32_u24 v27, v0, s0, v26
	ds_read_b64 v[10:11], v27 offset:23904
	s_waitcnt lgkmcnt(0)
	ds_write_b64 v26, v[10:11] offset:22896
	ds_read_b64 v[10:11], v27 offset:23912
	s_waitcnt lgkmcnt(0)
	ds_write_b64 v26, v[10:11] offset:23408
.LBB134_333:
	s_or_b64 exec, exec, s[14:15]
	s_waitcnt lgkmcnt(0)
	s_barrier
	s_and_saveexec_b64 s[14:15], vcc
	s_cbranch_execz .LBB134_335
; %bb.334:
	v_mov_b32_e32 v26, 0
	ds_read_b64 v[28:29], v26 offset:23392
	v_mov_b32_e32 v27, 0x3ff00000
	ds_write_b64 v26, v[26:27] offset:23400
	s_waitcnt lgkmcnt(1)
	ds_write_b128 v26, v[26:29] offset:22880
.LBB134_335:
	s_or_b64 exec, exec, s[14:15]
	v_mov_b32_e32 v10, 0
	v_mov_b32_e32 v11, 0
	s_waitcnt lgkmcnt(0)
	s_barrier
	buffer_wbinvl1_vol
	s_and_saveexec_b64 s[16:17], s[18:19]
	s_cbranch_execz .LBB134_341
; %bb.336:
	v_lshlrev_b32_e32 v27, 3, v16
	v_lshlrev_b32_e32 v26, 9, v17
	ds_read_b64 v[10:11], v27 offset:22848
	ds_read_b64 v[28:29], v26 offset:22880
	v_cmp_gt_u32_e64 s[14:15], 12, v15
	s_waitcnt lgkmcnt(0)
	v_fma_f64 v[10:11], v[10:11], v[28:29], 0
	s_and_saveexec_b64 s[0:1], s[14:15]
	s_cbranch_execnz .LBB134_1186
; %bb.337:
	s_or_b64 exec, exec, s[0:1]
	v_cmp_gt_u32_e64 s[14:15], 8, v15
	s_and_saveexec_b64 s[0:1], s[14:15]
	s_cbranch_execnz .LBB134_1187
.LBB134_338:
	s_or_b64 exec, exec, s[0:1]
	v_cmp_gt_u32_e64 s[14:15], 4, v15
	s_and_saveexec_b64 s[20:21], s[14:15]
	s_cbranch_execz .LBB134_340
.LBB134_339:
	v_lshlrev_b32_e32 v26, 3, v0
	v_mov_b32_e32 v28, 0
	ds_read_b64 v[26:27], v26 offset:24384
	ds_read_b64 v[28:29], v28 offset:24440
	s_waitcnt lgkmcnt(0)
	v_fma_f64 v[10:11], v[26:27], v[28:29], v[10:11]
.LBB134_340:
	s_or_b64 exec, exec, s[20:21]
.LBB134_341:
	s_or_b64 exec, exec, s[16:17]
	s_and_saveexec_b64 s[0:1], s[46:47]
; %bb.342:
	v_xor_b32_e32 v27, 0x80000000, v11
	v_mov_b32_e32 v26, v10
	ds_write_b64 v19, v[26:27]
; %bb.343:
	s_or_b64 exec, exec, s[0:1]
	s_waitcnt lgkmcnt(0)
	s_barrier
	s_and_saveexec_b64 s[0:1], s[48:49]
	s_cbranch_execz .LBB134_345
; %bb.344:
	v_lshlrev_b32_e32 v26, 3, v16
	ds_read_b64 v[26:27], v26 offset:22336
	ds_read_b64 v[28:29], v19
	s_waitcnt lgkmcnt(0)
	v_fma_f64 v[10:11], -v[26:27], v[28:29], v[10:11]
.LBB134_345:
	s_or_b64 exec, exec, s[0:1]
	s_barrier
	s_and_saveexec_b64 s[0:1], s[50:51]
; %bb.346:
	v_xor_b32_e32 v27, 0x80000000, v11
	v_mov_b32_e32 v26, v10
	ds_write_b64 v19, v[26:27]
; %bb.347:
	s_or_b64 exec, exec, s[0:1]
	s_waitcnt lgkmcnt(0)
	s_barrier
	s_and_saveexec_b64 s[0:1], s[52:53]
	s_cbranch_execz .LBB134_349
; %bb.348:
	v_lshlrev_b32_e32 v26, 3, v16
	ds_read_b64 v[26:27], v26 offset:21824
	ds_read_b64 v[28:29], v19
	s_waitcnt lgkmcnt(0)
	v_fma_f64 v[10:11], -v[26:27], v[28:29], v[10:11]
.LBB134_349:
	s_or_b64 exec, exec, s[0:1]
	s_barrier
	s_and_saveexec_b64 s[0:1], s[54:55]
; %bb.350:
	v_xor_b32_e32 v27, 0x80000000, v11
	v_mov_b32_e32 v26, v10
	ds_write_b64 v19, v[26:27]
; %bb.351:
	s_or_b64 exec, exec, s[0:1]
	s_waitcnt lgkmcnt(0)
	s_barrier
	s_and_saveexec_b64 s[0:1], s[44:45]
	s_cbranch_execz .LBB134_353
; %bb.352:
	v_mov_b32_e32 v26, 0
	ds_read_b64 v[26:27], v26 offset:21312
	ds_read_b64 v[28:29], v19
	s_waitcnt lgkmcnt(0)
	v_fma_f64 v[10:11], -v[26:27], v[28:29], v[10:11]
.LBB134_353:
	s_or_b64 exec, exec, s[0:1]
	s_barrier
	s_and_saveexec_b64 s[0:1], s[44:45]
; %bb.354:
	v_xor_b32_e32 v27, 0x80000000, v11
	v_mov_b32_e32 v26, v10
	ds_write_b64 v19, v[26:27]
; %bb.355:
	s_or_b64 exec, exec, s[0:1]
	s_waitcnt lgkmcnt(0)
	s_barrier
	s_barrier
	s_and_saveexec_b64 s[0:1], s[18:19]
; %bb.356:
	v_lshlrev_b32_e32 v26, 3, v16
	v_lshl_or_b32 v26, v17, 9, v26
	ds_write_b64 v26, v[10:11] offset:22848
; %bb.357:
	s_or_b64 exec, exec, s[0:1]
	s_waitcnt lgkmcnt(0)
	s_barrier
	s_barrier
	s_and_saveexec_b64 s[14:15], s[56:57]
	s_cbranch_execz .LBB134_359
; %bb.358:
	v_lshlrev_b32_e32 v26, 9, v0
	ds_read_b64 v[10:11], v26 offset:22848
	s_movk_i32 s0, 0xfe08
	v_mad_i32_i24 v27, v0, s0, v26
	s_waitcnt lgkmcnt(0)
	ds_write_b64 v27, v[10:11] offset:20832
	ds_read_b64 v[10:11], v26 offset:22856
	s_waitcnt lgkmcnt(0)
	ds_write_b64 v27, v[10:11] offset:21344
	ds_read_b64 v[10:11], v26 offset:22864
	;; [unrolled: 3-line block ×3, first 2 shown]
	s_waitcnt lgkmcnt(0)
	ds_write_b64 v27, v[10:11] offset:22368
.LBB134_359:
	s_or_b64 exec, exec, s[14:15]
	s_waitcnt lgkmcnt(0)
	s_barrier
	s_and_saveexec_b64 s[14:15], vcc
	s_cbranch_execz .LBB134_361
; %bb.360:
	v_mov_b32_e32 v26, 0
	ds_read_b64 v[28:29], v26 offset:22352
	v_mov_b32_e32 v27, 0x3ff00000
	ds_write_b64 v26, v[26:27] offset:22360
	s_waitcnt lgkmcnt(1)
	ds_write_b128 v26, v[26:29] offset:21840
.LBB134_361:
	s_or_b64 exec, exec, s[14:15]
	v_mov_b32_e32 v10, 0
	v_mov_b32_e32 v11, 0
	s_waitcnt lgkmcnt(0)
	s_barrier
	buffer_wbinvl1_vol
	s_and_saveexec_b64 s[16:17], s[2:3]
	s_cbranch_execz .LBB134_365
; %bb.362:
	v_lshlrev_b32_e32 v26, 9, v13
	v_lshlrev_b32_e32 v10, 3, v12
	ds_read_b64 v[10:11], v10 offset:21824
	ds_read_b64 v[26:27], v26 offset:21840
	v_cmp_gt_u32_e64 s[14:15], 2, v15
	s_waitcnt lgkmcnt(0)
	v_fma_f64 v[10:11], v[10:11], v[26:27], 0
	s_and_saveexec_b64 s[20:21], s[14:15]
	s_cbranch_execz .LBB134_364
; %bb.363:
	v_lshlrev_b32_e32 v26, 3, v0
	v_mov_b32_e32 v28, 0
	ds_read_b64 v[26:27], v26 offset:22336
	ds_read_b64 v[28:29], v28 offset:22360
	s_waitcnt lgkmcnt(0)
	v_fma_f64 v[10:11], v[26:27], v[28:29], v[10:11]
.LBB134_364:
	s_or_b64 exec, exec, s[20:21]
.LBB134_365:
	s_or_b64 exec, exec, s[16:17]
	s_and_saveexec_b64 s[0:1], s[40:41]
; %bb.366:
	v_xor_b32_e32 v27, 0x80000000, v11
	v_mov_b32_e32 v26, v10
	ds_write_b64 v14, v[26:27]
; %bb.367:
	s_or_b64 exec, exec, s[0:1]
	s_waitcnt lgkmcnt(0)
	s_barrier
	s_and_saveexec_b64 s[0:1], s[38:39]
	s_cbranch_execz .LBB134_369
; %bb.368:
	v_mov_b32_e32 v26, 0
	ds_read_b64 v[26:27], v26 offset:21312
	ds_read_b64 v[28:29], v14
	s_waitcnt lgkmcnt(0)
	v_fma_f64 v[10:11], -v[26:27], v[28:29], v[10:11]
.LBB134_369:
	s_or_b64 exec, exec, s[0:1]
	s_barrier
	s_and_saveexec_b64 s[0:1], s[38:39]
; %bb.370:
	v_xor_b32_e32 v27, 0x80000000, v11
	v_mov_b32_e32 v26, v10
	ds_write_b64 v14, v[26:27]
; %bb.371:
	s_or_b64 exec, exec, s[0:1]
	s_waitcnt lgkmcnt(0)
	s_barrier
	s_barrier
	s_and_saveexec_b64 s[0:1], s[2:3]
; %bb.372:
	v_lshlrev_b32_e32 v26, 3, v12
	v_lshl_or_b32 v26, v13, 9, v26
	ds_write_b64 v26, v[10:11] offset:21824
; %bb.373:
	s_or_b64 exec, exec, s[0:1]
	s_waitcnt lgkmcnt(0)
	s_barrier
	s_barrier
	s_and_saveexec_b64 s[14:15], s[42:43]
	s_cbranch_execz .LBB134_375
; %bb.374:
	v_lshlrev_b32_e32 v26, 3, v0
	s_movk_i32 s0, 0x1f8
	v_mad_u32_u24 v27, v0, s0, v26
	ds_read_b64 v[10:11], v27 offset:21824
	s_waitcnt lgkmcnt(0)
	ds_write_b64 v26, v[10:11] offset:20816
	ds_read_b64 v[10:11], v27 offset:21832
	s_waitcnt lgkmcnt(0)
	ds_write_b64 v26, v[10:11] offset:21328
.LBB134_375:
	s_or_b64 exec, exec, s[14:15]
	s_waitcnt lgkmcnt(0)
	s_barrier
	s_and_saveexec_b64 s[14:15], vcc
	s_cbranch_execz .LBB134_377
; %bb.376:
	v_mov_b32_e32 v26, 0
	ds_read_b64 v[28:29], v26 offset:21312
	v_mov_b32_e32 v27, 0x3ff00000
	ds_write_b64 v26, v[26:27] offset:21320
	s_waitcnt lgkmcnt(1)
	ds_write_b128 v26, v[26:29] offset:20800
.LBB134_377:
	s_or_b64 exec, exec, s[14:15]
	v_mov_b32_e32 v10, 0
	v_mov_b32_e32 v11, 0
	s_waitcnt lgkmcnt(0)
	s_barrier
	buffer_wbinvl1_vol
	s_and_saveexec_b64 s[16:17], s[8:9]
	s_cbranch_execz .LBB134_387
; %bb.378:
	v_lshlrev_b32_e32 v27, 3, v20
	v_lshlrev_b32_e32 v26, 9, v21
	ds_read_b64 v[10:11], v27 offset:20736
	ds_read_b64 v[28:29], v26 offset:20800
	v_cmp_gt_u32_e64 s[14:15], 56, v15
	s_waitcnt lgkmcnt(0)
	v_fma_f64 v[10:11], v[10:11], v[28:29], 0
	s_and_saveexec_b64 s[0:1], s[14:15]
	s_cbranch_execnz .LBB134_1188
; %bb.379:
	s_or_b64 exec, exec, s[0:1]
	v_cmp_gt_u32_e64 s[14:15], 48, v15
	s_and_saveexec_b64 s[0:1], s[14:15]
	s_cbranch_execnz .LBB134_1189
.LBB134_380:
	s_or_b64 exec, exec, s[0:1]
	v_cmp_gt_u32_e64 s[14:15], 40, v15
	s_and_saveexec_b64 s[0:1], s[14:15]
	s_cbranch_execnz .LBB134_1190
.LBB134_381:
	s_or_b64 exec, exec, s[0:1]
	v_cmp_gt_u32_e64 s[14:15], 32, v15
	s_and_saveexec_b64 s[0:1], s[14:15]
	s_cbranch_execnz .LBB134_1191
.LBB134_382:
	s_or_b64 exec, exec, s[0:1]
	v_cmp_gt_u32_e64 s[14:15], 24, v15
	s_and_saveexec_b64 s[0:1], s[14:15]
	s_cbranch_execnz .LBB134_1192
.LBB134_383:
	s_or_b64 exec, exec, s[0:1]
	s_and_saveexec_b64 s[0:1], s[18:19]
	s_cbranch_execnz .LBB134_1193
.LBB134_384:
	s_or_b64 exec, exec, s[0:1]
	v_cmp_gt_u32_e64 s[14:15], 8, v15
	s_and_saveexec_b64 s[20:21], s[14:15]
	s_cbranch_execz .LBB134_386
.LBB134_385:
	v_lshlrev_b32_e32 v26, 3, v0
	v_mov_b32_e32 v28, 0
	ds_read_b64 v[26:27], v26 offset:24320
	ds_read_b64 v[28:29], v28 offset:24440
	s_waitcnt lgkmcnt(0)
	v_fma_f64 v[10:11], v[26:27], v[28:29], v[10:11]
.LBB134_386:
	s_or_b64 exec, exec, s[20:21]
.LBB134_387:
	s_or_b64 exec, exec, s[16:17]
	s_and_saveexec_b64 s[0:1], s[58:59]
; %bb.388:
	v_xor_b32_e32 v27, 0x80000000, v11
	v_mov_b32_e32 v26, v10
	ds_write_b64 v22, v[26:27]
; %bb.389:
	s_or_b64 exec, exec, s[0:1]
	s_waitcnt lgkmcnt(0)
	s_barrier
	s_and_saveexec_b64 s[0:1], s[60:61]
	s_cbranch_execz .LBB134_391
; %bb.390:
	v_lshlrev_b32_e32 v26, 3, v20
	ds_read_b64 v[26:27], v26 offset:20224
	ds_read_b64 v[28:29], v22
	s_waitcnt lgkmcnt(0)
	v_fma_f64 v[10:11], -v[26:27], v[28:29], v[10:11]
.LBB134_391:
	s_or_b64 exec, exec, s[0:1]
	s_barrier
	s_and_saveexec_b64 s[0:1], s[62:63]
; %bb.392:
	v_xor_b32_e32 v27, 0x80000000, v11
	v_mov_b32_e32 v26, v10
	ds_write_b64 v22, v[26:27]
; %bb.393:
	s_or_b64 exec, exec, s[0:1]
	s_waitcnt lgkmcnt(0)
	s_barrier
	s_and_saveexec_b64 s[0:1], s[64:65]
	s_cbranch_execz .LBB134_395
; %bb.394:
	v_lshlrev_b32_e32 v26, 3, v20
	ds_read_b64 v[26:27], v26 offset:19712
	ds_read_b64 v[28:29], v22
	s_waitcnt lgkmcnt(0)
	v_fma_f64 v[10:11], -v[26:27], v[28:29], v[10:11]
.LBB134_395:
	s_or_b64 exec, exec, s[0:1]
	s_barrier
	;; [unrolled: 20-line block ×6, first 2 shown]
	s_and_saveexec_b64 s[0:1], s[84:85]
; %bb.412:
	v_xor_b32_e32 v27, 0x80000000, v11
	v_mov_b32_e32 v26, v10
	ds_write_b64 v22, v[26:27]
; %bb.413:
	s_or_b64 exec, exec, s[0:1]
	s_waitcnt lgkmcnt(0)
	s_barrier
	s_and_saveexec_b64 s[0:1], s[68:69]
	s_cbranch_execz .LBB134_415
; %bb.414:
	v_mov_b32_e32 v26, 0
	ds_read_b64 v[26:27], v26 offset:17152
	ds_read_b64 v[28:29], v22
	s_waitcnt lgkmcnt(0)
	v_fma_f64 v[10:11], -v[26:27], v[28:29], v[10:11]
.LBB134_415:
	s_or_b64 exec, exec, s[0:1]
	s_barrier
	s_and_saveexec_b64 s[0:1], s[68:69]
; %bb.416:
	v_xor_b32_e32 v27, 0x80000000, v11
	v_mov_b32_e32 v26, v10
	ds_write_b64 v22, v[26:27]
; %bb.417:
	s_or_b64 exec, exec, s[0:1]
	s_waitcnt lgkmcnt(0)
	s_barrier
	s_barrier
	s_and_saveexec_b64 s[0:1], s[8:9]
; %bb.418:
	v_lshlrev_b32_e32 v26, 3, v20
	v_lshl_or_b32 v26, v21, 9, v26
	ds_write_b64 v26, v[10:11] offset:20736
; %bb.419:
	s_or_b64 exec, exec, s[0:1]
	s_waitcnt lgkmcnt(0)
	s_barrier
	s_barrier
	s_and_saveexec_b64 s[14:15], s[86:87]
	s_cbranch_execz .LBB134_421
; %bb.420:
	v_lshlrev_b32_e32 v26, 9, v0
	ds_read_b64 v[10:11], v26 offset:20736
	s_movk_i32 s0, 0xfe08
	v_mad_i32_i24 v27, v0, s0, v26
	s_waitcnt lgkmcnt(0)
	ds_write_b64 v27, v[10:11] offset:16704
	ds_read_b64 v[10:11], v26 offset:20744
	s_waitcnt lgkmcnt(0)
	ds_write_b64 v27, v[10:11] offset:17216
	ds_read_b64 v[10:11], v26 offset:20752
	;; [unrolled: 3-line block ×7, first 2 shown]
	s_waitcnt lgkmcnt(0)
	ds_write_b64 v27, v[10:11] offset:20288
.LBB134_421:
	s_or_b64 exec, exec, s[14:15]
	s_waitcnt lgkmcnt(0)
	s_barrier
	s_and_saveexec_b64 s[14:15], vcc
	s_cbranch_execz .LBB134_423
; %bb.422:
	v_mov_b32_e32 v26, 0
	ds_read_b64 v[28:29], v26 offset:20272
	v_mov_b32_e32 v27, 0x3ff00000
	ds_write_b64 v26, v[26:27] offset:20280
	s_waitcnt lgkmcnt(1)
	ds_write_b128 v26, v[26:29] offset:19760
.LBB134_423:
	s_or_b64 exec, exec, s[14:15]
	v_mov_b32_e32 v10, 0
	v_mov_b32_e32 v11, 0
	s_waitcnt lgkmcnt(0)
	s_barrier
	buffer_wbinvl1_vol
	s_and_saveexec_b64 s[16:17], s[2:3]
	s_cbranch_execz .LBB134_427
; %bb.424:
	v_lshlrev_b32_e32 v26, 9, v13
	v_lshlrev_b32_e32 v10, 3, v12
	ds_read_b64 v[10:11], v10 offset:19744
	ds_read_b64 v[26:27], v26 offset:19760
	v_cmp_gt_u32_e64 s[14:15], 2, v15
	s_waitcnt lgkmcnt(0)
	v_fma_f64 v[10:11], v[10:11], v[26:27], 0
	s_and_saveexec_b64 s[20:21], s[14:15]
	s_cbranch_execz .LBB134_426
; %bb.425:
	v_lshlrev_b32_e32 v26, 3, v0
	v_mov_b32_e32 v28, 0
	ds_read_b64 v[26:27], v26 offset:20256
	ds_read_b64 v[28:29], v28 offset:20280
	s_waitcnt lgkmcnt(0)
	v_fma_f64 v[10:11], v[26:27], v[28:29], v[10:11]
.LBB134_426:
	s_or_b64 exec, exec, s[20:21]
.LBB134_427:
	s_or_b64 exec, exec, s[16:17]
	s_and_saveexec_b64 s[0:1], s[40:41]
; %bb.428:
	v_xor_b32_e32 v27, 0x80000000, v11
	v_mov_b32_e32 v26, v10
	ds_write_b64 v14, v[26:27]
; %bb.429:
	s_or_b64 exec, exec, s[0:1]
	s_waitcnt lgkmcnt(0)
	s_barrier
	s_and_saveexec_b64 s[0:1], s[38:39]
	s_cbranch_execz .LBB134_431
; %bb.430:
	v_mov_b32_e32 v26, 0
	ds_read_b64 v[26:27], v26 offset:19232
	ds_read_b64 v[28:29], v14
	s_waitcnt lgkmcnt(0)
	v_fma_f64 v[10:11], -v[26:27], v[28:29], v[10:11]
.LBB134_431:
	s_or_b64 exec, exec, s[0:1]
	s_barrier
	s_and_saveexec_b64 s[0:1], s[38:39]
; %bb.432:
	v_xor_b32_e32 v27, 0x80000000, v11
	v_mov_b32_e32 v26, v10
	ds_write_b64 v14, v[26:27]
; %bb.433:
	s_or_b64 exec, exec, s[0:1]
	s_waitcnt lgkmcnt(0)
	s_barrier
	s_barrier
	s_and_saveexec_b64 s[0:1], s[2:3]
; %bb.434:
	v_lshlrev_b32_e32 v26, 3, v12
	v_lshl_or_b32 v26, v13, 9, v26
	ds_write_b64 v26, v[10:11] offset:19744
; %bb.435:
	s_or_b64 exec, exec, s[0:1]
	s_waitcnt lgkmcnt(0)
	s_barrier
	s_barrier
	s_and_saveexec_b64 s[14:15], s[42:43]
	s_cbranch_execz .LBB134_437
; %bb.436:
	v_lshlrev_b32_e32 v26, 3, v0
	s_movk_i32 s0, 0x1f8
	v_mad_u32_u24 v27, v0, s0, v26
	ds_read_b64 v[10:11], v27 offset:19744
	s_waitcnt lgkmcnt(0)
	ds_write_b64 v26, v[10:11] offset:18736
	ds_read_b64 v[10:11], v27 offset:19752
	s_waitcnt lgkmcnt(0)
	ds_write_b64 v26, v[10:11] offset:19248
.LBB134_437:
	s_or_b64 exec, exec, s[14:15]
	s_waitcnt lgkmcnt(0)
	s_barrier
	s_and_saveexec_b64 s[14:15], vcc
	s_cbranch_execz .LBB134_439
; %bb.438:
	v_mov_b32_e32 v26, 0
	ds_read_b64 v[28:29], v26 offset:19232
	v_mov_b32_e32 v27, 0x3ff00000
	ds_write_b64 v26, v[26:27] offset:19240
	s_waitcnt lgkmcnt(1)
	ds_write_b128 v26, v[26:29] offset:18720
.LBB134_439:
	s_or_b64 exec, exec, s[14:15]
	v_mov_b32_e32 v10, 0
	v_mov_b32_e32 v11, 0
	s_waitcnt lgkmcnt(0)
	s_barrier
	buffer_wbinvl1_vol
	s_and_saveexec_b64 s[16:17], s[18:19]
	s_cbranch_execz .LBB134_445
; %bb.440:
	v_lshlrev_b32_e32 v27, 3, v16
	v_lshlrev_b32_e32 v26, 9, v17
	ds_read_b64 v[10:11], v27 offset:18688
	ds_read_b64 v[28:29], v26 offset:18720
	v_cmp_gt_u32_e64 s[14:15], 12, v15
	s_waitcnt lgkmcnt(0)
	v_fma_f64 v[10:11], v[10:11], v[28:29], 0
	s_and_saveexec_b64 s[0:1], s[14:15]
	s_cbranch_execnz .LBB134_1194
; %bb.441:
	s_or_b64 exec, exec, s[0:1]
	v_cmp_gt_u32_e64 s[14:15], 8, v15
	s_and_saveexec_b64 s[0:1], s[14:15]
	s_cbranch_execnz .LBB134_1195
.LBB134_442:
	s_or_b64 exec, exec, s[0:1]
	v_cmp_gt_u32_e64 s[14:15], 4, v15
	s_and_saveexec_b64 s[20:21], s[14:15]
	s_cbranch_execz .LBB134_444
.LBB134_443:
	v_lshlrev_b32_e32 v26, 3, v0
	v_mov_b32_e32 v28, 0
	ds_read_b64 v[26:27], v26 offset:20224
	ds_read_b64 v[28:29], v28 offset:20280
	s_waitcnt lgkmcnt(0)
	v_fma_f64 v[10:11], v[26:27], v[28:29], v[10:11]
.LBB134_444:
	s_or_b64 exec, exec, s[20:21]
.LBB134_445:
	s_or_b64 exec, exec, s[16:17]
	s_and_saveexec_b64 s[0:1], s[46:47]
; %bb.446:
	v_xor_b32_e32 v27, 0x80000000, v11
	v_mov_b32_e32 v26, v10
	ds_write_b64 v19, v[26:27]
; %bb.447:
	s_or_b64 exec, exec, s[0:1]
	s_waitcnt lgkmcnt(0)
	s_barrier
	s_and_saveexec_b64 s[0:1], s[48:49]
	s_cbranch_execz .LBB134_449
; %bb.448:
	v_lshlrev_b32_e32 v26, 3, v16
	ds_read_b64 v[26:27], v26 offset:18176
	ds_read_b64 v[28:29], v19
	s_waitcnt lgkmcnt(0)
	v_fma_f64 v[10:11], -v[26:27], v[28:29], v[10:11]
.LBB134_449:
	s_or_b64 exec, exec, s[0:1]
	s_barrier
	s_and_saveexec_b64 s[0:1], s[50:51]
; %bb.450:
	v_xor_b32_e32 v27, 0x80000000, v11
	v_mov_b32_e32 v26, v10
	ds_write_b64 v19, v[26:27]
; %bb.451:
	s_or_b64 exec, exec, s[0:1]
	s_waitcnt lgkmcnt(0)
	s_barrier
	s_and_saveexec_b64 s[0:1], s[52:53]
	s_cbranch_execz .LBB134_453
; %bb.452:
	v_lshlrev_b32_e32 v26, 3, v16
	ds_read_b64 v[26:27], v26 offset:17664
	ds_read_b64 v[28:29], v19
	s_waitcnt lgkmcnt(0)
	v_fma_f64 v[10:11], -v[26:27], v[28:29], v[10:11]
.LBB134_453:
	s_or_b64 exec, exec, s[0:1]
	s_barrier
	s_and_saveexec_b64 s[0:1], s[54:55]
; %bb.454:
	v_xor_b32_e32 v27, 0x80000000, v11
	v_mov_b32_e32 v26, v10
	ds_write_b64 v19, v[26:27]
; %bb.455:
	s_or_b64 exec, exec, s[0:1]
	s_waitcnt lgkmcnt(0)
	s_barrier
	s_and_saveexec_b64 s[0:1], s[44:45]
	s_cbranch_execz .LBB134_457
; %bb.456:
	v_mov_b32_e32 v26, 0
	ds_read_b64 v[26:27], v26 offset:17152
	ds_read_b64 v[28:29], v19
	s_waitcnt lgkmcnt(0)
	v_fma_f64 v[10:11], -v[26:27], v[28:29], v[10:11]
.LBB134_457:
	s_or_b64 exec, exec, s[0:1]
	s_barrier
	s_and_saveexec_b64 s[0:1], s[44:45]
; %bb.458:
	v_xor_b32_e32 v27, 0x80000000, v11
	v_mov_b32_e32 v26, v10
	ds_write_b64 v19, v[26:27]
; %bb.459:
	s_or_b64 exec, exec, s[0:1]
	s_waitcnt lgkmcnt(0)
	s_barrier
	s_barrier
	s_and_saveexec_b64 s[0:1], s[18:19]
; %bb.460:
	v_lshlrev_b32_e32 v26, 3, v16
	v_lshl_or_b32 v26, v17, 9, v26
	ds_write_b64 v26, v[10:11] offset:18688
; %bb.461:
	s_or_b64 exec, exec, s[0:1]
	s_waitcnt lgkmcnt(0)
	s_barrier
	s_barrier
	s_and_saveexec_b64 s[14:15], s[56:57]
	s_cbranch_execz .LBB134_463
; %bb.462:
	v_lshlrev_b32_e32 v26, 9, v0
	ds_read_b64 v[10:11], v26 offset:18688
	s_movk_i32 s0, 0xfe08
	v_mad_i32_i24 v27, v0, s0, v26
	s_waitcnt lgkmcnt(0)
	ds_write_b64 v27, v[10:11] offset:16672
	ds_read_b64 v[10:11], v26 offset:18696
	s_waitcnt lgkmcnt(0)
	ds_write_b64 v27, v[10:11] offset:17184
	ds_read_b64 v[10:11], v26 offset:18704
	;; [unrolled: 3-line block ×3, first 2 shown]
	s_waitcnt lgkmcnt(0)
	ds_write_b64 v27, v[10:11] offset:18208
.LBB134_463:
	s_or_b64 exec, exec, s[14:15]
	s_waitcnt lgkmcnt(0)
	s_barrier
	s_and_saveexec_b64 s[14:15], vcc
	s_cbranch_execz .LBB134_465
; %bb.464:
	v_mov_b32_e32 v26, 0
	ds_read_b64 v[28:29], v26 offset:18192
	v_mov_b32_e32 v27, 0x3ff00000
	ds_write_b64 v26, v[26:27] offset:18200
	s_waitcnt lgkmcnt(1)
	ds_write_b128 v26, v[26:29] offset:17680
.LBB134_465:
	s_or_b64 exec, exec, s[14:15]
	v_mov_b32_e32 v10, 0
	v_mov_b32_e32 v11, 0
	s_waitcnt lgkmcnt(0)
	s_barrier
	buffer_wbinvl1_vol
	s_and_saveexec_b64 s[16:17], s[2:3]
	s_cbranch_execz .LBB134_469
; %bb.466:
	v_lshlrev_b32_e32 v26, 9, v13
	v_lshlrev_b32_e32 v10, 3, v12
	ds_read_b64 v[10:11], v10 offset:17664
	ds_read_b64 v[26:27], v26 offset:17680
	v_cmp_gt_u32_e64 s[14:15], 2, v15
	s_waitcnt lgkmcnt(0)
	v_fma_f64 v[10:11], v[10:11], v[26:27], 0
	s_and_saveexec_b64 s[20:21], s[14:15]
	s_cbranch_execz .LBB134_468
; %bb.467:
	v_lshlrev_b32_e32 v26, 3, v0
	v_mov_b32_e32 v28, 0
	ds_read_b64 v[26:27], v26 offset:18176
	ds_read_b64 v[28:29], v28 offset:18200
	s_waitcnt lgkmcnt(0)
	v_fma_f64 v[10:11], v[26:27], v[28:29], v[10:11]
.LBB134_468:
	s_or_b64 exec, exec, s[20:21]
.LBB134_469:
	s_or_b64 exec, exec, s[16:17]
	s_and_saveexec_b64 s[0:1], s[40:41]
; %bb.470:
	v_xor_b32_e32 v27, 0x80000000, v11
	v_mov_b32_e32 v26, v10
	ds_write_b64 v14, v[26:27]
; %bb.471:
	s_or_b64 exec, exec, s[0:1]
	s_waitcnt lgkmcnt(0)
	s_barrier
	s_and_saveexec_b64 s[0:1], s[38:39]
	s_cbranch_execz .LBB134_473
; %bb.472:
	v_mov_b32_e32 v26, 0
	ds_read_b64 v[26:27], v26 offset:17152
	ds_read_b64 v[28:29], v14
	s_waitcnt lgkmcnt(0)
	v_fma_f64 v[10:11], -v[26:27], v[28:29], v[10:11]
.LBB134_473:
	s_or_b64 exec, exec, s[0:1]
	s_barrier
	s_and_saveexec_b64 s[0:1], s[38:39]
; %bb.474:
	v_xor_b32_e32 v27, 0x80000000, v11
	v_mov_b32_e32 v26, v10
	ds_write_b64 v14, v[26:27]
; %bb.475:
	s_or_b64 exec, exec, s[0:1]
	s_waitcnt lgkmcnt(0)
	s_barrier
	s_barrier
	s_and_saveexec_b64 s[0:1], s[2:3]
; %bb.476:
	v_lshlrev_b32_e32 v26, 3, v12
	v_lshl_or_b32 v26, v13, 9, v26
	ds_write_b64 v26, v[10:11] offset:17664
; %bb.477:
	s_or_b64 exec, exec, s[0:1]
	s_waitcnt lgkmcnt(0)
	s_barrier
	s_barrier
	s_and_saveexec_b64 s[14:15], s[42:43]
	s_cbranch_execz .LBB134_479
; %bb.478:
	v_lshlrev_b32_e32 v26, 3, v0
	s_movk_i32 s0, 0x1f8
	v_mad_u32_u24 v27, v0, s0, v26
	ds_read_b64 v[10:11], v27 offset:17664
	s_waitcnt lgkmcnt(0)
	ds_write_b64 v26, v[10:11] offset:16656
	ds_read_b64 v[10:11], v27 offset:17672
	s_waitcnt lgkmcnt(0)
	ds_write_b64 v26, v[10:11] offset:17168
.LBB134_479:
	s_or_b64 exec, exec, s[14:15]
	s_waitcnt lgkmcnt(0)
	s_barrier
	s_and_saveexec_b64 s[14:15], vcc
	s_cbranch_execz .LBB134_481
; %bb.480:
	v_mov_b32_e32 v26, 0
	ds_read_b64 v[28:29], v26 offset:17152
	v_mov_b32_e32 v27, 0x3ff00000
	ds_write_b64 v26, v[26:27] offset:17160
	s_waitcnt lgkmcnt(1)
	ds_write_b128 v26, v[26:29] offset:16640
.LBB134_481:
	s_or_b64 exec, exec, s[14:15]
	s_movk_i32 s0, 0x3ff
	v_and_b32_e32 v28, 31, v0
	v_lshrrev_b32_e32 v29, 5, v15
	v_cmp_lt_u32_e64 s[16:17], s0, v15
	s_movk_i32 s0, 0x400
	v_mov_b32_e32 v10, 0
	v_sub_u32_e32 v26, 31, v29
	v_cmp_gt_u32_e64 s[14:15], s0, v15
	v_mov_b32_e32 v11, 0
	v_lshlrev_b32_e32 v27, 3, v28
	s_waitcnt lgkmcnt(0)
	s_barrier
	buffer_wbinvl1_vol
	s_and_saveexec_b64 s[94:95], s[14:15]
	s_cbranch_execz .LBB134_543
; %bb.482:
	v_lshlrev_b32_e32 v30, 9, v26
	ds_read_b64 v[10:11], v27 offset:16384
	ds_read_b64 v[31:32], v30 offset:16640
	s_movk_i32 s0, 0x3e0
	v_cmp_gt_u32_e64 s[20:21], s0, v15
	s_waitcnt lgkmcnt(0)
	v_fma_f64 v[10:11], v[10:11], v[31:32], 0
	s_and_saveexec_b64 s[0:1], s[20:21]
	s_cbranch_execz .LBB134_484
; %bb.483:
	ds_read_b64 v[31:32], v27 offset:16896
	ds_read_b64 v[33:34], v30 offset:16648
	s_waitcnt lgkmcnt(0)
	v_fma_f64 v[10:11], v[31:32], v[33:34], v[10:11]
.LBB134_484:
	s_or_b64 exec, exec, s[0:1]
	s_movk_i32 s0, 0x3c0
	v_cmp_gt_u32_e64 s[20:21], s0, v15
	s_and_saveexec_b64 s[0:1], s[20:21]
	s_cbranch_execz .LBB134_486
; %bb.485:
	ds_read_b64 v[31:32], v27 offset:17408
	ds_read_b64 v[33:34], v30 offset:16656
	s_waitcnt lgkmcnt(0)
	v_fma_f64 v[10:11], v[31:32], v[33:34], v[10:11]
.LBB134_486:
	s_or_b64 exec, exec, s[0:1]
	s_movk_i32 s0, 0x3a0
	v_cmp_gt_u32_e64 s[20:21], s0, v15
	s_and_saveexec_b64 s[0:1], s[20:21]
	s_cbranch_execz .LBB134_488
; %bb.487:
	ds_read_b64 v[31:32], v27 offset:17920
	ds_read_b64 v[33:34], v30 offset:16664
	s_waitcnt lgkmcnt(0)
	v_fma_f64 v[10:11], v[31:32], v[33:34], v[10:11]
.LBB134_488:
	s_or_b64 exec, exec, s[0:1]
	s_movk_i32 s0, 0x380
	v_cmp_gt_u32_e64 s[20:21], s0, v15
	s_and_saveexec_b64 s[0:1], s[20:21]
	s_cbranch_execz .LBB134_490
; %bb.489:
	ds_read_b64 v[31:32], v27 offset:18432
	ds_read_b64 v[33:34], v30 offset:16672
	s_waitcnt lgkmcnt(0)
	v_fma_f64 v[10:11], v[31:32], v[33:34], v[10:11]
.LBB134_490:
	s_or_b64 exec, exec, s[0:1]
	s_movk_i32 s0, 0x360
	v_cmp_gt_u32_e64 s[20:21], s0, v15
	s_and_saveexec_b64 s[0:1], s[20:21]
	s_cbranch_execz .LBB134_492
; %bb.491:
	ds_read_b64 v[31:32], v27 offset:18944
	ds_read_b64 v[33:34], v30 offset:16680
	s_waitcnt lgkmcnt(0)
	v_fma_f64 v[10:11], v[31:32], v[33:34], v[10:11]
.LBB134_492:
	s_or_b64 exec, exec, s[0:1]
	s_movk_i32 s0, 0x340
	v_cmp_gt_u32_e64 s[20:21], s0, v15
	s_and_saveexec_b64 s[0:1], s[20:21]
	s_cbranch_execz .LBB134_494
; %bb.493:
	ds_read_b64 v[31:32], v27 offset:19456
	ds_read_b64 v[33:34], v30 offset:16688
	s_waitcnt lgkmcnt(0)
	v_fma_f64 v[10:11], v[31:32], v[33:34], v[10:11]
.LBB134_494:
	s_or_b64 exec, exec, s[0:1]
	s_movk_i32 s0, 0x320
	v_cmp_gt_u32_e64 s[20:21], s0, v15
	s_and_saveexec_b64 s[0:1], s[20:21]
	s_cbranch_execz .LBB134_496
; %bb.495:
	ds_read_b64 v[31:32], v27 offset:19968
	ds_read_b64 v[33:34], v30 offset:16696
	s_waitcnt lgkmcnt(0)
	v_fma_f64 v[10:11], v[31:32], v[33:34], v[10:11]
.LBB134_496:
	s_or_b64 exec, exec, s[0:1]
	s_movk_i32 s0, 0x300
	v_cmp_gt_u32_e64 s[20:21], s0, v15
	s_and_saveexec_b64 s[0:1], s[20:21]
	s_cbranch_execz .LBB134_498
; %bb.497:
	ds_read_b64 v[31:32], v27 offset:20480
	ds_read_b64 v[33:34], v30 offset:16704
	s_waitcnt lgkmcnt(0)
	v_fma_f64 v[10:11], v[31:32], v[33:34], v[10:11]
.LBB134_498:
	s_or_b64 exec, exec, s[0:1]
	s_movk_i32 s0, 0x2e0
	v_cmp_gt_u32_e64 s[20:21], s0, v15
	s_and_saveexec_b64 s[0:1], s[20:21]
	s_cbranch_execz .LBB134_500
; %bb.499:
	ds_read_b64 v[31:32], v27 offset:20992
	ds_read_b64 v[33:34], v30 offset:16712
	s_waitcnt lgkmcnt(0)
	v_fma_f64 v[10:11], v[31:32], v[33:34], v[10:11]
.LBB134_500:
	s_or_b64 exec, exec, s[0:1]
	s_movk_i32 s0, 0x2c0
	v_cmp_gt_u32_e64 s[20:21], s0, v15
	s_and_saveexec_b64 s[0:1], s[20:21]
	s_cbranch_execz .LBB134_502
; %bb.501:
	ds_read_b64 v[31:32], v27 offset:21504
	ds_read_b64 v[33:34], v30 offset:16720
	s_waitcnt lgkmcnt(0)
	v_fma_f64 v[10:11], v[31:32], v[33:34], v[10:11]
.LBB134_502:
	s_or_b64 exec, exec, s[0:1]
	s_movk_i32 s0, 0x2a0
	v_cmp_gt_u32_e64 s[20:21], s0, v15
	s_and_saveexec_b64 s[0:1], s[20:21]
	s_cbranch_execz .LBB134_504
; %bb.503:
	ds_read_b64 v[31:32], v27 offset:22016
	ds_read_b64 v[33:34], v30 offset:16728
	s_waitcnt lgkmcnt(0)
	v_fma_f64 v[10:11], v[31:32], v[33:34], v[10:11]
.LBB134_504:
	s_or_b64 exec, exec, s[0:1]
	s_movk_i32 s0, 0x280
	v_cmp_gt_u32_e64 s[20:21], s0, v15
	s_and_saveexec_b64 s[0:1], s[20:21]
	s_cbranch_execz .LBB134_506
; %bb.505:
	ds_read_b64 v[31:32], v27 offset:22528
	ds_read_b64 v[33:34], v30 offset:16736
	s_waitcnt lgkmcnt(0)
	v_fma_f64 v[10:11], v[31:32], v[33:34], v[10:11]
.LBB134_506:
	s_or_b64 exec, exec, s[0:1]
	s_movk_i32 s0, 0x260
	v_cmp_gt_u32_e64 s[20:21], s0, v15
	s_and_saveexec_b64 s[0:1], s[20:21]
	s_cbranch_execz .LBB134_508
; %bb.507:
	ds_read_b64 v[31:32], v27 offset:23040
	ds_read_b64 v[33:34], v30 offset:16744
	s_waitcnt lgkmcnt(0)
	v_fma_f64 v[10:11], v[31:32], v[33:34], v[10:11]
.LBB134_508:
	s_or_b64 exec, exec, s[0:1]
	s_movk_i32 s0, 0x240
	v_cmp_gt_u32_e64 s[20:21], s0, v15
	s_and_saveexec_b64 s[0:1], s[20:21]
	s_cbranch_execz .LBB134_510
; %bb.509:
	ds_read_b64 v[31:32], v27 offset:23552
	ds_read_b64 v[33:34], v30 offset:16752
	s_waitcnt lgkmcnt(0)
	v_fma_f64 v[10:11], v[31:32], v[33:34], v[10:11]
.LBB134_510:
	s_or_b64 exec, exec, s[0:1]
	s_movk_i32 s0, 0x220
	v_cmp_gt_u32_e64 s[20:21], s0, v15
	s_and_saveexec_b64 s[0:1], s[20:21]
	s_cbranch_execz .LBB134_512
; %bb.511:
	ds_read_b64 v[31:32], v27 offset:24064
	ds_read_b64 v[33:34], v30 offset:16760
	s_waitcnt lgkmcnt(0)
	v_fma_f64 v[10:11], v[31:32], v[33:34], v[10:11]
.LBB134_512:
	s_or_b64 exec, exec, s[0:1]
	s_movk_i32 s0, 0x200
	v_cmp_gt_u32_e64 s[20:21], s0, v15
	s_and_saveexec_b64 s[0:1], s[20:21]
	s_cbranch_execz .LBB134_514
; %bb.513:
	ds_read_b64 v[31:32], v27 offset:24576
	ds_read_b64 v[33:34], v30 offset:16768
	s_waitcnt lgkmcnt(0)
	v_fma_f64 v[10:11], v[31:32], v[33:34], v[10:11]
.LBB134_514:
	s_or_b64 exec, exec, s[0:1]
	s_movk_i32 s0, 0x1e0
	v_cmp_gt_u32_e64 s[20:21], s0, v15
	s_and_saveexec_b64 s[0:1], s[20:21]
	s_cbranch_execz .LBB134_516
; %bb.515:
	ds_read_b64 v[31:32], v27 offset:25088
	ds_read_b64 v[33:34], v30 offset:16776
	s_waitcnt lgkmcnt(0)
	v_fma_f64 v[10:11], v[31:32], v[33:34], v[10:11]
.LBB134_516:
	s_or_b64 exec, exec, s[0:1]
	s_movk_i32 s0, 0x1c0
	v_cmp_gt_u32_e64 s[20:21], s0, v15
	s_and_saveexec_b64 s[0:1], s[20:21]
	s_cbranch_execz .LBB134_518
; %bb.517:
	ds_read_b64 v[31:32], v27 offset:25600
	ds_read_b64 v[33:34], v30 offset:16784
	s_waitcnt lgkmcnt(0)
	v_fma_f64 v[10:11], v[31:32], v[33:34], v[10:11]
.LBB134_518:
	s_or_b64 exec, exec, s[0:1]
	s_movk_i32 s0, 0x1a0
	v_cmp_gt_u32_e64 s[20:21], s0, v15
	s_and_saveexec_b64 s[0:1], s[20:21]
	s_cbranch_execz .LBB134_520
; %bb.519:
	ds_read_b64 v[31:32], v27 offset:26112
	ds_read_b64 v[33:34], v30 offset:16792
	s_waitcnt lgkmcnt(0)
	v_fma_f64 v[10:11], v[31:32], v[33:34], v[10:11]
.LBB134_520:
	s_or_b64 exec, exec, s[0:1]
	s_movk_i32 s0, 0x180
	v_cmp_gt_u32_e64 s[20:21], s0, v15
	s_and_saveexec_b64 s[0:1], s[20:21]
	s_cbranch_execz .LBB134_522
; %bb.521:
	ds_read_b64 v[31:32], v27 offset:26624
	ds_read_b64 v[33:34], v30 offset:16800
	s_waitcnt lgkmcnt(0)
	v_fma_f64 v[10:11], v[31:32], v[33:34], v[10:11]
.LBB134_522:
	s_or_b64 exec, exec, s[0:1]
	s_movk_i32 s0, 0x160
	v_cmp_gt_u32_e64 s[20:21], s0, v15
	s_and_saveexec_b64 s[0:1], s[20:21]
	s_cbranch_execz .LBB134_524
; %bb.523:
	ds_read_b64 v[31:32], v27 offset:27136
	ds_read_b64 v[33:34], v30 offset:16808
	s_waitcnt lgkmcnt(0)
	v_fma_f64 v[10:11], v[31:32], v[33:34], v[10:11]
.LBB134_524:
	s_or_b64 exec, exec, s[0:1]
	s_movk_i32 s0, 0x140
	v_cmp_gt_u32_e64 s[20:21], s0, v15
	s_and_saveexec_b64 s[0:1], s[20:21]
	s_cbranch_execz .LBB134_526
; %bb.525:
	ds_read_b64 v[31:32], v27 offset:27648
	ds_read_b64 v[33:34], v30 offset:16816
	s_waitcnt lgkmcnt(0)
	v_fma_f64 v[10:11], v[31:32], v[33:34], v[10:11]
.LBB134_526:
	s_or_b64 exec, exec, s[0:1]
	s_movk_i32 s0, 0x120
	v_cmp_gt_u32_e64 s[20:21], s0, v15
	s_and_saveexec_b64 s[0:1], s[20:21]
	s_cbranch_execz .LBB134_528
; %bb.527:
	ds_read_b64 v[31:32], v27 offset:28160
	ds_read_b64 v[33:34], v30 offset:16824
	s_waitcnt lgkmcnt(0)
	v_fma_f64 v[10:11], v[31:32], v[33:34], v[10:11]
.LBB134_528:
	s_or_b64 exec, exec, s[0:1]
	s_and_saveexec_b64 s[0:1], s[10:11]
	s_cbranch_execz .LBB134_530
; %bb.529:
	ds_read_b64 v[31:32], v27 offset:28672
	ds_read_b64 v[33:34], v30 offset:16832
	s_waitcnt lgkmcnt(0)
	v_fma_f64 v[10:11], v[31:32], v[33:34], v[10:11]
.LBB134_530:
	s_or_b64 exec, exec, s[0:1]
	s_movk_i32 s0, 0xe0
	v_cmp_gt_u32_e64 s[20:21], s0, v15
	s_and_saveexec_b64 s[0:1], s[20:21]
	s_cbranch_execz .LBB134_532
; %bb.531:
	ds_read_b64 v[31:32], v27 offset:29184
	ds_read_b64 v[33:34], v30 offset:16840
	s_waitcnt lgkmcnt(0)
	v_fma_f64 v[10:11], v[31:32], v[33:34], v[10:11]
.LBB134_532:
	s_or_b64 exec, exec, s[0:1]
	s_movk_i32 s0, 0xc0
	v_cmp_gt_u32_e64 s[20:21], s0, v15
	s_and_saveexec_b64 s[0:1], s[20:21]
	s_cbranch_execz .LBB134_534
; %bb.533:
	ds_read_b64 v[31:32], v27 offset:29696
	ds_read_b64 v[33:34], v30 offset:16848
	s_waitcnt lgkmcnt(0)
	v_fma_f64 v[10:11], v[31:32], v[33:34], v[10:11]
.LBB134_534:
	s_or_b64 exec, exec, s[0:1]
	s_movk_i32 s0, 0xa0
	v_cmp_gt_u32_e64 s[20:21], s0, v15
	s_and_saveexec_b64 s[0:1], s[20:21]
	s_cbranch_execz .LBB134_536
; %bb.535:
	ds_read_b64 v[31:32], v27 offset:30208
	ds_read_b64 v[33:34], v30 offset:16856
	s_waitcnt lgkmcnt(0)
	v_fma_f64 v[10:11], v[31:32], v[33:34], v[10:11]
.LBB134_536:
	s_or_b64 exec, exec, s[0:1]
	s_movk_i32 s0, 0x80
	v_cmp_gt_u32_e64 s[20:21], s0, v15
	s_and_saveexec_b64 s[0:1], s[20:21]
	s_cbranch_execz .LBB134_538
; %bb.537:
	ds_read_b64 v[31:32], v27 offset:30720
	ds_read_b64 v[33:34], v30 offset:16864
	s_waitcnt lgkmcnt(0)
	v_fma_f64 v[10:11], v[31:32], v[33:34], v[10:11]
.LBB134_538:
	s_or_b64 exec, exec, s[0:1]
	s_movk_i32 s0, 0x60
	v_cmp_gt_u32_e64 s[20:21], s0, v15
	s_and_saveexec_b64 s[0:1], s[20:21]
	s_cbranch_execnz .LBB134_1196
; %bb.539:
	s_or_b64 exec, exec, s[0:1]
	s_and_saveexec_b64 s[0:1], s[8:9]
	s_cbranch_execnz .LBB134_1197
.LBB134_540:
	s_or_b64 exec, exec, s[0:1]
	v_cmp_gt_u32_e64 s[20:21], 32, v15
	s_and_saveexec_b64 s[0:1], s[20:21]
	s_cbranch_execz .LBB134_542
.LBB134_541:
	v_lshlrev_b32_e32 v30, 3, v0
	v_mov_b32_e32 v32, 0
	ds_read_b64 v[30:31], v30 offset:32256
	ds_read_b64 v[32:33], v32 offset:32760
	s_waitcnt lgkmcnt(0)
	v_fma_f64 v[10:11], v[30:31], v[32:33], v[10:11]
.LBB134_542:
	s_or_b64 exec, exec, s[0:1]
.LBB134_543:
	s_or_b64 exec, exec, s[94:95]
	v_mov_b32_e32 v30, 0x8000
	v_cmp_eq_u32_e64 s[20:21], 31, v28
	s_xor_b64 s[94:95], s[16:17], -1
	v_lshl_add_u32 v29, v29, 3, v30
	s_and_b64 s[16:17], s[94:95], s[20:21]
	s_and_saveexec_b64 s[0:1], s[16:17]
; %bb.544:
	v_xor_b32_e32 v31, 0x80000000, v11
	v_mov_b32_e32 v30, v10
	ds_write_b64 v29, v[30:31]
; %bb.545:
	s_or_b64 exec, exec, s[0:1]
	v_cmp_ne_u32_e64 s[16:17], 31, v28
	s_and_b64 s[16:17], s[94:95], s[16:17]
	s_waitcnt lgkmcnt(0)
	s_barrier
	s_and_saveexec_b64 s[0:1], s[16:17]
	s_cbranch_execz .LBB134_547
; %bb.546:
	ds_read_b64 v[30:31], v27 offset:15872
	ds_read_b64 v[32:33], v29
	s_waitcnt lgkmcnt(0)
	v_fma_f64 v[10:11], -v[30:31], v[32:33], v[10:11]
.LBB134_547:
	s_or_b64 exec, exec, s[0:1]
	v_cmp_eq_u32_e64 s[16:17], 30, v28
	s_and_b64 s[16:17], s[94:95], s[16:17]
	s_barrier
	s_and_saveexec_b64 s[0:1], s[16:17]
; %bb.548:
	v_xor_b32_e32 v31, 0x80000000, v11
	v_mov_b32_e32 v30, v10
	ds_write_b64 v29, v[30:31]
; %bb.549:
	s_or_b64 exec, exec, s[0:1]
	v_cmp_gt_u32_e64 s[16:17], 30, v28
	s_and_b64 s[16:17], s[94:95], s[16:17]
	s_waitcnt lgkmcnt(0)
	s_barrier
	s_and_saveexec_b64 s[0:1], s[16:17]
	s_cbranch_execz .LBB134_551
; %bb.550:
	ds_read_b64 v[30:31], v27 offset:15360
	ds_read_b64 v[32:33], v29
	s_waitcnt lgkmcnt(0)
	v_fma_f64 v[10:11], -v[30:31], v[32:33], v[10:11]
.LBB134_551:
	s_or_b64 exec, exec, s[0:1]
	v_cmp_eq_u32_e64 s[16:17], 29, v28
	s_and_b64 s[16:17], s[94:95], s[16:17]
	s_barrier
	s_and_saveexec_b64 s[0:1], s[16:17]
; %bb.552:
	v_xor_b32_e32 v31, 0x80000000, v11
	v_mov_b32_e32 v30, v10
	ds_write_b64 v29, v[30:31]
; %bb.553:
	s_or_b64 exec, exec, s[0:1]
	v_cmp_gt_u32_e64 s[16:17], 29, v28
	;; [unrolled: 23-line block ×29, first 2 shown]
	s_and_b64 s[16:17], s[94:95], s[16:17]
	s_waitcnt lgkmcnt(0)
	s_barrier
	s_and_saveexec_b64 s[0:1], s[16:17]
	s_cbranch_execz .LBB134_663
; %bb.662:
	ds_read_b64 v[30:31], v27 offset:1024
	ds_read_b64 v[32:33], v29
	s_waitcnt lgkmcnt(0)
	v_fma_f64 v[10:11], -v[30:31], v[32:33], v[10:11]
.LBB134_663:
	s_or_b64 exec, exec, s[0:1]
	v_cmp_eq_u32_e64 s[16:17], 1, v28
	s_and_b64 s[16:17], s[94:95], s[16:17]
	s_barrier
	s_and_saveexec_b64 s[0:1], s[16:17]
; %bb.664:
	v_xor_b32_e32 v31, 0x80000000, v11
	v_mov_b32_e32 v30, v10
	ds_write_b64 v29, v[30:31]
; %bb.665:
	s_or_b64 exec, exec, s[0:1]
	v_cmp_eq_u32_e64 s[16:17], 0, v28
	s_and_b64 s[16:17], s[94:95], s[16:17]
	s_waitcnt lgkmcnt(0)
	s_barrier
	s_and_saveexec_b64 s[0:1], s[16:17]
	s_cbranch_execz .LBB134_667
; %bb.666:
	ds_read_b64 v[30:31], v27 offset:512
	ds_read_b64 v[32:33], v29
	s_waitcnt lgkmcnt(0)
	v_fma_f64 v[10:11], -v[30:31], v[32:33], v[10:11]
.LBB134_667:
	s_or_b64 exec, exec, s[0:1]
	s_barrier
	s_and_saveexec_b64 s[0:1], s[16:17]
; %bb.668:
	v_xor_b32_e32 v31, 0x80000000, v11
	v_mov_b32_e32 v30, v10
	ds_write_b64 v29, v[30:31]
; %bb.669:
	s_or_b64 exec, exec, s[0:1]
	s_waitcnt lgkmcnt(0)
	s_barrier
	s_barrier
	s_and_saveexec_b64 s[0:1], s[14:15]
; %bb.670:
	v_lshl_or_b32 v26, v26, 9, v27
	ds_write_b64 v26, v[10:11] offset:16384
; %bb.671:
	s_or_b64 exec, exec, s[0:1]
	v_cmp_gt_u32_e64 s[14:15], 32, v0
	s_and_b64 s[0:1], s[12:13], s[14:15]
	s_waitcnt lgkmcnt(0)
	s_barrier
	s_barrier
	s_and_saveexec_b64 s[12:13], s[0:1]
	s_cbranch_execz .LBB134_673
; %bb.672:
	v_lshlrev_b32_e32 v26, 9, v0
	ds_read_b64 v[10:11], v26 offset:16384
	s_movk_i32 s0, 0xfe08
	v_mad_i32_i24 v27, v0, s0, v26
	s_waitcnt lgkmcnt(0)
	ds_write_b64 v27, v[10:11] offset:256
	ds_read_b64 v[10:11], v26 offset:16392
	s_waitcnt lgkmcnt(0)
	ds_write_b64 v27, v[10:11] offset:768
	ds_read_b64 v[10:11], v26 offset:16400
	;; [unrolled: 3-line block ×31, first 2 shown]
	s_waitcnt lgkmcnt(0)
	ds_write_b64 v27, v[10:11] offset:16128
.LBB134_673:
	s_or_b64 exec, exec, s[12:13]
	s_waitcnt lgkmcnt(0)
	s_barrier
	s_and_saveexec_b64 s[12:13], vcc
	s_cbranch_execz .LBB134_675
; %bb.674:
	v_mov_b32_e32 v26, 0
	ds_read_b64 v[28:29], v26 offset:16112
	v_mov_b32_e32 v27, 0x3ff00000
	ds_write_b64 v26, v[26:27] offset:16120
	s_waitcnt lgkmcnt(1)
	ds_write_b128 v26, v[26:29] offset:15600
.LBB134_675:
	s_or_b64 exec, exec, s[12:13]
	v_mov_b32_e32 v10, 0
	v_mov_b32_e32 v11, 0
	s_waitcnt lgkmcnt(0)
	s_barrier
	buffer_wbinvl1_vol
	s_and_saveexec_b64 s[14:15], s[2:3]
	s_cbranch_execz .LBB134_679
; %bb.676:
	v_lshlrev_b32_e32 v26, 9, v13
	v_lshlrev_b32_e32 v10, 3, v12
	ds_read_b64 v[10:11], v10 offset:15584
	ds_read_b64 v[26:27], v26 offset:15600
	v_cmp_gt_u32_e64 s[12:13], 2, v15
	s_waitcnt lgkmcnt(0)
	v_fma_f64 v[10:11], v[10:11], v[26:27], 0
	s_and_saveexec_b64 s[0:1], s[12:13]
	s_cbranch_execz .LBB134_678
; %bb.677:
	v_lshlrev_b32_e32 v26, 3, v0
	v_mov_b32_e32 v28, 0
	ds_read_b64 v[26:27], v26 offset:16096
	ds_read_b64 v[28:29], v28 offset:16120
	s_waitcnt lgkmcnt(0)
	v_fma_f64 v[10:11], v[26:27], v[28:29], v[10:11]
.LBB134_678:
	s_or_b64 exec, exec, s[0:1]
.LBB134_679:
	s_or_b64 exec, exec, s[14:15]
	s_and_saveexec_b64 s[0:1], s[40:41]
; %bb.680:
	v_xor_b32_e32 v27, 0x80000000, v11
	v_mov_b32_e32 v26, v10
	ds_write_b64 v14, v[26:27]
; %bb.681:
	s_or_b64 exec, exec, s[0:1]
	s_waitcnt lgkmcnt(0)
	s_barrier
	s_and_saveexec_b64 s[0:1], s[38:39]
	s_cbranch_execz .LBB134_683
; %bb.682:
	v_mov_b32_e32 v26, 0
	ds_read_b64 v[26:27], v26 offset:15072
	ds_read_b64 v[28:29], v14
	s_waitcnt lgkmcnt(0)
	v_fma_f64 v[10:11], -v[26:27], v[28:29], v[10:11]
.LBB134_683:
	s_or_b64 exec, exec, s[0:1]
	s_barrier
	s_and_saveexec_b64 s[0:1], s[38:39]
; %bb.684:
	v_xor_b32_e32 v27, 0x80000000, v11
	v_mov_b32_e32 v26, v10
	ds_write_b64 v14, v[26:27]
; %bb.685:
	s_or_b64 exec, exec, s[0:1]
	s_waitcnt lgkmcnt(0)
	s_barrier
	s_barrier
	s_and_saveexec_b64 s[0:1], s[2:3]
; %bb.686:
	v_lshlrev_b32_e32 v26, 3, v12
	v_lshl_or_b32 v26, v13, 9, v26
	ds_write_b64 v26, v[10:11] offset:15584
; %bb.687:
	s_or_b64 exec, exec, s[0:1]
	s_waitcnt lgkmcnt(0)
	s_barrier
	s_barrier
	s_and_saveexec_b64 s[0:1], s[42:43]
	s_cbranch_execz .LBB134_689
; %bb.688:
	v_lshlrev_b32_e32 v26, 3, v0
	s_movk_i32 s12, 0x1f8
	v_mad_u32_u24 v27, v0, s12, v26
	ds_read_b64 v[10:11], v27 offset:15584
	s_waitcnt lgkmcnt(0)
	ds_write_b64 v26, v[10:11] offset:14576
	ds_read_b64 v[10:11], v27 offset:15592
	s_waitcnt lgkmcnt(0)
	ds_write_b64 v26, v[10:11] offset:15088
.LBB134_689:
	s_or_b64 exec, exec, s[0:1]
	s_waitcnt lgkmcnt(0)
	s_barrier
	s_and_saveexec_b64 s[12:13], vcc
	s_cbranch_execz .LBB134_691
; %bb.690:
	v_mov_b32_e32 v26, 0
	ds_read_b64 v[28:29], v26 offset:15072
	v_mov_b32_e32 v27, 0x3ff00000
	ds_write_b64 v26, v[26:27] offset:15080
	s_waitcnt lgkmcnt(1)
	ds_write_b128 v26, v[26:29] offset:14560
.LBB134_691:
	s_or_b64 exec, exec, s[12:13]
	v_mov_b32_e32 v10, 0
	v_mov_b32_e32 v11, 0
	s_waitcnt lgkmcnt(0)
	s_barrier
	buffer_wbinvl1_vol
	s_and_saveexec_b64 s[14:15], s[18:19]
	s_cbranch_execz .LBB134_697
; %bb.692:
	v_lshlrev_b32_e32 v27, 3, v16
	v_lshlrev_b32_e32 v26, 9, v17
	ds_read_b64 v[10:11], v27 offset:14528
	ds_read_b64 v[28:29], v26 offset:14560
	v_cmp_gt_u32_e64 s[12:13], 12, v15
	s_waitcnt lgkmcnt(0)
	v_fma_f64 v[10:11], v[10:11], v[28:29], 0
	s_and_saveexec_b64 s[0:1], s[12:13]
	s_cbranch_execnz .LBB134_1198
; %bb.693:
	s_or_b64 exec, exec, s[0:1]
	v_cmp_gt_u32_e64 s[12:13], 8, v15
	s_and_saveexec_b64 s[0:1], s[12:13]
	s_cbranch_execnz .LBB134_1199
.LBB134_694:
	s_or_b64 exec, exec, s[0:1]
	v_cmp_gt_u32_e64 s[12:13], 4, v15
	s_and_saveexec_b64 s[0:1], s[12:13]
	s_cbranch_execz .LBB134_696
.LBB134_695:
	v_lshlrev_b32_e32 v26, 3, v0
	v_mov_b32_e32 v28, 0
	ds_read_b64 v[26:27], v26 offset:16064
	ds_read_b64 v[28:29], v28 offset:16120
	s_waitcnt lgkmcnt(0)
	v_fma_f64 v[10:11], v[26:27], v[28:29], v[10:11]
.LBB134_696:
	s_or_b64 exec, exec, s[0:1]
.LBB134_697:
	s_or_b64 exec, exec, s[14:15]
	s_and_saveexec_b64 s[0:1], s[46:47]
; %bb.698:
	v_xor_b32_e32 v27, 0x80000000, v11
	v_mov_b32_e32 v26, v10
	ds_write_b64 v19, v[26:27]
; %bb.699:
	s_or_b64 exec, exec, s[0:1]
	s_waitcnt lgkmcnt(0)
	s_barrier
	s_and_saveexec_b64 s[0:1], s[48:49]
	s_cbranch_execz .LBB134_701
; %bb.700:
	v_lshlrev_b32_e32 v26, 3, v16
	ds_read_b64 v[26:27], v26 offset:14016
	ds_read_b64 v[28:29], v19
	s_waitcnt lgkmcnt(0)
	v_fma_f64 v[10:11], -v[26:27], v[28:29], v[10:11]
.LBB134_701:
	s_or_b64 exec, exec, s[0:1]
	s_barrier
	s_and_saveexec_b64 s[0:1], s[50:51]
; %bb.702:
	v_xor_b32_e32 v27, 0x80000000, v11
	v_mov_b32_e32 v26, v10
	ds_write_b64 v19, v[26:27]
; %bb.703:
	s_or_b64 exec, exec, s[0:1]
	s_waitcnt lgkmcnt(0)
	s_barrier
	s_and_saveexec_b64 s[0:1], s[52:53]
	s_cbranch_execz .LBB134_705
; %bb.704:
	v_lshlrev_b32_e32 v26, 3, v16
	ds_read_b64 v[26:27], v26 offset:13504
	ds_read_b64 v[28:29], v19
	s_waitcnt lgkmcnt(0)
	v_fma_f64 v[10:11], -v[26:27], v[28:29], v[10:11]
.LBB134_705:
	s_or_b64 exec, exec, s[0:1]
	s_barrier
	s_and_saveexec_b64 s[0:1], s[54:55]
; %bb.706:
	v_xor_b32_e32 v27, 0x80000000, v11
	v_mov_b32_e32 v26, v10
	ds_write_b64 v19, v[26:27]
; %bb.707:
	s_or_b64 exec, exec, s[0:1]
	s_waitcnt lgkmcnt(0)
	s_barrier
	s_and_saveexec_b64 s[0:1], s[44:45]
	s_cbranch_execz .LBB134_709
; %bb.708:
	v_mov_b32_e32 v26, 0
	ds_read_b64 v[26:27], v26 offset:12992
	ds_read_b64 v[28:29], v19
	s_waitcnt lgkmcnt(0)
	v_fma_f64 v[10:11], -v[26:27], v[28:29], v[10:11]
.LBB134_709:
	s_or_b64 exec, exec, s[0:1]
	s_barrier
	s_and_saveexec_b64 s[0:1], s[44:45]
; %bb.710:
	v_xor_b32_e32 v27, 0x80000000, v11
	v_mov_b32_e32 v26, v10
	ds_write_b64 v19, v[26:27]
; %bb.711:
	s_or_b64 exec, exec, s[0:1]
	s_waitcnt lgkmcnt(0)
	s_barrier
	s_barrier
	s_and_saveexec_b64 s[0:1], s[18:19]
; %bb.712:
	v_lshlrev_b32_e32 v26, 3, v16
	v_lshl_or_b32 v26, v17, 9, v26
	ds_write_b64 v26, v[10:11] offset:14528
; %bb.713:
	s_or_b64 exec, exec, s[0:1]
	s_waitcnt lgkmcnt(0)
	s_barrier
	s_barrier
	s_and_saveexec_b64 s[12:13], s[56:57]
	s_cbranch_execz .LBB134_715
; %bb.714:
	v_lshlrev_b32_e32 v26, 9, v0
	ds_read_b64 v[10:11], v26 offset:14528
	s_movk_i32 s0, 0xfe08
	v_mad_i32_i24 v27, v0, s0, v26
	s_waitcnt lgkmcnt(0)
	ds_write_b64 v27, v[10:11] offset:12512
	ds_read_b64 v[10:11], v26 offset:14536
	s_waitcnt lgkmcnt(0)
	ds_write_b64 v27, v[10:11] offset:13024
	ds_read_b64 v[10:11], v26 offset:14544
	;; [unrolled: 3-line block ×3, first 2 shown]
	s_waitcnt lgkmcnt(0)
	ds_write_b64 v27, v[10:11] offset:14048
.LBB134_715:
	s_or_b64 exec, exec, s[12:13]
	s_waitcnt lgkmcnt(0)
	s_barrier
	s_and_saveexec_b64 s[12:13], vcc
	s_cbranch_execz .LBB134_717
; %bb.716:
	v_mov_b32_e32 v26, 0
	ds_read_b64 v[28:29], v26 offset:14032
	v_mov_b32_e32 v27, 0x3ff00000
	ds_write_b64 v26, v[26:27] offset:14040
	s_waitcnt lgkmcnt(1)
	ds_write_b128 v26, v[26:29] offset:13520
.LBB134_717:
	s_or_b64 exec, exec, s[12:13]
	v_mov_b32_e32 v10, 0
	v_mov_b32_e32 v11, 0
	s_waitcnt lgkmcnt(0)
	s_barrier
	buffer_wbinvl1_vol
	s_and_saveexec_b64 s[14:15], s[2:3]
	s_cbranch_execz .LBB134_721
; %bb.718:
	v_lshlrev_b32_e32 v26, 9, v13
	v_lshlrev_b32_e32 v10, 3, v12
	ds_read_b64 v[10:11], v10 offset:13504
	ds_read_b64 v[26:27], v26 offset:13520
	v_cmp_gt_u32_e64 s[12:13], 2, v15
	s_waitcnt lgkmcnt(0)
	v_fma_f64 v[10:11], v[10:11], v[26:27], 0
	s_and_saveexec_b64 s[0:1], s[12:13]
	s_cbranch_execz .LBB134_720
; %bb.719:
	v_lshlrev_b32_e32 v26, 3, v0
	v_mov_b32_e32 v28, 0
	ds_read_b64 v[26:27], v26 offset:14016
	ds_read_b64 v[28:29], v28 offset:14040
	s_waitcnt lgkmcnt(0)
	v_fma_f64 v[10:11], v[26:27], v[28:29], v[10:11]
.LBB134_720:
	s_or_b64 exec, exec, s[0:1]
.LBB134_721:
	s_or_b64 exec, exec, s[14:15]
	s_and_saveexec_b64 s[0:1], s[40:41]
; %bb.722:
	v_xor_b32_e32 v27, 0x80000000, v11
	v_mov_b32_e32 v26, v10
	ds_write_b64 v14, v[26:27]
; %bb.723:
	s_or_b64 exec, exec, s[0:1]
	s_waitcnt lgkmcnt(0)
	s_barrier
	s_and_saveexec_b64 s[0:1], s[38:39]
	s_cbranch_execz .LBB134_725
; %bb.724:
	v_mov_b32_e32 v26, 0
	ds_read_b64 v[26:27], v26 offset:12992
	ds_read_b64 v[28:29], v14
	s_waitcnt lgkmcnt(0)
	v_fma_f64 v[10:11], -v[26:27], v[28:29], v[10:11]
.LBB134_725:
	s_or_b64 exec, exec, s[0:1]
	s_barrier
	s_and_saveexec_b64 s[0:1], s[38:39]
; %bb.726:
	v_xor_b32_e32 v27, 0x80000000, v11
	v_mov_b32_e32 v26, v10
	ds_write_b64 v14, v[26:27]
; %bb.727:
	s_or_b64 exec, exec, s[0:1]
	s_waitcnt lgkmcnt(0)
	s_barrier
	s_barrier
	s_and_saveexec_b64 s[0:1], s[2:3]
; %bb.728:
	v_lshlrev_b32_e32 v26, 3, v12
	v_lshl_or_b32 v26, v13, 9, v26
	ds_write_b64 v26, v[10:11] offset:13504
; %bb.729:
	s_or_b64 exec, exec, s[0:1]
	s_waitcnt lgkmcnt(0)
	s_barrier
	s_barrier
	s_and_saveexec_b64 s[0:1], s[42:43]
	s_cbranch_execz .LBB134_731
; %bb.730:
	v_lshlrev_b32_e32 v26, 3, v0
	s_movk_i32 s12, 0x1f8
	v_mad_u32_u24 v27, v0, s12, v26
	ds_read_b64 v[10:11], v27 offset:13504
	s_waitcnt lgkmcnt(0)
	ds_write_b64 v26, v[10:11] offset:12496
	ds_read_b64 v[10:11], v27 offset:13512
	s_waitcnt lgkmcnt(0)
	ds_write_b64 v26, v[10:11] offset:13008
.LBB134_731:
	s_or_b64 exec, exec, s[0:1]
	s_waitcnt lgkmcnt(0)
	s_barrier
	s_and_saveexec_b64 s[12:13], vcc
	s_cbranch_execz .LBB134_733
; %bb.732:
	v_mov_b32_e32 v26, 0
	ds_read_b64 v[28:29], v26 offset:12992
	v_mov_b32_e32 v27, 0x3ff00000
	ds_write_b64 v26, v[26:27] offset:13000
	s_waitcnt lgkmcnt(1)
	ds_write_b128 v26, v[26:29] offset:12480
.LBB134_733:
	s_or_b64 exec, exec, s[12:13]
	v_mov_b32_e32 v10, 0
	v_mov_b32_e32 v11, 0
	s_waitcnt lgkmcnt(0)
	s_barrier
	buffer_wbinvl1_vol
	s_and_saveexec_b64 s[14:15], s[8:9]
	s_cbranch_execz .LBB134_743
; %bb.734:
	v_lshlrev_b32_e32 v27, 3, v20
	v_lshlrev_b32_e32 v26, 9, v21
	ds_read_b64 v[10:11], v27 offset:12416
	ds_read_b64 v[28:29], v26 offset:12480
	v_cmp_gt_u32_e64 s[12:13], 56, v15
	s_waitcnt lgkmcnt(0)
	v_fma_f64 v[10:11], v[10:11], v[28:29], 0
	s_and_saveexec_b64 s[0:1], s[12:13]
	s_cbranch_execnz .LBB134_1200
; %bb.735:
	s_or_b64 exec, exec, s[0:1]
	v_cmp_gt_u32_e64 s[12:13], 48, v15
	s_and_saveexec_b64 s[0:1], s[12:13]
	s_cbranch_execnz .LBB134_1201
.LBB134_736:
	s_or_b64 exec, exec, s[0:1]
	v_cmp_gt_u32_e64 s[12:13], 40, v15
	s_and_saveexec_b64 s[0:1], s[12:13]
	s_cbranch_execnz .LBB134_1202
.LBB134_737:
	s_or_b64 exec, exec, s[0:1]
	v_cmp_gt_u32_e64 s[12:13], 32, v15
	s_and_saveexec_b64 s[0:1], s[12:13]
	s_cbranch_execnz .LBB134_1203
.LBB134_738:
	s_or_b64 exec, exec, s[0:1]
	v_cmp_gt_u32_e64 s[12:13], 24, v15
	s_and_saveexec_b64 s[0:1], s[12:13]
	s_cbranch_execnz .LBB134_1204
.LBB134_739:
	s_or_b64 exec, exec, s[0:1]
	s_and_saveexec_b64 s[0:1], s[18:19]
	s_cbranch_execnz .LBB134_1205
.LBB134_740:
	s_or_b64 exec, exec, s[0:1]
	v_cmp_gt_u32_e64 s[12:13], 8, v15
	s_and_saveexec_b64 s[0:1], s[12:13]
	s_cbranch_execz .LBB134_742
.LBB134_741:
	v_lshlrev_b32_e32 v26, 3, v0
	v_mov_b32_e32 v28, 0
	ds_read_b64 v[26:27], v26 offset:16000
	ds_read_b64 v[28:29], v28 offset:16120
	s_waitcnt lgkmcnt(0)
	v_fma_f64 v[10:11], v[26:27], v[28:29], v[10:11]
.LBB134_742:
	s_or_b64 exec, exec, s[0:1]
.LBB134_743:
	s_or_b64 exec, exec, s[14:15]
	s_and_saveexec_b64 s[0:1], s[58:59]
; %bb.744:
	v_xor_b32_e32 v27, 0x80000000, v11
	v_mov_b32_e32 v26, v10
	ds_write_b64 v22, v[26:27]
; %bb.745:
	s_or_b64 exec, exec, s[0:1]
	s_waitcnt lgkmcnt(0)
	s_barrier
	s_and_saveexec_b64 s[0:1], s[60:61]
	s_cbranch_execz .LBB134_747
; %bb.746:
	v_lshlrev_b32_e32 v26, 3, v20
	ds_read_b64 v[26:27], v26 offset:11904
	ds_read_b64 v[28:29], v22
	s_waitcnt lgkmcnt(0)
	v_fma_f64 v[10:11], -v[26:27], v[28:29], v[10:11]
.LBB134_747:
	s_or_b64 exec, exec, s[0:1]
	s_barrier
	s_and_saveexec_b64 s[0:1], s[62:63]
; %bb.748:
	v_xor_b32_e32 v27, 0x80000000, v11
	v_mov_b32_e32 v26, v10
	ds_write_b64 v22, v[26:27]
; %bb.749:
	s_or_b64 exec, exec, s[0:1]
	s_waitcnt lgkmcnt(0)
	s_barrier
	s_and_saveexec_b64 s[0:1], s[64:65]
	s_cbranch_execz .LBB134_751
; %bb.750:
	v_lshlrev_b32_e32 v26, 3, v20
	ds_read_b64 v[26:27], v26 offset:11392
	ds_read_b64 v[28:29], v22
	s_waitcnt lgkmcnt(0)
	v_fma_f64 v[10:11], -v[26:27], v[28:29], v[10:11]
.LBB134_751:
	s_or_b64 exec, exec, s[0:1]
	s_barrier
	;; [unrolled: 20-line block ×6, first 2 shown]
	s_and_saveexec_b64 s[0:1], s[84:85]
; %bb.768:
	v_xor_b32_e32 v27, 0x80000000, v11
	v_mov_b32_e32 v26, v10
	ds_write_b64 v22, v[26:27]
; %bb.769:
	s_or_b64 exec, exec, s[0:1]
	s_waitcnt lgkmcnt(0)
	s_barrier
	s_and_saveexec_b64 s[0:1], s[68:69]
	s_cbranch_execz .LBB134_771
; %bb.770:
	v_mov_b32_e32 v26, 0
	ds_read_b64 v[26:27], v26 offset:8832
	ds_read_b64 v[28:29], v22
	s_waitcnt lgkmcnt(0)
	v_fma_f64 v[10:11], -v[26:27], v[28:29], v[10:11]
.LBB134_771:
	s_or_b64 exec, exec, s[0:1]
	s_barrier
	s_and_saveexec_b64 s[0:1], s[68:69]
; %bb.772:
	v_xor_b32_e32 v27, 0x80000000, v11
	v_mov_b32_e32 v26, v10
	ds_write_b64 v22, v[26:27]
; %bb.773:
	s_or_b64 exec, exec, s[0:1]
	s_waitcnt lgkmcnt(0)
	s_barrier
	s_barrier
	s_and_saveexec_b64 s[0:1], s[8:9]
; %bb.774:
	v_lshlrev_b32_e32 v26, 3, v20
	v_lshl_or_b32 v26, v21, 9, v26
	ds_write_b64 v26, v[10:11] offset:12416
; %bb.775:
	s_or_b64 exec, exec, s[0:1]
	s_waitcnt lgkmcnt(0)
	s_barrier
	s_barrier
	s_and_saveexec_b64 s[12:13], s[86:87]
	s_cbranch_execz .LBB134_777
; %bb.776:
	v_lshlrev_b32_e32 v26, 9, v0
	ds_read_b64 v[10:11], v26 offset:12416
	s_movk_i32 s0, 0xfe08
	v_mad_i32_i24 v27, v0, s0, v26
	s_waitcnt lgkmcnt(0)
	ds_write_b64 v27, v[10:11] offset:8384
	ds_read_b64 v[10:11], v26 offset:12424
	s_waitcnt lgkmcnt(0)
	ds_write_b64 v27, v[10:11] offset:8896
	ds_read_b64 v[10:11], v26 offset:12432
	;; [unrolled: 3-line block ×7, first 2 shown]
	s_waitcnt lgkmcnt(0)
	ds_write_b64 v27, v[10:11] offset:11968
.LBB134_777:
	s_or_b64 exec, exec, s[12:13]
	s_waitcnt lgkmcnt(0)
	s_barrier
	s_and_saveexec_b64 s[12:13], vcc
	s_cbranch_execz .LBB134_779
; %bb.778:
	v_mov_b32_e32 v26, 0
	ds_read_b64 v[28:29], v26 offset:11952
	v_mov_b32_e32 v27, 0x3ff00000
	ds_write_b64 v26, v[26:27] offset:11960
	s_waitcnt lgkmcnt(1)
	ds_write_b128 v26, v[26:29] offset:11440
.LBB134_779:
	s_or_b64 exec, exec, s[12:13]
	v_mov_b32_e32 v10, 0
	v_mov_b32_e32 v11, 0
	s_waitcnt lgkmcnt(0)
	s_barrier
	buffer_wbinvl1_vol
	s_and_saveexec_b64 s[14:15], s[2:3]
	s_cbranch_execz .LBB134_783
; %bb.780:
	v_lshlrev_b32_e32 v26, 9, v13
	v_lshlrev_b32_e32 v10, 3, v12
	ds_read_b64 v[10:11], v10 offset:11424
	ds_read_b64 v[26:27], v26 offset:11440
	v_cmp_gt_u32_e64 s[12:13], 2, v15
	s_waitcnt lgkmcnt(0)
	v_fma_f64 v[10:11], v[10:11], v[26:27], 0
	s_and_saveexec_b64 s[0:1], s[12:13]
	s_cbranch_execz .LBB134_782
; %bb.781:
	v_lshlrev_b32_e32 v26, 3, v0
	v_mov_b32_e32 v28, 0
	ds_read_b64 v[26:27], v26 offset:11936
	ds_read_b64 v[28:29], v28 offset:11960
	s_waitcnt lgkmcnt(0)
	v_fma_f64 v[10:11], v[26:27], v[28:29], v[10:11]
.LBB134_782:
	s_or_b64 exec, exec, s[0:1]
.LBB134_783:
	s_or_b64 exec, exec, s[14:15]
	s_and_saveexec_b64 s[0:1], s[40:41]
; %bb.784:
	v_xor_b32_e32 v27, 0x80000000, v11
	v_mov_b32_e32 v26, v10
	ds_write_b64 v14, v[26:27]
; %bb.785:
	s_or_b64 exec, exec, s[0:1]
	s_waitcnt lgkmcnt(0)
	s_barrier
	s_and_saveexec_b64 s[0:1], s[38:39]
	s_cbranch_execz .LBB134_787
; %bb.786:
	v_mov_b32_e32 v26, 0
	ds_read_b64 v[26:27], v26 offset:10912
	ds_read_b64 v[28:29], v14
	s_waitcnt lgkmcnt(0)
	v_fma_f64 v[10:11], -v[26:27], v[28:29], v[10:11]
.LBB134_787:
	s_or_b64 exec, exec, s[0:1]
	s_barrier
	s_and_saveexec_b64 s[0:1], s[38:39]
; %bb.788:
	v_xor_b32_e32 v27, 0x80000000, v11
	v_mov_b32_e32 v26, v10
	ds_write_b64 v14, v[26:27]
; %bb.789:
	s_or_b64 exec, exec, s[0:1]
	s_waitcnt lgkmcnt(0)
	s_barrier
	s_barrier
	s_and_saveexec_b64 s[0:1], s[2:3]
; %bb.790:
	v_lshlrev_b32_e32 v26, 3, v12
	v_lshl_or_b32 v26, v13, 9, v26
	ds_write_b64 v26, v[10:11] offset:11424
; %bb.791:
	s_or_b64 exec, exec, s[0:1]
	s_waitcnt lgkmcnt(0)
	s_barrier
	s_barrier
	s_and_saveexec_b64 s[0:1], s[42:43]
	s_cbranch_execz .LBB134_793
; %bb.792:
	v_lshlrev_b32_e32 v26, 3, v0
	s_movk_i32 s12, 0x1f8
	v_mad_u32_u24 v27, v0, s12, v26
	ds_read_b64 v[10:11], v27 offset:11424
	s_waitcnt lgkmcnt(0)
	ds_write_b64 v26, v[10:11] offset:10416
	ds_read_b64 v[10:11], v27 offset:11432
	s_waitcnt lgkmcnt(0)
	ds_write_b64 v26, v[10:11] offset:10928
.LBB134_793:
	s_or_b64 exec, exec, s[0:1]
	s_waitcnt lgkmcnt(0)
	s_barrier
	s_and_saveexec_b64 s[12:13], vcc
	s_cbranch_execz .LBB134_795
; %bb.794:
	v_mov_b32_e32 v26, 0
	ds_read_b64 v[28:29], v26 offset:10912
	v_mov_b32_e32 v27, 0x3ff00000
	ds_write_b64 v26, v[26:27] offset:10920
	s_waitcnt lgkmcnt(1)
	ds_write_b128 v26, v[26:29] offset:10400
.LBB134_795:
	s_or_b64 exec, exec, s[12:13]
	v_mov_b32_e32 v10, 0
	v_mov_b32_e32 v11, 0
	s_waitcnt lgkmcnt(0)
	s_barrier
	buffer_wbinvl1_vol
	s_and_saveexec_b64 s[14:15], s[18:19]
	s_cbranch_execz .LBB134_801
; %bb.796:
	v_lshlrev_b32_e32 v27, 3, v16
	v_lshlrev_b32_e32 v26, 9, v17
	ds_read_b64 v[10:11], v27 offset:10368
	ds_read_b64 v[28:29], v26 offset:10400
	v_cmp_gt_u32_e64 s[12:13], 12, v15
	s_waitcnt lgkmcnt(0)
	v_fma_f64 v[10:11], v[10:11], v[28:29], 0
	s_and_saveexec_b64 s[0:1], s[12:13]
	s_cbranch_execnz .LBB134_1206
; %bb.797:
	s_or_b64 exec, exec, s[0:1]
	v_cmp_gt_u32_e64 s[12:13], 8, v15
	s_and_saveexec_b64 s[0:1], s[12:13]
	s_cbranch_execnz .LBB134_1207
.LBB134_798:
	s_or_b64 exec, exec, s[0:1]
	v_cmp_gt_u32_e64 s[12:13], 4, v15
	s_and_saveexec_b64 s[0:1], s[12:13]
	s_cbranch_execz .LBB134_800
.LBB134_799:
	v_lshlrev_b32_e32 v26, 3, v0
	v_mov_b32_e32 v28, 0
	ds_read_b64 v[26:27], v26 offset:11904
	ds_read_b64 v[28:29], v28 offset:11960
	s_waitcnt lgkmcnt(0)
	v_fma_f64 v[10:11], v[26:27], v[28:29], v[10:11]
.LBB134_800:
	s_or_b64 exec, exec, s[0:1]
.LBB134_801:
	s_or_b64 exec, exec, s[14:15]
	s_and_saveexec_b64 s[0:1], s[46:47]
; %bb.802:
	v_xor_b32_e32 v27, 0x80000000, v11
	v_mov_b32_e32 v26, v10
	ds_write_b64 v19, v[26:27]
; %bb.803:
	s_or_b64 exec, exec, s[0:1]
	s_waitcnt lgkmcnt(0)
	s_barrier
	s_and_saveexec_b64 s[0:1], s[48:49]
	s_cbranch_execz .LBB134_805
; %bb.804:
	v_lshlrev_b32_e32 v26, 3, v16
	ds_read_b64 v[26:27], v26 offset:9856
	ds_read_b64 v[28:29], v19
	s_waitcnt lgkmcnt(0)
	v_fma_f64 v[10:11], -v[26:27], v[28:29], v[10:11]
.LBB134_805:
	s_or_b64 exec, exec, s[0:1]
	s_barrier
	s_and_saveexec_b64 s[0:1], s[50:51]
; %bb.806:
	v_xor_b32_e32 v27, 0x80000000, v11
	v_mov_b32_e32 v26, v10
	ds_write_b64 v19, v[26:27]
; %bb.807:
	s_or_b64 exec, exec, s[0:1]
	s_waitcnt lgkmcnt(0)
	s_barrier
	s_and_saveexec_b64 s[0:1], s[52:53]
	s_cbranch_execz .LBB134_809
; %bb.808:
	v_lshlrev_b32_e32 v26, 3, v16
	ds_read_b64 v[26:27], v26 offset:9344
	ds_read_b64 v[28:29], v19
	s_waitcnt lgkmcnt(0)
	v_fma_f64 v[10:11], -v[26:27], v[28:29], v[10:11]
.LBB134_809:
	s_or_b64 exec, exec, s[0:1]
	s_barrier
	s_and_saveexec_b64 s[0:1], s[54:55]
; %bb.810:
	v_xor_b32_e32 v27, 0x80000000, v11
	v_mov_b32_e32 v26, v10
	ds_write_b64 v19, v[26:27]
; %bb.811:
	s_or_b64 exec, exec, s[0:1]
	s_waitcnt lgkmcnt(0)
	s_barrier
	s_and_saveexec_b64 s[0:1], s[44:45]
	s_cbranch_execz .LBB134_813
; %bb.812:
	v_mov_b32_e32 v26, 0
	ds_read_b64 v[26:27], v26 offset:8832
	ds_read_b64 v[28:29], v19
	s_waitcnt lgkmcnt(0)
	v_fma_f64 v[10:11], -v[26:27], v[28:29], v[10:11]
.LBB134_813:
	s_or_b64 exec, exec, s[0:1]
	s_barrier
	s_and_saveexec_b64 s[0:1], s[44:45]
; %bb.814:
	v_xor_b32_e32 v27, 0x80000000, v11
	v_mov_b32_e32 v26, v10
	ds_write_b64 v19, v[26:27]
; %bb.815:
	s_or_b64 exec, exec, s[0:1]
	s_waitcnt lgkmcnt(0)
	s_barrier
	s_barrier
	s_and_saveexec_b64 s[0:1], s[18:19]
; %bb.816:
	v_lshlrev_b32_e32 v26, 3, v16
	v_lshl_or_b32 v26, v17, 9, v26
	ds_write_b64 v26, v[10:11] offset:10368
; %bb.817:
	s_or_b64 exec, exec, s[0:1]
	s_waitcnt lgkmcnt(0)
	s_barrier
	s_barrier
	s_and_saveexec_b64 s[12:13], s[56:57]
	s_cbranch_execz .LBB134_819
; %bb.818:
	v_lshlrev_b32_e32 v26, 9, v0
	ds_read_b64 v[10:11], v26 offset:10368
	s_movk_i32 s0, 0xfe08
	v_mad_i32_i24 v27, v0, s0, v26
	s_waitcnt lgkmcnt(0)
	ds_write_b64 v27, v[10:11] offset:8352
	ds_read_b64 v[10:11], v26 offset:10376
	s_waitcnt lgkmcnt(0)
	ds_write_b64 v27, v[10:11] offset:8864
	ds_read_b64 v[10:11], v26 offset:10384
	;; [unrolled: 3-line block ×3, first 2 shown]
	s_waitcnt lgkmcnt(0)
	ds_write_b64 v27, v[10:11] offset:9888
.LBB134_819:
	s_or_b64 exec, exec, s[12:13]
	s_waitcnt lgkmcnt(0)
	s_barrier
	s_and_saveexec_b64 s[12:13], vcc
	s_cbranch_execz .LBB134_821
; %bb.820:
	v_mov_b32_e32 v26, 0
	ds_read_b64 v[28:29], v26 offset:9872
	v_mov_b32_e32 v27, 0x3ff00000
	ds_write_b64 v26, v[26:27] offset:9880
	s_waitcnt lgkmcnt(1)
	ds_write_b128 v26, v[26:29] offset:9360
.LBB134_821:
	s_or_b64 exec, exec, s[12:13]
	v_mov_b32_e32 v10, 0
	v_mov_b32_e32 v11, 0
	s_waitcnt lgkmcnt(0)
	s_barrier
	buffer_wbinvl1_vol
	s_and_saveexec_b64 s[14:15], s[2:3]
	s_cbranch_execz .LBB134_825
; %bb.822:
	v_lshlrev_b32_e32 v26, 9, v13
	v_lshlrev_b32_e32 v10, 3, v12
	ds_read_b64 v[10:11], v10 offset:9344
	ds_read_b64 v[26:27], v26 offset:9360
	v_cmp_gt_u32_e64 s[12:13], 2, v15
	s_waitcnt lgkmcnt(0)
	v_fma_f64 v[10:11], v[10:11], v[26:27], 0
	s_and_saveexec_b64 s[0:1], s[12:13]
	s_cbranch_execz .LBB134_824
; %bb.823:
	v_lshlrev_b32_e32 v26, 3, v0
	v_mov_b32_e32 v28, 0
	ds_read_b64 v[26:27], v26 offset:9856
	ds_read_b64 v[28:29], v28 offset:9880
	s_waitcnt lgkmcnt(0)
	v_fma_f64 v[10:11], v[26:27], v[28:29], v[10:11]
.LBB134_824:
	s_or_b64 exec, exec, s[0:1]
.LBB134_825:
	s_or_b64 exec, exec, s[14:15]
	s_and_saveexec_b64 s[0:1], s[40:41]
; %bb.826:
	v_xor_b32_e32 v27, 0x80000000, v11
	v_mov_b32_e32 v26, v10
	ds_write_b64 v14, v[26:27]
; %bb.827:
	s_or_b64 exec, exec, s[0:1]
	s_waitcnt lgkmcnt(0)
	s_barrier
	s_and_saveexec_b64 s[0:1], s[38:39]
	s_cbranch_execz .LBB134_829
; %bb.828:
	v_mov_b32_e32 v26, 0
	ds_read_b64 v[26:27], v26 offset:8832
	ds_read_b64 v[28:29], v14
	s_waitcnt lgkmcnt(0)
	v_fma_f64 v[10:11], -v[26:27], v[28:29], v[10:11]
.LBB134_829:
	s_or_b64 exec, exec, s[0:1]
	s_barrier
	s_and_saveexec_b64 s[0:1], s[38:39]
; %bb.830:
	v_xor_b32_e32 v27, 0x80000000, v11
	v_mov_b32_e32 v26, v10
	ds_write_b64 v14, v[26:27]
; %bb.831:
	s_or_b64 exec, exec, s[0:1]
	s_waitcnt lgkmcnt(0)
	s_barrier
	s_barrier
	s_and_saveexec_b64 s[0:1], s[2:3]
; %bb.832:
	v_lshlrev_b32_e32 v26, 3, v12
	v_lshl_or_b32 v26, v13, 9, v26
	ds_write_b64 v26, v[10:11] offset:9344
; %bb.833:
	s_or_b64 exec, exec, s[0:1]
	s_waitcnt lgkmcnt(0)
	s_barrier
	s_barrier
	s_and_saveexec_b64 s[0:1], s[42:43]
	s_cbranch_execz .LBB134_835
; %bb.834:
	v_lshlrev_b32_e32 v26, 3, v0
	s_movk_i32 s12, 0x1f8
	v_mad_u32_u24 v27, v0, s12, v26
	ds_read_b64 v[10:11], v27 offset:9344
	s_waitcnt lgkmcnt(0)
	ds_write_b64 v26, v[10:11] offset:8336
	ds_read_b64 v[10:11], v27 offset:9352
	s_waitcnt lgkmcnt(0)
	ds_write_b64 v26, v[10:11] offset:8848
.LBB134_835:
	s_or_b64 exec, exec, s[0:1]
	s_waitcnt lgkmcnt(0)
	s_barrier
	s_and_saveexec_b64 s[12:13], vcc
	s_cbranch_execz .LBB134_837
; %bb.836:
	v_mov_b32_e32 v26, 0
	ds_read_b64 v[28:29], v26 offset:8832
	v_mov_b32_e32 v27, 0x3ff00000
	ds_write_b64 v26, v[26:27] offset:8840
	s_waitcnt lgkmcnt(1)
	ds_write_b128 v26, v[26:29] offset:8320
.LBB134_837:
	s_or_b64 exec, exec, s[12:13]
	v_mov_b32_e32 v10, 0
	v_mov_b32_e32 v11, 0
	s_waitcnt lgkmcnt(0)
	s_barrier
	buffer_wbinvl1_vol
	s_and_saveexec_b64 s[14:15], s[10:11]
	s_cbranch_execz .LBB134_865
; %bb.838:
	v_lshlrev_b32_e32 v27, 3, v23
	v_lshlrev_b32_e32 v26, 9, v24
	ds_read_b64 v[10:11], v27 offset:8192
	ds_read_b64 v[28:29], v26 offset:8320
	s_movk_i32 s0, 0xf0
	v_cmp_gt_u32_e64 s[12:13], s0, v15
	s_waitcnt lgkmcnt(0)
	v_fma_f64 v[10:11], v[10:11], v[28:29], 0
	s_and_saveexec_b64 s[0:1], s[12:13]
	s_cbranch_execz .LBB134_840
; %bb.839:
	ds_read_b64 v[28:29], v27 offset:8704
	ds_read_b64 v[30:31], v26 offset:8328
	s_waitcnt lgkmcnt(0)
	v_fma_f64 v[10:11], v[28:29], v[30:31], v[10:11]
.LBB134_840:
	s_or_b64 exec, exec, s[0:1]
	s_movk_i32 s0, 0xe0
	v_cmp_gt_u32_e64 s[12:13], s0, v15
	s_and_saveexec_b64 s[0:1], s[12:13]
	s_cbranch_execz .LBB134_842
; %bb.841:
	ds_read_b64 v[28:29], v27 offset:9216
	ds_read_b64 v[30:31], v26 offset:8336
	s_waitcnt lgkmcnt(0)
	v_fma_f64 v[10:11], v[28:29], v[30:31], v[10:11]
.LBB134_842:
	s_or_b64 exec, exec, s[0:1]
	s_movk_i32 s0, 0xd0
	v_cmp_gt_u32_e64 s[12:13], s0, v15
	;; [unrolled: 11-line block ×10, first 2 shown]
	s_and_saveexec_b64 s[0:1], s[12:13]
	s_cbranch_execnz .LBB134_1208
; %bb.859:
	s_or_b64 exec, exec, s[0:1]
	s_and_saveexec_b64 s[0:1], s[8:9]
	s_cbranch_execnz .LBB134_1209
.LBB134_860:
	s_or_b64 exec, exec, s[0:1]
	v_cmp_gt_u32_e64 s[12:13], 48, v15
	s_and_saveexec_b64 s[0:1], s[12:13]
	s_cbranch_execnz .LBB134_1210
.LBB134_861:
	s_or_b64 exec, exec, s[0:1]
	v_cmp_gt_u32_e64 s[12:13], 32, v15
	s_and_saveexec_b64 s[0:1], s[12:13]
	s_cbranch_execnz .LBB134_1211
.LBB134_862:
	s_or_b64 exec, exec, s[0:1]
	v_cmp_gt_u32_e64 s[12:13], 16, v15
	s_and_saveexec_b64 s[0:1], s[12:13]
	s_cbranch_execz .LBB134_864
.LBB134_863:
	v_lshlrev_b32_e32 v26, 3, v0
	v_mov_b32_e32 v28, 0
	ds_read_b64 v[26:27], v26 offset:15872
	ds_read_b64 v[28:29], v28 offset:16120
	s_waitcnt lgkmcnt(0)
	v_fma_f64 v[10:11], v[26:27], v[28:29], v[10:11]
.LBB134_864:
	s_or_b64 exec, exec, s[0:1]
.LBB134_865:
	s_or_b64 exec, exec, s[14:15]
	s_mov_b64 s[0:1], exec
	v_readlane_b32 s12, v35, 2
	v_readlane_b32 s13, v35, 3
	s_and_b64 s[12:13], s[0:1], s[12:13]
	s_mov_b64 exec, s[12:13]
; %bb.866:
	v_xor_b32_e32 v27, 0x80000000, v11
	v_mov_b32_e32 v26, v10
	ds_write_b64 v25, v[26:27]
; %bb.867:
	s_or_b64 exec, exec, s[0:1]
	s_waitcnt lgkmcnt(0)
	s_barrier
	s_mov_b64 s[0:1], exec
	v_readlane_b32 s12, v35, 4
	v_readlane_b32 s13, v35, 5
	s_and_b64 s[12:13], s[0:1], s[12:13]
	s_mov_b64 exec, s[12:13]
	s_cbranch_execz .LBB134_869
; %bb.868:
	v_lshlrev_b32_e32 v26, 3, v23
	ds_read_b64 v[26:27], v26 offset:7680
	ds_read_b64 v[28:29], v25
	s_waitcnt lgkmcnt(0)
	v_fma_f64 v[10:11], -v[26:27], v[28:29], v[10:11]
.LBB134_869:
	s_or_b64 exec, exec, s[0:1]
	s_barrier
	s_mov_b64 s[0:1], exec
	v_readlane_b32 s12, v35, 6
	v_readlane_b32 s13, v35, 7
	s_and_b64 s[12:13], s[0:1], s[12:13]
	s_mov_b64 exec, s[12:13]
; %bb.870:
	v_xor_b32_e32 v27, 0x80000000, v11
	v_mov_b32_e32 v26, v10
	ds_write_b64 v25, v[26:27]
; %bb.871:
	s_or_b64 exec, exec, s[0:1]
	s_waitcnt lgkmcnt(0)
	s_barrier
	s_mov_b64 s[0:1], exec
	v_readlane_b32 s12, v35, 8
	v_readlane_b32 s13, v35, 9
	s_and_b64 s[12:13], s[0:1], s[12:13]
	s_mov_b64 exec, s[12:13]
	s_cbranch_execz .LBB134_873
; %bb.872:
	v_lshlrev_b32_e32 v26, 3, v23
	ds_read_b64 v[26:27], v26 offset:7168
	ds_read_b64 v[28:29], v25
	s_waitcnt lgkmcnt(0)
	v_fma_f64 v[10:11], -v[26:27], v[28:29], v[10:11]
.LBB134_873:
	s_or_b64 exec, exec, s[0:1]
	s_barrier
	;; [unrolled: 28-line block ×14, first 2 shown]
	s_mov_b64 s[0:1], exec
	v_readlane_b32 s12, v35, 58
	v_readlane_b32 s13, v35, 59
	s_and_b64 s[12:13], s[0:1], s[12:13]
	s_mov_b64 exec, s[12:13]
; %bb.922:
	v_xor_b32_e32 v27, 0x80000000, v11
	v_mov_b32_e32 v26, v10
	ds_write_b64 v25, v[26:27]
; %bb.923:
	s_or_b64 exec, exec, s[0:1]
	s_waitcnt lgkmcnt(0)
	s_barrier
	s_and_saveexec_b64 s[0:1], s[90:91]
	s_cbranch_execz .LBB134_925
; %bb.924:
	v_mov_b32_e32 v26, 0
	ds_read_b64 v[26:27], v26 offset:512
	ds_read_b64 v[28:29], v25
	s_waitcnt lgkmcnt(0)
	v_fma_f64 v[10:11], -v[26:27], v[28:29], v[10:11]
.LBB134_925:
	s_or_b64 exec, exec, s[0:1]
	s_barrier
	s_and_saveexec_b64 s[0:1], s[90:91]
; %bb.926:
	v_xor_b32_e32 v27, 0x80000000, v11
	v_mov_b32_e32 v26, v10
	ds_write_b64 v25, v[26:27]
; %bb.927:
	s_or_b64 exec, exec, s[0:1]
	s_waitcnt lgkmcnt(0)
	s_barrier
	s_barrier
	s_and_saveexec_b64 s[0:1], s[10:11]
; %bb.928:
	v_lshlrev_b32_e32 v23, 3, v23
	v_lshl_or_b32 v23, v24, 9, v23
	ds_write_b64 v23, v[10:11] offset:8192
; %bb.929:
	s_or_b64 exec, exec, s[0:1]
	s_waitcnt lgkmcnt(0)
	s_barrier
	s_barrier
	s_and_saveexec_b64 s[0:1], s[92:93]
	s_cbranch_execz .LBB134_931
; %bb.930:
	v_lshlrev_b32_e32 v23, 9, v0
	ds_read_b64 v[10:11], v23 offset:8192
	s_movk_i32 s10, 0xfe08
	v_mad_i32_i24 v24, v0, s10, v23
	s_waitcnt lgkmcnt(0)
	ds_write_b64 v24, v[10:11] offset:128
	ds_read_b64 v[10:11], v23 offset:8200
	s_waitcnt lgkmcnt(0)
	ds_write_b64 v24, v[10:11] offset:640
	ds_read_b64 v[10:11], v23 offset:8208
	;; [unrolled: 3-line block ×15, first 2 shown]
	s_waitcnt lgkmcnt(0)
	ds_write_b64 v24, v[10:11] offset:7808
.LBB134_931:
	s_or_b64 exec, exec, s[0:1]
	s_waitcnt lgkmcnt(0)
	s_barrier
	s_and_saveexec_b64 s[0:1], vcc
	s_cbranch_execz .LBB134_933
; %bb.932:
	v_mov_b32_e32 v23, 0
	ds_read_b64 v[25:26], v23 offset:7792
	v_mov_b32_e32 v24, 0x3ff00000
	ds_write_b64 v23, v[23:24] offset:7800
	s_waitcnt lgkmcnt(1)
	ds_write_b128 v23, v[23:26] offset:7280
.LBB134_933:
	s_or_b64 exec, exec, s[0:1]
	v_mov_b32_e32 v10, 0
	v_mov_b32_e32 v11, 0
	s_waitcnt lgkmcnt(0)
	s_barrier
	buffer_wbinvl1_vol
	s_and_saveexec_b64 s[0:1], s[2:3]
	s_cbranch_execz .LBB134_937
; %bb.934:
	v_lshlrev_b32_e32 v23, 9, v13
	v_lshlrev_b32_e32 v10, 3, v12
	ds_read_b64 v[10:11], v10 offset:7264
	ds_read_b64 v[23:24], v23 offset:7280
	v_cmp_gt_u32_e64 s[10:11], 2, v15
	s_waitcnt lgkmcnt(0)
	v_fma_f64 v[10:11], v[10:11], v[23:24], 0
	s_and_saveexec_b64 s[12:13], s[10:11]
	s_cbranch_execz .LBB134_936
; %bb.935:
	v_lshlrev_b32_e32 v23, 3, v0
	v_mov_b32_e32 v25, 0
	ds_read_b64 v[23:24], v23 offset:7776
	ds_read_b64 v[25:26], v25 offset:7800
	s_waitcnt lgkmcnt(0)
	v_fma_f64 v[10:11], v[23:24], v[25:26], v[10:11]
.LBB134_936:
	s_or_b64 exec, exec, s[12:13]
.LBB134_937:
	s_or_b64 exec, exec, s[0:1]
	s_and_saveexec_b64 s[0:1], s[40:41]
; %bb.938:
	v_xor_b32_e32 v24, 0x80000000, v11
	v_mov_b32_e32 v23, v10
	ds_write_b64 v14, v[23:24]
; %bb.939:
	s_or_b64 exec, exec, s[0:1]
	s_waitcnt lgkmcnt(0)
	s_barrier
	s_and_saveexec_b64 s[0:1], s[38:39]
	s_cbranch_execz .LBB134_941
; %bb.940:
	v_mov_b32_e32 v23, 0
	ds_read_b64 v[23:24], v23 offset:6752
	ds_read_b64 v[25:26], v14
	s_waitcnt lgkmcnt(0)
	v_fma_f64 v[10:11], -v[23:24], v[25:26], v[10:11]
.LBB134_941:
	s_or_b64 exec, exec, s[0:1]
	s_barrier
	s_and_saveexec_b64 s[0:1], s[38:39]
; %bb.942:
	v_xor_b32_e32 v24, 0x80000000, v11
	v_mov_b32_e32 v23, v10
	ds_write_b64 v14, v[23:24]
; %bb.943:
	s_or_b64 exec, exec, s[0:1]
	s_waitcnt lgkmcnt(0)
	s_barrier
	s_barrier
	s_and_saveexec_b64 s[0:1], s[2:3]
; %bb.944:
	v_lshlrev_b32_e32 v23, 3, v12
	v_lshl_or_b32 v23, v13, 9, v23
	ds_write_b64 v23, v[10:11] offset:7264
; %bb.945:
	s_or_b64 exec, exec, s[0:1]
	s_waitcnt lgkmcnt(0)
	s_barrier
	s_barrier
	s_and_saveexec_b64 s[0:1], s[42:43]
	s_cbranch_execz .LBB134_947
; %bb.946:
	v_lshlrev_b32_e32 v23, 3, v0
	s_movk_i32 s10, 0x1f8
	v_mad_u32_u24 v24, v0, s10, v23
	ds_read_b64 v[10:11], v24 offset:7264
	s_waitcnt lgkmcnt(0)
	ds_write_b64 v23, v[10:11] offset:6256
	ds_read_b64 v[10:11], v24 offset:7272
	s_waitcnt lgkmcnt(0)
	ds_write_b64 v23, v[10:11] offset:6768
.LBB134_947:
	s_or_b64 exec, exec, s[0:1]
	s_waitcnt lgkmcnt(0)
	s_barrier
	s_and_saveexec_b64 s[0:1], vcc
	s_cbranch_execz .LBB134_949
; %bb.948:
	v_mov_b32_e32 v23, 0
	ds_read_b64 v[25:26], v23 offset:6752
	v_mov_b32_e32 v24, 0x3ff00000
	ds_write_b64 v23, v[23:24] offset:6760
	s_waitcnt lgkmcnt(1)
	ds_write_b128 v23, v[23:26] offset:6240
.LBB134_949:
	s_or_b64 exec, exec, s[0:1]
	v_mov_b32_e32 v10, 0
	v_mov_b32_e32 v11, 0
	s_waitcnt lgkmcnt(0)
	s_barrier
	buffer_wbinvl1_vol
	s_and_saveexec_b64 s[0:1], s[18:19]
	s_cbranch_execz .LBB134_955
; %bb.950:
	v_lshlrev_b32_e32 v24, 3, v16
	v_lshlrev_b32_e32 v23, 9, v17
	ds_read_b64 v[10:11], v24 offset:6208
	ds_read_b64 v[25:26], v23 offset:6240
	v_cmp_gt_u32_e64 s[10:11], 12, v15
	s_waitcnt lgkmcnt(0)
	v_fma_f64 v[10:11], v[10:11], v[25:26], 0
	s_and_saveexec_b64 s[12:13], s[10:11]
	s_cbranch_execnz .LBB134_1212
; %bb.951:
	s_or_b64 exec, exec, s[12:13]
	v_cmp_gt_u32_e64 s[10:11], 8, v15
	s_and_saveexec_b64 s[12:13], s[10:11]
	s_cbranch_execnz .LBB134_1213
.LBB134_952:
	s_or_b64 exec, exec, s[12:13]
	v_cmp_gt_u32_e64 s[10:11], 4, v15
	s_and_saveexec_b64 s[12:13], s[10:11]
	s_cbranch_execz .LBB134_954
.LBB134_953:
	v_lshlrev_b32_e32 v23, 3, v0
	v_mov_b32_e32 v25, 0
	ds_read_b64 v[23:24], v23 offset:7744
	ds_read_b64 v[25:26], v25 offset:7800
	s_waitcnt lgkmcnt(0)
	v_fma_f64 v[10:11], v[23:24], v[25:26], v[10:11]
.LBB134_954:
	s_or_b64 exec, exec, s[12:13]
.LBB134_955:
	s_or_b64 exec, exec, s[0:1]
	s_and_saveexec_b64 s[0:1], s[46:47]
; %bb.956:
	v_xor_b32_e32 v24, 0x80000000, v11
	v_mov_b32_e32 v23, v10
	ds_write_b64 v19, v[23:24]
; %bb.957:
	s_or_b64 exec, exec, s[0:1]
	s_waitcnt lgkmcnt(0)
	s_barrier
	s_and_saveexec_b64 s[0:1], s[48:49]
	s_cbranch_execz .LBB134_959
; %bb.958:
	v_lshlrev_b32_e32 v23, 3, v16
	ds_read_b64 v[23:24], v23 offset:5696
	ds_read_b64 v[25:26], v19
	s_waitcnt lgkmcnt(0)
	v_fma_f64 v[10:11], -v[23:24], v[25:26], v[10:11]
.LBB134_959:
	s_or_b64 exec, exec, s[0:1]
	s_barrier
	s_and_saveexec_b64 s[0:1], s[50:51]
; %bb.960:
	v_xor_b32_e32 v24, 0x80000000, v11
	v_mov_b32_e32 v23, v10
	ds_write_b64 v19, v[23:24]
; %bb.961:
	s_or_b64 exec, exec, s[0:1]
	s_waitcnt lgkmcnt(0)
	s_barrier
	s_and_saveexec_b64 s[0:1], s[52:53]
	s_cbranch_execz .LBB134_963
; %bb.962:
	v_lshlrev_b32_e32 v23, 3, v16
	ds_read_b64 v[23:24], v23 offset:5184
	ds_read_b64 v[25:26], v19
	s_waitcnt lgkmcnt(0)
	v_fma_f64 v[10:11], -v[23:24], v[25:26], v[10:11]
.LBB134_963:
	s_or_b64 exec, exec, s[0:1]
	s_barrier
	s_and_saveexec_b64 s[0:1], s[54:55]
; %bb.964:
	v_xor_b32_e32 v24, 0x80000000, v11
	v_mov_b32_e32 v23, v10
	ds_write_b64 v19, v[23:24]
; %bb.965:
	s_or_b64 exec, exec, s[0:1]
	s_waitcnt lgkmcnt(0)
	s_barrier
	s_and_saveexec_b64 s[0:1], s[44:45]
	s_cbranch_execz .LBB134_967
; %bb.966:
	v_mov_b32_e32 v23, 0
	ds_read_b64 v[23:24], v23 offset:4672
	ds_read_b64 v[25:26], v19
	s_waitcnt lgkmcnt(0)
	v_fma_f64 v[10:11], -v[23:24], v[25:26], v[10:11]
.LBB134_967:
	s_or_b64 exec, exec, s[0:1]
	s_barrier
	s_and_saveexec_b64 s[0:1], s[44:45]
; %bb.968:
	v_xor_b32_e32 v24, 0x80000000, v11
	v_mov_b32_e32 v23, v10
	ds_write_b64 v19, v[23:24]
; %bb.969:
	s_or_b64 exec, exec, s[0:1]
	s_waitcnt lgkmcnt(0)
	s_barrier
	s_barrier
	s_and_saveexec_b64 s[0:1], s[18:19]
; %bb.970:
	v_lshlrev_b32_e32 v23, 3, v16
	v_lshl_or_b32 v23, v17, 9, v23
	ds_write_b64 v23, v[10:11] offset:6208
; %bb.971:
	s_or_b64 exec, exec, s[0:1]
	s_waitcnt lgkmcnt(0)
	s_barrier
	s_barrier
	s_and_saveexec_b64 s[0:1], s[56:57]
	s_cbranch_execz .LBB134_973
; %bb.972:
	v_lshlrev_b32_e32 v23, 9, v0
	ds_read_b64 v[10:11], v23 offset:6208
	s_movk_i32 s10, 0xfe08
	v_mad_i32_i24 v24, v0, s10, v23
	s_waitcnt lgkmcnt(0)
	ds_write_b64 v24, v[10:11] offset:4192
	ds_read_b64 v[10:11], v23 offset:6216
	s_waitcnt lgkmcnt(0)
	ds_write_b64 v24, v[10:11] offset:4704
	ds_read_b64 v[10:11], v23 offset:6224
	;; [unrolled: 3-line block ×3, first 2 shown]
	s_waitcnt lgkmcnt(0)
	ds_write_b64 v24, v[10:11] offset:5728
.LBB134_973:
	s_or_b64 exec, exec, s[0:1]
	s_waitcnt lgkmcnt(0)
	s_barrier
	s_and_saveexec_b64 s[0:1], vcc
	s_cbranch_execz .LBB134_975
; %bb.974:
	v_mov_b32_e32 v23, 0
	ds_read_b64 v[25:26], v23 offset:5712
	v_mov_b32_e32 v24, 0x3ff00000
	ds_write_b64 v23, v[23:24] offset:5720
	s_waitcnt lgkmcnt(1)
	ds_write_b128 v23, v[23:26] offset:5200
.LBB134_975:
	s_or_b64 exec, exec, s[0:1]
	v_mov_b32_e32 v10, 0
	v_mov_b32_e32 v11, 0
	s_waitcnt lgkmcnt(0)
	s_barrier
	buffer_wbinvl1_vol
	s_and_saveexec_b64 s[0:1], s[2:3]
	s_cbranch_execz .LBB134_979
; %bb.976:
	v_lshlrev_b32_e32 v23, 9, v13
	v_lshlrev_b32_e32 v10, 3, v12
	ds_read_b64 v[10:11], v10 offset:5184
	ds_read_b64 v[23:24], v23 offset:5200
	v_cmp_gt_u32_e64 s[10:11], 2, v15
	s_waitcnt lgkmcnt(0)
	v_fma_f64 v[10:11], v[10:11], v[23:24], 0
	s_and_saveexec_b64 s[12:13], s[10:11]
	s_cbranch_execz .LBB134_978
; %bb.977:
	v_lshlrev_b32_e32 v23, 3, v0
	v_mov_b32_e32 v25, 0
	ds_read_b64 v[23:24], v23 offset:5696
	ds_read_b64 v[25:26], v25 offset:5720
	s_waitcnt lgkmcnt(0)
	v_fma_f64 v[10:11], v[23:24], v[25:26], v[10:11]
.LBB134_978:
	s_or_b64 exec, exec, s[12:13]
.LBB134_979:
	s_or_b64 exec, exec, s[0:1]
	s_and_saveexec_b64 s[0:1], s[40:41]
; %bb.980:
	v_xor_b32_e32 v24, 0x80000000, v11
	v_mov_b32_e32 v23, v10
	ds_write_b64 v14, v[23:24]
; %bb.981:
	s_or_b64 exec, exec, s[0:1]
	s_waitcnt lgkmcnt(0)
	s_barrier
	s_and_saveexec_b64 s[0:1], s[38:39]
	s_cbranch_execz .LBB134_983
; %bb.982:
	v_mov_b32_e32 v23, 0
	ds_read_b64 v[23:24], v23 offset:4672
	ds_read_b64 v[25:26], v14
	s_waitcnt lgkmcnt(0)
	v_fma_f64 v[10:11], -v[23:24], v[25:26], v[10:11]
.LBB134_983:
	s_or_b64 exec, exec, s[0:1]
	s_barrier
	s_and_saveexec_b64 s[0:1], s[38:39]
; %bb.984:
	v_xor_b32_e32 v24, 0x80000000, v11
	v_mov_b32_e32 v23, v10
	ds_write_b64 v14, v[23:24]
; %bb.985:
	s_or_b64 exec, exec, s[0:1]
	s_waitcnt lgkmcnt(0)
	s_barrier
	s_barrier
	s_and_saveexec_b64 s[0:1], s[2:3]
; %bb.986:
	v_lshlrev_b32_e32 v23, 3, v12
	v_lshl_or_b32 v23, v13, 9, v23
	ds_write_b64 v23, v[10:11] offset:5184
; %bb.987:
	s_or_b64 exec, exec, s[0:1]
	s_waitcnt lgkmcnt(0)
	s_barrier
	s_barrier
	s_and_saveexec_b64 s[0:1], s[42:43]
	s_cbranch_execz .LBB134_989
; %bb.988:
	v_lshlrev_b32_e32 v23, 3, v0
	s_movk_i32 s10, 0x1f8
	v_mad_u32_u24 v24, v0, s10, v23
	ds_read_b64 v[10:11], v24 offset:5184
	s_waitcnt lgkmcnt(0)
	ds_write_b64 v23, v[10:11] offset:4176
	ds_read_b64 v[10:11], v24 offset:5192
	s_waitcnt lgkmcnt(0)
	ds_write_b64 v23, v[10:11] offset:4688
.LBB134_989:
	s_or_b64 exec, exec, s[0:1]
	s_waitcnt lgkmcnt(0)
	s_barrier
	s_and_saveexec_b64 s[0:1], vcc
	s_cbranch_execz .LBB134_991
; %bb.990:
	v_mov_b32_e32 v23, 0
	ds_read_b64 v[25:26], v23 offset:4672
	v_mov_b32_e32 v24, 0x3ff00000
	ds_write_b64 v23, v[23:24] offset:4680
	s_waitcnt lgkmcnt(1)
	ds_write_b128 v23, v[23:26] offset:4160
.LBB134_991:
	s_or_b64 exec, exec, s[0:1]
	v_mov_b32_e32 v10, 0
	v_mov_b32_e32 v11, 0
	s_waitcnt lgkmcnt(0)
	s_barrier
	buffer_wbinvl1_vol
	s_and_saveexec_b64 s[0:1], s[8:9]
	s_cbranch_execz .LBB134_1001
; %bb.992:
	v_lshlrev_b32_e32 v24, 3, v20
	v_lshlrev_b32_e32 v23, 9, v21
	ds_read_b64 v[10:11], v24 offset:4096
	ds_read_b64 v[25:26], v23 offset:4160
	v_cmp_gt_u32_e64 s[10:11], 56, v15
	s_waitcnt lgkmcnt(0)
	v_fma_f64 v[10:11], v[10:11], v[25:26], 0
	s_and_saveexec_b64 s[12:13], s[10:11]
	s_cbranch_execnz .LBB134_1214
; %bb.993:
	s_or_b64 exec, exec, s[12:13]
	v_cmp_gt_u32_e64 s[10:11], 48, v15
	s_and_saveexec_b64 s[12:13], s[10:11]
	s_cbranch_execnz .LBB134_1215
.LBB134_994:
	s_or_b64 exec, exec, s[12:13]
	v_cmp_gt_u32_e64 s[10:11], 40, v15
	s_and_saveexec_b64 s[12:13], s[10:11]
	s_cbranch_execnz .LBB134_1216
.LBB134_995:
	s_or_b64 exec, exec, s[12:13]
	v_cmp_gt_u32_e64 s[10:11], 32, v15
	s_and_saveexec_b64 s[12:13], s[10:11]
	s_cbranch_execnz .LBB134_1217
.LBB134_996:
	s_or_b64 exec, exec, s[12:13]
	v_cmp_gt_u32_e64 s[10:11], 24, v15
	s_and_saveexec_b64 s[12:13], s[10:11]
	s_cbranch_execnz .LBB134_1218
.LBB134_997:
	s_or_b64 exec, exec, s[12:13]
	s_and_saveexec_b64 s[10:11], s[18:19]
	s_cbranch_execnz .LBB134_1219
.LBB134_998:
	s_or_b64 exec, exec, s[10:11]
	v_cmp_gt_u32_e64 s[10:11], 8, v15
	s_and_saveexec_b64 s[12:13], s[10:11]
	s_cbranch_execz .LBB134_1000
.LBB134_999:
	v_lshlrev_b32_e32 v23, 3, v0
	v_mov_b32_e32 v25, 0
	ds_read_b64 v[23:24], v23 offset:7680
	ds_read_b64 v[25:26], v25 offset:7800
	s_waitcnt lgkmcnt(0)
	v_fma_f64 v[10:11], v[23:24], v[25:26], v[10:11]
.LBB134_1000:
	s_or_b64 exec, exec, s[12:13]
.LBB134_1001:
	s_or_b64 exec, exec, s[0:1]
	s_and_saveexec_b64 s[0:1], s[58:59]
; %bb.1002:
	v_xor_b32_e32 v24, 0x80000000, v11
	v_mov_b32_e32 v23, v10
	ds_write_b64 v22, v[23:24]
; %bb.1003:
	s_or_b64 exec, exec, s[0:1]
	s_waitcnt lgkmcnt(0)
	s_barrier
	s_and_saveexec_b64 s[0:1], s[60:61]
	s_cbranch_execz .LBB134_1005
; %bb.1004:
	v_lshlrev_b32_e32 v23, 3, v20
	ds_read_b64 v[23:24], v23 offset:3584
	ds_read_b64 v[25:26], v22
	s_waitcnt lgkmcnt(0)
	v_fma_f64 v[10:11], -v[23:24], v[25:26], v[10:11]
.LBB134_1005:
	s_or_b64 exec, exec, s[0:1]
	s_barrier
	s_and_saveexec_b64 s[0:1], s[62:63]
; %bb.1006:
	v_xor_b32_e32 v24, 0x80000000, v11
	v_mov_b32_e32 v23, v10
	ds_write_b64 v22, v[23:24]
; %bb.1007:
	s_or_b64 exec, exec, s[0:1]
	s_waitcnt lgkmcnt(0)
	s_barrier
	s_and_saveexec_b64 s[0:1], s[64:65]
	s_cbranch_execz .LBB134_1009
; %bb.1008:
	v_lshlrev_b32_e32 v23, 3, v20
	ds_read_b64 v[23:24], v23 offset:3072
	ds_read_b64 v[25:26], v22
	s_waitcnt lgkmcnt(0)
	v_fma_f64 v[10:11], -v[23:24], v[25:26], v[10:11]
.LBB134_1009:
	s_or_b64 exec, exec, s[0:1]
	s_barrier
	;; [unrolled: 20-line block ×6, first 2 shown]
	s_and_saveexec_b64 s[0:1], s[84:85]
; %bb.1026:
	v_xor_b32_e32 v24, 0x80000000, v11
	v_mov_b32_e32 v23, v10
	ds_write_b64 v22, v[23:24]
; %bb.1027:
	s_or_b64 exec, exec, s[0:1]
	s_waitcnt lgkmcnt(0)
	s_barrier
	s_and_saveexec_b64 s[0:1], s[68:69]
	s_cbranch_execz .LBB134_1029
; %bb.1028:
	v_mov_b32_e32 v23, 0
	ds_read_b64 v[23:24], v23 offset:512
	ds_read_b64 v[25:26], v22
	s_waitcnt lgkmcnt(0)
	v_fma_f64 v[10:11], -v[23:24], v[25:26], v[10:11]
.LBB134_1029:
	s_or_b64 exec, exec, s[0:1]
	s_barrier
	s_and_saveexec_b64 s[0:1], s[68:69]
; %bb.1030:
	v_xor_b32_e32 v24, 0x80000000, v11
	v_mov_b32_e32 v23, v10
	ds_write_b64 v22, v[23:24]
; %bb.1031:
	s_or_b64 exec, exec, s[0:1]
	s_waitcnt lgkmcnt(0)
	s_barrier
	s_barrier
	s_and_saveexec_b64 s[0:1], s[8:9]
; %bb.1032:
	v_lshlrev_b32_e32 v20, 3, v20
	v_lshl_or_b32 v20, v21, 9, v20
	ds_write_b64 v20, v[10:11] offset:4096
; %bb.1033:
	s_or_b64 exec, exec, s[0:1]
	s_waitcnt lgkmcnt(0)
	s_barrier
	s_barrier
	s_and_saveexec_b64 s[0:1], s[86:87]
	s_cbranch_execz .LBB134_1035
; %bb.1034:
	v_lshlrev_b32_e32 v20, 9, v0
	ds_read_b64 v[10:11], v20 offset:4096
	s_movk_i32 s8, 0xfe08
	v_mad_i32_i24 v21, v0, s8, v20
	s_waitcnt lgkmcnt(0)
	ds_write_b64 v21, v[10:11] offset:64
	ds_read_b64 v[10:11], v20 offset:4104
	s_waitcnt lgkmcnt(0)
	ds_write_b64 v21, v[10:11] offset:576
	ds_read_b64 v[10:11], v20 offset:4112
	;; [unrolled: 3-line block ×7, first 2 shown]
	s_waitcnt lgkmcnt(0)
	ds_write_b64 v21, v[10:11] offset:3648
.LBB134_1035:
	s_or_b64 exec, exec, s[0:1]
	s_waitcnt lgkmcnt(0)
	s_barrier
	s_and_saveexec_b64 s[0:1], vcc
	s_cbranch_execz .LBB134_1037
; %bb.1036:
	v_mov_b32_e32 v20, 0
	ds_read_b64 v[22:23], v20 offset:3632
	v_mov_b32_e32 v21, 0x3ff00000
	ds_write_b64 v20, v[20:21] offset:3640
	s_waitcnt lgkmcnt(1)
	ds_write_b128 v20, v[20:23] offset:3120
.LBB134_1037:
	s_or_b64 exec, exec, s[0:1]
	v_mov_b32_e32 v10, 0
	v_mov_b32_e32 v11, 0
	s_waitcnt lgkmcnt(0)
	s_barrier
	buffer_wbinvl1_vol
	s_and_saveexec_b64 s[0:1], s[2:3]
	s_cbranch_execz .LBB134_1041
; %bb.1038:
	v_lshlrev_b32_e32 v20, 9, v13
	v_lshlrev_b32_e32 v10, 3, v12
	ds_read_b64 v[10:11], v10 offset:3104
	ds_read_b64 v[20:21], v20 offset:3120
	v_cmp_gt_u32_e64 s[8:9], 2, v15
	s_waitcnt lgkmcnt(0)
	v_fma_f64 v[10:11], v[10:11], v[20:21], 0
	s_and_saveexec_b64 s[10:11], s[8:9]
	s_cbranch_execz .LBB134_1040
; %bb.1039:
	v_lshlrev_b32_e32 v20, 3, v0
	v_mov_b32_e32 v22, 0
	ds_read_b64 v[20:21], v20 offset:3616
	ds_read_b64 v[22:23], v22 offset:3640
	s_waitcnt lgkmcnt(0)
	v_fma_f64 v[10:11], v[20:21], v[22:23], v[10:11]
.LBB134_1040:
	s_or_b64 exec, exec, s[10:11]
.LBB134_1041:
	s_or_b64 exec, exec, s[0:1]
	s_and_saveexec_b64 s[0:1], s[40:41]
; %bb.1042:
	v_xor_b32_e32 v21, 0x80000000, v11
	v_mov_b32_e32 v20, v10
	ds_write_b64 v14, v[20:21]
; %bb.1043:
	s_or_b64 exec, exec, s[0:1]
	s_waitcnt lgkmcnt(0)
	s_barrier
	s_and_saveexec_b64 s[0:1], s[38:39]
	s_cbranch_execz .LBB134_1045
; %bb.1044:
	v_mov_b32_e32 v20, 0
	ds_read_b64 v[20:21], v20 offset:2592
	ds_read_b64 v[22:23], v14
	s_waitcnt lgkmcnt(0)
	v_fma_f64 v[10:11], -v[20:21], v[22:23], v[10:11]
.LBB134_1045:
	s_or_b64 exec, exec, s[0:1]
	s_barrier
	s_and_saveexec_b64 s[0:1], s[38:39]
; %bb.1046:
	v_xor_b32_e32 v21, 0x80000000, v11
	v_mov_b32_e32 v20, v10
	ds_write_b64 v14, v[20:21]
; %bb.1047:
	s_or_b64 exec, exec, s[0:1]
	s_waitcnt lgkmcnt(0)
	s_barrier
	s_barrier
	s_and_saveexec_b64 s[0:1], s[2:3]
; %bb.1048:
	v_lshlrev_b32_e32 v20, 3, v12
	v_lshl_or_b32 v20, v13, 9, v20
	ds_write_b64 v20, v[10:11] offset:3104
; %bb.1049:
	s_or_b64 exec, exec, s[0:1]
	s_waitcnt lgkmcnt(0)
	s_barrier
	s_barrier
	s_and_saveexec_b64 s[0:1], s[42:43]
	s_cbranch_execz .LBB134_1051
; %bb.1050:
	v_lshlrev_b32_e32 v20, 3, v0
	s_movk_i32 s8, 0x1f8
	v_mad_u32_u24 v21, v0, s8, v20
	ds_read_b64 v[10:11], v21 offset:3104
	s_waitcnt lgkmcnt(0)
	ds_write_b64 v20, v[10:11] offset:2096
	ds_read_b64 v[10:11], v21 offset:3112
	s_waitcnt lgkmcnt(0)
	ds_write_b64 v20, v[10:11] offset:2608
.LBB134_1051:
	s_or_b64 exec, exec, s[0:1]
	s_waitcnt lgkmcnt(0)
	s_barrier
	s_and_saveexec_b64 s[0:1], vcc
	s_cbranch_execz .LBB134_1053
; %bb.1052:
	v_mov_b32_e32 v20, 0
	ds_read_b64 v[22:23], v20 offset:2592
	v_mov_b32_e32 v21, 0x3ff00000
	ds_write_b64 v20, v[20:21] offset:2600
	s_waitcnt lgkmcnt(1)
	ds_write_b128 v20, v[20:23] offset:2080
.LBB134_1053:
	s_or_b64 exec, exec, s[0:1]
	v_mov_b32_e32 v10, 0
	v_mov_b32_e32 v11, 0
	s_waitcnt lgkmcnt(0)
	s_barrier
	buffer_wbinvl1_vol
	s_and_saveexec_b64 s[0:1], s[18:19]
	s_cbranch_execz .LBB134_1059
; %bb.1054:
	v_lshlrev_b32_e32 v21, 3, v16
	v_lshlrev_b32_e32 v20, 9, v17
	ds_read_b64 v[10:11], v21 offset:2048
	ds_read_b64 v[22:23], v20 offset:2080
	v_cmp_gt_u32_e64 s[8:9], 12, v15
	s_waitcnt lgkmcnt(0)
	v_fma_f64 v[10:11], v[10:11], v[22:23], 0
	s_and_saveexec_b64 s[10:11], s[8:9]
	s_cbranch_execnz .LBB134_1220
; %bb.1055:
	s_or_b64 exec, exec, s[10:11]
	v_cmp_gt_u32_e64 s[8:9], 8, v15
	s_and_saveexec_b64 s[10:11], s[8:9]
	s_cbranch_execnz .LBB134_1221
.LBB134_1056:
	s_or_b64 exec, exec, s[10:11]
	v_cmp_gt_u32_e64 s[8:9], 4, v15
	s_and_saveexec_b64 s[10:11], s[8:9]
	s_cbranch_execz .LBB134_1058
.LBB134_1057:
	v_lshlrev_b32_e32 v20, 3, v0
	v_mov_b32_e32 v22, 0
	ds_read_b64 v[20:21], v20 offset:3584
	ds_read_b64 v[22:23], v22 offset:3640
	s_waitcnt lgkmcnt(0)
	v_fma_f64 v[10:11], v[20:21], v[22:23], v[10:11]
.LBB134_1058:
	s_or_b64 exec, exec, s[10:11]
.LBB134_1059:
	s_or_b64 exec, exec, s[0:1]
	s_and_saveexec_b64 s[0:1], s[46:47]
; %bb.1060:
	v_xor_b32_e32 v21, 0x80000000, v11
	v_mov_b32_e32 v20, v10
	ds_write_b64 v19, v[20:21]
; %bb.1061:
	s_or_b64 exec, exec, s[0:1]
	s_waitcnt lgkmcnt(0)
	s_barrier
	s_and_saveexec_b64 s[0:1], s[48:49]
	s_load_dword s16, s[4:5], 0x6c
	v_readlane_b32 s46, v35, 0
	v_readlane_b32 s47, v35, 1
	s_cbranch_execz .LBB134_1063
; %bb.1062:
	v_lshlrev_b32_e32 v20, 3, v16
	ds_read_b64 v[20:21], v20 offset:1536
	ds_read_b64 v[22:23], v19
	s_waitcnt lgkmcnt(0)
	v_fma_f64 v[10:11], -v[20:21], v[22:23], v[10:11]
.LBB134_1063:
	s_or_b64 exec, exec, s[0:1]
	s_waitcnt lgkmcnt(0)
	s_barrier
	s_and_saveexec_b64 s[0:1], s[50:51]
; %bb.1064:
	v_xor_b32_e32 v21, 0x80000000, v11
	v_mov_b32_e32 v20, v10
	ds_write_b64 v19, v[20:21]
; %bb.1065:
	s_or_b64 exec, exec, s[0:1]
	s_waitcnt lgkmcnt(0)
	s_barrier
	s_and_saveexec_b64 s[0:1], s[52:53]
	s_cbranch_execz .LBB134_1067
; %bb.1066:
	v_lshlrev_b32_e32 v20, 3, v16
	ds_read_b64 v[20:21], v20 offset:1024
	ds_read_b64 v[22:23], v19
	s_waitcnt lgkmcnt(0)
	v_fma_f64 v[10:11], -v[20:21], v[22:23], v[10:11]
.LBB134_1067:
	s_or_b64 exec, exec, s[0:1]
	s_barrier
	s_and_saveexec_b64 s[0:1], s[54:55]
; %bb.1068:
	v_xor_b32_e32 v21, 0x80000000, v11
	v_mov_b32_e32 v20, v10
	ds_write_b64 v19, v[20:21]
; %bb.1069:
	s_or_b64 exec, exec, s[0:1]
	s_waitcnt lgkmcnt(0)
	s_barrier
	s_and_saveexec_b64 s[0:1], s[44:45]
	s_cbranch_execz .LBB134_1071
; %bb.1070:
	v_mov_b32_e32 v20, 0
	ds_read_b64 v[20:21], v20 offset:512
	ds_read_b64 v[22:23], v19
	s_waitcnt lgkmcnt(0)
	v_fma_f64 v[10:11], -v[20:21], v[22:23], v[10:11]
.LBB134_1071:
	s_or_b64 exec, exec, s[0:1]
	s_barrier
	s_and_saveexec_b64 s[0:1], s[44:45]
; %bb.1072:
	v_xor_b32_e32 v21, 0x80000000, v11
	v_mov_b32_e32 v20, v10
	ds_write_b64 v19, v[20:21]
; %bb.1073:
	s_or_b64 exec, exec, s[0:1]
	s_waitcnt lgkmcnt(0)
	s_barrier
	s_barrier
	s_and_saveexec_b64 s[0:1], s[18:19]
; %bb.1074:
	v_lshlrev_b32_e32 v16, 3, v16
	v_lshl_or_b32 v16, v17, 9, v16
	ds_write_b64 v16, v[10:11] offset:2048
; %bb.1075:
	s_or_b64 exec, exec, s[0:1]
	s_waitcnt lgkmcnt(0)
	s_barrier
	s_barrier
	s_and_saveexec_b64 s[0:1], s[56:57]
	s_cbranch_execz .LBB134_1077
; %bb.1076:
	v_lshlrev_b32_e32 v16, 9, v0
	ds_read_b64 v[10:11], v16 offset:2048
	s_movk_i32 s8, 0xfe08
	v_mad_i32_i24 v17, v0, s8, v16
	s_waitcnt lgkmcnt(0)
	ds_write_b64 v17, v[10:11] offset:32
	ds_read_b64 v[10:11], v16 offset:2056
	s_waitcnt lgkmcnt(0)
	ds_write_b64 v17, v[10:11] offset:544
	ds_read_b64 v[10:11], v16 offset:2064
	;; [unrolled: 3-line block ×3, first 2 shown]
	s_waitcnt lgkmcnt(0)
	ds_write_b64 v17, v[10:11] offset:1568
.LBB134_1077:
	s_or_b64 exec, exec, s[0:1]
	s_waitcnt lgkmcnt(0)
	s_barrier
	s_and_saveexec_b64 s[0:1], vcc
	s_cbranch_execz .LBB134_1079
; %bb.1078:
	v_mov_b32_e32 v19, 0
	ds_read_b64 v[21:22], v19 offset:1552
	v_mov_b32_e32 v20, 0x3ff00000
	ds_write_b64 v19, v[19:20] offset:1560
	s_waitcnt lgkmcnt(1)
	ds_write_b128 v19, v[19:22] offset:1040
.LBB134_1079:
	s_or_b64 exec, exec, s[0:1]
	v_mov_b32_e32 v10, 0
	v_mov_b32_e32 v11, 0
	s_waitcnt lgkmcnt(0)
	s_barrier
	buffer_wbinvl1_vol
	s_and_saveexec_b64 s[0:1], s[2:3]
	s_cbranch_execz .LBB134_1083
; %bb.1080:
	v_lshlrev_b32_e32 v16, 9, v13
	v_lshlrev_b32_e32 v10, 3, v12
	ds_read_b64 v[10:11], v10 offset:1024
	ds_read_b64 v[16:17], v16 offset:1040
	v_cmp_gt_u32_e64 s[8:9], 2, v15
	s_waitcnt lgkmcnt(0)
	v_fma_f64 v[10:11], v[10:11], v[16:17], 0
	s_and_saveexec_b64 s[10:11], s[8:9]
	s_cbranch_execz .LBB134_1082
; %bb.1081:
	v_lshlrev_b32_e32 v15, 3, v0
	v_mov_b32_e32 v17, 0
	ds_read_b64 v[15:16], v15 offset:1536
	ds_read_b64 v[19:20], v17 offset:1560
	s_waitcnt lgkmcnt(0)
	v_fma_f64 v[10:11], v[15:16], v[19:20], v[10:11]
.LBB134_1082:
	s_or_b64 exec, exec, s[10:11]
.LBB134_1083:
	s_or_b64 exec, exec, s[0:1]
	s_and_saveexec_b64 s[0:1], s[40:41]
; %bb.1084:
	v_xor_b32_e32 v16, 0x80000000, v11
	v_mov_b32_e32 v15, v10
	ds_write_b64 v14, v[15:16]
; %bb.1085:
	s_or_b64 exec, exec, s[0:1]
	s_waitcnt lgkmcnt(0)
	s_barrier
	s_and_saveexec_b64 s[0:1], s[38:39]
	s_cbranch_execz .LBB134_1087
; %bb.1086:
	v_mov_b32_e32 v15, 0
	ds_read_b64 v[15:16], v15 offset:512
	ds_read_b64 v[19:20], v14
	s_waitcnt lgkmcnt(0)
	v_fma_f64 v[10:11], -v[15:16], v[19:20], v[10:11]
.LBB134_1087:
	s_or_b64 exec, exec, s[0:1]
	s_barrier
	s_and_saveexec_b64 s[0:1], s[38:39]
; %bb.1088:
	v_xor_b32_e32 v16, 0x80000000, v11
	v_mov_b32_e32 v15, v10
	ds_write_b64 v14, v[15:16]
; %bb.1089:
	s_or_b64 exec, exec, s[0:1]
	s_waitcnt lgkmcnt(0)
	s_barrier
	s_barrier
	s_and_saveexec_b64 s[0:1], s[2:3]
; %bb.1090:
	v_lshlrev_b32_e32 v12, 3, v12
	v_lshl_or_b32 v12, v13, 9, v12
	ds_write_b64 v12, v[10:11] offset:1024
; %bb.1091:
	s_or_b64 exec, exec, s[0:1]
	s_waitcnt lgkmcnt(0)
	s_barrier
	s_barrier
	s_and_saveexec_b64 s[0:1], s[42:43]
	s_cbranch_execz .LBB134_1093
; %bb.1092:
	v_lshlrev_b32_e32 v12, 3, v0
	s_movk_i32 s2, 0x1f8
	v_mad_u32_u24 v13, v0, s2, v12
	ds_read_b64 v[10:11], v13 offset:1024
	s_waitcnt lgkmcnt(0)
	ds_write_b64 v12, v[10:11] offset:16
	ds_read_b64 v[10:11], v13 offset:1032
	s_waitcnt lgkmcnt(0)
	ds_write_b64 v12, v[10:11] offset:528
.LBB134_1093:
	s_or_b64 exec, exec, s[0:1]
	s_waitcnt lgkmcnt(0)
	s_barrier
	s_and_saveexec_b64 s[0:1], vcc
	s_cbranch_execz .LBB134_1095
; %bb.1094:
	v_mov_b32_e32 v10, 0
	ds_read_b64 v[12:13], v10 offset:512
	v_mov_b32_e32 v11, 0x3ff00000
	ds_write_b64 v10, v[10:11] offset:520
	s_waitcnt lgkmcnt(1)
	ds_write_b128 v10, v[10:13]
.LBB134_1095:
	s_or_b64 exec, exec, s[0:1]
.LBB134_1096:
	s_lshl_b64 s[0:1], s[28:29], 3
	s_add_u32 s20, s36, s0
	v_cmp_le_i32_e32 vcc, s7, v0
	s_addc_u32 s21, s37, s1
	s_and_b64 s[14:15], vcc, s[26:27]
	v_cmp_eq_u32_e64 s[2:3], 0, v1
	s_xor_b64 s[0:1], s[14:15], -1
	v_mov_b32_e32 v10, 0
	s_and_b64 s[8:9], s[2:3], s[0:1]
	v_mov_b32_e32 v11, 0
	v_lshl_add_u32 v12, s6, 6, v0
	s_waitcnt lgkmcnt(0)
	s_barrier
	s_and_saveexec_b64 s[0:1], s[8:9]
	s_cbranch_execz .LBB134_1098
; %bb.1097:
	v_ashrrev_i32_e32 v13, 31, v12
	v_mul_lo_u32 v14, s31, v12
	v_mad_u64_u32 v[10:11], s[8:9], s30, v12, 0
	v_mul_lo_u32 v13, s30, v13
	v_add3_u32 v11, v11, v13, v14
	v_lshlrev_b64 v[10:11], 3, v[10:11]
	v_mov_b32_e32 v13, s21
	v_add_co_u32_e32 v10, vcc, s20, v10
	v_addc_co_u32_e32 v11, vcc, v13, v11, vcc
	flat_load_dwordx2 v[10:11], v[10:11]
	s_waitcnt vmcnt(0) lgkmcnt(0)
	v_mul_f64 v[10:11], v[10:11], -s[24:25]
.LBB134_1098:
	s_or_b64 exec, exec, s[0:1]
	s_load_dwordx2 s[0:1], s[4:5], 0x50
	s_and_b32 s4, 0xffff, s16
	v_mad_u32_u24 v19, v1, s4, v0
	v_mov_b32_e32 v13, 0
	s_cmp_lt_i32 s6, 1
	v_cmp_eq_u32_e64 s[4:5], 0, v19
	s_cbranch_scc1 .LBB134_1124
; %bb.1099:
	v_mad_u64_u32 v[14:15], s[8:9], s34, v12, 0
	s_mov_b32 s24, 0
	v_cmp_gt_u32_e64 s[12:13], 64, v19
	v_mad_u64_u32 v[15:16], s[8:9], s35, v12, v[15:16]
	s_lshl_b64 s[8:9], s[22:23], 2
	s_waitcnt lgkmcnt(0)
	s_add_u32 s16, s0, s8
	v_lshlrev_b64 v[14:15], 3, v[14:15]
	s_addc_u32 s17, s1, s9
	v_mov_b32_e32 v16, 0xa000
	v_cmp_gt_i32_e64 s[8:9], s33, v12
	v_mov_b32_e32 v12, s89
	v_add_co_u32_e32 v22, vcc, s88, v14
	v_lshl_add_u32 v20, v19, 3, v16
	v_lshl_or_b32 v21, v1, 3, v16
	s_add_i32 s25, s6, -1
	v_addc_co_u32_e32 v23, vcc, v12, v15, vcc
	v_mov_b32_e32 v24, -1
	s_branch .LBB134_1102
.LBB134_1100:                           ;   in Loop: Header=BB134_1102 Depth=1
	ds_read_b64 v[14:15], v21 offset:384
	s_waitcnt vmcnt(0) lgkmcnt(0)
	v_fma_f64 v[10:11], v[16:17], v[14:15], v[10:11]
.LBB134_1101:                           ;   in Loop: Header=BB134_1102 Depth=1
	s_or_b64 exec, exec, s[18:19]
	s_add_i32 s24, s24, 1
	s_cmp_eq_u32 s24, s6
	s_cbranch_scc1 .LBB134_1124
.LBB134_1102:                           ; =>This Loop Header: Depth=1
                                        ;     Child Loop BB134_1104 Depth 2
	v_cmp_gt_i32_e32 vcc, s24, v24
	s_and_b64 s[18:19], s[4:5], vcc
	s_and_saveexec_b64 s[10:11], s[18:19]
	s_cbranch_execz .LBB134_1105
; %bb.1103:                             ;   in Loop: Header=BB134_1102 Depth=1
	global_load_dword v24, v13, s[16:17]
	s_waitcnt vmcnt(0)
	v_cmp_le_i32_e32 vcc, s24, v24
	s_cbranch_vccnz .LBB134_1105
.LBB134_1104:                           ;   Parent Loop BB134_1102 Depth=1
                                        ; =>  This Inner Loop Header: Depth=2
	buffer_wbinvl1_vol
	global_load_dword v24, v13, s[16:17]
	s_waitcnt vmcnt(0)
	v_cmp_gt_i32_e32 vcc, s24, v24
	s_cbranch_vccnz .LBB134_1104
.LBB134_1105:                           ;   in Loop: Header=BB134_1102 Depth=1
	s_or_b64 exec, exec, s[10:11]
	s_lshl_b32 s28, s24, 6
	buffer_wbinvl1_vol
	s_barrier
	s_and_saveexec_b64 s[10:11], s[12:13]
	s_cbranch_execz .LBB134_1109
; %bb.1106:                             ;   in Loop: Header=BB134_1102 Depth=1
	v_or_b32_e32 v12, s28, v19
	v_mov_b32_e32 v14, 0
	v_mov_b32_e32 v15, 0
	v_cmp_gt_i32_e32 vcc, s33, v12
	s_and_saveexec_b64 s[18:19], vcc
	s_cbranch_execz .LBB134_1108
; %bb.1107:                             ;   in Loop: Header=BB134_1102 Depth=1
	v_mad_u64_u32 v[14:15], s[34:35], s30, v12, 0
	v_mad_u64_u32 v[15:16], s[34:35], s31, v12, v[15:16]
	v_mov_b32_e32 v12, s21
	v_lshlrev_b64 v[14:15], 3, v[14:15]
	v_add_co_u32_e32 v14, vcc, s20, v14
	v_addc_co_u32_e32 v15, vcc, v12, v15, vcc
	flat_load_dwordx2 v[14:15], v[14:15]
.LBB134_1108:                           ;   in Loop: Header=BB134_1102 Depth=1
	s_or_b64 exec, exec, s[18:19]
	s_waitcnt vmcnt(0) lgkmcnt(0)
	ds_write_b64 v20, v[14:15]
.LBB134_1109:                           ;   in Loop: Header=BB134_1102 Depth=1
	s_or_b64 exec, exec, s[10:11]
	v_add_u32_e32 v12, s28, v1
	v_lshlrev_b64 v[14:15], 3, v[12:13]
	s_cmp_lg_u32 s24, s25
	v_add_co_u32_e32 v14, vcc, v22, v14
	s_cselect_b64 s[10:11], -1, 0
	v_addc_co_u32_e32 v15, vcc, v23, v15, vcc
	v_cmp_gt_i32_e32 vcc, s33, v12
	v_cndmask_b32_e64 v16, 0, 1, s[10:11]
	s_and_b64 s[28:29], vcc, s[8:9]
	v_cmp_ne_u32_e64 s[10:11], 1, v16
	s_waitcnt lgkmcnt(0)
	s_barrier
	s_and_saveexec_b64 s[18:19], s[28:29]
	s_cbranch_execz .LBB134_1113
; %bb.1110:                             ;   in Loop: Header=BB134_1102 Depth=1
	v_mov_b32_e32 v17, v5
	s_and_b64 vcc, exec, s[10:11]
	v_mov_b32_e32 v16, v4
	s_cbranch_vccnz .LBB134_1112
; %bb.1111:                             ;   in Loop: Header=BB134_1102 Depth=1
	flat_load_dwordx2 v[16:17], v[14:15]
.LBB134_1112:                           ;   in Loop: Header=BB134_1102 Depth=1
	ds_read_b64 v[25:26], v21
	s_waitcnt vmcnt(0) lgkmcnt(0)
	v_fma_f64 v[10:11], v[16:17], v[25:26], v[10:11]
.LBB134_1113:                           ;   in Loop: Header=BB134_1102 Depth=1
	s_or_b64 exec, exec, s[18:19]
	v_add_u32_e32 v16, 16, v12
	v_cmp_gt_i32_e32 vcc, s33, v16
	s_and_b64 s[28:29], vcc, s[8:9]
	s_and_saveexec_b64 s[18:19], s[28:29]
	s_cbranch_execz .LBB134_1117
; %bb.1114:                             ;   in Loop: Header=BB134_1102 Depth=1
	v_mov_b32_e32 v17, v3
	s_and_b64 vcc, exec, s[10:11]
	v_mov_b32_e32 v16, v2
	s_cbranch_vccnz .LBB134_1116
; %bb.1115:                             ;   in Loop: Header=BB134_1102 Depth=1
	flat_load_dwordx2 v[16:17], v[14:15] offset:128
.LBB134_1116:                           ;   in Loop: Header=BB134_1102 Depth=1
	ds_read_b64 v[25:26], v21 offset:128
	s_waitcnt vmcnt(0) lgkmcnt(0)
	v_fma_f64 v[10:11], v[16:17], v[25:26], v[10:11]
.LBB134_1117:                           ;   in Loop: Header=BB134_1102 Depth=1
	s_or_b64 exec, exec, s[18:19]
	v_add_u32_e32 v16, 32, v12
	v_cmp_gt_i32_e32 vcc, s33, v16
	s_and_b64 s[28:29], vcc, s[8:9]
	s_and_saveexec_b64 s[18:19], s[28:29]
	s_cbranch_execz .LBB134_1121
; %bb.1118:                             ;   in Loop: Header=BB134_1102 Depth=1
	v_mov_b32_e32 v17, v9
	s_and_b64 vcc, exec, s[10:11]
	v_mov_b32_e32 v16, v8
	s_cbranch_vccnz .LBB134_1120
; %bb.1119:                             ;   in Loop: Header=BB134_1102 Depth=1
	flat_load_dwordx2 v[16:17], v[14:15] offset:256
.LBB134_1120:                           ;   in Loop: Header=BB134_1102 Depth=1
	ds_read_b64 v[25:26], v21 offset:256
	s_waitcnt vmcnt(0) lgkmcnt(0)
	v_fma_f64 v[10:11], v[16:17], v[25:26], v[10:11]
.LBB134_1121:                           ;   in Loop: Header=BB134_1102 Depth=1
	s_or_b64 exec, exec, s[18:19]
	v_add_u32_e32 v12, 48, v12
	v_cmp_gt_i32_e32 vcc, s33, v12
	s_and_b64 s[28:29], vcc, s[8:9]
	s_and_saveexec_b64 s[18:19], s[28:29]
	s_cbranch_execz .LBB134_1101
; %bb.1122:                             ;   in Loop: Header=BB134_1102 Depth=1
	v_mov_b32_e32 v17, v7
	s_and_b64 vcc, exec, s[10:11]
	v_mov_b32_e32 v16, v6
	s_cbranch_vccnz .LBB134_1100
; %bb.1123:                             ;   in Loop: Header=BB134_1102 Depth=1
	flat_load_dwordx2 v[16:17], v[14:15] offset:384
	s_branch .LBB134_1100
.LBB134_1124:
	v_lshl_add_u32 v2, v1, 6, v0
	s_xor_b64 s[4:5], s[26:27], -1
	v_lshlrev_b32_e32 v4, 3, v2
	ds_write_b64 v4, v[10:11] offset:32768
	s_waitcnt lgkmcnt(0)
	s_barrier
	s_and_saveexec_b64 s[8:9], s[2:3]
	s_cbranch_execz .LBB134_1126
; %bb.1125:
	v_lshlrev_b32_e32 v15, 3, v0
	ds_read2st64_b64 v[5:8], v15 offset0:65 offset1:66
	ds_read_b64 v[2:3], v15 offset:40448
	s_waitcnt lgkmcnt(1)
	v_add_f64 v[5:6], v[10:11], v[5:6]
	v_add_f64 v[13:14], v[5:6], v[7:8]
	ds_read2st64_b64 v[5:8], v15 offset0:67 offset1:68
	ds_read2st64_b64 v[9:12], v15 offset0:69 offset1:70
	s_waitcnt lgkmcnt(1)
	v_add_f64 v[5:6], v[13:14], v[5:6]
	v_add_f64 v[5:6], v[5:6], v[7:8]
	s_waitcnt lgkmcnt(0)
	v_add_f64 v[5:6], v[5:6], v[9:10]
	v_add_f64 v[13:14], v[5:6], v[11:12]
	ds_read2st64_b64 v[5:8], v15 offset0:71 offset1:72
	ds_read2st64_b64 v[9:12], v15 offset0:73 offset1:74
	s_waitcnt lgkmcnt(1)
	v_add_f64 v[5:6], v[13:14], v[5:6]
	v_add_f64 v[5:6], v[5:6], v[7:8]
	;; [unrolled: 8-line block ×3, first 2 shown]
	s_waitcnt lgkmcnt(0)
	v_add_f64 v[5:6], v[5:6], v[9:10]
	v_add_f64 v[5:6], v[5:6], v[11:12]
	v_add_f64 v[2:3], v[5:6], v[2:3]
	v_xor_b32_e32 v3, 0x80000000, v3
	v_cndmask_b32_e64 v11, v3, 0, s[14:15]
	v_cndmask_b32_e64 v10, v2, 0, s[14:15]
.LBB134_1126:
	s_or_b64 exec, exec, s[8:9]
	s_and_b64 vcc, exec, s[46:47]
	s_cbranch_vccnz .LBB134_1140
; %bb.1127:
	v_mov_b32_e32 v2, 0xa000
	v_lshl_or_b32 v5, v1, 3, v2
	s_and_saveexec_b64 s[8:9], s[2:3]
; %bb.1128:
	v_lshl_add_u32 v2, v0, 3, v5
	ds_write_b64 v2, v[10:11]
; %bb.1129:
	s_or_b64 exec, exec, s[8:9]
	v_mov_b32_e32 v2, 0
	v_mov_b32_e32 v3, 0
	v_cmp_le_u32_e32 vcc, v1, v0
	s_waitcnt lgkmcnt(0)
	s_barrier
	s_and_saveexec_b64 s[8:9], vcc
	s_cbranch_execz .LBB134_1131
; %bb.1130:
	ds_read_b64 v[2:3], v4
	ds_read_b64 v[6:7], v5
	s_waitcnt lgkmcnt(0)
	v_fma_f64 v[2:3], v[2:3], v[6:7], 0
.LBB134_1131:
	s_or_b64 exec, exec, s[8:9]
	v_add_u32_e32 v6, 16, v1
	v_cmp_ge_u32_e32 vcc, v0, v6
	s_and_saveexec_b64 s[8:9], vcc
	s_cbranch_execz .LBB134_1133
; %bb.1132:
	ds_read_b64 v[6:7], v4 offset:8192
	ds_read_b64 v[8:9], v5 offset:128
	s_waitcnt lgkmcnt(0)
	v_fma_f64 v[2:3], v[6:7], v[8:9], v[2:3]
.LBB134_1133:
	s_or_b64 exec, exec, s[8:9]
	v_add_u32_e32 v6, 32, v1
	v_cmp_ge_u32_e32 vcc, v0, v6
	s_and_saveexec_b64 s[8:9], vcc
	s_cbranch_execz .LBB134_1135
; %bb.1134:
	ds_read_b64 v[6:7], v4 offset:16384
	ds_read_b64 v[8:9], v5 offset:256
	s_waitcnt lgkmcnt(0)
	v_fma_f64 v[2:3], v[6:7], v[8:9], v[2:3]
.LBB134_1135:
	s_or_b64 exec, exec, s[8:9]
	v_add_u32_e32 v1, 48, v1
	v_add_u32_e32 v6, 0x8000, v4
	v_cmp_ge_u32_e32 vcc, v0, v1
	s_and_saveexec_b64 s[8:9], vcc
	s_cbranch_execz .LBB134_1137
; %bb.1136:
	ds_read_b64 v[7:8], v4 offset:24576
	ds_read_b64 v[4:5], v5 offset:384
	s_waitcnt lgkmcnt(0)
	v_fma_f64 v[2:3], v[7:8], v[4:5], v[2:3]
.LBB134_1137:
	s_or_b64 exec, exec, s[8:9]
	s_mov_b64 s[10:11], 0
	s_mov_b64 s[8:9], 0
	ds_write_b64 v6, v[2:3]
	s_waitcnt lgkmcnt(0)
	s_barrier
                                        ; implicit-def: $vgpr6_vgpr7
                                        ; implicit-def: $vgpr4_vgpr5
	s_and_saveexec_b64 s[12:13], s[2:3]
	s_cbranch_execz .LBB134_1161
; %bb.1138:
	v_lshlrev_b32_e32 v9, 3, v0
	ds_read2st64_b64 v[4:7], v9 offset0:65 offset1:66
	ds_read_b64 v[12:13], v9 offset:40448
	s_mov_b64 s[8:9], exec
	s_waitcnt lgkmcnt(1)
	v_add_f64 v[1:2], v[2:3], v[4:5]
	v_add_f64 v[14:15], v[6:7], v[1:2]
	ds_read2st64_b64 v[1:4], v9 offset0:67 offset1:68
	ds_read2st64_b64 v[5:8], v9 offset0:69 offset1:70
	s_waitcnt lgkmcnt(1)
	v_add_f64 v[1:2], v[1:2], v[14:15]
	v_add_f64 v[1:2], v[3:4], v[1:2]
	s_waitcnt lgkmcnt(0)
	v_add_f64 v[1:2], v[5:6], v[1:2]
	v_add_f64 v[14:15], v[7:8], v[1:2]
	ds_read2st64_b64 v[1:4], v9 offset0:71 offset1:72
	ds_read2st64_b64 v[5:8], v9 offset0:73 offset1:74
	s_waitcnt lgkmcnt(1)
	v_add_f64 v[1:2], v[1:2], v[14:15]
	v_add_f64 v[1:2], v[3:4], v[1:2]
	;; [unrolled: 8-line block ×3, first 2 shown]
	v_lshl_add_u32 v3, s6, 6, v19
	s_waitcnt lgkmcnt(0)
	v_add_f64 v[1:2], v[5:6], v[1:2]
	v_mad_u64_u32 v[4:5], s[14:15], s30, v3, 0
	v_add_f64 v[1:2], v[7:8], v[1:2]
	v_add_f64 v[6:7], v[12:13], v[1:2]
	v_mov_b32_e32 v1, v5
	v_mad_u64_u32 v[1:2], s[14:15], s31, v3, v[1:2]
	v_mov_b32_e32 v5, v1
	s_or_b64 exec, exec, s[12:13]
	s_and_b64 vcc, exec, s[10:11]
	s_cbranch_vccnz .LBB134_1141
	s_branch .LBB134_1162
.LBB134_1139:
	v_mad_u64_u32 v[12:13], s[2:3], s34, v15, 0
	s_or_b64 s[10:11], s[10:11], exec
	v_mad_u64_u32 v[13:14], s[2:3], s35, v15, v[13:14]
	v_lshlrev_b64 v[12:13], 3, v[12:13]
	v_add_co_u32_e32 v10, vcc, v10, v12
	v_addc_co_u32_e32 v11, vcc, v11, v13, vcc
	flat_load_dwordx2 v[12:13], v[10:11]
	s_waitcnt vmcnt(0) lgkmcnt(0)
	v_xor_b32_e32 v13, 0x80000000, v13
	s_or_b64 exec, exec, s[8:9]
	s_xor_b64 s[0:1], s[0:1], -1
	s_and_saveexec_b64 s[2:3], s[10:11]
	s_cbranch_execnz .LBB134_57
	s_branch .LBB134_58
.LBB134_1140:
	s_mov_b64 s[8:9], 0
                                        ; implicit-def: $vgpr6_vgpr7
                                        ; implicit-def: $vgpr4_vgpr5
	s_cbranch_execz .LBB134_1162
.LBB134_1141:
	s_mov_b32 s12, 0
	v_mov_b32_e32 v1, 0
	v_mov_b32_e32 v2, v0
	s_branch .LBB134_1143
.LBB134_1142:                           ;   in Loop: Header=BB134_1143 Depth=1
	s_or_b64 exec, exec, s[10:11]
	s_add_i32 s12, s12, 4
	v_add_u32_e32 v18, 0x800, v18
	s_cmp_lg_u32 s12, 64
	v_add_u32_e32 v2, -4, v2
	s_barrier
	s_cbranch_scc0 .LBB134_1159
.LBB134_1143:                           ; =>This Inner Loop Header: Depth=1
	v_cmp_eq_u32_e32 vcc, 0, v2
	s_and_b64 s[14:15], s[2:3], vcc
	s_and_saveexec_b64 s[10:11], s[14:15]
; %bb.1144:                             ;   in Loop: Header=BB134_1143 Depth=1
	ds_write_b64 v1, v[10:11] offset:41472
; %bb.1145:                             ;   in Loop: Header=BB134_1143 Depth=1
	s_or_b64 exec, exec, s[10:11]
	v_cmp_lt_u32_e32 vcc, s12, v0
	s_and_b64 s[14:15], s[2:3], vcc
	s_waitcnt lgkmcnt(0)
	s_barrier
	s_and_saveexec_b64 s[10:11], s[14:15]
	s_cbranch_execz .LBB134_1147
; %bb.1146:                             ;   in Loop: Header=BB134_1143 Depth=1
	ds_read_b64 v[3:4], v18
	ds_read_b64 v[5:6], v1 offset:41472
	s_waitcnt lgkmcnt(0)
	v_fma_f64 v[10:11], v[3:4], v[5:6], v[10:11]
.LBB134_1147:                           ;   in Loop: Header=BB134_1143 Depth=1
	s_or_b64 exec, exec, s[10:11]
	s_or_b32 s13, s12, 1
	v_cmp_eq_u32_e32 vcc, s13, v0
	s_and_b64 s[14:15], s[2:3], vcc
	s_barrier
	s_and_saveexec_b64 s[10:11], s[14:15]
; %bb.1148:                             ;   in Loop: Header=BB134_1143 Depth=1
	ds_write_b64 v1, v[10:11] offset:41472
; %bb.1149:                             ;   in Loop: Header=BB134_1143 Depth=1
	s_or_b64 exec, exec, s[10:11]
	v_cmp_lt_u32_e32 vcc, s13, v0
	s_and_b64 s[14:15], s[2:3], vcc
	s_waitcnt lgkmcnt(0)
	s_barrier
	s_and_saveexec_b64 s[10:11], s[14:15]
	s_cbranch_execz .LBB134_1151
; %bb.1150:                             ;   in Loop: Header=BB134_1143 Depth=1
	ds_read_b64 v[3:4], v18 offset:512
	ds_read_b64 v[5:6], v1 offset:41472
	s_waitcnt lgkmcnt(0)
	v_fma_f64 v[10:11], v[3:4], v[5:6], v[10:11]
.LBB134_1151:                           ;   in Loop: Header=BB134_1143 Depth=1
	s_or_b64 exec, exec, s[10:11]
	s_or_b32 s13, s12, 2
	v_cmp_eq_u32_e32 vcc, s13, v0
	s_and_b64 s[14:15], s[2:3], vcc
	s_barrier
	s_and_saveexec_b64 s[10:11], s[14:15]
; %bb.1152:                             ;   in Loop: Header=BB134_1143 Depth=1
	ds_write_b64 v1, v[10:11] offset:41472
; %bb.1153:                             ;   in Loop: Header=BB134_1143 Depth=1
	s_or_b64 exec, exec, s[10:11]
	v_cmp_lt_u32_e32 vcc, s13, v0
	s_and_b64 s[14:15], s[2:3], vcc
	s_waitcnt lgkmcnt(0)
	s_barrier
	s_and_saveexec_b64 s[10:11], s[14:15]
	s_cbranch_execz .LBB134_1155
; %bb.1154:                             ;   in Loop: Header=BB134_1143 Depth=1
	ds_read_b64 v[3:4], v18 offset:1024
	ds_read_b64 v[5:6], v1 offset:41472
	s_waitcnt lgkmcnt(0)
	v_fma_f64 v[10:11], v[3:4], v[5:6], v[10:11]
.LBB134_1155:                           ;   in Loop: Header=BB134_1143 Depth=1
	s_or_b64 exec, exec, s[10:11]
	s_or_b32 s13, s12, 3
	v_cmp_eq_u32_e32 vcc, s13, v0
	s_and_b64 s[14:15], s[2:3], vcc
	s_barrier
	s_and_saveexec_b64 s[10:11], s[14:15]
; %bb.1156:                             ;   in Loop: Header=BB134_1143 Depth=1
	ds_write_b64 v1, v[10:11] offset:41472
; %bb.1157:                             ;   in Loop: Header=BB134_1143 Depth=1
	s_or_b64 exec, exec, s[10:11]
	v_cmp_lt_u32_e32 vcc, s13, v0
	s_and_b64 s[14:15], s[2:3], vcc
	s_waitcnt lgkmcnt(0)
	s_barrier
	s_and_saveexec_b64 s[10:11], s[14:15]
	s_cbranch_execz .LBB134_1142
; %bb.1158:                             ;   in Loop: Header=BB134_1143 Depth=1
	ds_read_b64 v[3:4], v18 offset:1536
	ds_read_b64 v[5:6], v1 offset:41472
	s_waitcnt lgkmcnt(0)
	v_fma_f64 v[10:11], v[3:4], v[5:6], v[10:11]
	s_branch .LBB134_1142
.LBB134_1159:
	s_and_b64 vcc, exec, s[4:5]
	s_cbranch_vccz .LBB134_1163
; %bb.1160:
	s_and_b64 s[4:5], s[2:3], exec
	s_cbranch_execz .LBB134_1164
	s_branch .LBB134_1165
.LBB134_1161:
	s_or_b64 exec, exec, s[12:13]
	s_and_b64 vcc, exec, s[10:11]
	s_cbranch_vccnz .LBB134_1141
.LBB134_1162:
	v_mov_b32_e32 v11, v7
	v_mov_b32_e32 v10, v6
	s_and_saveexec_b64 s[2:3], s[8:9]
	s_cbranch_execnz .LBB134_1168
	s_branch .LBB134_1169
.LBB134_1163:
	s_mov_b64 s[4:5], 0
.LBB134_1164:
	v_cmp_gt_i32_e32 vcc, s7, v0
	s_and_b64 s[2:3], s[2:3], vcc
	s_andn2_b64 s[4:5], s[4:5], exec
	s_and_b64 s[2:3], s[2:3], exec
	s_or_b64 s[4:5], s[4:5], s[2:3]
.LBB134_1165:
                                        ; implicit-def: $vgpr4_vgpr5
	s_and_saveexec_b64 s[2:3], s[4:5]
	s_cbranch_execz .LBB134_1167
; %bb.1166:
	s_lshl_b32 s4, s6, 6
	s_ashr_i32 s5, s4, 31
	v_mov_b32_e32 v0, s5
	v_add_co_u32_e32 v1, vcc, s4, v19
	v_addc_co_u32_e32 v0, vcc, 0, v0, vcc
	v_mul_lo_u32 v0, v0, s30
	v_mul_lo_u32 v2, v1, s31
	v_mad_u64_u32 v[4:5], s[4:5], v1, s30, 0
	s_or_b64 s[8:9], s[8:9], exec
	v_add3_u32 v5, v5, v2, v0
.LBB134_1167:
	s_or_b64 exec, exec, s[2:3]
	s_and_saveexec_b64 s[2:3], s[8:9]
	s_cbranch_execz .LBB134_1169
.LBB134_1168:
	v_lshlrev_b64 v[0:1], 3, v[4:5]
	v_mov_b32_e32 v2, s21
	v_add_co_u32_e32 v0, vcc, s20, v0
	v_addc_co_u32_e32 v1, vcc, v2, v1, vcc
	flat_store_dwordx2 v[0:1], v[10:11]
.LBB134_1169:
	s_or_b64 exec, exec, s[2:3]
	v_cmp_eq_u32_e32 vcc, 0, v19
	s_waitcnt vmcnt(0) lgkmcnt(0)
	buffer_wbinvl1_vol
	s_barrier
	s_and_saveexec_b64 s[2:3], vcc
	s_cbranch_execz .LBB134_1171
; %bb.1170:
	s_lshl_b64 s[4:5], s[22:23], 2
	s_add_u32 s0, s0, s4
	s_addc_u32 s1, s1, s5
	v_mov_b32_e32 v0, 0
	global_load_dword v1, v0, s[0:1]
	s_waitcnt vmcnt(0)
	v_add_u32_e32 v1, 1, v1
	global_store_dword v0, v1, s[0:1]
.LBB134_1171:
	s_or_b64 exec, exec, s[2:3]
	s_waitcnt vmcnt(0)
	buffer_wbinvl1_vol
	s_endpgm
.LBB134_1172:
	ds_read_b64 v[22:23], v21 offset:31680
	ds_read_b64 v[24:25], v20 offset:31208
	s_waitcnt lgkmcnt(0)
	v_fma_f64 v[10:11], v[22:23], v[24:25], v[10:11]
	s_or_b64 exec, exec, s[14:15]
	v_cmp_gt_u32_e64 s[10:11], 8, v15
	s_and_saveexec_b64 s[14:15], s[10:11]
	s_cbranch_execz .LBB134_80
.LBB134_1173:
	ds_read_b64 v[21:22], v21 offset:32192
	ds_read_b64 v[23:24], v20 offset:31216
	s_waitcnt lgkmcnt(0)
	v_fma_f64 v[10:11], v[21:22], v[23:24], v[10:11]
	s_or_b64 exec, exec, s[14:15]
	v_cmp_gt_u32_e64 s[10:11], 4, v15
	s_and_saveexec_b64 s[14:15], s[10:11]
	s_cbranch_execnz .LBB134_81
	s_branch .LBB134_82
.LBB134_1174:
	ds_read_b64 v[25:26], v24 offset:29568
	ds_read_b64 v[27:28], v23 offset:29128
	s_waitcnt lgkmcnt(0)
	v_fma_f64 v[10:11], v[25:26], v[27:28], v[10:11]
	s_or_b64 exec, exec, s[16:17]
	v_cmp_gt_u32_e64 s[14:15], 48, v15
	s_and_saveexec_b64 s[16:17], s[14:15]
	s_cbranch_execz .LBB134_122
.LBB134_1175:
	ds_read_b64 v[25:26], v24 offset:30080
	ds_read_b64 v[27:28], v23 offset:29136
	s_waitcnt lgkmcnt(0)
	v_fma_f64 v[10:11], v[25:26], v[27:28], v[10:11]
	s_or_b64 exec, exec, s[16:17]
	v_cmp_gt_u32_e64 s[14:15], 40, v15
	s_and_saveexec_b64 s[16:17], s[14:15]
	s_cbranch_execz .LBB134_123
.LBB134_1176:
	ds_read_b64 v[25:26], v24 offset:30592
	ds_read_b64 v[27:28], v23 offset:29144
	s_waitcnt lgkmcnt(0)
	v_fma_f64 v[10:11], v[25:26], v[27:28], v[10:11]
	s_or_b64 exec, exec, s[16:17]
	v_cmp_gt_u32_e64 s[14:15], 32, v15
	s_and_saveexec_b64 s[16:17], s[14:15]
	s_cbranch_execz .LBB134_124
.LBB134_1177:
	ds_read_b64 v[25:26], v24 offset:31104
	ds_read_b64 v[27:28], v23 offset:29152
	s_waitcnt lgkmcnt(0)
	v_fma_f64 v[10:11], v[25:26], v[27:28], v[10:11]
	s_or_b64 exec, exec, s[16:17]
	v_cmp_gt_u32_e64 s[14:15], 24, v15
	s_and_saveexec_b64 s[16:17], s[14:15]
	s_cbranch_execz .LBB134_125
.LBB134_1178:
	ds_read_b64 v[25:26], v24 offset:31616
	ds_read_b64 v[27:28], v23 offset:29160
	s_waitcnt lgkmcnt(0)
	v_fma_f64 v[10:11], v[25:26], v[27:28], v[10:11]
	s_or_b64 exec, exec, s[16:17]
	s_and_saveexec_b64 s[14:15], s[18:19]
	s_cbranch_execz .LBB134_126
.LBB134_1179:
	ds_read_b64 v[24:25], v24 offset:32128
	ds_read_b64 v[26:27], v23 offset:29168
	s_waitcnt lgkmcnt(0)
	v_fma_f64 v[10:11], v[24:25], v[26:27], v[10:11]
	s_or_b64 exec, exec, s[14:15]
	v_cmp_gt_u32_e64 s[14:15], 8, v15
	s_and_saveexec_b64 s[16:17], s[14:15]
	s_cbranch_execnz .LBB134_127
	s_branch .LBB134_128
.LBB134_1180:
	ds_read_b64 v[25:26], v24 offset:27520
	ds_read_b64 v[27:28], v23 offset:27048
	s_waitcnt lgkmcnt(0)
	v_fma_f64 v[10:11], v[25:26], v[27:28], v[10:11]
	s_or_b64 exec, exec, s[14:15]
	v_cmp_gt_u32_e64 s[10:11], 8, v15
	s_and_saveexec_b64 s[14:15], s[10:11]
	s_cbranch_execz .LBB134_184
.LBB134_1181:
	ds_read_b64 v[24:25], v24 offset:28032
	ds_read_b64 v[26:27], v23 offset:27056
	s_waitcnt lgkmcnt(0)
	v_fma_f64 v[10:11], v[24:25], v[26:27], v[10:11]
	s_or_b64 exec, exec, s[14:15]
	v_cmp_gt_u32_e64 s[10:11], 4, v15
	s_and_saveexec_b64 s[14:15], s[10:11]
	s_cbranch_execnz .LBB134_185
	s_branch .LBB134_186
.LBB134_1182:
	ds_read_b64 v[28:29], v27 offset:30464
	ds_read_b64 v[30:31], v26 offset:25048
	s_waitcnt lgkmcnt(0)
	v_fma_f64 v[10:11], v[28:29], v[30:31], v[10:11]
	s_or_b64 exec, exec, s[20:21]
	s_and_saveexec_b64 s[16:17], s[8:9]
	s_cbranch_execz .LBB134_246
.LBB134_1183:
	ds_read_b64 v[28:29], v27 offset:30976
	ds_read_b64 v[30:31], v26 offset:25056
	s_waitcnt lgkmcnt(0)
	v_fma_f64 v[10:11], v[28:29], v[30:31], v[10:11]
	s_or_b64 exec, exec, s[16:17]
	v_cmp_gt_u32_e64 s[16:17], 48, v15
	s_and_saveexec_b64 s[20:21], s[16:17]
	s_cbranch_execz .LBB134_247
.LBB134_1184:
	ds_read_b64 v[28:29], v27 offset:31488
	ds_read_b64 v[30:31], v26 offset:25064
	s_waitcnt lgkmcnt(0)
	v_fma_f64 v[10:11], v[28:29], v[30:31], v[10:11]
	s_or_b64 exec, exec, s[20:21]
	v_cmp_gt_u32_e64 s[16:17], 32, v15
	s_and_saveexec_b64 s[20:21], s[16:17]
	s_cbranch_execz .LBB134_248
.LBB134_1185:
	ds_read_b64 v[27:28], v27 offset:32000
	ds_read_b64 v[29:30], v26 offset:25072
	s_waitcnt lgkmcnt(0)
	v_fma_f64 v[10:11], v[27:28], v[29:30], v[10:11]
	s_or_b64 exec, exec, s[20:21]
	v_cmp_gt_u32_e64 s[16:17], 16, v15
	s_and_saveexec_b64 s[20:21], s[16:17]
	s_cbranch_execnz .LBB134_249
	s_branch .LBB134_250
.LBB134_1186:
	ds_read_b64 v[28:29], v27 offset:23360
	ds_read_b64 v[30:31], v26 offset:22888
	s_waitcnt lgkmcnt(0)
	v_fma_f64 v[10:11], v[28:29], v[30:31], v[10:11]
	s_or_b64 exec, exec, s[0:1]
	v_cmp_gt_u32_e64 s[14:15], 8, v15
	s_and_saveexec_b64 s[0:1], s[14:15]
	s_cbranch_execz .LBB134_338
.LBB134_1187:
	ds_read_b64 v[27:28], v27 offset:23872
	ds_read_b64 v[29:30], v26 offset:22896
	s_waitcnt lgkmcnt(0)
	v_fma_f64 v[10:11], v[27:28], v[29:30], v[10:11]
	s_or_b64 exec, exec, s[0:1]
	v_cmp_gt_u32_e64 s[14:15], 4, v15
	s_and_saveexec_b64 s[20:21], s[14:15]
	s_cbranch_execnz .LBB134_339
	s_branch .LBB134_340
.LBB134_1188:
	ds_read_b64 v[28:29], v27 offset:21248
	ds_read_b64 v[30:31], v26 offset:20808
	s_waitcnt lgkmcnt(0)
	v_fma_f64 v[10:11], v[28:29], v[30:31], v[10:11]
	s_or_b64 exec, exec, s[0:1]
	v_cmp_gt_u32_e64 s[14:15], 48, v15
	s_and_saveexec_b64 s[0:1], s[14:15]
	s_cbranch_execz .LBB134_380
.LBB134_1189:
	ds_read_b64 v[28:29], v27 offset:21760
	ds_read_b64 v[30:31], v26 offset:20816
	s_waitcnt lgkmcnt(0)
	v_fma_f64 v[10:11], v[28:29], v[30:31], v[10:11]
	s_or_b64 exec, exec, s[0:1]
	v_cmp_gt_u32_e64 s[14:15], 40, v15
	s_and_saveexec_b64 s[0:1], s[14:15]
	s_cbranch_execz .LBB134_381
.LBB134_1190:
	ds_read_b64 v[28:29], v27 offset:22272
	ds_read_b64 v[30:31], v26 offset:20824
	s_waitcnt lgkmcnt(0)
	v_fma_f64 v[10:11], v[28:29], v[30:31], v[10:11]
	s_or_b64 exec, exec, s[0:1]
	v_cmp_gt_u32_e64 s[14:15], 32, v15
	s_and_saveexec_b64 s[0:1], s[14:15]
	s_cbranch_execz .LBB134_382
.LBB134_1191:
	ds_read_b64 v[28:29], v27 offset:22784
	ds_read_b64 v[30:31], v26 offset:20832
	s_waitcnt lgkmcnt(0)
	v_fma_f64 v[10:11], v[28:29], v[30:31], v[10:11]
	s_or_b64 exec, exec, s[0:1]
	v_cmp_gt_u32_e64 s[14:15], 24, v15
	s_and_saveexec_b64 s[0:1], s[14:15]
	s_cbranch_execz .LBB134_383
.LBB134_1192:
	ds_read_b64 v[28:29], v27 offset:23296
	ds_read_b64 v[30:31], v26 offset:20840
	s_waitcnt lgkmcnt(0)
	v_fma_f64 v[10:11], v[28:29], v[30:31], v[10:11]
	s_or_b64 exec, exec, s[0:1]
	s_and_saveexec_b64 s[0:1], s[18:19]
	s_cbranch_execz .LBB134_384
.LBB134_1193:
	ds_read_b64 v[27:28], v27 offset:23808
	ds_read_b64 v[29:30], v26 offset:20848
	s_waitcnt lgkmcnt(0)
	v_fma_f64 v[10:11], v[27:28], v[29:30], v[10:11]
	s_or_b64 exec, exec, s[0:1]
	v_cmp_gt_u32_e64 s[14:15], 8, v15
	s_and_saveexec_b64 s[20:21], s[14:15]
	s_cbranch_execnz .LBB134_385
	s_branch .LBB134_386
.LBB134_1194:
	ds_read_b64 v[28:29], v27 offset:19200
	ds_read_b64 v[30:31], v26 offset:18728
	s_waitcnt lgkmcnt(0)
	v_fma_f64 v[10:11], v[28:29], v[30:31], v[10:11]
	s_or_b64 exec, exec, s[0:1]
	v_cmp_gt_u32_e64 s[14:15], 8, v15
	s_and_saveexec_b64 s[0:1], s[14:15]
	s_cbranch_execz .LBB134_442
.LBB134_1195:
	ds_read_b64 v[27:28], v27 offset:19712
	ds_read_b64 v[29:30], v26 offset:18736
	s_waitcnt lgkmcnt(0)
	v_fma_f64 v[10:11], v[27:28], v[29:30], v[10:11]
	s_or_b64 exec, exec, s[0:1]
	v_cmp_gt_u32_e64 s[14:15], 4, v15
	s_and_saveexec_b64 s[20:21], s[14:15]
	s_cbranch_execnz .LBB134_443
	s_branch .LBB134_444
.LBB134_1196:
	ds_read_b64 v[31:32], v27 offset:31232
	ds_read_b64 v[33:34], v30 offset:16872
	s_waitcnt lgkmcnt(0)
	v_fma_f64 v[10:11], v[31:32], v[33:34], v[10:11]
	s_or_b64 exec, exec, s[0:1]
	s_and_saveexec_b64 s[0:1], s[8:9]
	s_cbranch_execz .LBB134_540
.LBB134_1197:
	ds_read_b64 v[31:32], v27 offset:31744
	ds_read_b64 v[33:34], v30 offset:16880
	s_waitcnt lgkmcnt(0)
	v_fma_f64 v[10:11], v[31:32], v[33:34], v[10:11]
	s_or_b64 exec, exec, s[0:1]
	v_cmp_gt_u32_e64 s[20:21], 32, v15
	s_and_saveexec_b64 s[0:1], s[20:21]
	s_cbranch_execnz .LBB134_541
	s_branch .LBB134_542
.LBB134_1198:
	ds_read_b64 v[28:29], v27 offset:15040
	ds_read_b64 v[30:31], v26 offset:14568
	s_waitcnt lgkmcnt(0)
	v_fma_f64 v[10:11], v[28:29], v[30:31], v[10:11]
	s_or_b64 exec, exec, s[0:1]
	v_cmp_gt_u32_e64 s[12:13], 8, v15
	s_and_saveexec_b64 s[0:1], s[12:13]
	s_cbranch_execz .LBB134_694
.LBB134_1199:
	ds_read_b64 v[27:28], v27 offset:15552
	ds_read_b64 v[29:30], v26 offset:14576
	s_waitcnt lgkmcnt(0)
	v_fma_f64 v[10:11], v[27:28], v[29:30], v[10:11]
	s_or_b64 exec, exec, s[0:1]
	v_cmp_gt_u32_e64 s[12:13], 4, v15
	s_and_saveexec_b64 s[0:1], s[12:13]
	s_cbranch_execnz .LBB134_695
	s_branch .LBB134_696
.LBB134_1200:
	ds_read_b64 v[28:29], v27 offset:12928
	ds_read_b64 v[30:31], v26 offset:12488
	s_waitcnt lgkmcnt(0)
	v_fma_f64 v[10:11], v[28:29], v[30:31], v[10:11]
	s_or_b64 exec, exec, s[0:1]
	v_cmp_gt_u32_e64 s[12:13], 48, v15
	s_and_saveexec_b64 s[0:1], s[12:13]
	s_cbranch_execz .LBB134_736
.LBB134_1201:
	ds_read_b64 v[28:29], v27 offset:13440
	ds_read_b64 v[30:31], v26 offset:12496
	s_waitcnt lgkmcnt(0)
	v_fma_f64 v[10:11], v[28:29], v[30:31], v[10:11]
	s_or_b64 exec, exec, s[0:1]
	v_cmp_gt_u32_e64 s[12:13], 40, v15
	s_and_saveexec_b64 s[0:1], s[12:13]
	s_cbranch_execz .LBB134_737
.LBB134_1202:
	ds_read_b64 v[28:29], v27 offset:13952
	ds_read_b64 v[30:31], v26 offset:12504
	s_waitcnt lgkmcnt(0)
	v_fma_f64 v[10:11], v[28:29], v[30:31], v[10:11]
	s_or_b64 exec, exec, s[0:1]
	v_cmp_gt_u32_e64 s[12:13], 32, v15
	s_and_saveexec_b64 s[0:1], s[12:13]
	s_cbranch_execz .LBB134_738
.LBB134_1203:
	ds_read_b64 v[28:29], v27 offset:14464
	ds_read_b64 v[30:31], v26 offset:12512
	s_waitcnt lgkmcnt(0)
	v_fma_f64 v[10:11], v[28:29], v[30:31], v[10:11]
	s_or_b64 exec, exec, s[0:1]
	v_cmp_gt_u32_e64 s[12:13], 24, v15
	s_and_saveexec_b64 s[0:1], s[12:13]
	s_cbranch_execz .LBB134_739
.LBB134_1204:
	ds_read_b64 v[28:29], v27 offset:14976
	ds_read_b64 v[30:31], v26 offset:12520
	s_waitcnt lgkmcnt(0)
	v_fma_f64 v[10:11], v[28:29], v[30:31], v[10:11]
	s_or_b64 exec, exec, s[0:1]
	s_and_saveexec_b64 s[0:1], s[18:19]
	s_cbranch_execz .LBB134_740
.LBB134_1205:
	ds_read_b64 v[27:28], v27 offset:15488
	ds_read_b64 v[29:30], v26 offset:12528
	s_waitcnt lgkmcnt(0)
	v_fma_f64 v[10:11], v[27:28], v[29:30], v[10:11]
	s_or_b64 exec, exec, s[0:1]
	v_cmp_gt_u32_e64 s[12:13], 8, v15
	s_and_saveexec_b64 s[0:1], s[12:13]
	s_cbranch_execnz .LBB134_741
	s_branch .LBB134_742
.LBB134_1206:
	ds_read_b64 v[28:29], v27 offset:10880
	ds_read_b64 v[30:31], v26 offset:10408
	s_waitcnt lgkmcnt(0)
	v_fma_f64 v[10:11], v[28:29], v[30:31], v[10:11]
	s_or_b64 exec, exec, s[0:1]
	v_cmp_gt_u32_e64 s[12:13], 8, v15
	s_and_saveexec_b64 s[0:1], s[12:13]
	s_cbranch_execz .LBB134_798
.LBB134_1207:
	ds_read_b64 v[27:28], v27 offset:11392
	ds_read_b64 v[29:30], v26 offset:10416
	s_waitcnt lgkmcnt(0)
	v_fma_f64 v[10:11], v[27:28], v[29:30], v[10:11]
	s_or_b64 exec, exec, s[0:1]
	v_cmp_gt_u32_e64 s[12:13], 4, v15
	s_and_saveexec_b64 s[0:1], s[12:13]
	s_cbranch_execnz .LBB134_799
	s_branch .LBB134_800
.LBB134_1208:
	ds_read_b64 v[28:29], v27 offset:13824
	ds_read_b64 v[30:31], v26 offset:8408
	s_waitcnt lgkmcnt(0)
	v_fma_f64 v[10:11], v[28:29], v[30:31], v[10:11]
	s_or_b64 exec, exec, s[0:1]
	s_and_saveexec_b64 s[0:1], s[8:9]
	s_cbranch_execz .LBB134_860
.LBB134_1209:
	ds_read_b64 v[28:29], v27 offset:14336
	ds_read_b64 v[30:31], v26 offset:8416
	s_waitcnt lgkmcnt(0)
	v_fma_f64 v[10:11], v[28:29], v[30:31], v[10:11]
	s_or_b64 exec, exec, s[0:1]
	v_cmp_gt_u32_e64 s[12:13], 48, v15
	s_and_saveexec_b64 s[0:1], s[12:13]
	s_cbranch_execz .LBB134_861
.LBB134_1210:
	ds_read_b64 v[28:29], v27 offset:14848
	ds_read_b64 v[30:31], v26 offset:8424
	s_waitcnt lgkmcnt(0)
	v_fma_f64 v[10:11], v[28:29], v[30:31], v[10:11]
	s_or_b64 exec, exec, s[0:1]
	v_cmp_gt_u32_e64 s[12:13], 32, v15
	s_and_saveexec_b64 s[0:1], s[12:13]
	s_cbranch_execz .LBB134_862
.LBB134_1211:
	ds_read_b64 v[27:28], v27 offset:15360
	ds_read_b64 v[29:30], v26 offset:8432
	s_waitcnt lgkmcnt(0)
	v_fma_f64 v[10:11], v[27:28], v[29:30], v[10:11]
	s_or_b64 exec, exec, s[0:1]
	v_cmp_gt_u32_e64 s[12:13], 16, v15
	s_and_saveexec_b64 s[0:1], s[12:13]
	s_cbranch_execnz .LBB134_863
	s_branch .LBB134_864
.LBB134_1212:
	ds_read_b64 v[25:26], v24 offset:6720
	ds_read_b64 v[27:28], v23 offset:6248
	s_waitcnt lgkmcnt(0)
	v_fma_f64 v[10:11], v[25:26], v[27:28], v[10:11]
	s_or_b64 exec, exec, s[12:13]
	v_cmp_gt_u32_e64 s[10:11], 8, v15
	s_and_saveexec_b64 s[12:13], s[10:11]
	s_cbranch_execz .LBB134_952
.LBB134_1213:
	ds_read_b64 v[24:25], v24 offset:7232
	ds_read_b64 v[26:27], v23 offset:6256
	s_waitcnt lgkmcnt(0)
	v_fma_f64 v[10:11], v[24:25], v[26:27], v[10:11]
	s_or_b64 exec, exec, s[12:13]
	v_cmp_gt_u32_e64 s[10:11], 4, v15
	s_and_saveexec_b64 s[12:13], s[10:11]
	s_cbranch_execnz .LBB134_953
	s_branch .LBB134_954
.LBB134_1214:
	ds_read_b64 v[25:26], v24 offset:4608
	ds_read_b64 v[27:28], v23 offset:4168
	s_waitcnt lgkmcnt(0)
	v_fma_f64 v[10:11], v[25:26], v[27:28], v[10:11]
	s_or_b64 exec, exec, s[12:13]
	v_cmp_gt_u32_e64 s[10:11], 48, v15
	s_and_saveexec_b64 s[12:13], s[10:11]
	s_cbranch_execz .LBB134_994
.LBB134_1215:
	ds_read_b64 v[25:26], v24 offset:5120
	ds_read_b64 v[27:28], v23 offset:4176
	s_waitcnt lgkmcnt(0)
	v_fma_f64 v[10:11], v[25:26], v[27:28], v[10:11]
	s_or_b64 exec, exec, s[12:13]
	v_cmp_gt_u32_e64 s[10:11], 40, v15
	s_and_saveexec_b64 s[12:13], s[10:11]
	s_cbranch_execz .LBB134_995
.LBB134_1216:
	ds_read_b64 v[25:26], v24 offset:5632
	ds_read_b64 v[27:28], v23 offset:4184
	s_waitcnt lgkmcnt(0)
	v_fma_f64 v[10:11], v[25:26], v[27:28], v[10:11]
	s_or_b64 exec, exec, s[12:13]
	v_cmp_gt_u32_e64 s[10:11], 32, v15
	s_and_saveexec_b64 s[12:13], s[10:11]
	s_cbranch_execz .LBB134_996
.LBB134_1217:
	ds_read_b64 v[25:26], v24 offset:6144
	ds_read_b64 v[27:28], v23 offset:4192
	s_waitcnt lgkmcnt(0)
	v_fma_f64 v[10:11], v[25:26], v[27:28], v[10:11]
	s_or_b64 exec, exec, s[12:13]
	v_cmp_gt_u32_e64 s[10:11], 24, v15
	s_and_saveexec_b64 s[12:13], s[10:11]
	s_cbranch_execz .LBB134_997
.LBB134_1218:
	ds_read_b64 v[25:26], v24 offset:6656
	ds_read_b64 v[27:28], v23 offset:4200
	s_waitcnt lgkmcnt(0)
	v_fma_f64 v[10:11], v[25:26], v[27:28], v[10:11]
	s_or_b64 exec, exec, s[12:13]
	s_and_saveexec_b64 s[10:11], s[18:19]
	s_cbranch_execz .LBB134_998
.LBB134_1219:
	ds_read_b64 v[24:25], v24 offset:7168
	ds_read_b64 v[26:27], v23 offset:4208
	s_waitcnt lgkmcnt(0)
	v_fma_f64 v[10:11], v[24:25], v[26:27], v[10:11]
	s_or_b64 exec, exec, s[10:11]
	v_cmp_gt_u32_e64 s[10:11], 8, v15
	s_and_saveexec_b64 s[12:13], s[10:11]
	s_cbranch_execnz .LBB134_999
	s_branch .LBB134_1000
.LBB134_1220:
	ds_read_b64 v[22:23], v21 offset:2560
	ds_read_b64 v[24:25], v20 offset:2088
	s_waitcnt lgkmcnt(0)
	v_fma_f64 v[10:11], v[22:23], v[24:25], v[10:11]
	s_or_b64 exec, exec, s[10:11]
	v_cmp_gt_u32_e64 s[8:9], 8, v15
	s_and_saveexec_b64 s[10:11], s[8:9]
	s_cbranch_execz .LBB134_1056
.LBB134_1221:
	ds_read_b64 v[21:22], v21 offset:3072
	ds_read_b64 v[23:24], v20 offset:2096
	s_waitcnt lgkmcnt(0)
	v_fma_f64 v[10:11], v[21:22], v[23:24], v[10:11]
	s_or_b64 exec, exec, s[10:11]
	v_cmp_gt_u32_e64 s[8:9], 4, v15
	s_and_saveexec_b64 s[10:11], s[8:9]
	s_cbranch_execnz .LBB134_1057
	s_branch .LBB134_1058
	.section	.rodata,"a",@progbits
	.p2align	6, 0x0
	.amdhsa_kernel _ZL19rocblas_trsv_deviceILi64ELi16ELb0ELb1ELb0ELb1EddPKPKdPKPdEviT7_lllT6_T8_lllPii
		.amdhsa_group_segment_fixed_size 41480
		.amdhsa_private_segment_fixed_size 0
		.amdhsa_kernarg_size 352
		.amdhsa_user_sgpr_count 6
		.amdhsa_user_sgpr_private_segment_buffer 1
		.amdhsa_user_sgpr_dispatch_ptr 0
		.amdhsa_user_sgpr_queue_ptr 0
		.amdhsa_user_sgpr_kernarg_segment_ptr 1
		.amdhsa_user_sgpr_dispatch_id 0
		.amdhsa_user_sgpr_flat_scratch_init 0
		.amdhsa_user_sgpr_private_segment_size 0
		.amdhsa_uses_dynamic_stack 0
		.amdhsa_system_sgpr_private_segment_wavefront_offset 0
		.amdhsa_system_sgpr_workgroup_id_x 1
		.amdhsa_system_sgpr_workgroup_id_y 0
		.amdhsa_system_sgpr_workgroup_id_z 1
		.amdhsa_system_sgpr_workgroup_info 0
		.amdhsa_system_vgpr_workitem_id 1
		.amdhsa_next_free_vgpr 49
		.amdhsa_next_free_sgpr 98
		.amdhsa_reserve_vcc 1
		.amdhsa_reserve_flat_scratch 0
		.amdhsa_float_round_mode_32 0
		.amdhsa_float_round_mode_16_64 0
		.amdhsa_float_denorm_mode_32 3
		.amdhsa_float_denorm_mode_16_64 3
		.amdhsa_dx10_clamp 1
		.amdhsa_ieee_mode 1
		.amdhsa_fp16_overflow 0
		.amdhsa_exception_fp_ieee_invalid_op 0
		.amdhsa_exception_fp_denorm_src 0
		.amdhsa_exception_fp_ieee_div_zero 0
		.amdhsa_exception_fp_ieee_overflow 0
		.amdhsa_exception_fp_ieee_underflow 0
		.amdhsa_exception_fp_ieee_inexact 0
		.amdhsa_exception_int_div_zero 0
	.end_amdhsa_kernel
	.section	.text._ZL19rocblas_trsv_deviceILi64ELi16ELb0ELb1ELb0ELb1EddPKPKdPKPdEviT7_lllT6_T8_lllPii,"axG",@progbits,_ZL19rocblas_trsv_deviceILi64ELi16ELb0ELb1ELb0ELb1EddPKPKdPKPdEviT7_lllT6_T8_lllPii,comdat
.Lfunc_end134:
	.size	_ZL19rocblas_trsv_deviceILi64ELi16ELb0ELb1ELb0ELb1EddPKPKdPKPdEviT7_lllT6_T8_lllPii, .Lfunc_end134-_ZL19rocblas_trsv_deviceILi64ELi16ELb0ELb1ELb0ELb1EddPKPKdPKPdEviT7_lllT6_T8_lllPii
                                        ; -- End function
	.set _ZL19rocblas_trsv_deviceILi64ELi16ELb0ELb1ELb0ELb1EddPKPKdPKPdEviT7_lllT6_T8_lllPii.num_vgpr, 36
	.set _ZL19rocblas_trsv_deviceILi64ELi16ELb0ELb1ELb0ELb1EddPKPKdPKPdEviT7_lllT6_T8_lllPii.num_agpr, 0
	.set _ZL19rocblas_trsv_deviceILi64ELi16ELb0ELb1ELb0ELb1EddPKPKdPKPdEviT7_lllT6_T8_lllPii.numbered_sgpr, 96
	.set _ZL19rocblas_trsv_deviceILi64ELi16ELb0ELb1ELb0ELb1EddPKPKdPKPdEviT7_lllT6_T8_lllPii.num_named_barrier, 0
	.set _ZL19rocblas_trsv_deviceILi64ELi16ELb0ELb1ELb0ELb1EddPKPKdPKPdEviT7_lllT6_T8_lllPii.private_seg_size, 0
	.set _ZL19rocblas_trsv_deviceILi64ELi16ELb0ELb1ELb0ELb1EddPKPKdPKPdEviT7_lllT6_T8_lllPii.uses_vcc, 1
	.set _ZL19rocblas_trsv_deviceILi64ELi16ELb0ELb1ELb0ELb1EddPKPKdPKPdEviT7_lllT6_T8_lllPii.uses_flat_scratch, 0
	.set _ZL19rocblas_trsv_deviceILi64ELi16ELb0ELb1ELb0ELb1EddPKPKdPKPdEviT7_lllT6_T8_lllPii.has_dyn_sized_stack, 0
	.set _ZL19rocblas_trsv_deviceILi64ELi16ELb0ELb1ELb0ELb1EddPKPKdPKPdEviT7_lllT6_T8_lllPii.has_recursion, 0
	.set _ZL19rocblas_trsv_deviceILi64ELi16ELb0ELb1ELb0ELb1EddPKPKdPKPdEviT7_lllT6_T8_lllPii.has_indirect_call, 0
	.section	.AMDGPU.csdata,"",@progbits
; Kernel info:
; codeLenInByte = 36500
; TotalNumSgprs: 100
; NumVgprs: 36
; ScratchSize: 0
; MemoryBound: 0
; FloatMode: 240
; IeeeMode: 1
; LDSByteSize: 41480 bytes/workgroup (compile time only)
; SGPRBlocks: 12
; VGPRBlocks: 12
; NumSGPRsForWavesPerEU: 102
; NumVGPRsForWavesPerEU: 49
; Occupancy: 4
; WaveLimiterHint : 1
; COMPUTE_PGM_RSRC2:SCRATCH_EN: 0
; COMPUTE_PGM_RSRC2:USER_SGPR: 6
; COMPUTE_PGM_RSRC2:TRAP_HANDLER: 0
; COMPUTE_PGM_RSRC2:TGID_X_EN: 1
; COMPUTE_PGM_RSRC2:TGID_Y_EN: 0
; COMPUTE_PGM_RSRC2:TGID_Z_EN: 1
; COMPUTE_PGM_RSRC2:TIDIG_COMP_CNT: 1
	.section	.text._ZL19rocblas_trsv_deviceILi64ELi16ELb0ELb1ELb1ELb1EddPKPKdPKPdEviT7_lllT6_T8_lllPii,"axG",@progbits,_ZL19rocblas_trsv_deviceILi64ELi16ELb0ELb1ELb1ELb1EddPKPKdPKPdEviT7_lllT6_T8_lllPii,comdat
	.globl	_ZL19rocblas_trsv_deviceILi64ELi16ELb0ELb1ELb1ELb1EddPKPKdPKPdEviT7_lllT6_T8_lllPii ; -- Begin function _ZL19rocblas_trsv_deviceILi64ELi16ELb0ELb1ELb1ELb1EddPKPKdPKPdEviT7_lllT6_T8_lllPii
	.p2align	8
	.type	_ZL19rocblas_trsv_deviceILi64ELi16ELb0ELb1ELb1ELb1EddPKPKdPKPdEviT7_lllT6_T8_lllPii,@function
_ZL19rocblas_trsv_deviceILi64ELi16ELb0ELb1ELb1ELb1EddPKPKdPKPdEviT7_lllT6_T8_lllPii: ; @_ZL19rocblas_trsv_deviceILi64ELi16ELb0ELb1ELb1ELb1EddPKPKdPKPdEviT7_lllT6_T8_lllPii
; %bb.0:
	s_load_dwordx4 s[0:3], s[4:5], 0x8
	s_mov_b32 s22, s7
	s_mov_b32 s23, 0
	s_lshl_b64 s[8:9], s[22:23], 3
	s_waitcnt lgkmcnt(0)
	s_add_u32 s0, s0, s8
	s_addc_u32 s1, s1, s9
	s_load_dwordx2 s[10:11], s[0:1], 0x0
	s_load_dword s33, s[4:5], 0x0
	s_load_dwordx8 s[24:31], s[4:5], 0x28
	s_load_dwordx2 s[34:35], s[4:5], 0x18
	s_lshl_b64 s[0:1], s[2:3], 3
	s_waitcnt lgkmcnt(0)
	s_add_u32 s88, s10, s0
	s_addc_u32 s89, s11, s1
	s_add_u32 s0, s26, s8
	s_addc_u32 s1, s27, s9
	s_load_dwordx2 s[36:37], s[0:1], 0x0
	s_load_dword s16, s[4:5], 0x6c
	s_cmp_eq_u32 s6, 0
	s_cbranch_scc1 .LBB135_10
; %bb.1:
	s_lshl_b32 s2, s6, 6
	v_add_u32_e32 v4, s2, v0
	v_ashrrev_i32_e32 v2, 31, v4
	v_mul_lo_u32 v5, s34, v2
	v_mul_lo_u32 v6, s35, v4
	v_mad_u64_u32 v[2:3], s[0:1], s34, v4, 0
	v_add_u32_e32 v7, s2, v1
	v_subrev_u32_e32 v10, 64, v7
	v_add3_u32 v3, v3, v5, v6
	v_lshlrev_b64 v[2:3], 3, v[2:3]
	v_ashrrev_i32_e32 v11, 31, v10
	v_cmp_gt_i32_e32 vcc, s33, v4
	v_mov_b32_e32 v4, s89
	v_add_co_u32_e64 v5, s[0:1], s88, v2
	v_addc_co_u32_e64 v4, s[0:1], v4, v3, s[0:1]
	v_lshlrev_b64 v[2:3], 3, v[10:11]
	s_waitcnt lgkmcnt(0)
	v_add_co_u32_e64 v11, s[0:1], v5, v2
	v_addc_co_u32_e64 v12, s[0:1], v4, v3, s[0:1]
	v_cmp_gt_i32_e64 s[0:1], s33, v10
	v_mov_b32_e32 v2, 0
	v_mov_b32_e32 v4, 0
	;; [unrolled: 1-line block ×4, first 2 shown]
	s_and_b64 s[2:3], s[0:1], vcc
	s_barrier
	s_and_saveexec_b64 s[0:1], s[2:3]
	s_cbranch_execz .LBB135_3
; %bb.2:
	flat_load_dwordx2 v[4:5], v[11:12]
.LBB135_3:
	s_or_b64 exec, exec, s[0:1]
	v_add_u32_e32 v6, 16, v10
	v_cmp_gt_i32_e64 s[0:1], s33, v6
	s_and_b64 s[2:3], s[0:1], vcc
	s_waitcnt vmcnt(0) lgkmcnt(0)
	s_barrier
	s_and_saveexec_b64 s[0:1], s[2:3]
	s_cbranch_execz .LBB135_5
; %bb.4:
	flat_load_dwordx2 v[2:3], v[11:12] offset:128
.LBB135_5:
	s_or_b64 exec, exec, s[0:1]
	v_add_u32_e32 v6, 32, v10
	v_cmp_gt_i32_e64 s[0:1], s33, v6
	v_mov_b32_e32 v6, 0
	v_mov_b32_e32 v8, 0
	;; [unrolled: 1-line block ×4, first 2 shown]
	s_and_b64 s[2:3], s[0:1], vcc
	s_waitcnt vmcnt(0) lgkmcnt(0)
	s_barrier
	s_and_saveexec_b64 s[0:1], s[2:3]
	s_cbranch_execz .LBB135_7
; %bb.6:
	flat_load_dwordx2 v[8:9], v[11:12] offset:256
.LBB135_7:
	s_or_b64 exec, exec, s[0:1]
	v_add_u32_e32 v10, 48, v10
	v_cmp_gt_i32_e64 s[0:1], s33, v10
	s_and_b64 s[2:3], s[0:1], vcc
	s_waitcnt vmcnt(0) lgkmcnt(0)
	s_barrier
	s_and_saveexec_b64 s[0:1], s[2:3]
	s_cbranch_execz .LBB135_9
; %bb.8:
	flat_load_dwordx2 v[6:7], v[11:12] offset:384
.LBB135_9:
	s_or_b64 exec, exec, s[0:1]
	s_branch .LBB135_11
.LBB135_10:
                                        ; implicit-def: $vgpr6_vgpr7
                                        ; implicit-def: $vgpr8_vgpr9
                                        ; implicit-def: $vgpr2_vgpr3
                                        ; implicit-def: $vgpr4_vgpr5
.LBB135_11:
	s_ashr_i32 s0, s33, 31
	s_lshr_b32 s0, s0, 26
	s_add_i32 s0, s33, s0
	s_andn2_b32 s0, s0, 63
	s_sub_i32 s7, s33, s0
	s_add_i32 s0, s33, -1
	s_ashr_i32 s1, s0, 31
	s_lshr_b32 s1, s1, 26
	s_add_i32 s0, s0, s1
	s_ashr_i32 s0, s0, 6
	s_cmp_eq_u32 s0, s6
	s_cselect_b64 s[0:1], -1, 0
	s_cmp_lg_u32 s7, 0
	s_cselect_b64 s[2:3], -1, 0
	s_and_b64 s[26:27], s[2:3], s[0:1]
	s_cmp_lt_i32 s6, 5
	s_cselect_b64 s[2:3], -1, 0
	s_mov_b64 s[12:13], -1
	s_or_b64 s[0:1], s[2:3], s[26:27]
	v_lshlrev_b32_e32 v14, 6, v0
	s_and_b64 vcc, exec, s[26:27]
	v_cmp_le_u32_e64 s[8:9], v1, v0
	v_lshlrev_b32_e32 v18, 3, v0
	s_cbranch_vccnz .LBB135_33
; %bb.12:
	s_add_u32 s10, s34, 1
	s_addc_u32 s11, s35, 0
	s_lshl_b32 s12, s6, 6
	s_ashr_i32 s13, s12, 31
	s_mul_hi_u32 s14, s10, s12
	s_mul_i32 s13, s10, s13
	s_add_i32 s13, s14, s13
	s_mul_i32 s11, s11, s12
	s_add_i32 s11, s13, s11
	s_mul_i32 s10, s10, s12
	s_lshl_b64 s[10:11], s[10:11], 3
	s_add_u32 s10, s88, s10
	s_addc_u32 s11, s89, s11
	v_lshlrev_b32_e32 v10, 3, v0
	v_mov_b32_e32 v11, s11
	v_add_co_u32_e32 v10, vcc, s10, v10
	v_addc_co_u32_e32 v11, vcc, 0, v11, vcc
	s_mov_b64 s[10:11], 0
	s_and_saveexec_b64 s[12:13], s[8:9]
	s_xor_b64 s[8:9], exec, s[12:13]
; %bb.13:
	v_or_b32_e32 v12, v1, v0
	v_cmp_gt_u32_e32 vcc, 64, v12
	s_and_b64 s[10:11], vcc, exec
; %bb.14:
	s_or_saveexec_b64 s[8:9], s[8:9]
	v_mov_b32_e32 v12, 0
	v_mov_b32_e32 v13, 0
	s_xor_b64 exec, exec, s[8:9]
	s_cbranch_execz .LBB135_16
; %bb.15:
	v_mad_u64_u32 v[12:13], s[12:13], s34, v1, 0
	s_or_b64 s[10:11], s[10:11], exec
	v_mad_u64_u32 v[15:16], s[12:13], s35, v1, v[13:14]
	v_mov_b32_e32 v13, v15
	v_lshlrev_b64 v[12:13], 3, v[12:13]
	v_add_co_u32_e32 v12, vcc, v10, v12
	v_addc_co_u32_e32 v13, vcc, v11, v13, vcc
	flat_load_dwordx2 v[12:13], v[12:13]
	s_waitcnt vmcnt(0) lgkmcnt(0)
	v_xor_b32_e32 v13, 0x80000000, v13
.LBB135_16:
	s_or_b64 exec, exec, s[8:9]
	s_and_saveexec_b64 s[8:9], s[10:11]
; %bb.17:
	v_add_u32_e32 v15, v1, v14
	v_lshl_add_u32 v16, v1, 6, v0
	v_cndmask_b32_e64 v15, v16, v15, s[2:3]
	v_lshlrev_b32_e32 v15, 3, v15
	ds_write_b64 v15, v[12:13]
; %bb.18:
	s_or_b64 exec, exec, s[8:9]
	v_add_u32_e32 v15, 16, v1
	v_cmp_le_u32_e32 vcc, v15, v0
	s_mov_b64 s[2:3], 0
	s_and_saveexec_b64 s[8:9], vcc
	s_xor_b64 s[8:9], exec, s[8:9]
; %bb.19:
	v_or_b32_e32 v12, v15, v0
	v_cmp_gt_u32_e32 vcc, 64, v12
	s_and_b64 s[2:3], vcc, exec
; %bb.20:
	s_or_saveexec_b64 s[8:9], s[8:9]
	v_mov_b32_e32 v12, 0
	v_mov_b32_e32 v13, 0
	s_xor_b64 exec, exec, s[8:9]
	s_cbranch_execz .LBB135_22
; %bb.21:
	v_mad_u64_u32 v[12:13], s[10:11], s34, v15, 0
	s_or_b64 s[2:3], s[2:3], exec
	v_mad_u64_u32 v[16:17], s[10:11], s35, v15, v[13:14]
	v_mov_b32_e32 v13, v16
	v_lshlrev_b64 v[12:13], 3, v[12:13]
	v_add_co_u32_e32 v12, vcc, v10, v12
	v_addc_co_u32_e32 v13, vcc, v11, v13, vcc
	flat_load_dwordx2 v[12:13], v[12:13]
	s_waitcnt vmcnt(0) lgkmcnt(0)
	v_xor_b32_e32 v13, 0x80000000, v13
.LBB135_22:
	s_or_b64 exec, exec, s[8:9]
	s_and_saveexec_b64 s[8:9], s[2:3]
; %bb.23:
	v_add_u32_e32 v16, v15, v14
	v_lshl_add_u32 v15, v15, 6, v0
	v_cndmask_b32_e64 v15, v15, v16, s[0:1]
	v_lshlrev_b32_e32 v15, 3, v15
	ds_write_b64 v15, v[12:13]
; %bb.24:
	s_or_b64 exec, exec, s[8:9]
	v_add_u32_e32 v15, 32, v1
	v_cmp_le_u32_e32 vcc, v15, v0
	s_mov_b64 s[2:3], 0
	s_and_saveexec_b64 s[8:9], vcc
	s_xor_b64 s[8:9], exec, s[8:9]
; %bb.25:
	v_or_b32_e32 v12, v15, v0
	v_cmp_gt_u32_e32 vcc, 64, v12
	s_and_b64 s[2:3], vcc, exec
; %bb.26:
	s_or_saveexec_b64 s[8:9], s[8:9]
	v_mov_b32_e32 v12, 0
	v_mov_b32_e32 v13, 0
	s_xor_b64 exec, exec, s[8:9]
	s_cbranch_execz .LBB135_28
; %bb.27:
	v_mad_u64_u32 v[12:13], s[10:11], s34, v15, 0
	s_or_b64 s[2:3], s[2:3], exec
	v_mad_u64_u32 v[16:17], s[10:11], s35, v15, v[13:14]
	v_mov_b32_e32 v13, v16
	v_lshlrev_b64 v[12:13], 3, v[12:13]
	v_add_co_u32_e32 v12, vcc, v10, v12
	v_addc_co_u32_e32 v13, vcc, v11, v13, vcc
	flat_load_dwordx2 v[12:13], v[12:13]
	s_waitcnt vmcnt(0) lgkmcnt(0)
	v_xor_b32_e32 v13, 0x80000000, v13
.LBB135_28:
	s_or_b64 exec, exec, s[8:9]
	s_and_saveexec_b64 s[8:9], s[2:3]
; %bb.29:
	v_add_u32_e32 v16, v15, v14
	v_lshl_add_u32 v15, v15, 6, v0
	v_cndmask_b32_e64 v15, v15, v16, s[0:1]
	v_lshlrev_b32_e32 v15, 3, v15
	ds_write_b64 v15, v[12:13]
; %bb.30:
	s_or_b64 exec, exec, s[8:9]
	v_add_u32_e32 v15, 48, v1
	v_add_u32_e32 v12, v15, v14
	v_lshl_add_u32 v13, v15, 6, v0
	v_cmp_le_u32_e32 vcc, v15, v0
	s_mov_b64 s[2:3], -1
	s_mov_b64 s[12:13], 0
	s_mov_b64 s[10:11], 0
	s_and_saveexec_b64 s[8:9], vcc
	s_xor_b64 s[8:9], exec, s[8:9]
; %bb.31:
	v_or_b32_e32 v16, v15, v0
	v_cmp_gt_u32_e32 vcc, 64, v16
	s_and_b64 s[10:11], vcc, exec
	s_xor_b64 s[2:3], exec, -1
; %bb.32:
	s_or_b64 exec, exec, s[8:9]
	v_cndmask_b32_e64 v16, v13, v12, s[0:1]
	s_and_b64 vcc, exec, s[12:13]
	s_cbranch_vccnz .LBB135_34
	s_branch .LBB135_55
.LBB135_33:
	s_mov_b64 s[2:3], 0
	s_mov_b64 s[10:11], 0
                                        ; implicit-def: $vgpr16
                                        ; implicit-def: $vgpr10_vgpr11
                                        ; implicit-def: $vgpr15
	s_and_b64 vcc, exec, s[12:13]
	s_cbranch_vccz .LBB135_55
.LBB135_34:
	s_add_u32 s2, s34, 1
	s_addc_u32 s3, s35, 0
	s_lshl_b32 s8, s6, 6
	s_ashr_i32 s9, s8, 31
	s_mul_hi_u32 s12, s2, s8
	s_mul_i32 s9, s2, s9
	s_add_i32 s9, s12, s9
	s_mul_i32 s3, s3, s8
	s_add_i32 s3, s9, s3
	s_mul_i32 s2, s2, s8
	s_lshl_b64 s[2:3], s[2:3], 3
	s_add_u32 s2, s88, s2
	s_addc_u32 s3, s89, s3
	v_lshlrev_b32_e32 v10, 3, v0
	v_mov_b32_e32 v11, s3
	v_add_co_u32_e64 v10, s[2:3], s2, v10
	v_addc_co_u32_e64 v11, s[2:3], 0, v11, s[2:3]
	v_max_i32_e32 v12, v1, v0
	v_cmp_le_u32_e64 s[2:3], v1, v0
	v_cmp_le_i32_e64 s[8:9], s7, v12
	v_cmp_gt_i32_e32 vcc, s7, v0
	s_or_b64 s[2:3], s[8:9], s[2:3]
	s_mov_b64 s[8:9], 0
	s_and_saveexec_b64 s[12:13], s[2:3]
	s_xor_b64 s[12:13], exec, s[12:13]
; %bb.35:
	v_or_b32_e32 v12, v1, v0
	v_cmp_gt_u32_e64 s[2:3], 64, v12
	s_and_b64 s[8:9], s[2:3], exec
; %bb.36:
	s_or_saveexec_b64 s[12:13], s[12:13]
	v_mov_b32_e32 v12, 0
	v_mov_b32_e32 v13, 0
	s_xor_b64 exec, exec, s[12:13]
	s_cbranch_execz .LBB135_38
; %bb.37:
	v_mad_u64_u32 v[12:13], s[2:3], s34, v1, 0
	s_or_b64 s[8:9], s[8:9], exec
	v_mad_u64_u32 v[15:16], s[2:3], s35, v1, v[13:14]
	v_mov_b32_e32 v13, v15
	v_lshlrev_b64 v[12:13], 3, v[12:13]
	v_add_co_u32_e64 v12, s[2:3], v10, v12
	v_addc_co_u32_e64 v13, s[2:3], v11, v13, s[2:3]
	flat_load_dwordx2 v[12:13], v[12:13]
	s_waitcnt vmcnt(0) lgkmcnt(0)
	v_xor_b32_e32 v13, 0x80000000, v13
.LBB135_38:
	s_or_b64 exec, exec, s[12:13]
	s_and_saveexec_b64 s[2:3], s[8:9]
; %bb.39:
	v_lshlrev_b32_e32 v15, 3, v14
	v_lshl_add_u32 v15, v1, 3, v15
	ds_write_b64 v15, v[12:13]
; %bb.40:
	s_or_b64 exec, exec, s[2:3]
	v_add_u32_e32 v15, 16, v1
	v_cmp_gt_u32_e64 s[2:3], v15, v0
	v_cmp_gt_i32_e64 s[8:9], s7, v15
	s_and_b64 s[2:3], s[2:3], s[8:9]
	s_and_b64 s[2:3], s[2:3], vcc
	s_xor_b64 s[2:3], s[2:3], -1
	s_mov_b64 s[8:9], 0
	s_and_saveexec_b64 s[12:13], s[2:3]
	s_xor_b64 s[12:13], exec, s[12:13]
; %bb.41:
	v_or_b32_e32 v12, v15, v0
	v_cmp_gt_u32_e64 s[2:3], 64, v12
	s_and_b64 s[8:9], s[2:3], exec
; %bb.42:
	s_or_saveexec_b64 s[12:13], s[12:13]
	v_mov_b32_e32 v12, 0
	v_mov_b32_e32 v13, 0
	s_xor_b64 exec, exec, s[12:13]
	s_cbranch_execz .LBB135_44
; %bb.43:
	v_mad_u64_u32 v[12:13], s[2:3], s34, v15, 0
	s_or_b64 s[8:9], s[8:9], exec
	v_mad_u64_u32 v[16:17], s[2:3], s35, v15, v[13:14]
	v_mov_b32_e32 v13, v16
	v_lshlrev_b64 v[12:13], 3, v[12:13]
	v_add_co_u32_e64 v12, s[2:3], v10, v12
	v_addc_co_u32_e64 v13, s[2:3], v11, v13, s[2:3]
	flat_load_dwordx2 v[12:13], v[12:13]
	s_waitcnt vmcnt(0) lgkmcnt(0)
	v_xor_b32_e32 v13, 0x80000000, v13
.LBB135_44:
	s_or_b64 exec, exec, s[12:13]
	s_and_saveexec_b64 s[2:3], s[8:9]
; %bb.45:
	v_add_u32_e32 v16, v15, v14
	v_lshl_add_u32 v15, v15, 6, v0
	v_cndmask_b32_e64 v15, v15, v16, s[0:1]
	v_lshlrev_b32_e32 v15, 3, v15
	ds_write_b64 v15, v[12:13]
; %bb.46:
	s_or_b64 exec, exec, s[2:3]
	v_add_u32_e32 v15, 32, v1
	v_cmp_gt_u32_e64 s[2:3], v15, v0
	v_cmp_gt_i32_e64 s[8:9], s7, v15
	s_and_b64 s[2:3], s[2:3], s[8:9]
	s_and_b64 s[2:3], s[2:3], vcc
	s_xor_b64 s[2:3], s[2:3], -1
	s_mov_b64 s[8:9], 0
	s_and_saveexec_b64 s[12:13], s[2:3]
	s_xor_b64 s[12:13], exec, s[12:13]
; %bb.47:
	v_or_b32_e32 v12, v15, v0
	v_cmp_gt_u32_e64 s[2:3], 64, v12
	s_and_b64 s[8:9], s[2:3], exec
; %bb.48:
	s_or_saveexec_b64 s[12:13], s[12:13]
	v_mov_b32_e32 v12, 0
	v_mov_b32_e32 v13, 0
	s_xor_b64 exec, exec, s[12:13]
	s_cbranch_execz .LBB135_50
; %bb.49:
	v_mad_u64_u32 v[12:13], s[2:3], s34, v15, 0
	s_or_b64 s[8:9], s[8:9], exec
	v_mad_u64_u32 v[16:17], s[2:3], s35, v15, v[13:14]
	v_mov_b32_e32 v13, v16
	v_lshlrev_b64 v[12:13], 3, v[12:13]
	v_add_co_u32_e64 v12, s[2:3], v10, v12
	v_addc_co_u32_e64 v13, s[2:3], v11, v13, s[2:3]
	flat_load_dwordx2 v[12:13], v[12:13]
	s_waitcnt vmcnt(0) lgkmcnt(0)
	v_xor_b32_e32 v13, 0x80000000, v13
.LBB135_50:
	s_or_b64 exec, exec, s[12:13]
	s_and_saveexec_b64 s[2:3], s[8:9]
; %bb.51:
	v_add_u32_e32 v16, v15, v14
	v_lshl_add_u32 v15, v15, 6, v0
	v_cndmask_b32_e64 v15, v15, v16, s[0:1]
	v_lshlrev_b32_e32 v15, 3, v15
	ds_write_b64 v15, v[12:13]
; %bb.52:
	s_or_b64 exec, exec, s[2:3]
	v_add_u32_e32 v15, 48, v1
	v_cmp_gt_u32_e64 s[2:3], v15, v0
	v_cmp_gt_i32_e64 s[8:9], s7, v15
	s_and_b64 s[2:3], s[2:3], s[8:9]
	s_and_b64 s[8:9], s[2:3], vcc
	v_add_u32_e32 v12, v15, v14
	v_lshl_add_u32 v13, v15, 6, v0
	s_mov_b64 s[2:3], -1
	s_xor_b64 s[12:13], s[8:9], -1
	s_and_saveexec_b64 s[8:9], s[12:13]
; %bb.53:
	v_or_b32_e32 v14, v15, v0
	v_cmp_gt_u32_e32 vcc, 64, v14
	s_andn2_b64 s[2:3], s[10:11], exec
	s_and_b64 s[10:11], vcc, exec
	s_or_b64 s[10:11], s[2:3], s[10:11]
	s_xor_b64 s[2:3], exec, -1
; %bb.54:
	s_or_b64 exec, exec, s[8:9]
	v_cndmask_b32_e64 v16, v13, v12, s[0:1]
.LBB135_55:
	v_mov_b32_e32 v12, 0
	v_mov_b32_e32 v13, 0
	s_and_saveexec_b64 s[8:9], s[2:3]
	s_cbranch_execnz .LBB135_1139
; %bb.56:
	s_or_b64 exec, exec, s[8:9]
	s_xor_b64 s[0:1], s[0:1], -1
	s_and_saveexec_b64 s[2:3], s[10:11]
.LBB135_57:
	v_lshlrev_b32_e32 v10, 3, v16
	ds_write_b64 v10, v[12:13]
.LBB135_58:
	s_or_b64 exec, exec, s[2:3]
	v_cndmask_b32_e64 v10, 0, 1, s[0:1]
	v_cmp_ne_u32_e64 s[46:47], 1, v10
	s_andn2_b64 vcc, exec, s[0:1]
	s_waitcnt vmcnt(0) lgkmcnt(0)
	s_barrier
	s_cbranch_vccnz .LBB135_1096
; %bb.59:
	v_or_b32_e32 v10, v0, v1
	v_cmp_eq_u32_e32 vcc, 0, v10
	s_and_saveexec_b64 s[0:1], vcc
	s_cbranch_execz .LBB135_61
; %bb.60:
	v_mov_b32_e32 v10, 0
	ds_read_b64 v[12:13], v10 offset:32752
	v_mov_b32_e32 v11, 0x3ff00000
	ds_write_b64 v10, v[10:11] offset:32760
	s_waitcnt lgkmcnt(1)
	ds_write_b128 v10, v[10:13] offset:32240
.LBB135_61:
	s_or_b64 exec, exec, s[0:1]
	v_lshlrev_b32_e32 v10, 6, v1
	v_add_u32_e32 v15, v10, v0
	v_and_b32_e32 v11, v10, v0
	v_xor_b32_e32 v10, v10, v0
	v_lshrrev_b16_e32 v10, 1, v10
	v_add_u16_e32 v14, v11, v10
	v_mov_b32_e32 v10, 0
	v_and_b32_e32 v12, 1, v0
	v_sub_u32_e32 v13, 1, v14
	v_cmp_lt_u32_e64 s[8:9], 3, v15
	v_mov_b32_e32 v11, 0
	v_cmp_gt_u32_e64 s[2:3], 4, v15
	s_waitcnt lgkmcnt(0)
	s_barrier
	buffer_wbinvl1_vol
	s_and_saveexec_b64 s[0:1], s[2:3]
	s_cbranch_execz .LBB135_65
; %bb.62:
	v_lshlrev_b32_e32 v16, 9, v13
	v_lshlrev_b32_e32 v10, 3, v12
	ds_read_b64 v[10:11], v10 offset:32224
	ds_read_b64 v[16:17], v16 offset:32240
	v_cmp_gt_u32_e64 s[10:11], 2, v15
	s_waitcnt lgkmcnt(0)
	v_fma_f64 v[10:11], v[10:11], v[16:17], 0
	s_and_saveexec_b64 s[12:13], s[10:11]
	s_cbranch_execz .LBB135_64
; %bb.63:
	v_lshlrev_b32_e32 v16, 3, v0
	v_mov_b32_e32 v19, 0
	ds_read_b64 v[16:17], v16 offset:32736
	ds_read_b64 v[19:20], v19 offset:32760
	s_waitcnt lgkmcnt(0)
	v_fma_f64 v[10:11], v[16:17], v[19:20], v[10:11]
.LBB135_64:
	s_or_b64 exec, exec, s[12:13]
.LBB135_65:
	s_or_b64 exec, exec, s[0:1]
	v_mov_b32_e32 v16, 0x8000
	v_cmp_ne_u32_e64 s[10:11], 0, v12
	s_xor_b64 s[0:1], s[8:9], -1
	v_lshl_add_u32 v14, v14, 3, v16
	s_and_b64 s[40:41], s[10:11], s[0:1]
	s_and_saveexec_b64 s[8:9], s[40:41]
; %bb.66:
	v_xor_b32_e32 v17, 0x80000000, v11
	v_mov_b32_e32 v16, v10
	ds_write_b64 v14, v[16:17]
; %bb.67:
	s_or_b64 exec, exec, s[8:9]
	v_cmp_eq_u32_e64 s[8:9], 0, v12
	s_and_b64 s[38:39], s[8:9], s[0:1]
	s_waitcnt lgkmcnt(0)
	s_barrier
	s_and_saveexec_b64 s[0:1], s[38:39]
	s_cbranch_execz .LBB135_69
; %bb.68:
	v_mov_b32_e32 v16, 0
	ds_read_b64 v[16:17], v16 offset:31712
	ds_read_b64 v[19:20], v14
	s_waitcnt lgkmcnt(0)
	v_fma_f64 v[10:11], -v[16:17], v[19:20], v[10:11]
.LBB135_69:
	s_or_b64 exec, exec, s[0:1]
	s_barrier
	s_and_saveexec_b64 s[0:1], s[38:39]
; %bb.70:
	v_xor_b32_e32 v17, 0x80000000, v11
	v_mov_b32_e32 v16, v10
	ds_write_b64 v14, v[16:17]
; %bb.71:
	s_or_b64 exec, exec, s[0:1]
	s_waitcnt lgkmcnt(0)
	s_barrier
	s_barrier
	s_and_saveexec_b64 s[0:1], s[2:3]
; %bb.72:
	v_lshlrev_b32_e32 v16, 3, v12
	v_lshl_or_b32 v16, v13, 9, v16
	ds_write_b64 v16, v[10:11] offset:32224
; %bb.73:
	s_or_b64 exec, exec, s[0:1]
	v_cmp_eq_u32_e64 s[12:13], 0, v1
	v_cmp_gt_u32_e64 s[8:9], 2, v0
	s_and_b64 s[42:43], s[12:13], s[8:9]
	s_waitcnt lgkmcnt(0)
	s_barrier
	s_barrier
	s_and_saveexec_b64 s[0:1], s[42:43]
	s_cbranch_execz .LBB135_75
; %bb.74:
	v_lshlrev_b32_e32 v16, 3, v0
	s_movk_i32 s8, 0x1f8
	v_mad_u32_u24 v17, v0, s8, v16
	ds_read_b64 v[10:11], v17 offset:32224
	s_waitcnt lgkmcnt(0)
	ds_write_b64 v16, v[10:11] offset:31216
	ds_read_b64 v[10:11], v17 offset:32232
	s_waitcnt lgkmcnt(0)
	ds_write_b64 v16, v[10:11] offset:31728
.LBB135_75:
	s_or_b64 exec, exec, s[0:1]
	s_waitcnt lgkmcnt(0)
	s_barrier
	s_and_saveexec_b64 s[0:1], vcc
	s_cbranch_execz .LBB135_77
; %bb.76:
	v_mov_b32_e32 v19, 0
	ds_read_b64 v[21:22], v19 offset:31712
	v_mov_b32_e32 v20, 0x3ff00000
	ds_write_b64 v19, v[19:20] offset:31720
	s_waitcnt lgkmcnt(1)
	ds_write_b128 v19, v[19:22] offset:31200
.LBB135_77:
	s_or_b64 exec, exec, s[0:1]
	v_lshrrev_b32_e32 v19, 2, v15
	v_mov_b32_e32 v10, 0
	v_and_b32_e32 v16, 3, v0
	v_sub_u32_e32 v17, 3, v19
	v_cmp_lt_u32_e64 s[8:9], 15, v15
	v_mov_b32_e32 v11, 0
	v_cmp_gt_u32_e64 s[18:19], 16, v15
	s_waitcnt lgkmcnt(0)
	s_barrier
	buffer_wbinvl1_vol
	s_and_saveexec_b64 s[0:1], s[18:19]
	s_cbranch_execz .LBB135_83
; %bb.78:
	v_lshlrev_b32_e32 v21, 3, v16
	v_lshlrev_b32_e32 v20, 9, v17
	ds_read_b64 v[10:11], v21 offset:31168
	ds_read_b64 v[22:23], v20 offset:31200
	v_cmp_gt_u32_e64 s[10:11], 12, v15
	s_waitcnt lgkmcnt(0)
	v_fma_f64 v[10:11], v[10:11], v[22:23], 0
	s_and_saveexec_b64 s[14:15], s[10:11]
	s_cbranch_execnz .LBB135_1172
; %bb.79:
	s_or_b64 exec, exec, s[14:15]
	v_cmp_gt_u32_e64 s[10:11], 8, v15
	s_and_saveexec_b64 s[14:15], s[10:11]
	s_cbranch_execnz .LBB135_1173
.LBB135_80:
	s_or_b64 exec, exec, s[14:15]
	v_cmp_gt_u32_e64 s[10:11], 4, v15
	s_and_saveexec_b64 s[14:15], s[10:11]
	s_cbranch_execz .LBB135_82
.LBB135_81:
	v_lshlrev_b32_e32 v20, 3, v0
	v_mov_b32_e32 v22, 0
	ds_read_b64 v[20:21], v20 offset:32704
	ds_read_b64 v[22:23], v22 offset:32760
	s_waitcnt lgkmcnt(0)
	v_fma_f64 v[10:11], v[20:21], v[22:23], v[10:11]
.LBB135_82:
	s_or_b64 exec, exec, s[14:15]
.LBB135_83:
                                        ; implicit-def: $vgpr35 : SGPR spill to VGPR lane
	v_writelane_b32 v35, s46, 0
	v_writelane_b32 v35, s47, 1
	s_or_b64 exec, exec, s[0:1]
	v_mov_b32_e32 v20, 0x8000
	v_cmp_eq_u32_e64 s[10:11], 3, v16
	s_xor_b64 s[0:1], s[8:9], -1
	v_lshl_add_u32 v19, v19, 3, v20
	s_and_b64 s[46:47], s[10:11], s[0:1]
	s_and_saveexec_b64 s[8:9], s[46:47]
; %bb.84:
	v_xor_b32_e32 v21, 0x80000000, v11
	v_mov_b32_e32 v20, v10
	ds_write_b64 v19, v[20:21]
; %bb.85:
	s_or_b64 exec, exec, s[8:9]
	v_cmp_ne_u32_e64 s[8:9], 3, v16
	s_and_b64 s[48:49], s[8:9], s[0:1]
	s_waitcnt lgkmcnt(0)
	s_barrier
	s_and_saveexec_b64 s[8:9], s[48:49]
	s_cbranch_execz .LBB135_87
; %bb.86:
	v_lshlrev_b32_e32 v20, 3, v16
	ds_read_b64 v[20:21], v20 offset:30656
	ds_read_b64 v[22:23], v19
	s_waitcnt lgkmcnt(0)
	v_fma_f64 v[10:11], -v[20:21], v[22:23], v[10:11]
.LBB135_87:
	s_or_b64 exec, exec, s[8:9]
	v_cmp_eq_u32_e64 s[8:9], 2, v16
	s_and_b64 s[50:51], s[8:9], s[0:1]
	s_barrier
	s_and_saveexec_b64 s[8:9], s[50:51]
; %bb.88:
	v_xor_b32_e32 v21, 0x80000000, v11
	v_mov_b32_e32 v20, v10
	ds_write_b64 v19, v[20:21]
; %bb.89:
	s_or_b64 exec, exec, s[8:9]
	v_cmp_gt_u32_e64 s[8:9], 2, v16
	s_and_b64 s[52:53], s[8:9], s[0:1]
	s_waitcnt lgkmcnt(0)
	s_barrier
	s_and_saveexec_b64 s[8:9], s[52:53]
	s_cbranch_execz .LBB135_91
; %bb.90:
	v_lshlrev_b32_e32 v20, 3, v16
	ds_read_b64 v[20:21], v20 offset:30144
	ds_read_b64 v[22:23], v19
	s_waitcnt lgkmcnt(0)
	v_fma_f64 v[10:11], -v[20:21], v[22:23], v[10:11]
.LBB135_91:
	s_or_b64 exec, exec, s[8:9]
	v_cmp_eq_u32_e64 s[8:9], 1, v16
	s_and_b64 s[54:55], s[8:9], s[0:1]
	s_barrier
	s_and_saveexec_b64 s[8:9], s[54:55]
; %bb.92:
	v_xor_b32_e32 v21, 0x80000000, v11
	v_mov_b32_e32 v20, v10
	ds_write_b64 v19, v[20:21]
; %bb.93:
	s_or_b64 exec, exec, s[8:9]
	v_cmp_eq_u32_e64 s[8:9], 0, v16
	s_and_b64 s[44:45], s[8:9], s[0:1]
	s_waitcnt lgkmcnt(0)
	s_barrier
	s_and_saveexec_b64 s[0:1], s[44:45]
	s_cbranch_execz .LBB135_95
; %bb.94:
	v_mov_b32_e32 v20, 0
	ds_read_b64 v[20:21], v20 offset:29632
	ds_read_b64 v[22:23], v19
	s_waitcnt lgkmcnt(0)
	v_fma_f64 v[10:11], -v[20:21], v[22:23], v[10:11]
.LBB135_95:
	s_or_b64 exec, exec, s[0:1]
	s_barrier
	s_and_saveexec_b64 s[0:1], s[44:45]
; %bb.96:
	v_xor_b32_e32 v21, 0x80000000, v11
	v_mov_b32_e32 v20, v10
	ds_write_b64 v19, v[20:21]
; %bb.97:
	s_or_b64 exec, exec, s[0:1]
	s_waitcnt lgkmcnt(0)
	s_barrier
	s_barrier
	s_and_saveexec_b64 s[0:1], s[18:19]
; %bb.98:
	v_lshlrev_b32_e32 v20, 3, v16
	v_lshl_or_b32 v20, v17, 9, v20
	ds_write_b64 v20, v[10:11] offset:31168
; %bb.99:
	s_or_b64 exec, exec, s[0:1]
	v_cmp_gt_u32_e64 s[8:9], 4, v0
	s_and_b64 s[56:57], s[12:13], s[8:9]
	s_waitcnt lgkmcnt(0)
	s_barrier
	s_barrier
	s_and_saveexec_b64 s[0:1], s[56:57]
	s_cbranch_execz .LBB135_101
; %bb.100:
	v_lshlrev_b32_e32 v20, 9, v0
	ds_read_b64 v[10:11], v20 offset:31168
	s_movk_i32 s8, 0xfe08
	v_mad_i32_i24 v21, v0, s8, v20
	s_waitcnt lgkmcnt(0)
	ds_write_b64 v21, v[10:11] offset:29152
	ds_read_b64 v[10:11], v20 offset:31176
	s_waitcnt lgkmcnt(0)
	ds_write_b64 v21, v[10:11] offset:29664
	ds_read_b64 v[10:11], v20 offset:31184
	;; [unrolled: 3-line block ×3, first 2 shown]
	s_waitcnt lgkmcnt(0)
	ds_write_b64 v21, v[10:11] offset:30688
.LBB135_101:
	s_or_b64 exec, exec, s[0:1]
	s_waitcnt lgkmcnt(0)
	s_barrier
	s_and_saveexec_b64 s[0:1], vcc
	s_cbranch_execz .LBB135_103
; %bb.102:
	v_mov_b32_e32 v20, 0
	ds_read_b64 v[22:23], v20 offset:30672
	v_mov_b32_e32 v21, 0x3ff00000
	ds_write_b64 v20, v[20:21] offset:30680
	s_waitcnt lgkmcnt(1)
	ds_write_b128 v20, v[20:23] offset:30160
.LBB135_103:
	s_or_b64 exec, exec, s[0:1]
	v_mov_b32_e32 v10, 0
	v_mov_b32_e32 v11, 0
	s_waitcnt lgkmcnt(0)
	s_barrier
	buffer_wbinvl1_vol
	s_and_saveexec_b64 s[0:1], s[2:3]
	s_cbranch_execz .LBB135_107
; %bb.104:
	v_lshlrev_b32_e32 v20, 9, v13
	v_lshlrev_b32_e32 v10, 3, v12
	ds_read_b64 v[10:11], v10 offset:30144
	ds_read_b64 v[20:21], v20 offset:30160
	v_cmp_gt_u32_e64 s[8:9], 2, v15
	s_waitcnt lgkmcnt(0)
	v_fma_f64 v[10:11], v[10:11], v[20:21], 0
	s_and_saveexec_b64 s[10:11], s[8:9]
	s_cbranch_execz .LBB135_106
; %bb.105:
	v_lshlrev_b32_e32 v20, 3, v0
	v_mov_b32_e32 v22, 0
	ds_read_b64 v[20:21], v20 offset:30656
	ds_read_b64 v[22:23], v22 offset:30680
	s_waitcnt lgkmcnt(0)
	v_fma_f64 v[10:11], v[20:21], v[22:23], v[10:11]
.LBB135_106:
	s_or_b64 exec, exec, s[10:11]
.LBB135_107:
	s_or_b64 exec, exec, s[0:1]
	s_and_saveexec_b64 s[0:1], s[40:41]
; %bb.108:
	v_xor_b32_e32 v21, 0x80000000, v11
	v_mov_b32_e32 v20, v10
	ds_write_b64 v14, v[20:21]
; %bb.109:
	s_or_b64 exec, exec, s[0:1]
	s_waitcnt lgkmcnt(0)
	s_barrier
	s_and_saveexec_b64 s[0:1], s[38:39]
	s_cbranch_execz .LBB135_111
; %bb.110:
	v_mov_b32_e32 v20, 0
	ds_read_b64 v[20:21], v20 offset:29632
	ds_read_b64 v[22:23], v14
	s_waitcnt lgkmcnt(0)
	v_fma_f64 v[10:11], -v[20:21], v[22:23], v[10:11]
.LBB135_111:
	s_or_b64 exec, exec, s[0:1]
	s_barrier
	s_and_saveexec_b64 s[0:1], s[38:39]
; %bb.112:
	v_xor_b32_e32 v21, 0x80000000, v11
	v_mov_b32_e32 v20, v10
	ds_write_b64 v14, v[20:21]
; %bb.113:
	s_or_b64 exec, exec, s[0:1]
	s_waitcnt lgkmcnt(0)
	s_barrier
	s_barrier
	s_and_saveexec_b64 s[0:1], s[2:3]
; %bb.114:
	v_lshlrev_b32_e32 v20, 3, v12
	v_lshl_or_b32 v20, v13, 9, v20
	ds_write_b64 v20, v[10:11] offset:30144
; %bb.115:
	s_or_b64 exec, exec, s[0:1]
	s_waitcnt lgkmcnt(0)
	s_barrier
	s_barrier
	s_and_saveexec_b64 s[0:1], s[42:43]
	s_cbranch_execz .LBB135_117
; %bb.116:
	v_lshlrev_b32_e32 v20, 3, v0
	s_movk_i32 s8, 0x1f8
	v_mad_u32_u24 v21, v0, s8, v20
	ds_read_b64 v[10:11], v21 offset:30144
	s_waitcnt lgkmcnt(0)
	ds_write_b64 v20, v[10:11] offset:29136
	ds_read_b64 v[10:11], v21 offset:30152
	s_waitcnt lgkmcnt(0)
	ds_write_b64 v20, v[10:11] offset:29648
.LBB135_117:
	s_or_b64 exec, exec, s[0:1]
	s_waitcnt lgkmcnt(0)
	s_barrier
	s_and_saveexec_b64 s[0:1], vcc
	s_cbranch_execz .LBB135_119
; %bb.118:
	v_mov_b32_e32 v20, 0
	ds_read_b64 v[22:23], v20 offset:29632
	v_mov_b32_e32 v21, 0x3ff00000
	ds_write_b64 v20, v[20:21] offset:29640
	s_waitcnt lgkmcnt(1)
	ds_write_b128 v20, v[20:23] offset:29120
.LBB135_119:
	s_or_b64 exec, exec, s[0:1]
	v_lshrrev_b32_e32 v22, 3, v15
	v_mov_b32_e32 v10, 0
	v_and_b32_e32 v20, 7, v0
	v_sub_u32_e32 v21, 7, v22
	v_cmp_lt_u32_e64 s[10:11], 63, v15
	v_mov_b32_e32 v11, 0
	v_cmp_gt_u32_e64 s[8:9], 64, v15
	s_waitcnt lgkmcnt(0)
	s_barrier
	buffer_wbinvl1_vol
	s_and_saveexec_b64 s[0:1], s[8:9]
	s_cbranch_execz .LBB135_129
; %bb.120:
	v_lshlrev_b32_e32 v24, 3, v20
	v_lshlrev_b32_e32 v23, 9, v21
	ds_read_b64 v[10:11], v24 offset:29056
	ds_read_b64 v[25:26], v23 offset:29120
	v_cmp_gt_u32_e64 s[14:15], 56, v15
	s_waitcnt lgkmcnt(0)
	v_fma_f64 v[10:11], v[10:11], v[25:26], 0
	s_and_saveexec_b64 s[16:17], s[14:15]
	s_cbranch_execnz .LBB135_1174
; %bb.121:
	s_or_b64 exec, exec, s[16:17]
	v_cmp_gt_u32_e64 s[14:15], 48, v15
	s_and_saveexec_b64 s[16:17], s[14:15]
	s_cbranch_execnz .LBB135_1175
.LBB135_122:
	s_or_b64 exec, exec, s[16:17]
	v_cmp_gt_u32_e64 s[14:15], 40, v15
	s_and_saveexec_b64 s[16:17], s[14:15]
	s_cbranch_execnz .LBB135_1176
.LBB135_123:
	s_or_b64 exec, exec, s[16:17]
	v_cmp_gt_u32_e64 s[14:15], 32, v15
	s_and_saveexec_b64 s[16:17], s[14:15]
	s_cbranch_execnz .LBB135_1177
.LBB135_124:
	s_or_b64 exec, exec, s[16:17]
	v_cmp_gt_u32_e64 s[14:15], 24, v15
	s_and_saveexec_b64 s[16:17], s[14:15]
	s_cbranch_execnz .LBB135_1178
.LBB135_125:
	s_or_b64 exec, exec, s[16:17]
	s_and_saveexec_b64 s[14:15], s[18:19]
	s_cbranch_execnz .LBB135_1179
.LBB135_126:
	s_or_b64 exec, exec, s[14:15]
	v_cmp_gt_u32_e64 s[14:15], 8, v15
	s_and_saveexec_b64 s[16:17], s[14:15]
	s_cbranch_execz .LBB135_128
.LBB135_127:
	v_lshlrev_b32_e32 v23, 3, v0
	v_mov_b32_e32 v25, 0
	ds_read_b64 v[23:24], v23 offset:32640
	ds_read_b64 v[25:26], v25 offset:32760
	s_waitcnt lgkmcnt(0)
	v_fma_f64 v[10:11], v[23:24], v[25:26], v[10:11]
.LBB135_128:
	s_or_b64 exec, exec, s[16:17]
.LBB135_129:
	s_or_b64 exec, exec, s[0:1]
	v_mov_b32_e32 v23, 0x8000
	v_cmp_eq_u32_e64 s[14:15], 7, v20
	s_xor_b64 s[0:1], s[10:11], -1
	v_lshl_add_u32 v22, v22, 3, v23
	s_and_b64 s[58:59], s[14:15], s[0:1]
	s_and_saveexec_b64 s[10:11], s[58:59]
; %bb.130:
	v_xor_b32_e32 v24, 0x80000000, v11
	v_mov_b32_e32 v23, v10
	ds_write_b64 v22, v[23:24]
; %bb.131:
	s_or_b64 exec, exec, s[10:11]
	v_cmp_ne_u32_e64 s[10:11], 7, v20
	s_and_b64 s[60:61], s[10:11], s[0:1]
	s_waitcnt lgkmcnt(0)
	s_barrier
	s_and_saveexec_b64 s[10:11], s[60:61]
	s_cbranch_execz .LBB135_133
; %bb.132:
	v_lshlrev_b32_e32 v23, 3, v20
	ds_read_b64 v[23:24], v23 offset:28544
	ds_read_b64 v[25:26], v22
	s_waitcnt lgkmcnt(0)
	v_fma_f64 v[10:11], -v[23:24], v[25:26], v[10:11]
.LBB135_133:
	s_or_b64 exec, exec, s[10:11]
	v_cmp_eq_u32_e64 s[10:11], 6, v20
	s_and_b64 s[62:63], s[10:11], s[0:1]
	s_barrier
	s_and_saveexec_b64 s[10:11], s[62:63]
; %bb.134:
	v_xor_b32_e32 v24, 0x80000000, v11
	v_mov_b32_e32 v23, v10
	ds_write_b64 v22, v[23:24]
; %bb.135:
	s_or_b64 exec, exec, s[10:11]
	v_cmp_gt_u32_e64 s[10:11], 6, v20
	s_and_b64 s[64:65], s[10:11], s[0:1]
	s_waitcnt lgkmcnt(0)
	s_barrier
	s_and_saveexec_b64 s[10:11], s[64:65]
	s_cbranch_execz .LBB135_137
; %bb.136:
	v_lshlrev_b32_e32 v23, 3, v20
	ds_read_b64 v[23:24], v23 offset:28032
	ds_read_b64 v[25:26], v22
	s_waitcnt lgkmcnt(0)
	v_fma_f64 v[10:11], -v[23:24], v[25:26], v[10:11]
.LBB135_137:
	s_or_b64 exec, exec, s[10:11]
	v_cmp_eq_u32_e64 s[10:11], 5, v20
	s_and_b64 s[66:67], s[10:11], s[0:1]
	s_barrier
	s_and_saveexec_b64 s[10:11], s[66:67]
; %bb.138:
	v_xor_b32_e32 v24, 0x80000000, v11
	v_mov_b32_e32 v23, v10
	ds_write_b64 v22, v[23:24]
; %bb.139:
	s_or_b64 exec, exec, s[10:11]
	v_cmp_gt_u32_e64 s[10:11], 5, v20
	;; [unrolled: 24-line block ×5, first 2 shown]
	s_and_b64 s[82:83], s[10:11], s[0:1]
	s_waitcnt lgkmcnt(0)
	s_barrier
	s_and_saveexec_b64 s[10:11], s[82:83]
	s_cbranch_execz .LBB135_153
; %bb.152:
	v_lshlrev_b32_e32 v23, 3, v20
	ds_read_b64 v[23:24], v23 offset:25984
	ds_read_b64 v[25:26], v22
	s_waitcnt lgkmcnt(0)
	v_fma_f64 v[10:11], -v[23:24], v[25:26], v[10:11]
.LBB135_153:
	s_or_b64 exec, exec, s[10:11]
	v_cmp_eq_u32_e64 s[10:11], 1, v20
	s_and_b64 s[84:85], s[10:11], s[0:1]
	s_barrier
	s_and_saveexec_b64 s[10:11], s[84:85]
; %bb.154:
	v_xor_b32_e32 v24, 0x80000000, v11
	v_mov_b32_e32 v23, v10
	ds_write_b64 v22, v[23:24]
; %bb.155:
	s_or_b64 exec, exec, s[10:11]
	v_cmp_eq_u32_e64 s[10:11], 0, v20
	s_and_b64 s[68:69], s[10:11], s[0:1]
	s_waitcnt lgkmcnt(0)
	s_barrier
	s_and_saveexec_b64 s[0:1], s[68:69]
	s_cbranch_execz .LBB135_157
; %bb.156:
	v_mov_b32_e32 v23, 0
	ds_read_b64 v[23:24], v23 offset:25472
	ds_read_b64 v[25:26], v22
	s_waitcnt lgkmcnt(0)
	v_fma_f64 v[10:11], -v[23:24], v[25:26], v[10:11]
.LBB135_157:
	s_or_b64 exec, exec, s[0:1]
	s_barrier
	s_and_saveexec_b64 s[0:1], s[68:69]
; %bb.158:
	v_xor_b32_e32 v24, 0x80000000, v11
	v_mov_b32_e32 v23, v10
	ds_write_b64 v22, v[23:24]
; %bb.159:
	s_or_b64 exec, exec, s[0:1]
	s_waitcnt lgkmcnt(0)
	s_barrier
	s_barrier
	s_and_saveexec_b64 s[0:1], s[8:9]
; %bb.160:
	v_lshlrev_b32_e32 v23, 3, v20
	v_lshl_or_b32 v23, v21, 9, v23
	ds_write_b64 v23, v[10:11] offset:29056
; %bb.161:
	s_or_b64 exec, exec, s[0:1]
	v_cmp_gt_u32_e64 s[10:11], 8, v0
	s_and_b64 s[86:87], s[12:13], s[10:11]
	s_waitcnt lgkmcnt(0)
	s_barrier
	s_barrier
	s_and_saveexec_b64 s[0:1], s[86:87]
	s_cbranch_execz .LBB135_163
; %bb.162:
	v_lshlrev_b32_e32 v23, 9, v0
	ds_read_b64 v[10:11], v23 offset:29056
	s_movk_i32 s10, 0xfe08
	v_mad_i32_i24 v24, v0, s10, v23
	s_waitcnt lgkmcnt(0)
	ds_write_b64 v24, v[10:11] offset:25024
	ds_read_b64 v[10:11], v23 offset:29064
	s_waitcnt lgkmcnt(0)
	ds_write_b64 v24, v[10:11] offset:25536
	ds_read_b64 v[10:11], v23 offset:29072
	;; [unrolled: 3-line block ×7, first 2 shown]
	s_waitcnt lgkmcnt(0)
	ds_write_b64 v24, v[10:11] offset:28608
.LBB135_163:
	s_or_b64 exec, exec, s[0:1]
	s_waitcnt lgkmcnt(0)
	s_barrier
	s_and_saveexec_b64 s[0:1], vcc
	s_cbranch_execz .LBB135_165
; %bb.164:
	v_mov_b32_e32 v23, 0
	ds_read_b64 v[25:26], v23 offset:28592
	v_mov_b32_e32 v24, 0x3ff00000
	ds_write_b64 v23, v[23:24] offset:28600
	s_waitcnt lgkmcnt(1)
	ds_write_b128 v23, v[23:26] offset:28080
.LBB135_165:
	s_or_b64 exec, exec, s[0:1]
	v_mov_b32_e32 v10, 0
	v_mov_b32_e32 v11, 0
	s_waitcnt lgkmcnt(0)
	s_barrier
	buffer_wbinvl1_vol
	s_and_saveexec_b64 s[0:1], s[2:3]
	s_cbranch_execz .LBB135_169
; %bb.166:
	v_lshlrev_b32_e32 v23, 9, v13
	v_lshlrev_b32_e32 v10, 3, v12
	ds_read_b64 v[10:11], v10 offset:28064
	ds_read_b64 v[23:24], v23 offset:28080
	v_cmp_gt_u32_e64 s[10:11], 2, v15
	s_waitcnt lgkmcnt(0)
	v_fma_f64 v[10:11], v[10:11], v[23:24], 0
	s_and_saveexec_b64 s[14:15], s[10:11]
	s_cbranch_execz .LBB135_168
; %bb.167:
	v_lshlrev_b32_e32 v23, 3, v0
	v_mov_b32_e32 v25, 0
	ds_read_b64 v[23:24], v23 offset:28576
	ds_read_b64 v[25:26], v25 offset:28600
	s_waitcnt lgkmcnt(0)
	v_fma_f64 v[10:11], v[23:24], v[25:26], v[10:11]
.LBB135_168:
	s_or_b64 exec, exec, s[14:15]
.LBB135_169:
	s_or_b64 exec, exec, s[0:1]
	s_and_saveexec_b64 s[0:1], s[40:41]
; %bb.170:
	v_xor_b32_e32 v24, 0x80000000, v11
	v_mov_b32_e32 v23, v10
	ds_write_b64 v14, v[23:24]
; %bb.171:
	s_or_b64 exec, exec, s[0:1]
	s_waitcnt lgkmcnt(0)
	s_barrier
	s_and_saveexec_b64 s[0:1], s[38:39]
	s_cbranch_execz .LBB135_173
; %bb.172:
	v_mov_b32_e32 v23, 0
	ds_read_b64 v[23:24], v23 offset:27552
	ds_read_b64 v[25:26], v14
	s_waitcnt lgkmcnt(0)
	v_fma_f64 v[10:11], -v[23:24], v[25:26], v[10:11]
.LBB135_173:
	s_or_b64 exec, exec, s[0:1]
	s_barrier
	s_and_saveexec_b64 s[0:1], s[38:39]
; %bb.174:
	v_xor_b32_e32 v24, 0x80000000, v11
	v_mov_b32_e32 v23, v10
	ds_write_b64 v14, v[23:24]
; %bb.175:
	s_or_b64 exec, exec, s[0:1]
	s_waitcnt lgkmcnt(0)
	s_barrier
	s_barrier
	s_and_saveexec_b64 s[0:1], s[2:3]
; %bb.176:
	v_lshlrev_b32_e32 v23, 3, v12
	v_lshl_or_b32 v23, v13, 9, v23
	ds_write_b64 v23, v[10:11] offset:28064
; %bb.177:
	s_or_b64 exec, exec, s[0:1]
	s_waitcnt lgkmcnt(0)
	s_barrier
	s_barrier
	s_and_saveexec_b64 s[0:1], s[42:43]
	s_cbranch_execz .LBB135_179
; %bb.178:
	v_lshlrev_b32_e32 v23, 3, v0
	s_movk_i32 s10, 0x1f8
	v_mad_u32_u24 v24, v0, s10, v23
	ds_read_b64 v[10:11], v24 offset:28064
	s_waitcnt lgkmcnt(0)
	ds_write_b64 v23, v[10:11] offset:27056
	ds_read_b64 v[10:11], v24 offset:28072
	s_waitcnt lgkmcnt(0)
	ds_write_b64 v23, v[10:11] offset:27568
.LBB135_179:
	s_or_b64 exec, exec, s[0:1]
	s_waitcnt lgkmcnt(0)
	s_barrier
	s_and_saveexec_b64 s[0:1], vcc
	s_cbranch_execz .LBB135_181
; %bb.180:
	v_mov_b32_e32 v23, 0
	ds_read_b64 v[25:26], v23 offset:27552
	v_mov_b32_e32 v24, 0x3ff00000
	ds_write_b64 v23, v[23:24] offset:27560
	s_waitcnt lgkmcnt(1)
	ds_write_b128 v23, v[23:26] offset:27040
.LBB135_181:
	s_or_b64 exec, exec, s[0:1]
	v_mov_b32_e32 v10, 0
	v_mov_b32_e32 v11, 0
	s_waitcnt lgkmcnt(0)
	s_barrier
	buffer_wbinvl1_vol
	s_and_saveexec_b64 s[0:1], s[18:19]
	s_cbranch_execz .LBB135_187
; %bb.182:
	v_lshlrev_b32_e32 v24, 3, v16
	v_lshlrev_b32_e32 v23, 9, v17
	ds_read_b64 v[10:11], v24 offset:27008
	ds_read_b64 v[25:26], v23 offset:27040
	v_cmp_gt_u32_e64 s[10:11], 12, v15
	s_waitcnt lgkmcnt(0)
	v_fma_f64 v[10:11], v[10:11], v[25:26], 0
	s_and_saveexec_b64 s[14:15], s[10:11]
	s_cbranch_execnz .LBB135_1180
; %bb.183:
	s_or_b64 exec, exec, s[14:15]
	v_cmp_gt_u32_e64 s[10:11], 8, v15
	s_and_saveexec_b64 s[14:15], s[10:11]
	s_cbranch_execnz .LBB135_1181
.LBB135_184:
	s_or_b64 exec, exec, s[14:15]
	v_cmp_gt_u32_e64 s[10:11], 4, v15
	s_and_saveexec_b64 s[14:15], s[10:11]
	s_cbranch_execz .LBB135_186
.LBB135_185:
	v_lshlrev_b32_e32 v23, 3, v0
	v_mov_b32_e32 v25, 0
	ds_read_b64 v[23:24], v23 offset:28544
	ds_read_b64 v[25:26], v25 offset:28600
	s_waitcnt lgkmcnt(0)
	v_fma_f64 v[10:11], v[23:24], v[25:26], v[10:11]
.LBB135_186:
	s_or_b64 exec, exec, s[14:15]
.LBB135_187:
	s_or_b64 exec, exec, s[0:1]
	s_and_saveexec_b64 s[0:1], s[46:47]
; %bb.188:
	v_xor_b32_e32 v24, 0x80000000, v11
	v_mov_b32_e32 v23, v10
	ds_write_b64 v19, v[23:24]
; %bb.189:
	s_or_b64 exec, exec, s[0:1]
	s_waitcnt lgkmcnt(0)
	s_barrier
	s_and_saveexec_b64 s[0:1], s[48:49]
	s_cbranch_execz .LBB135_191
; %bb.190:
	v_lshlrev_b32_e32 v23, 3, v16
	ds_read_b64 v[23:24], v23 offset:26496
	ds_read_b64 v[25:26], v19
	s_waitcnt lgkmcnt(0)
	v_fma_f64 v[10:11], -v[23:24], v[25:26], v[10:11]
.LBB135_191:
	s_or_b64 exec, exec, s[0:1]
	s_barrier
	s_and_saveexec_b64 s[0:1], s[50:51]
; %bb.192:
	v_xor_b32_e32 v24, 0x80000000, v11
	v_mov_b32_e32 v23, v10
	ds_write_b64 v19, v[23:24]
; %bb.193:
	s_or_b64 exec, exec, s[0:1]
	s_waitcnt lgkmcnt(0)
	s_barrier
	s_and_saveexec_b64 s[0:1], s[52:53]
	s_cbranch_execz .LBB135_195
; %bb.194:
	v_lshlrev_b32_e32 v23, 3, v16
	ds_read_b64 v[23:24], v23 offset:25984
	ds_read_b64 v[25:26], v19
	s_waitcnt lgkmcnt(0)
	v_fma_f64 v[10:11], -v[23:24], v[25:26], v[10:11]
.LBB135_195:
	s_or_b64 exec, exec, s[0:1]
	s_barrier
	s_and_saveexec_b64 s[0:1], s[54:55]
; %bb.196:
	v_xor_b32_e32 v24, 0x80000000, v11
	v_mov_b32_e32 v23, v10
	ds_write_b64 v19, v[23:24]
; %bb.197:
	s_or_b64 exec, exec, s[0:1]
	s_waitcnt lgkmcnt(0)
	s_barrier
	s_and_saveexec_b64 s[0:1], s[44:45]
	s_cbranch_execz .LBB135_199
; %bb.198:
	v_mov_b32_e32 v23, 0
	ds_read_b64 v[23:24], v23 offset:25472
	ds_read_b64 v[25:26], v19
	s_waitcnt lgkmcnt(0)
	v_fma_f64 v[10:11], -v[23:24], v[25:26], v[10:11]
.LBB135_199:
	s_or_b64 exec, exec, s[0:1]
	s_barrier
	s_and_saveexec_b64 s[0:1], s[44:45]
; %bb.200:
	v_xor_b32_e32 v24, 0x80000000, v11
	v_mov_b32_e32 v23, v10
	ds_write_b64 v19, v[23:24]
; %bb.201:
	s_or_b64 exec, exec, s[0:1]
	s_waitcnt lgkmcnt(0)
	s_barrier
	s_barrier
	s_and_saveexec_b64 s[0:1], s[18:19]
; %bb.202:
	v_lshlrev_b32_e32 v23, 3, v16
	v_lshl_or_b32 v23, v17, 9, v23
	ds_write_b64 v23, v[10:11] offset:27008
; %bb.203:
	s_or_b64 exec, exec, s[0:1]
	s_waitcnt lgkmcnt(0)
	s_barrier
	s_barrier
	s_and_saveexec_b64 s[0:1], s[56:57]
	s_cbranch_execz .LBB135_205
; %bb.204:
	v_lshlrev_b32_e32 v23, 9, v0
	ds_read_b64 v[10:11], v23 offset:27008
	s_movk_i32 s10, 0xfe08
	v_mad_i32_i24 v24, v0, s10, v23
	s_waitcnt lgkmcnt(0)
	ds_write_b64 v24, v[10:11] offset:24992
	ds_read_b64 v[10:11], v23 offset:27016
	s_waitcnt lgkmcnt(0)
	ds_write_b64 v24, v[10:11] offset:25504
	ds_read_b64 v[10:11], v23 offset:27024
	;; [unrolled: 3-line block ×3, first 2 shown]
	s_waitcnt lgkmcnt(0)
	ds_write_b64 v24, v[10:11] offset:26528
.LBB135_205:
	s_or_b64 exec, exec, s[0:1]
	s_waitcnt lgkmcnt(0)
	s_barrier
	s_and_saveexec_b64 s[0:1], vcc
	s_cbranch_execz .LBB135_207
; %bb.206:
	v_mov_b32_e32 v23, 0
	ds_read_b64 v[25:26], v23 offset:26512
	v_mov_b32_e32 v24, 0x3ff00000
	ds_write_b64 v23, v[23:24] offset:26520
	s_waitcnt lgkmcnt(1)
	ds_write_b128 v23, v[23:26] offset:26000
.LBB135_207:
	s_or_b64 exec, exec, s[0:1]
	v_mov_b32_e32 v10, 0
	v_mov_b32_e32 v11, 0
	s_waitcnt lgkmcnt(0)
	s_barrier
	buffer_wbinvl1_vol
	s_and_saveexec_b64 s[0:1], s[2:3]
	s_cbranch_execz .LBB135_211
; %bb.208:
	v_lshlrev_b32_e32 v23, 9, v13
	v_lshlrev_b32_e32 v10, 3, v12
	ds_read_b64 v[10:11], v10 offset:25984
	ds_read_b64 v[23:24], v23 offset:26000
	v_cmp_gt_u32_e64 s[10:11], 2, v15
	s_waitcnt lgkmcnt(0)
	v_fma_f64 v[10:11], v[10:11], v[23:24], 0
	s_and_saveexec_b64 s[14:15], s[10:11]
	s_cbranch_execz .LBB135_210
; %bb.209:
	v_lshlrev_b32_e32 v23, 3, v0
	v_mov_b32_e32 v25, 0
	ds_read_b64 v[23:24], v23 offset:26496
	ds_read_b64 v[25:26], v25 offset:26520
	s_waitcnt lgkmcnt(0)
	v_fma_f64 v[10:11], v[23:24], v[25:26], v[10:11]
.LBB135_210:
	s_or_b64 exec, exec, s[14:15]
.LBB135_211:
	s_or_b64 exec, exec, s[0:1]
	s_and_saveexec_b64 s[0:1], s[40:41]
; %bb.212:
	v_xor_b32_e32 v24, 0x80000000, v11
	v_mov_b32_e32 v23, v10
	ds_write_b64 v14, v[23:24]
; %bb.213:
	s_or_b64 exec, exec, s[0:1]
	s_waitcnt lgkmcnt(0)
	s_barrier
	s_and_saveexec_b64 s[0:1], s[38:39]
	s_cbranch_execz .LBB135_215
; %bb.214:
	v_mov_b32_e32 v23, 0
	ds_read_b64 v[23:24], v23 offset:25472
	ds_read_b64 v[25:26], v14
	s_waitcnt lgkmcnt(0)
	v_fma_f64 v[10:11], -v[23:24], v[25:26], v[10:11]
.LBB135_215:
	s_or_b64 exec, exec, s[0:1]
	s_barrier
	s_and_saveexec_b64 s[0:1], s[38:39]
; %bb.216:
	v_xor_b32_e32 v24, 0x80000000, v11
	v_mov_b32_e32 v23, v10
	ds_write_b64 v14, v[23:24]
; %bb.217:
	s_or_b64 exec, exec, s[0:1]
	s_waitcnt lgkmcnt(0)
	s_barrier
	s_barrier
	s_and_saveexec_b64 s[0:1], s[2:3]
; %bb.218:
	v_lshlrev_b32_e32 v23, 3, v12
	v_lshl_or_b32 v23, v13, 9, v23
	ds_write_b64 v23, v[10:11] offset:25984
; %bb.219:
	s_or_b64 exec, exec, s[0:1]
	s_waitcnt lgkmcnt(0)
	s_barrier
	s_barrier
	s_and_saveexec_b64 s[0:1], s[42:43]
	s_cbranch_execz .LBB135_221
; %bb.220:
	v_lshlrev_b32_e32 v23, 3, v0
	s_movk_i32 s10, 0x1f8
	v_mad_u32_u24 v24, v0, s10, v23
	ds_read_b64 v[10:11], v24 offset:25984
	s_waitcnt lgkmcnt(0)
	ds_write_b64 v23, v[10:11] offset:24976
	ds_read_b64 v[10:11], v24 offset:25992
	s_waitcnt lgkmcnt(0)
	ds_write_b64 v23, v[10:11] offset:25488
.LBB135_221:
	s_or_b64 exec, exec, s[0:1]
	s_waitcnt lgkmcnt(0)
	s_barrier
	s_and_saveexec_b64 s[0:1], vcc
	s_cbranch_execz .LBB135_223
; %bb.222:
	v_mov_b32_e32 v23, 0
	ds_read_b64 v[25:26], v23 offset:25472
	v_mov_b32_e32 v24, 0x3ff00000
	ds_write_b64 v23, v[23:24] offset:25480
	s_waitcnt lgkmcnt(1)
	ds_write_b128 v23, v[23:26] offset:24960
.LBB135_223:
	s_or_b64 exec, exec, s[0:1]
	s_movk_i32 s0, 0xff
	v_lshrrev_b32_e32 v25, 4, v15
	v_cmp_lt_u32_e64 s[14:15], s0, v15
	s_movk_i32 s0, 0x100
	v_mov_b32_e32 v10, 0
	v_and_b32_e32 v23, 15, v0
	v_sub_u32_e32 v24, 15, v25
	v_mov_b32_e32 v11, 0
	v_cmp_gt_u32_e64 s[10:11], s0, v15
	s_waitcnt lgkmcnt(0)
	s_barrier
	buffer_wbinvl1_vol
	s_and_saveexec_b64 s[0:1], s[10:11]
	s_cbranch_execz .LBB135_251
; %bb.224:
	v_lshlrev_b32_e32 v27, 3, v23
	v_lshlrev_b32_e32 v26, 9, v24
	ds_read_b64 v[10:11], v27 offset:24832
	ds_read_b64 v[28:29], v26 offset:24960
	s_movk_i32 s16, 0xf0
	v_cmp_gt_u32_e64 s[16:17], s16, v15
	s_waitcnt lgkmcnt(0)
	v_fma_f64 v[10:11], v[10:11], v[28:29], 0
	s_and_saveexec_b64 s[20:21], s[16:17]
	s_cbranch_execz .LBB135_226
; %bb.225:
	ds_read_b64 v[28:29], v27 offset:25344
	ds_read_b64 v[30:31], v26 offset:24968
	s_waitcnt lgkmcnt(0)
	v_fma_f64 v[10:11], v[28:29], v[30:31], v[10:11]
.LBB135_226:
	s_or_b64 exec, exec, s[20:21]
	s_movk_i32 s16, 0xe0
	v_cmp_gt_u32_e64 s[16:17], s16, v15
	s_and_saveexec_b64 s[20:21], s[16:17]
	s_cbranch_execz .LBB135_228
; %bb.227:
	ds_read_b64 v[28:29], v27 offset:25856
	ds_read_b64 v[30:31], v26 offset:24976
	s_waitcnt lgkmcnt(0)
	v_fma_f64 v[10:11], v[28:29], v[30:31], v[10:11]
.LBB135_228:
	s_or_b64 exec, exec, s[20:21]
	s_movk_i32 s16, 0xd0
	v_cmp_gt_u32_e64 s[16:17], s16, v15
	;; [unrolled: 11-line block ×10, first 2 shown]
	s_and_saveexec_b64 s[20:21], s[16:17]
	s_cbranch_execnz .LBB135_1182
; %bb.245:
	s_or_b64 exec, exec, s[20:21]
	s_and_saveexec_b64 s[16:17], s[8:9]
	s_cbranch_execnz .LBB135_1183
.LBB135_246:
	s_or_b64 exec, exec, s[16:17]
	v_cmp_gt_u32_e64 s[16:17], 48, v15
	s_and_saveexec_b64 s[20:21], s[16:17]
	s_cbranch_execnz .LBB135_1184
.LBB135_247:
	s_or_b64 exec, exec, s[20:21]
	v_cmp_gt_u32_e64 s[16:17], 32, v15
	s_and_saveexec_b64 s[20:21], s[16:17]
	s_cbranch_execnz .LBB135_1185
.LBB135_248:
	s_or_b64 exec, exec, s[20:21]
	v_cmp_gt_u32_e64 s[16:17], 16, v15
	s_and_saveexec_b64 s[20:21], s[16:17]
	s_cbranch_execz .LBB135_250
.LBB135_249:
	v_lshlrev_b32_e32 v26, 3, v0
	v_mov_b32_e32 v28, 0
	ds_read_b64 v[26:27], v26 offset:32512
	ds_read_b64 v[28:29], v28 offset:32760
	s_waitcnt lgkmcnt(0)
	v_fma_f64 v[10:11], v[26:27], v[28:29], v[10:11]
.LBB135_250:
	s_or_b64 exec, exec, s[20:21]
.LBB135_251:
	s_or_b64 exec, exec, s[0:1]
	v_mov_b32_e32 v26, 0x8000
	v_lshl_add_u32 v25, v25, 3, v26
	v_cmp_eq_u32_e64 s[16:17], 15, v23
	s_xor_b64 s[20:21], s[14:15], -1
	s_and_b64 s[14:15], s[16:17], s[20:21]
	s_mov_b64 s[0:1], exec
	v_writelane_b32 v35, s14, 2
	v_writelane_b32 v35, s15, 3
	s_and_b64 s[14:15], s[0:1], s[14:15]
	s_mov_b64 exec, s[14:15]
; %bb.252:
	v_xor_b32_e32 v27, 0x80000000, v11
	v_mov_b32_e32 v26, v10
	ds_write_b64 v25, v[26:27]
; %bb.253:
	s_or_b64 exec, exec, s[0:1]
	v_cmp_ne_u32_e64 s[14:15], 15, v23
	s_waitcnt lgkmcnt(0)
	s_barrier
	s_and_b64 s[14:15], s[14:15], s[20:21]
	s_mov_b64 s[0:1], exec
	v_writelane_b32 v35, s14, 4
	v_writelane_b32 v35, s15, 5
	s_and_b64 s[14:15], s[0:1], s[14:15]
	s_mov_b64 exec, s[14:15]
	s_cbranch_execz .LBB135_255
; %bb.254:
	v_lshlrev_b32_e32 v26, 3, v23
	ds_read_b64 v[26:27], v26 offset:24320
	ds_read_b64 v[28:29], v25
	s_waitcnt lgkmcnt(0)
	v_fma_f64 v[10:11], -v[26:27], v[28:29], v[10:11]
.LBB135_255:
	s_or_b64 exec, exec, s[0:1]
	v_cmp_eq_u32_e64 s[14:15], 14, v23
	s_barrier
	s_and_b64 s[14:15], s[14:15], s[20:21]
	s_mov_b64 s[0:1], exec
	v_writelane_b32 v35, s14, 6
	v_writelane_b32 v35, s15, 7
	s_and_b64 s[14:15], s[0:1], s[14:15]
	s_mov_b64 exec, s[14:15]
; %bb.256:
	v_xor_b32_e32 v27, 0x80000000, v11
	v_mov_b32_e32 v26, v10
	ds_write_b64 v25, v[26:27]
; %bb.257:
	s_or_b64 exec, exec, s[0:1]
	v_cmp_gt_u32_e64 s[14:15], 14, v23
	s_waitcnt lgkmcnt(0)
	s_barrier
	s_and_b64 s[14:15], s[14:15], s[20:21]
	s_mov_b64 s[0:1], exec
	v_writelane_b32 v35, s14, 8
	v_writelane_b32 v35, s15, 9
	s_and_b64 s[14:15], s[0:1], s[14:15]
	s_mov_b64 exec, s[14:15]
	s_cbranch_execz .LBB135_259
; %bb.258:
	v_lshlrev_b32_e32 v26, 3, v23
	ds_read_b64 v[26:27], v26 offset:23808
	ds_read_b64 v[28:29], v25
	s_waitcnt lgkmcnt(0)
	v_fma_f64 v[10:11], -v[26:27], v[28:29], v[10:11]
.LBB135_259:
	s_or_b64 exec, exec, s[0:1]
	v_cmp_eq_u32_e64 s[14:15], 13, v23
	s_barrier
	s_and_b64 s[14:15], s[14:15], s[20:21]
	s_mov_b64 s[0:1], exec
	v_writelane_b32 v35, s14, 10
	v_writelane_b32 v35, s15, 11
	s_and_b64 s[14:15], s[0:1], s[14:15]
	s_mov_b64 exec, s[14:15]
; %bb.260:
	v_xor_b32_e32 v27, 0x80000000, v11
	v_mov_b32_e32 v26, v10
	ds_write_b64 v25, v[26:27]
; %bb.261:
	s_or_b64 exec, exec, s[0:1]
	v_cmp_gt_u32_e64 s[14:15], 13, v23
	;; [unrolled: 32-line block ×13, first 2 shown]
	s_waitcnt lgkmcnt(0)
	s_barrier
	s_and_b64 s[14:15], s[14:15], s[20:21]
	s_mov_b64 s[0:1], exec
	v_writelane_b32 v35, s14, 56
	v_writelane_b32 v35, s15, 57
	s_and_b64 s[14:15], s[0:1], s[14:15]
	s_mov_b64 exec, s[14:15]
	s_cbranch_execz .LBB135_307
; %bb.306:
	v_lshlrev_b32_e32 v26, 3, v23
	ds_read_b64 v[26:27], v26 offset:17664
	ds_read_b64 v[28:29], v25
	s_waitcnt lgkmcnt(0)
	v_fma_f64 v[10:11], -v[26:27], v[28:29], v[10:11]
.LBB135_307:
	s_or_b64 exec, exec, s[0:1]
	v_cmp_eq_u32_e64 s[14:15], 1, v23
	s_barrier
	s_and_b64 s[14:15], s[14:15], s[20:21]
	s_mov_b64 s[0:1], exec
	v_writelane_b32 v35, s14, 58
	v_writelane_b32 v35, s15, 59
	s_and_b64 s[14:15], s[0:1], s[14:15]
	s_mov_b64 exec, s[14:15]
; %bb.308:
	v_xor_b32_e32 v27, 0x80000000, v11
	v_mov_b32_e32 v26, v10
	ds_write_b64 v25, v[26:27]
; %bb.309:
	s_or_b64 exec, exec, s[0:1]
	v_cmp_eq_u32_e64 s[14:15], 0, v23
	s_and_b64 s[90:91], s[14:15], s[20:21]
	s_waitcnt lgkmcnt(0)
	s_barrier
	s_and_saveexec_b64 s[0:1], s[90:91]
	s_cbranch_execz .LBB135_311
; %bb.310:
	v_mov_b32_e32 v26, 0
	ds_read_b64 v[26:27], v26 offset:17152
	ds_read_b64 v[28:29], v25
	s_waitcnt lgkmcnt(0)
	v_fma_f64 v[10:11], -v[26:27], v[28:29], v[10:11]
.LBB135_311:
	s_or_b64 exec, exec, s[0:1]
	s_barrier
	s_and_saveexec_b64 s[0:1], s[90:91]
; %bb.312:
	v_xor_b32_e32 v27, 0x80000000, v11
	v_mov_b32_e32 v26, v10
	ds_write_b64 v25, v[26:27]
; %bb.313:
	s_or_b64 exec, exec, s[0:1]
	s_waitcnt lgkmcnt(0)
	s_barrier
	s_barrier
	s_and_saveexec_b64 s[0:1], s[10:11]
; %bb.314:
	v_lshlrev_b32_e32 v26, 3, v23
	v_lshl_or_b32 v26, v24, 9, v26
	ds_write_b64 v26, v[10:11] offset:24832
; %bb.315:
	s_or_b64 exec, exec, s[0:1]
	v_cmp_gt_u32_e64 s[14:15], 16, v0
	s_and_b64 s[92:93], s[12:13], s[14:15]
	s_waitcnt lgkmcnt(0)
	s_barrier
	s_barrier
	s_and_saveexec_b64 s[14:15], s[92:93]
	s_cbranch_execz .LBB135_317
; %bb.316:
	v_lshlrev_b32_e32 v26, 9, v0
	ds_read_b64 v[10:11], v26 offset:24832
	s_movk_i32 s0, 0xfe08
	v_mad_i32_i24 v27, v0, s0, v26
	s_waitcnt lgkmcnt(0)
	ds_write_b64 v27, v[10:11] offset:16768
	ds_read_b64 v[10:11], v26 offset:24840
	s_waitcnt lgkmcnt(0)
	ds_write_b64 v27, v[10:11] offset:17280
	ds_read_b64 v[10:11], v26 offset:24848
	;; [unrolled: 3-line block ×15, first 2 shown]
	s_waitcnt lgkmcnt(0)
	ds_write_b64 v27, v[10:11] offset:24448
.LBB135_317:
	s_or_b64 exec, exec, s[14:15]
	s_waitcnt lgkmcnt(0)
	s_barrier
	s_and_saveexec_b64 s[14:15], vcc
	s_cbranch_execz .LBB135_319
; %bb.318:
	v_mov_b32_e32 v26, 0
	ds_read_b64 v[28:29], v26 offset:24432
	v_mov_b32_e32 v27, 0x3ff00000
	ds_write_b64 v26, v[26:27] offset:24440
	s_waitcnt lgkmcnt(1)
	ds_write_b128 v26, v[26:29] offset:23920
.LBB135_319:
	s_or_b64 exec, exec, s[14:15]
	v_mov_b32_e32 v10, 0
	v_mov_b32_e32 v11, 0
	s_waitcnt lgkmcnt(0)
	s_barrier
	buffer_wbinvl1_vol
	s_and_saveexec_b64 s[16:17], s[2:3]
	s_cbranch_execz .LBB135_323
; %bb.320:
	v_lshlrev_b32_e32 v26, 9, v13
	v_lshlrev_b32_e32 v10, 3, v12
	ds_read_b64 v[10:11], v10 offset:23904
	ds_read_b64 v[26:27], v26 offset:23920
	v_cmp_gt_u32_e64 s[14:15], 2, v15
	s_waitcnt lgkmcnt(0)
	v_fma_f64 v[10:11], v[10:11], v[26:27], 0
	s_and_saveexec_b64 s[20:21], s[14:15]
	s_cbranch_execz .LBB135_322
; %bb.321:
	v_lshlrev_b32_e32 v26, 3, v0
	v_mov_b32_e32 v28, 0
	ds_read_b64 v[26:27], v26 offset:24416
	ds_read_b64 v[28:29], v28 offset:24440
	s_waitcnt lgkmcnt(0)
	v_fma_f64 v[10:11], v[26:27], v[28:29], v[10:11]
.LBB135_322:
	s_or_b64 exec, exec, s[20:21]
.LBB135_323:
	s_or_b64 exec, exec, s[16:17]
	s_and_saveexec_b64 s[0:1], s[40:41]
; %bb.324:
	v_xor_b32_e32 v27, 0x80000000, v11
	v_mov_b32_e32 v26, v10
	ds_write_b64 v14, v[26:27]
; %bb.325:
	s_or_b64 exec, exec, s[0:1]
	s_waitcnt lgkmcnt(0)
	s_barrier
	s_and_saveexec_b64 s[0:1], s[38:39]
	s_cbranch_execz .LBB135_327
; %bb.326:
	v_mov_b32_e32 v26, 0
	ds_read_b64 v[26:27], v26 offset:23392
	ds_read_b64 v[28:29], v14
	s_waitcnt lgkmcnt(0)
	v_fma_f64 v[10:11], -v[26:27], v[28:29], v[10:11]
.LBB135_327:
	s_or_b64 exec, exec, s[0:1]
	s_barrier
	s_and_saveexec_b64 s[0:1], s[38:39]
; %bb.328:
	v_xor_b32_e32 v27, 0x80000000, v11
	v_mov_b32_e32 v26, v10
	ds_write_b64 v14, v[26:27]
; %bb.329:
	s_or_b64 exec, exec, s[0:1]
	s_waitcnt lgkmcnt(0)
	s_barrier
	s_barrier
	s_and_saveexec_b64 s[0:1], s[2:3]
; %bb.330:
	v_lshlrev_b32_e32 v26, 3, v12
	v_lshl_or_b32 v26, v13, 9, v26
	ds_write_b64 v26, v[10:11] offset:23904
; %bb.331:
	s_or_b64 exec, exec, s[0:1]
	s_waitcnt lgkmcnt(0)
	s_barrier
	s_barrier
	s_and_saveexec_b64 s[14:15], s[42:43]
	s_cbranch_execz .LBB135_333
; %bb.332:
	v_lshlrev_b32_e32 v26, 3, v0
	s_movk_i32 s0, 0x1f8
	v_mad_u32_u24 v27, v0, s0, v26
	ds_read_b64 v[10:11], v27 offset:23904
	s_waitcnt lgkmcnt(0)
	ds_write_b64 v26, v[10:11] offset:22896
	ds_read_b64 v[10:11], v27 offset:23912
	s_waitcnt lgkmcnt(0)
	ds_write_b64 v26, v[10:11] offset:23408
.LBB135_333:
	s_or_b64 exec, exec, s[14:15]
	s_waitcnt lgkmcnt(0)
	s_barrier
	s_and_saveexec_b64 s[14:15], vcc
	s_cbranch_execz .LBB135_335
; %bb.334:
	v_mov_b32_e32 v26, 0
	ds_read_b64 v[28:29], v26 offset:23392
	v_mov_b32_e32 v27, 0x3ff00000
	ds_write_b64 v26, v[26:27] offset:23400
	s_waitcnt lgkmcnt(1)
	ds_write_b128 v26, v[26:29] offset:22880
.LBB135_335:
	s_or_b64 exec, exec, s[14:15]
	v_mov_b32_e32 v10, 0
	v_mov_b32_e32 v11, 0
	s_waitcnt lgkmcnt(0)
	s_barrier
	buffer_wbinvl1_vol
	s_and_saveexec_b64 s[16:17], s[18:19]
	s_cbranch_execz .LBB135_341
; %bb.336:
	v_lshlrev_b32_e32 v27, 3, v16
	v_lshlrev_b32_e32 v26, 9, v17
	ds_read_b64 v[10:11], v27 offset:22848
	ds_read_b64 v[28:29], v26 offset:22880
	v_cmp_gt_u32_e64 s[14:15], 12, v15
	s_waitcnt lgkmcnt(0)
	v_fma_f64 v[10:11], v[10:11], v[28:29], 0
	s_and_saveexec_b64 s[0:1], s[14:15]
	s_cbranch_execnz .LBB135_1186
; %bb.337:
	s_or_b64 exec, exec, s[0:1]
	v_cmp_gt_u32_e64 s[14:15], 8, v15
	s_and_saveexec_b64 s[0:1], s[14:15]
	s_cbranch_execnz .LBB135_1187
.LBB135_338:
	s_or_b64 exec, exec, s[0:1]
	v_cmp_gt_u32_e64 s[14:15], 4, v15
	s_and_saveexec_b64 s[20:21], s[14:15]
	s_cbranch_execz .LBB135_340
.LBB135_339:
	v_lshlrev_b32_e32 v26, 3, v0
	v_mov_b32_e32 v28, 0
	ds_read_b64 v[26:27], v26 offset:24384
	ds_read_b64 v[28:29], v28 offset:24440
	s_waitcnt lgkmcnt(0)
	v_fma_f64 v[10:11], v[26:27], v[28:29], v[10:11]
.LBB135_340:
	s_or_b64 exec, exec, s[20:21]
.LBB135_341:
	s_or_b64 exec, exec, s[16:17]
	s_and_saveexec_b64 s[0:1], s[46:47]
; %bb.342:
	v_xor_b32_e32 v27, 0x80000000, v11
	v_mov_b32_e32 v26, v10
	ds_write_b64 v19, v[26:27]
; %bb.343:
	s_or_b64 exec, exec, s[0:1]
	s_waitcnt lgkmcnt(0)
	s_barrier
	s_and_saveexec_b64 s[0:1], s[48:49]
	s_cbranch_execz .LBB135_345
; %bb.344:
	v_lshlrev_b32_e32 v26, 3, v16
	ds_read_b64 v[26:27], v26 offset:22336
	ds_read_b64 v[28:29], v19
	s_waitcnt lgkmcnt(0)
	v_fma_f64 v[10:11], -v[26:27], v[28:29], v[10:11]
.LBB135_345:
	s_or_b64 exec, exec, s[0:1]
	s_barrier
	s_and_saveexec_b64 s[0:1], s[50:51]
; %bb.346:
	v_xor_b32_e32 v27, 0x80000000, v11
	v_mov_b32_e32 v26, v10
	ds_write_b64 v19, v[26:27]
; %bb.347:
	s_or_b64 exec, exec, s[0:1]
	s_waitcnt lgkmcnt(0)
	s_barrier
	s_and_saveexec_b64 s[0:1], s[52:53]
	s_cbranch_execz .LBB135_349
; %bb.348:
	v_lshlrev_b32_e32 v26, 3, v16
	ds_read_b64 v[26:27], v26 offset:21824
	ds_read_b64 v[28:29], v19
	s_waitcnt lgkmcnt(0)
	v_fma_f64 v[10:11], -v[26:27], v[28:29], v[10:11]
.LBB135_349:
	s_or_b64 exec, exec, s[0:1]
	s_barrier
	s_and_saveexec_b64 s[0:1], s[54:55]
; %bb.350:
	v_xor_b32_e32 v27, 0x80000000, v11
	v_mov_b32_e32 v26, v10
	ds_write_b64 v19, v[26:27]
; %bb.351:
	s_or_b64 exec, exec, s[0:1]
	s_waitcnt lgkmcnt(0)
	s_barrier
	s_and_saveexec_b64 s[0:1], s[44:45]
	s_cbranch_execz .LBB135_353
; %bb.352:
	v_mov_b32_e32 v26, 0
	ds_read_b64 v[26:27], v26 offset:21312
	ds_read_b64 v[28:29], v19
	s_waitcnt lgkmcnt(0)
	v_fma_f64 v[10:11], -v[26:27], v[28:29], v[10:11]
.LBB135_353:
	s_or_b64 exec, exec, s[0:1]
	s_barrier
	s_and_saveexec_b64 s[0:1], s[44:45]
; %bb.354:
	v_xor_b32_e32 v27, 0x80000000, v11
	v_mov_b32_e32 v26, v10
	ds_write_b64 v19, v[26:27]
; %bb.355:
	s_or_b64 exec, exec, s[0:1]
	s_waitcnt lgkmcnt(0)
	s_barrier
	s_barrier
	s_and_saveexec_b64 s[0:1], s[18:19]
; %bb.356:
	v_lshlrev_b32_e32 v26, 3, v16
	v_lshl_or_b32 v26, v17, 9, v26
	ds_write_b64 v26, v[10:11] offset:22848
; %bb.357:
	s_or_b64 exec, exec, s[0:1]
	s_waitcnt lgkmcnt(0)
	s_barrier
	s_barrier
	s_and_saveexec_b64 s[14:15], s[56:57]
	s_cbranch_execz .LBB135_359
; %bb.358:
	v_lshlrev_b32_e32 v26, 9, v0
	ds_read_b64 v[10:11], v26 offset:22848
	s_movk_i32 s0, 0xfe08
	v_mad_i32_i24 v27, v0, s0, v26
	s_waitcnt lgkmcnt(0)
	ds_write_b64 v27, v[10:11] offset:20832
	ds_read_b64 v[10:11], v26 offset:22856
	s_waitcnt lgkmcnt(0)
	ds_write_b64 v27, v[10:11] offset:21344
	ds_read_b64 v[10:11], v26 offset:22864
	;; [unrolled: 3-line block ×3, first 2 shown]
	s_waitcnt lgkmcnt(0)
	ds_write_b64 v27, v[10:11] offset:22368
.LBB135_359:
	s_or_b64 exec, exec, s[14:15]
	s_waitcnt lgkmcnt(0)
	s_barrier
	s_and_saveexec_b64 s[14:15], vcc
	s_cbranch_execz .LBB135_361
; %bb.360:
	v_mov_b32_e32 v26, 0
	ds_read_b64 v[28:29], v26 offset:22352
	v_mov_b32_e32 v27, 0x3ff00000
	ds_write_b64 v26, v[26:27] offset:22360
	s_waitcnt lgkmcnt(1)
	ds_write_b128 v26, v[26:29] offset:21840
.LBB135_361:
	s_or_b64 exec, exec, s[14:15]
	v_mov_b32_e32 v10, 0
	v_mov_b32_e32 v11, 0
	s_waitcnt lgkmcnt(0)
	s_barrier
	buffer_wbinvl1_vol
	s_and_saveexec_b64 s[16:17], s[2:3]
	s_cbranch_execz .LBB135_365
; %bb.362:
	v_lshlrev_b32_e32 v26, 9, v13
	v_lshlrev_b32_e32 v10, 3, v12
	ds_read_b64 v[10:11], v10 offset:21824
	ds_read_b64 v[26:27], v26 offset:21840
	v_cmp_gt_u32_e64 s[14:15], 2, v15
	s_waitcnt lgkmcnt(0)
	v_fma_f64 v[10:11], v[10:11], v[26:27], 0
	s_and_saveexec_b64 s[20:21], s[14:15]
	s_cbranch_execz .LBB135_364
; %bb.363:
	v_lshlrev_b32_e32 v26, 3, v0
	v_mov_b32_e32 v28, 0
	ds_read_b64 v[26:27], v26 offset:22336
	ds_read_b64 v[28:29], v28 offset:22360
	s_waitcnt lgkmcnt(0)
	v_fma_f64 v[10:11], v[26:27], v[28:29], v[10:11]
.LBB135_364:
	s_or_b64 exec, exec, s[20:21]
.LBB135_365:
	s_or_b64 exec, exec, s[16:17]
	s_and_saveexec_b64 s[0:1], s[40:41]
; %bb.366:
	v_xor_b32_e32 v27, 0x80000000, v11
	v_mov_b32_e32 v26, v10
	ds_write_b64 v14, v[26:27]
; %bb.367:
	s_or_b64 exec, exec, s[0:1]
	s_waitcnt lgkmcnt(0)
	s_barrier
	s_and_saveexec_b64 s[0:1], s[38:39]
	s_cbranch_execz .LBB135_369
; %bb.368:
	v_mov_b32_e32 v26, 0
	ds_read_b64 v[26:27], v26 offset:21312
	ds_read_b64 v[28:29], v14
	s_waitcnt lgkmcnt(0)
	v_fma_f64 v[10:11], -v[26:27], v[28:29], v[10:11]
.LBB135_369:
	s_or_b64 exec, exec, s[0:1]
	s_barrier
	s_and_saveexec_b64 s[0:1], s[38:39]
; %bb.370:
	v_xor_b32_e32 v27, 0x80000000, v11
	v_mov_b32_e32 v26, v10
	ds_write_b64 v14, v[26:27]
; %bb.371:
	s_or_b64 exec, exec, s[0:1]
	s_waitcnt lgkmcnt(0)
	s_barrier
	s_barrier
	s_and_saveexec_b64 s[0:1], s[2:3]
; %bb.372:
	v_lshlrev_b32_e32 v26, 3, v12
	v_lshl_or_b32 v26, v13, 9, v26
	ds_write_b64 v26, v[10:11] offset:21824
; %bb.373:
	s_or_b64 exec, exec, s[0:1]
	s_waitcnt lgkmcnt(0)
	s_barrier
	s_barrier
	s_and_saveexec_b64 s[14:15], s[42:43]
	s_cbranch_execz .LBB135_375
; %bb.374:
	v_lshlrev_b32_e32 v26, 3, v0
	s_movk_i32 s0, 0x1f8
	v_mad_u32_u24 v27, v0, s0, v26
	ds_read_b64 v[10:11], v27 offset:21824
	s_waitcnt lgkmcnt(0)
	ds_write_b64 v26, v[10:11] offset:20816
	ds_read_b64 v[10:11], v27 offset:21832
	s_waitcnt lgkmcnt(0)
	ds_write_b64 v26, v[10:11] offset:21328
.LBB135_375:
	s_or_b64 exec, exec, s[14:15]
	s_waitcnt lgkmcnt(0)
	s_barrier
	s_and_saveexec_b64 s[14:15], vcc
	s_cbranch_execz .LBB135_377
; %bb.376:
	v_mov_b32_e32 v26, 0
	ds_read_b64 v[28:29], v26 offset:21312
	v_mov_b32_e32 v27, 0x3ff00000
	ds_write_b64 v26, v[26:27] offset:21320
	s_waitcnt lgkmcnt(1)
	ds_write_b128 v26, v[26:29] offset:20800
.LBB135_377:
	s_or_b64 exec, exec, s[14:15]
	v_mov_b32_e32 v10, 0
	v_mov_b32_e32 v11, 0
	s_waitcnt lgkmcnt(0)
	s_barrier
	buffer_wbinvl1_vol
	s_and_saveexec_b64 s[16:17], s[8:9]
	s_cbranch_execz .LBB135_387
; %bb.378:
	v_lshlrev_b32_e32 v27, 3, v20
	v_lshlrev_b32_e32 v26, 9, v21
	ds_read_b64 v[10:11], v27 offset:20736
	ds_read_b64 v[28:29], v26 offset:20800
	v_cmp_gt_u32_e64 s[14:15], 56, v15
	s_waitcnt lgkmcnt(0)
	v_fma_f64 v[10:11], v[10:11], v[28:29], 0
	s_and_saveexec_b64 s[0:1], s[14:15]
	s_cbranch_execnz .LBB135_1188
; %bb.379:
	s_or_b64 exec, exec, s[0:1]
	v_cmp_gt_u32_e64 s[14:15], 48, v15
	s_and_saveexec_b64 s[0:1], s[14:15]
	s_cbranch_execnz .LBB135_1189
.LBB135_380:
	s_or_b64 exec, exec, s[0:1]
	v_cmp_gt_u32_e64 s[14:15], 40, v15
	s_and_saveexec_b64 s[0:1], s[14:15]
	s_cbranch_execnz .LBB135_1190
.LBB135_381:
	s_or_b64 exec, exec, s[0:1]
	v_cmp_gt_u32_e64 s[14:15], 32, v15
	s_and_saveexec_b64 s[0:1], s[14:15]
	s_cbranch_execnz .LBB135_1191
.LBB135_382:
	s_or_b64 exec, exec, s[0:1]
	v_cmp_gt_u32_e64 s[14:15], 24, v15
	s_and_saveexec_b64 s[0:1], s[14:15]
	s_cbranch_execnz .LBB135_1192
.LBB135_383:
	s_or_b64 exec, exec, s[0:1]
	s_and_saveexec_b64 s[0:1], s[18:19]
	s_cbranch_execnz .LBB135_1193
.LBB135_384:
	s_or_b64 exec, exec, s[0:1]
	v_cmp_gt_u32_e64 s[14:15], 8, v15
	s_and_saveexec_b64 s[20:21], s[14:15]
	s_cbranch_execz .LBB135_386
.LBB135_385:
	v_lshlrev_b32_e32 v26, 3, v0
	v_mov_b32_e32 v28, 0
	ds_read_b64 v[26:27], v26 offset:24320
	ds_read_b64 v[28:29], v28 offset:24440
	s_waitcnt lgkmcnt(0)
	v_fma_f64 v[10:11], v[26:27], v[28:29], v[10:11]
.LBB135_386:
	s_or_b64 exec, exec, s[20:21]
.LBB135_387:
	s_or_b64 exec, exec, s[16:17]
	s_and_saveexec_b64 s[0:1], s[58:59]
; %bb.388:
	v_xor_b32_e32 v27, 0x80000000, v11
	v_mov_b32_e32 v26, v10
	ds_write_b64 v22, v[26:27]
; %bb.389:
	s_or_b64 exec, exec, s[0:1]
	s_waitcnt lgkmcnt(0)
	s_barrier
	s_and_saveexec_b64 s[0:1], s[60:61]
	s_cbranch_execz .LBB135_391
; %bb.390:
	v_lshlrev_b32_e32 v26, 3, v20
	ds_read_b64 v[26:27], v26 offset:20224
	ds_read_b64 v[28:29], v22
	s_waitcnt lgkmcnt(0)
	v_fma_f64 v[10:11], -v[26:27], v[28:29], v[10:11]
.LBB135_391:
	s_or_b64 exec, exec, s[0:1]
	s_barrier
	s_and_saveexec_b64 s[0:1], s[62:63]
; %bb.392:
	v_xor_b32_e32 v27, 0x80000000, v11
	v_mov_b32_e32 v26, v10
	ds_write_b64 v22, v[26:27]
; %bb.393:
	s_or_b64 exec, exec, s[0:1]
	s_waitcnt lgkmcnt(0)
	s_barrier
	s_and_saveexec_b64 s[0:1], s[64:65]
	s_cbranch_execz .LBB135_395
; %bb.394:
	v_lshlrev_b32_e32 v26, 3, v20
	ds_read_b64 v[26:27], v26 offset:19712
	ds_read_b64 v[28:29], v22
	s_waitcnt lgkmcnt(0)
	v_fma_f64 v[10:11], -v[26:27], v[28:29], v[10:11]
.LBB135_395:
	s_or_b64 exec, exec, s[0:1]
	s_barrier
	;; [unrolled: 20-line block ×6, first 2 shown]
	s_and_saveexec_b64 s[0:1], s[84:85]
; %bb.412:
	v_xor_b32_e32 v27, 0x80000000, v11
	v_mov_b32_e32 v26, v10
	ds_write_b64 v22, v[26:27]
; %bb.413:
	s_or_b64 exec, exec, s[0:1]
	s_waitcnt lgkmcnt(0)
	s_barrier
	s_and_saveexec_b64 s[0:1], s[68:69]
	s_cbranch_execz .LBB135_415
; %bb.414:
	v_mov_b32_e32 v26, 0
	ds_read_b64 v[26:27], v26 offset:17152
	ds_read_b64 v[28:29], v22
	s_waitcnt lgkmcnt(0)
	v_fma_f64 v[10:11], -v[26:27], v[28:29], v[10:11]
.LBB135_415:
	s_or_b64 exec, exec, s[0:1]
	s_barrier
	s_and_saveexec_b64 s[0:1], s[68:69]
; %bb.416:
	v_xor_b32_e32 v27, 0x80000000, v11
	v_mov_b32_e32 v26, v10
	ds_write_b64 v22, v[26:27]
; %bb.417:
	s_or_b64 exec, exec, s[0:1]
	s_waitcnt lgkmcnt(0)
	s_barrier
	s_barrier
	s_and_saveexec_b64 s[0:1], s[8:9]
; %bb.418:
	v_lshlrev_b32_e32 v26, 3, v20
	v_lshl_or_b32 v26, v21, 9, v26
	ds_write_b64 v26, v[10:11] offset:20736
; %bb.419:
	s_or_b64 exec, exec, s[0:1]
	s_waitcnt lgkmcnt(0)
	s_barrier
	s_barrier
	s_and_saveexec_b64 s[14:15], s[86:87]
	s_cbranch_execz .LBB135_421
; %bb.420:
	v_lshlrev_b32_e32 v26, 9, v0
	ds_read_b64 v[10:11], v26 offset:20736
	s_movk_i32 s0, 0xfe08
	v_mad_i32_i24 v27, v0, s0, v26
	s_waitcnt lgkmcnt(0)
	ds_write_b64 v27, v[10:11] offset:16704
	ds_read_b64 v[10:11], v26 offset:20744
	s_waitcnt lgkmcnt(0)
	ds_write_b64 v27, v[10:11] offset:17216
	ds_read_b64 v[10:11], v26 offset:20752
	;; [unrolled: 3-line block ×7, first 2 shown]
	s_waitcnt lgkmcnt(0)
	ds_write_b64 v27, v[10:11] offset:20288
.LBB135_421:
	s_or_b64 exec, exec, s[14:15]
	s_waitcnt lgkmcnt(0)
	s_barrier
	s_and_saveexec_b64 s[14:15], vcc
	s_cbranch_execz .LBB135_423
; %bb.422:
	v_mov_b32_e32 v26, 0
	ds_read_b64 v[28:29], v26 offset:20272
	v_mov_b32_e32 v27, 0x3ff00000
	ds_write_b64 v26, v[26:27] offset:20280
	s_waitcnt lgkmcnt(1)
	ds_write_b128 v26, v[26:29] offset:19760
.LBB135_423:
	s_or_b64 exec, exec, s[14:15]
	v_mov_b32_e32 v10, 0
	v_mov_b32_e32 v11, 0
	s_waitcnt lgkmcnt(0)
	s_barrier
	buffer_wbinvl1_vol
	s_and_saveexec_b64 s[16:17], s[2:3]
	s_cbranch_execz .LBB135_427
; %bb.424:
	v_lshlrev_b32_e32 v26, 9, v13
	v_lshlrev_b32_e32 v10, 3, v12
	ds_read_b64 v[10:11], v10 offset:19744
	ds_read_b64 v[26:27], v26 offset:19760
	v_cmp_gt_u32_e64 s[14:15], 2, v15
	s_waitcnt lgkmcnt(0)
	v_fma_f64 v[10:11], v[10:11], v[26:27], 0
	s_and_saveexec_b64 s[20:21], s[14:15]
	s_cbranch_execz .LBB135_426
; %bb.425:
	v_lshlrev_b32_e32 v26, 3, v0
	v_mov_b32_e32 v28, 0
	ds_read_b64 v[26:27], v26 offset:20256
	ds_read_b64 v[28:29], v28 offset:20280
	s_waitcnt lgkmcnt(0)
	v_fma_f64 v[10:11], v[26:27], v[28:29], v[10:11]
.LBB135_426:
	s_or_b64 exec, exec, s[20:21]
.LBB135_427:
	s_or_b64 exec, exec, s[16:17]
	s_and_saveexec_b64 s[0:1], s[40:41]
; %bb.428:
	v_xor_b32_e32 v27, 0x80000000, v11
	v_mov_b32_e32 v26, v10
	ds_write_b64 v14, v[26:27]
; %bb.429:
	s_or_b64 exec, exec, s[0:1]
	s_waitcnt lgkmcnt(0)
	s_barrier
	s_and_saveexec_b64 s[0:1], s[38:39]
	s_cbranch_execz .LBB135_431
; %bb.430:
	v_mov_b32_e32 v26, 0
	ds_read_b64 v[26:27], v26 offset:19232
	ds_read_b64 v[28:29], v14
	s_waitcnt lgkmcnt(0)
	v_fma_f64 v[10:11], -v[26:27], v[28:29], v[10:11]
.LBB135_431:
	s_or_b64 exec, exec, s[0:1]
	s_barrier
	s_and_saveexec_b64 s[0:1], s[38:39]
; %bb.432:
	v_xor_b32_e32 v27, 0x80000000, v11
	v_mov_b32_e32 v26, v10
	ds_write_b64 v14, v[26:27]
; %bb.433:
	s_or_b64 exec, exec, s[0:1]
	s_waitcnt lgkmcnt(0)
	s_barrier
	s_barrier
	s_and_saveexec_b64 s[0:1], s[2:3]
; %bb.434:
	v_lshlrev_b32_e32 v26, 3, v12
	v_lshl_or_b32 v26, v13, 9, v26
	ds_write_b64 v26, v[10:11] offset:19744
; %bb.435:
	s_or_b64 exec, exec, s[0:1]
	s_waitcnt lgkmcnt(0)
	s_barrier
	s_barrier
	s_and_saveexec_b64 s[14:15], s[42:43]
	s_cbranch_execz .LBB135_437
; %bb.436:
	v_lshlrev_b32_e32 v26, 3, v0
	s_movk_i32 s0, 0x1f8
	v_mad_u32_u24 v27, v0, s0, v26
	ds_read_b64 v[10:11], v27 offset:19744
	s_waitcnt lgkmcnt(0)
	ds_write_b64 v26, v[10:11] offset:18736
	ds_read_b64 v[10:11], v27 offset:19752
	s_waitcnt lgkmcnt(0)
	ds_write_b64 v26, v[10:11] offset:19248
.LBB135_437:
	s_or_b64 exec, exec, s[14:15]
	s_waitcnt lgkmcnt(0)
	s_barrier
	s_and_saveexec_b64 s[14:15], vcc
	s_cbranch_execz .LBB135_439
; %bb.438:
	v_mov_b32_e32 v26, 0
	ds_read_b64 v[28:29], v26 offset:19232
	v_mov_b32_e32 v27, 0x3ff00000
	ds_write_b64 v26, v[26:27] offset:19240
	s_waitcnt lgkmcnt(1)
	ds_write_b128 v26, v[26:29] offset:18720
.LBB135_439:
	s_or_b64 exec, exec, s[14:15]
	v_mov_b32_e32 v10, 0
	v_mov_b32_e32 v11, 0
	s_waitcnt lgkmcnt(0)
	s_barrier
	buffer_wbinvl1_vol
	s_and_saveexec_b64 s[16:17], s[18:19]
	s_cbranch_execz .LBB135_445
; %bb.440:
	v_lshlrev_b32_e32 v27, 3, v16
	v_lshlrev_b32_e32 v26, 9, v17
	ds_read_b64 v[10:11], v27 offset:18688
	ds_read_b64 v[28:29], v26 offset:18720
	v_cmp_gt_u32_e64 s[14:15], 12, v15
	s_waitcnt lgkmcnt(0)
	v_fma_f64 v[10:11], v[10:11], v[28:29], 0
	s_and_saveexec_b64 s[0:1], s[14:15]
	s_cbranch_execnz .LBB135_1194
; %bb.441:
	s_or_b64 exec, exec, s[0:1]
	v_cmp_gt_u32_e64 s[14:15], 8, v15
	s_and_saveexec_b64 s[0:1], s[14:15]
	s_cbranch_execnz .LBB135_1195
.LBB135_442:
	s_or_b64 exec, exec, s[0:1]
	v_cmp_gt_u32_e64 s[14:15], 4, v15
	s_and_saveexec_b64 s[20:21], s[14:15]
	s_cbranch_execz .LBB135_444
.LBB135_443:
	v_lshlrev_b32_e32 v26, 3, v0
	v_mov_b32_e32 v28, 0
	ds_read_b64 v[26:27], v26 offset:20224
	ds_read_b64 v[28:29], v28 offset:20280
	s_waitcnt lgkmcnt(0)
	v_fma_f64 v[10:11], v[26:27], v[28:29], v[10:11]
.LBB135_444:
	s_or_b64 exec, exec, s[20:21]
.LBB135_445:
	s_or_b64 exec, exec, s[16:17]
	s_and_saveexec_b64 s[0:1], s[46:47]
; %bb.446:
	v_xor_b32_e32 v27, 0x80000000, v11
	v_mov_b32_e32 v26, v10
	ds_write_b64 v19, v[26:27]
; %bb.447:
	s_or_b64 exec, exec, s[0:1]
	s_waitcnt lgkmcnt(0)
	s_barrier
	s_and_saveexec_b64 s[0:1], s[48:49]
	s_cbranch_execz .LBB135_449
; %bb.448:
	v_lshlrev_b32_e32 v26, 3, v16
	ds_read_b64 v[26:27], v26 offset:18176
	ds_read_b64 v[28:29], v19
	s_waitcnt lgkmcnt(0)
	v_fma_f64 v[10:11], -v[26:27], v[28:29], v[10:11]
.LBB135_449:
	s_or_b64 exec, exec, s[0:1]
	s_barrier
	s_and_saveexec_b64 s[0:1], s[50:51]
; %bb.450:
	v_xor_b32_e32 v27, 0x80000000, v11
	v_mov_b32_e32 v26, v10
	ds_write_b64 v19, v[26:27]
; %bb.451:
	s_or_b64 exec, exec, s[0:1]
	s_waitcnt lgkmcnt(0)
	s_barrier
	s_and_saveexec_b64 s[0:1], s[52:53]
	s_cbranch_execz .LBB135_453
; %bb.452:
	v_lshlrev_b32_e32 v26, 3, v16
	ds_read_b64 v[26:27], v26 offset:17664
	ds_read_b64 v[28:29], v19
	s_waitcnt lgkmcnt(0)
	v_fma_f64 v[10:11], -v[26:27], v[28:29], v[10:11]
.LBB135_453:
	s_or_b64 exec, exec, s[0:1]
	s_barrier
	s_and_saveexec_b64 s[0:1], s[54:55]
; %bb.454:
	v_xor_b32_e32 v27, 0x80000000, v11
	v_mov_b32_e32 v26, v10
	ds_write_b64 v19, v[26:27]
; %bb.455:
	s_or_b64 exec, exec, s[0:1]
	s_waitcnt lgkmcnt(0)
	s_barrier
	s_and_saveexec_b64 s[0:1], s[44:45]
	s_cbranch_execz .LBB135_457
; %bb.456:
	v_mov_b32_e32 v26, 0
	ds_read_b64 v[26:27], v26 offset:17152
	ds_read_b64 v[28:29], v19
	s_waitcnt lgkmcnt(0)
	v_fma_f64 v[10:11], -v[26:27], v[28:29], v[10:11]
.LBB135_457:
	s_or_b64 exec, exec, s[0:1]
	s_barrier
	s_and_saveexec_b64 s[0:1], s[44:45]
; %bb.458:
	v_xor_b32_e32 v27, 0x80000000, v11
	v_mov_b32_e32 v26, v10
	ds_write_b64 v19, v[26:27]
; %bb.459:
	s_or_b64 exec, exec, s[0:1]
	s_waitcnt lgkmcnt(0)
	s_barrier
	s_barrier
	s_and_saveexec_b64 s[0:1], s[18:19]
; %bb.460:
	v_lshlrev_b32_e32 v26, 3, v16
	v_lshl_or_b32 v26, v17, 9, v26
	ds_write_b64 v26, v[10:11] offset:18688
; %bb.461:
	s_or_b64 exec, exec, s[0:1]
	s_waitcnt lgkmcnt(0)
	s_barrier
	s_barrier
	s_and_saveexec_b64 s[14:15], s[56:57]
	s_cbranch_execz .LBB135_463
; %bb.462:
	v_lshlrev_b32_e32 v26, 9, v0
	ds_read_b64 v[10:11], v26 offset:18688
	s_movk_i32 s0, 0xfe08
	v_mad_i32_i24 v27, v0, s0, v26
	s_waitcnt lgkmcnt(0)
	ds_write_b64 v27, v[10:11] offset:16672
	ds_read_b64 v[10:11], v26 offset:18696
	s_waitcnt lgkmcnt(0)
	ds_write_b64 v27, v[10:11] offset:17184
	ds_read_b64 v[10:11], v26 offset:18704
	;; [unrolled: 3-line block ×3, first 2 shown]
	s_waitcnt lgkmcnt(0)
	ds_write_b64 v27, v[10:11] offset:18208
.LBB135_463:
	s_or_b64 exec, exec, s[14:15]
	s_waitcnt lgkmcnt(0)
	s_barrier
	s_and_saveexec_b64 s[14:15], vcc
	s_cbranch_execz .LBB135_465
; %bb.464:
	v_mov_b32_e32 v26, 0
	ds_read_b64 v[28:29], v26 offset:18192
	v_mov_b32_e32 v27, 0x3ff00000
	ds_write_b64 v26, v[26:27] offset:18200
	s_waitcnt lgkmcnt(1)
	ds_write_b128 v26, v[26:29] offset:17680
.LBB135_465:
	s_or_b64 exec, exec, s[14:15]
	v_mov_b32_e32 v10, 0
	v_mov_b32_e32 v11, 0
	s_waitcnt lgkmcnt(0)
	s_barrier
	buffer_wbinvl1_vol
	s_and_saveexec_b64 s[16:17], s[2:3]
	s_cbranch_execz .LBB135_469
; %bb.466:
	v_lshlrev_b32_e32 v26, 9, v13
	v_lshlrev_b32_e32 v10, 3, v12
	ds_read_b64 v[10:11], v10 offset:17664
	ds_read_b64 v[26:27], v26 offset:17680
	v_cmp_gt_u32_e64 s[14:15], 2, v15
	s_waitcnt lgkmcnt(0)
	v_fma_f64 v[10:11], v[10:11], v[26:27], 0
	s_and_saveexec_b64 s[20:21], s[14:15]
	s_cbranch_execz .LBB135_468
; %bb.467:
	v_lshlrev_b32_e32 v26, 3, v0
	v_mov_b32_e32 v28, 0
	ds_read_b64 v[26:27], v26 offset:18176
	ds_read_b64 v[28:29], v28 offset:18200
	s_waitcnt lgkmcnt(0)
	v_fma_f64 v[10:11], v[26:27], v[28:29], v[10:11]
.LBB135_468:
	s_or_b64 exec, exec, s[20:21]
.LBB135_469:
	s_or_b64 exec, exec, s[16:17]
	s_and_saveexec_b64 s[0:1], s[40:41]
; %bb.470:
	v_xor_b32_e32 v27, 0x80000000, v11
	v_mov_b32_e32 v26, v10
	ds_write_b64 v14, v[26:27]
; %bb.471:
	s_or_b64 exec, exec, s[0:1]
	s_waitcnt lgkmcnt(0)
	s_barrier
	s_and_saveexec_b64 s[0:1], s[38:39]
	s_cbranch_execz .LBB135_473
; %bb.472:
	v_mov_b32_e32 v26, 0
	ds_read_b64 v[26:27], v26 offset:17152
	ds_read_b64 v[28:29], v14
	s_waitcnt lgkmcnt(0)
	v_fma_f64 v[10:11], -v[26:27], v[28:29], v[10:11]
.LBB135_473:
	s_or_b64 exec, exec, s[0:1]
	s_barrier
	s_and_saveexec_b64 s[0:1], s[38:39]
; %bb.474:
	v_xor_b32_e32 v27, 0x80000000, v11
	v_mov_b32_e32 v26, v10
	ds_write_b64 v14, v[26:27]
; %bb.475:
	s_or_b64 exec, exec, s[0:1]
	s_waitcnt lgkmcnt(0)
	s_barrier
	s_barrier
	s_and_saveexec_b64 s[0:1], s[2:3]
; %bb.476:
	v_lshlrev_b32_e32 v26, 3, v12
	v_lshl_or_b32 v26, v13, 9, v26
	ds_write_b64 v26, v[10:11] offset:17664
; %bb.477:
	s_or_b64 exec, exec, s[0:1]
	s_waitcnt lgkmcnt(0)
	s_barrier
	s_barrier
	s_and_saveexec_b64 s[14:15], s[42:43]
	s_cbranch_execz .LBB135_479
; %bb.478:
	v_lshlrev_b32_e32 v26, 3, v0
	s_movk_i32 s0, 0x1f8
	v_mad_u32_u24 v27, v0, s0, v26
	ds_read_b64 v[10:11], v27 offset:17664
	s_waitcnt lgkmcnt(0)
	ds_write_b64 v26, v[10:11] offset:16656
	ds_read_b64 v[10:11], v27 offset:17672
	s_waitcnt lgkmcnt(0)
	ds_write_b64 v26, v[10:11] offset:17168
.LBB135_479:
	s_or_b64 exec, exec, s[14:15]
	s_waitcnt lgkmcnt(0)
	s_barrier
	s_and_saveexec_b64 s[14:15], vcc
	s_cbranch_execz .LBB135_481
; %bb.480:
	v_mov_b32_e32 v26, 0
	ds_read_b64 v[28:29], v26 offset:17152
	v_mov_b32_e32 v27, 0x3ff00000
	ds_write_b64 v26, v[26:27] offset:17160
	s_waitcnt lgkmcnt(1)
	ds_write_b128 v26, v[26:29] offset:16640
.LBB135_481:
	s_or_b64 exec, exec, s[14:15]
	s_movk_i32 s0, 0x3ff
	v_and_b32_e32 v28, 31, v0
	v_lshrrev_b32_e32 v29, 5, v15
	v_cmp_lt_u32_e64 s[16:17], s0, v15
	s_movk_i32 s0, 0x400
	v_mov_b32_e32 v10, 0
	v_sub_u32_e32 v26, 31, v29
	v_cmp_gt_u32_e64 s[14:15], s0, v15
	v_mov_b32_e32 v11, 0
	v_lshlrev_b32_e32 v27, 3, v28
	s_waitcnt lgkmcnt(0)
	s_barrier
	buffer_wbinvl1_vol
	s_and_saveexec_b64 s[94:95], s[14:15]
	s_cbranch_execz .LBB135_543
; %bb.482:
	v_lshlrev_b32_e32 v30, 9, v26
	ds_read_b64 v[10:11], v27 offset:16384
	ds_read_b64 v[31:32], v30 offset:16640
	s_movk_i32 s0, 0x3e0
	v_cmp_gt_u32_e64 s[20:21], s0, v15
	s_waitcnt lgkmcnt(0)
	v_fma_f64 v[10:11], v[10:11], v[31:32], 0
	s_and_saveexec_b64 s[0:1], s[20:21]
	s_cbranch_execz .LBB135_484
; %bb.483:
	ds_read_b64 v[31:32], v27 offset:16896
	ds_read_b64 v[33:34], v30 offset:16648
	s_waitcnt lgkmcnt(0)
	v_fma_f64 v[10:11], v[31:32], v[33:34], v[10:11]
.LBB135_484:
	s_or_b64 exec, exec, s[0:1]
	s_movk_i32 s0, 0x3c0
	v_cmp_gt_u32_e64 s[20:21], s0, v15
	s_and_saveexec_b64 s[0:1], s[20:21]
	s_cbranch_execz .LBB135_486
; %bb.485:
	ds_read_b64 v[31:32], v27 offset:17408
	ds_read_b64 v[33:34], v30 offset:16656
	s_waitcnt lgkmcnt(0)
	v_fma_f64 v[10:11], v[31:32], v[33:34], v[10:11]
.LBB135_486:
	s_or_b64 exec, exec, s[0:1]
	s_movk_i32 s0, 0x3a0
	v_cmp_gt_u32_e64 s[20:21], s0, v15
	;; [unrolled: 11-line block ×22, first 2 shown]
	s_and_saveexec_b64 s[0:1], s[20:21]
	s_cbranch_execz .LBB135_528
; %bb.527:
	ds_read_b64 v[31:32], v27 offset:28160
	ds_read_b64 v[33:34], v30 offset:16824
	s_waitcnt lgkmcnt(0)
	v_fma_f64 v[10:11], v[31:32], v[33:34], v[10:11]
.LBB135_528:
	s_or_b64 exec, exec, s[0:1]
	s_and_saveexec_b64 s[0:1], s[10:11]
	s_cbranch_execz .LBB135_530
; %bb.529:
	ds_read_b64 v[31:32], v27 offset:28672
	ds_read_b64 v[33:34], v30 offset:16832
	s_waitcnt lgkmcnt(0)
	v_fma_f64 v[10:11], v[31:32], v[33:34], v[10:11]
.LBB135_530:
	s_or_b64 exec, exec, s[0:1]
	s_movk_i32 s0, 0xe0
	v_cmp_gt_u32_e64 s[20:21], s0, v15
	s_and_saveexec_b64 s[0:1], s[20:21]
	s_cbranch_execz .LBB135_532
; %bb.531:
	ds_read_b64 v[31:32], v27 offset:29184
	ds_read_b64 v[33:34], v30 offset:16840
	s_waitcnt lgkmcnt(0)
	v_fma_f64 v[10:11], v[31:32], v[33:34], v[10:11]
.LBB135_532:
	s_or_b64 exec, exec, s[0:1]
	s_movk_i32 s0, 0xc0
	v_cmp_gt_u32_e64 s[20:21], s0, v15
	s_and_saveexec_b64 s[0:1], s[20:21]
	s_cbranch_execz .LBB135_534
; %bb.533:
	ds_read_b64 v[31:32], v27 offset:29696
	ds_read_b64 v[33:34], v30 offset:16848
	s_waitcnt lgkmcnt(0)
	v_fma_f64 v[10:11], v[31:32], v[33:34], v[10:11]
.LBB135_534:
	s_or_b64 exec, exec, s[0:1]
	s_movk_i32 s0, 0xa0
	v_cmp_gt_u32_e64 s[20:21], s0, v15
	s_and_saveexec_b64 s[0:1], s[20:21]
	s_cbranch_execz .LBB135_536
; %bb.535:
	ds_read_b64 v[31:32], v27 offset:30208
	ds_read_b64 v[33:34], v30 offset:16856
	s_waitcnt lgkmcnt(0)
	v_fma_f64 v[10:11], v[31:32], v[33:34], v[10:11]
.LBB135_536:
	s_or_b64 exec, exec, s[0:1]
	s_movk_i32 s0, 0x80
	v_cmp_gt_u32_e64 s[20:21], s0, v15
	s_and_saveexec_b64 s[0:1], s[20:21]
	s_cbranch_execz .LBB135_538
; %bb.537:
	ds_read_b64 v[31:32], v27 offset:30720
	ds_read_b64 v[33:34], v30 offset:16864
	s_waitcnt lgkmcnt(0)
	v_fma_f64 v[10:11], v[31:32], v[33:34], v[10:11]
.LBB135_538:
	s_or_b64 exec, exec, s[0:1]
	s_movk_i32 s0, 0x60
	v_cmp_gt_u32_e64 s[20:21], s0, v15
	s_and_saveexec_b64 s[0:1], s[20:21]
	s_cbranch_execnz .LBB135_1196
; %bb.539:
	s_or_b64 exec, exec, s[0:1]
	s_and_saveexec_b64 s[0:1], s[8:9]
	s_cbranch_execnz .LBB135_1197
.LBB135_540:
	s_or_b64 exec, exec, s[0:1]
	v_cmp_gt_u32_e64 s[20:21], 32, v15
	s_and_saveexec_b64 s[0:1], s[20:21]
	s_cbranch_execz .LBB135_542
.LBB135_541:
	v_lshlrev_b32_e32 v30, 3, v0
	v_mov_b32_e32 v32, 0
	ds_read_b64 v[30:31], v30 offset:32256
	ds_read_b64 v[32:33], v32 offset:32760
	s_waitcnt lgkmcnt(0)
	v_fma_f64 v[10:11], v[30:31], v[32:33], v[10:11]
.LBB135_542:
	s_or_b64 exec, exec, s[0:1]
.LBB135_543:
	s_or_b64 exec, exec, s[94:95]
	v_mov_b32_e32 v30, 0x8000
	v_cmp_eq_u32_e64 s[20:21], 31, v28
	s_xor_b64 s[94:95], s[16:17], -1
	v_lshl_add_u32 v29, v29, 3, v30
	s_and_b64 s[16:17], s[94:95], s[20:21]
	s_and_saveexec_b64 s[0:1], s[16:17]
; %bb.544:
	v_xor_b32_e32 v31, 0x80000000, v11
	v_mov_b32_e32 v30, v10
	ds_write_b64 v29, v[30:31]
; %bb.545:
	s_or_b64 exec, exec, s[0:1]
	v_cmp_ne_u32_e64 s[16:17], 31, v28
	s_and_b64 s[16:17], s[94:95], s[16:17]
	s_waitcnt lgkmcnt(0)
	s_barrier
	s_and_saveexec_b64 s[0:1], s[16:17]
	s_cbranch_execz .LBB135_547
; %bb.546:
	ds_read_b64 v[30:31], v27 offset:15872
	ds_read_b64 v[32:33], v29
	s_waitcnt lgkmcnt(0)
	v_fma_f64 v[10:11], -v[30:31], v[32:33], v[10:11]
.LBB135_547:
	s_or_b64 exec, exec, s[0:1]
	v_cmp_eq_u32_e64 s[16:17], 30, v28
	s_and_b64 s[16:17], s[94:95], s[16:17]
	s_barrier
	s_and_saveexec_b64 s[0:1], s[16:17]
; %bb.548:
	v_xor_b32_e32 v31, 0x80000000, v11
	v_mov_b32_e32 v30, v10
	ds_write_b64 v29, v[30:31]
; %bb.549:
	s_or_b64 exec, exec, s[0:1]
	v_cmp_gt_u32_e64 s[16:17], 30, v28
	s_and_b64 s[16:17], s[94:95], s[16:17]
	s_waitcnt lgkmcnt(0)
	s_barrier
	s_and_saveexec_b64 s[0:1], s[16:17]
	s_cbranch_execz .LBB135_551
; %bb.550:
	ds_read_b64 v[30:31], v27 offset:15360
	ds_read_b64 v[32:33], v29
	s_waitcnt lgkmcnt(0)
	v_fma_f64 v[10:11], -v[30:31], v[32:33], v[10:11]
.LBB135_551:
	s_or_b64 exec, exec, s[0:1]
	v_cmp_eq_u32_e64 s[16:17], 29, v28
	s_and_b64 s[16:17], s[94:95], s[16:17]
	s_barrier
	s_and_saveexec_b64 s[0:1], s[16:17]
; %bb.552:
	v_xor_b32_e32 v31, 0x80000000, v11
	v_mov_b32_e32 v30, v10
	ds_write_b64 v29, v[30:31]
; %bb.553:
	s_or_b64 exec, exec, s[0:1]
	v_cmp_gt_u32_e64 s[16:17], 29, v28
	;; [unrolled: 23-line block ×29, first 2 shown]
	s_and_b64 s[16:17], s[94:95], s[16:17]
	s_waitcnt lgkmcnt(0)
	s_barrier
	s_and_saveexec_b64 s[0:1], s[16:17]
	s_cbranch_execz .LBB135_663
; %bb.662:
	ds_read_b64 v[30:31], v27 offset:1024
	ds_read_b64 v[32:33], v29
	s_waitcnt lgkmcnt(0)
	v_fma_f64 v[10:11], -v[30:31], v[32:33], v[10:11]
.LBB135_663:
	s_or_b64 exec, exec, s[0:1]
	v_cmp_eq_u32_e64 s[16:17], 1, v28
	s_and_b64 s[16:17], s[94:95], s[16:17]
	s_barrier
	s_and_saveexec_b64 s[0:1], s[16:17]
; %bb.664:
	v_xor_b32_e32 v31, 0x80000000, v11
	v_mov_b32_e32 v30, v10
	ds_write_b64 v29, v[30:31]
; %bb.665:
	s_or_b64 exec, exec, s[0:1]
	v_cmp_eq_u32_e64 s[16:17], 0, v28
	s_and_b64 s[16:17], s[94:95], s[16:17]
	s_waitcnt lgkmcnt(0)
	s_barrier
	s_and_saveexec_b64 s[0:1], s[16:17]
	s_cbranch_execz .LBB135_667
; %bb.666:
	ds_read_b64 v[30:31], v27 offset:512
	ds_read_b64 v[32:33], v29
	s_waitcnt lgkmcnt(0)
	v_fma_f64 v[10:11], -v[30:31], v[32:33], v[10:11]
.LBB135_667:
	s_or_b64 exec, exec, s[0:1]
	s_barrier
	s_and_saveexec_b64 s[0:1], s[16:17]
; %bb.668:
	v_xor_b32_e32 v31, 0x80000000, v11
	v_mov_b32_e32 v30, v10
	ds_write_b64 v29, v[30:31]
; %bb.669:
	s_or_b64 exec, exec, s[0:1]
	s_waitcnt lgkmcnt(0)
	s_barrier
	s_barrier
	s_and_saveexec_b64 s[0:1], s[14:15]
; %bb.670:
	v_lshl_or_b32 v26, v26, 9, v27
	ds_write_b64 v26, v[10:11] offset:16384
; %bb.671:
	s_or_b64 exec, exec, s[0:1]
	v_cmp_gt_u32_e64 s[14:15], 32, v0
	s_and_b64 s[0:1], s[12:13], s[14:15]
	s_waitcnt lgkmcnt(0)
	s_barrier
	s_barrier
	s_and_saveexec_b64 s[12:13], s[0:1]
	s_cbranch_execz .LBB135_673
; %bb.672:
	v_lshlrev_b32_e32 v26, 9, v0
	ds_read_b64 v[10:11], v26 offset:16384
	s_movk_i32 s0, 0xfe08
	v_mad_i32_i24 v27, v0, s0, v26
	s_waitcnt lgkmcnt(0)
	ds_write_b64 v27, v[10:11] offset:256
	ds_read_b64 v[10:11], v26 offset:16392
	s_waitcnt lgkmcnt(0)
	ds_write_b64 v27, v[10:11] offset:768
	ds_read_b64 v[10:11], v26 offset:16400
	s_waitcnt lgkmcnt(0)
	ds_write_b64 v27, v[10:11] offset:1280
	ds_read_b64 v[10:11], v26 offset:16408
	s_waitcnt lgkmcnt(0)
	ds_write_b64 v27, v[10:11] offset:1792
	ds_read_b64 v[10:11], v26 offset:16416
	s_waitcnt lgkmcnt(0)
	ds_write_b64 v27, v[10:11] offset:2304
	ds_read_b64 v[10:11], v26 offset:16424
	s_waitcnt lgkmcnt(0)
	ds_write_b64 v27, v[10:11] offset:2816
	ds_read_b64 v[10:11], v26 offset:16432
	s_waitcnt lgkmcnt(0)
	ds_write_b64 v27, v[10:11] offset:3328
	ds_read_b64 v[10:11], v26 offset:16440
	s_waitcnt lgkmcnt(0)
	ds_write_b64 v27, v[10:11] offset:3840
	ds_read_b64 v[10:11], v26 offset:16448
	s_waitcnt lgkmcnt(0)
	ds_write_b64 v27, v[10:11] offset:4352
	ds_read_b64 v[10:11], v26 offset:16456
	s_waitcnt lgkmcnt(0)
	ds_write_b64 v27, v[10:11] offset:4864
	ds_read_b64 v[10:11], v26 offset:16464
	s_waitcnt lgkmcnt(0)
	ds_write_b64 v27, v[10:11] offset:5376
	ds_read_b64 v[10:11], v26 offset:16472
	s_waitcnt lgkmcnt(0)
	ds_write_b64 v27, v[10:11] offset:5888
	ds_read_b64 v[10:11], v26 offset:16480
	s_waitcnt lgkmcnt(0)
	ds_write_b64 v27, v[10:11] offset:6400
	ds_read_b64 v[10:11], v26 offset:16488
	s_waitcnt lgkmcnt(0)
	ds_write_b64 v27, v[10:11] offset:6912
	ds_read_b64 v[10:11], v26 offset:16496
	s_waitcnt lgkmcnt(0)
	ds_write_b64 v27, v[10:11] offset:7424
	ds_read_b64 v[10:11], v26 offset:16504
	s_waitcnt lgkmcnt(0)
	ds_write_b64 v27, v[10:11] offset:7936
	ds_read_b64 v[10:11], v26 offset:16512
	s_waitcnt lgkmcnt(0)
	ds_write_b64 v27, v[10:11] offset:8448
	ds_read_b64 v[10:11], v26 offset:16520
	s_waitcnt lgkmcnt(0)
	ds_write_b64 v27, v[10:11] offset:8960
	ds_read_b64 v[10:11], v26 offset:16528
	s_waitcnt lgkmcnt(0)
	ds_write_b64 v27, v[10:11] offset:9472
	ds_read_b64 v[10:11], v26 offset:16536
	s_waitcnt lgkmcnt(0)
	ds_write_b64 v27, v[10:11] offset:9984
	ds_read_b64 v[10:11], v26 offset:16544
	s_waitcnt lgkmcnt(0)
	ds_write_b64 v27, v[10:11] offset:10496
	ds_read_b64 v[10:11], v26 offset:16552
	s_waitcnt lgkmcnt(0)
	ds_write_b64 v27, v[10:11] offset:11008
	ds_read_b64 v[10:11], v26 offset:16560
	s_waitcnt lgkmcnt(0)
	ds_write_b64 v27, v[10:11] offset:11520
	ds_read_b64 v[10:11], v26 offset:16568
	s_waitcnt lgkmcnt(0)
	ds_write_b64 v27, v[10:11] offset:12032
	ds_read_b64 v[10:11], v26 offset:16576
	s_waitcnt lgkmcnt(0)
	ds_write_b64 v27, v[10:11] offset:12544
	ds_read_b64 v[10:11], v26 offset:16584
	s_waitcnt lgkmcnt(0)
	ds_write_b64 v27, v[10:11] offset:13056
	ds_read_b64 v[10:11], v26 offset:16592
	s_waitcnt lgkmcnt(0)
	ds_write_b64 v27, v[10:11] offset:13568
	ds_read_b64 v[10:11], v26 offset:16600
	s_waitcnt lgkmcnt(0)
	ds_write_b64 v27, v[10:11] offset:14080
	ds_read_b64 v[10:11], v26 offset:16608
	s_waitcnt lgkmcnt(0)
	ds_write_b64 v27, v[10:11] offset:14592
	ds_read_b64 v[10:11], v26 offset:16616
	s_waitcnt lgkmcnt(0)
	ds_write_b64 v27, v[10:11] offset:15104
	ds_read_b64 v[10:11], v26 offset:16624
	s_waitcnt lgkmcnt(0)
	ds_write_b64 v27, v[10:11] offset:15616
	ds_read_b64 v[10:11], v26 offset:16632
	s_waitcnt lgkmcnt(0)
	ds_write_b64 v27, v[10:11] offset:16128
.LBB135_673:
	s_or_b64 exec, exec, s[12:13]
	s_waitcnt lgkmcnt(0)
	s_barrier
	s_and_saveexec_b64 s[12:13], vcc
	s_cbranch_execz .LBB135_675
; %bb.674:
	v_mov_b32_e32 v26, 0
	ds_read_b64 v[28:29], v26 offset:16112
	v_mov_b32_e32 v27, 0x3ff00000
	ds_write_b64 v26, v[26:27] offset:16120
	s_waitcnt lgkmcnt(1)
	ds_write_b128 v26, v[26:29] offset:15600
.LBB135_675:
	s_or_b64 exec, exec, s[12:13]
	v_mov_b32_e32 v10, 0
	v_mov_b32_e32 v11, 0
	s_waitcnt lgkmcnt(0)
	s_barrier
	buffer_wbinvl1_vol
	s_and_saveexec_b64 s[14:15], s[2:3]
	s_cbranch_execz .LBB135_679
; %bb.676:
	v_lshlrev_b32_e32 v26, 9, v13
	v_lshlrev_b32_e32 v10, 3, v12
	ds_read_b64 v[10:11], v10 offset:15584
	ds_read_b64 v[26:27], v26 offset:15600
	v_cmp_gt_u32_e64 s[12:13], 2, v15
	s_waitcnt lgkmcnt(0)
	v_fma_f64 v[10:11], v[10:11], v[26:27], 0
	s_and_saveexec_b64 s[0:1], s[12:13]
	s_cbranch_execz .LBB135_678
; %bb.677:
	v_lshlrev_b32_e32 v26, 3, v0
	v_mov_b32_e32 v28, 0
	ds_read_b64 v[26:27], v26 offset:16096
	ds_read_b64 v[28:29], v28 offset:16120
	s_waitcnt lgkmcnt(0)
	v_fma_f64 v[10:11], v[26:27], v[28:29], v[10:11]
.LBB135_678:
	s_or_b64 exec, exec, s[0:1]
.LBB135_679:
	s_or_b64 exec, exec, s[14:15]
	s_and_saveexec_b64 s[0:1], s[40:41]
; %bb.680:
	v_xor_b32_e32 v27, 0x80000000, v11
	v_mov_b32_e32 v26, v10
	ds_write_b64 v14, v[26:27]
; %bb.681:
	s_or_b64 exec, exec, s[0:1]
	s_waitcnt lgkmcnt(0)
	s_barrier
	s_and_saveexec_b64 s[0:1], s[38:39]
	s_cbranch_execz .LBB135_683
; %bb.682:
	v_mov_b32_e32 v26, 0
	ds_read_b64 v[26:27], v26 offset:15072
	ds_read_b64 v[28:29], v14
	s_waitcnt lgkmcnt(0)
	v_fma_f64 v[10:11], -v[26:27], v[28:29], v[10:11]
.LBB135_683:
	s_or_b64 exec, exec, s[0:1]
	s_barrier
	s_and_saveexec_b64 s[0:1], s[38:39]
; %bb.684:
	v_xor_b32_e32 v27, 0x80000000, v11
	v_mov_b32_e32 v26, v10
	ds_write_b64 v14, v[26:27]
; %bb.685:
	s_or_b64 exec, exec, s[0:1]
	s_waitcnt lgkmcnt(0)
	s_barrier
	s_barrier
	s_and_saveexec_b64 s[0:1], s[2:3]
; %bb.686:
	v_lshlrev_b32_e32 v26, 3, v12
	v_lshl_or_b32 v26, v13, 9, v26
	ds_write_b64 v26, v[10:11] offset:15584
; %bb.687:
	s_or_b64 exec, exec, s[0:1]
	s_waitcnt lgkmcnt(0)
	s_barrier
	s_barrier
	s_and_saveexec_b64 s[0:1], s[42:43]
	s_cbranch_execz .LBB135_689
; %bb.688:
	v_lshlrev_b32_e32 v26, 3, v0
	s_movk_i32 s12, 0x1f8
	v_mad_u32_u24 v27, v0, s12, v26
	ds_read_b64 v[10:11], v27 offset:15584
	s_waitcnt lgkmcnt(0)
	ds_write_b64 v26, v[10:11] offset:14576
	ds_read_b64 v[10:11], v27 offset:15592
	s_waitcnt lgkmcnt(0)
	ds_write_b64 v26, v[10:11] offset:15088
.LBB135_689:
	s_or_b64 exec, exec, s[0:1]
	s_waitcnt lgkmcnt(0)
	s_barrier
	s_and_saveexec_b64 s[12:13], vcc
	s_cbranch_execz .LBB135_691
; %bb.690:
	v_mov_b32_e32 v26, 0
	ds_read_b64 v[28:29], v26 offset:15072
	v_mov_b32_e32 v27, 0x3ff00000
	ds_write_b64 v26, v[26:27] offset:15080
	s_waitcnt lgkmcnt(1)
	ds_write_b128 v26, v[26:29] offset:14560
.LBB135_691:
	s_or_b64 exec, exec, s[12:13]
	v_mov_b32_e32 v10, 0
	v_mov_b32_e32 v11, 0
	s_waitcnt lgkmcnt(0)
	s_barrier
	buffer_wbinvl1_vol
	s_and_saveexec_b64 s[14:15], s[18:19]
	s_cbranch_execz .LBB135_697
; %bb.692:
	v_lshlrev_b32_e32 v27, 3, v16
	v_lshlrev_b32_e32 v26, 9, v17
	ds_read_b64 v[10:11], v27 offset:14528
	ds_read_b64 v[28:29], v26 offset:14560
	v_cmp_gt_u32_e64 s[12:13], 12, v15
	s_waitcnt lgkmcnt(0)
	v_fma_f64 v[10:11], v[10:11], v[28:29], 0
	s_and_saveexec_b64 s[0:1], s[12:13]
	s_cbranch_execnz .LBB135_1198
; %bb.693:
	s_or_b64 exec, exec, s[0:1]
	v_cmp_gt_u32_e64 s[12:13], 8, v15
	s_and_saveexec_b64 s[0:1], s[12:13]
	s_cbranch_execnz .LBB135_1199
.LBB135_694:
	s_or_b64 exec, exec, s[0:1]
	v_cmp_gt_u32_e64 s[12:13], 4, v15
	s_and_saveexec_b64 s[0:1], s[12:13]
	s_cbranch_execz .LBB135_696
.LBB135_695:
	v_lshlrev_b32_e32 v26, 3, v0
	v_mov_b32_e32 v28, 0
	ds_read_b64 v[26:27], v26 offset:16064
	ds_read_b64 v[28:29], v28 offset:16120
	s_waitcnt lgkmcnt(0)
	v_fma_f64 v[10:11], v[26:27], v[28:29], v[10:11]
.LBB135_696:
	s_or_b64 exec, exec, s[0:1]
.LBB135_697:
	s_or_b64 exec, exec, s[14:15]
	s_and_saveexec_b64 s[0:1], s[46:47]
; %bb.698:
	v_xor_b32_e32 v27, 0x80000000, v11
	v_mov_b32_e32 v26, v10
	ds_write_b64 v19, v[26:27]
; %bb.699:
	s_or_b64 exec, exec, s[0:1]
	s_waitcnt lgkmcnt(0)
	s_barrier
	s_and_saveexec_b64 s[0:1], s[48:49]
	s_cbranch_execz .LBB135_701
; %bb.700:
	v_lshlrev_b32_e32 v26, 3, v16
	ds_read_b64 v[26:27], v26 offset:14016
	ds_read_b64 v[28:29], v19
	s_waitcnt lgkmcnt(0)
	v_fma_f64 v[10:11], -v[26:27], v[28:29], v[10:11]
.LBB135_701:
	s_or_b64 exec, exec, s[0:1]
	s_barrier
	s_and_saveexec_b64 s[0:1], s[50:51]
; %bb.702:
	v_xor_b32_e32 v27, 0x80000000, v11
	v_mov_b32_e32 v26, v10
	ds_write_b64 v19, v[26:27]
; %bb.703:
	s_or_b64 exec, exec, s[0:1]
	s_waitcnt lgkmcnt(0)
	s_barrier
	s_and_saveexec_b64 s[0:1], s[52:53]
	s_cbranch_execz .LBB135_705
; %bb.704:
	v_lshlrev_b32_e32 v26, 3, v16
	ds_read_b64 v[26:27], v26 offset:13504
	ds_read_b64 v[28:29], v19
	s_waitcnt lgkmcnt(0)
	v_fma_f64 v[10:11], -v[26:27], v[28:29], v[10:11]
.LBB135_705:
	s_or_b64 exec, exec, s[0:1]
	s_barrier
	s_and_saveexec_b64 s[0:1], s[54:55]
; %bb.706:
	v_xor_b32_e32 v27, 0x80000000, v11
	v_mov_b32_e32 v26, v10
	ds_write_b64 v19, v[26:27]
; %bb.707:
	s_or_b64 exec, exec, s[0:1]
	s_waitcnt lgkmcnt(0)
	s_barrier
	s_and_saveexec_b64 s[0:1], s[44:45]
	s_cbranch_execz .LBB135_709
; %bb.708:
	v_mov_b32_e32 v26, 0
	ds_read_b64 v[26:27], v26 offset:12992
	ds_read_b64 v[28:29], v19
	s_waitcnt lgkmcnt(0)
	v_fma_f64 v[10:11], -v[26:27], v[28:29], v[10:11]
.LBB135_709:
	s_or_b64 exec, exec, s[0:1]
	s_barrier
	s_and_saveexec_b64 s[0:1], s[44:45]
; %bb.710:
	v_xor_b32_e32 v27, 0x80000000, v11
	v_mov_b32_e32 v26, v10
	ds_write_b64 v19, v[26:27]
; %bb.711:
	s_or_b64 exec, exec, s[0:1]
	s_waitcnt lgkmcnt(0)
	s_barrier
	s_barrier
	s_and_saveexec_b64 s[0:1], s[18:19]
; %bb.712:
	v_lshlrev_b32_e32 v26, 3, v16
	v_lshl_or_b32 v26, v17, 9, v26
	ds_write_b64 v26, v[10:11] offset:14528
; %bb.713:
	s_or_b64 exec, exec, s[0:1]
	s_waitcnt lgkmcnt(0)
	s_barrier
	s_barrier
	s_and_saveexec_b64 s[12:13], s[56:57]
	s_cbranch_execz .LBB135_715
; %bb.714:
	v_lshlrev_b32_e32 v26, 9, v0
	ds_read_b64 v[10:11], v26 offset:14528
	s_movk_i32 s0, 0xfe08
	v_mad_i32_i24 v27, v0, s0, v26
	s_waitcnt lgkmcnt(0)
	ds_write_b64 v27, v[10:11] offset:12512
	ds_read_b64 v[10:11], v26 offset:14536
	s_waitcnt lgkmcnt(0)
	ds_write_b64 v27, v[10:11] offset:13024
	ds_read_b64 v[10:11], v26 offset:14544
	;; [unrolled: 3-line block ×3, first 2 shown]
	s_waitcnt lgkmcnt(0)
	ds_write_b64 v27, v[10:11] offset:14048
.LBB135_715:
	s_or_b64 exec, exec, s[12:13]
	s_waitcnt lgkmcnt(0)
	s_barrier
	s_and_saveexec_b64 s[12:13], vcc
	s_cbranch_execz .LBB135_717
; %bb.716:
	v_mov_b32_e32 v26, 0
	ds_read_b64 v[28:29], v26 offset:14032
	v_mov_b32_e32 v27, 0x3ff00000
	ds_write_b64 v26, v[26:27] offset:14040
	s_waitcnt lgkmcnt(1)
	ds_write_b128 v26, v[26:29] offset:13520
.LBB135_717:
	s_or_b64 exec, exec, s[12:13]
	v_mov_b32_e32 v10, 0
	v_mov_b32_e32 v11, 0
	s_waitcnt lgkmcnt(0)
	s_barrier
	buffer_wbinvl1_vol
	s_and_saveexec_b64 s[14:15], s[2:3]
	s_cbranch_execz .LBB135_721
; %bb.718:
	v_lshlrev_b32_e32 v26, 9, v13
	v_lshlrev_b32_e32 v10, 3, v12
	ds_read_b64 v[10:11], v10 offset:13504
	ds_read_b64 v[26:27], v26 offset:13520
	v_cmp_gt_u32_e64 s[12:13], 2, v15
	s_waitcnt lgkmcnt(0)
	v_fma_f64 v[10:11], v[10:11], v[26:27], 0
	s_and_saveexec_b64 s[0:1], s[12:13]
	s_cbranch_execz .LBB135_720
; %bb.719:
	v_lshlrev_b32_e32 v26, 3, v0
	v_mov_b32_e32 v28, 0
	ds_read_b64 v[26:27], v26 offset:14016
	ds_read_b64 v[28:29], v28 offset:14040
	s_waitcnt lgkmcnt(0)
	v_fma_f64 v[10:11], v[26:27], v[28:29], v[10:11]
.LBB135_720:
	s_or_b64 exec, exec, s[0:1]
.LBB135_721:
	s_or_b64 exec, exec, s[14:15]
	s_and_saveexec_b64 s[0:1], s[40:41]
; %bb.722:
	v_xor_b32_e32 v27, 0x80000000, v11
	v_mov_b32_e32 v26, v10
	ds_write_b64 v14, v[26:27]
; %bb.723:
	s_or_b64 exec, exec, s[0:1]
	s_waitcnt lgkmcnt(0)
	s_barrier
	s_and_saveexec_b64 s[0:1], s[38:39]
	s_cbranch_execz .LBB135_725
; %bb.724:
	v_mov_b32_e32 v26, 0
	ds_read_b64 v[26:27], v26 offset:12992
	ds_read_b64 v[28:29], v14
	s_waitcnt lgkmcnt(0)
	v_fma_f64 v[10:11], -v[26:27], v[28:29], v[10:11]
.LBB135_725:
	s_or_b64 exec, exec, s[0:1]
	s_barrier
	s_and_saveexec_b64 s[0:1], s[38:39]
; %bb.726:
	v_xor_b32_e32 v27, 0x80000000, v11
	v_mov_b32_e32 v26, v10
	ds_write_b64 v14, v[26:27]
; %bb.727:
	s_or_b64 exec, exec, s[0:1]
	s_waitcnt lgkmcnt(0)
	s_barrier
	s_barrier
	s_and_saveexec_b64 s[0:1], s[2:3]
; %bb.728:
	v_lshlrev_b32_e32 v26, 3, v12
	v_lshl_or_b32 v26, v13, 9, v26
	ds_write_b64 v26, v[10:11] offset:13504
; %bb.729:
	s_or_b64 exec, exec, s[0:1]
	s_waitcnt lgkmcnt(0)
	s_barrier
	s_barrier
	s_and_saveexec_b64 s[0:1], s[42:43]
	s_cbranch_execz .LBB135_731
; %bb.730:
	v_lshlrev_b32_e32 v26, 3, v0
	s_movk_i32 s12, 0x1f8
	v_mad_u32_u24 v27, v0, s12, v26
	ds_read_b64 v[10:11], v27 offset:13504
	s_waitcnt lgkmcnt(0)
	ds_write_b64 v26, v[10:11] offset:12496
	ds_read_b64 v[10:11], v27 offset:13512
	s_waitcnt lgkmcnt(0)
	ds_write_b64 v26, v[10:11] offset:13008
.LBB135_731:
	s_or_b64 exec, exec, s[0:1]
	s_waitcnt lgkmcnt(0)
	s_barrier
	s_and_saveexec_b64 s[12:13], vcc
	s_cbranch_execz .LBB135_733
; %bb.732:
	v_mov_b32_e32 v26, 0
	ds_read_b64 v[28:29], v26 offset:12992
	v_mov_b32_e32 v27, 0x3ff00000
	ds_write_b64 v26, v[26:27] offset:13000
	s_waitcnt lgkmcnt(1)
	ds_write_b128 v26, v[26:29] offset:12480
.LBB135_733:
	s_or_b64 exec, exec, s[12:13]
	v_mov_b32_e32 v10, 0
	v_mov_b32_e32 v11, 0
	s_waitcnt lgkmcnt(0)
	s_barrier
	buffer_wbinvl1_vol
	s_and_saveexec_b64 s[14:15], s[8:9]
	s_cbranch_execz .LBB135_743
; %bb.734:
	v_lshlrev_b32_e32 v27, 3, v20
	v_lshlrev_b32_e32 v26, 9, v21
	ds_read_b64 v[10:11], v27 offset:12416
	ds_read_b64 v[28:29], v26 offset:12480
	v_cmp_gt_u32_e64 s[12:13], 56, v15
	s_waitcnt lgkmcnt(0)
	v_fma_f64 v[10:11], v[10:11], v[28:29], 0
	s_and_saveexec_b64 s[0:1], s[12:13]
	s_cbranch_execnz .LBB135_1200
; %bb.735:
	s_or_b64 exec, exec, s[0:1]
	v_cmp_gt_u32_e64 s[12:13], 48, v15
	s_and_saveexec_b64 s[0:1], s[12:13]
	s_cbranch_execnz .LBB135_1201
.LBB135_736:
	s_or_b64 exec, exec, s[0:1]
	v_cmp_gt_u32_e64 s[12:13], 40, v15
	s_and_saveexec_b64 s[0:1], s[12:13]
	s_cbranch_execnz .LBB135_1202
.LBB135_737:
	s_or_b64 exec, exec, s[0:1]
	v_cmp_gt_u32_e64 s[12:13], 32, v15
	s_and_saveexec_b64 s[0:1], s[12:13]
	s_cbranch_execnz .LBB135_1203
.LBB135_738:
	s_or_b64 exec, exec, s[0:1]
	v_cmp_gt_u32_e64 s[12:13], 24, v15
	s_and_saveexec_b64 s[0:1], s[12:13]
	s_cbranch_execnz .LBB135_1204
.LBB135_739:
	s_or_b64 exec, exec, s[0:1]
	s_and_saveexec_b64 s[0:1], s[18:19]
	s_cbranch_execnz .LBB135_1205
.LBB135_740:
	s_or_b64 exec, exec, s[0:1]
	v_cmp_gt_u32_e64 s[12:13], 8, v15
	s_and_saveexec_b64 s[0:1], s[12:13]
	s_cbranch_execz .LBB135_742
.LBB135_741:
	v_lshlrev_b32_e32 v26, 3, v0
	v_mov_b32_e32 v28, 0
	ds_read_b64 v[26:27], v26 offset:16000
	ds_read_b64 v[28:29], v28 offset:16120
	s_waitcnt lgkmcnt(0)
	v_fma_f64 v[10:11], v[26:27], v[28:29], v[10:11]
.LBB135_742:
	s_or_b64 exec, exec, s[0:1]
.LBB135_743:
	s_or_b64 exec, exec, s[14:15]
	s_and_saveexec_b64 s[0:1], s[58:59]
; %bb.744:
	v_xor_b32_e32 v27, 0x80000000, v11
	v_mov_b32_e32 v26, v10
	ds_write_b64 v22, v[26:27]
; %bb.745:
	s_or_b64 exec, exec, s[0:1]
	s_waitcnt lgkmcnt(0)
	s_barrier
	s_and_saveexec_b64 s[0:1], s[60:61]
	s_cbranch_execz .LBB135_747
; %bb.746:
	v_lshlrev_b32_e32 v26, 3, v20
	ds_read_b64 v[26:27], v26 offset:11904
	ds_read_b64 v[28:29], v22
	s_waitcnt lgkmcnt(0)
	v_fma_f64 v[10:11], -v[26:27], v[28:29], v[10:11]
.LBB135_747:
	s_or_b64 exec, exec, s[0:1]
	s_barrier
	s_and_saveexec_b64 s[0:1], s[62:63]
; %bb.748:
	v_xor_b32_e32 v27, 0x80000000, v11
	v_mov_b32_e32 v26, v10
	ds_write_b64 v22, v[26:27]
; %bb.749:
	s_or_b64 exec, exec, s[0:1]
	s_waitcnt lgkmcnt(0)
	s_barrier
	s_and_saveexec_b64 s[0:1], s[64:65]
	s_cbranch_execz .LBB135_751
; %bb.750:
	v_lshlrev_b32_e32 v26, 3, v20
	ds_read_b64 v[26:27], v26 offset:11392
	ds_read_b64 v[28:29], v22
	s_waitcnt lgkmcnt(0)
	v_fma_f64 v[10:11], -v[26:27], v[28:29], v[10:11]
.LBB135_751:
	s_or_b64 exec, exec, s[0:1]
	s_barrier
	s_and_saveexec_b64 s[0:1], s[66:67]
; %bb.752:
	v_xor_b32_e32 v27, 0x80000000, v11
	v_mov_b32_e32 v26, v10
	ds_write_b64 v22, v[26:27]
; %bb.753:
	s_or_b64 exec, exec, s[0:1]
	s_waitcnt lgkmcnt(0)
	s_barrier
	s_and_saveexec_b64 s[0:1], s[70:71]
	s_cbranch_execz .LBB135_755
; %bb.754:
	v_lshlrev_b32_e32 v26, 3, v20
	ds_read_b64 v[26:27], v26 offset:10880
	ds_read_b64 v[28:29], v22
	s_waitcnt lgkmcnt(0)
	v_fma_f64 v[10:11], -v[26:27], v[28:29], v[10:11]
.LBB135_755:
	s_or_b64 exec, exec, s[0:1]
	s_barrier
	s_and_saveexec_b64 s[0:1], s[72:73]
; %bb.756:
	v_xor_b32_e32 v27, 0x80000000, v11
	v_mov_b32_e32 v26, v10
	ds_write_b64 v22, v[26:27]
; %bb.757:
	s_or_b64 exec, exec, s[0:1]
	s_waitcnt lgkmcnt(0)
	s_barrier
	s_and_saveexec_b64 s[0:1], s[74:75]
	s_cbranch_execz .LBB135_759
; %bb.758:
	v_lshlrev_b32_e32 v26, 3, v20
	ds_read_b64 v[26:27], v26 offset:10368
	ds_read_b64 v[28:29], v22
	s_waitcnt lgkmcnt(0)
	v_fma_f64 v[10:11], -v[26:27], v[28:29], v[10:11]
.LBB135_759:
	s_or_b64 exec, exec, s[0:1]
	s_barrier
	s_and_saveexec_b64 s[0:1], s[76:77]
; %bb.760:
	v_xor_b32_e32 v27, 0x80000000, v11
	v_mov_b32_e32 v26, v10
	ds_write_b64 v22, v[26:27]
; %bb.761:
	s_or_b64 exec, exec, s[0:1]
	s_waitcnt lgkmcnt(0)
	s_barrier
	s_and_saveexec_b64 s[0:1], s[78:79]
	s_cbranch_execz .LBB135_763
; %bb.762:
	v_lshlrev_b32_e32 v26, 3, v20
	ds_read_b64 v[26:27], v26 offset:9856
	ds_read_b64 v[28:29], v22
	s_waitcnt lgkmcnt(0)
	v_fma_f64 v[10:11], -v[26:27], v[28:29], v[10:11]
.LBB135_763:
	s_or_b64 exec, exec, s[0:1]
	s_barrier
	s_and_saveexec_b64 s[0:1], s[80:81]
; %bb.764:
	v_xor_b32_e32 v27, 0x80000000, v11
	v_mov_b32_e32 v26, v10
	ds_write_b64 v22, v[26:27]
; %bb.765:
	s_or_b64 exec, exec, s[0:1]
	s_waitcnt lgkmcnt(0)
	s_barrier
	s_and_saveexec_b64 s[0:1], s[82:83]
	s_cbranch_execz .LBB135_767
; %bb.766:
	v_lshlrev_b32_e32 v26, 3, v20
	ds_read_b64 v[26:27], v26 offset:9344
	ds_read_b64 v[28:29], v22
	s_waitcnt lgkmcnt(0)
	v_fma_f64 v[10:11], -v[26:27], v[28:29], v[10:11]
.LBB135_767:
	s_or_b64 exec, exec, s[0:1]
	s_barrier
	s_and_saveexec_b64 s[0:1], s[84:85]
; %bb.768:
	v_xor_b32_e32 v27, 0x80000000, v11
	v_mov_b32_e32 v26, v10
	ds_write_b64 v22, v[26:27]
; %bb.769:
	s_or_b64 exec, exec, s[0:1]
	s_waitcnt lgkmcnt(0)
	s_barrier
	s_and_saveexec_b64 s[0:1], s[68:69]
	s_cbranch_execz .LBB135_771
; %bb.770:
	v_mov_b32_e32 v26, 0
	ds_read_b64 v[26:27], v26 offset:8832
	ds_read_b64 v[28:29], v22
	s_waitcnt lgkmcnt(0)
	v_fma_f64 v[10:11], -v[26:27], v[28:29], v[10:11]
.LBB135_771:
	s_or_b64 exec, exec, s[0:1]
	s_barrier
	s_and_saveexec_b64 s[0:1], s[68:69]
; %bb.772:
	v_xor_b32_e32 v27, 0x80000000, v11
	v_mov_b32_e32 v26, v10
	ds_write_b64 v22, v[26:27]
; %bb.773:
	s_or_b64 exec, exec, s[0:1]
	s_waitcnt lgkmcnt(0)
	s_barrier
	s_barrier
	s_and_saveexec_b64 s[0:1], s[8:9]
; %bb.774:
	v_lshlrev_b32_e32 v26, 3, v20
	v_lshl_or_b32 v26, v21, 9, v26
	ds_write_b64 v26, v[10:11] offset:12416
; %bb.775:
	s_or_b64 exec, exec, s[0:1]
	s_waitcnt lgkmcnt(0)
	s_barrier
	s_barrier
	s_and_saveexec_b64 s[12:13], s[86:87]
	s_cbranch_execz .LBB135_777
; %bb.776:
	v_lshlrev_b32_e32 v26, 9, v0
	ds_read_b64 v[10:11], v26 offset:12416
	s_movk_i32 s0, 0xfe08
	v_mad_i32_i24 v27, v0, s0, v26
	s_waitcnt lgkmcnt(0)
	ds_write_b64 v27, v[10:11] offset:8384
	ds_read_b64 v[10:11], v26 offset:12424
	s_waitcnt lgkmcnt(0)
	ds_write_b64 v27, v[10:11] offset:8896
	ds_read_b64 v[10:11], v26 offset:12432
	;; [unrolled: 3-line block ×7, first 2 shown]
	s_waitcnt lgkmcnt(0)
	ds_write_b64 v27, v[10:11] offset:11968
.LBB135_777:
	s_or_b64 exec, exec, s[12:13]
	s_waitcnt lgkmcnt(0)
	s_barrier
	s_and_saveexec_b64 s[12:13], vcc
	s_cbranch_execz .LBB135_779
; %bb.778:
	v_mov_b32_e32 v26, 0
	ds_read_b64 v[28:29], v26 offset:11952
	v_mov_b32_e32 v27, 0x3ff00000
	ds_write_b64 v26, v[26:27] offset:11960
	s_waitcnt lgkmcnt(1)
	ds_write_b128 v26, v[26:29] offset:11440
.LBB135_779:
	s_or_b64 exec, exec, s[12:13]
	v_mov_b32_e32 v10, 0
	v_mov_b32_e32 v11, 0
	s_waitcnt lgkmcnt(0)
	s_barrier
	buffer_wbinvl1_vol
	s_and_saveexec_b64 s[14:15], s[2:3]
	s_cbranch_execz .LBB135_783
; %bb.780:
	v_lshlrev_b32_e32 v26, 9, v13
	v_lshlrev_b32_e32 v10, 3, v12
	ds_read_b64 v[10:11], v10 offset:11424
	ds_read_b64 v[26:27], v26 offset:11440
	v_cmp_gt_u32_e64 s[12:13], 2, v15
	s_waitcnt lgkmcnt(0)
	v_fma_f64 v[10:11], v[10:11], v[26:27], 0
	s_and_saveexec_b64 s[0:1], s[12:13]
	s_cbranch_execz .LBB135_782
; %bb.781:
	v_lshlrev_b32_e32 v26, 3, v0
	v_mov_b32_e32 v28, 0
	ds_read_b64 v[26:27], v26 offset:11936
	ds_read_b64 v[28:29], v28 offset:11960
	s_waitcnt lgkmcnt(0)
	v_fma_f64 v[10:11], v[26:27], v[28:29], v[10:11]
.LBB135_782:
	s_or_b64 exec, exec, s[0:1]
.LBB135_783:
	s_or_b64 exec, exec, s[14:15]
	s_and_saveexec_b64 s[0:1], s[40:41]
; %bb.784:
	v_xor_b32_e32 v27, 0x80000000, v11
	v_mov_b32_e32 v26, v10
	ds_write_b64 v14, v[26:27]
; %bb.785:
	s_or_b64 exec, exec, s[0:1]
	s_waitcnt lgkmcnt(0)
	s_barrier
	s_and_saveexec_b64 s[0:1], s[38:39]
	s_cbranch_execz .LBB135_787
; %bb.786:
	v_mov_b32_e32 v26, 0
	ds_read_b64 v[26:27], v26 offset:10912
	ds_read_b64 v[28:29], v14
	s_waitcnt lgkmcnt(0)
	v_fma_f64 v[10:11], -v[26:27], v[28:29], v[10:11]
.LBB135_787:
	s_or_b64 exec, exec, s[0:1]
	s_barrier
	s_and_saveexec_b64 s[0:1], s[38:39]
; %bb.788:
	v_xor_b32_e32 v27, 0x80000000, v11
	v_mov_b32_e32 v26, v10
	ds_write_b64 v14, v[26:27]
; %bb.789:
	s_or_b64 exec, exec, s[0:1]
	s_waitcnt lgkmcnt(0)
	s_barrier
	s_barrier
	s_and_saveexec_b64 s[0:1], s[2:3]
; %bb.790:
	v_lshlrev_b32_e32 v26, 3, v12
	v_lshl_or_b32 v26, v13, 9, v26
	ds_write_b64 v26, v[10:11] offset:11424
; %bb.791:
	s_or_b64 exec, exec, s[0:1]
	s_waitcnt lgkmcnt(0)
	s_barrier
	s_barrier
	s_and_saveexec_b64 s[0:1], s[42:43]
	s_cbranch_execz .LBB135_793
; %bb.792:
	v_lshlrev_b32_e32 v26, 3, v0
	s_movk_i32 s12, 0x1f8
	v_mad_u32_u24 v27, v0, s12, v26
	ds_read_b64 v[10:11], v27 offset:11424
	s_waitcnt lgkmcnt(0)
	ds_write_b64 v26, v[10:11] offset:10416
	ds_read_b64 v[10:11], v27 offset:11432
	s_waitcnt lgkmcnt(0)
	ds_write_b64 v26, v[10:11] offset:10928
.LBB135_793:
	s_or_b64 exec, exec, s[0:1]
	s_waitcnt lgkmcnt(0)
	s_barrier
	s_and_saveexec_b64 s[12:13], vcc
	s_cbranch_execz .LBB135_795
; %bb.794:
	v_mov_b32_e32 v26, 0
	ds_read_b64 v[28:29], v26 offset:10912
	v_mov_b32_e32 v27, 0x3ff00000
	ds_write_b64 v26, v[26:27] offset:10920
	s_waitcnt lgkmcnt(1)
	ds_write_b128 v26, v[26:29] offset:10400
.LBB135_795:
	s_or_b64 exec, exec, s[12:13]
	v_mov_b32_e32 v10, 0
	v_mov_b32_e32 v11, 0
	s_waitcnt lgkmcnt(0)
	s_barrier
	buffer_wbinvl1_vol
	s_and_saveexec_b64 s[14:15], s[18:19]
	s_cbranch_execz .LBB135_801
; %bb.796:
	v_lshlrev_b32_e32 v27, 3, v16
	v_lshlrev_b32_e32 v26, 9, v17
	ds_read_b64 v[10:11], v27 offset:10368
	ds_read_b64 v[28:29], v26 offset:10400
	v_cmp_gt_u32_e64 s[12:13], 12, v15
	s_waitcnt lgkmcnt(0)
	v_fma_f64 v[10:11], v[10:11], v[28:29], 0
	s_and_saveexec_b64 s[0:1], s[12:13]
	s_cbranch_execnz .LBB135_1206
; %bb.797:
	s_or_b64 exec, exec, s[0:1]
	v_cmp_gt_u32_e64 s[12:13], 8, v15
	s_and_saveexec_b64 s[0:1], s[12:13]
	s_cbranch_execnz .LBB135_1207
.LBB135_798:
	s_or_b64 exec, exec, s[0:1]
	v_cmp_gt_u32_e64 s[12:13], 4, v15
	s_and_saveexec_b64 s[0:1], s[12:13]
	s_cbranch_execz .LBB135_800
.LBB135_799:
	v_lshlrev_b32_e32 v26, 3, v0
	v_mov_b32_e32 v28, 0
	ds_read_b64 v[26:27], v26 offset:11904
	ds_read_b64 v[28:29], v28 offset:11960
	s_waitcnt lgkmcnt(0)
	v_fma_f64 v[10:11], v[26:27], v[28:29], v[10:11]
.LBB135_800:
	s_or_b64 exec, exec, s[0:1]
.LBB135_801:
	s_or_b64 exec, exec, s[14:15]
	s_and_saveexec_b64 s[0:1], s[46:47]
; %bb.802:
	v_xor_b32_e32 v27, 0x80000000, v11
	v_mov_b32_e32 v26, v10
	ds_write_b64 v19, v[26:27]
; %bb.803:
	s_or_b64 exec, exec, s[0:1]
	s_waitcnt lgkmcnt(0)
	s_barrier
	s_and_saveexec_b64 s[0:1], s[48:49]
	s_cbranch_execz .LBB135_805
; %bb.804:
	v_lshlrev_b32_e32 v26, 3, v16
	ds_read_b64 v[26:27], v26 offset:9856
	ds_read_b64 v[28:29], v19
	s_waitcnt lgkmcnt(0)
	v_fma_f64 v[10:11], -v[26:27], v[28:29], v[10:11]
.LBB135_805:
	s_or_b64 exec, exec, s[0:1]
	s_barrier
	s_and_saveexec_b64 s[0:1], s[50:51]
; %bb.806:
	v_xor_b32_e32 v27, 0x80000000, v11
	v_mov_b32_e32 v26, v10
	ds_write_b64 v19, v[26:27]
; %bb.807:
	s_or_b64 exec, exec, s[0:1]
	s_waitcnt lgkmcnt(0)
	s_barrier
	s_and_saveexec_b64 s[0:1], s[52:53]
	s_cbranch_execz .LBB135_809
; %bb.808:
	v_lshlrev_b32_e32 v26, 3, v16
	ds_read_b64 v[26:27], v26 offset:9344
	ds_read_b64 v[28:29], v19
	s_waitcnt lgkmcnt(0)
	v_fma_f64 v[10:11], -v[26:27], v[28:29], v[10:11]
.LBB135_809:
	s_or_b64 exec, exec, s[0:1]
	s_barrier
	s_and_saveexec_b64 s[0:1], s[54:55]
; %bb.810:
	v_xor_b32_e32 v27, 0x80000000, v11
	v_mov_b32_e32 v26, v10
	ds_write_b64 v19, v[26:27]
; %bb.811:
	s_or_b64 exec, exec, s[0:1]
	s_waitcnt lgkmcnt(0)
	s_barrier
	s_and_saveexec_b64 s[0:1], s[44:45]
	s_cbranch_execz .LBB135_813
; %bb.812:
	v_mov_b32_e32 v26, 0
	ds_read_b64 v[26:27], v26 offset:8832
	ds_read_b64 v[28:29], v19
	s_waitcnt lgkmcnt(0)
	v_fma_f64 v[10:11], -v[26:27], v[28:29], v[10:11]
.LBB135_813:
	s_or_b64 exec, exec, s[0:1]
	s_barrier
	s_and_saveexec_b64 s[0:1], s[44:45]
; %bb.814:
	v_xor_b32_e32 v27, 0x80000000, v11
	v_mov_b32_e32 v26, v10
	ds_write_b64 v19, v[26:27]
; %bb.815:
	s_or_b64 exec, exec, s[0:1]
	s_waitcnt lgkmcnt(0)
	s_barrier
	s_barrier
	s_and_saveexec_b64 s[0:1], s[18:19]
; %bb.816:
	v_lshlrev_b32_e32 v26, 3, v16
	v_lshl_or_b32 v26, v17, 9, v26
	ds_write_b64 v26, v[10:11] offset:10368
; %bb.817:
	s_or_b64 exec, exec, s[0:1]
	s_waitcnt lgkmcnt(0)
	s_barrier
	s_barrier
	s_and_saveexec_b64 s[12:13], s[56:57]
	s_cbranch_execz .LBB135_819
; %bb.818:
	v_lshlrev_b32_e32 v26, 9, v0
	ds_read_b64 v[10:11], v26 offset:10368
	s_movk_i32 s0, 0xfe08
	v_mad_i32_i24 v27, v0, s0, v26
	s_waitcnt lgkmcnt(0)
	ds_write_b64 v27, v[10:11] offset:8352
	ds_read_b64 v[10:11], v26 offset:10376
	s_waitcnt lgkmcnt(0)
	ds_write_b64 v27, v[10:11] offset:8864
	ds_read_b64 v[10:11], v26 offset:10384
	;; [unrolled: 3-line block ×3, first 2 shown]
	s_waitcnt lgkmcnt(0)
	ds_write_b64 v27, v[10:11] offset:9888
.LBB135_819:
	s_or_b64 exec, exec, s[12:13]
	s_waitcnt lgkmcnt(0)
	s_barrier
	s_and_saveexec_b64 s[12:13], vcc
	s_cbranch_execz .LBB135_821
; %bb.820:
	v_mov_b32_e32 v26, 0
	ds_read_b64 v[28:29], v26 offset:9872
	v_mov_b32_e32 v27, 0x3ff00000
	ds_write_b64 v26, v[26:27] offset:9880
	s_waitcnt lgkmcnt(1)
	ds_write_b128 v26, v[26:29] offset:9360
.LBB135_821:
	s_or_b64 exec, exec, s[12:13]
	v_mov_b32_e32 v10, 0
	v_mov_b32_e32 v11, 0
	s_waitcnt lgkmcnt(0)
	s_barrier
	buffer_wbinvl1_vol
	s_and_saveexec_b64 s[14:15], s[2:3]
	s_cbranch_execz .LBB135_825
; %bb.822:
	v_lshlrev_b32_e32 v26, 9, v13
	v_lshlrev_b32_e32 v10, 3, v12
	ds_read_b64 v[10:11], v10 offset:9344
	ds_read_b64 v[26:27], v26 offset:9360
	v_cmp_gt_u32_e64 s[12:13], 2, v15
	s_waitcnt lgkmcnt(0)
	v_fma_f64 v[10:11], v[10:11], v[26:27], 0
	s_and_saveexec_b64 s[0:1], s[12:13]
	s_cbranch_execz .LBB135_824
; %bb.823:
	v_lshlrev_b32_e32 v26, 3, v0
	v_mov_b32_e32 v28, 0
	ds_read_b64 v[26:27], v26 offset:9856
	ds_read_b64 v[28:29], v28 offset:9880
	s_waitcnt lgkmcnt(0)
	v_fma_f64 v[10:11], v[26:27], v[28:29], v[10:11]
.LBB135_824:
	s_or_b64 exec, exec, s[0:1]
.LBB135_825:
	s_or_b64 exec, exec, s[14:15]
	s_and_saveexec_b64 s[0:1], s[40:41]
; %bb.826:
	v_xor_b32_e32 v27, 0x80000000, v11
	v_mov_b32_e32 v26, v10
	ds_write_b64 v14, v[26:27]
; %bb.827:
	s_or_b64 exec, exec, s[0:1]
	s_waitcnt lgkmcnt(0)
	s_barrier
	s_and_saveexec_b64 s[0:1], s[38:39]
	s_cbranch_execz .LBB135_829
; %bb.828:
	v_mov_b32_e32 v26, 0
	ds_read_b64 v[26:27], v26 offset:8832
	ds_read_b64 v[28:29], v14
	s_waitcnt lgkmcnt(0)
	v_fma_f64 v[10:11], -v[26:27], v[28:29], v[10:11]
.LBB135_829:
	s_or_b64 exec, exec, s[0:1]
	s_barrier
	s_and_saveexec_b64 s[0:1], s[38:39]
; %bb.830:
	v_xor_b32_e32 v27, 0x80000000, v11
	v_mov_b32_e32 v26, v10
	ds_write_b64 v14, v[26:27]
; %bb.831:
	s_or_b64 exec, exec, s[0:1]
	s_waitcnt lgkmcnt(0)
	s_barrier
	s_barrier
	s_and_saveexec_b64 s[0:1], s[2:3]
; %bb.832:
	v_lshlrev_b32_e32 v26, 3, v12
	v_lshl_or_b32 v26, v13, 9, v26
	ds_write_b64 v26, v[10:11] offset:9344
; %bb.833:
	s_or_b64 exec, exec, s[0:1]
	s_waitcnt lgkmcnt(0)
	s_barrier
	s_barrier
	s_and_saveexec_b64 s[0:1], s[42:43]
	s_cbranch_execz .LBB135_835
; %bb.834:
	v_lshlrev_b32_e32 v26, 3, v0
	s_movk_i32 s12, 0x1f8
	v_mad_u32_u24 v27, v0, s12, v26
	ds_read_b64 v[10:11], v27 offset:9344
	s_waitcnt lgkmcnt(0)
	ds_write_b64 v26, v[10:11] offset:8336
	ds_read_b64 v[10:11], v27 offset:9352
	s_waitcnt lgkmcnt(0)
	ds_write_b64 v26, v[10:11] offset:8848
.LBB135_835:
	s_or_b64 exec, exec, s[0:1]
	s_waitcnt lgkmcnt(0)
	s_barrier
	s_and_saveexec_b64 s[12:13], vcc
	s_cbranch_execz .LBB135_837
; %bb.836:
	v_mov_b32_e32 v26, 0
	ds_read_b64 v[28:29], v26 offset:8832
	v_mov_b32_e32 v27, 0x3ff00000
	ds_write_b64 v26, v[26:27] offset:8840
	s_waitcnt lgkmcnt(1)
	ds_write_b128 v26, v[26:29] offset:8320
.LBB135_837:
	s_or_b64 exec, exec, s[12:13]
	v_mov_b32_e32 v10, 0
	v_mov_b32_e32 v11, 0
	s_waitcnt lgkmcnt(0)
	s_barrier
	buffer_wbinvl1_vol
	s_and_saveexec_b64 s[14:15], s[10:11]
	s_cbranch_execz .LBB135_865
; %bb.838:
	v_lshlrev_b32_e32 v27, 3, v23
	v_lshlrev_b32_e32 v26, 9, v24
	ds_read_b64 v[10:11], v27 offset:8192
	ds_read_b64 v[28:29], v26 offset:8320
	s_movk_i32 s0, 0xf0
	v_cmp_gt_u32_e64 s[12:13], s0, v15
	s_waitcnt lgkmcnt(0)
	v_fma_f64 v[10:11], v[10:11], v[28:29], 0
	s_and_saveexec_b64 s[0:1], s[12:13]
	s_cbranch_execz .LBB135_840
; %bb.839:
	ds_read_b64 v[28:29], v27 offset:8704
	ds_read_b64 v[30:31], v26 offset:8328
	s_waitcnt lgkmcnt(0)
	v_fma_f64 v[10:11], v[28:29], v[30:31], v[10:11]
.LBB135_840:
	s_or_b64 exec, exec, s[0:1]
	s_movk_i32 s0, 0xe0
	v_cmp_gt_u32_e64 s[12:13], s0, v15
	s_and_saveexec_b64 s[0:1], s[12:13]
	s_cbranch_execz .LBB135_842
; %bb.841:
	ds_read_b64 v[28:29], v27 offset:9216
	ds_read_b64 v[30:31], v26 offset:8336
	s_waitcnt lgkmcnt(0)
	v_fma_f64 v[10:11], v[28:29], v[30:31], v[10:11]
.LBB135_842:
	s_or_b64 exec, exec, s[0:1]
	s_movk_i32 s0, 0xd0
	v_cmp_gt_u32_e64 s[12:13], s0, v15
	;; [unrolled: 11-line block ×10, first 2 shown]
	s_and_saveexec_b64 s[0:1], s[12:13]
	s_cbranch_execnz .LBB135_1208
; %bb.859:
	s_or_b64 exec, exec, s[0:1]
	s_and_saveexec_b64 s[0:1], s[8:9]
	s_cbranch_execnz .LBB135_1209
.LBB135_860:
	s_or_b64 exec, exec, s[0:1]
	v_cmp_gt_u32_e64 s[12:13], 48, v15
	s_and_saveexec_b64 s[0:1], s[12:13]
	s_cbranch_execnz .LBB135_1210
.LBB135_861:
	s_or_b64 exec, exec, s[0:1]
	v_cmp_gt_u32_e64 s[12:13], 32, v15
	s_and_saveexec_b64 s[0:1], s[12:13]
	s_cbranch_execnz .LBB135_1211
.LBB135_862:
	s_or_b64 exec, exec, s[0:1]
	v_cmp_gt_u32_e64 s[12:13], 16, v15
	s_and_saveexec_b64 s[0:1], s[12:13]
	s_cbranch_execz .LBB135_864
.LBB135_863:
	v_lshlrev_b32_e32 v26, 3, v0
	v_mov_b32_e32 v28, 0
	ds_read_b64 v[26:27], v26 offset:15872
	ds_read_b64 v[28:29], v28 offset:16120
	s_waitcnt lgkmcnt(0)
	v_fma_f64 v[10:11], v[26:27], v[28:29], v[10:11]
.LBB135_864:
	s_or_b64 exec, exec, s[0:1]
.LBB135_865:
	s_or_b64 exec, exec, s[14:15]
	s_mov_b64 s[0:1], exec
	v_readlane_b32 s12, v35, 2
	v_readlane_b32 s13, v35, 3
	s_and_b64 s[12:13], s[0:1], s[12:13]
	s_mov_b64 exec, s[12:13]
; %bb.866:
	v_xor_b32_e32 v27, 0x80000000, v11
	v_mov_b32_e32 v26, v10
	ds_write_b64 v25, v[26:27]
; %bb.867:
	s_or_b64 exec, exec, s[0:1]
	s_waitcnt lgkmcnt(0)
	s_barrier
	s_mov_b64 s[0:1], exec
	v_readlane_b32 s12, v35, 4
	v_readlane_b32 s13, v35, 5
	s_and_b64 s[12:13], s[0:1], s[12:13]
	s_mov_b64 exec, s[12:13]
	s_cbranch_execz .LBB135_869
; %bb.868:
	v_lshlrev_b32_e32 v26, 3, v23
	ds_read_b64 v[26:27], v26 offset:7680
	ds_read_b64 v[28:29], v25
	s_waitcnt lgkmcnt(0)
	v_fma_f64 v[10:11], -v[26:27], v[28:29], v[10:11]
.LBB135_869:
	s_or_b64 exec, exec, s[0:1]
	s_barrier
	s_mov_b64 s[0:1], exec
	v_readlane_b32 s12, v35, 6
	v_readlane_b32 s13, v35, 7
	s_and_b64 s[12:13], s[0:1], s[12:13]
	s_mov_b64 exec, s[12:13]
; %bb.870:
	v_xor_b32_e32 v27, 0x80000000, v11
	v_mov_b32_e32 v26, v10
	ds_write_b64 v25, v[26:27]
; %bb.871:
	s_or_b64 exec, exec, s[0:1]
	s_waitcnt lgkmcnt(0)
	s_barrier
	s_mov_b64 s[0:1], exec
	v_readlane_b32 s12, v35, 8
	v_readlane_b32 s13, v35, 9
	s_and_b64 s[12:13], s[0:1], s[12:13]
	s_mov_b64 exec, s[12:13]
	s_cbranch_execz .LBB135_873
; %bb.872:
	v_lshlrev_b32_e32 v26, 3, v23
	ds_read_b64 v[26:27], v26 offset:7168
	ds_read_b64 v[28:29], v25
	s_waitcnt lgkmcnt(0)
	v_fma_f64 v[10:11], -v[26:27], v[28:29], v[10:11]
.LBB135_873:
	s_or_b64 exec, exec, s[0:1]
	s_barrier
	s_mov_b64 s[0:1], exec
	v_readlane_b32 s12, v35, 10
	v_readlane_b32 s13, v35, 11
	s_and_b64 s[12:13], s[0:1], s[12:13]
	s_mov_b64 exec, s[12:13]
; %bb.874:
	v_xor_b32_e32 v27, 0x80000000, v11
	v_mov_b32_e32 v26, v10
	ds_write_b64 v25, v[26:27]
; %bb.875:
	s_or_b64 exec, exec, s[0:1]
	s_waitcnt lgkmcnt(0)
	s_barrier
	s_mov_b64 s[0:1], exec
	v_readlane_b32 s12, v35, 12
	v_readlane_b32 s13, v35, 13
	s_and_b64 s[12:13], s[0:1], s[12:13]
	s_mov_b64 exec, s[12:13]
	s_cbranch_execz .LBB135_877
; %bb.876:
	v_lshlrev_b32_e32 v26, 3, v23
	ds_read_b64 v[26:27], v26 offset:6656
	ds_read_b64 v[28:29], v25
	s_waitcnt lgkmcnt(0)
	v_fma_f64 v[10:11], -v[26:27], v[28:29], v[10:11]
.LBB135_877:
	s_or_b64 exec, exec, s[0:1]
	s_barrier
	s_mov_b64 s[0:1], exec
	v_readlane_b32 s12, v35, 14
	v_readlane_b32 s13, v35, 15
	s_and_b64 s[12:13], s[0:1], s[12:13]
	s_mov_b64 exec, s[12:13]
; %bb.878:
	v_xor_b32_e32 v27, 0x80000000, v11
	v_mov_b32_e32 v26, v10
	ds_write_b64 v25, v[26:27]
; %bb.879:
	s_or_b64 exec, exec, s[0:1]
	s_waitcnt lgkmcnt(0)
	s_barrier
	s_mov_b64 s[0:1], exec
	v_readlane_b32 s12, v35, 16
	v_readlane_b32 s13, v35, 17
	s_and_b64 s[12:13], s[0:1], s[12:13]
	s_mov_b64 exec, s[12:13]
	s_cbranch_execz .LBB135_881
; %bb.880:
	v_lshlrev_b32_e32 v26, 3, v23
	ds_read_b64 v[26:27], v26 offset:6144
	ds_read_b64 v[28:29], v25
	s_waitcnt lgkmcnt(0)
	v_fma_f64 v[10:11], -v[26:27], v[28:29], v[10:11]
.LBB135_881:
	s_or_b64 exec, exec, s[0:1]
	s_barrier
	s_mov_b64 s[0:1], exec
	v_readlane_b32 s12, v35, 18
	v_readlane_b32 s13, v35, 19
	s_and_b64 s[12:13], s[0:1], s[12:13]
	s_mov_b64 exec, s[12:13]
; %bb.882:
	v_xor_b32_e32 v27, 0x80000000, v11
	v_mov_b32_e32 v26, v10
	ds_write_b64 v25, v[26:27]
; %bb.883:
	s_or_b64 exec, exec, s[0:1]
	s_waitcnt lgkmcnt(0)
	s_barrier
	s_mov_b64 s[0:1], exec
	v_readlane_b32 s12, v35, 20
	v_readlane_b32 s13, v35, 21
	s_and_b64 s[12:13], s[0:1], s[12:13]
	s_mov_b64 exec, s[12:13]
	s_cbranch_execz .LBB135_885
; %bb.884:
	v_lshlrev_b32_e32 v26, 3, v23
	ds_read_b64 v[26:27], v26 offset:5632
	ds_read_b64 v[28:29], v25
	s_waitcnt lgkmcnt(0)
	v_fma_f64 v[10:11], -v[26:27], v[28:29], v[10:11]
.LBB135_885:
	s_or_b64 exec, exec, s[0:1]
	s_barrier
	s_mov_b64 s[0:1], exec
	v_readlane_b32 s12, v35, 22
	v_readlane_b32 s13, v35, 23
	s_and_b64 s[12:13], s[0:1], s[12:13]
	s_mov_b64 exec, s[12:13]
; %bb.886:
	v_xor_b32_e32 v27, 0x80000000, v11
	v_mov_b32_e32 v26, v10
	ds_write_b64 v25, v[26:27]
; %bb.887:
	s_or_b64 exec, exec, s[0:1]
	s_waitcnt lgkmcnt(0)
	s_barrier
	s_mov_b64 s[0:1], exec
	v_readlane_b32 s12, v35, 24
	v_readlane_b32 s13, v35, 25
	s_and_b64 s[12:13], s[0:1], s[12:13]
	s_mov_b64 exec, s[12:13]
	s_cbranch_execz .LBB135_889
; %bb.888:
	v_lshlrev_b32_e32 v26, 3, v23
	ds_read_b64 v[26:27], v26 offset:5120
	ds_read_b64 v[28:29], v25
	s_waitcnt lgkmcnt(0)
	v_fma_f64 v[10:11], -v[26:27], v[28:29], v[10:11]
.LBB135_889:
	s_or_b64 exec, exec, s[0:1]
	s_barrier
	s_mov_b64 s[0:1], exec
	v_readlane_b32 s12, v35, 26
	v_readlane_b32 s13, v35, 27
	s_and_b64 s[12:13], s[0:1], s[12:13]
	s_mov_b64 exec, s[12:13]
; %bb.890:
	v_xor_b32_e32 v27, 0x80000000, v11
	v_mov_b32_e32 v26, v10
	ds_write_b64 v25, v[26:27]
; %bb.891:
	s_or_b64 exec, exec, s[0:1]
	s_waitcnt lgkmcnt(0)
	s_barrier
	s_mov_b64 s[0:1], exec
	v_readlane_b32 s12, v35, 28
	v_readlane_b32 s13, v35, 29
	s_and_b64 s[12:13], s[0:1], s[12:13]
	s_mov_b64 exec, s[12:13]
	s_cbranch_execz .LBB135_893
; %bb.892:
	v_lshlrev_b32_e32 v26, 3, v23
	ds_read_b64 v[26:27], v26 offset:4608
	ds_read_b64 v[28:29], v25
	s_waitcnt lgkmcnt(0)
	v_fma_f64 v[10:11], -v[26:27], v[28:29], v[10:11]
.LBB135_893:
	s_or_b64 exec, exec, s[0:1]
	s_barrier
	s_mov_b64 s[0:1], exec
	v_readlane_b32 s12, v35, 30
	v_readlane_b32 s13, v35, 31
	s_and_b64 s[12:13], s[0:1], s[12:13]
	s_mov_b64 exec, s[12:13]
; %bb.894:
	v_xor_b32_e32 v27, 0x80000000, v11
	v_mov_b32_e32 v26, v10
	ds_write_b64 v25, v[26:27]
; %bb.895:
	s_or_b64 exec, exec, s[0:1]
	s_waitcnt lgkmcnt(0)
	s_barrier
	s_mov_b64 s[0:1], exec
	v_readlane_b32 s12, v35, 32
	v_readlane_b32 s13, v35, 33
	s_and_b64 s[12:13], s[0:1], s[12:13]
	s_mov_b64 exec, s[12:13]
	s_cbranch_execz .LBB135_897
; %bb.896:
	v_lshlrev_b32_e32 v26, 3, v23
	ds_read_b64 v[26:27], v26 offset:4096
	ds_read_b64 v[28:29], v25
	s_waitcnt lgkmcnt(0)
	v_fma_f64 v[10:11], -v[26:27], v[28:29], v[10:11]
.LBB135_897:
	s_or_b64 exec, exec, s[0:1]
	s_barrier
	s_mov_b64 s[0:1], exec
	v_readlane_b32 s12, v35, 34
	v_readlane_b32 s13, v35, 35
	s_and_b64 s[12:13], s[0:1], s[12:13]
	s_mov_b64 exec, s[12:13]
; %bb.898:
	v_xor_b32_e32 v27, 0x80000000, v11
	v_mov_b32_e32 v26, v10
	ds_write_b64 v25, v[26:27]
; %bb.899:
	s_or_b64 exec, exec, s[0:1]
	s_waitcnt lgkmcnt(0)
	s_barrier
	s_mov_b64 s[0:1], exec
	v_readlane_b32 s12, v35, 36
	v_readlane_b32 s13, v35, 37
	s_and_b64 s[12:13], s[0:1], s[12:13]
	s_mov_b64 exec, s[12:13]
	s_cbranch_execz .LBB135_901
; %bb.900:
	v_lshlrev_b32_e32 v26, 3, v23
	ds_read_b64 v[26:27], v26 offset:3584
	ds_read_b64 v[28:29], v25
	s_waitcnt lgkmcnt(0)
	v_fma_f64 v[10:11], -v[26:27], v[28:29], v[10:11]
.LBB135_901:
	s_or_b64 exec, exec, s[0:1]
	s_barrier
	s_mov_b64 s[0:1], exec
	v_readlane_b32 s12, v35, 38
	v_readlane_b32 s13, v35, 39
	s_and_b64 s[12:13], s[0:1], s[12:13]
	s_mov_b64 exec, s[12:13]
; %bb.902:
	v_xor_b32_e32 v27, 0x80000000, v11
	v_mov_b32_e32 v26, v10
	ds_write_b64 v25, v[26:27]
; %bb.903:
	s_or_b64 exec, exec, s[0:1]
	s_waitcnt lgkmcnt(0)
	s_barrier
	s_mov_b64 s[0:1], exec
	v_readlane_b32 s12, v35, 40
	v_readlane_b32 s13, v35, 41
	s_and_b64 s[12:13], s[0:1], s[12:13]
	s_mov_b64 exec, s[12:13]
	s_cbranch_execz .LBB135_905
; %bb.904:
	v_lshlrev_b32_e32 v26, 3, v23
	ds_read_b64 v[26:27], v26 offset:3072
	ds_read_b64 v[28:29], v25
	s_waitcnt lgkmcnt(0)
	v_fma_f64 v[10:11], -v[26:27], v[28:29], v[10:11]
.LBB135_905:
	s_or_b64 exec, exec, s[0:1]
	s_barrier
	s_mov_b64 s[0:1], exec
	v_readlane_b32 s12, v35, 42
	v_readlane_b32 s13, v35, 43
	s_and_b64 s[12:13], s[0:1], s[12:13]
	s_mov_b64 exec, s[12:13]
; %bb.906:
	v_xor_b32_e32 v27, 0x80000000, v11
	v_mov_b32_e32 v26, v10
	ds_write_b64 v25, v[26:27]
; %bb.907:
	s_or_b64 exec, exec, s[0:1]
	s_waitcnt lgkmcnt(0)
	s_barrier
	s_mov_b64 s[0:1], exec
	v_readlane_b32 s12, v35, 44
	v_readlane_b32 s13, v35, 45
	s_and_b64 s[12:13], s[0:1], s[12:13]
	s_mov_b64 exec, s[12:13]
	s_cbranch_execz .LBB135_909
; %bb.908:
	v_lshlrev_b32_e32 v26, 3, v23
	ds_read_b64 v[26:27], v26 offset:2560
	ds_read_b64 v[28:29], v25
	s_waitcnt lgkmcnt(0)
	v_fma_f64 v[10:11], -v[26:27], v[28:29], v[10:11]
.LBB135_909:
	s_or_b64 exec, exec, s[0:1]
	s_barrier
	s_mov_b64 s[0:1], exec
	v_readlane_b32 s12, v35, 46
	v_readlane_b32 s13, v35, 47
	s_and_b64 s[12:13], s[0:1], s[12:13]
	s_mov_b64 exec, s[12:13]
; %bb.910:
	v_xor_b32_e32 v27, 0x80000000, v11
	v_mov_b32_e32 v26, v10
	ds_write_b64 v25, v[26:27]
; %bb.911:
	s_or_b64 exec, exec, s[0:1]
	s_waitcnt lgkmcnt(0)
	s_barrier
	s_mov_b64 s[0:1], exec
	v_readlane_b32 s12, v35, 48
	v_readlane_b32 s13, v35, 49
	s_and_b64 s[12:13], s[0:1], s[12:13]
	s_mov_b64 exec, s[12:13]
	s_cbranch_execz .LBB135_913
; %bb.912:
	v_lshlrev_b32_e32 v26, 3, v23
	ds_read_b64 v[26:27], v26 offset:2048
	ds_read_b64 v[28:29], v25
	s_waitcnt lgkmcnt(0)
	v_fma_f64 v[10:11], -v[26:27], v[28:29], v[10:11]
.LBB135_913:
	s_or_b64 exec, exec, s[0:1]
	s_barrier
	s_mov_b64 s[0:1], exec
	v_readlane_b32 s12, v35, 50
	v_readlane_b32 s13, v35, 51
	s_and_b64 s[12:13], s[0:1], s[12:13]
	s_mov_b64 exec, s[12:13]
; %bb.914:
	v_xor_b32_e32 v27, 0x80000000, v11
	v_mov_b32_e32 v26, v10
	ds_write_b64 v25, v[26:27]
; %bb.915:
	s_or_b64 exec, exec, s[0:1]
	s_waitcnt lgkmcnt(0)
	s_barrier
	s_mov_b64 s[0:1], exec
	v_readlane_b32 s12, v35, 52
	v_readlane_b32 s13, v35, 53
	s_and_b64 s[12:13], s[0:1], s[12:13]
	s_mov_b64 exec, s[12:13]
	s_cbranch_execz .LBB135_917
; %bb.916:
	v_lshlrev_b32_e32 v26, 3, v23
	ds_read_b64 v[26:27], v26 offset:1536
	ds_read_b64 v[28:29], v25
	s_waitcnt lgkmcnt(0)
	v_fma_f64 v[10:11], -v[26:27], v[28:29], v[10:11]
.LBB135_917:
	s_or_b64 exec, exec, s[0:1]
	s_barrier
	s_mov_b64 s[0:1], exec
	v_readlane_b32 s12, v35, 54
	v_readlane_b32 s13, v35, 55
	s_and_b64 s[12:13], s[0:1], s[12:13]
	s_mov_b64 exec, s[12:13]
; %bb.918:
	v_xor_b32_e32 v27, 0x80000000, v11
	v_mov_b32_e32 v26, v10
	ds_write_b64 v25, v[26:27]
; %bb.919:
	s_or_b64 exec, exec, s[0:1]
	s_waitcnt lgkmcnt(0)
	s_barrier
	s_mov_b64 s[0:1], exec
	v_readlane_b32 s12, v35, 56
	v_readlane_b32 s13, v35, 57
	s_and_b64 s[12:13], s[0:1], s[12:13]
	s_mov_b64 exec, s[12:13]
	s_cbranch_execz .LBB135_921
; %bb.920:
	v_lshlrev_b32_e32 v26, 3, v23
	ds_read_b64 v[26:27], v26 offset:1024
	ds_read_b64 v[28:29], v25
	s_waitcnt lgkmcnt(0)
	v_fma_f64 v[10:11], -v[26:27], v[28:29], v[10:11]
.LBB135_921:
	s_or_b64 exec, exec, s[0:1]
	s_barrier
	s_mov_b64 s[0:1], exec
	v_readlane_b32 s12, v35, 58
	v_readlane_b32 s13, v35, 59
	s_and_b64 s[12:13], s[0:1], s[12:13]
	s_mov_b64 exec, s[12:13]
; %bb.922:
	v_xor_b32_e32 v27, 0x80000000, v11
	v_mov_b32_e32 v26, v10
	ds_write_b64 v25, v[26:27]
; %bb.923:
	s_or_b64 exec, exec, s[0:1]
	s_waitcnt lgkmcnt(0)
	s_barrier
	s_and_saveexec_b64 s[0:1], s[90:91]
	s_cbranch_execz .LBB135_925
; %bb.924:
	v_mov_b32_e32 v26, 0
	ds_read_b64 v[26:27], v26 offset:512
	ds_read_b64 v[28:29], v25
	s_waitcnt lgkmcnt(0)
	v_fma_f64 v[10:11], -v[26:27], v[28:29], v[10:11]
.LBB135_925:
	s_or_b64 exec, exec, s[0:1]
	s_barrier
	s_and_saveexec_b64 s[0:1], s[90:91]
; %bb.926:
	v_xor_b32_e32 v27, 0x80000000, v11
	v_mov_b32_e32 v26, v10
	ds_write_b64 v25, v[26:27]
; %bb.927:
	s_or_b64 exec, exec, s[0:1]
	s_waitcnt lgkmcnt(0)
	s_barrier
	s_barrier
	s_and_saveexec_b64 s[0:1], s[10:11]
; %bb.928:
	v_lshlrev_b32_e32 v23, 3, v23
	v_lshl_or_b32 v23, v24, 9, v23
	ds_write_b64 v23, v[10:11] offset:8192
; %bb.929:
	s_or_b64 exec, exec, s[0:1]
	s_waitcnt lgkmcnt(0)
	s_barrier
	s_barrier
	s_and_saveexec_b64 s[0:1], s[92:93]
	s_cbranch_execz .LBB135_931
; %bb.930:
	v_lshlrev_b32_e32 v23, 9, v0
	ds_read_b64 v[10:11], v23 offset:8192
	s_movk_i32 s10, 0xfe08
	v_mad_i32_i24 v24, v0, s10, v23
	s_waitcnt lgkmcnt(0)
	ds_write_b64 v24, v[10:11] offset:128
	ds_read_b64 v[10:11], v23 offset:8200
	s_waitcnt lgkmcnt(0)
	ds_write_b64 v24, v[10:11] offset:640
	ds_read_b64 v[10:11], v23 offset:8208
	s_waitcnt lgkmcnt(0)
	ds_write_b64 v24, v[10:11] offset:1152
	ds_read_b64 v[10:11], v23 offset:8216
	s_waitcnt lgkmcnt(0)
	ds_write_b64 v24, v[10:11] offset:1664
	ds_read_b64 v[10:11], v23 offset:8224
	s_waitcnt lgkmcnt(0)
	ds_write_b64 v24, v[10:11] offset:2176
	ds_read_b64 v[10:11], v23 offset:8232
	s_waitcnt lgkmcnt(0)
	ds_write_b64 v24, v[10:11] offset:2688
	ds_read_b64 v[10:11], v23 offset:8240
	s_waitcnt lgkmcnt(0)
	ds_write_b64 v24, v[10:11] offset:3200
	ds_read_b64 v[10:11], v23 offset:8248
	s_waitcnt lgkmcnt(0)
	ds_write_b64 v24, v[10:11] offset:3712
	ds_read_b64 v[10:11], v23 offset:8256
	s_waitcnt lgkmcnt(0)
	ds_write_b64 v24, v[10:11] offset:4224
	ds_read_b64 v[10:11], v23 offset:8264
	s_waitcnt lgkmcnt(0)
	ds_write_b64 v24, v[10:11] offset:4736
	ds_read_b64 v[10:11], v23 offset:8272
	s_waitcnt lgkmcnt(0)
	ds_write_b64 v24, v[10:11] offset:5248
	ds_read_b64 v[10:11], v23 offset:8280
	s_waitcnt lgkmcnt(0)
	ds_write_b64 v24, v[10:11] offset:5760
	ds_read_b64 v[10:11], v23 offset:8288
	s_waitcnt lgkmcnt(0)
	ds_write_b64 v24, v[10:11] offset:6272
	ds_read_b64 v[10:11], v23 offset:8296
	s_waitcnt lgkmcnt(0)
	ds_write_b64 v24, v[10:11] offset:6784
	ds_read_b64 v[10:11], v23 offset:8304
	s_waitcnt lgkmcnt(0)
	ds_write_b64 v24, v[10:11] offset:7296
	ds_read_b64 v[10:11], v23 offset:8312
	s_waitcnt lgkmcnt(0)
	ds_write_b64 v24, v[10:11] offset:7808
.LBB135_931:
	s_or_b64 exec, exec, s[0:1]
	s_waitcnt lgkmcnt(0)
	s_barrier
	s_and_saveexec_b64 s[0:1], vcc
	s_cbranch_execz .LBB135_933
; %bb.932:
	v_mov_b32_e32 v23, 0
	ds_read_b64 v[25:26], v23 offset:7792
	v_mov_b32_e32 v24, 0x3ff00000
	ds_write_b64 v23, v[23:24] offset:7800
	s_waitcnt lgkmcnt(1)
	ds_write_b128 v23, v[23:26] offset:7280
.LBB135_933:
	s_or_b64 exec, exec, s[0:1]
	v_mov_b32_e32 v10, 0
	v_mov_b32_e32 v11, 0
	s_waitcnt lgkmcnt(0)
	s_barrier
	buffer_wbinvl1_vol
	s_and_saveexec_b64 s[0:1], s[2:3]
	s_cbranch_execz .LBB135_937
; %bb.934:
	v_lshlrev_b32_e32 v23, 9, v13
	v_lshlrev_b32_e32 v10, 3, v12
	ds_read_b64 v[10:11], v10 offset:7264
	ds_read_b64 v[23:24], v23 offset:7280
	v_cmp_gt_u32_e64 s[10:11], 2, v15
	s_waitcnt lgkmcnt(0)
	v_fma_f64 v[10:11], v[10:11], v[23:24], 0
	s_and_saveexec_b64 s[12:13], s[10:11]
	s_cbranch_execz .LBB135_936
; %bb.935:
	v_lshlrev_b32_e32 v23, 3, v0
	v_mov_b32_e32 v25, 0
	ds_read_b64 v[23:24], v23 offset:7776
	ds_read_b64 v[25:26], v25 offset:7800
	s_waitcnt lgkmcnt(0)
	v_fma_f64 v[10:11], v[23:24], v[25:26], v[10:11]
.LBB135_936:
	s_or_b64 exec, exec, s[12:13]
.LBB135_937:
	s_or_b64 exec, exec, s[0:1]
	s_and_saveexec_b64 s[0:1], s[40:41]
; %bb.938:
	v_xor_b32_e32 v24, 0x80000000, v11
	v_mov_b32_e32 v23, v10
	ds_write_b64 v14, v[23:24]
; %bb.939:
	s_or_b64 exec, exec, s[0:1]
	s_waitcnt lgkmcnt(0)
	s_barrier
	s_and_saveexec_b64 s[0:1], s[38:39]
	s_cbranch_execz .LBB135_941
; %bb.940:
	v_mov_b32_e32 v23, 0
	ds_read_b64 v[23:24], v23 offset:6752
	ds_read_b64 v[25:26], v14
	s_waitcnt lgkmcnt(0)
	v_fma_f64 v[10:11], -v[23:24], v[25:26], v[10:11]
.LBB135_941:
	s_or_b64 exec, exec, s[0:1]
	s_barrier
	s_and_saveexec_b64 s[0:1], s[38:39]
; %bb.942:
	v_xor_b32_e32 v24, 0x80000000, v11
	v_mov_b32_e32 v23, v10
	ds_write_b64 v14, v[23:24]
; %bb.943:
	s_or_b64 exec, exec, s[0:1]
	s_waitcnt lgkmcnt(0)
	s_barrier
	s_barrier
	s_and_saveexec_b64 s[0:1], s[2:3]
; %bb.944:
	v_lshlrev_b32_e32 v23, 3, v12
	v_lshl_or_b32 v23, v13, 9, v23
	ds_write_b64 v23, v[10:11] offset:7264
; %bb.945:
	s_or_b64 exec, exec, s[0:1]
	s_waitcnt lgkmcnt(0)
	s_barrier
	s_barrier
	s_and_saveexec_b64 s[0:1], s[42:43]
	s_cbranch_execz .LBB135_947
; %bb.946:
	v_lshlrev_b32_e32 v23, 3, v0
	s_movk_i32 s10, 0x1f8
	v_mad_u32_u24 v24, v0, s10, v23
	ds_read_b64 v[10:11], v24 offset:7264
	s_waitcnt lgkmcnt(0)
	ds_write_b64 v23, v[10:11] offset:6256
	ds_read_b64 v[10:11], v24 offset:7272
	s_waitcnt lgkmcnt(0)
	ds_write_b64 v23, v[10:11] offset:6768
.LBB135_947:
	s_or_b64 exec, exec, s[0:1]
	s_waitcnt lgkmcnt(0)
	s_barrier
	s_and_saveexec_b64 s[0:1], vcc
	s_cbranch_execz .LBB135_949
; %bb.948:
	v_mov_b32_e32 v23, 0
	ds_read_b64 v[25:26], v23 offset:6752
	v_mov_b32_e32 v24, 0x3ff00000
	ds_write_b64 v23, v[23:24] offset:6760
	s_waitcnt lgkmcnt(1)
	ds_write_b128 v23, v[23:26] offset:6240
.LBB135_949:
	s_or_b64 exec, exec, s[0:1]
	v_mov_b32_e32 v10, 0
	v_mov_b32_e32 v11, 0
	s_waitcnt lgkmcnt(0)
	s_barrier
	buffer_wbinvl1_vol
	s_and_saveexec_b64 s[0:1], s[18:19]
	s_cbranch_execz .LBB135_955
; %bb.950:
	v_lshlrev_b32_e32 v24, 3, v16
	v_lshlrev_b32_e32 v23, 9, v17
	ds_read_b64 v[10:11], v24 offset:6208
	ds_read_b64 v[25:26], v23 offset:6240
	v_cmp_gt_u32_e64 s[10:11], 12, v15
	s_waitcnt lgkmcnt(0)
	v_fma_f64 v[10:11], v[10:11], v[25:26], 0
	s_and_saveexec_b64 s[12:13], s[10:11]
	s_cbranch_execnz .LBB135_1212
; %bb.951:
	s_or_b64 exec, exec, s[12:13]
	v_cmp_gt_u32_e64 s[10:11], 8, v15
	s_and_saveexec_b64 s[12:13], s[10:11]
	s_cbranch_execnz .LBB135_1213
.LBB135_952:
	s_or_b64 exec, exec, s[12:13]
	v_cmp_gt_u32_e64 s[10:11], 4, v15
	s_and_saveexec_b64 s[12:13], s[10:11]
	s_cbranch_execz .LBB135_954
.LBB135_953:
	v_lshlrev_b32_e32 v23, 3, v0
	v_mov_b32_e32 v25, 0
	ds_read_b64 v[23:24], v23 offset:7744
	ds_read_b64 v[25:26], v25 offset:7800
	s_waitcnt lgkmcnt(0)
	v_fma_f64 v[10:11], v[23:24], v[25:26], v[10:11]
.LBB135_954:
	s_or_b64 exec, exec, s[12:13]
.LBB135_955:
	s_or_b64 exec, exec, s[0:1]
	s_and_saveexec_b64 s[0:1], s[46:47]
; %bb.956:
	v_xor_b32_e32 v24, 0x80000000, v11
	v_mov_b32_e32 v23, v10
	ds_write_b64 v19, v[23:24]
; %bb.957:
	s_or_b64 exec, exec, s[0:1]
	s_waitcnt lgkmcnt(0)
	s_barrier
	s_and_saveexec_b64 s[0:1], s[48:49]
	s_cbranch_execz .LBB135_959
; %bb.958:
	v_lshlrev_b32_e32 v23, 3, v16
	ds_read_b64 v[23:24], v23 offset:5696
	ds_read_b64 v[25:26], v19
	s_waitcnt lgkmcnt(0)
	v_fma_f64 v[10:11], -v[23:24], v[25:26], v[10:11]
.LBB135_959:
	s_or_b64 exec, exec, s[0:1]
	s_barrier
	s_and_saveexec_b64 s[0:1], s[50:51]
; %bb.960:
	v_xor_b32_e32 v24, 0x80000000, v11
	v_mov_b32_e32 v23, v10
	ds_write_b64 v19, v[23:24]
; %bb.961:
	s_or_b64 exec, exec, s[0:1]
	s_waitcnt lgkmcnt(0)
	s_barrier
	s_and_saveexec_b64 s[0:1], s[52:53]
	s_cbranch_execz .LBB135_963
; %bb.962:
	v_lshlrev_b32_e32 v23, 3, v16
	ds_read_b64 v[23:24], v23 offset:5184
	ds_read_b64 v[25:26], v19
	s_waitcnt lgkmcnt(0)
	v_fma_f64 v[10:11], -v[23:24], v[25:26], v[10:11]
.LBB135_963:
	s_or_b64 exec, exec, s[0:1]
	s_barrier
	s_and_saveexec_b64 s[0:1], s[54:55]
; %bb.964:
	v_xor_b32_e32 v24, 0x80000000, v11
	v_mov_b32_e32 v23, v10
	ds_write_b64 v19, v[23:24]
; %bb.965:
	s_or_b64 exec, exec, s[0:1]
	s_waitcnt lgkmcnt(0)
	s_barrier
	s_and_saveexec_b64 s[0:1], s[44:45]
	s_cbranch_execz .LBB135_967
; %bb.966:
	v_mov_b32_e32 v23, 0
	ds_read_b64 v[23:24], v23 offset:4672
	ds_read_b64 v[25:26], v19
	s_waitcnt lgkmcnt(0)
	v_fma_f64 v[10:11], -v[23:24], v[25:26], v[10:11]
.LBB135_967:
	s_or_b64 exec, exec, s[0:1]
	s_barrier
	s_and_saveexec_b64 s[0:1], s[44:45]
; %bb.968:
	v_xor_b32_e32 v24, 0x80000000, v11
	v_mov_b32_e32 v23, v10
	ds_write_b64 v19, v[23:24]
; %bb.969:
	s_or_b64 exec, exec, s[0:1]
	s_waitcnt lgkmcnt(0)
	s_barrier
	s_barrier
	s_and_saveexec_b64 s[0:1], s[18:19]
; %bb.970:
	v_lshlrev_b32_e32 v23, 3, v16
	v_lshl_or_b32 v23, v17, 9, v23
	ds_write_b64 v23, v[10:11] offset:6208
; %bb.971:
	s_or_b64 exec, exec, s[0:1]
	s_waitcnt lgkmcnt(0)
	s_barrier
	s_barrier
	s_and_saveexec_b64 s[0:1], s[56:57]
	s_cbranch_execz .LBB135_973
; %bb.972:
	v_lshlrev_b32_e32 v23, 9, v0
	ds_read_b64 v[10:11], v23 offset:6208
	s_movk_i32 s10, 0xfe08
	v_mad_i32_i24 v24, v0, s10, v23
	s_waitcnt lgkmcnt(0)
	ds_write_b64 v24, v[10:11] offset:4192
	ds_read_b64 v[10:11], v23 offset:6216
	s_waitcnt lgkmcnt(0)
	ds_write_b64 v24, v[10:11] offset:4704
	ds_read_b64 v[10:11], v23 offset:6224
	;; [unrolled: 3-line block ×3, first 2 shown]
	s_waitcnt lgkmcnt(0)
	ds_write_b64 v24, v[10:11] offset:5728
.LBB135_973:
	s_or_b64 exec, exec, s[0:1]
	s_waitcnt lgkmcnt(0)
	s_barrier
	s_and_saveexec_b64 s[0:1], vcc
	s_cbranch_execz .LBB135_975
; %bb.974:
	v_mov_b32_e32 v23, 0
	ds_read_b64 v[25:26], v23 offset:5712
	v_mov_b32_e32 v24, 0x3ff00000
	ds_write_b64 v23, v[23:24] offset:5720
	s_waitcnt lgkmcnt(1)
	ds_write_b128 v23, v[23:26] offset:5200
.LBB135_975:
	s_or_b64 exec, exec, s[0:1]
	v_mov_b32_e32 v10, 0
	v_mov_b32_e32 v11, 0
	s_waitcnt lgkmcnt(0)
	s_barrier
	buffer_wbinvl1_vol
	s_and_saveexec_b64 s[0:1], s[2:3]
	s_cbranch_execz .LBB135_979
; %bb.976:
	v_lshlrev_b32_e32 v23, 9, v13
	v_lshlrev_b32_e32 v10, 3, v12
	ds_read_b64 v[10:11], v10 offset:5184
	ds_read_b64 v[23:24], v23 offset:5200
	v_cmp_gt_u32_e64 s[10:11], 2, v15
	s_waitcnt lgkmcnt(0)
	v_fma_f64 v[10:11], v[10:11], v[23:24], 0
	s_and_saveexec_b64 s[12:13], s[10:11]
	s_cbranch_execz .LBB135_978
; %bb.977:
	v_lshlrev_b32_e32 v23, 3, v0
	v_mov_b32_e32 v25, 0
	ds_read_b64 v[23:24], v23 offset:5696
	ds_read_b64 v[25:26], v25 offset:5720
	s_waitcnt lgkmcnt(0)
	v_fma_f64 v[10:11], v[23:24], v[25:26], v[10:11]
.LBB135_978:
	s_or_b64 exec, exec, s[12:13]
.LBB135_979:
	s_or_b64 exec, exec, s[0:1]
	s_and_saveexec_b64 s[0:1], s[40:41]
; %bb.980:
	v_xor_b32_e32 v24, 0x80000000, v11
	v_mov_b32_e32 v23, v10
	ds_write_b64 v14, v[23:24]
; %bb.981:
	s_or_b64 exec, exec, s[0:1]
	s_waitcnt lgkmcnt(0)
	s_barrier
	s_and_saveexec_b64 s[0:1], s[38:39]
	s_cbranch_execz .LBB135_983
; %bb.982:
	v_mov_b32_e32 v23, 0
	ds_read_b64 v[23:24], v23 offset:4672
	ds_read_b64 v[25:26], v14
	s_waitcnt lgkmcnt(0)
	v_fma_f64 v[10:11], -v[23:24], v[25:26], v[10:11]
.LBB135_983:
	s_or_b64 exec, exec, s[0:1]
	s_barrier
	s_and_saveexec_b64 s[0:1], s[38:39]
; %bb.984:
	v_xor_b32_e32 v24, 0x80000000, v11
	v_mov_b32_e32 v23, v10
	ds_write_b64 v14, v[23:24]
; %bb.985:
	s_or_b64 exec, exec, s[0:1]
	s_waitcnt lgkmcnt(0)
	s_barrier
	s_barrier
	s_and_saveexec_b64 s[0:1], s[2:3]
; %bb.986:
	v_lshlrev_b32_e32 v23, 3, v12
	v_lshl_or_b32 v23, v13, 9, v23
	ds_write_b64 v23, v[10:11] offset:5184
; %bb.987:
	s_or_b64 exec, exec, s[0:1]
	s_waitcnt lgkmcnt(0)
	s_barrier
	s_barrier
	s_and_saveexec_b64 s[0:1], s[42:43]
	s_cbranch_execz .LBB135_989
; %bb.988:
	v_lshlrev_b32_e32 v23, 3, v0
	s_movk_i32 s10, 0x1f8
	v_mad_u32_u24 v24, v0, s10, v23
	ds_read_b64 v[10:11], v24 offset:5184
	s_waitcnt lgkmcnt(0)
	ds_write_b64 v23, v[10:11] offset:4176
	ds_read_b64 v[10:11], v24 offset:5192
	s_waitcnt lgkmcnt(0)
	ds_write_b64 v23, v[10:11] offset:4688
.LBB135_989:
	s_or_b64 exec, exec, s[0:1]
	s_waitcnt lgkmcnt(0)
	s_barrier
	s_and_saveexec_b64 s[0:1], vcc
	s_cbranch_execz .LBB135_991
; %bb.990:
	v_mov_b32_e32 v23, 0
	ds_read_b64 v[25:26], v23 offset:4672
	v_mov_b32_e32 v24, 0x3ff00000
	ds_write_b64 v23, v[23:24] offset:4680
	s_waitcnt lgkmcnt(1)
	ds_write_b128 v23, v[23:26] offset:4160
.LBB135_991:
	s_or_b64 exec, exec, s[0:1]
	v_mov_b32_e32 v10, 0
	v_mov_b32_e32 v11, 0
	s_waitcnt lgkmcnt(0)
	s_barrier
	buffer_wbinvl1_vol
	s_and_saveexec_b64 s[0:1], s[8:9]
	s_cbranch_execz .LBB135_1001
; %bb.992:
	v_lshlrev_b32_e32 v24, 3, v20
	v_lshlrev_b32_e32 v23, 9, v21
	ds_read_b64 v[10:11], v24 offset:4096
	ds_read_b64 v[25:26], v23 offset:4160
	v_cmp_gt_u32_e64 s[10:11], 56, v15
	s_waitcnt lgkmcnt(0)
	v_fma_f64 v[10:11], v[10:11], v[25:26], 0
	s_and_saveexec_b64 s[12:13], s[10:11]
	s_cbranch_execnz .LBB135_1214
; %bb.993:
	s_or_b64 exec, exec, s[12:13]
	v_cmp_gt_u32_e64 s[10:11], 48, v15
	s_and_saveexec_b64 s[12:13], s[10:11]
	s_cbranch_execnz .LBB135_1215
.LBB135_994:
	s_or_b64 exec, exec, s[12:13]
	v_cmp_gt_u32_e64 s[10:11], 40, v15
	s_and_saveexec_b64 s[12:13], s[10:11]
	s_cbranch_execnz .LBB135_1216
.LBB135_995:
	s_or_b64 exec, exec, s[12:13]
	v_cmp_gt_u32_e64 s[10:11], 32, v15
	s_and_saveexec_b64 s[12:13], s[10:11]
	s_cbranch_execnz .LBB135_1217
.LBB135_996:
	s_or_b64 exec, exec, s[12:13]
	v_cmp_gt_u32_e64 s[10:11], 24, v15
	s_and_saveexec_b64 s[12:13], s[10:11]
	s_cbranch_execnz .LBB135_1218
.LBB135_997:
	s_or_b64 exec, exec, s[12:13]
	s_and_saveexec_b64 s[10:11], s[18:19]
	s_cbranch_execnz .LBB135_1219
.LBB135_998:
	s_or_b64 exec, exec, s[10:11]
	v_cmp_gt_u32_e64 s[10:11], 8, v15
	s_and_saveexec_b64 s[12:13], s[10:11]
	s_cbranch_execz .LBB135_1000
.LBB135_999:
	v_lshlrev_b32_e32 v23, 3, v0
	v_mov_b32_e32 v25, 0
	ds_read_b64 v[23:24], v23 offset:7680
	ds_read_b64 v[25:26], v25 offset:7800
	s_waitcnt lgkmcnt(0)
	v_fma_f64 v[10:11], v[23:24], v[25:26], v[10:11]
.LBB135_1000:
	s_or_b64 exec, exec, s[12:13]
.LBB135_1001:
	s_or_b64 exec, exec, s[0:1]
	s_and_saveexec_b64 s[0:1], s[58:59]
; %bb.1002:
	v_xor_b32_e32 v24, 0x80000000, v11
	v_mov_b32_e32 v23, v10
	ds_write_b64 v22, v[23:24]
; %bb.1003:
	s_or_b64 exec, exec, s[0:1]
	s_waitcnt lgkmcnt(0)
	s_barrier
	s_and_saveexec_b64 s[0:1], s[60:61]
	s_cbranch_execz .LBB135_1005
; %bb.1004:
	v_lshlrev_b32_e32 v23, 3, v20
	ds_read_b64 v[23:24], v23 offset:3584
	ds_read_b64 v[25:26], v22
	s_waitcnt lgkmcnt(0)
	v_fma_f64 v[10:11], -v[23:24], v[25:26], v[10:11]
.LBB135_1005:
	s_or_b64 exec, exec, s[0:1]
	s_barrier
	s_and_saveexec_b64 s[0:1], s[62:63]
; %bb.1006:
	v_xor_b32_e32 v24, 0x80000000, v11
	v_mov_b32_e32 v23, v10
	ds_write_b64 v22, v[23:24]
; %bb.1007:
	s_or_b64 exec, exec, s[0:1]
	s_waitcnt lgkmcnt(0)
	s_barrier
	s_and_saveexec_b64 s[0:1], s[64:65]
	s_cbranch_execz .LBB135_1009
; %bb.1008:
	v_lshlrev_b32_e32 v23, 3, v20
	ds_read_b64 v[23:24], v23 offset:3072
	ds_read_b64 v[25:26], v22
	s_waitcnt lgkmcnt(0)
	v_fma_f64 v[10:11], -v[23:24], v[25:26], v[10:11]
.LBB135_1009:
	s_or_b64 exec, exec, s[0:1]
	s_barrier
	;; [unrolled: 20-line block ×6, first 2 shown]
	s_and_saveexec_b64 s[0:1], s[84:85]
; %bb.1026:
	v_xor_b32_e32 v24, 0x80000000, v11
	v_mov_b32_e32 v23, v10
	ds_write_b64 v22, v[23:24]
; %bb.1027:
	s_or_b64 exec, exec, s[0:1]
	s_waitcnt lgkmcnt(0)
	s_barrier
	s_and_saveexec_b64 s[0:1], s[68:69]
	s_cbranch_execz .LBB135_1029
; %bb.1028:
	v_mov_b32_e32 v23, 0
	ds_read_b64 v[23:24], v23 offset:512
	ds_read_b64 v[25:26], v22
	s_waitcnt lgkmcnt(0)
	v_fma_f64 v[10:11], -v[23:24], v[25:26], v[10:11]
.LBB135_1029:
	s_or_b64 exec, exec, s[0:1]
	s_barrier
	s_and_saveexec_b64 s[0:1], s[68:69]
; %bb.1030:
	v_xor_b32_e32 v24, 0x80000000, v11
	v_mov_b32_e32 v23, v10
	ds_write_b64 v22, v[23:24]
; %bb.1031:
	s_or_b64 exec, exec, s[0:1]
	s_waitcnt lgkmcnt(0)
	s_barrier
	s_barrier
	s_and_saveexec_b64 s[0:1], s[8:9]
; %bb.1032:
	v_lshlrev_b32_e32 v20, 3, v20
	v_lshl_or_b32 v20, v21, 9, v20
	ds_write_b64 v20, v[10:11] offset:4096
; %bb.1033:
	s_or_b64 exec, exec, s[0:1]
	s_waitcnt lgkmcnt(0)
	s_barrier
	s_barrier
	s_and_saveexec_b64 s[0:1], s[86:87]
	s_cbranch_execz .LBB135_1035
; %bb.1034:
	v_lshlrev_b32_e32 v20, 9, v0
	ds_read_b64 v[10:11], v20 offset:4096
	s_movk_i32 s8, 0xfe08
	v_mad_i32_i24 v21, v0, s8, v20
	s_waitcnt lgkmcnt(0)
	ds_write_b64 v21, v[10:11] offset:64
	ds_read_b64 v[10:11], v20 offset:4104
	s_waitcnt lgkmcnt(0)
	ds_write_b64 v21, v[10:11] offset:576
	ds_read_b64 v[10:11], v20 offset:4112
	;; [unrolled: 3-line block ×7, first 2 shown]
	s_waitcnt lgkmcnt(0)
	ds_write_b64 v21, v[10:11] offset:3648
.LBB135_1035:
	s_or_b64 exec, exec, s[0:1]
	s_waitcnt lgkmcnt(0)
	s_barrier
	s_and_saveexec_b64 s[0:1], vcc
	s_cbranch_execz .LBB135_1037
; %bb.1036:
	v_mov_b32_e32 v20, 0
	ds_read_b64 v[22:23], v20 offset:3632
	v_mov_b32_e32 v21, 0x3ff00000
	ds_write_b64 v20, v[20:21] offset:3640
	s_waitcnt lgkmcnt(1)
	ds_write_b128 v20, v[20:23] offset:3120
.LBB135_1037:
	s_or_b64 exec, exec, s[0:1]
	v_mov_b32_e32 v10, 0
	v_mov_b32_e32 v11, 0
	s_waitcnt lgkmcnt(0)
	s_barrier
	buffer_wbinvl1_vol
	s_and_saveexec_b64 s[0:1], s[2:3]
	s_cbranch_execz .LBB135_1041
; %bb.1038:
	v_lshlrev_b32_e32 v20, 9, v13
	v_lshlrev_b32_e32 v10, 3, v12
	ds_read_b64 v[10:11], v10 offset:3104
	ds_read_b64 v[20:21], v20 offset:3120
	v_cmp_gt_u32_e64 s[8:9], 2, v15
	s_waitcnt lgkmcnt(0)
	v_fma_f64 v[10:11], v[10:11], v[20:21], 0
	s_and_saveexec_b64 s[10:11], s[8:9]
	s_cbranch_execz .LBB135_1040
; %bb.1039:
	v_lshlrev_b32_e32 v20, 3, v0
	v_mov_b32_e32 v22, 0
	ds_read_b64 v[20:21], v20 offset:3616
	ds_read_b64 v[22:23], v22 offset:3640
	s_waitcnt lgkmcnt(0)
	v_fma_f64 v[10:11], v[20:21], v[22:23], v[10:11]
.LBB135_1040:
	s_or_b64 exec, exec, s[10:11]
.LBB135_1041:
	s_or_b64 exec, exec, s[0:1]
	s_and_saveexec_b64 s[0:1], s[40:41]
; %bb.1042:
	v_xor_b32_e32 v21, 0x80000000, v11
	v_mov_b32_e32 v20, v10
	ds_write_b64 v14, v[20:21]
; %bb.1043:
	s_or_b64 exec, exec, s[0:1]
	s_waitcnt lgkmcnt(0)
	s_barrier
	s_and_saveexec_b64 s[0:1], s[38:39]
	s_cbranch_execz .LBB135_1045
; %bb.1044:
	v_mov_b32_e32 v20, 0
	ds_read_b64 v[20:21], v20 offset:2592
	ds_read_b64 v[22:23], v14
	s_waitcnt lgkmcnt(0)
	v_fma_f64 v[10:11], -v[20:21], v[22:23], v[10:11]
.LBB135_1045:
	s_or_b64 exec, exec, s[0:1]
	s_barrier
	s_and_saveexec_b64 s[0:1], s[38:39]
; %bb.1046:
	v_xor_b32_e32 v21, 0x80000000, v11
	v_mov_b32_e32 v20, v10
	ds_write_b64 v14, v[20:21]
; %bb.1047:
	s_or_b64 exec, exec, s[0:1]
	s_waitcnt lgkmcnt(0)
	s_barrier
	s_barrier
	s_and_saveexec_b64 s[0:1], s[2:3]
; %bb.1048:
	v_lshlrev_b32_e32 v20, 3, v12
	v_lshl_or_b32 v20, v13, 9, v20
	ds_write_b64 v20, v[10:11] offset:3104
; %bb.1049:
	s_or_b64 exec, exec, s[0:1]
	s_waitcnt lgkmcnt(0)
	s_barrier
	s_barrier
	s_and_saveexec_b64 s[0:1], s[42:43]
	s_cbranch_execz .LBB135_1051
; %bb.1050:
	v_lshlrev_b32_e32 v20, 3, v0
	s_movk_i32 s8, 0x1f8
	v_mad_u32_u24 v21, v0, s8, v20
	ds_read_b64 v[10:11], v21 offset:3104
	s_waitcnt lgkmcnt(0)
	ds_write_b64 v20, v[10:11] offset:2096
	ds_read_b64 v[10:11], v21 offset:3112
	s_waitcnt lgkmcnt(0)
	ds_write_b64 v20, v[10:11] offset:2608
.LBB135_1051:
	s_or_b64 exec, exec, s[0:1]
	s_waitcnt lgkmcnt(0)
	s_barrier
	s_and_saveexec_b64 s[0:1], vcc
	s_cbranch_execz .LBB135_1053
; %bb.1052:
	v_mov_b32_e32 v20, 0
	ds_read_b64 v[22:23], v20 offset:2592
	v_mov_b32_e32 v21, 0x3ff00000
	ds_write_b64 v20, v[20:21] offset:2600
	s_waitcnt lgkmcnt(1)
	ds_write_b128 v20, v[20:23] offset:2080
.LBB135_1053:
	s_or_b64 exec, exec, s[0:1]
	v_mov_b32_e32 v10, 0
	v_mov_b32_e32 v11, 0
	s_waitcnt lgkmcnt(0)
	s_barrier
	buffer_wbinvl1_vol
	s_and_saveexec_b64 s[0:1], s[18:19]
	s_cbranch_execz .LBB135_1059
; %bb.1054:
	v_lshlrev_b32_e32 v21, 3, v16
	v_lshlrev_b32_e32 v20, 9, v17
	ds_read_b64 v[10:11], v21 offset:2048
	ds_read_b64 v[22:23], v20 offset:2080
	v_cmp_gt_u32_e64 s[8:9], 12, v15
	s_waitcnt lgkmcnt(0)
	v_fma_f64 v[10:11], v[10:11], v[22:23], 0
	s_and_saveexec_b64 s[10:11], s[8:9]
	s_cbranch_execnz .LBB135_1220
; %bb.1055:
	s_or_b64 exec, exec, s[10:11]
	v_cmp_gt_u32_e64 s[8:9], 8, v15
	s_and_saveexec_b64 s[10:11], s[8:9]
	s_cbranch_execnz .LBB135_1221
.LBB135_1056:
	s_or_b64 exec, exec, s[10:11]
	v_cmp_gt_u32_e64 s[8:9], 4, v15
	s_and_saveexec_b64 s[10:11], s[8:9]
	s_cbranch_execz .LBB135_1058
.LBB135_1057:
	v_lshlrev_b32_e32 v20, 3, v0
	v_mov_b32_e32 v22, 0
	ds_read_b64 v[20:21], v20 offset:3584
	ds_read_b64 v[22:23], v22 offset:3640
	s_waitcnt lgkmcnt(0)
	v_fma_f64 v[10:11], v[20:21], v[22:23], v[10:11]
.LBB135_1058:
	s_or_b64 exec, exec, s[10:11]
.LBB135_1059:
	s_or_b64 exec, exec, s[0:1]
	s_and_saveexec_b64 s[0:1], s[46:47]
; %bb.1060:
	v_xor_b32_e32 v21, 0x80000000, v11
	v_mov_b32_e32 v20, v10
	ds_write_b64 v19, v[20:21]
; %bb.1061:
	s_or_b64 exec, exec, s[0:1]
	s_waitcnt lgkmcnt(0)
	s_barrier
	s_and_saveexec_b64 s[0:1], s[48:49]
	s_load_dword s16, s[4:5], 0x6c
	v_readlane_b32 s46, v35, 0
	v_readlane_b32 s47, v35, 1
	s_cbranch_execz .LBB135_1063
; %bb.1062:
	v_lshlrev_b32_e32 v20, 3, v16
	ds_read_b64 v[20:21], v20 offset:1536
	ds_read_b64 v[22:23], v19
	s_waitcnt lgkmcnt(0)
	v_fma_f64 v[10:11], -v[20:21], v[22:23], v[10:11]
.LBB135_1063:
	s_or_b64 exec, exec, s[0:1]
	s_waitcnt lgkmcnt(0)
	s_barrier
	s_and_saveexec_b64 s[0:1], s[50:51]
; %bb.1064:
	v_xor_b32_e32 v21, 0x80000000, v11
	v_mov_b32_e32 v20, v10
	ds_write_b64 v19, v[20:21]
; %bb.1065:
	s_or_b64 exec, exec, s[0:1]
	s_waitcnt lgkmcnt(0)
	s_barrier
	s_and_saveexec_b64 s[0:1], s[52:53]
	s_cbranch_execz .LBB135_1067
; %bb.1066:
	v_lshlrev_b32_e32 v20, 3, v16
	ds_read_b64 v[20:21], v20 offset:1024
	ds_read_b64 v[22:23], v19
	s_waitcnt lgkmcnt(0)
	v_fma_f64 v[10:11], -v[20:21], v[22:23], v[10:11]
.LBB135_1067:
	s_or_b64 exec, exec, s[0:1]
	s_barrier
	s_and_saveexec_b64 s[0:1], s[54:55]
; %bb.1068:
	v_xor_b32_e32 v21, 0x80000000, v11
	v_mov_b32_e32 v20, v10
	ds_write_b64 v19, v[20:21]
; %bb.1069:
	s_or_b64 exec, exec, s[0:1]
	s_waitcnt lgkmcnt(0)
	s_barrier
	s_and_saveexec_b64 s[0:1], s[44:45]
	s_cbranch_execz .LBB135_1071
; %bb.1070:
	v_mov_b32_e32 v20, 0
	ds_read_b64 v[20:21], v20 offset:512
	ds_read_b64 v[22:23], v19
	s_waitcnt lgkmcnt(0)
	v_fma_f64 v[10:11], -v[20:21], v[22:23], v[10:11]
.LBB135_1071:
	s_or_b64 exec, exec, s[0:1]
	s_barrier
	s_and_saveexec_b64 s[0:1], s[44:45]
; %bb.1072:
	v_xor_b32_e32 v21, 0x80000000, v11
	v_mov_b32_e32 v20, v10
	ds_write_b64 v19, v[20:21]
; %bb.1073:
	s_or_b64 exec, exec, s[0:1]
	s_waitcnt lgkmcnt(0)
	s_barrier
	s_barrier
	s_and_saveexec_b64 s[0:1], s[18:19]
; %bb.1074:
	v_lshlrev_b32_e32 v16, 3, v16
	v_lshl_or_b32 v16, v17, 9, v16
	ds_write_b64 v16, v[10:11] offset:2048
; %bb.1075:
	s_or_b64 exec, exec, s[0:1]
	s_waitcnt lgkmcnt(0)
	s_barrier
	s_barrier
	s_and_saveexec_b64 s[0:1], s[56:57]
	s_cbranch_execz .LBB135_1077
; %bb.1076:
	v_lshlrev_b32_e32 v16, 9, v0
	ds_read_b64 v[10:11], v16 offset:2048
	s_movk_i32 s8, 0xfe08
	v_mad_i32_i24 v17, v0, s8, v16
	s_waitcnt lgkmcnt(0)
	ds_write_b64 v17, v[10:11] offset:32
	ds_read_b64 v[10:11], v16 offset:2056
	s_waitcnt lgkmcnt(0)
	ds_write_b64 v17, v[10:11] offset:544
	ds_read_b64 v[10:11], v16 offset:2064
	;; [unrolled: 3-line block ×3, first 2 shown]
	s_waitcnt lgkmcnt(0)
	ds_write_b64 v17, v[10:11] offset:1568
.LBB135_1077:
	s_or_b64 exec, exec, s[0:1]
	s_waitcnt lgkmcnt(0)
	s_barrier
	s_and_saveexec_b64 s[0:1], vcc
	s_cbranch_execz .LBB135_1079
; %bb.1078:
	v_mov_b32_e32 v19, 0
	ds_read_b64 v[21:22], v19 offset:1552
	v_mov_b32_e32 v20, 0x3ff00000
	ds_write_b64 v19, v[19:20] offset:1560
	s_waitcnt lgkmcnt(1)
	ds_write_b128 v19, v[19:22] offset:1040
.LBB135_1079:
	s_or_b64 exec, exec, s[0:1]
	v_mov_b32_e32 v10, 0
	v_mov_b32_e32 v11, 0
	s_waitcnt lgkmcnt(0)
	s_barrier
	buffer_wbinvl1_vol
	s_and_saveexec_b64 s[0:1], s[2:3]
	s_cbranch_execz .LBB135_1083
; %bb.1080:
	v_lshlrev_b32_e32 v16, 9, v13
	v_lshlrev_b32_e32 v10, 3, v12
	ds_read_b64 v[10:11], v10 offset:1024
	ds_read_b64 v[16:17], v16 offset:1040
	v_cmp_gt_u32_e64 s[8:9], 2, v15
	s_waitcnt lgkmcnt(0)
	v_fma_f64 v[10:11], v[10:11], v[16:17], 0
	s_and_saveexec_b64 s[10:11], s[8:9]
	s_cbranch_execz .LBB135_1082
; %bb.1081:
	v_lshlrev_b32_e32 v15, 3, v0
	v_mov_b32_e32 v17, 0
	ds_read_b64 v[15:16], v15 offset:1536
	ds_read_b64 v[19:20], v17 offset:1560
	s_waitcnt lgkmcnt(0)
	v_fma_f64 v[10:11], v[15:16], v[19:20], v[10:11]
.LBB135_1082:
	s_or_b64 exec, exec, s[10:11]
.LBB135_1083:
	s_or_b64 exec, exec, s[0:1]
	s_and_saveexec_b64 s[0:1], s[40:41]
; %bb.1084:
	v_xor_b32_e32 v16, 0x80000000, v11
	v_mov_b32_e32 v15, v10
	ds_write_b64 v14, v[15:16]
; %bb.1085:
	s_or_b64 exec, exec, s[0:1]
	s_waitcnt lgkmcnt(0)
	s_barrier
	s_and_saveexec_b64 s[0:1], s[38:39]
	s_cbranch_execz .LBB135_1087
; %bb.1086:
	v_mov_b32_e32 v15, 0
	ds_read_b64 v[15:16], v15 offset:512
	ds_read_b64 v[19:20], v14
	s_waitcnt lgkmcnt(0)
	v_fma_f64 v[10:11], -v[15:16], v[19:20], v[10:11]
.LBB135_1087:
	s_or_b64 exec, exec, s[0:1]
	s_barrier
	s_and_saveexec_b64 s[0:1], s[38:39]
; %bb.1088:
	v_xor_b32_e32 v16, 0x80000000, v11
	v_mov_b32_e32 v15, v10
	ds_write_b64 v14, v[15:16]
; %bb.1089:
	s_or_b64 exec, exec, s[0:1]
	s_waitcnt lgkmcnt(0)
	s_barrier
	s_barrier
	s_and_saveexec_b64 s[0:1], s[2:3]
; %bb.1090:
	v_lshlrev_b32_e32 v12, 3, v12
	v_lshl_or_b32 v12, v13, 9, v12
	ds_write_b64 v12, v[10:11] offset:1024
; %bb.1091:
	s_or_b64 exec, exec, s[0:1]
	s_waitcnt lgkmcnt(0)
	s_barrier
	s_barrier
	s_and_saveexec_b64 s[0:1], s[42:43]
	s_cbranch_execz .LBB135_1093
; %bb.1092:
	v_lshlrev_b32_e32 v12, 3, v0
	s_movk_i32 s2, 0x1f8
	v_mad_u32_u24 v13, v0, s2, v12
	ds_read_b64 v[10:11], v13 offset:1024
	s_waitcnt lgkmcnt(0)
	ds_write_b64 v12, v[10:11] offset:16
	ds_read_b64 v[10:11], v13 offset:1032
	s_waitcnt lgkmcnt(0)
	ds_write_b64 v12, v[10:11] offset:528
.LBB135_1093:
	s_or_b64 exec, exec, s[0:1]
	s_waitcnt lgkmcnt(0)
	s_barrier
	s_and_saveexec_b64 s[0:1], vcc
	s_cbranch_execz .LBB135_1095
; %bb.1094:
	v_mov_b32_e32 v10, 0
	ds_read_b64 v[12:13], v10 offset:512
	v_mov_b32_e32 v11, 0x3ff00000
	ds_write_b64 v10, v[10:11] offset:520
	s_waitcnt lgkmcnt(1)
	ds_write_b128 v10, v[10:13]
.LBB135_1095:
	s_or_b64 exec, exec, s[0:1]
.LBB135_1096:
	s_lshl_b64 s[0:1], s[28:29], 3
	s_add_u32 s20, s36, s0
	v_cmp_le_i32_e32 vcc, s7, v0
	s_addc_u32 s21, s37, s1
	s_and_b64 s[14:15], vcc, s[26:27]
	v_cmp_eq_u32_e64 s[2:3], 0, v1
	s_xor_b64 s[0:1], s[14:15], -1
	v_mov_b32_e32 v10, 0
	s_and_b64 s[8:9], s[2:3], s[0:1]
	v_mov_b32_e32 v11, 0
	v_lshl_add_u32 v12, s6, 6, v0
	s_waitcnt lgkmcnt(0)
	s_barrier
	s_and_saveexec_b64 s[0:1], s[8:9]
	s_cbranch_execz .LBB135_1098
; %bb.1097:
	v_ashrrev_i32_e32 v13, 31, v12
	v_mul_lo_u32 v14, s31, v12
	v_mad_u64_u32 v[10:11], s[8:9], s30, v12, 0
	v_mul_lo_u32 v13, s30, v13
	v_add3_u32 v11, v11, v13, v14
	v_lshlrev_b64 v[10:11], 3, v[10:11]
	v_mov_b32_e32 v13, s21
	v_add_co_u32_e32 v10, vcc, s20, v10
	v_addc_co_u32_e32 v11, vcc, v13, v11, vcc
	flat_load_dwordx2 v[10:11], v[10:11]
	s_waitcnt vmcnt(0) lgkmcnt(0)
	v_mul_f64 v[10:11], v[10:11], -s[24:25]
.LBB135_1098:
	s_or_b64 exec, exec, s[0:1]
	s_load_dwordx2 s[0:1], s[4:5], 0x50
	s_and_b32 s4, 0xffff, s16
	v_mad_u32_u24 v19, v1, s4, v0
	v_mov_b32_e32 v13, 0
	s_cmp_lt_i32 s6, 1
	v_cmp_eq_u32_e64 s[4:5], 0, v19
	s_cbranch_scc1 .LBB135_1124
; %bb.1099:
	v_mad_u64_u32 v[14:15], s[8:9], s34, v12, 0
	s_mov_b32 s24, 0
	v_cmp_gt_u32_e64 s[12:13], 64, v19
	v_mad_u64_u32 v[15:16], s[8:9], s35, v12, v[15:16]
	s_lshl_b64 s[8:9], s[22:23], 2
	s_waitcnt lgkmcnt(0)
	s_add_u32 s16, s0, s8
	v_lshlrev_b64 v[14:15], 3, v[14:15]
	s_addc_u32 s17, s1, s9
	v_mov_b32_e32 v16, 0xa000
	v_cmp_gt_i32_e64 s[8:9], s33, v12
	v_mov_b32_e32 v12, s89
	v_add_co_u32_e32 v22, vcc, s88, v14
	v_lshl_add_u32 v20, v19, 3, v16
	v_lshl_or_b32 v21, v1, 3, v16
	s_add_i32 s25, s6, -1
	v_addc_co_u32_e32 v23, vcc, v12, v15, vcc
	v_mov_b32_e32 v24, -1
	s_branch .LBB135_1102
.LBB135_1100:                           ;   in Loop: Header=BB135_1102 Depth=1
	ds_read_b64 v[14:15], v21 offset:384
	s_waitcnt vmcnt(0) lgkmcnt(0)
	v_fma_f64 v[10:11], v[16:17], v[14:15], v[10:11]
.LBB135_1101:                           ;   in Loop: Header=BB135_1102 Depth=1
	s_or_b64 exec, exec, s[18:19]
	s_add_i32 s24, s24, 1
	s_cmp_eq_u32 s24, s6
	s_cbranch_scc1 .LBB135_1124
.LBB135_1102:                           ; =>This Loop Header: Depth=1
                                        ;     Child Loop BB135_1104 Depth 2
	v_cmp_gt_i32_e32 vcc, s24, v24
	s_and_b64 s[18:19], s[4:5], vcc
	s_and_saveexec_b64 s[10:11], s[18:19]
	s_cbranch_execz .LBB135_1105
; %bb.1103:                             ;   in Loop: Header=BB135_1102 Depth=1
	global_load_dword v24, v13, s[16:17]
	s_waitcnt vmcnt(0)
	v_cmp_le_i32_e32 vcc, s24, v24
	s_cbranch_vccnz .LBB135_1105
.LBB135_1104:                           ;   Parent Loop BB135_1102 Depth=1
                                        ; =>  This Inner Loop Header: Depth=2
	buffer_wbinvl1_vol
	global_load_dword v24, v13, s[16:17]
	s_waitcnt vmcnt(0)
	v_cmp_gt_i32_e32 vcc, s24, v24
	s_cbranch_vccnz .LBB135_1104
.LBB135_1105:                           ;   in Loop: Header=BB135_1102 Depth=1
	s_or_b64 exec, exec, s[10:11]
	s_lshl_b32 s28, s24, 6
	buffer_wbinvl1_vol
	s_barrier
	s_and_saveexec_b64 s[10:11], s[12:13]
	s_cbranch_execz .LBB135_1109
; %bb.1106:                             ;   in Loop: Header=BB135_1102 Depth=1
	v_or_b32_e32 v12, s28, v19
	v_mov_b32_e32 v14, 0
	v_mov_b32_e32 v15, 0
	v_cmp_gt_i32_e32 vcc, s33, v12
	s_and_saveexec_b64 s[18:19], vcc
	s_cbranch_execz .LBB135_1108
; %bb.1107:                             ;   in Loop: Header=BB135_1102 Depth=1
	v_mad_u64_u32 v[14:15], s[34:35], s30, v12, 0
	v_mad_u64_u32 v[15:16], s[34:35], s31, v12, v[15:16]
	v_mov_b32_e32 v12, s21
	v_lshlrev_b64 v[14:15], 3, v[14:15]
	v_add_co_u32_e32 v14, vcc, s20, v14
	v_addc_co_u32_e32 v15, vcc, v12, v15, vcc
	flat_load_dwordx2 v[14:15], v[14:15]
.LBB135_1108:                           ;   in Loop: Header=BB135_1102 Depth=1
	s_or_b64 exec, exec, s[18:19]
	s_waitcnt vmcnt(0) lgkmcnt(0)
	ds_write_b64 v20, v[14:15]
.LBB135_1109:                           ;   in Loop: Header=BB135_1102 Depth=1
	s_or_b64 exec, exec, s[10:11]
	v_add_u32_e32 v12, s28, v1
	v_lshlrev_b64 v[14:15], 3, v[12:13]
	s_cmp_lg_u32 s24, s25
	v_add_co_u32_e32 v14, vcc, v22, v14
	s_cselect_b64 s[10:11], -1, 0
	v_addc_co_u32_e32 v15, vcc, v23, v15, vcc
	v_cmp_gt_i32_e32 vcc, s33, v12
	v_cndmask_b32_e64 v16, 0, 1, s[10:11]
	s_and_b64 s[28:29], vcc, s[8:9]
	v_cmp_ne_u32_e64 s[10:11], 1, v16
	s_waitcnt lgkmcnt(0)
	s_barrier
	s_and_saveexec_b64 s[18:19], s[28:29]
	s_cbranch_execz .LBB135_1113
; %bb.1110:                             ;   in Loop: Header=BB135_1102 Depth=1
	v_mov_b32_e32 v17, v5
	s_and_b64 vcc, exec, s[10:11]
	v_mov_b32_e32 v16, v4
	s_cbranch_vccnz .LBB135_1112
; %bb.1111:                             ;   in Loop: Header=BB135_1102 Depth=1
	flat_load_dwordx2 v[16:17], v[14:15]
.LBB135_1112:                           ;   in Loop: Header=BB135_1102 Depth=1
	ds_read_b64 v[25:26], v21
	s_waitcnt vmcnt(0) lgkmcnt(0)
	v_fma_f64 v[10:11], v[16:17], v[25:26], v[10:11]
.LBB135_1113:                           ;   in Loop: Header=BB135_1102 Depth=1
	s_or_b64 exec, exec, s[18:19]
	v_add_u32_e32 v16, 16, v12
	v_cmp_gt_i32_e32 vcc, s33, v16
	s_and_b64 s[28:29], vcc, s[8:9]
	s_and_saveexec_b64 s[18:19], s[28:29]
	s_cbranch_execz .LBB135_1117
; %bb.1114:                             ;   in Loop: Header=BB135_1102 Depth=1
	v_mov_b32_e32 v17, v3
	s_and_b64 vcc, exec, s[10:11]
	v_mov_b32_e32 v16, v2
	s_cbranch_vccnz .LBB135_1116
; %bb.1115:                             ;   in Loop: Header=BB135_1102 Depth=1
	flat_load_dwordx2 v[16:17], v[14:15] offset:128
.LBB135_1116:                           ;   in Loop: Header=BB135_1102 Depth=1
	ds_read_b64 v[25:26], v21 offset:128
	s_waitcnt vmcnt(0) lgkmcnt(0)
	v_fma_f64 v[10:11], v[16:17], v[25:26], v[10:11]
.LBB135_1117:                           ;   in Loop: Header=BB135_1102 Depth=1
	s_or_b64 exec, exec, s[18:19]
	v_add_u32_e32 v16, 32, v12
	v_cmp_gt_i32_e32 vcc, s33, v16
	s_and_b64 s[28:29], vcc, s[8:9]
	s_and_saveexec_b64 s[18:19], s[28:29]
	s_cbranch_execz .LBB135_1121
; %bb.1118:                             ;   in Loop: Header=BB135_1102 Depth=1
	v_mov_b32_e32 v17, v9
	s_and_b64 vcc, exec, s[10:11]
	v_mov_b32_e32 v16, v8
	s_cbranch_vccnz .LBB135_1120
; %bb.1119:                             ;   in Loop: Header=BB135_1102 Depth=1
	flat_load_dwordx2 v[16:17], v[14:15] offset:256
.LBB135_1120:                           ;   in Loop: Header=BB135_1102 Depth=1
	ds_read_b64 v[25:26], v21 offset:256
	s_waitcnt vmcnt(0) lgkmcnt(0)
	v_fma_f64 v[10:11], v[16:17], v[25:26], v[10:11]
.LBB135_1121:                           ;   in Loop: Header=BB135_1102 Depth=1
	s_or_b64 exec, exec, s[18:19]
	v_add_u32_e32 v12, 48, v12
	v_cmp_gt_i32_e32 vcc, s33, v12
	s_and_b64 s[28:29], vcc, s[8:9]
	s_and_saveexec_b64 s[18:19], s[28:29]
	s_cbranch_execz .LBB135_1101
; %bb.1122:                             ;   in Loop: Header=BB135_1102 Depth=1
	v_mov_b32_e32 v17, v7
	s_and_b64 vcc, exec, s[10:11]
	v_mov_b32_e32 v16, v6
	s_cbranch_vccnz .LBB135_1100
; %bb.1123:                             ;   in Loop: Header=BB135_1102 Depth=1
	flat_load_dwordx2 v[16:17], v[14:15] offset:384
	s_branch .LBB135_1100
.LBB135_1124:
	v_lshl_add_u32 v2, v1, 6, v0
	s_xor_b64 s[4:5], s[26:27], -1
	v_lshlrev_b32_e32 v4, 3, v2
	ds_write_b64 v4, v[10:11] offset:32768
	s_waitcnt lgkmcnt(0)
	s_barrier
	s_and_saveexec_b64 s[8:9], s[2:3]
	s_cbranch_execz .LBB135_1126
; %bb.1125:
	v_lshlrev_b32_e32 v15, 3, v0
	ds_read2st64_b64 v[5:8], v15 offset0:65 offset1:66
	ds_read_b64 v[2:3], v15 offset:40448
	s_waitcnt lgkmcnt(1)
	v_add_f64 v[5:6], v[10:11], v[5:6]
	v_add_f64 v[13:14], v[5:6], v[7:8]
	ds_read2st64_b64 v[5:8], v15 offset0:67 offset1:68
	ds_read2st64_b64 v[9:12], v15 offset0:69 offset1:70
	s_waitcnt lgkmcnt(1)
	v_add_f64 v[5:6], v[13:14], v[5:6]
	v_add_f64 v[5:6], v[5:6], v[7:8]
	s_waitcnt lgkmcnt(0)
	v_add_f64 v[5:6], v[5:6], v[9:10]
	v_add_f64 v[13:14], v[5:6], v[11:12]
	ds_read2st64_b64 v[5:8], v15 offset0:71 offset1:72
	ds_read2st64_b64 v[9:12], v15 offset0:73 offset1:74
	s_waitcnt lgkmcnt(1)
	v_add_f64 v[5:6], v[13:14], v[5:6]
	v_add_f64 v[5:6], v[5:6], v[7:8]
	s_waitcnt lgkmcnt(0)
	v_add_f64 v[5:6], v[5:6], v[9:10]
	v_add_f64 v[13:14], v[5:6], v[11:12]
	ds_read2st64_b64 v[5:8], v15 offset0:75 offset1:76
	ds_read2st64_b64 v[9:12], v15 offset0:77 offset1:78
	s_waitcnt lgkmcnt(1)
	v_add_f64 v[5:6], v[13:14], v[5:6]
	v_add_f64 v[5:6], v[5:6], v[7:8]
	s_waitcnt lgkmcnt(0)
	v_add_f64 v[5:6], v[5:6], v[9:10]
	v_add_f64 v[5:6], v[5:6], v[11:12]
	;; [unrolled: 1-line block ×3, first 2 shown]
	v_xor_b32_e32 v3, 0x80000000, v3
	v_cndmask_b32_e64 v11, v3, 0, s[14:15]
	v_cndmask_b32_e64 v10, v2, 0, s[14:15]
.LBB135_1126:
	s_or_b64 exec, exec, s[8:9]
	s_and_b64 vcc, exec, s[46:47]
	s_cbranch_vccnz .LBB135_1140
; %bb.1127:
	v_mov_b32_e32 v2, 0xa000
	v_lshl_or_b32 v5, v1, 3, v2
	s_and_saveexec_b64 s[8:9], s[2:3]
; %bb.1128:
	v_lshl_add_u32 v2, v0, 3, v5
	ds_write_b64 v2, v[10:11]
; %bb.1129:
	s_or_b64 exec, exec, s[8:9]
	v_mov_b32_e32 v2, 0
	v_mov_b32_e32 v3, 0
	v_cmp_le_u32_e32 vcc, v1, v0
	s_waitcnt lgkmcnt(0)
	s_barrier
	s_and_saveexec_b64 s[8:9], vcc
	s_cbranch_execz .LBB135_1131
; %bb.1130:
	ds_read_b64 v[2:3], v4
	ds_read_b64 v[6:7], v5
	s_waitcnt lgkmcnt(0)
	v_fma_f64 v[2:3], v[2:3], v[6:7], 0
.LBB135_1131:
	s_or_b64 exec, exec, s[8:9]
	v_add_u32_e32 v6, 16, v1
	v_cmp_ge_u32_e32 vcc, v0, v6
	s_and_saveexec_b64 s[8:9], vcc
	s_cbranch_execz .LBB135_1133
; %bb.1132:
	ds_read_b64 v[6:7], v4 offset:8192
	ds_read_b64 v[8:9], v5 offset:128
	s_waitcnt lgkmcnt(0)
	v_fma_f64 v[2:3], v[6:7], v[8:9], v[2:3]
.LBB135_1133:
	s_or_b64 exec, exec, s[8:9]
	v_add_u32_e32 v6, 32, v1
	v_cmp_ge_u32_e32 vcc, v0, v6
	s_and_saveexec_b64 s[8:9], vcc
	s_cbranch_execz .LBB135_1135
; %bb.1134:
	ds_read_b64 v[6:7], v4 offset:16384
	ds_read_b64 v[8:9], v5 offset:256
	s_waitcnt lgkmcnt(0)
	v_fma_f64 v[2:3], v[6:7], v[8:9], v[2:3]
.LBB135_1135:
	s_or_b64 exec, exec, s[8:9]
	v_add_u32_e32 v1, 48, v1
	v_add_u32_e32 v6, 0x8000, v4
	v_cmp_ge_u32_e32 vcc, v0, v1
	s_and_saveexec_b64 s[8:9], vcc
	s_cbranch_execz .LBB135_1137
; %bb.1136:
	ds_read_b64 v[7:8], v4 offset:24576
	ds_read_b64 v[4:5], v5 offset:384
	s_waitcnt lgkmcnt(0)
	v_fma_f64 v[2:3], v[7:8], v[4:5], v[2:3]
.LBB135_1137:
	s_or_b64 exec, exec, s[8:9]
	s_mov_b64 s[10:11], 0
	s_mov_b64 s[8:9], 0
	ds_write_b64 v6, v[2:3]
	s_waitcnt lgkmcnt(0)
	s_barrier
                                        ; implicit-def: $vgpr6_vgpr7
                                        ; implicit-def: $vgpr4_vgpr5
	s_and_saveexec_b64 s[12:13], s[2:3]
	s_cbranch_execz .LBB135_1161
; %bb.1138:
	v_lshlrev_b32_e32 v9, 3, v0
	ds_read2st64_b64 v[4:7], v9 offset0:65 offset1:66
	ds_read_b64 v[12:13], v9 offset:40448
	s_mov_b64 s[8:9], exec
	s_waitcnt lgkmcnt(1)
	v_add_f64 v[1:2], v[2:3], v[4:5]
	v_add_f64 v[14:15], v[6:7], v[1:2]
	ds_read2st64_b64 v[1:4], v9 offset0:67 offset1:68
	ds_read2st64_b64 v[5:8], v9 offset0:69 offset1:70
	s_waitcnt lgkmcnt(1)
	v_add_f64 v[1:2], v[1:2], v[14:15]
	v_add_f64 v[1:2], v[3:4], v[1:2]
	s_waitcnt lgkmcnt(0)
	v_add_f64 v[1:2], v[5:6], v[1:2]
	v_add_f64 v[14:15], v[7:8], v[1:2]
	ds_read2st64_b64 v[1:4], v9 offset0:71 offset1:72
	ds_read2st64_b64 v[5:8], v9 offset0:73 offset1:74
	s_waitcnt lgkmcnt(1)
	v_add_f64 v[1:2], v[1:2], v[14:15]
	v_add_f64 v[1:2], v[3:4], v[1:2]
	s_waitcnt lgkmcnt(0)
	v_add_f64 v[1:2], v[5:6], v[1:2]
	v_add_f64 v[14:15], v[7:8], v[1:2]
	ds_read2st64_b64 v[1:4], v9 offset0:75 offset1:76
	ds_read2st64_b64 v[5:8], v9 offset0:77 offset1:78
	s_waitcnt lgkmcnt(1)
	v_add_f64 v[1:2], v[1:2], v[14:15]
	v_add_f64 v[1:2], v[3:4], v[1:2]
	v_lshl_add_u32 v3, s6, 6, v19
	s_waitcnt lgkmcnt(0)
	v_add_f64 v[1:2], v[5:6], v[1:2]
	v_mad_u64_u32 v[4:5], s[14:15], s30, v3, 0
	v_add_f64 v[1:2], v[7:8], v[1:2]
	v_add_f64 v[6:7], v[12:13], v[1:2]
	v_mov_b32_e32 v1, v5
	v_mad_u64_u32 v[1:2], s[14:15], s31, v3, v[1:2]
	v_mov_b32_e32 v5, v1
	s_or_b64 exec, exec, s[12:13]
	s_and_b64 vcc, exec, s[10:11]
	s_cbranch_vccnz .LBB135_1141
	s_branch .LBB135_1162
.LBB135_1139:
	v_mad_u64_u32 v[12:13], s[2:3], s34, v15, 0
	s_or_b64 s[10:11], s[10:11], exec
	v_mad_u64_u32 v[13:14], s[2:3], s35, v15, v[13:14]
	v_lshlrev_b64 v[12:13], 3, v[12:13]
	v_add_co_u32_e32 v10, vcc, v10, v12
	v_addc_co_u32_e32 v11, vcc, v11, v13, vcc
	flat_load_dwordx2 v[12:13], v[10:11]
	s_waitcnt vmcnt(0) lgkmcnt(0)
	v_xor_b32_e32 v13, 0x80000000, v13
	s_or_b64 exec, exec, s[8:9]
	s_xor_b64 s[0:1], s[0:1], -1
	s_and_saveexec_b64 s[2:3], s[10:11]
	s_cbranch_execnz .LBB135_57
	s_branch .LBB135_58
.LBB135_1140:
	s_mov_b64 s[8:9], 0
                                        ; implicit-def: $vgpr6_vgpr7
                                        ; implicit-def: $vgpr4_vgpr5
	s_cbranch_execz .LBB135_1162
.LBB135_1141:
	s_mov_b32 s12, 0
	v_mov_b32_e32 v1, 0
	v_mov_b32_e32 v2, v0
	s_branch .LBB135_1143
.LBB135_1142:                           ;   in Loop: Header=BB135_1143 Depth=1
	s_or_b64 exec, exec, s[10:11]
	s_add_i32 s12, s12, 4
	v_add_u32_e32 v18, 0x800, v18
	s_cmp_lg_u32 s12, 64
	v_add_u32_e32 v2, -4, v2
	s_barrier
	s_cbranch_scc0 .LBB135_1159
.LBB135_1143:                           ; =>This Inner Loop Header: Depth=1
	v_cmp_eq_u32_e32 vcc, 0, v2
	s_and_b64 s[14:15], s[2:3], vcc
	s_and_saveexec_b64 s[10:11], s[14:15]
; %bb.1144:                             ;   in Loop: Header=BB135_1143 Depth=1
	ds_write_b64 v1, v[10:11] offset:41472
; %bb.1145:                             ;   in Loop: Header=BB135_1143 Depth=1
	s_or_b64 exec, exec, s[10:11]
	v_cmp_lt_u32_e32 vcc, s12, v0
	s_and_b64 s[14:15], s[2:3], vcc
	s_waitcnt lgkmcnt(0)
	s_barrier
	s_and_saveexec_b64 s[10:11], s[14:15]
	s_cbranch_execz .LBB135_1147
; %bb.1146:                             ;   in Loop: Header=BB135_1143 Depth=1
	ds_read_b64 v[3:4], v18
	ds_read_b64 v[5:6], v1 offset:41472
	s_waitcnt lgkmcnt(0)
	v_fma_f64 v[10:11], v[3:4], v[5:6], v[10:11]
.LBB135_1147:                           ;   in Loop: Header=BB135_1143 Depth=1
	s_or_b64 exec, exec, s[10:11]
	s_or_b32 s13, s12, 1
	v_cmp_eq_u32_e32 vcc, s13, v0
	s_and_b64 s[14:15], s[2:3], vcc
	s_barrier
	s_and_saveexec_b64 s[10:11], s[14:15]
; %bb.1148:                             ;   in Loop: Header=BB135_1143 Depth=1
	ds_write_b64 v1, v[10:11] offset:41472
; %bb.1149:                             ;   in Loop: Header=BB135_1143 Depth=1
	s_or_b64 exec, exec, s[10:11]
	v_cmp_lt_u32_e32 vcc, s13, v0
	s_and_b64 s[14:15], s[2:3], vcc
	s_waitcnt lgkmcnt(0)
	s_barrier
	s_and_saveexec_b64 s[10:11], s[14:15]
	s_cbranch_execz .LBB135_1151
; %bb.1150:                             ;   in Loop: Header=BB135_1143 Depth=1
	ds_read_b64 v[3:4], v18 offset:512
	ds_read_b64 v[5:6], v1 offset:41472
	s_waitcnt lgkmcnt(0)
	v_fma_f64 v[10:11], v[3:4], v[5:6], v[10:11]
.LBB135_1151:                           ;   in Loop: Header=BB135_1143 Depth=1
	s_or_b64 exec, exec, s[10:11]
	s_or_b32 s13, s12, 2
	v_cmp_eq_u32_e32 vcc, s13, v0
	s_and_b64 s[14:15], s[2:3], vcc
	s_barrier
	s_and_saveexec_b64 s[10:11], s[14:15]
; %bb.1152:                             ;   in Loop: Header=BB135_1143 Depth=1
	ds_write_b64 v1, v[10:11] offset:41472
; %bb.1153:                             ;   in Loop: Header=BB135_1143 Depth=1
	s_or_b64 exec, exec, s[10:11]
	v_cmp_lt_u32_e32 vcc, s13, v0
	s_and_b64 s[14:15], s[2:3], vcc
	s_waitcnt lgkmcnt(0)
	s_barrier
	s_and_saveexec_b64 s[10:11], s[14:15]
	s_cbranch_execz .LBB135_1155
; %bb.1154:                             ;   in Loop: Header=BB135_1143 Depth=1
	ds_read_b64 v[3:4], v18 offset:1024
	ds_read_b64 v[5:6], v1 offset:41472
	s_waitcnt lgkmcnt(0)
	v_fma_f64 v[10:11], v[3:4], v[5:6], v[10:11]
.LBB135_1155:                           ;   in Loop: Header=BB135_1143 Depth=1
	s_or_b64 exec, exec, s[10:11]
	s_or_b32 s13, s12, 3
	v_cmp_eq_u32_e32 vcc, s13, v0
	s_and_b64 s[14:15], s[2:3], vcc
	s_barrier
	s_and_saveexec_b64 s[10:11], s[14:15]
; %bb.1156:                             ;   in Loop: Header=BB135_1143 Depth=1
	ds_write_b64 v1, v[10:11] offset:41472
; %bb.1157:                             ;   in Loop: Header=BB135_1143 Depth=1
	s_or_b64 exec, exec, s[10:11]
	v_cmp_lt_u32_e32 vcc, s13, v0
	s_and_b64 s[14:15], s[2:3], vcc
	s_waitcnt lgkmcnt(0)
	s_barrier
	s_and_saveexec_b64 s[10:11], s[14:15]
	s_cbranch_execz .LBB135_1142
; %bb.1158:                             ;   in Loop: Header=BB135_1143 Depth=1
	ds_read_b64 v[3:4], v18 offset:1536
	ds_read_b64 v[5:6], v1 offset:41472
	s_waitcnt lgkmcnt(0)
	v_fma_f64 v[10:11], v[3:4], v[5:6], v[10:11]
	s_branch .LBB135_1142
.LBB135_1159:
	s_and_b64 vcc, exec, s[4:5]
	s_cbranch_vccz .LBB135_1163
; %bb.1160:
	s_and_b64 s[4:5], s[2:3], exec
	s_cbranch_execz .LBB135_1164
	s_branch .LBB135_1165
.LBB135_1161:
	s_or_b64 exec, exec, s[12:13]
	s_and_b64 vcc, exec, s[10:11]
	s_cbranch_vccnz .LBB135_1141
.LBB135_1162:
	v_mov_b32_e32 v11, v7
	v_mov_b32_e32 v10, v6
	s_and_saveexec_b64 s[2:3], s[8:9]
	s_cbranch_execnz .LBB135_1168
	s_branch .LBB135_1169
.LBB135_1163:
	s_mov_b64 s[4:5], 0
.LBB135_1164:
	v_cmp_gt_i32_e32 vcc, s7, v0
	s_and_b64 s[2:3], s[2:3], vcc
	s_andn2_b64 s[4:5], s[4:5], exec
	s_and_b64 s[2:3], s[2:3], exec
	s_or_b64 s[4:5], s[4:5], s[2:3]
.LBB135_1165:
                                        ; implicit-def: $vgpr4_vgpr5
	s_and_saveexec_b64 s[2:3], s[4:5]
	s_cbranch_execz .LBB135_1167
; %bb.1166:
	s_lshl_b32 s4, s6, 6
	s_ashr_i32 s5, s4, 31
	v_mov_b32_e32 v0, s5
	v_add_co_u32_e32 v1, vcc, s4, v19
	v_addc_co_u32_e32 v0, vcc, 0, v0, vcc
	v_mul_lo_u32 v0, v0, s30
	v_mul_lo_u32 v2, v1, s31
	v_mad_u64_u32 v[4:5], s[4:5], v1, s30, 0
	s_or_b64 s[8:9], s[8:9], exec
	v_add3_u32 v5, v5, v2, v0
.LBB135_1167:
	s_or_b64 exec, exec, s[2:3]
	s_and_saveexec_b64 s[2:3], s[8:9]
	s_cbranch_execz .LBB135_1169
.LBB135_1168:
	v_lshlrev_b64 v[0:1], 3, v[4:5]
	v_mov_b32_e32 v2, s21
	v_add_co_u32_e32 v0, vcc, s20, v0
	v_addc_co_u32_e32 v1, vcc, v2, v1, vcc
	flat_store_dwordx2 v[0:1], v[10:11]
.LBB135_1169:
	s_or_b64 exec, exec, s[2:3]
	v_cmp_eq_u32_e32 vcc, 0, v19
	s_waitcnt vmcnt(0) lgkmcnt(0)
	buffer_wbinvl1_vol
	s_barrier
	s_and_saveexec_b64 s[2:3], vcc
	s_cbranch_execz .LBB135_1171
; %bb.1170:
	s_lshl_b64 s[4:5], s[22:23], 2
	s_add_u32 s0, s0, s4
	s_addc_u32 s1, s1, s5
	v_mov_b32_e32 v0, 0
	global_load_dword v1, v0, s[0:1]
	s_waitcnt vmcnt(0)
	v_add_u32_e32 v1, 1, v1
	global_store_dword v0, v1, s[0:1]
.LBB135_1171:
	s_or_b64 exec, exec, s[2:3]
	s_waitcnt vmcnt(0)
	buffer_wbinvl1_vol
	s_endpgm
.LBB135_1172:
	ds_read_b64 v[22:23], v21 offset:31680
	ds_read_b64 v[24:25], v20 offset:31208
	s_waitcnt lgkmcnt(0)
	v_fma_f64 v[10:11], v[22:23], v[24:25], v[10:11]
	s_or_b64 exec, exec, s[14:15]
	v_cmp_gt_u32_e64 s[10:11], 8, v15
	s_and_saveexec_b64 s[14:15], s[10:11]
	s_cbranch_execz .LBB135_80
.LBB135_1173:
	ds_read_b64 v[21:22], v21 offset:32192
	ds_read_b64 v[23:24], v20 offset:31216
	s_waitcnt lgkmcnt(0)
	v_fma_f64 v[10:11], v[21:22], v[23:24], v[10:11]
	s_or_b64 exec, exec, s[14:15]
	v_cmp_gt_u32_e64 s[10:11], 4, v15
	s_and_saveexec_b64 s[14:15], s[10:11]
	s_cbranch_execnz .LBB135_81
	s_branch .LBB135_82
.LBB135_1174:
	ds_read_b64 v[25:26], v24 offset:29568
	ds_read_b64 v[27:28], v23 offset:29128
	s_waitcnt lgkmcnt(0)
	v_fma_f64 v[10:11], v[25:26], v[27:28], v[10:11]
	s_or_b64 exec, exec, s[16:17]
	v_cmp_gt_u32_e64 s[14:15], 48, v15
	s_and_saveexec_b64 s[16:17], s[14:15]
	s_cbranch_execz .LBB135_122
.LBB135_1175:
	ds_read_b64 v[25:26], v24 offset:30080
	ds_read_b64 v[27:28], v23 offset:29136
	s_waitcnt lgkmcnt(0)
	v_fma_f64 v[10:11], v[25:26], v[27:28], v[10:11]
	s_or_b64 exec, exec, s[16:17]
	v_cmp_gt_u32_e64 s[14:15], 40, v15
	s_and_saveexec_b64 s[16:17], s[14:15]
	s_cbranch_execz .LBB135_123
.LBB135_1176:
	ds_read_b64 v[25:26], v24 offset:30592
	ds_read_b64 v[27:28], v23 offset:29144
	s_waitcnt lgkmcnt(0)
	v_fma_f64 v[10:11], v[25:26], v[27:28], v[10:11]
	s_or_b64 exec, exec, s[16:17]
	v_cmp_gt_u32_e64 s[14:15], 32, v15
	s_and_saveexec_b64 s[16:17], s[14:15]
	s_cbranch_execz .LBB135_124
.LBB135_1177:
	ds_read_b64 v[25:26], v24 offset:31104
	ds_read_b64 v[27:28], v23 offset:29152
	s_waitcnt lgkmcnt(0)
	v_fma_f64 v[10:11], v[25:26], v[27:28], v[10:11]
	s_or_b64 exec, exec, s[16:17]
	v_cmp_gt_u32_e64 s[14:15], 24, v15
	s_and_saveexec_b64 s[16:17], s[14:15]
	s_cbranch_execz .LBB135_125
.LBB135_1178:
	ds_read_b64 v[25:26], v24 offset:31616
	ds_read_b64 v[27:28], v23 offset:29160
	s_waitcnt lgkmcnt(0)
	v_fma_f64 v[10:11], v[25:26], v[27:28], v[10:11]
	s_or_b64 exec, exec, s[16:17]
	s_and_saveexec_b64 s[14:15], s[18:19]
	s_cbranch_execz .LBB135_126
.LBB135_1179:
	ds_read_b64 v[24:25], v24 offset:32128
	ds_read_b64 v[26:27], v23 offset:29168
	s_waitcnt lgkmcnt(0)
	v_fma_f64 v[10:11], v[24:25], v[26:27], v[10:11]
	s_or_b64 exec, exec, s[14:15]
	v_cmp_gt_u32_e64 s[14:15], 8, v15
	s_and_saveexec_b64 s[16:17], s[14:15]
	s_cbranch_execnz .LBB135_127
	s_branch .LBB135_128
.LBB135_1180:
	ds_read_b64 v[25:26], v24 offset:27520
	ds_read_b64 v[27:28], v23 offset:27048
	s_waitcnt lgkmcnt(0)
	v_fma_f64 v[10:11], v[25:26], v[27:28], v[10:11]
	s_or_b64 exec, exec, s[14:15]
	v_cmp_gt_u32_e64 s[10:11], 8, v15
	s_and_saveexec_b64 s[14:15], s[10:11]
	s_cbranch_execz .LBB135_184
.LBB135_1181:
	ds_read_b64 v[24:25], v24 offset:28032
	ds_read_b64 v[26:27], v23 offset:27056
	s_waitcnt lgkmcnt(0)
	v_fma_f64 v[10:11], v[24:25], v[26:27], v[10:11]
	s_or_b64 exec, exec, s[14:15]
	v_cmp_gt_u32_e64 s[10:11], 4, v15
	s_and_saveexec_b64 s[14:15], s[10:11]
	s_cbranch_execnz .LBB135_185
	s_branch .LBB135_186
.LBB135_1182:
	ds_read_b64 v[28:29], v27 offset:30464
	ds_read_b64 v[30:31], v26 offset:25048
	s_waitcnt lgkmcnt(0)
	v_fma_f64 v[10:11], v[28:29], v[30:31], v[10:11]
	s_or_b64 exec, exec, s[20:21]
	s_and_saveexec_b64 s[16:17], s[8:9]
	s_cbranch_execz .LBB135_246
.LBB135_1183:
	ds_read_b64 v[28:29], v27 offset:30976
	ds_read_b64 v[30:31], v26 offset:25056
	s_waitcnt lgkmcnt(0)
	v_fma_f64 v[10:11], v[28:29], v[30:31], v[10:11]
	s_or_b64 exec, exec, s[16:17]
	v_cmp_gt_u32_e64 s[16:17], 48, v15
	s_and_saveexec_b64 s[20:21], s[16:17]
	s_cbranch_execz .LBB135_247
.LBB135_1184:
	ds_read_b64 v[28:29], v27 offset:31488
	ds_read_b64 v[30:31], v26 offset:25064
	s_waitcnt lgkmcnt(0)
	v_fma_f64 v[10:11], v[28:29], v[30:31], v[10:11]
	s_or_b64 exec, exec, s[20:21]
	v_cmp_gt_u32_e64 s[16:17], 32, v15
	s_and_saveexec_b64 s[20:21], s[16:17]
	s_cbranch_execz .LBB135_248
.LBB135_1185:
	ds_read_b64 v[27:28], v27 offset:32000
	ds_read_b64 v[29:30], v26 offset:25072
	s_waitcnt lgkmcnt(0)
	v_fma_f64 v[10:11], v[27:28], v[29:30], v[10:11]
	s_or_b64 exec, exec, s[20:21]
	v_cmp_gt_u32_e64 s[16:17], 16, v15
	s_and_saveexec_b64 s[20:21], s[16:17]
	s_cbranch_execnz .LBB135_249
	s_branch .LBB135_250
.LBB135_1186:
	ds_read_b64 v[28:29], v27 offset:23360
	ds_read_b64 v[30:31], v26 offset:22888
	s_waitcnt lgkmcnt(0)
	v_fma_f64 v[10:11], v[28:29], v[30:31], v[10:11]
	s_or_b64 exec, exec, s[0:1]
	v_cmp_gt_u32_e64 s[14:15], 8, v15
	s_and_saveexec_b64 s[0:1], s[14:15]
	s_cbranch_execz .LBB135_338
.LBB135_1187:
	ds_read_b64 v[27:28], v27 offset:23872
	ds_read_b64 v[29:30], v26 offset:22896
	s_waitcnt lgkmcnt(0)
	v_fma_f64 v[10:11], v[27:28], v[29:30], v[10:11]
	s_or_b64 exec, exec, s[0:1]
	v_cmp_gt_u32_e64 s[14:15], 4, v15
	s_and_saveexec_b64 s[20:21], s[14:15]
	s_cbranch_execnz .LBB135_339
	s_branch .LBB135_340
.LBB135_1188:
	ds_read_b64 v[28:29], v27 offset:21248
	ds_read_b64 v[30:31], v26 offset:20808
	s_waitcnt lgkmcnt(0)
	v_fma_f64 v[10:11], v[28:29], v[30:31], v[10:11]
	s_or_b64 exec, exec, s[0:1]
	v_cmp_gt_u32_e64 s[14:15], 48, v15
	s_and_saveexec_b64 s[0:1], s[14:15]
	s_cbranch_execz .LBB135_380
.LBB135_1189:
	ds_read_b64 v[28:29], v27 offset:21760
	ds_read_b64 v[30:31], v26 offset:20816
	s_waitcnt lgkmcnt(0)
	v_fma_f64 v[10:11], v[28:29], v[30:31], v[10:11]
	s_or_b64 exec, exec, s[0:1]
	v_cmp_gt_u32_e64 s[14:15], 40, v15
	s_and_saveexec_b64 s[0:1], s[14:15]
	s_cbranch_execz .LBB135_381
.LBB135_1190:
	ds_read_b64 v[28:29], v27 offset:22272
	ds_read_b64 v[30:31], v26 offset:20824
	s_waitcnt lgkmcnt(0)
	v_fma_f64 v[10:11], v[28:29], v[30:31], v[10:11]
	s_or_b64 exec, exec, s[0:1]
	v_cmp_gt_u32_e64 s[14:15], 32, v15
	s_and_saveexec_b64 s[0:1], s[14:15]
	s_cbranch_execz .LBB135_382
.LBB135_1191:
	ds_read_b64 v[28:29], v27 offset:22784
	ds_read_b64 v[30:31], v26 offset:20832
	s_waitcnt lgkmcnt(0)
	v_fma_f64 v[10:11], v[28:29], v[30:31], v[10:11]
	s_or_b64 exec, exec, s[0:1]
	v_cmp_gt_u32_e64 s[14:15], 24, v15
	s_and_saveexec_b64 s[0:1], s[14:15]
	s_cbranch_execz .LBB135_383
.LBB135_1192:
	ds_read_b64 v[28:29], v27 offset:23296
	ds_read_b64 v[30:31], v26 offset:20840
	s_waitcnt lgkmcnt(0)
	v_fma_f64 v[10:11], v[28:29], v[30:31], v[10:11]
	s_or_b64 exec, exec, s[0:1]
	s_and_saveexec_b64 s[0:1], s[18:19]
	s_cbranch_execz .LBB135_384
.LBB135_1193:
	ds_read_b64 v[27:28], v27 offset:23808
	ds_read_b64 v[29:30], v26 offset:20848
	s_waitcnt lgkmcnt(0)
	v_fma_f64 v[10:11], v[27:28], v[29:30], v[10:11]
	s_or_b64 exec, exec, s[0:1]
	v_cmp_gt_u32_e64 s[14:15], 8, v15
	s_and_saveexec_b64 s[20:21], s[14:15]
	s_cbranch_execnz .LBB135_385
	s_branch .LBB135_386
.LBB135_1194:
	ds_read_b64 v[28:29], v27 offset:19200
	ds_read_b64 v[30:31], v26 offset:18728
	s_waitcnt lgkmcnt(0)
	v_fma_f64 v[10:11], v[28:29], v[30:31], v[10:11]
	s_or_b64 exec, exec, s[0:1]
	v_cmp_gt_u32_e64 s[14:15], 8, v15
	s_and_saveexec_b64 s[0:1], s[14:15]
	s_cbranch_execz .LBB135_442
.LBB135_1195:
	ds_read_b64 v[27:28], v27 offset:19712
	ds_read_b64 v[29:30], v26 offset:18736
	s_waitcnt lgkmcnt(0)
	v_fma_f64 v[10:11], v[27:28], v[29:30], v[10:11]
	s_or_b64 exec, exec, s[0:1]
	v_cmp_gt_u32_e64 s[14:15], 4, v15
	s_and_saveexec_b64 s[20:21], s[14:15]
	s_cbranch_execnz .LBB135_443
	s_branch .LBB135_444
.LBB135_1196:
	ds_read_b64 v[31:32], v27 offset:31232
	ds_read_b64 v[33:34], v30 offset:16872
	s_waitcnt lgkmcnt(0)
	v_fma_f64 v[10:11], v[31:32], v[33:34], v[10:11]
	s_or_b64 exec, exec, s[0:1]
	s_and_saveexec_b64 s[0:1], s[8:9]
	s_cbranch_execz .LBB135_540
.LBB135_1197:
	ds_read_b64 v[31:32], v27 offset:31744
	ds_read_b64 v[33:34], v30 offset:16880
	s_waitcnt lgkmcnt(0)
	v_fma_f64 v[10:11], v[31:32], v[33:34], v[10:11]
	s_or_b64 exec, exec, s[0:1]
	v_cmp_gt_u32_e64 s[20:21], 32, v15
	s_and_saveexec_b64 s[0:1], s[20:21]
	s_cbranch_execnz .LBB135_541
	s_branch .LBB135_542
.LBB135_1198:
	ds_read_b64 v[28:29], v27 offset:15040
	ds_read_b64 v[30:31], v26 offset:14568
	s_waitcnt lgkmcnt(0)
	v_fma_f64 v[10:11], v[28:29], v[30:31], v[10:11]
	s_or_b64 exec, exec, s[0:1]
	v_cmp_gt_u32_e64 s[12:13], 8, v15
	s_and_saveexec_b64 s[0:1], s[12:13]
	s_cbranch_execz .LBB135_694
.LBB135_1199:
	ds_read_b64 v[27:28], v27 offset:15552
	ds_read_b64 v[29:30], v26 offset:14576
	s_waitcnt lgkmcnt(0)
	v_fma_f64 v[10:11], v[27:28], v[29:30], v[10:11]
	s_or_b64 exec, exec, s[0:1]
	v_cmp_gt_u32_e64 s[12:13], 4, v15
	s_and_saveexec_b64 s[0:1], s[12:13]
	s_cbranch_execnz .LBB135_695
	s_branch .LBB135_696
.LBB135_1200:
	ds_read_b64 v[28:29], v27 offset:12928
	ds_read_b64 v[30:31], v26 offset:12488
	s_waitcnt lgkmcnt(0)
	v_fma_f64 v[10:11], v[28:29], v[30:31], v[10:11]
	s_or_b64 exec, exec, s[0:1]
	v_cmp_gt_u32_e64 s[12:13], 48, v15
	s_and_saveexec_b64 s[0:1], s[12:13]
	s_cbranch_execz .LBB135_736
.LBB135_1201:
	ds_read_b64 v[28:29], v27 offset:13440
	ds_read_b64 v[30:31], v26 offset:12496
	s_waitcnt lgkmcnt(0)
	v_fma_f64 v[10:11], v[28:29], v[30:31], v[10:11]
	s_or_b64 exec, exec, s[0:1]
	v_cmp_gt_u32_e64 s[12:13], 40, v15
	s_and_saveexec_b64 s[0:1], s[12:13]
	s_cbranch_execz .LBB135_737
.LBB135_1202:
	ds_read_b64 v[28:29], v27 offset:13952
	ds_read_b64 v[30:31], v26 offset:12504
	s_waitcnt lgkmcnt(0)
	v_fma_f64 v[10:11], v[28:29], v[30:31], v[10:11]
	s_or_b64 exec, exec, s[0:1]
	v_cmp_gt_u32_e64 s[12:13], 32, v15
	s_and_saveexec_b64 s[0:1], s[12:13]
	s_cbranch_execz .LBB135_738
.LBB135_1203:
	ds_read_b64 v[28:29], v27 offset:14464
	ds_read_b64 v[30:31], v26 offset:12512
	s_waitcnt lgkmcnt(0)
	v_fma_f64 v[10:11], v[28:29], v[30:31], v[10:11]
	s_or_b64 exec, exec, s[0:1]
	v_cmp_gt_u32_e64 s[12:13], 24, v15
	s_and_saveexec_b64 s[0:1], s[12:13]
	s_cbranch_execz .LBB135_739
.LBB135_1204:
	ds_read_b64 v[28:29], v27 offset:14976
	ds_read_b64 v[30:31], v26 offset:12520
	s_waitcnt lgkmcnt(0)
	v_fma_f64 v[10:11], v[28:29], v[30:31], v[10:11]
	s_or_b64 exec, exec, s[0:1]
	s_and_saveexec_b64 s[0:1], s[18:19]
	s_cbranch_execz .LBB135_740
.LBB135_1205:
	ds_read_b64 v[27:28], v27 offset:15488
	ds_read_b64 v[29:30], v26 offset:12528
	s_waitcnt lgkmcnt(0)
	v_fma_f64 v[10:11], v[27:28], v[29:30], v[10:11]
	s_or_b64 exec, exec, s[0:1]
	v_cmp_gt_u32_e64 s[12:13], 8, v15
	s_and_saveexec_b64 s[0:1], s[12:13]
	s_cbranch_execnz .LBB135_741
	s_branch .LBB135_742
.LBB135_1206:
	ds_read_b64 v[28:29], v27 offset:10880
	ds_read_b64 v[30:31], v26 offset:10408
	s_waitcnt lgkmcnt(0)
	v_fma_f64 v[10:11], v[28:29], v[30:31], v[10:11]
	s_or_b64 exec, exec, s[0:1]
	v_cmp_gt_u32_e64 s[12:13], 8, v15
	s_and_saveexec_b64 s[0:1], s[12:13]
	s_cbranch_execz .LBB135_798
.LBB135_1207:
	ds_read_b64 v[27:28], v27 offset:11392
	ds_read_b64 v[29:30], v26 offset:10416
	s_waitcnt lgkmcnt(0)
	v_fma_f64 v[10:11], v[27:28], v[29:30], v[10:11]
	s_or_b64 exec, exec, s[0:1]
	v_cmp_gt_u32_e64 s[12:13], 4, v15
	s_and_saveexec_b64 s[0:1], s[12:13]
	s_cbranch_execnz .LBB135_799
	s_branch .LBB135_800
.LBB135_1208:
	ds_read_b64 v[28:29], v27 offset:13824
	ds_read_b64 v[30:31], v26 offset:8408
	s_waitcnt lgkmcnt(0)
	v_fma_f64 v[10:11], v[28:29], v[30:31], v[10:11]
	s_or_b64 exec, exec, s[0:1]
	s_and_saveexec_b64 s[0:1], s[8:9]
	s_cbranch_execz .LBB135_860
.LBB135_1209:
	ds_read_b64 v[28:29], v27 offset:14336
	ds_read_b64 v[30:31], v26 offset:8416
	s_waitcnt lgkmcnt(0)
	v_fma_f64 v[10:11], v[28:29], v[30:31], v[10:11]
	s_or_b64 exec, exec, s[0:1]
	v_cmp_gt_u32_e64 s[12:13], 48, v15
	s_and_saveexec_b64 s[0:1], s[12:13]
	s_cbranch_execz .LBB135_861
.LBB135_1210:
	ds_read_b64 v[28:29], v27 offset:14848
	ds_read_b64 v[30:31], v26 offset:8424
	s_waitcnt lgkmcnt(0)
	v_fma_f64 v[10:11], v[28:29], v[30:31], v[10:11]
	s_or_b64 exec, exec, s[0:1]
	v_cmp_gt_u32_e64 s[12:13], 32, v15
	s_and_saveexec_b64 s[0:1], s[12:13]
	s_cbranch_execz .LBB135_862
.LBB135_1211:
	ds_read_b64 v[27:28], v27 offset:15360
	ds_read_b64 v[29:30], v26 offset:8432
	s_waitcnt lgkmcnt(0)
	v_fma_f64 v[10:11], v[27:28], v[29:30], v[10:11]
	s_or_b64 exec, exec, s[0:1]
	v_cmp_gt_u32_e64 s[12:13], 16, v15
	s_and_saveexec_b64 s[0:1], s[12:13]
	s_cbranch_execnz .LBB135_863
	s_branch .LBB135_864
.LBB135_1212:
	ds_read_b64 v[25:26], v24 offset:6720
	ds_read_b64 v[27:28], v23 offset:6248
	s_waitcnt lgkmcnt(0)
	v_fma_f64 v[10:11], v[25:26], v[27:28], v[10:11]
	s_or_b64 exec, exec, s[12:13]
	v_cmp_gt_u32_e64 s[10:11], 8, v15
	s_and_saveexec_b64 s[12:13], s[10:11]
	s_cbranch_execz .LBB135_952
.LBB135_1213:
	ds_read_b64 v[24:25], v24 offset:7232
	ds_read_b64 v[26:27], v23 offset:6256
	s_waitcnt lgkmcnt(0)
	v_fma_f64 v[10:11], v[24:25], v[26:27], v[10:11]
	s_or_b64 exec, exec, s[12:13]
	v_cmp_gt_u32_e64 s[10:11], 4, v15
	s_and_saveexec_b64 s[12:13], s[10:11]
	s_cbranch_execnz .LBB135_953
	s_branch .LBB135_954
.LBB135_1214:
	ds_read_b64 v[25:26], v24 offset:4608
	ds_read_b64 v[27:28], v23 offset:4168
	s_waitcnt lgkmcnt(0)
	v_fma_f64 v[10:11], v[25:26], v[27:28], v[10:11]
	s_or_b64 exec, exec, s[12:13]
	v_cmp_gt_u32_e64 s[10:11], 48, v15
	s_and_saveexec_b64 s[12:13], s[10:11]
	s_cbranch_execz .LBB135_994
.LBB135_1215:
	ds_read_b64 v[25:26], v24 offset:5120
	ds_read_b64 v[27:28], v23 offset:4176
	s_waitcnt lgkmcnt(0)
	v_fma_f64 v[10:11], v[25:26], v[27:28], v[10:11]
	s_or_b64 exec, exec, s[12:13]
	v_cmp_gt_u32_e64 s[10:11], 40, v15
	s_and_saveexec_b64 s[12:13], s[10:11]
	s_cbranch_execz .LBB135_995
.LBB135_1216:
	ds_read_b64 v[25:26], v24 offset:5632
	ds_read_b64 v[27:28], v23 offset:4184
	s_waitcnt lgkmcnt(0)
	v_fma_f64 v[10:11], v[25:26], v[27:28], v[10:11]
	s_or_b64 exec, exec, s[12:13]
	v_cmp_gt_u32_e64 s[10:11], 32, v15
	s_and_saveexec_b64 s[12:13], s[10:11]
	s_cbranch_execz .LBB135_996
.LBB135_1217:
	ds_read_b64 v[25:26], v24 offset:6144
	ds_read_b64 v[27:28], v23 offset:4192
	s_waitcnt lgkmcnt(0)
	v_fma_f64 v[10:11], v[25:26], v[27:28], v[10:11]
	s_or_b64 exec, exec, s[12:13]
	v_cmp_gt_u32_e64 s[10:11], 24, v15
	s_and_saveexec_b64 s[12:13], s[10:11]
	s_cbranch_execz .LBB135_997
.LBB135_1218:
	ds_read_b64 v[25:26], v24 offset:6656
	ds_read_b64 v[27:28], v23 offset:4200
	s_waitcnt lgkmcnt(0)
	v_fma_f64 v[10:11], v[25:26], v[27:28], v[10:11]
	s_or_b64 exec, exec, s[12:13]
	s_and_saveexec_b64 s[10:11], s[18:19]
	s_cbranch_execz .LBB135_998
.LBB135_1219:
	ds_read_b64 v[24:25], v24 offset:7168
	ds_read_b64 v[26:27], v23 offset:4208
	s_waitcnt lgkmcnt(0)
	v_fma_f64 v[10:11], v[24:25], v[26:27], v[10:11]
	s_or_b64 exec, exec, s[10:11]
	v_cmp_gt_u32_e64 s[10:11], 8, v15
	s_and_saveexec_b64 s[12:13], s[10:11]
	s_cbranch_execnz .LBB135_999
	s_branch .LBB135_1000
.LBB135_1220:
	ds_read_b64 v[22:23], v21 offset:2560
	ds_read_b64 v[24:25], v20 offset:2088
	s_waitcnt lgkmcnt(0)
	v_fma_f64 v[10:11], v[22:23], v[24:25], v[10:11]
	s_or_b64 exec, exec, s[10:11]
	v_cmp_gt_u32_e64 s[8:9], 8, v15
	s_and_saveexec_b64 s[10:11], s[8:9]
	s_cbranch_execz .LBB135_1056
.LBB135_1221:
	ds_read_b64 v[21:22], v21 offset:3072
	ds_read_b64 v[23:24], v20 offset:2096
	s_waitcnt lgkmcnt(0)
	v_fma_f64 v[10:11], v[21:22], v[23:24], v[10:11]
	s_or_b64 exec, exec, s[10:11]
	v_cmp_gt_u32_e64 s[8:9], 4, v15
	s_and_saveexec_b64 s[10:11], s[8:9]
	s_cbranch_execnz .LBB135_1057
	s_branch .LBB135_1058
	.section	.rodata,"a",@progbits
	.p2align	6, 0x0
	.amdhsa_kernel _ZL19rocblas_trsv_deviceILi64ELi16ELb0ELb1ELb1ELb1EddPKPKdPKPdEviT7_lllT6_T8_lllPii
		.amdhsa_group_segment_fixed_size 41480
		.amdhsa_private_segment_fixed_size 0
		.amdhsa_kernarg_size 352
		.amdhsa_user_sgpr_count 6
		.amdhsa_user_sgpr_private_segment_buffer 1
		.amdhsa_user_sgpr_dispatch_ptr 0
		.amdhsa_user_sgpr_queue_ptr 0
		.amdhsa_user_sgpr_kernarg_segment_ptr 1
		.amdhsa_user_sgpr_dispatch_id 0
		.amdhsa_user_sgpr_flat_scratch_init 0
		.amdhsa_user_sgpr_private_segment_size 0
		.amdhsa_uses_dynamic_stack 0
		.amdhsa_system_sgpr_private_segment_wavefront_offset 0
		.amdhsa_system_sgpr_workgroup_id_x 1
		.amdhsa_system_sgpr_workgroup_id_y 0
		.amdhsa_system_sgpr_workgroup_id_z 1
		.amdhsa_system_sgpr_workgroup_info 0
		.amdhsa_system_vgpr_workitem_id 1
		.amdhsa_next_free_vgpr 49
		.amdhsa_next_free_sgpr 98
		.amdhsa_reserve_vcc 1
		.amdhsa_reserve_flat_scratch 0
		.amdhsa_float_round_mode_32 0
		.amdhsa_float_round_mode_16_64 0
		.amdhsa_float_denorm_mode_32 3
		.amdhsa_float_denorm_mode_16_64 3
		.amdhsa_dx10_clamp 1
		.amdhsa_ieee_mode 1
		.amdhsa_fp16_overflow 0
		.amdhsa_exception_fp_ieee_invalid_op 0
		.amdhsa_exception_fp_denorm_src 0
		.amdhsa_exception_fp_ieee_div_zero 0
		.amdhsa_exception_fp_ieee_overflow 0
		.amdhsa_exception_fp_ieee_underflow 0
		.amdhsa_exception_fp_ieee_inexact 0
		.amdhsa_exception_int_div_zero 0
	.end_amdhsa_kernel
	.section	.text._ZL19rocblas_trsv_deviceILi64ELi16ELb0ELb1ELb1ELb1EddPKPKdPKPdEviT7_lllT6_T8_lllPii,"axG",@progbits,_ZL19rocblas_trsv_deviceILi64ELi16ELb0ELb1ELb1ELb1EddPKPKdPKPdEviT7_lllT6_T8_lllPii,comdat
.Lfunc_end135:
	.size	_ZL19rocblas_trsv_deviceILi64ELi16ELb0ELb1ELb1ELb1EddPKPKdPKPdEviT7_lllT6_T8_lllPii, .Lfunc_end135-_ZL19rocblas_trsv_deviceILi64ELi16ELb0ELb1ELb1ELb1EddPKPKdPKPdEviT7_lllT6_T8_lllPii
                                        ; -- End function
	.set _ZL19rocblas_trsv_deviceILi64ELi16ELb0ELb1ELb1ELb1EddPKPKdPKPdEviT7_lllT6_T8_lllPii.num_vgpr, 36
	.set _ZL19rocblas_trsv_deviceILi64ELi16ELb0ELb1ELb1ELb1EddPKPKdPKPdEviT7_lllT6_T8_lllPii.num_agpr, 0
	.set _ZL19rocblas_trsv_deviceILi64ELi16ELb0ELb1ELb1ELb1EddPKPKdPKPdEviT7_lllT6_T8_lllPii.numbered_sgpr, 96
	.set _ZL19rocblas_trsv_deviceILi64ELi16ELb0ELb1ELb1ELb1EddPKPKdPKPdEviT7_lllT6_T8_lllPii.num_named_barrier, 0
	.set _ZL19rocblas_trsv_deviceILi64ELi16ELb0ELb1ELb1ELb1EddPKPKdPKPdEviT7_lllT6_T8_lllPii.private_seg_size, 0
	.set _ZL19rocblas_trsv_deviceILi64ELi16ELb0ELb1ELb1ELb1EddPKPKdPKPdEviT7_lllT6_T8_lllPii.uses_vcc, 1
	.set _ZL19rocblas_trsv_deviceILi64ELi16ELb0ELb1ELb1ELb1EddPKPKdPKPdEviT7_lllT6_T8_lllPii.uses_flat_scratch, 0
	.set _ZL19rocblas_trsv_deviceILi64ELi16ELb0ELb1ELb1ELb1EddPKPKdPKPdEviT7_lllT6_T8_lllPii.has_dyn_sized_stack, 0
	.set _ZL19rocblas_trsv_deviceILi64ELi16ELb0ELb1ELb1ELb1EddPKPKdPKPdEviT7_lllT6_T8_lllPii.has_recursion, 0
	.set _ZL19rocblas_trsv_deviceILi64ELi16ELb0ELb1ELb1ELb1EddPKPKdPKPdEviT7_lllT6_T8_lllPii.has_indirect_call, 0
	.section	.AMDGPU.csdata,"",@progbits
; Kernel info:
; codeLenInByte = 36500
; TotalNumSgprs: 100
; NumVgprs: 36
; ScratchSize: 0
; MemoryBound: 0
; FloatMode: 240
; IeeeMode: 1
; LDSByteSize: 41480 bytes/workgroup (compile time only)
; SGPRBlocks: 12
; VGPRBlocks: 12
; NumSGPRsForWavesPerEU: 102
; NumVGPRsForWavesPerEU: 49
; Occupancy: 4
; WaveLimiterHint : 1
; COMPUTE_PGM_RSRC2:SCRATCH_EN: 0
; COMPUTE_PGM_RSRC2:USER_SGPR: 6
; COMPUTE_PGM_RSRC2:TRAP_HANDLER: 0
; COMPUTE_PGM_RSRC2:TGID_X_EN: 1
; COMPUTE_PGM_RSRC2:TGID_Y_EN: 0
; COMPUTE_PGM_RSRC2:TGID_Z_EN: 1
; COMPUTE_PGM_RSRC2:TIDIG_COMP_CNT: 1
	.section	.text._ZL19rocblas_trsv_deviceILi64ELi16ELb0ELb0ELb0ELb0EddPKPKdPKPdEviT7_lllT6_T8_lllPii,"axG",@progbits,_ZL19rocblas_trsv_deviceILi64ELi16ELb0ELb0ELb0ELb0EddPKPKdPKPdEviT7_lllT6_T8_lllPii,comdat
	.globl	_ZL19rocblas_trsv_deviceILi64ELi16ELb0ELb0ELb0ELb0EddPKPKdPKPdEviT7_lllT6_T8_lllPii ; -- Begin function _ZL19rocblas_trsv_deviceILi64ELi16ELb0ELb0ELb0ELb0EddPKPKdPKPdEviT7_lllT6_T8_lllPii
	.p2align	8
	.type	_ZL19rocblas_trsv_deviceILi64ELi16ELb0ELb0ELb0ELb0EddPKPKdPKPdEviT7_lllT6_T8_lllPii,@function
_ZL19rocblas_trsv_deviceILi64ELi16ELb0ELb0ELb0ELb0EddPKPKdPKPdEviT7_lllT6_T8_lllPii: ; @_ZL19rocblas_trsv_deviceILi64ELi16ELb0ELb0ELb0ELb0EddPKPKdPKPdEviT7_lllT6_T8_lllPii
; %bb.0:
	s_load_dwordx4 s[0:3], s[4:5], 0x8
	s_mov_b32 s18, s7
	s_mov_b32 s19, 0
	s_lshl_b64 s[8:9], s[18:19], 3
	v_mov_b32_e32 v2, v1
	s_waitcnt lgkmcnt(0)
	s_add_u32 s0, s0, s8
	s_addc_u32 s1, s1, s9
	s_load_dwordx2 s[10:11], s[0:1], 0x0
	s_load_dword s28, s[4:5], 0x0
	s_load_dwordx2 s[30:31], s[4:5], 0x18
	s_load_dwordx8 s[20:27], s[4:5], 0x28
	s_lshl_b64 s[0:1], s[2:3], 3
	s_waitcnt lgkmcnt(0)
	s_add_u32 s85, s10, s0
	s_addc_u32 s86, s11, s1
	s_load_dword s7, s[4:5], 0x60
	s_add_u32 s0, s22, s8
	s_addc_u32 s1, s23, s9
	s_load_dwordx2 s[44:45], s[0:1], 0x0
	s_load_dword s34, s[4:5], 0x6c
	s_waitcnt lgkmcnt(0)
	s_add_i32 s7, s7, -1
	s_sub_i32 s87, s7, s6
	s_cmp_lg_u32 s6, 0
	s_cbranch_scc0 .LBB136_994
; %bb.1:
	s_lshl_b32 s33, s87, 6
	v_add3_u32 v1, v2, s33, 64
	v_ashrrev_i32_e32 v3, 31, v1
	v_mul_lo_u32 v7, s30, v3
	v_mul_lo_u32 v8, s31, v1
	v_mad_u64_u32 v[3:4], s[0:1], s30, v1, 0
	v_add_u32_e32 v5, s33, v0
	v_ashrrev_i32_e32 v6, 31, v5
	v_add3_u32 v4, v4, v7, v8
	v_lshlrev_b64 v[3:4], 3, v[3:4]
	v_mov_b32_e32 v7, s86
	v_add_co_u32_e64 v8, s[0:1], s85, v3
	v_addc_co_u32_e64 v7, s[0:1], v7, v4, s[0:1]
	v_lshlrev_b64 v[3:4], 3, v[5:6]
	v_cmp_gt_i32_e32 vcc, s28, v5
	v_add_co_u32_e64 v11, s[0:1], v8, v3
	v_addc_co_u32_e64 v12, s[0:1], v7, v4, s[0:1]
	v_cmp_gt_i32_e64 s[0:1], s28, v1
	v_mov_b32_e32 v5, 0
	v_mov_b32_e32 v3, 0
	;; [unrolled: 1-line block ×4, first 2 shown]
	s_and_b64 s[2:3], vcc, s[0:1]
	s_barrier
	s_and_saveexec_b64 s[0:1], s[2:3]
	s_cbranch_execz .LBB136_3
; %bb.2:
	flat_load_dwordx2 v[3:4], v[11:12]
.LBB136_3:
	s_or_b64 exec, exec, s[0:1]
	v_add_u32_e32 v7, 16, v1
	v_cmp_gt_i32_e64 s[0:1], s28, v7
	s_and_b64 s[0:1], vcc, s[0:1]
	s_waitcnt vmcnt(0) lgkmcnt(0)
	s_barrier
	s_and_saveexec_b64 s[2:3], s[0:1]
	s_cbranch_execz .LBB136_5
; %bb.4:
	s_lshl_b64 s[0:1], s[30:31], 7
	v_mov_b32_e32 v6, s1
	v_add_co_u32_e64 v5, s[0:1], s0, v11
	v_addc_co_u32_e64 v6, s[0:1], v12, v6, s[0:1]
	flat_load_dwordx2 v[5:6], v[5:6]
.LBB136_5:
	s_or_b64 exec, exec, s[2:3]
	v_add_u32_e32 v7, 32, v1
	v_cmp_gt_i32_e64 s[0:1], s28, v7
	v_mov_b32_e32 v7, 0
	v_mov_b32_e32 v9, 0
	;; [unrolled: 1-line block ×4, first 2 shown]
	s_and_b64 s[0:1], vcc, s[0:1]
	s_waitcnt vmcnt(0) lgkmcnt(0)
	s_barrier
	s_and_saveexec_b64 s[2:3], s[0:1]
	s_cbranch_execz .LBB136_7
; %bb.6:
	s_lshl_b64 s[0:1], s[30:31], 8
	v_mov_b32_e32 v10, s1
	v_add_co_u32_e64 v9, s[0:1], s0, v11
	v_addc_co_u32_e64 v10, s[0:1], v12, v10, s[0:1]
	flat_load_dwordx2 v[9:10], v[9:10]
.LBB136_7:
	s_or_b64 exec, exec, s[2:3]
	v_add_u32_e32 v1, 48, v1
	v_cmp_gt_i32_e64 s[0:1], s28, v1
	s_and_b64 s[2:3], vcc, s[0:1]
	s_waitcnt vmcnt(0) lgkmcnt(0)
	s_barrier
	s_and_saveexec_b64 s[0:1], s[2:3]
	s_cbranch_execz .LBB136_9
; %bb.8:
	v_mov_b32_e32 v1, 0x180
	v_mad_u64_u32 v[7:8], s[2:3], s30, v1, v[11:12]
	s_mul_i32 s2, s31, 0x180
	v_add_u32_e32 v8, s2, v8
	flat_load_dwordx2 v[7:8], v[7:8]
.LBB136_9:
	s_or_b64 exec, exec, s[0:1]
	s_branch .LBB136_11
.LBB136_10:
	s_lshl_b32 s33, s87, 6
                                        ; implicit-def: $vgpr3_vgpr4
                                        ; implicit-def: $vgpr5_vgpr6
                                        ; implicit-def: $vgpr9_vgpr10
                                        ; implicit-def: $vgpr7_vgpr8
.LBB136_11:
	s_ashr_i32 s29, s28, 31
	s_lshr_b32 s0, s29, 26
	s_add_i32 s0, s28, s0
	s_andn2_b32 s0, s0, 63
	s_sub_i32 s84, s28, s0
	s_add_i32 s0, s28, -1
	s_ashr_i32 s1, s0, 31
	s_lshr_b32 s1, s1, 26
	s_add_i32 s0, s0, s1
	s_ashr_i32 s0, s0, 6
	s_cmp_eq_u32 s0, s87
	s_cselect_b64 s[0:1], -1, 0
	s_cmp_lg_u32 s84, 0
	s_cselect_b64 s[2:3], -1, 0
	s_and_b64 s[22:23], s[2:3], s[0:1]
	s_ashr_i32 s54, s33, 31
	s_add_u32 s8, s30, 1
	v_mov_b32_e32 v1, 0
	v_mov_b32_e32 v11, s33
	v_mad_u64_u32 v[11:12], s[0:1], s8, v11, v[0:1]
	s_addc_u32 s9, s31, 0
	s_mul_i32 s0, s8, s54
	s_mul_i32 s9, s9, s33
	s_add_i32 s0, s0, s9
	s_mov_b64 s[2:3], -1
	v_add_u32_e32 v12, s0, v12
	s_and_b64 vcc, exec, s[22:23]
	v_cmp_le_u32_e64 s[0:1], v2, v0
	s_cbranch_vccnz .LBB136_33
; %bb.12:
	v_mad_u64_u32 v[15:16], s[2:3], s30, v2, v[11:12]
	v_mov_b32_e32 v1, v16
	v_mad_u64_u32 v[13:14], s[2:3], s31, v2, v[1:2]
	s_mov_b64 s[2:3], 0
	v_mov_b32_e32 v16, v13
                                        ; implicit-def: $vgpr13_vgpr14
	s_and_saveexec_b64 s[8:9], s[0:1]
	s_xor_b64 s[0:1], exec, s[8:9]
	s_cbranch_execnz .LBB136_995
; %bb.13:
	s_andn2_saveexec_b64 s[0:1], s[0:1]
	s_cbranch_execnz .LBB136_1000
.LBB136_14:
	s_or_b64 exec, exec, s[0:1]
	s_and_saveexec_b64 s[0:1], s[2:3]
.LBB136_15:
	v_lshlrev_b32_e32 v1, 3, v0
	v_lshl_add_u32 v1, v2, 9, v1
	ds_write_b64 v1, v[13:14]
.LBB136_16:
	s_or_b64 exec, exec, s[0:1]
	v_add_u32_e32 v1, 16, v2
	v_mad_u64_u32 v[15:16], s[0:1], s30, v1, v[11:12]
	v_cmp_le_u32_e32 vcc, v1, v0
	s_mov_b64 s[2:3], 0
	v_mov_b32_e32 v13, v16
	v_mad_u64_u32 v[13:14], s[0:1], s31, v1, v[13:14]
	v_mov_b32_e32 v16, v13
                                        ; implicit-def: $vgpr13_vgpr14
	s_and_saveexec_b64 s[0:1], vcc
	s_xor_b64 s[0:1], exec, s[0:1]
	s_cbranch_execnz .LBB136_1001
; %bb.17:
	s_andn2_saveexec_b64 s[0:1], s[0:1]
	s_cbranch_execnz .LBB136_1006
.LBB136_18:
	s_or_b64 exec, exec, s[0:1]
	s_and_saveexec_b64 s[0:1], s[2:3]
.LBB136_19:
	v_lshlrev_b32_e32 v15, 3, v0
	v_lshl_add_u32 v1, v1, 9, v15
	ds_write_b64 v1, v[13:14]
.LBB136_20:
	s_or_b64 exec, exec, s[0:1]
	v_add_u32_e32 v1, 32, v2
	v_mad_u64_u32 v[15:16], s[0:1], s30, v1, v[11:12]
	v_cmp_le_u32_e32 vcc, v1, v0
	s_mov_b64 s[2:3], 0
	v_mov_b32_e32 v13, v16
	v_mad_u64_u32 v[13:14], s[0:1], s31, v1, v[13:14]
	v_mov_b32_e32 v16, v13
                                        ; implicit-def: $vgpr13_vgpr14
	s_and_saveexec_b64 s[0:1], vcc
	s_xor_b64 s[0:1], exec, s[0:1]
	s_cbranch_execnz .LBB136_1007
; %bb.21:
	s_andn2_saveexec_b64 s[0:1], s[0:1]
	s_cbranch_execnz .LBB136_1012
.LBB136_22:
	s_or_b64 exec, exec, s[0:1]
	s_and_saveexec_b64 s[0:1], s[2:3]
.LBB136_23:
	v_lshlrev_b32_e32 v15, 3, v0
	v_lshl_add_u32 v1, v1, 9, v15
	ds_write_b64 v1, v[13:14]
.LBB136_24:
	s_or_b64 exec, exec, s[0:1]
	v_add_u32_e32 v1, 48, v2
	v_mad_u64_u32 v[15:16], s[0:1], s30, v1, v[11:12]
	v_cmp_le_u32_e32 vcc, v1, v0
	s_mov_b64 s[8:9], 0
	v_mov_b32_e32 v13, v16
	v_mad_u64_u32 v[13:14], s[0:1], s31, v1, v[13:14]
	v_mov_b32_e32 v16, v13
                                        ; implicit-def: $vgpr13_vgpr14
	s_and_saveexec_b64 s[0:1], vcc
	s_xor_b64 s[0:1], exec, s[0:1]
	s_cbranch_execz .LBB136_30
; %bb.25:
	v_cmp_ne_u32_e32 vcc, v0, v1
	s_mov_b64 s[2:3], 0
	s_and_saveexec_b64 s[8:9], vcc
	s_xor_b64 s[8:9], exec, s[8:9]
; %bb.26:
	v_or_b32_e32 v13, v1, v0
	v_cmp_gt_u32_e32 vcc, 64, v13
	s_and_b64 s[2:3], vcc, exec
                                        ; implicit-def: $vgpr15_vgpr16
; %bb.27:
	s_or_saveexec_b64 s[8:9], s[8:9]
	v_mov_b32_e32 v13, 0
	v_mov_b32_e32 v14, 0
	s_xor_b64 exec, exec, s[8:9]
	s_cbranch_execz .LBB136_29
; %bb.28:
	v_lshlrev_b64 v[13:14], 3, v[15:16]
	v_mov_b32_e32 v1, s86
	v_add_co_u32_e32 v13, vcc, s85, v13
	v_addc_co_u32_e32 v14, vcc, v1, v14, vcc
	flat_load_dwordx2 v[13:14], v[13:14]
	s_or_b64 s[2:3], s[2:3], exec
	v_mov_b32_e32 v1, v0
	s_waitcnt vmcnt(0) lgkmcnt(0)
	v_div_scale_f64 v[15:16], s[10:11], v[13:14], v[13:14], 1.0
	v_div_scale_f64 v[21:22], vcc, 1.0, v[13:14], 1.0
	v_rcp_f64_e32 v[17:18], v[15:16]
	v_fma_f64 v[19:20], -v[15:16], v[17:18], 1.0
	v_fma_f64 v[17:18], v[17:18], v[19:20], v[17:18]
	v_fma_f64 v[19:20], -v[15:16], v[17:18], 1.0
	v_fma_f64 v[17:18], v[17:18], v[19:20], v[17:18]
	v_mul_f64 v[19:20], v[21:22], v[17:18]
	v_fma_f64 v[15:16], -v[15:16], v[19:20], v[21:22]
	v_div_fmas_f64 v[15:16], v[15:16], v[17:18], v[19:20]
	v_div_fixup_f64 v[13:14], v[15:16], v[13:14], 1.0
.LBB136_29:
	s_or_b64 exec, exec, s[8:9]
	s_and_b64 s[8:9], s[2:3], exec
                                        ; implicit-def: $vgpr15_vgpr16
.LBB136_30:
	s_andn2_saveexec_b64 s[0:1], s[0:1]
	s_cbranch_execz .LBB136_32
; %bb.31:
	v_lshlrev_b64 v[13:14], 3, v[15:16]
	v_mov_b32_e32 v15, s86
	v_add_co_u32_e32 v13, vcc, s85, v13
	v_addc_co_u32_e32 v14, vcc, v15, v14, vcc
	flat_load_dwordx2 v[13:14], v[13:14]
	s_or_b64 s[8:9], s[8:9], exec
	s_waitcnt vmcnt(0) lgkmcnt(0)
	v_xor_b32_e32 v14, 0x80000000, v14
.LBB136_32:
	s_or_b64 exec, exec, s[0:1]
	s_branch .LBB136_55
.LBB136_33:
	s_mov_b64 s[8:9], 0
                                        ; implicit-def: $vgpr13_vgpr14
                                        ; implicit-def: $vgpr1
	s_and_b64 vcc, exec, s[2:3]
	s_cbranch_vccz .LBB136_55
; %bb.34:
	v_mad_u64_u32 v[13:14], s[0:1], s30, v2, v[11:12]
	v_cmp_le_u32_e32 vcc, v2, v0
	v_cmp_gt_i32_e64 s[0:1], s84, v0
	v_mov_b32_e32 v1, v14
	v_mad_u64_u32 v[14:15], s[2:3], s31, v2, v[1:2]
	v_max_i32_e32 v1, v2, v0
	v_cmp_le_i32_e64 s[2:3], s84, v1
	s_or_b64 s[2:3], s[2:3], vcc
	s_mov_b64 s[10:11], 0
                                        ; implicit-def: $vgpr15_vgpr16
	s_and_saveexec_b64 s[12:13], s[2:3]
	s_xor_b64 s[2:3], exec, s[12:13]
	s_cbranch_execnz .LBB136_1013
; %bb.35:
	s_andn2_saveexec_b64 s[2:3], s[2:3]
	s_cbranch_execnz .LBB136_1018
.LBB136_36:
	s_or_b64 exec, exec, s[2:3]
	s_and_saveexec_b64 s[2:3], s[10:11]
.LBB136_37:
	v_lshlrev_b32_e32 v1, 3, v0
	v_lshl_add_u32 v1, v2, 9, v1
	ds_write_b64 v1, v[15:16]
.LBB136_38:
	s_or_b64 exec, exec, s[2:3]
	v_add_u32_e32 v1, 16, v2
	v_mad_u64_u32 v[13:14], s[2:3], s30, v1, v[11:12]
	v_cmp_gt_u32_e32 vcc, v1, v0
	s_mov_b64 s[10:11], 0
	v_mad_u64_u32 v[14:15], s[2:3], s31, v1, v[14:15]
	v_cmp_gt_i32_e64 s[2:3], s84, v1
	s_and_b64 s[2:3], vcc, s[2:3]
	s_and_b64 s[2:3], s[0:1], s[2:3]
	s_xor_b64 s[2:3], s[2:3], -1
                                        ; implicit-def: $vgpr15_vgpr16
	s_and_saveexec_b64 s[12:13], s[2:3]
	s_xor_b64 s[2:3], exec, s[12:13]
	s_cbranch_execnz .LBB136_1019
; %bb.39:
	s_andn2_saveexec_b64 s[2:3], s[2:3]
	s_cbranch_execnz .LBB136_1024
.LBB136_40:
	s_or_b64 exec, exec, s[2:3]
	s_and_saveexec_b64 s[2:3], s[10:11]
.LBB136_41:
	v_lshlrev_b32_e32 v13, 3, v0
	v_lshl_add_u32 v1, v1, 9, v13
	ds_write_b64 v1, v[15:16]
.LBB136_42:
	s_or_b64 exec, exec, s[2:3]
	v_add_u32_e32 v1, 32, v2
	v_mad_u64_u32 v[13:14], s[2:3], s30, v1, v[11:12]
	v_cmp_gt_u32_e32 vcc, v1, v0
	s_mov_b64 s[10:11], 0
	v_mad_u64_u32 v[14:15], s[2:3], s31, v1, v[14:15]
	v_cmp_gt_i32_e64 s[2:3], s84, v1
	s_and_b64 s[2:3], vcc, s[2:3]
	s_and_b64 s[2:3], s[0:1], s[2:3]
	s_xor_b64 s[2:3], s[2:3], -1
                                        ; implicit-def: $vgpr15_vgpr16
	s_and_saveexec_b64 s[12:13], s[2:3]
	s_xor_b64 s[2:3], exec, s[12:13]
	s_cbranch_execnz .LBB136_1025
; %bb.43:
	s_andn2_saveexec_b64 s[2:3], s[2:3]
	s_cbranch_execnz .LBB136_1030
.LBB136_44:
	s_or_b64 exec, exec, s[2:3]
	s_and_saveexec_b64 s[2:3], s[10:11]
.LBB136_45:
	v_lshlrev_b32_e32 v13, 3, v0
	v_lshl_add_u32 v1, v1, 9, v13
	ds_write_b64 v1, v[15:16]
.LBB136_46:
	s_or_b64 exec, exec, s[2:3]
	v_add_u32_e32 v1, 48, v2
	v_mad_u64_u32 v[11:12], s[2:3], s30, v1, v[11:12]
	v_cmp_gt_u32_e32 vcc, v1, v0
	v_mad_u64_u32 v[12:13], s[2:3], s31, v1, v[12:13]
	v_cmp_gt_i32_e64 s[2:3], s84, v1
	s_and_b64 s[2:3], vcc, s[2:3]
	s_and_b64 s[2:3], s[0:1], s[2:3]
	s_xor_b64 s[2:3], s[2:3], -1
                                        ; implicit-def: $vgpr13_vgpr14
	s_and_saveexec_b64 s[10:11], s[2:3]
	s_xor_b64 s[2:3], exec, s[10:11]
	s_cbranch_execz .LBB136_52
; %bb.47:
	v_cmp_ne_u32_e32 vcc, v0, v1
	s_xor_b64 s[0:1], s[0:1], -1
	s_or_b64 s[10:11], s[0:1], vcc
	s_mov_b64 s[0:1], s[8:9]
	s_and_saveexec_b64 s[12:13], s[10:11]
	s_xor_b64 s[10:11], exec, s[12:13]
; %bb.48:
	v_or_b32_e32 v11, v1, v0
	v_cmp_gt_u32_e32 vcc, 64, v11
	s_andn2_b64 s[0:1], s[8:9], exec
	s_and_b64 s[12:13], vcc, exec
	s_or_b64 s[0:1], s[0:1], s[12:13]
                                        ; implicit-def: $vgpr11_vgpr12
; %bb.49:
	s_or_saveexec_b64 s[10:11], s[10:11]
	v_mov_b32_e32 v13, 0
	v_mov_b32_e32 v14, 0
	s_xor_b64 exec, exec, s[10:11]
	s_cbranch_execz .LBB136_51
; %bb.50:
	v_lshlrev_b64 v[11:12], 3, v[11:12]
	v_mov_b32_e32 v1, s86
	v_add_co_u32_e32 v11, vcc, s85, v11
	v_addc_co_u32_e32 v12, vcc, v1, v12, vcc
	flat_load_dwordx2 v[11:12], v[11:12]
	s_or_b64 s[0:1], s[0:1], exec
	v_mov_b32_e32 v1, v0
	s_waitcnt vmcnt(0) lgkmcnt(0)
	v_div_scale_f64 v[13:14], s[12:13], v[11:12], v[11:12], 1.0
	v_div_scale_f64 v[19:20], vcc, 1.0, v[11:12], 1.0
	v_rcp_f64_e32 v[15:16], v[13:14]
	v_fma_f64 v[17:18], -v[13:14], v[15:16], 1.0
	v_fma_f64 v[15:16], v[15:16], v[17:18], v[15:16]
	v_fma_f64 v[17:18], -v[13:14], v[15:16], 1.0
	v_fma_f64 v[15:16], v[15:16], v[17:18], v[15:16]
	v_mul_f64 v[17:18], v[19:20], v[15:16]
	v_fma_f64 v[13:14], -v[13:14], v[17:18], v[19:20]
	v_div_fmas_f64 v[13:14], v[13:14], v[15:16], v[17:18]
	v_div_fixup_f64 v[13:14], v[13:14], v[11:12], 1.0
.LBB136_51:
	s_or_b64 exec, exec, s[10:11]
	s_andn2_b64 s[8:9], s[8:9], exec
	s_and_b64 s[0:1], s[0:1], exec
	s_or_b64 s[8:9], s[8:9], s[0:1]
                                        ; implicit-def: $vgpr11_vgpr12
.LBB136_52:
	s_andn2_saveexec_b64 s[0:1], s[2:3]
	s_cbranch_execz .LBB136_54
; %bb.53:
	v_lshlrev_b64 v[11:12], 3, v[11:12]
	v_mov_b32_e32 v13, s86
	v_add_co_u32_e32 v11, vcc, s85, v11
	v_addc_co_u32_e32 v12, vcc, v13, v12, vcc
	flat_load_dwordx2 v[13:14], v[11:12]
	s_or_b64 s[8:9], s[8:9], exec
	s_waitcnt vmcnt(0) lgkmcnt(0)
	v_xor_b32_e32 v14, 0x80000000, v14
.LBB136_54:
	s_or_b64 exec, exec, s[0:1]
.LBB136_55:
	s_and_saveexec_b64 s[0:1], s[8:9]
; %bb.56:
	v_lshlrev_b32_e32 v11, 3, v0
	v_lshl_add_u32 v1, v1, 9, v11
	ds_write_b64 v1, v[13:14]
; %bb.57:
	s_or_b64 exec, exec, s[0:1]
	s_cmp_lt_i32 s6, 5
	s_cselect_b64 s[0:1], -1, 0
	s_or_b64 s[36:37], s[0:1], s[22:23]
	s_and_b64 vcc, exec, s[36:37]
	s_waitcnt vmcnt(0) lgkmcnt(0)
	s_barrier
	s_cbranch_vccnz .LBB136_925
; %bb.58:
	v_or_b32_e32 v1, v0, v2
	v_cmp_eq_u32_e32 vcc, 0, v1
	s_and_saveexec_b64 s[0:1], vcc
	s_cbranch_execz .LBB136_60
; %bb.59:
	v_mov_b32_e32 v1, 0
	ds_read_b128 v[11:14], v1 offset:32752
	ds_read_b64 v[15:16], v1 offset:32240
	s_waitcnt lgkmcnt(0)
	v_mul_f64 v[13:14], v[15:16], v[13:14]
	v_mul_f64 v[11:12], v[11:12], v[13:14]
	ds_write_b64 v1, v[11:12] offset:32752
.LBB136_60:
	s_or_b64 exec, exec, s[0:1]
	v_lshlrev_b32_e32 v11, 6, v2
	v_add_u32_e32 v15, v11, v0
	v_and_b32_e32 v12, v11, v0
	v_xor_b32_e32 v11, v11, v0
	v_lshrrev_b16_e32 v11, 1, v11
	v_add_u16_e32 v14, v12, v11
	v_mov_b32_e32 v11, 0
	v_and_b32_e32 v1, 1, v0
	v_sub_u32_e32 v13, 1, v14
	v_cmp_lt_u32_e64 s[2:3], 3, v15
	v_mov_b32_e32 v12, 0
	v_cmp_gt_u32_e64 s[0:1], 4, v15
	s_waitcnt lgkmcnt(0)
	s_barrier
	buffer_wbinvl1_vol
	s_and_saveexec_b64 s[10:11], s[0:1]
	s_cbranch_execz .LBB136_64
; %bb.61:
	v_lshlrev_b32_e32 v16, 9, v13
	v_lshlrev_b32_e32 v11, 3, v1
	ds_read_b64 v[11:12], v11 offset:32224
	ds_read_b64 v[16:17], v16 offset:32240
	v_cmp_gt_u32_e64 s[8:9], 2, v15
	s_waitcnt lgkmcnt(0)
	v_fma_f64 v[11:12], v[11:12], v[16:17], 0
	s_and_saveexec_b64 s[12:13], s[8:9]
	s_cbranch_execz .LBB136_63
; %bb.62:
	v_lshlrev_b32_e32 v16, 3, v0
	v_mov_b32_e32 v18, 0
	ds_read_b64 v[16:17], v16 offset:32736
	ds_read_b64 v[18:19], v18 offset:32760
	s_waitcnt lgkmcnt(0)
	v_fma_f64 v[11:12], v[16:17], v[18:19], v[11:12]
.LBB136_63:
	s_or_b64 exec, exec, s[12:13]
.LBB136_64:
	s_or_b64 exec, exec, s[10:11]
	v_mov_b32_e32 v16, 0x8000
	v_cmp_ne_u32_e64 s[8:9], 0, v1
	s_xor_b64 s[10:11], s[2:3], -1
	v_lshl_add_u32 v14, v14, 3, v16
	s_and_b64 s[40:41], s[8:9], s[10:11]
	s_and_saveexec_b64 s[2:3], s[40:41]
	s_cbranch_execz .LBB136_66
; %bb.65:
	v_mov_b32_e32 v16, 0
	ds_read_b64 v[16:17], v16 offset:31720
	s_waitcnt lgkmcnt(0)
	v_mul_f64 v[11:12], v[11:12], v[16:17]
	v_xor_b32_e32 v17, 0x80000000, v12
	v_mov_b32_e32 v16, v11
	ds_write_b64 v14, v[16:17]
.LBB136_66:
	s_or_b64 exec, exec, s[2:3]
	v_cmp_eq_u32_e64 s[2:3], 0, v1
	s_and_b64 s[38:39], s[2:3], s[10:11]
	s_waitcnt lgkmcnt(0)
	s_barrier
	s_and_saveexec_b64 s[2:3], s[38:39]
	s_cbranch_execz .LBB136_68
; %bb.67:
	v_mov_b32_e32 v16, 0
	ds_read_b64 v[16:17], v16 offset:31712
	ds_read_b64 v[18:19], v14
	s_waitcnt lgkmcnt(0)
	v_fma_f64 v[11:12], -v[16:17], v[18:19], v[11:12]
.LBB136_68:
	s_or_b64 exec, exec, s[2:3]
	s_barrier
	s_and_saveexec_b64 s[2:3], s[38:39]
	s_cbranch_execz .LBB136_70
; %bb.69:
	v_mov_b32_e32 v16, 0
	ds_read_b64 v[16:17], v16 offset:31200
	s_waitcnt lgkmcnt(0)
	v_mul_f64 v[11:12], v[11:12], v[16:17]
	v_xor_b32_e32 v17, 0x80000000, v12
	v_mov_b32_e32 v16, v11
	ds_write_b64 v14, v[16:17]
.LBB136_70:
	s_or_b64 exec, exec, s[2:3]
	s_waitcnt lgkmcnt(0)
	s_barrier
	s_barrier
	s_and_saveexec_b64 s[2:3], s[0:1]
; %bb.71:
	v_lshlrev_b32_e32 v16, 3, v1
	v_lshl_or_b32 v16, v13, 9, v16
	ds_write_b64 v16, v[11:12] offset:32224
; %bb.72:
	s_or_b64 exec, exec, s[2:3]
	s_waitcnt lgkmcnt(0)
	s_barrier
	s_barrier
	s_and_saveexec_b64 s[2:3], vcc
	s_cbranch_execz .LBB136_74
; %bb.73:
	v_mov_b32_e32 v20, 0
	ds_read_b128 v[16:19], v20 offset:31712
	ds_read_b64 v[11:12], v20 offset:31200
	s_waitcnt lgkmcnt(0)
	v_mul_f64 v[11:12], v[11:12], v[18:19]
	v_mul_f64 v[11:12], v[16:17], v[11:12]
	ds_write_b64 v20, v[11:12] offset:31712
.LBB136_74:
	s_or_b64 exec, exec, s[2:3]
	v_lshrrev_b32_e32 v18, 2, v15
	v_mov_b32_e32 v11, 0
	v_and_b32_e32 v16, 3, v0
	v_sub_u32_e32 v17, 3, v18
	v_cmp_lt_u32_e64 s[8:9], 15, v15
	v_mov_b32_e32 v12, 0
	v_cmp_gt_u32_e64 s[2:3], 16, v15
	s_waitcnt lgkmcnt(0)
	s_barrier
	buffer_wbinvl1_vol
	s_and_saveexec_b64 s[12:13], s[2:3]
	s_cbranch_execz .LBB136_80
; %bb.75:
	v_lshlrev_b32_e32 v20, 3, v16
	v_lshlrev_b32_e32 v19, 9, v17
	ds_read_b64 v[11:12], v20 offset:31168
	ds_read_b64 v[21:22], v19 offset:31200
	v_cmp_gt_u32_e64 s[10:11], 12, v15
	s_waitcnt lgkmcnt(0)
	v_fma_f64 v[11:12], v[11:12], v[21:22], 0
	s_and_saveexec_b64 s[14:15], s[10:11]
	s_cbranch_execnz .LBB136_1035
; %bb.76:
	s_or_b64 exec, exec, s[14:15]
	v_cmp_gt_u32_e64 s[10:11], 8, v15
	s_and_saveexec_b64 s[14:15], s[10:11]
	s_cbranch_execnz .LBB136_1036
.LBB136_77:
	s_or_b64 exec, exec, s[14:15]
	v_cmp_gt_u32_e64 s[10:11], 4, v15
	s_and_saveexec_b64 s[14:15], s[10:11]
	s_cbranch_execz .LBB136_79
.LBB136_78:
	v_lshlrev_b32_e32 v19, 3, v0
	v_mov_b32_e32 v21, 0
	ds_read_b64 v[19:20], v19 offset:32704
	ds_read_b64 v[21:22], v21 offset:32760
	s_waitcnt lgkmcnt(0)
	v_fma_f64 v[11:12], v[19:20], v[21:22], v[11:12]
.LBB136_79:
	s_or_b64 exec, exec, s[14:15]
.LBB136_80:
                                        ; implicit-def: $vgpr36 : SGPR spill to VGPR lane
	v_writelane_b32 v36, s44, 0
	v_writelane_b32 v36, s45, 1
	s_or_b64 exec, exec, s[12:13]
	v_mov_b32_e32 v19, 0x8000
	v_cmp_eq_u32_e64 s[10:11], 3, v16
	s_xor_b64 s[12:13], s[8:9], -1
	v_lshl_add_u32 v18, v18, 3, v19
	s_and_b64 s[44:45], s[10:11], s[12:13]
	s_and_saveexec_b64 s[8:9], s[44:45]
	s_cbranch_execz .LBB136_82
; %bb.81:
	v_mov_b32_e32 v19, 0
	ds_read_b64 v[19:20], v19 offset:30680
	s_waitcnt lgkmcnt(0)
	v_mul_f64 v[11:12], v[11:12], v[19:20]
	v_xor_b32_e32 v20, 0x80000000, v12
	v_mov_b32_e32 v19, v11
	ds_write_b64 v18, v[19:20]
.LBB136_82:
	s_or_b64 exec, exec, s[8:9]
	v_cmp_ne_u32_e64 s[8:9], 3, v16
	s_and_b64 s[46:47], s[8:9], s[12:13]
	s_waitcnt lgkmcnt(0)
	s_barrier
	s_and_saveexec_b64 s[8:9], s[46:47]
	s_cbranch_execz .LBB136_84
; %bb.83:
	v_lshlrev_b32_e32 v19, 3, v16
	ds_read_b64 v[19:20], v19 offset:30656
	ds_read_b64 v[21:22], v18
	s_waitcnt lgkmcnt(0)
	v_fma_f64 v[11:12], -v[19:20], v[21:22], v[11:12]
.LBB136_84:
	s_or_b64 exec, exec, s[8:9]
	v_cmp_eq_u32_e64 s[8:9], 2, v16
	s_and_b64 s[48:49], s[8:9], s[12:13]
	s_barrier
	s_and_saveexec_b64 s[8:9], s[48:49]
	s_cbranch_execz .LBB136_86
; %bb.85:
	v_mov_b32_e32 v19, 0
	ds_read_b64 v[19:20], v19 offset:30160
	s_waitcnt lgkmcnt(0)
	v_mul_f64 v[11:12], v[11:12], v[19:20]
	v_xor_b32_e32 v20, 0x80000000, v12
	v_mov_b32_e32 v19, v11
	ds_write_b64 v18, v[19:20]
.LBB136_86:
	s_or_b64 exec, exec, s[8:9]
	v_cmp_gt_u32_e64 s[8:9], 2, v16
	s_and_b64 s[50:51], s[8:9], s[12:13]
	s_waitcnt lgkmcnt(0)
	s_barrier
	s_and_saveexec_b64 s[8:9], s[50:51]
	s_cbranch_execz .LBB136_88
; %bb.87:
	v_lshlrev_b32_e32 v19, 3, v16
	ds_read_b64 v[19:20], v19 offset:30144
	ds_read_b64 v[21:22], v18
	s_waitcnt lgkmcnt(0)
	v_fma_f64 v[11:12], -v[19:20], v[21:22], v[11:12]
.LBB136_88:
	s_or_b64 exec, exec, s[8:9]
	v_cmp_eq_u32_e64 s[8:9], 1, v16
	s_and_b64 s[52:53], s[8:9], s[12:13]
	s_barrier
	s_and_saveexec_b64 s[8:9], s[52:53]
	s_cbranch_execz .LBB136_90
; %bb.89:
	v_mov_b32_e32 v19, 0
	ds_read_b64 v[19:20], v19 offset:29640
	s_waitcnt lgkmcnt(0)
	v_mul_f64 v[11:12], v[11:12], v[19:20]
	v_xor_b32_e32 v20, 0x80000000, v12
	v_mov_b32_e32 v19, v11
	ds_write_b64 v18, v[19:20]
.LBB136_90:
	s_or_b64 exec, exec, s[8:9]
	v_cmp_eq_u32_e64 s[8:9], 0, v16
	s_and_b64 s[42:43], s[8:9], s[12:13]
	s_waitcnt lgkmcnt(0)
	s_barrier
	s_and_saveexec_b64 s[8:9], s[42:43]
	s_cbranch_execz .LBB136_92
; %bb.91:
	v_mov_b32_e32 v19, 0
	ds_read_b64 v[19:20], v19 offset:29632
	ds_read_b64 v[21:22], v18
	s_waitcnt lgkmcnt(0)
	v_fma_f64 v[11:12], -v[19:20], v[21:22], v[11:12]
.LBB136_92:
	s_or_b64 exec, exec, s[8:9]
	s_barrier
	s_and_saveexec_b64 s[8:9], s[42:43]
	s_cbranch_execz .LBB136_94
; %bb.93:
	v_mov_b32_e32 v19, 0
	ds_read_b64 v[19:20], v19 offset:29120
	s_waitcnt lgkmcnt(0)
	v_mul_f64 v[11:12], v[11:12], v[19:20]
	v_xor_b32_e32 v20, 0x80000000, v12
	v_mov_b32_e32 v19, v11
	ds_write_b64 v18, v[19:20]
.LBB136_94:
	s_or_b64 exec, exec, s[8:9]
	s_waitcnt lgkmcnt(0)
	s_barrier
	s_barrier
	s_and_saveexec_b64 s[8:9], s[2:3]
; %bb.95:
	v_lshlrev_b32_e32 v19, 3, v16
	v_lshl_or_b32 v19, v17, 9, v19
	ds_write_b64 v19, v[11:12] offset:31168
; %bb.96:
	s_or_b64 exec, exec, s[8:9]
	s_waitcnt lgkmcnt(0)
	s_barrier
	s_barrier
	s_and_saveexec_b64 s[8:9], vcc
	s_cbranch_execz .LBB136_98
; %bb.97:
	v_mov_b32_e32 v23, 0
	ds_read_b128 v[19:22], v23 offset:30672
	ds_read_b64 v[11:12], v23 offset:30160
	s_waitcnt lgkmcnt(0)
	v_mul_f64 v[11:12], v[11:12], v[21:22]
	v_mul_f64 v[11:12], v[19:20], v[11:12]
	ds_write_b64 v23, v[11:12] offset:30672
.LBB136_98:
	s_or_b64 exec, exec, s[8:9]
	v_mov_b32_e32 v11, 0
	v_mov_b32_e32 v12, 0
	s_waitcnt lgkmcnt(0)
	s_barrier
	buffer_wbinvl1_vol
	s_and_saveexec_b64 s[10:11], s[0:1]
	s_cbranch_execz .LBB136_102
; %bb.99:
	v_lshlrev_b32_e32 v19, 9, v13
	v_lshlrev_b32_e32 v11, 3, v1
	ds_read_b64 v[11:12], v11 offset:30144
	ds_read_b64 v[19:20], v19 offset:30160
	v_cmp_gt_u32_e64 s[8:9], 2, v15
	s_waitcnt lgkmcnt(0)
	v_fma_f64 v[11:12], v[11:12], v[19:20], 0
	s_and_saveexec_b64 s[12:13], s[8:9]
	s_cbranch_execz .LBB136_101
; %bb.100:
	v_lshlrev_b32_e32 v19, 3, v0
	v_mov_b32_e32 v21, 0
	ds_read_b64 v[19:20], v19 offset:30656
	ds_read_b64 v[21:22], v21 offset:30680
	s_waitcnt lgkmcnt(0)
	v_fma_f64 v[11:12], v[19:20], v[21:22], v[11:12]
.LBB136_101:
	s_or_b64 exec, exec, s[12:13]
.LBB136_102:
	s_or_b64 exec, exec, s[10:11]
	s_and_saveexec_b64 s[8:9], s[40:41]
	s_cbranch_execz .LBB136_104
; %bb.103:
	v_mov_b32_e32 v19, 0
	ds_read_b64 v[19:20], v19 offset:29640
	s_waitcnt lgkmcnt(0)
	v_mul_f64 v[11:12], v[11:12], v[19:20]
	v_xor_b32_e32 v20, 0x80000000, v12
	v_mov_b32_e32 v19, v11
	ds_write_b64 v14, v[19:20]
.LBB136_104:
	s_or_b64 exec, exec, s[8:9]
	s_waitcnt lgkmcnt(0)
	s_barrier
	s_and_saveexec_b64 s[8:9], s[38:39]
	s_cbranch_execz .LBB136_106
; %bb.105:
	v_mov_b32_e32 v19, 0
	ds_read_b64 v[19:20], v19 offset:29632
	ds_read_b64 v[21:22], v14
	s_waitcnt lgkmcnt(0)
	v_fma_f64 v[11:12], -v[19:20], v[21:22], v[11:12]
.LBB136_106:
	s_or_b64 exec, exec, s[8:9]
	s_barrier
	s_and_saveexec_b64 s[8:9], s[38:39]
	s_cbranch_execz .LBB136_108
; %bb.107:
	v_mov_b32_e32 v19, 0
	ds_read_b64 v[19:20], v19 offset:29120
	s_waitcnt lgkmcnt(0)
	v_mul_f64 v[11:12], v[11:12], v[19:20]
	v_xor_b32_e32 v20, 0x80000000, v12
	v_mov_b32_e32 v19, v11
	ds_write_b64 v14, v[19:20]
.LBB136_108:
	s_or_b64 exec, exec, s[8:9]
	s_waitcnt lgkmcnt(0)
	s_barrier
	s_barrier
	s_and_saveexec_b64 s[8:9], s[0:1]
; %bb.109:
	v_lshlrev_b32_e32 v19, 3, v1
	v_lshl_or_b32 v19, v13, 9, v19
	ds_write_b64 v19, v[11:12] offset:30144
; %bb.110:
	s_or_b64 exec, exec, s[8:9]
	s_waitcnt lgkmcnt(0)
	s_barrier
	s_barrier
	s_and_saveexec_b64 s[8:9], vcc
	s_cbranch_execz .LBB136_112
; %bb.111:
	v_mov_b32_e32 v23, 0
	ds_read_b128 v[19:22], v23 offset:29632
	ds_read_b64 v[11:12], v23 offset:29120
	s_waitcnt lgkmcnt(0)
	v_mul_f64 v[11:12], v[11:12], v[21:22]
	v_mul_f64 v[11:12], v[19:20], v[11:12]
	ds_write_b64 v23, v[11:12] offset:29632
.LBB136_112:
	s_or_b64 exec, exec, s[8:9]
	v_lshrrev_b32_e32 v21, 3, v15
	v_mov_b32_e32 v11, 0
	v_and_b32_e32 v19, 7, v0
	v_sub_u32_e32 v20, 7, v21
	v_cmp_lt_u32_e64 s[8:9], 63, v15
	v_mov_b32_e32 v12, 0
	v_cmp_gt_u32_e64 s[14:15], 64, v15
	s_waitcnt lgkmcnt(0)
	s_barrier
	buffer_wbinvl1_vol
	s_and_saveexec_b64 s[12:13], s[14:15]
	s_cbranch_execz .LBB136_122
; %bb.113:
	v_lshlrev_b32_e32 v23, 3, v19
	v_lshlrev_b32_e32 v22, 9, v20
	ds_read_b64 v[11:12], v23 offset:29056
	ds_read_b64 v[24:25], v22 offset:29120
	v_cmp_gt_u32_e64 s[10:11], 56, v15
	s_waitcnt lgkmcnt(0)
	v_fma_f64 v[11:12], v[11:12], v[24:25], 0
	s_and_saveexec_b64 s[16:17], s[10:11]
	s_cbranch_execnz .LBB136_1037
; %bb.114:
	s_or_b64 exec, exec, s[16:17]
	v_cmp_gt_u32_e64 s[10:11], 48, v15
	s_and_saveexec_b64 s[16:17], s[10:11]
	s_cbranch_execnz .LBB136_1038
.LBB136_115:
	s_or_b64 exec, exec, s[16:17]
	v_cmp_gt_u32_e64 s[10:11], 40, v15
	s_and_saveexec_b64 s[16:17], s[10:11]
	s_cbranch_execnz .LBB136_1039
.LBB136_116:
	s_or_b64 exec, exec, s[16:17]
	v_cmp_gt_u32_e64 s[10:11], 32, v15
	s_and_saveexec_b64 s[16:17], s[10:11]
	s_cbranch_execnz .LBB136_1040
.LBB136_117:
	s_or_b64 exec, exec, s[16:17]
	v_cmp_gt_u32_e64 s[10:11], 24, v15
	s_and_saveexec_b64 s[16:17], s[10:11]
	s_cbranch_execnz .LBB136_1041
.LBB136_118:
	s_or_b64 exec, exec, s[16:17]
	s_and_saveexec_b64 s[10:11], s[2:3]
	s_cbranch_execnz .LBB136_1042
.LBB136_119:
	s_or_b64 exec, exec, s[10:11]
	v_cmp_gt_u32_e64 s[10:11], 8, v15
	s_and_saveexec_b64 s[16:17], s[10:11]
	s_cbranch_execz .LBB136_121
.LBB136_120:
	v_lshlrev_b32_e32 v22, 3, v0
	v_mov_b32_e32 v24, 0
	ds_read_b64 v[22:23], v22 offset:32640
	ds_read_b64 v[24:25], v24 offset:32760
	s_waitcnt lgkmcnt(0)
	v_fma_f64 v[11:12], v[22:23], v[24:25], v[11:12]
.LBB136_121:
	s_or_b64 exec, exec, s[16:17]
.LBB136_122:
	v_writelane_b32 v36, s54, 2
	s_or_b64 exec, exec, s[12:13]
	v_mov_b32_e32 v22, 0x8000
	v_cmp_eq_u32_e64 s[10:11], 7, v19
	s_xor_b64 s[12:13], s[8:9], -1
	v_lshl_add_u32 v21, v21, 3, v22
	s_and_b64 s[54:55], s[10:11], s[12:13]
	s_and_saveexec_b64 s[8:9], s[54:55]
	s_cbranch_execz .LBB136_124
; %bb.123:
	v_mov_b32_e32 v22, 0
	ds_read_b64 v[22:23], v22 offset:28600
	s_waitcnt lgkmcnt(0)
	v_mul_f64 v[11:12], v[11:12], v[22:23]
	v_xor_b32_e32 v23, 0x80000000, v12
	v_mov_b32_e32 v22, v11
	ds_write_b64 v21, v[22:23]
.LBB136_124:
	s_or_b64 exec, exec, s[8:9]
	v_cmp_ne_u32_e64 s[8:9], 7, v19
	s_and_b64 s[56:57], s[8:9], s[12:13]
	s_waitcnt lgkmcnt(0)
	s_barrier
	s_and_saveexec_b64 s[8:9], s[56:57]
	s_cbranch_execz .LBB136_126
; %bb.125:
	v_lshlrev_b32_e32 v22, 3, v19
	ds_read_b64 v[22:23], v22 offset:28544
	ds_read_b64 v[24:25], v21
	s_waitcnt lgkmcnt(0)
	v_fma_f64 v[11:12], -v[22:23], v[24:25], v[11:12]
.LBB136_126:
	s_or_b64 exec, exec, s[8:9]
	v_cmp_eq_u32_e64 s[8:9], 6, v19
	s_and_b64 s[58:59], s[8:9], s[12:13]
	s_barrier
	s_and_saveexec_b64 s[8:9], s[58:59]
	s_cbranch_execz .LBB136_128
; %bb.127:
	v_mov_b32_e32 v22, 0
	ds_read_b64 v[22:23], v22 offset:28080
	s_waitcnt lgkmcnt(0)
	v_mul_f64 v[11:12], v[11:12], v[22:23]
	v_xor_b32_e32 v23, 0x80000000, v12
	v_mov_b32_e32 v22, v11
	ds_write_b64 v21, v[22:23]
.LBB136_128:
	s_or_b64 exec, exec, s[8:9]
	v_cmp_gt_u32_e64 s[8:9], 6, v19
	s_and_b64 s[60:61], s[8:9], s[12:13]
	s_waitcnt lgkmcnt(0)
	s_barrier
	s_and_saveexec_b64 s[8:9], s[60:61]
	s_cbranch_execz .LBB136_130
; %bb.129:
	v_lshlrev_b32_e32 v22, 3, v19
	ds_read_b64 v[22:23], v22 offset:28032
	ds_read_b64 v[24:25], v21
	s_waitcnt lgkmcnt(0)
	v_fma_f64 v[11:12], -v[22:23], v[24:25], v[11:12]
.LBB136_130:
	s_or_b64 exec, exec, s[8:9]
	v_cmp_eq_u32_e64 s[8:9], 5, v19
	s_and_b64 s[62:63], s[8:9], s[12:13]
	s_barrier
	s_and_saveexec_b64 s[8:9], s[62:63]
	s_cbranch_execz .LBB136_132
; %bb.131:
	v_mov_b32_e32 v22, 0
	ds_read_b64 v[22:23], v22 offset:27560
	s_waitcnt lgkmcnt(0)
	v_mul_f64 v[11:12], v[11:12], v[22:23]
	v_xor_b32_e32 v23, 0x80000000, v12
	v_mov_b32_e32 v22, v11
	ds_write_b64 v21, v[22:23]
.LBB136_132:
	s_or_b64 exec, exec, s[8:9]
	v_cmp_gt_u32_e64 s[8:9], 5, v19
	;; [unrolled: 29-line block ×5, first 2 shown]
	s_and_b64 s[78:79], s[8:9], s[12:13]
	s_waitcnt lgkmcnt(0)
	s_barrier
	s_and_saveexec_b64 s[8:9], s[78:79]
	s_cbranch_execz .LBB136_146
; %bb.145:
	v_lshlrev_b32_e32 v22, 3, v19
	ds_read_b64 v[22:23], v22 offset:25984
	ds_read_b64 v[24:25], v21
	s_waitcnt lgkmcnt(0)
	v_fma_f64 v[11:12], -v[22:23], v[24:25], v[11:12]
.LBB136_146:
	s_or_b64 exec, exec, s[8:9]
	v_cmp_eq_u32_e64 s[8:9], 1, v19
	s_and_b64 s[80:81], s[8:9], s[12:13]
	s_barrier
	s_and_saveexec_b64 s[8:9], s[80:81]
	s_cbranch_execz .LBB136_148
; %bb.147:
	v_mov_b32_e32 v22, 0
	ds_read_b64 v[22:23], v22 offset:25480
	s_waitcnt lgkmcnt(0)
	v_mul_f64 v[11:12], v[11:12], v[22:23]
	v_xor_b32_e32 v23, 0x80000000, v12
	v_mov_b32_e32 v22, v11
	ds_write_b64 v21, v[22:23]
.LBB136_148:
	s_or_b64 exec, exec, s[8:9]
	v_cmp_eq_u32_e64 s[8:9], 0, v19
	s_and_b64 s[64:65], s[8:9], s[12:13]
	s_waitcnt lgkmcnt(0)
	s_barrier
	s_and_saveexec_b64 s[8:9], s[64:65]
	s_cbranch_execz .LBB136_150
; %bb.149:
	v_mov_b32_e32 v22, 0
	ds_read_b64 v[22:23], v22 offset:25472
	ds_read_b64 v[24:25], v21
	s_waitcnt lgkmcnt(0)
	v_fma_f64 v[11:12], -v[22:23], v[24:25], v[11:12]
.LBB136_150:
	s_or_b64 exec, exec, s[8:9]
	s_barrier
	s_and_saveexec_b64 s[8:9], s[64:65]
	s_cbranch_execz .LBB136_152
; %bb.151:
	v_mov_b32_e32 v22, 0
	ds_read_b64 v[22:23], v22 offset:24960
	s_waitcnt lgkmcnt(0)
	v_mul_f64 v[11:12], v[11:12], v[22:23]
	v_xor_b32_e32 v23, 0x80000000, v12
	v_mov_b32_e32 v22, v11
	ds_write_b64 v21, v[22:23]
.LBB136_152:
	s_or_b64 exec, exec, s[8:9]
	s_waitcnt lgkmcnt(0)
	s_barrier
	s_barrier
	s_and_saveexec_b64 s[8:9], s[14:15]
; %bb.153:
	v_lshlrev_b32_e32 v22, 3, v19
	v_lshl_or_b32 v22, v20, 9, v22
	ds_write_b64 v22, v[11:12] offset:29056
; %bb.154:
	s_or_b64 exec, exec, s[8:9]
	s_waitcnt lgkmcnt(0)
	s_barrier
	s_barrier
	s_and_saveexec_b64 s[8:9], vcc
	s_cbranch_execz .LBB136_156
; %bb.155:
	v_mov_b32_e32 v26, 0
	ds_read_b128 v[22:25], v26 offset:28592
	ds_read_b64 v[11:12], v26 offset:28080
	s_waitcnt lgkmcnt(0)
	v_mul_f64 v[11:12], v[11:12], v[24:25]
	v_mul_f64 v[11:12], v[22:23], v[11:12]
	ds_write_b64 v26, v[11:12] offset:28592
.LBB136_156:
	s_or_b64 exec, exec, s[8:9]
	v_mov_b32_e32 v11, 0
	v_mov_b32_e32 v12, 0
	s_waitcnt lgkmcnt(0)
	s_barrier
	buffer_wbinvl1_vol
	s_and_saveexec_b64 s[10:11], s[0:1]
	s_cbranch_execz .LBB136_160
; %bb.157:
	v_lshlrev_b32_e32 v22, 9, v13
	v_lshlrev_b32_e32 v11, 3, v1
	ds_read_b64 v[11:12], v11 offset:28064
	ds_read_b64 v[22:23], v22 offset:28080
	v_cmp_gt_u32_e64 s[8:9], 2, v15
	s_waitcnt lgkmcnt(0)
	v_fma_f64 v[11:12], v[11:12], v[22:23], 0
	s_and_saveexec_b64 s[12:13], s[8:9]
	s_cbranch_execz .LBB136_159
; %bb.158:
	v_lshlrev_b32_e32 v22, 3, v0
	v_mov_b32_e32 v24, 0
	ds_read_b64 v[22:23], v22 offset:28576
	ds_read_b64 v[24:25], v24 offset:28600
	s_waitcnt lgkmcnt(0)
	v_fma_f64 v[11:12], v[22:23], v[24:25], v[11:12]
.LBB136_159:
	s_or_b64 exec, exec, s[12:13]
.LBB136_160:
	s_or_b64 exec, exec, s[10:11]
	s_and_saveexec_b64 s[8:9], s[40:41]
	s_cbranch_execz .LBB136_162
; %bb.161:
	v_mov_b32_e32 v22, 0
	ds_read_b64 v[22:23], v22 offset:27560
	s_waitcnt lgkmcnt(0)
	v_mul_f64 v[11:12], v[11:12], v[22:23]
	v_xor_b32_e32 v23, 0x80000000, v12
	v_mov_b32_e32 v22, v11
	ds_write_b64 v14, v[22:23]
.LBB136_162:
	s_or_b64 exec, exec, s[8:9]
	s_waitcnt lgkmcnt(0)
	s_barrier
	s_and_saveexec_b64 s[8:9], s[38:39]
	s_cbranch_execz .LBB136_164
; %bb.163:
	v_mov_b32_e32 v22, 0
	ds_read_b64 v[22:23], v22 offset:27552
	ds_read_b64 v[24:25], v14
	s_waitcnt lgkmcnt(0)
	v_fma_f64 v[11:12], -v[22:23], v[24:25], v[11:12]
.LBB136_164:
	s_or_b64 exec, exec, s[8:9]
	s_barrier
	s_and_saveexec_b64 s[8:9], s[38:39]
	s_cbranch_execz .LBB136_166
; %bb.165:
	v_mov_b32_e32 v22, 0
	ds_read_b64 v[22:23], v22 offset:27040
	s_waitcnt lgkmcnt(0)
	v_mul_f64 v[11:12], v[11:12], v[22:23]
	v_xor_b32_e32 v23, 0x80000000, v12
	v_mov_b32_e32 v22, v11
	ds_write_b64 v14, v[22:23]
.LBB136_166:
	s_or_b64 exec, exec, s[8:9]
	s_waitcnt lgkmcnt(0)
	s_barrier
	s_barrier
	s_and_saveexec_b64 s[8:9], s[0:1]
; %bb.167:
	v_lshlrev_b32_e32 v22, 3, v1
	v_lshl_or_b32 v22, v13, 9, v22
	ds_write_b64 v22, v[11:12] offset:28064
; %bb.168:
	s_or_b64 exec, exec, s[8:9]
	s_waitcnt lgkmcnt(0)
	s_barrier
	s_barrier
	s_and_saveexec_b64 s[8:9], vcc
	s_cbranch_execz .LBB136_170
; %bb.169:
	v_mov_b32_e32 v26, 0
	ds_read_b128 v[22:25], v26 offset:27552
	ds_read_b64 v[11:12], v26 offset:27040
	s_waitcnt lgkmcnt(0)
	v_mul_f64 v[11:12], v[11:12], v[24:25]
	v_mul_f64 v[11:12], v[22:23], v[11:12]
	ds_write_b64 v26, v[11:12] offset:27552
.LBB136_170:
	s_or_b64 exec, exec, s[8:9]
	v_mov_b32_e32 v11, 0
	v_mov_b32_e32 v12, 0
	s_waitcnt lgkmcnt(0)
	s_barrier
	buffer_wbinvl1_vol
	s_and_saveexec_b64 s[10:11], s[2:3]
	s_cbranch_execz .LBB136_176
; %bb.171:
	v_lshlrev_b32_e32 v23, 3, v16
	v_lshlrev_b32_e32 v22, 9, v17
	ds_read_b64 v[11:12], v23 offset:27008
	ds_read_b64 v[24:25], v22 offset:27040
	v_cmp_gt_u32_e64 s[8:9], 12, v15
	s_waitcnt lgkmcnt(0)
	v_fma_f64 v[11:12], v[11:12], v[24:25], 0
	s_and_saveexec_b64 s[12:13], s[8:9]
	s_cbranch_execnz .LBB136_1043
; %bb.172:
	s_or_b64 exec, exec, s[12:13]
	v_cmp_gt_u32_e64 s[8:9], 8, v15
	s_and_saveexec_b64 s[12:13], s[8:9]
	s_cbranch_execnz .LBB136_1044
.LBB136_173:
	s_or_b64 exec, exec, s[12:13]
	v_cmp_gt_u32_e64 s[8:9], 4, v15
	s_and_saveexec_b64 s[12:13], s[8:9]
	s_cbranch_execz .LBB136_175
.LBB136_174:
	v_lshlrev_b32_e32 v22, 3, v0
	v_mov_b32_e32 v24, 0
	ds_read_b64 v[22:23], v22 offset:28544
	ds_read_b64 v[24:25], v24 offset:28600
	s_waitcnt lgkmcnt(0)
	v_fma_f64 v[11:12], v[22:23], v[24:25], v[11:12]
.LBB136_175:
	s_or_b64 exec, exec, s[12:13]
.LBB136_176:
	s_or_b64 exec, exec, s[10:11]
	s_and_saveexec_b64 s[8:9], s[44:45]
	s_cbranch_execz .LBB136_178
; %bb.177:
	v_mov_b32_e32 v22, 0
	ds_read_b64 v[22:23], v22 offset:26520
	s_waitcnt lgkmcnt(0)
	v_mul_f64 v[11:12], v[11:12], v[22:23]
	v_xor_b32_e32 v23, 0x80000000, v12
	v_mov_b32_e32 v22, v11
	ds_write_b64 v18, v[22:23]
.LBB136_178:
	s_or_b64 exec, exec, s[8:9]
	s_waitcnt lgkmcnt(0)
	s_barrier
	s_and_saveexec_b64 s[8:9], s[46:47]
	s_cbranch_execz .LBB136_180
; %bb.179:
	v_lshlrev_b32_e32 v22, 3, v16
	ds_read_b64 v[22:23], v22 offset:26496
	ds_read_b64 v[24:25], v18
	s_waitcnt lgkmcnt(0)
	v_fma_f64 v[11:12], -v[22:23], v[24:25], v[11:12]
.LBB136_180:
	s_or_b64 exec, exec, s[8:9]
	s_barrier
	s_and_saveexec_b64 s[8:9], s[48:49]
	s_cbranch_execz .LBB136_182
; %bb.181:
	v_mov_b32_e32 v22, 0
	ds_read_b64 v[22:23], v22 offset:26000
	s_waitcnt lgkmcnt(0)
	v_mul_f64 v[11:12], v[11:12], v[22:23]
	v_xor_b32_e32 v23, 0x80000000, v12
	v_mov_b32_e32 v22, v11
	ds_write_b64 v18, v[22:23]
.LBB136_182:
	s_or_b64 exec, exec, s[8:9]
	s_waitcnt lgkmcnt(0)
	s_barrier
	s_and_saveexec_b64 s[8:9], s[50:51]
	s_cbranch_execz .LBB136_184
; %bb.183:
	v_lshlrev_b32_e32 v22, 3, v16
	ds_read_b64 v[22:23], v22 offset:25984
	ds_read_b64 v[24:25], v18
	s_waitcnt lgkmcnt(0)
	v_fma_f64 v[11:12], -v[22:23], v[24:25], v[11:12]
.LBB136_184:
	s_or_b64 exec, exec, s[8:9]
	s_barrier
	s_and_saveexec_b64 s[8:9], s[52:53]
	s_cbranch_execz .LBB136_186
; %bb.185:
	v_mov_b32_e32 v22, 0
	ds_read_b64 v[22:23], v22 offset:25480
	s_waitcnt lgkmcnt(0)
	v_mul_f64 v[11:12], v[11:12], v[22:23]
	v_xor_b32_e32 v23, 0x80000000, v12
	v_mov_b32_e32 v22, v11
	ds_write_b64 v18, v[22:23]
.LBB136_186:
	s_or_b64 exec, exec, s[8:9]
	s_waitcnt lgkmcnt(0)
	s_barrier
	s_and_saveexec_b64 s[8:9], s[42:43]
	s_cbranch_execz .LBB136_188
; %bb.187:
	v_mov_b32_e32 v22, 0
	ds_read_b64 v[22:23], v22 offset:25472
	ds_read_b64 v[24:25], v18
	s_waitcnt lgkmcnt(0)
	v_fma_f64 v[11:12], -v[22:23], v[24:25], v[11:12]
.LBB136_188:
	s_or_b64 exec, exec, s[8:9]
	s_barrier
	s_and_saveexec_b64 s[8:9], s[42:43]
	s_cbranch_execz .LBB136_190
; %bb.189:
	v_mov_b32_e32 v22, 0
	ds_read_b64 v[22:23], v22 offset:24960
	s_waitcnt lgkmcnt(0)
	v_mul_f64 v[11:12], v[11:12], v[22:23]
	v_xor_b32_e32 v23, 0x80000000, v12
	v_mov_b32_e32 v22, v11
	ds_write_b64 v18, v[22:23]
.LBB136_190:
	s_or_b64 exec, exec, s[8:9]
	s_waitcnt lgkmcnt(0)
	s_barrier
	s_barrier
	s_and_saveexec_b64 s[8:9], s[2:3]
; %bb.191:
	v_lshlrev_b32_e32 v22, 3, v16
	v_lshl_or_b32 v22, v17, 9, v22
	ds_write_b64 v22, v[11:12] offset:27008
; %bb.192:
	s_or_b64 exec, exec, s[8:9]
	s_waitcnt lgkmcnt(0)
	s_barrier
	s_barrier
	s_and_saveexec_b64 s[8:9], vcc
	s_cbranch_execz .LBB136_194
; %bb.193:
	v_mov_b32_e32 v26, 0
	ds_read_b128 v[22:25], v26 offset:26512
	ds_read_b64 v[11:12], v26 offset:26000
	s_waitcnt lgkmcnt(0)
	v_mul_f64 v[11:12], v[11:12], v[24:25]
	v_mul_f64 v[11:12], v[22:23], v[11:12]
	ds_write_b64 v26, v[11:12] offset:26512
.LBB136_194:
	s_or_b64 exec, exec, s[8:9]
	v_mov_b32_e32 v11, 0
	v_mov_b32_e32 v12, 0
	s_waitcnt lgkmcnt(0)
	s_barrier
	buffer_wbinvl1_vol
	s_and_saveexec_b64 s[10:11], s[0:1]
	s_cbranch_execz .LBB136_198
; %bb.195:
	v_lshlrev_b32_e32 v22, 9, v13
	v_lshlrev_b32_e32 v11, 3, v1
	ds_read_b64 v[11:12], v11 offset:25984
	ds_read_b64 v[22:23], v22 offset:26000
	v_cmp_gt_u32_e64 s[8:9], 2, v15
	s_waitcnt lgkmcnt(0)
	v_fma_f64 v[11:12], v[11:12], v[22:23], 0
	s_and_saveexec_b64 s[12:13], s[8:9]
	s_cbranch_execz .LBB136_197
; %bb.196:
	v_lshlrev_b32_e32 v22, 3, v0
	v_mov_b32_e32 v24, 0
	ds_read_b64 v[22:23], v22 offset:26496
	ds_read_b64 v[24:25], v24 offset:26520
	s_waitcnt lgkmcnt(0)
	v_fma_f64 v[11:12], v[22:23], v[24:25], v[11:12]
.LBB136_197:
	s_or_b64 exec, exec, s[12:13]
.LBB136_198:
	s_or_b64 exec, exec, s[10:11]
	s_and_saveexec_b64 s[8:9], s[40:41]
	s_cbranch_execz .LBB136_200
; %bb.199:
	v_mov_b32_e32 v22, 0
	ds_read_b64 v[22:23], v22 offset:25480
	s_waitcnt lgkmcnt(0)
	v_mul_f64 v[11:12], v[11:12], v[22:23]
	v_xor_b32_e32 v23, 0x80000000, v12
	v_mov_b32_e32 v22, v11
	ds_write_b64 v14, v[22:23]
.LBB136_200:
	s_or_b64 exec, exec, s[8:9]
	s_waitcnt lgkmcnt(0)
	s_barrier
	s_and_saveexec_b64 s[8:9], s[38:39]
	s_cbranch_execz .LBB136_202
; %bb.201:
	v_mov_b32_e32 v22, 0
	ds_read_b64 v[22:23], v22 offset:25472
	ds_read_b64 v[24:25], v14
	s_waitcnt lgkmcnt(0)
	v_fma_f64 v[11:12], -v[22:23], v[24:25], v[11:12]
.LBB136_202:
	s_or_b64 exec, exec, s[8:9]
	s_barrier
	s_and_saveexec_b64 s[8:9], s[38:39]
	s_cbranch_execz .LBB136_204
; %bb.203:
	v_mov_b32_e32 v22, 0
	ds_read_b64 v[22:23], v22 offset:24960
	s_waitcnt lgkmcnt(0)
	v_mul_f64 v[11:12], v[11:12], v[22:23]
	v_xor_b32_e32 v23, 0x80000000, v12
	v_mov_b32_e32 v22, v11
	ds_write_b64 v14, v[22:23]
.LBB136_204:
	s_or_b64 exec, exec, s[8:9]
	s_waitcnt lgkmcnt(0)
	s_barrier
	s_barrier
	s_and_saveexec_b64 s[8:9], s[0:1]
; %bb.205:
	v_lshlrev_b32_e32 v22, 3, v1
	v_lshl_or_b32 v22, v13, 9, v22
	ds_write_b64 v22, v[11:12] offset:25984
; %bb.206:
	s_or_b64 exec, exec, s[8:9]
	s_waitcnt lgkmcnt(0)
	s_barrier
	s_barrier
	s_and_saveexec_b64 s[8:9], vcc
	s_cbranch_execz .LBB136_208
; %bb.207:
	v_mov_b32_e32 v26, 0
	ds_read_b128 v[22:25], v26 offset:25472
	ds_read_b64 v[11:12], v26 offset:24960
	s_waitcnt lgkmcnt(0)
	v_mul_f64 v[11:12], v[11:12], v[24:25]
	v_mul_f64 v[11:12], v[22:23], v[11:12]
	ds_write_b64 v26, v[11:12] offset:25472
.LBB136_208:
	s_or_b64 exec, exec, s[8:9]
	s_movk_i32 s8, 0xff
	v_lshrrev_b32_e32 v24, 4, v15
	v_cmp_lt_u32_e64 s[10:11], s8, v15
	s_movk_i32 s8, 0x100
	v_mov_b32_e32 v11, 0
	v_and_b32_e32 v22, 15, v0
	v_sub_u32_e32 v23, 15, v24
	v_mov_b32_e32 v12, 0
	v_cmp_gt_u32_e64 s[8:9], s8, v15
	s_waitcnt lgkmcnt(0)
	s_barrier
	buffer_wbinvl1_vol
	s_and_saveexec_b64 s[16:17], s[8:9]
	s_cbranch_execz .LBB136_236
; %bb.209:
	v_lshlrev_b32_e32 v26, 3, v22
	v_lshlrev_b32_e32 v25, 9, v23
	ds_read_b64 v[11:12], v26 offset:24832
	ds_read_b64 v[27:28], v25 offset:24960
	s_movk_i32 s12, 0xf0
	v_cmp_gt_u32_e64 s[12:13], s12, v15
	s_waitcnt lgkmcnt(0)
	v_fma_f64 v[11:12], v[11:12], v[27:28], 0
	s_and_saveexec_b64 s[34:35], s[12:13]
	s_cbranch_execz .LBB136_211
; %bb.210:
	ds_read_b64 v[27:28], v26 offset:25344
	ds_read_b64 v[29:30], v25 offset:24968
	s_waitcnt lgkmcnt(0)
	v_fma_f64 v[11:12], v[27:28], v[29:30], v[11:12]
.LBB136_211:
	s_or_b64 exec, exec, s[34:35]
	s_movk_i32 s12, 0xe0
	v_cmp_gt_u32_e64 s[12:13], s12, v15
	s_and_saveexec_b64 s[34:35], s[12:13]
	s_cbranch_execz .LBB136_213
; %bb.212:
	ds_read_b64 v[27:28], v26 offset:25856
	ds_read_b64 v[29:30], v25 offset:24976
	s_waitcnt lgkmcnt(0)
	v_fma_f64 v[11:12], v[27:28], v[29:30], v[11:12]
.LBB136_213:
	s_or_b64 exec, exec, s[34:35]
	s_movk_i32 s12, 0xd0
	v_cmp_gt_u32_e64 s[12:13], s12, v15
	;; [unrolled: 11-line block ×10, first 2 shown]
	s_and_saveexec_b64 s[34:35], s[12:13]
	s_cbranch_execnz .LBB136_1045
; %bb.230:
	s_or_b64 exec, exec, s[34:35]
	s_and_saveexec_b64 s[12:13], s[14:15]
	s_cbranch_execnz .LBB136_1046
.LBB136_231:
	s_or_b64 exec, exec, s[12:13]
	v_cmp_gt_u32_e64 s[12:13], 48, v15
	s_and_saveexec_b64 s[34:35], s[12:13]
	s_cbranch_execnz .LBB136_1047
.LBB136_232:
	s_or_b64 exec, exec, s[34:35]
	v_cmp_gt_u32_e64 s[12:13], 32, v15
	s_and_saveexec_b64 s[34:35], s[12:13]
	s_cbranch_execnz .LBB136_1048
.LBB136_233:
	s_or_b64 exec, exec, s[34:35]
	v_cmp_gt_u32_e64 s[12:13], 16, v15
	s_and_saveexec_b64 s[34:35], s[12:13]
	s_cbranch_execz .LBB136_235
.LBB136_234:
	v_lshlrev_b32_e32 v25, 3, v0
	v_mov_b32_e32 v27, 0
	ds_read_b64 v[25:26], v25 offset:32512
	ds_read_b64 v[27:28], v27 offset:32760
	s_waitcnt lgkmcnt(0)
	v_fma_f64 v[11:12], v[25:26], v[27:28], v[11:12]
.LBB136_235:
	s_or_b64 exec, exec, s[34:35]
.LBB136_236:
	s_or_b64 exec, exec, s[16:17]
	v_mov_b32_e32 v25, 0x8000
	v_lshl_add_u32 v24, v24, 3, v25
	v_cmp_eq_u32_e64 s[12:13], 15, v22
	s_xor_b64 s[16:17], s[10:11], -1
	s_and_b64 s[12:13], s[12:13], s[16:17]
	s_mov_b64 s[10:11], exec
	v_writelane_b32 v36, s12, 3
	v_writelane_b32 v36, s13, 4
	s_and_b64 s[12:13], s[10:11], s[12:13]
	s_mov_b64 exec, s[12:13]
	s_cbranch_execz .LBB136_238
; %bb.237:
	v_mov_b32_e32 v25, 0
	ds_read_b64 v[25:26], v25 offset:24440
	s_waitcnt lgkmcnt(0)
	v_mul_f64 v[11:12], v[11:12], v[25:26]
	v_xor_b32_e32 v26, 0x80000000, v12
	v_mov_b32_e32 v25, v11
	ds_write_b64 v24, v[25:26]
.LBB136_238:
	s_or_b64 exec, exec, s[10:11]
	v_cmp_ne_u32_e64 s[10:11], 15, v22
	s_waitcnt lgkmcnt(0)
	s_barrier
	s_and_b64 s[12:13], s[10:11], s[16:17]
	s_mov_b64 s[10:11], exec
	v_writelane_b32 v36, s12, 5
	v_writelane_b32 v36, s13, 6
	s_and_b64 s[12:13], s[10:11], s[12:13]
	s_mov_b64 exec, s[12:13]
	s_cbranch_execz .LBB136_240
; %bb.239:
	v_lshlrev_b32_e32 v25, 3, v22
	ds_read_b64 v[25:26], v25 offset:24320
	ds_read_b64 v[27:28], v24
	s_waitcnt lgkmcnt(0)
	v_fma_f64 v[11:12], -v[25:26], v[27:28], v[11:12]
.LBB136_240:
	s_or_b64 exec, exec, s[10:11]
	v_cmp_eq_u32_e64 s[10:11], 14, v22
	s_barrier
	s_and_b64 s[12:13], s[10:11], s[16:17]
	s_mov_b64 s[10:11], exec
	v_writelane_b32 v36, s12, 7
	v_writelane_b32 v36, s13, 8
	s_and_b64 s[12:13], s[10:11], s[12:13]
	s_mov_b64 exec, s[12:13]
	s_cbranch_execz .LBB136_242
; %bb.241:
	v_mov_b32_e32 v25, 0
	ds_read_b64 v[25:26], v25 offset:23920
	s_waitcnt lgkmcnt(0)
	v_mul_f64 v[11:12], v[11:12], v[25:26]
	v_xor_b32_e32 v26, 0x80000000, v12
	v_mov_b32_e32 v25, v11
	ds_write_b64 v24, v[25:26]
.LBB136_242:
	s_or_b64 exec, exec, s[10:11]
	v_cmp_gt_u32_e64 s[10:11], 14, v22
	s_waitcnt lgkmcnt(0)
	s_barrier
	s_and_b64 s[12:13], s[10:11], s[16:17]
	s_mov_b64 s[10:11], exec
	v_writelane_b32 v36, s12, 9
	v_writelane_b32 v36, s13, 10
	s_and_b64 s[12:13], s[10:11], s[12:13]
	s_mov_b64 exec, s[12:13]
	s_cbranch_execz .LBB136_244
; %bb.243:
	v_lshlrev_b32_e32 v25, 3, v22
	ds_read_b64 v[25:26], v25 offset:23808
	ds_read_b64 v[27:28], v24
	s_waitcnt lgkmcnt(0)
	v_fma_f64 v[11:12], -v[25:26], v[27:28], v[11:12]
.LBB136_244:
	s_or_b64 exec, exec, s[10:11]
	v_cmp_eq_u32_e64 s[10:11], 13, v22
	s_barrier
	s_and_b64 s[12:13], s[10:11], s[16:17]
	s_mov_b64 s[10:11], exec
	v_writelane_b32 v36, s12, 11
	v_writelane_b32 v36, s13, 12
	s_and_b64 s[12:13], s[10:11], s[12:13]
	s_mov_b64 exec, s[12:13]
	s_cbranch_execz .LBB136_246
; %bb.245:
	v_mov_b32_e32 v25, 0
	ds_read_b64 v[25:26], v25 offset:23400
	s_waitcnt lgkmcnt(0)
	v_mul_f64 v[11:12], v[11:12], v[25:26]
	v_xor_b32_e32 v26, 0x80000000, v12
	v_mov_b32_e32 v25, v11
	ds_write_b64 v24, v[25:26]
.LBB136_246:
	s_or_b64 exec, exec, s[10:11]
	v_cmp_gt_u32_e64 s[10:11], 13, v22
	;; [unrolled: 37-line block ×12, first 2 shown]
	s_waitcnt lgkmcnt(0)
	s_barrier
	s_and_b64 s[12:13], s[10:11], s[16:17]
	s_mov_b64 s[10:11], exec
	v_writelane_b32 v36, s12, 53
	v_writelane_b32 v36, s13, 54
	s_and_b64 s[12:13], s[10:11], s[12:13]
	s_mov_b64 exec, s[12:13]
	s_cbranch_execz .LBB136_288
; %bb.287:
	v_lshlrev_b32_e32 v25, 3, v22
	ds_read_b64 v[25:26], v25 offset:18176
	ds_read_b64 v[27:28], v24
	s_waitcnt lgkmcnt(0)
	v_fma_f64 v[11:12], -v[25:26], v[27:28], v[11:12]
.LBB136_288:
	s_or_b64 exec, exec, s[10:11]
	v_cmp_eq_u32_e64 s[10:11], 2, v22
	s_and_b64 s[88:89], s[10:11], s[16:17]
	s_barrier
	s_and_saveexec_b64 s[10:11], s[88:89]
	s_cbranch_execz .LBB136_290
; %bb.289:
	v_mov_b32_e32 v25, 0
	ds_read_b64 v[25:26], v25 offset:17680
	s_waitcnt lgkmcnt(0)
	v_mul_f64 v[11:12], v[11:12], v[25:26]
	v_xor_b32_e32 v26, 0x80000000, v12
	v_mov_b32_e32 v25, v11
	ds_write_b64 v24, v[25:26]
.LBB136_290:
	s_or_b64 exec, exec, s[10:11]
	v_cmp_gt_u32_e64 s[10:11], 2, v22
	s_and_b64 s[90:91], s[10:11], s[16:17]
	s_waitcnt lgkmcnt(0)
	s_barrier
	s_and_saveexec_b64 s[10:11], s[90:91]
	s_cbranch_execz .LBB136_292
; %bb.291:
	v_lshlrev_b32_e32 v25, 3, v22
	ds_read_b64 v[25:26], v25 offset:17664
	ds_read_b64 v[27:28], v24
	s_waitcnt lgkmcnt(0)
	v_fma_f64 v[11:12], -v[25:26], v[27:28], v[11:12]
.LBB136_292:
	s_or_b64 exec, exec, s[10:11]
	v_cmp_eq_u32_e64 s[10:11], 1, v22
	s_and_b64 s[94:95], s[10:11], s[16:17]
	s_barrier
	s_and_saveexec_b64 s[10:11], s[94:95]
	s_cbranch_execz .LBB136_294
; %bb.293:
	v_mov_b32_e32 v25, 0
	ds_read_b64 v[25:26], v25 offset:17160
	s_waitcnt lgkmcnt(0)
	v_mul_f64 v[11:12], v[11:12], v[25:26]
	v_xor_b32_e32 v26, 0x80000000, v12
	v_mov_b32_e32 v25, v11
	ds_write_b64 v24, v[25:26]
.LBB136_294:
	s_or_b64 exec, exec, s[10:11]
	v_cmp_eq_u32_e64 s[10:11], 0, v22
	s_and_b64 s[92:93], s[10:11], s[16:17]
	s_waitcnt lgkmcnt(0)
	s_barrier
	s_and_saveexec_b64 s[10:11], s[92:93]
	s_cbranch_execz .LBB136_296
; %bb.295:
	v_mov_b32_e32 v25, 0
	ds_read_b64 v[25:26], v25 offset:17152
	ds_read_b64 v[27:28], v24
	s_waitcnt lgkmcnt(0)
	v_fma_f64 v[11:12], -v[25:26], v[27:28], v[11:12]
.LBB136_296:
	s_or_b64 exec, exec, s[10:11]
	s_barrier
	s_and_saveexec_b64 s[10:11], s[92:93]
	s_cbranch_execz .LBB136_298
; %bb.297:
	v_mov_b32_e32 v25, 0
	ds_read_b64 v[25:26], v25 offset:16640
	s_waitcnt lgkmcnt(0)
	v_mul_f64 v[11:12], v[11:12], v[25:26]
	v_xor_b32_e32 v26, 0x80000000, v12
	v_mov_b32_e32 v25, v11
	ds_write_b64 v24, v[25:26]
.LBB136_298:
	s_or_b64 exec, exec, s[10:11]
	s_waitcnt lgkmcnt(0)
	s_barrier
	s_barrier
	s_and_saveexec_b64 s[10:11], s[8:9]
; %bb.299:
	v_lshlrev_b32_e32 v25, 3, v22
	v_lshl_or_b32 v25, v23, 9, v25
	ds_write_b64 v25, v[11:12] offset:24832
; %bb.300:
	s_or_b64 exec, exec, s[10:11]
	s_waitcnt lgkmcnt(0)
	s_barrier
	s_barrier
	s_and_saveexec_b64 s[10:11], vcc
	s_cbranch_execz .LBB136_302
; %bb.301:
	v_mov_b32_e32 v29, 0
	ds_read_b128 v[25:28], v29 offset:24432
	ds_read_b64 v[11:12], v29 offset:23920
	s_waitcnt lgkmcnt(0)
	v_mul_f64 v[11:12], v[11:12], v[27:28]
	v_mul_f64 v[11:12], v[25:26], v[11:12]
	ds_write_b64 v29, v[11:12] offset:24432
.LBB136_302:
	s_or_b64 exec, exec, s[10:11]
	v_mov_b32_e32 v11, 0
	v_mov_b32_e32 v12, 0
	s_waitcnt lgkmcnt(0)
	s_barrier
	buffer_wbinvl1_vol
	s_and_saveexec_b64 s[12:13], s[0:1]
	s_cbranch_execz .LBB136_306
; %bb.303:
	v_lshlrev_b32_e32 v25, 9, v13
	v_lshlrev_b32_e32 v11, 3, v1
	ds_read_b64 v[11:12], v11 offset:23904
	ds_read_b64 v[25:26], v25 offset:23920
	v_cmp_gt_u32_e64 s[10:11], 2, v15
	s_waitcnt lgkmcnt(0)
	v_fma_f64 v[11:12], v[11:12], v[25:26], 0
	s_and_saveexec_b64 s[16:17], s[10:11]
	s_cbranch_execz .LBB136_305
; %bb.304:
	v_lshlrev_b32_e32 v25, 3, v0
	v_mov_b32_e32 v27, 0
	ds_read_b64 v[25:26], v25 offset:24416
	ds_read_b64 v[27:28], v27 offset:24440
	s_waitcnt lgkmcnt(0)
	v_fma_f64 v[11:12], v[25:26], v[27:28], v[11:12]
.LBB136_305:
	s_or_b64 exec, exec, s[16:17]
.LBB136_306:
	s_or_b64 exec, exec, s[12:13]
	s_and_saveexec_b64 s[10:11], s[40:41]
	s_cbranch_execz .LBB136_308
; %bb.307:
	v_mov_b32_e32 v25, 0
	ds_read_b64 v[25:26], v25 offset:23400
	s_waitcnt lgkmcnt(0)
	v_mul_f64 v[11:12], v[11:12], v[25:26]
	v_xor_b32_e32 v26, 0x80000000, v12
	v_mov_b32_e32 v25, v11
	ds_write_b64 v14, v[25:26]
.LBB136_308:
	s_or_b64 exec, exec, s[10:11]
	s_waitcnt lgkmcnt(0)
	s_barrier
	s_and_saveexec_b64 s[10:11], s[38:39]
	s_cbranch_execz .LBB136_310
; %bb.309:
	v_mov_b32_e32 v25, 0
	ds_read_b64 v[25:26], v25 offset:23392
	ds_read_b64 v[27:28], v14
	s_waitcnt lgkmcnt(0)
	v_fma_f64 v[11:12], -v[25:26], v[27:28], v[11:12]
.LBB136_310:
	s_or_b64 exec, exec, s[10:11]
	s_barrier
	s_and_saveexec_b64 s[10:11], s[38:39]
	s_cbranch_execz .LBB136_312
; %bb.311:
	v_mov_b32_e32 v25, 0
	ds_read_b64 v[25:26], v25 offset:22880
	s_waitcnt lgkmcnt(0)
	v_mul_f64 v[11:12], v[11:12], v[25:26]
	v_xor_b32_e32 v26, 0x80000000, v12
	v_mov_b32_e32 v25, v11
	ds_write_b64 v14, v[25:26]
.LBB136_312:
	s_or_b64 exec, exec, s[10:11]
	s_waitcnt lgkmcnt(0)
	s_barrier
	s_barrier
	s_and_saveexec_b64 s[10:11], s[0:1]
; %bb.313:
	v_lshlrev_b32_e32 v25, 3, v1
	v_lshl_or_b32 v25, v13, 9, v25
	ds_write_b64 v25, v[11:12] offset:23904
; %bb.314:
	s_or_b64 exec, exec, s[10:11]
	s_waitcnt lgkmcnt(0)
	s_barrier
	s_barrier
	s_and_saveexec_b64 s[10:11], vcc
	s_cbranch_execz .LBB136_316
; %bb.315:
	v_mov_b32_e32 v29, 0
	ds_read_b128 v[25:28], v29 offset:23392
	ds_read_b64 v[11:12], v29 offset:22880
	s_waitcnt lgkmcnt(0)
	v_mul_f64 v[11:12], v[11:12], v[27:28]
	v_mul_f64 v[11:12], v[25:26], v[11:12]
	ds_write_b64 v29, v[11:12] offset:23392
.LBB136_316:
	s_or_b64 exec, exec, s[10:11]
	v_mov_b32_e32 v11, 0
	v_mov_b32_e32 v12, 0
	s_waitcnt lgkmcnt(0)
	s_barrier
	buffer_wbinvl1_vol
	s_and_saveexec_b64 s[12:13], s[2:3]
	s_cbranch_execz .LBB136_322
; %bb.317:
	v_lshlrev_b32_e32 v26, 3, v16
	v_lshlrev_b32_e32 v25, 9, v17
	ds_read_b64 v[11:12], v26 offset:22848
	ds_read_b64 v[27:28], v25 offset:22880
	v_cmp_gt_u32_e64 s[10:11], 12, v15
	s_waitcnt lgkmcnt(0)
	v_fma_f64 v[11:12], v[11:12], v[27:28], 0
	s_and_saveexec_b64 s[16:17], s[10:11]
	s_cbranch_execnz .LBB136_1049
; %bb.318:
	s_or_b64 exec, exec, s[16:17]
	v_cmp_gt_u32_e64 s[10:11], 8, v15
	s_and_saveexec_b64 s[16:17], s[10:11]
	s_cbranch_execnz .LBB136_1050
.LBB136_319:
	s_or_b64 exec, exec, s[16:17]
	v_cmp_gt_u32_e64 s[10:11], 4, v15
	s_and_saveexec_b64 s[16:17], s[10:11]
	s_cbranch_execz .LBB136_321
.LBB136_320:
	v_lshlrev_b32_e32 v25, 3, v0
	v_mov_b32_e32 v27, 0
	ds_read_b64 v[25:26], v25 offset:24384
	ds_read_b64 v[27:28], v27 offset:24440
	s_waitcnt lgkmcnt(0)
	v_fma_f64 v[11:12], v[25:26], v[27:28], v[11:12]
.LBB136_321:
	s_or_b64 exec, exec, s[16:17]
.LBB136_322:
	s_or_b64 exec, exec, s[12:13]
	s_and_saveexec_b64 s[10:11], s[44:45]
	s_cbranch_execz .LBB136_324
; %bb.323:
	v_mov_b32_e32 v25, 0
	ds_read_b64 v[25:26], v25 offset:22360
	s_waitcnt lgkmcnt(0)
	v_mul_f64 v[11:12], v[11:12], v[25:26]
	v_xor_b32_e32 v26, 0x80000000, v12
	v_mov_b32_e32 v25, v11
	ds_write_b64 v18, v[25:26]
.LBB136_324:
	s_or_b64 exec, exec, s[10:11]
	s_waitcnt lgkmcnt(0)
	s_barrier
	s_and_saveexec_b64 s[10:11], s[46:47]
	s_cbranch_execz .LBB136_326
; %bb.325:
	v_lshlrev_b32_e32 v25, 3, v16
	ds_read_b64 v[25:26], v25 offset:22336
	ds_read_b64 v[27:28], v18
	s_waitcnt lgkmcnt(0)
	v_fma_f64 v[11:12], -v[25:26], v[27:28], v[11:12]
.LBB136_326:
	s_or_b64 exec, exec, s[10:11]
	s_barrier
	s_and_saveexec_b64 s[10:11], s[48:49]
	s_cbranch_execz .LBB136_328
; %bb.327:
	v_mov_b32_e32 v25, 0
	ds_read_b64 v[25:26], v25 offset:21840
	s_waitcnt lgkmcnt(0)
	v_mul_f64 v[11:12], v[11:12], v[25:26]
	v_xor_b32_e32 v26, 0x80000000, v12
	v_mov_b32_e32 v25, v11
	ds_write_b64 v18, v[25:26]
.LBB136_328:
	s_or_b64 exec, exec, s[10:11]
	s_waitcnt lgkmcnt(0)
	s_barrier
	s_and_saveexec_b64 s[10:11], s[50:51]
	s_cbranch_execz .LBB136_330
; %bb.329:
	v_lshlrev_b32_e32 v25, 3, v16
	ds_read_b64 v[25:26], v25 offset:21824
	ds_read_b64 v[27:28], v18
	s_waitcnt lgkmcnt(0)
	v_fma_f64 v[11:12], -v[25:26], v[27:28], v[11:12]
.LBB136_330:
	s_or_b64 exec, exec, s[10:11]
	s_barrier
	s_and_saveexec_b64 s[10:11], s[52:53]
	s_cbranch_execz .LBB136_332
; %bb.331:
	v_mov_b32_e32 v25, 0
	ds_read_b64 v[25:26], v25 offset:21320
	s_waitcnt lgkmcnt(0)
	v_mul_f64 v[11:12], v[11:12], v[25:26]
	v_xor_b32_e32 v26, 0x80000000, v12
	v_mov_b32_e32 v25, v11
	ds_write_b64 v18, v[25:26]
.LBB136_332:
	s_or_b64 exec, exec, s[10:11]
	s_waitcnt lgkmcnt(0)
	s_barrier
	s_and_saveexec_b64 s[10:11], s[42:43]
	s_cbranch_execz .LBB136_334
; %bb.333:
	v_mov_b32_e32 v25, 0
	ds_read_b64 v[25:26], v25 offset:21312
	ds_read_b64 v[27:28], v18
	s_waitcnt lgkmcnt(0)
	v_fma_f64 v[11:12], -v[25:26], v[27:28], v[11:12]
.LBB136_334:
	s_or_b64 exec, exec, s[10:11]
	s_barrier
	s_and_saveexec_b64 s[10:11], s[42:43]
	s_cbranch_execz .LBB136_336
; %bb.335:
	v_mov_b32_e32 v25, 0
	ds_read_b64 v[25:26], v25 offset:20800
	s_waitcnt lgkmcnt(0)
	v_mul_f64 v[11:12], v[11:12], v[25:26]
	v_xor_b32_e32 v26, 0x80000000, v12
	v_mov_b32_e32 v25, v11
	ds_write_b64 v18, v[25:26]
.LBB136_336:
	s_or_b64 exec, exec, s[10:11]
	s_waitcnt lgkmcnt(0)
	s_barrier
	s_barrier
	s_and_saveexec_b64 s[10:11], s[2:3]
; %bb.337:
	v_lshlrev_b32_e32 v25, 3, v16
	v_lshl_or_b32 v25, v17, 9, v25
	ds_write_b64 v25, v[11:12] offset:22848
; %bb.338:
	s_or_b64 exec, exec, s[10:11]
	s_waitcnt lgkmcnt(0)
	s_barrier
	s_barrier
	s_and_saveexec_b64 s[10:11], vcc
	s_cbranch_execz .LBB136_340
; %bb.339:
	v_mov_b32_e32 v29, 0
	ds_read_b128 v[25:28], v29 offset:22352
	ds_read_b64 v[11:12], v29 offset:21840
	s_waitcnt lgkmcnt(0)
	v_mul_f64 v[11:12], v[11:12], v[27:28]
	v_mul_f64 v[11:12], v[25:26], v[11:12]
	ds_write_b64 v29, v[11:12] offset:22352
.LBB136_340:
	s_or_b64 exec, exec, s[10:11]
	v_mov_b32_e32 v11, 0
	v_mov_b32_e32 v12, 0
	s_waitcnt lgkmcnt(0)
	s_barrier
	buffer_wbinvl1_vol
	s_and_saveexec_b64 s[12:13], s[0:1]
	s_cbranch_execz .LBB136_344
; %bb.341:
	v_lshlrev_b32_e32 v25, 9, v13
	v_lshlrev_b32_e32 v11, 3, v1
	ds_read_b64 v[11:12], v11 offset:21824
	ds_read_b64 v[25:26], v25 offset:21840
	v_cmp_gt_u32_e64 s[10:11], 2, v15
	s_waitcnt lgkmcnt(0)
	v_fma_f64 v[11:12], v[11:12], v[25:26], 0
	s_and_saveexec_b64 s[16:17], s[10:11]
	s_cbranch_execz .LBB136_343
; %bb.342:
	v_lshlrev_b32_e32 v25, 3, v0
	v_mov_b32_e32 v27, 0
	ds_read_b64 v[25:26], v25 offset:22336
	ds_read_b64 v[27:28], v27 offset:22360
	s_waitcnt lgkmcnt(0)
	v_fma_f64 v[11:12], v[25:26], v[27:28], v[11:12]
.LBB136_343:
	s_or_b64 exec, exec, s[16:17]
.LBB136_344:
	s_or_b64 exec, exec, s[12:13]
	s_and_saveexec_b64 s[10:11], s[40:41]
	s_cbranch_execz .LBB136_346
; %bb.345:
	v_mov_b32_e32 v25, 0
	ds_read_b64 v[25:26], v25 offset:21320
	s_waitcnt lgkmcnt(0)
	v_mul_f64 v[11:12], v[11:12], v[25:26]
	v_xor_b32_e32 v26, 0x80000000, v12
	v_mov_b32_e32 v25, v11
	ds_write_b64 v14, v[25:26]
.LBB136_346:
	s_or_b64 exec, exec, s[10:11]
	s_waitcnt lgkmcnt(0)
	s_barrier
	s_and_saveexec_b64 s[10:11], s[38:39]
	s_cbranch_execz .LBB136_348
; %bb.347:
	v_mov_b32_e32 v25, 0
	ds_read_b64 v[25:26], v25 offset:21312
	ds_read_b64 v[27:28], v14
	s_waitcnt lgkmcnt(0)
	v_fma_f64 v[11:12], -v[25:26], v[27:28], v[11:12]
.LBB136_348:
	s_or_b64 exec, exec, s[10:11]
	s_barrier
	s_and_saveexec_b64 s[10:11], s[38:39]
	s_cbranch_execz .LBB136_350
; %bb.349:
	v_mov_b32_e32 v25, 0
	ds_read_b64 v[25:26], v25 offset:20800
	s_waitcnt lgkmcnt(0)
	v_mul_f64 v[11:12], v[11:12], v[25:26]
	v_xor_b32_e32 v26, 0x80000000, v12
	v_mov_b32_e32 v25, v11
	ds_write_b64 v14, v[25:26]
.LBB136_350:
	s_or_b64 exec, exec, s[10:11]
	s_waitcnt lgkmcnt(0)
	s_barrier
	s_barrier
	s_and_saveexec_b64 s[10:11], s[0:1]
; %bb.351:
	v_lshlrev_b32_e32 v25, 3, v1
	v_lshl_or_b32 v25, v13, 9, v25
	ds_write_b64 v25, v[11:12] offset:21824
; %bb.352:
	s_or_b64 exec, exec, s[10:11]
	s_waitcnt lgkmcnt(0)
	s_barrier
	s_barrier
	s_and_saveexec_b64 s[10:11], vcc
	s_cbranch_execz .LBB136_354
; %bb.353:
	v_mov_b32_e32 v29, 0
	ds_read_b128 v[25:28], v29 offset:21312
	ds_read_b64 v[11:12], v29 offset:20800
	s_waitcnt lgkmcnt(0)
	v_mul_f64 v[11:12], v[11:12], v[27:28]
	v_mul_f64 v[11:12], v[25:26], v[11:12]
	ds_write_b64 v29, v[11:12] offset:21312
.LBB136_354:
	s_or_b64 exec, exec, s[10:11]
	v_mov_b32_e32 v11, 0
	v_mov_b32_e32 v12, 0
	s_waitcnt lgkmcnt(0)
	s_barrier
	buffer_wbinvl1_vol
	s_and_saveexec_b64 s[12:13], s[14:15]
	s_cbranch_execz .LBB136_364
; %bb.355:
	v_lshlrev_b32_e32 v26, 3, v19
	v_lshlrev_b32_e32 v25, 9, v20
	ds_read_b64 v[11:12], v26 offset:20736
	ds_read_b64 v[27:28], v25 offset:20800
	v_cmp_gt_u32_e64 s[10:11], 56, v15
	s_waitcnt lgkmcnt(0)
	v_fma_f64 v[11:12], v[11:12], v[27:28], 0
	s_and_saveexec_b64 s[16:17], s[10:11]
	s_cbranch_execnz .LBB136_1051
; %bb.356:
	s_or_b64 exec, exec, s[16:17]
	v_cmp_gt_u32_e64 s[10:11], 48, v15
	s_and_saveexec_b64 s[16:17], s[10:11]
	s_cbranch_execnz .LBB136_1052
.LBB136_357:
	s_or_b64 exec, exec, s[16:17]
	v_cmp_gt_u32_e64 s[10:11], 40, v15
	s_and_saveexec_b64 s[16:17], s[10:11]
	s_cbranch_execnz .LBB136_1053
.LBB136_358:
	s_or_b64 exec, exec, s[16:17]
	v_cmp_gt_u32_e64 s[10:11], 32, v15
	s_and_saveexec_b64 s[16:17], s[10:11]
	s_cbranch_execnz .LBB136_1054
.LBB136_359:
	s_or_b64 exec, exec, s[16:17]
	v_cmp_gt_u32_e64 s[10:11], 24, v15
	s_and_saveexec_b64 s[16:17], s[10:11]
	s_cbranch_execnz .LBB136_1055
.LBB136_360:
	s_or_b64 exec, exec, s[16:17]
	s_and_saveexec_b64 s[10:11], s[2:3]
	s_cbranch_execnz .LBB136_1056
.LBB136_361:
	s_or_b64 exec, exec, s[10:11]
	v_cmp_gt_u32_e64 s[10:11], 8, v15
	s_and_saveexec_b64 s[16:17], s[10:11]
	s_cbranch_execz .LBB136_363
.LBB136_362:
	v_lshlrev_b32_e32 v25, 3, v0
	v_mov_b32_e32 v27, 0
	ds_read_b64 v[25:26], v25 offset:24320
	ds_read_b64 v[27:28], v27 offset:24440
	s_waitcnt lgkmcnt(0)
	v_fma_f64 v[11:12], v[25:26], v[27:28], v[11:12]
.LBB136_363:
	s_or_b64 exec, exec, s[16:17]
.LBB136_364:
	s_or_b64 exec, exec, s[12:13]
	s_and_saveexec_b64 s[10:11], s[54:55]
	s_cbranch_execz .LBB136_366
; %bb.365:
	v_mov_b32_e32 v25, 0
	ds_read_b64 v[25:26], v25 offset:20280
	s_waitcnt lgkmcnt(0)
	v_mul_f64 v[11:12], v[11:12], v[25:26]
	v_xor_b32_e32 v26, 0x80000000, v12
	v_mov_b32_e32 v25, v11
	ds_write_b64 v21, v[25:26]
.LBB136_366:
	s_or_b64 exec, exec, s[10:11]
	s_waitcnt lgkmcnt(0)
	s_barrier
	s_and_saveexec_b64 s[10:11], s[56:57]
	s_cbranch_execz .LBB136_368
; %bb.367:
	v_lshlrev_b32_e32 v25, 3, v19
	ds_read_b64 v[25:26], v25 offset:20224
	ds_read_b64 v[27:28], v21
	s_waitcnt lgkmcnt(0)
	v_fma_f64 v[11:12], -v[25:26], v[27:28], v[11:12]
.LBB136_368:
	s_or_b64 exec, exec, s[10:11]
	s_barrier
	s_and_saveexec_b64 s[10:11], s[58:59]
	s_cbranch_execz .LBB136_370
; %bb.369:
	v_mov_b32_e32 v25, 0
	ds_read_b64 v[25:26], v25 offset:19760
	s_waitcnt lgkmcnt(0)
	v_mul_f64 v[11:12], v[11:12], v[25:26]
	v_xor_b32_e32 v26, 0x80000000, v12
	v_mov_b32_e32 v25, v11
	ds_write_b64 v21, v[25:26]
.LBB136_370:
	s_or_b64 exec, exec, s[10:11]
	s_waitcnt lgkmcnt(0)
	s_barrier
	s_and_saveexec_b64 s[10:11], s[60:61]
	s_cbranch_execz .LBB136_372
; %bb.371:
	v_lshlrev_b32_e32 v25, 3, v19
	ds_read_b64 v[25:26], v25 offset:19712
	ds_read_b64 v[27:28], v21
	s_waitcnt lgkmcnt(0)
	v_fma_f64 v[11:12], -v[25:26], v[27:28], v[11:12]
.LBB136_372:
	s_or_b64 exec, exec, s[10:11]
	s_barrier
	;; [unrolled: 25-line block ×6, first 2 shown]
	s_and_saveexec_b64 s[10:11], s[80:81]
	s_cbranch_execz .LBB136_390
; %bb.389:
	v_mov_b32_e32 v25, 0
	ds_read_b64 v[25:26], v25 offset:17160
	s_waitcnt lgkmcnt(0)
	v_mul_f64 v[11:12], v[11:12], v[25:26]
	v_xor_b32_e32 v26, 0x80000000, v12
	v_mov_b32_e32 v25, v11
	ds_write_b64 v21, v[25:26]
.LBB136_390:
	s_or_b64 exec, exec, s[10:11]
	s_waitcnt lgkmcnt(0)
	s_barrier
	s_and_saveexec_b64 s[10:11], s[64:65]
	s_cbranch_execz .LBB136_392
; %bb.391:
	v_mov_b32_e32 v25, 0
	ds_read_b64 v[25:26], v25 offset:17152
	ds_read_b64 v[27:28], v21
	s_waitcnt lgkmcnt(0)
	v_fma_f64 v[11:12], -v[25:26], v[27:28], v[11:12]
.LBB136_392:
	s_or_b64 exec, exec, s[10:11]
	s_barrier
	s_and_saveexec_b64 s[10:11], s[64:65]
	s_cbranch_execz .LBB136_394
; %bb.393:
	v_mov_b32_e32 v25, 0
	ds_read_b64 v[25:26], v25 offset:16640
	s_waitcnt lgkmcnt(0)
	v_mul_f64 v[11:12], v[11:12], v[25:26]
	v_xor_b32_e32 v26, 0x80000000, v12
	v_mov_b32_e32 v25, v11
	ds_write_b64 v21, v[25:26]
.LBB136_394:
	s_or_b64 exec, exec, s[10:11]
	s_waitcnt lgkmcnt(0)
	s_barrier
	s_barrier
	s_and_saveexec_b64 s[10:11], s[14:15]
; %bb.395:
	v_lshlrev_b32_e32 v25, 3, v19
	v_lshl_or_b32 v25, v20, 9, v25
	ds_write_b64 v25, v[11:12] offset:20736
; %bb.396:
	s_or_b64 exec, exec, s[10:11]
	s_waitcnt lgkmcnt(0)
	s_barrier
	s_barrier
	s_and_saveexec_b64 s[10:11], vcc
	s_cbranch_execz .LBB136_398
; %bb.397:
	v_mov_b32_e32 v29, 0
	ds_read_b128 v[25:28], v29 offset:20272
	ds_read_b64 v[11:12], v29 offset:19760
	s_waitcnt lgkmcnt(0)
	v_mul_f64 v[11:12], v[11:12], v[27:28]
	v_mul_f64 v[11:12], v[25:26], v[11:12]
	ds_write_b64 v29, v[11:12] offset:20272
.LBB136_398:
	s_or_b64 exec, exec, s[10:11]
	v_mov_b32_e32 v11, 0
	v_mov_b32_e32 v12, 0
	s_waitcnt lgkmcnt(0)
	s_barrier
	buffer_wbinvl1_vol
	s_and_saveexec_b64 s[12:13], s[0:1]
	s_cbranch_execz .LBB136_402
; %bb.399:
	v_lshlrev_b32_e32 v25, 9, v13
	v_lshlrev_b32_e32 v11, 3, v1
	ds_read_b64 v[11:12], v11 offset:19744
	ds_read_b64 v[25:26], v25 offset:19760
	v_cmp_gt_u32_e64 s[10:11], 2, v15
	s_waitcnt lgkmcnt(0)
	v_fma_f64 v[11:12], v[11:12], v[25:26], 0
	s_and_saveexec_b64 s[16:17], s[10:11]
	s_cbranch_execz .LBB136_401
; %bb.400:
	v_lshlrev_b32_e32 v25, 3, v0
	v_mov_b32_e32 v27, 0
	ds_read_b64 v[25:26], v25 offset:20256
	ds_read_b64 v[27:28], v27 offset:20280
	s_waitcnt lgkmcnt(0)
	v_fma_f64 v[11:12], v[25:26], v[27:28], v[11:12]
.LBB136_401:
	s_or_b64 exec, exec, s[16:17]
.LBB136_402:
	s_or_b64 exec, exec, s[12:13]
	s_and_saveexec_b64 s[10:11], s[40:41]
	s_cbranch_execz .LBB136_404
; %bb.403:
	v_mov_b32_e32 v25, 0
	ds_read_b64 v[25:26], v25 offset:19240
	s_waitcnt lgkmcnt(0)
	v_mul_f64 v[11:12], v[11:12], v[25:26]
	v_xor_b32_e32 v26, 0x80000000, v12
	v_mov_b32_e32 v25, v11
	ds_write_b64 v14, v[25:26]
.LBB136_404:
	s_or_b64 exec, exec, s[10:11]
	s_waitcnt lgkmcnt(0)
	s_barrier
	s_and_saveexec_b64 s[10:11], s[38:39]
	s_cbranch_execz .LBB136_406
; %bb.405:
	v_mov_b32_e32 v25, 0
	ds_read_b64 v[25:26], v25 offset:19232
	ds_read_b64 v[27:28], v14
	s_waitcnt lgkmcnt(0)
	v_fma_f64 v[11:12], -v[25:26], v[27:28], v[11:12]
.LBB136_406:
	s_or_b64 exec, exec, s[10:11]
	s_barrier
	s_and_saveexec_b64 s[10:11], s[38:39]
	s_cbranch_execz .LBB136_408
; %bb.407:
	v_mov_b32_e32 v25, 0
	ds_read_b64 v[25:26], v25 offset:18720
	s_waitcnt lgkmcnt(0)
	v_mul_f64 v[11:12], v[11:12], v[25:26]
	v_xor_b32_e32 v26, 0x80000000, v12
	v_mov_b32_e32 v25, v11
	ds_write_b64 v14, v[25:26]
.LBB136_408:
	s_or_b64 exec, exec, s[10:11]
	s_waitcnt lgkmcnt(0)
	s_barrier
	s_barrier
	s_and_saveexec_b64 s[10:11], s[0:1]
; %bb.409:
	v_lshlrev_b32_e32 v25, 3, v1
	v_lshl_or_b32 v25, v13, 9, v25
	ds_write_b64 v25, v[11:12] offset:19744
; %bb.410:
	s_or_b64 exec, exec, s[10:11]
	s_waitcnt lgkmcnt(0)
	s_barrier
	s_barrier
	s_and_saveexec_b64 s[10:11], vcc
	s_cbranch_execz .LBB136_412
; %bb.411:
	v_mov_b32_e32 v29, 0
	ds_read_b128 v[25:28], v29 offset:19232
	ds_read_b64 v[11:12], v29 offset:18720
	s_waitcnt lgkmcnt(0)
	v_mul_f64 v[11:12], v[11:12], v[27:28]
	v_mul_f64 v[11:12], v[25:26], v[11:12]
	ds_write_b64 v29, v[11:12] offset:19232
.LBB136_412:
	s_or_b64 exec, exec, s[10:11]
	v_mov_b32_e32 v11, 0
	v_mov_b32_e32 v12, 0
	s_waitcnt lgkmcnt(0)
	s_barrier
	buffer_wbinvl1_vol
	s_and_saveexec_b64 s[12:13], s[2:3]
	s_cbranch_execz .LBB136_418
; %bb.413:
	v_lshlrev_b32_e32 v26, 3, v16
	v_lshlrev_b32_e32 v25, 9, v17
	ds_read_b64 v[11:12], v26 offset:18688
	ds_read_b64 v[27:28], v25 offset:18720
	v_cmp_gt_u32_e64 s[10:11], 12, v15
	s_waitcnt lgkmcnt(0)
	v_fma_f64 v[11:12], v[11:12], v[27:28], 0
	s_and_saveexec_b64 s[16:17], s[10:11]
	s_cbranch_execnz .LBB136_1057
; %bb.414:
	s_or_b64 exec, exec, s[16:17]
	v_cmp_gt_u32_e64 s[10:11], 8, v15
	s_and_saveexec_b64 s[16:17], s[10:11]
	s_cbranch_execnz .LBB136_1058
.LBB136_415:
	s_or_b64 exec, exec, s[16:17]
	v_cmp_gt_u32_e64 s[10:11], 4, v15
	s_and_saveexec_b64 s[16:17], s[10:11]
	s_cbranch_execz .LBB136_417
.LBB136_416:
	v_lshlrev_b32_e32 v25, 3, v0
	v_mov_b32_e32 v27, 0
	ds_read_b64 v[25:26], v25 offset:20224
	ds_read_b64 v[27:28], v27 offset:20280
	s_waitcnt lgkmcnt(0)
	v_fma_f64 v[11:12], v[25:26], v[27:28], v[11:12]
.LBB136_417:
	s_or_b64 exec, exec, s[16:17]
.LBB136_418:
	s_or_b64 exec, exec, s[12:13]
	s_and_saveexec_b64 s[10:11], s[44:45]
	s_cbranch_execz .LBB136_420
; %bb.419:
	v_mov_b32_e32 v25, 0
	ds_read_b64 v[25:26], v25 offset:18200
	s_waitcnt lgkmcnt(0)
	v_mul_f64 v[11:12], v[11:12], v[25:26]
	v_xor_b32_e32 v26, 0x80000000, v12
	v_mov_b32_e32 v25, v11
	ds_write_b64 v18, v[25:26]
.LBB136_420:
	s_or_b64 exec, exec, s[10:11]
	s_waitcnt lgkmcnt(0)
	s_barrier
	s_and_saveexec_b64 s[10:11], s[46:47]
	s_cbranch_execz .LBB136_422
; %bb.421:
	v_lshlrev_b32_e32 v25, 3, v16
	ds_read_b64 v[25:26], v25 offset:18176
	ds_read_b64 v[27:28], v18
	s_waitcnt lgkmcnt(0)
	v_fma_f64 v[11:12], -v[25:26], v[27:28], v[11:12]
.LBB136_422:
	s_or_b64 exec, exec, s[10:11]
	s_barrier
	s_and_saveexec_b64 s[10:11], s[48:49]
	s_cbranch_execz .LBB136_424
; %bb.423:
	v_mov_b32_e32 v25, 0
	ds_read_b64 v[25:26], v25 offset:17680
	s_waitcnt lgkmcnt(0)
	v_mul_f64 v[11:12], v[11:12], v[25:26]
	v_xor_b32_e32 v26, 0x80000000, v12
	v_mov_b32_e32 v25, v11
	ds_write_b64 v18, v[25:26]
.LBB136_424:
	s_or_b64 exec, exec, s[10:11]
	s_waitcnt lgkmcnt(0)
	s_barrier
	s_and_saveexec_b64 s[10:11], s[50:51]
	s_cbranch_execz .LBB136_426
; %bb.425:
	v_lshlrev_b32_e32 v25, 3, v16
	ds_read_b64 v[25:26], v25 offset:17664
	ds_read_b64 v[27:28], v18
	s_waitcnt lgkmcnt(0)
	v_fma_f64 v[11:12], -v[25:26], v[27:28], v[11:12]
.LBB136_426:
	s_or_b64 exec, exec, s[10:11]
	s_barrier
	s_and_saveexec_b64 s[10:11], s[52:53]
	s_cbranch_execz .LBB136_428
; %bb.427:
	v_mov_b32_e32 v25, 0
	ds_read_b64 v[25:26], v25 offset:17160
	s_waitcnt lgkmcnt(0)
	v_mul_f64 v[11:12], v[11:12], v[25:26]
	v_xor_b32_e32 v26, 0x80000000, v12
	v_mov_b32_e32 v25, v11
	ds_write_b64 v18, v[25:26]
.LBB136_428:
	s_or_b64 exec, exec, s[10:11]
	s_waitcnt lgkmcnt(0)
	s_barrier
	s_and_saveexec_b64 s[10:11], s[42:43]
	s_cbranch_execz .LBB136_430
; %bb.429:
	v_mov_b32_e32 v25, 0
	ds_read_b64 v[25:26], v25 offset:17152
	ds_read_b64 v[27:28], v18
	s_waitcnt lgkmcnt(0)
	v_fma_f64 v[11:12], -v[25:26], v[27:28], v[11:12]
.LBB136_430:
	s_or_b64 exec, exec, s[10:11]
	s_barrier
	s_and_saveexec_b64 s[10:11], s[42:43]
	s_cbranch_execz .LBB136_432
; %bb.431:
	v_mov_b32_e32 v25, 0
	ds_read_b64 v[25:26], v25 offset:16640
	s_waitcnt lgkmcnt(0)
	v_mul_f64 v[11:12], v[11:12], v[25:26]
	v_xor_b32_e32 v26, 0x80000000, v12
	v_mov_b32_e32 v25, v11
	ds_write_b64 v18, v[25:26]
.LBB136_432:
	s_or_b64 exec, exec, s[10:11]
	s_waitcnt lgkmcnt(0)
	s_barrier
	s_barrier
	s_and_saveexec_b64 s[10:11], s[2:3]
; %bb.433:
	v_lshlrev_b32_e32 v25, 3, v16
	v_lshl_or_b32 v25, v17, 9, v25
	ds_write_b64 v25, v[11:12] offset:18688
; %bb.434:
	s_or_b64 exec, exec, s[10:11]
	s_waitcnt lgkmcnt(0)
	s_barrier
	s_barrier
	s_and_saveexec_b64 s[10:11], vcc
	s_cbranch_execz .LBB136_436
; %bb.435:
	v_mov_b32_e32 v29, 0
	ds_read_b128 v[25:28], v29 offset:18192
	ds_read_b64 v[11:12], v29 offset:17680
	s_waitcnt lgkmcnt(0)
	v_mul_f64 v[11:12], v[11:12], v[27:28]
	v_mul_f64 v[11:12], v[25:26], v[11:12]
	ds_write_b64 v29, v[11:12] offset:18192
.LBB136_436:
	s_or_b64 exec, exec, s[10:11]
	v_mov_b32_e32 v11, 0
	v_mov_b32_e32 v12, 0
	s_waitcnt lgkmcnt(0)
	s_barrier
	buffer_wbinvl1_vol
	s_and_saveexec_b64 s[12:13], s[0:1]
	s_cbranch_execz .LBB136_440
; %bb.437:
	v_lshlrev_b32_e32 v25, 9, v13
	v_lshlrev_b32_e32 v11, 3, v1
	ds_read_b64 v[11:12], v11 offset:17664
	ds_read_b64 v[25:26], v25 offset:17680
	v_cmp_gt_u32_e64 s[10:11], 2, v15
	s_waitcnt lgkmcnt(0)
	v_fma_f64 v[11:12], v[11:12], v[25:26], 0
	s_and_saveexec_b64 s[16:17], s[10:11]
	s_cbranch_execz .LBB136_439
; %bb.438:
	v_lshlrev_b32_e32 v25, 3, v0
	v_mov_b32_e32 v27, 0
	ds_read_b64 v[25:26], v25 offset:18176
	ds_read_b64 v[27:28], v27 offset:18200
	s_waitcnt lgkmcnt(0)
	v_fma_f64 v[11:12], v[25:26], v[27:28], v[11:12]
.LBB136_439:
	s_or_b64 exec, exec, s[16:17]
.LBB136_440:
	s_or_b64 exec, exec, s[12:13]
	s_and_saveexec_b64 s[10:11], s[40:41]
	s_cbranch_execz .LBB136_442
; %bb.441:
	v_mov_b32_e32 v25, 0
	ds_read_b64 v[25:26], v25 offset:17160
	s_waitcnt lgkmcnt(0)
	v_mul_f64 v[11:12], v[11:12], v[25:26]
	v_xor_b32_e32 v26, 0x80000000, v12
	v_mov_b32_e32 v25, v11
	ds_write_b64 v14, v[25:26]
.LBB136_442:
	s_or_b64 exec, exec, s[10:11]
	s_waitcnt lgkmcnt(0)
	s_barrier
	s_and_saveexec_b64 s[10:11], s[38:39]
	s_cbranch_execz .LBB136_444
; %bb.443:
	v_mov_b32_e32 v25, 0
	ds_read_b64 v[25:26], v25 offset:17152
	ds_read_b64 v[27:28], v14
	s_waitcnt lgkmcnt(0)
	v_fma_f64 v[11:12], -v[25:26], v[27:28], v[11:12]
.LBB136_444:
	s_or_b64 exec, exec, s[10:11]
	s_barrier
	s_and_saveexec_b64 s[10:11], s[38:39]
	s_cbranch_execz .LBB136_446
; %bb.445:
	v_mov_b32_e32 v25, 0
	ds_read_b64 v[25:26], v25 offset:16640
	s_waitcnt lgkmcnt(0)
	v_mul_f64 v[11:12], v[11:12], v[25:26]
	v_xor_b32_e32 v26, 0x80000000, v12
	v_mov_b32_e32 v25, v11
	ds_write_b64 v14, v[25:26]
.LBB136_446:
	s_or_b64 exec, exec, s[10:11]
	s_waitcnt lgkmcnt(0)
	s_barrier
	s_barrier
	s_and_saveexec_b64 s[10:11], s[0:1]
; %bb.447:
	v_lshlrev_b32_e32 v25, 3, v1
	v_lshl_or_b32 v25, v13, 9, v25
	ds_write_b64 v25, v[11:12] offset:17664
; %bb.448:
	s_or_b64 exec, exec, s[10:11]
	s_waitcnt lgkmcnt(0)
	s_barrier
	s_barrier
	s_and_saveexec_b64 s[10:11], vcc
	s_cbranch_execz .LBB136_450
; %bb.449:
	v_mov_b32_e32 v29, 0
	ds_read_b128 v[25:28], v29 offset:17152
	ds_read_b64 v[11:12], v29 offset:16640
	s_waitcnt lgkmcnt(0)
	v_mul_f64 v[11:12], v[11:12], v[27:28]
	v_mul_f64 v[11:12], v[25:26], v[11:12]
	ds_write_b64 v29, v[11:12] offset:17152
.LBB136_450:
	s_or_b64 exec, exec, s[10:11]
	s_movk_i32 s10, 0x3ff
	v_lshrrev_b32_e32 v27, 5, v15
	v_cmp_lt_u32_e64 s[12:13], s10, v15
	s_movk_i32 s10, 0x400
	v_mov_b32_e32 v11, 0
	v_and_b32_e32 v25, 31, v0
	v_sub_u32_e32 v26, 31, v27
	v_mov_b32_e32 v12, 0
	v_cmp_gt_u32_e64 s[10:11], s10, v15
	s_waitcnt lgkmcnt(0)
	s_barrier
	buffer_wbinvl1_vol
	s_and_saveexec_b64 s[34:35], s[10:11]
	s_cbranch_execz .LBB136_512
; %bb.451:
	v_lshlrev_b32_e32 v29, 3, v25
	v_lshlrev_b32_e32 v28, 9, v26
	ds_read_b64 v[11:12], v29 offset:16384
	ds_read_b64 v[30:31], v28 offset:16640
	s_movk_i32 s16, 0x3e0
	v_cmp_gt_u32_e64 s[16:17], s16, v15
	s_waitcnt lgkmcnt(0)
	v_fma_f64 v[11:12], v[11:12], v[30:31], 0
	s_and_saveexec_b64 s[82:83], s[16:17]
	s_cbranch_execz .LBB136_453
; %bb.452:
	ds_read_b64 v[30:31], v29 offset:16896
	ds_read_b64 v[32:33], v28 offset:16648
	s_waitcnt lgkmcnt(0)
	v_fma_f64 v[11:12], v[30:31], v[32:33], v[11:12]
.LBB136_453:
	s_or_b64 exec, exec, s[82:83]
	s_movk_i32 s16, 0x3c0
	v_cmp_gt_u32_e64 s[16:17], s16, v15
	s_and_saveexec_b64 s[82:83], s[16:17]
	s_cbranch_execz .LBB136_455
; %bb.454:
	ds_read_b64 v[30:31], v29 offset:17408
	ds_read_b64 v[32:33], v28 offset:16656
	s_waitcnt lgkmcnt(0)
	v_fma_f64 v[11:12], v[30:31], v[32:33], v[11:12]
.LBB136_455:
	s_or_b64 exec, exec, s[82:83]
	s_movk_i32 s16, 0x3a0
	v_cmp_gt_u32_e64 s[16:17], s16, v15
	;; [unrolled: 11-line block ×22, first 2 shown]
	s_and_saveexec_b64 s[82:83], s[16:17]
	s_cbranch_execz .LBB136_497
; %bb.496:
	ds_read_b64 v[30:31], v29 offset:28160
	ds_read_b64 v[32:33], v28 offset:16824
	s_waitcnt lgkmcnt(0)
	v_fma_f64 v[11:12], v[30:31], v[32:33], v[11:12]
.LBB136_497:
	s_or_b64 exec, exec, s[82:83]
	s_and_saveexec_b64 s[16:17], s[8:9]
	s_cbranch_execz .LBB136_499
; %bb.498:
	ds_read_b64 v[30:31], v29 offset:28672
	ds_read_b64 v[32:33], v28 offset:16832
	s_waitcnt lgkmcnt(0)
	v_fma_f64 v[11:12], v[30:31], v[32:33], v[11:12]
.LBB136_499:
	s_or_b64 exec, exec, s[16:17]
	s_movk_i32 s16, 0xe0
	v_cmp_gt_u32_e64 s[16:17], s16, v15
	s_and_saveexec_b64 s[82:83], s[16:17]
	s_cbranch_execz .LBB136_501
; %bb.500:
	ds_read_b64 v[30:31], v29 offset:29184
	ds_read_b64 v[32:33], v28 offset:16840
	s_waitcnt lgkmcnt(0)
	v_fma_f64 v[11:12], v[30:31], v[32:33], v[11:12]
.LBB136_501:
	s_or_b64 exec, exec, s[82:83]
	s_movk_i32 s16, 0xc0
	v_cmp_gt_u32_e64 s[16:17], s16, v15
	;; [unrolled: 11-line block ×5, first 2 shown]
	s_and_saveexec_b64 s[82:83], s[16:17]
	s_cbranch_execnz .LBB136_1059
; %bb.508:
	s_or_b64 exec, exec, s[82:83]
	s_and_saveexec_b64 s[16:17], s[14:15]
	s_cbranch_execnz .LBB136_1060
.LBB136_509:
	s_or_b64 exec, exec, s[16:17]
	v_cmp_gt_u32_e64 s[16:17], 32, v15
	s_and_saveexec_b64 s[82:83], s[16:17]
	s_cbranch_execz .LBB136_511
.LBB136_510:
	v_lshlrev_b32_e32 v28, 3, v0
	v_mov_b32_e32 v30, 0
	ds_read_b64 v[28:29], v28 offset:32256
	ds_read_b64 v[30:31], v30 offset:32760
	s_waitcnt lgkmcnt(0)
	v_fma_f64 v[11:12], v[28:29], v[30:31], v[11:12]
.LBB136_511:
	s_or_b64 exec, exec, s[82:83]
.LBB136_512:
	s_or_b64 exec, exec, s[34:35]
	v_mov_b32_e32 v28, 0x8000
	s_movk_i32 s16, 0x208
	v_lshlrev_b32_e32 v29, 9, v25
	v_mov_b32_e32 v30, 0x3800
	v_lshl_add_u32 v27, v27, 3, v28
	v_mul_u32_u24_e32 v28, 0x208, v25
	v_sub_u32_e32 v29, 0, v29
	v_mad_u32_u24 v30, v25, s16, v30
	s_mov_b32 s34, 31
	s_xor_b64 s[16:17], s[12:13], -1
	s_branch .LBB136_514
.LBB136_513:                            ;   in Loop: Header=BB136_514 Depth=1
	s_or_b64 exec, exec, s[12:13]
	s_add_i32 s34, s34, -4
	s_cmp_eq_u32 s35, 0
	v_add_u32_e32 v29, 0xfffff800, v29
	s_barrier
	s_cbranch_scc1 .LBB136_530
.LBB136_514:                            ; =>This Inner Loop Header: Depth=1
	s_movk_i32 s12, 0xc200
	v_cmp_eq_u32_e64 s[12:13], s12, v29
	s_and_b64 s[82:83], s[16:17], s[12:13]
	s_and_saveexec_b64 s[12:13], s[82:83]
	s_cbranch_execz .LBB136_516
; %bb.515:                              ;   in Loop: Header=BB136_514 Depth=1
	ds_read_b64 v[31:32], v28
	s_waitcnt lgkmcnt(0)
	v_mul_f64 v[11:12], v[11:12], v[31:32]
	v_xor_b32_e32 v32, 0x80000000, v12
	v_mov_b32_e32 v31, v11
	ds_write_b64 v27, v[31:32]
.LBB136_516:                            ;   in Loop: Header=BB136_514 Depth=1
	s_or_b64 exec, exec, s[12:13]
	v_cmp_gt_u32_e64 s[12:13], s34, v25
	s_and_b64 s[82:83], s[16:17], s[12:13]
	v_add_u32_e32 v31, v30, v29
	s_waitcnt lgkmcnt(0)
	s_barrier
	s_and_saveexec_b64 s[12:13], s[82:83]
	s_cbranch_execz .LBB136_518
; %bb.517:                              ;   in Loop: Header=BB136_514 Depth=1
	ds_read_b64 v[32:33], v31 offset:1536
	ds_read_b64 v[34:35], v27
	s_waitcnt lgkmcnt(0)
	v_fma_f64 v[11:12], -v[32:33], v[34:35], v[11:12]
.LBB136_518:                            ;   in Loop: Header=BB136_514 Depth=1
	s_or_b64 exec, exec, s[12:13]
	s_add_i32 s35, s34, -1
	v_cmp_eq_u32_e64 s[12:13], s35, v25
	s_and_b64 s[82:83], s[16:17], s[12:13]
	s_barrier
	s_and_saveexec_b64 s[12:13], s[82:83]
	s_cbranch_execz .LBB136_520
; %bb.519:                              ;   in Loop: Header=BB136_514 Depth=1
	ds_read_b64 v[32:33], v28
	s_waitcnt lgkmcnt(0)
	v_mul_f64 v[11:12], v[11:12], v[32:33]
	v_xor_b32_e32 v33, 0x80000000, v12
	v_mov_b32_e32 v32, v11
	ds_write_b64 v27, v[32:33]
.LBB136_520:                            ;   in Loop: Header=BB136_514 Depth=1
	s_or_b64 exec, exec, s[12:13]
	v_cmp_gt_u32_e64 s[12:13], s35, v25
	s_and_b64 s[82:83], s[16:17], s[12:13]
	s_waitcnt lgkmcnt(0)
	s_barrier
	s_and_saveexec_b64 s[12:13], s[82:83]
	s_cbranch_execz .LBB136_522
; %bb.521:                              ;   in Loop: Header=BB136_514 Depth=1
	ds_read_b64 v[32:33], v31 offset:1024
	ds_read_b64 v[34:35], v27
	s_waitcnt lgkmcnt(0)
	v_fma_f64 v[11:12], -v[32:33], v[34:35], v[11:12]
.LBB136_522:                            ;   in Loop: Header=BB136_514 Depth=1
	s_or_b64 exec, exec, s[12:13]
	s_add_i32 s35, s34, -2
	v_cmp_eq_u32_e64 s[12:13], s35, v25
	s_and_b64 s[82:83], s[16:17], s[12:13]
	s_barrier
	s_and_saveexec_b64 s[12:13], s[82:83]
	s_cbranch_execz .LBB136_524
; %bb.523:                              ;   in Loop: Header=BB136_514 Depth=1
	ds_read_b64 v[32:33], v28
	s_waitcnt lgkmcnt(0)
	v_mul_f64 v[11:12], v[11:12], v[32:33]
	v_xor_b32_e32 v33, 0x80000000, v12
	v_mov_b32_e32 v32, v11
	ds_write_b64 v27, v[32:33]
.LBB136_524:                            ;   in Loop: Header=BB136_514 Depth=1
	s_or_b64 exec, exec, s[12:13]
	v_cmp_gt_u32_e64 s[12:13], s35, v25
	s_and_b64 s[82:83], s[16:17], s[12:13]
	;; [unrolled: 28-line block ×3, first 2 shown]
	s_waitcnt lgkmcnt(0)
	s_barrier
	s_and_saveexec_b64 s[12:13], s[82:83]
	s_cbranch_execz .LBB136_513
; %bb.529:                              ;   in Loop: Header=BB136_514 Depth=1
	ds_read_b64 v[31:32], v31
	ds_read_b64 v[33:34], v27
	s_waitcnt lgkmcnt(0)
	v_fma_f64 v[11:12], -v[31:32], v[33:34], v[11:12]
	s_branch .LBB136_513
.LBB136_530:
	s_and_saveexec_b64 s[12:13], s[10:11]
; %bb.531:
	v_lshlrev_b32_e32 v25, 3, v25
	v_lshl_or_b32 v25, v26, 9, v25
	ds_write_b64 v25, v[11:12] offset:16384
; %bb.532:
	s_or_b64 exec, exec, s[12:13]
	s_waitcnt lgkmcnt(0)
	s_barrier
	s_barrier
	s_and_saveexec_b64 s[10:11], vcc
	s_cbranch_execz .LBB136_534
; %bb.533:
	v_mov_b32_e32 v29, 0
	ds_read_b128 v[25:28], v29 offset:16112
	ds_read_b64 v[11:12], v29 offset:15600
	s_waitcnt lgkmcnt(0)
	v_mul_f64 v[11:12], v[11:12], v[27:28]
	v_mul_f64 v[11:12], v[25:26], v[11:12]
	ds_write_b64 v29, v[11:12] offset:16112
.LBB136_534:
	s_or_b64 exec, exec, s[10:11]
	v_mov_b32_e32 v11, 0
	v_mov_b32_e32 v12, 0
	s_waitcnt lgkmcnt(0)
	s_barrier
	buffer_wbinvl1_vol
	s_and_saveexec_b64 s[12:13], s[0:1]
	s_cbranch_execz .LBB136_538
; %bb.535:
	v_lshlrev_b32_e32 v25, 9, v13
	v_lshlrev_b32_e32 v11, 3, v1
	ds_read_b64 v[11:12], v11 offset:15584
	ds_read_b64 v[25:26], v25 offset:15600
	v_cmp_gt_u32_e64 s[10:11], 2, v15
	s_waitcnt lgkmcnt(0)
	v_fma_f64 v[11:12], v[11:12], v[25:26], 0
	s_and_saveexec_b64 s[16:17], s[10:11]
	s_cbranch_execz .LBB136_537
; %bb.536:
	v_lshlrev_b32_e32 v25, 3, v0
	v_mov_b32_e32 v27, 0
	ds_read_b64 v[25:26], v25 offset:16096
	ds_read_b64 v[27:28], v27 offset:16120
	s_waitcnt lgkmcnt(0)
	v_fma_f64 v[11:12], v[25:26], v[27:28], v[11:12]
.LBB136_537:
	s_or_b64 exec, exec, s[16:17]
.LBB136_538:
	s_or_b64 exec, exec, s[12:13]
	s_and_saveexec_b64 s[10:11], s[40:41]
	s_cbranch_execz .LBB136_540
; %bb.539:
	v_mov_b32_e32 v25, 0
	ds_read_b64 v[25:26], v25 offset:15080
	s_waitcnt lgkmcnt(0)
	v_mul_f64 v[11:12], v[11:12], v[25:26]
	v_xor_b32_e32 v26, 0x80000000, v12
	v_mov_b32_e32 v25, v11
	ds_write_b64 v14, v[25:26]
.LBB136_540:
	s_or_b64 exec, exec, s[10:11]
	s_waitcnt lgkmcnt(0)
	s_barrier
	s_and_saveexec_b64 s[10:11], s[38:39]
	s_cbranch_execz .LBB136_542
; %bb.541:
	v_mov_b32_e32 v25, 0
	ds_read_b64 v[25:26], v25 offset:15072
	ds_read_b64 v[27:28], v14
	s_waitcnt lgkmcnt(0)
	v_fma_f64 v[11:12], -v[25:26], v[27:28], v[11:12]
.LBB136_542:
	s_or_b64 exec, exec, s[10:11]
	s_barrier
	s_and_saveexec_b64 s[10:11], s[38:39]
	s_cbranch_execz .LBB136_544
; %bb.543:
	v_mov_b32_e32 v25, 0
	ds_read_b64 v[25:26], v25 offset:14560
	s_waitcnt lgkmcnt(0)
	v_mul_f64 v[11:12], v[11:12], v[25:26]
	v_xor_b32_e32 v26, 0x80000000, v12
	v_mov_b32_e32 v25, v11
	ds_write_b64 v14, v[25:26]
.LBB136_544:
	s_or_b64 exec, exec, s[10:11]
	s_waitcnt lgkmcnt(0)
	s_barrier
	s_barrier
	s_and_saveexec_b64 s[10:11], s[0:1]
; %bb.545:
	v_lshlrev_b32_e32 v25, 3, v1
	v_lshl_or_b32 v25, v13, 9, v25
	ds_write_b64 v25, v[11:12] offset:15584
; %bb.546:
	s_or_b64 exec, exec, s[10:11]
	s_waitcnt lgkmcnt(0)
	s_barrier
	s_barrier
	s_and_saveexec_b64 s[10:11], vcc
	s_cbranch_execz .LBB136_548
; %bb.547:
	v_mov_b32_e32 v29, 0
	ds_read_b128 v[25:28], v29 offset:15072
	ds_read_b64 v[11:12], v29 offset:14560
	s_waitcnt lgkmcnt(0)
	v_mul_f64 v[11:12], v[11:12], v[27:28]
	v_mul_f64 v[11:12], v[25:26], v[11:12]
	ds_write_b64 v29, v[11:12] offset:15072
.LBB136_548:
	s_or_b64 exec, exec, s[10:11]
	v_mov_b32_e32 v11, 0
	v_mov_b32_e32 v12, 0
	s_waitcnt lgkmcnt(0)
	s_barrier
	buffer_wbinvl1_vol
	s_and_saveexec_b64 s[12:13], s[2:3]
	s_cbranch_execz .LBB136_554
; %bb.549:
	v_lshlrev_b32_e32 v26, 3, v16
	v_lshlrev_b32_e32 v25, 9, v17
	ds_read_b64 v[11:12], v26 offset:14528
	ds_read_b64 v[27:28], v25 offset:14560
	v_cmp_gt_u32_e64 s[10:11], 12, v15
	s_waitcnt lgkmcnt(0)
	v_fma_f64 v[11:12], v[11:12], v[27:28], 0
	s_and_saveexec_b64 s[16:17], s[10:11]
	s_cbranch_execnz .LBB136_1061
; %bb.550:
	s_or_b64 exec, exec, s[16:17]
	v_cmp_gt_u32_e64 s[10:11], 8, v15
	s_and_saveexec_b64 s[16:17], s[10:11]
	s_cbranch_execnz .LBB136_1062
.LBB136_551:
	s_or_b64 exec, exec, s[16:17]
	v_cmp_gt_u32_e64 s[10:11], 4, v15
	s_and_saveexec_b64 s[16:17], s[10:11]
	s_cbranch_execz .LBB136_553
.LBB136_552:
	v_lshlrev_b32_e32 v25, 3, v0
	v_mov_b32_e32 v27, 0
	ds_read_b64 v[25:26], v25 offset:16064
	ds_read_b64 v[27:28], v27 offset:16120
	s_waitcnt lgkmcnt(0)
	v_fma_f64 v[11:12], v[25:26], v[27:28], v[11:12]
.LBB136_553:
	s_or_b64 exec, exec, s[16:17]
.LBB136_554:
	s_or_b64 exec, exec, s[12:13]
	s_and_saveexec_b64 s[10:11], s[44:45]
	s_cbranch_execz .LBB136_556
; %bb.555:
	v_mov_b32_e32 v25, 0
	ds_read_b64 v[25:26], v25 offset:14040
	s_waitcnt lgkmcnt(0)
	v_mul_f64 v[11:12], v[11:12], v[25:26]
	v_xor_b32_e32 v26, 0x80000000, v12
	v_mov_b32_e32 v25, v11
	ds_write_b64 v18, v[25:26]
.LBB136_556:
	s_or_b64 exec, exec, s[10:11]
	s_waitcnt lgkmcnt(0)
	s_barrier
	s_and_saveexec_b64 s[10:11], s[46:47]
	s_cbranch_execz .LBB136_558
; %bb.557:
	v_lshlrev_b32_e32 v25, 3, v16
	ds_read_b64 v[25:26], v25 offset:14016
	ds_read_b64 v[27:28], v18
	s_waitcnt lgkmcnt(0)
	v_fma_f64 v[11:12], -v[25:26], v[27:28], v[11:12]
.LBB136_558:
	s_or_b64 exec, exec, s[10:11]
	s_barrier
	s_and_saveexec_b64 s[10:11], s[48:49]
	s_cbranch_execz .LBB136_560
; %bb.559:
	v_mov_b32_e32 v25, 0
	ds_read_b64 v[25:26], v25 offset:13520
	s_waitcnt lgkmcnt(0)
	v_mul_f64 v[11:12], v[11:12], v[25:26]
	v_xor_b32_e32 v26, 0x80000000, v12
	v_mov_b32_e32 v25, v11
	ds_write_b64 v18, v[25:26]
.LBB136_560:
	s_or_b64 exec, exec, s[10:11]
	s_waitcnt lgkmcnt(0)
	s_barrier
	s_and_saveexec_b64 s[10:11], s[50:51]
	s_cbranch_execz .LBB136_562
; %bb.561:
	v_lshlrev_b32_e32 v25, 3, v16
	ds_read_b64 v[25:26], v25 offset:13504
	ds_read_b64 v[27:28], v18
	s_waitcnt lgkmcnt(0)
	v_fma_f64 v[11:12], -v[25:26], v[27:28], v[11:12]
.LBB136_562:
	s_or_b64 exec, exec, s[10:11]
	s_barrier
	s_and_saveexec_b64 s[10:11], s[52:53]
	s_cbranch_execz .LBB136_564
; %bb.563:
	v_mov_b32_e32 v25, 0
	ds_read_b64 v[25:26], v25 offset:13000
	s_waitcnt lgkmcnt(0)
	v_mul_f64 v[11:12], v[11:12], v[25:26]
	v_xor_b32_e32 v26, 0x80000000, v12
	v_mov_b32_e32 v25, v11
	ds_write_b64 v18, v[25:26]
.LBB136_564:
	s_or_b64 exec, exec, s[10:11]
	s_waitcnt lgkmcnt(0)
	s_barrier
	s_and_saveexec_b64 s[10:11], s[42:43]
	s_cbranch_execz .LBB136_566
; %bb.565:
	v_mov_b32_e32 v25, 0
	ds_read_b64 v[25:26], v25 offset:12992
	ds_read_b64 v[27:28], v18
	s_waitcnt lgkmcnt(0)
	v_fma_f64 v[11:12], -v[25:26], v[27:28], v[11:12]
.LBB136_566:
	s_or_b64 exec, exec, s[10:11]
	s_barrier
	s_and_saveexec_b64 s[10:11], s[42:43]
	s_cbranch_execz .LBB136_568
; %bb.567:
	v_mov_b32_e32 v25, 0
	ds_read_b64 v[25:26], v25 offset:12480
	s_waitcnt lgkmcnt(0)
	v_mul_f64 v[11:12], v[11:12], v[25:26]
	v_xor_b32_e32 v26, 0x80000000, v12
	v_mov_b32_e32 v25, v11
	ds_write_b64 v18, v[25:26]
.LBB136_568:
	s_or_b64 exec, exec, s[10:11]
	s_waitcnt lgkmcnt(0)
	s_barrier
	s_barrier
	s_and_saveexec_b64 s[10:11], s[2:3]
; %bb.569:
	v_lshlrev_b32_e32 v25, 3, v16
	v_lshl_or_b32 v25, v17, 9, v25
	ds_write_b64 v25, v[11:12] offset:14528
; %bb.570:
	s_or_b64 exec, exec, s[10:11]
	s_waitcnt lgkmcnt(0)
	s_barrier
	s_barrier
	s_and_saveexec_b64 s[10:11], vcc
	s_cbranch_execz .LBB136_572
; %bb.571:
	v_mov_b32_e32 v29, 0
	ds_read_b128 v[25:28], v29 offset:14032
	ds_read_b64 v[11:12], v29 offset:13520
	s_waitcnt lgkmcnt(0)
	v_mul_f64 v[11:12], v[11:12], v[27:28]
	v_mul_f64 v[11:12], v[25:26], v[11:12]
	ds_write_b64 v29, v[11:12] offset:14032
.LBB136_572:
	s_or_b64 exec, exec, s[10:11]
	v_mov_b32_e32 v11, 0
	v_mov_b32_e32 v12, 0
	s_waitcnt lgkmcnt(0)
	s_barrier
	buffer_wbinvl1_vol
	s_and_saveexec_b64 s[12:13], s[0:1]
	s_cbranch_execz .LBB136_576
; %bb.573:
	v_lshlrev_b32_e32 v25, 9, v13
	v_lshlrev_b32_e32 v11, 3, v1
	ds_read_b64 v[11:12], v11 offset:13504
	ds_read_b64 v[25:26], v25 offset:13520
	v_cmp_gt_u32_e64 s[10:11], 2, v15
	s_waitcnt lgkmcnt(0)
	v_fma_f64 v[11:12], v[11:12], v[25:26], 0
	s_and_saveexec_b64 s[16:17], s[10:11]
	s_cbranch_execz .LBB136_575
; %bb.574:
	v_lshlrev_b32_e32 v25, 3, v0
	v_mov_b32_e32 v27, 0
	ds_read_b64 v[25:26], v25 offset:14016
	ds_read_b64 v[27:28], v27 offset:14040
	s_waitcnt lgkmcnt(0)
	v_fma_f64 v[11:12], v[25:26], v[27:28], v[11:12]
.LBB136_575:
	s_or_b64 exec, exec, s[16:17]
.LBB136_576:
	s_or_b64 exec, exec, s[12:13]
	s_and_saveexec_b64 s[10:11], s[40:41]
	s_cbranch_execz .LBB136_578
; %bb.577:
	v_mov_b32_e32 v25, 0
	ds_read_b64 v[25:26], v25 offset:13000
	s_waitcnt lgkmcnt(0)
	v_mul_f64 v[11:12], v[11:12], v[25:26]
	v_xor_b32_e32 v26, 0x80000000, v12
	v_mov_b32_e32 v25, v11
	ds_write_b64 v14, v[25:26]
.LBB136_578:
	s_or_b64 exec, exec, s[10:11]
	s_waitcnt lgkmcnt(0)
	s_barrier
	s_and_saveexec_b64 s[10:11], s[38:39]
	s_cbranch_execz .LBB136_580
; %bb.579:
	v_mov_b32_e32 v25, 0
	ds_read_b64 v[25:26], v25 offset:12992
	ds_read_b64 v[27:28], v14
	s_waitcnt lgkmcnt(0)
	v_fma_f64 v[11:12], -v[25:26], v[27:28], v[11:12]
.LBB136_580:
	s_or_b64 exec, exec, s[10:11]
	s_barrier
	s_and_saveexec_b64 s[10:11], s[38:39]
	s_cbranch_execz .LBB136_582
; %bb.581:
	v_mov_b32_e32 v25, 0
	ds_read_b64 v[25:26], v25 offset:12480
	s_waitcnt lgkmcnt(0)
	v_mul_f64 v[11:12], v[11:12], v[25:26]
	v_xor_b32_e32 v26, 0x80000000, v12
	v_mov_b32_e32 v25, v11
	ds_write_b64 v14, v[25:26]
.LBB136_582:
	s_or_b64 exec, exec, s[10:11]
	s_waitcnt lgkmcnt(0)
	s_barrier
	s_barrier
	s_and_saveexec_b64 s[10:11], s[0:1]
; %bb.583:
	v_lshlrev_b32_e32 v25, 3, v1
	v_lshl_or_b32 v25, v13, 9, v25
	ds_write_b64 v25, v[11:12] offset:13504
; %bb.584:
	s_or_b64 exec, exec, s[10:11]
	s_waitcnt lgkmcnt(0)
	s_barrier
	s_barrier
	s_and_saveexec_b64 s[10:11], vcc
	s_cbranch_execz .LBB136_586
; %bb.585:
	v_mov_b32_e32 v29, 0
	ds_read_b128 v[25:28], v29 offset:12992
	ds_read_b64 v[11:12], v29 offset:12480
	s_waitcnt lgkmcnt(0)
	v_mul_f64 v[11:12], v[11:12], v[27:28]
	v_mul_f64 v[11:12], v[25:26], v[11:12]
	ds_write_b64 v29, v[11:12] offset:12992
.LBB136_586:
	s_or_b64 exec, exec, s[10:11]
	v_mov_b32_e32 v11, 0
	v_mov_b32_e32 v12, 0
	s_waitcnt lgkmcnt(0)
	s_barrier
	buffer_wbinvl1_vol
	s_and_saveexec_b64 s[12:13], s[14:15]
	s_cbranch_execz .LBB136_596
; %bb.587:
	v_lshlrev_b32_e32 v26, 3, v19
	v_lshlrev_b32_e32 v25, 9, v20
	ds_read_b64 v[11:12], v26 offset:12416
	ds_read_b64 v[27:28], v25 offset:12480
	v_cmp_gt_u32_e64 s[10:11], 56, v15
	s_waitcnt lgkmcnt(0)
	v_fma_f64 v[11:12], v[11:12], v[27:28], 0
	s_and_saveexec_b64 s[16:17], s[10:11]
	s_cbranch_execnz .LBB136_1063
; %bb.588:
	s_or_b64 exec, exec, s[16:17]
	v_cmp_gt_u32_e64 s[10:11], 48, v15
	s_and_saveexec_b64 s[16:17], s[10:11]
	s_cbranch_execnz .LBB136_1064
.LBB136_589:
	s_or_b64 exec, exec, s[16:17]
	v_cmp_gt_u32_e64 s[10:11], 40, v15
	s_and_saveexec_b64 s[16:17], s[10:11]
	s_cbranch_execnz .LBB136_1065
.LBB136_590:
	s_or_b64 exec, exec, s[16:17]
	v_cmp_gt_u32_e64 s[10:11], 32, v15
	s_and_saveexec_b64 s[16:17], s[10:11]
	s_cbranch_execnz .LBB136_1066
.LBB136_591:
	s_or_b64 exec, exec, s[16:17]
	v_cmp_gt_u32_e64 s[10:11], 24, v15
	s_and_saveexec_b64 s[16:17], s[10:11]
	s_cbranch_execnz .LBB136_1067
.LBB136_592:
	s_or_b64 exec, exec, s[16:17]
	s_and_saveexec_b64 s[10:11], s[2:3]
	s_cbranch_execnz .LBB136_1068
.LBB136_593:
	s_or_b64 exec, exec, s[10:11]
	v_cmp_gt_u32_e64 s[10:11], 8, v15
	s_and_saveexec_b64 s[16:17], s[10:11]
	s_cbranch_execz .LBB136_595
.LBB136_594:
	v_lshlrev_b32_e32 v25, 3, v0
	v_mov_b32_e32 v27, 0
	ds_read_b64 v[25:26], v25 offset:16000
	ds_read_b64 v[27:28], v27 offset:16120
	s_waitcnt lgkmcnt(0)
	v_fma_f64 v[11:12], v[25:26], v[27:28], v[11:12]
.LBB136_595:
	s_or_b64 exec, exec, s[16:17]
.LBB136_596:
	s_or_b64 exec, exec, s[12:13]
	s_and_saveexec_b64 s[10:11], s[54:55]
	s_cbranch_execz .LBB136_598
; %bb.597:
	v_mov_b32_e32 v25, 0
	ds_read_b64 v[25:26], v25 offset:11960
	s_waitcnt lgkmcnt(0)
	v_mul_f64 v[11:12], v[11:12], v[25:26]
	v_xor_b32_e32 v26, 0x80000000, v12
	v_mov_b32_e32 v25, v11
	ds_write_b64 v21, v[25:26]
.LBB136_598:
	s_or_b64 exec, exec, s[10:11]
	s_waitcnt lgkmcnt(0)
	s_barrier
	s_and_saveexec_b64 s[10:11], s[56:57]
	s_cbranch_execz .LBB136_600
; %bb.599:
	v_lshlrev_b32_e32 v25, 3, v19
	ds_read_b64 v[25:26], v25 offset:11904
	ds_read_b64 v[27:28], v21
	s_waitcnt lgkmcnt(0)
	v_fma_f64 v[11:12], -v[25:26], v[27:28], v[11:12]
.LBB136_600:
	s_or_b64 exec, exec, s[10:11]
	s_barrier
	s_and_saveexec_b64 s[10:11], s[58:59]
	s_cbranch_execz .LBB136_602
; %bb.601:
	v_mov_b32_e32 v25, 0
	ds_read_b64 v[25:26], v25 offset:11440
	s_waitcnt lgkmcnt(0)
	v_mul_f64 v[11:12], v[11:12], v[25:26]
	v_xor_b32_e32 v26, 0x80000000, v12
	v_mov_b32_e32 v25, v11
	ds_write_b64 v21, v[25:26]
.LBB136_602:
	s_or_b64 exec, exec, s[10:11]
	s_waitcnt lgkmcnt(0)
	s_barrier
	s_and_saveexec_b64 s[10:11], s[60:61]
	s_cbranch_execz .LBB136_604
; %bb.603:
	v_lshlrev_b32_e32 v25, 3, v19
	ds_read_b64 v[25:26], v25 offset:11392
	ds_read_b64 v[27:28], v21
	s_waitcnt lgkmcnt(0)
	v_fma_f64 v[11:12], -v[25:26], v[27:28], v[11:12]
.LBB136_604:
	s_or_b64 exec, exec, s[10:11]
	s_barrier
	;; [unrolled: 25-line block ×6, first 2 shown]
	s_and_saveexec_b64 s[10:11], s[80:81]
	s_cbranch_execz .LBB136_622
; %bb.621:
	v_mov_b32_e32 v25, 0
	ds_read_b64 v[25:26], v25 offset:8840
	s_waitcnt lgkmcnt(0)
	v_mul_f64 v[11:12], v[11:12], v[25:26]
	v_xor_b32_e32 v26, 0x80000000, v12
	v_mov_b32_e32 v25, v11
	ds_write_b64 v21, v[25:26]
.LBB136_622:
	s_or_b64 exec, exec, s[10:11]
	s_waitcnt lgkmcnt(0)
	s_barrier
	s_and_saveexec_b64 s[10:11], s[64:65]
	s_cbranch_execz .LBB136_624
; %bb.623:
	v_mov_b32_e32 v25, 0
	ds_read_b64 v[25:26], v25 offset:8832
	ds_read_b64 v[27:28], v21
	s_waitcnt lgkmcnt(0)
	v_fma_f64 v[11:12], -v[25:26], v[27:28], v[11:12]
.LBB136_624:
	s_or_b64 exec, exec, s[10:11]
	s_barrier
	s_and_saveexec_b64 s[10:11], s[64:65]
	s_cbranch_execz .LBB136_626
; %bb.625:
	v_mov_b32_e32 v25, 0
	ds_read_b64 v[25:26], v25 offset:8320
	s_waitcnt lgkmcnt(0)
	v_mul_f64 v[11:12], v[11:12], v[25:26]
	v_xor_b32_e32 v26, 0x80000000, v12
	v_mov_b32_e32 v25, v11
	ds_write_b64 v21, v[25:26]
.LBB136_626:
	s_or_b64 exec, exec, s[10:11]
	s_waitcnt lgkmcnt(0)
	s_barrier
	s_barrier
	s_and_saveexec_b64 s[10:11], s[14:15]
; %bb.627:
	v_lshlrev_b32_e32 v25, 3, v19
	v_lshl_or_b32 v25, v20, 9, v25
	ds_write_b64 v25, v[11:12] offset:12416
; %bb.628:
	s_or_b64 exec, exec, s[10:11]
	s_waitcnt lgkmcnt(0)
	s_barrier
	s_barrier
	s_and_saveexec_b64 s[10:11], vcc
	s_cbranch_execz .LBB136_630
; %bb.629:
	v_mov_b32_e32 v29, 0
	ds_read_b128 v[25:28], v29 offset:11952
	ds_read_b64 v[11:12], v29 offset:11440
	s_waitcnt lgkmcnt(0)
	v_mul_f64 v[11:12], v[11:12], v[27:28]
	v_mul_f64 v[11:12], v[25:26], v[11:12]
	ds_write_b64 v29, v[11:12] offset:11952
.LBB136_630:
	s_or_b64 exec, exec, s[10:11]
	v_mov_b32_e32 v11, 0
	v_mov_b32_e32 v12, 0
	s_waitcnt lgkmcnt(0)
	s_barrier
	buffer_wbinvl1_vol
	s_and_saveexec_b64 s[12:13], s[0:1]
	s_cbranch_execz .LBB136_634
; %bb.631:
	v_lshlrev_b32_e32 v25, 9, v13
	v_lshlrev_b32_e32 v11, 3, v1
	ds_read_b64 v[11:12], v11 offset:11424
	ds_read_b64 v[25:26], v25 offset:11440
	v_cmp_gt_u32_e64 s[10:11], 2, v15
	s_waitcnt lgkmcnt(0)
	v_fma_f64 v[11:12], v[11:12], v[25:26], 0
	s_and_saveexec_b64 s[16:17], s[10:11]
	s_cbranch_execz .LBB136_633
; %bb.632:
	v_lshlrev_b32_e32 v25, 3, v0
	v_mov_b32_e32 v27, 0
	ds_read_b64 v[25:26], v25 offset:11936
	ds_read_b64 v[27:28], v27 offset:11960
	s_waitcnt lgkmcnt(0)
	v_fma_f64 v[11:12], v[25:26], v[27:28], v[11:12]
.LBB136_633:
	s_or_b64 exec, exec, s[16:17]
.LBB136_634:
	s_or_b64 exec, exec, s[12:13]
	s_and_saveexec_b64 s[10:11], s[40:41]
	s_cbranch_execz .LBB136_636
; %bb.635:
	v_mov_b32_e32 v25, 0
	ds_read_b64 v[25:26], v25 offset:10920
	s_waitcnt lgkmcnt(0)
	v_mul_f64 v[11:12], v[11:12], v[25:26]
	v_xor_b32_e32 v26, 0x80000000, v12
	v_mov_b32_e32 v25, v11
	ds_write_b64 v14, v[25:26]
.LBB136_636:
	s_or_b64 exec, exec, s[10:11]
	s_waitcnt lgkmcnt(0)
	s_barrier
	s_and_saveexec_b64 s[10:11], s[38:39]
	s_cbranch_execz .LBB136_638
; %bb.637:
	v_mov_b32_e32 v25, 0
	ds_read_b64 v[25:26], v25 offset:10912
	ds_read_b64 v[27:28], v14
	s_waitcnt lgkmcnt(0)
	v_fma_f64 v[11:12], -v[25:26], v[27:28], v[11:12]
.LBB136_638:
	s_or_b64 exec, exec, s[10:11]
	s_barrier
	s_and_saveexec_b64 s[10:11], s[38:39]
	s_cbranch_execz .LBB136_640
; %bb.639:
	v_mov_b32_e32 v25, 0
	ds_read_b64 v[25:26], v25 offset:10400
	s_waitcnt lgkmcnt(0)
	v_mul_f64 v[11:12], v[11:12], v[25:26]
	v_xor_b32_e32 v26, 0x80000000, v12
	v_mov_b32_e32 v25, v11
	ds_write_b64 v14, v[25:26]
.LBB136_640:
	s_or_b64 exec, exec, s[10:11]
	s_waitcnt lgkmcnt(0)
	s_barrier
	s_barrier
	s_and_saveexec_b64 s[10:11], s[0:1]
; %bb.641:
	v_lshlrev_b32_e32 v25, 3, v1
	v_lshl_or_b32 v25, v13, 9, v25
	ds_write_b64 v25, v[11:12] offset:11424
; %bb.642:
	s_or_b64 exec, exec, s[10:11]
	s_waitcnt lgkmcnt(0)
	s_barrier
	s_barrier
	s_and_saveexec_b64 s[10:11], vcc
	s_cbranch_execz .LBB136_644
; %bb.643:
	v_mov_b32_e32 v29, 0
	ds_read_b128 v[25:28], v29 offset:10912
	ds_read_b64 v[11:12], v29 offset:10400
	s_waitcnt lgkmcnt(0)
	v_mul_f64 v[11:12], v[11:12], v[27:28]
	v_mul_f64 v[11:12], v[25:26], v[11:12]
	ds_write_b64 v29, v[11:12] offset:10912
.LBB136_644:
	s_or_b64 exec, exec, s[10:11]
	v_mov_b32_e32 v11, 0
	v_mov_b32_e32 v12, 0
	s_waitcnt lgkmcnt(0)
	s_barrier
	buffer_wbinvl1_vol
	s_and_saveexec_b64 s[12:13], s[2:3]
	s_cbranch_execz .LBB136_650
; %bb.645:
	v_lshlrev_b32_e32 v26, 3, v16
	v_lshlrev_b32_e32 v25, 9, v17
	ds_read_b64 v[11:12], v26 offset:10368
	ds_read_b64 v[27:28], v25 offset:10400
	v_cmp_gt_u32_e64 s[10:11], 12, v15
	s_waitcnt lgkmcnt(0)
	v_fma_f64 v[11:12], v[11:12], v[27:28], 0
	s_and_saveexec_b64 s[16:17], s[10:11]
	s_cbranch_execnz .LBB136_1069
; %bb.646:
	s_or_b64 exec, exec, s[16:17]
	v_cmp_gt_u32_e64 s[10:11], 8, v15
	s_and_saveexec_b64 s[16:17], s[10:11]
	s_cbranch_execnz .LBB136_1070
.LBB136_647:
	s_or_b64 exec, exec, s[16:17]
	v_cmp_gt_u32_e64 s[10:11], 4, v15
	s_and_saveexec_b64 s[16:17], s[10:11]
	s_cbranch_execz .LBB136_649
.LBB136_648:
	v_lshlrev_b32_e32 v25, 3, v0
	v_mov_b32_e32 v27, 0
	ds_read_b64 v[25:26], v25 offset:11904
	ds_read_b64 v[27:28], v27 offset:11960
	s_waitcnt lgkmcnt(0)
	v_fma_f64 v[11:12], v[25:26], v[27:28], v[11:12]
.LBB136_649:
	s_or_b64 exec, exec, s[16:17]
.LBB136_650:
	s_or_b64 exec, exec, s[12:13]
	s_and_saveexec_b64 s[10:11], s[44:45]
	s_cbranch_execz .LBB136_652
; %bb.651:
	v_mov_b32_e32 v25, 0
	ds_read_b64 v[25:26], v25 offset:9880
	s_waitcnt lgkmcnt(0)
	v_mul_f64 v[11:12], v[11:12], v[25:26]
	v_xor_b32_e32 v26, 0x80000000, v12
	v_mov_b32_e32 v25, v11
	ds_write_b64 v18, v[25:26]
.LBB136_652:
	s_or_b64 exec, exec, s[10:11]
	s_waitcnt lgkmcnt(0)
	s_barrier
	s_and_saveexec_b64 s[10:11], s[46:47]
	s_cbranch_execz .LBB136_654
; %bb.653:
	v_lshlrev_b32_e32 v25, 3, v16
	ds_read_b64 v[25:26], v25 offset:9856
	ds_read_b64 v[27:28], v18
	s_waitcnt lgkmcnt(0)
	v_fma_f64 v[11:12], -v[25:26], v[27:28], v[11:12]
.LBB136_654:
	s_or_b64 exec, exec, s[10:11]
	s_barrier
	s_and_saveexec_b64 s[10:11], s[48:49]
	s_cbranch_execz .LBB136_656
; %bb.655:
	v_mov_b32_e32 v25, 0
	ds_read_b64 v[25:26], v25 offset:9360
	s_waitcnt lgkmcnt(0)
	v_mul_f64 v[11:12], v[11:12], v[25:26]
	v_xor_b32_e32 v26, 0x80000000, v12
	v_mov_b32_e32 v25, v11
	ds_write_b64 v18, v[25:26]
.LBB136_656:
	s_or_b64 exec, exec, s[10:11]
	s_waitcnt lgkmcnt(0)
	s_barrier
	s_and_saveexec_b64 s[10:11], s[50:51]
	s_cbranch_execz .LBB136_658
; %bb.657:
	v_lshlrev_b32_e32 v25, 3, v16
	ds_read_b64 v[25:26], v25 offset:9344
	ds_read_b64 v[27:28], v18
	s_waitcnt lgkmcnt(0)
	v_fma_f64 v[11:12], -v[25:26], v[27:28], v[11:12]
.LBB136_658:
	s_or_b64 exec, exec, s[10:11]
	s_barrier
	s_and_saveexec_b64 s[10:11], s[52:53]
	s_cbranch_execz .LBB136_660
; %bb.659:
	v_mov_b32_e32 v25, 0
	ds_read_b64 v[25:26], v25 offset:8840
	s_waitcnt lgkmcnt(0)
	v_mul_f64 v[11:12], v[11:12], v[25:26]
	v_xor_b32_e32 v26, 0x80000000, v12
	v_mov_b32_e32 v25, v11
	ds_write_b64 v18, v[25:26]
.LBB136_660:
	s_or_b64 exec, exec, s[10:11]
	s_waitcnt lgkmcnt(0)
	s_barrier
	s_and_saveexec_b64 s[10:11], s[42:43]
	s_cbranch_execz .LBB136_662
; %bb.661:
	v_mov_b32_e32 v25, 0
	ds_read_b64 v[25:26], v25 offset:8832
	ds_read_b64 v[27:28], v18
	s_waitcnt lgkmcnt(0)
	v_fma_f64 v[11:12], -v[25:26], v[27:28], v[11:12]
.LBB136_662:
	s_or_b64 exec, exec, s[10:11]
	s_barrier
	s_and_saveexec_b64 s[10:11], s[42:43]
	s_cbranch_execz .LBB136_664
; %bb.663:
	v_mov_b32_e32 v25, 0
	ds_read_b64 v[25:26], v25 offset:8320
	s_waitcnt lgkmcnt(0)
	v_mul_f64 v[11:12], v[11:12], v[25:26]
	v_xor_b32_e32 v26, 0x80000000, v12
	v_mov_b32_e32 v25, v11
	ds_write_b64 v18, v[25:26]
.LBB136_664:
	s_or_b64 exec, exec, s[10:11]
	s_waitcnt lgkmcnt(0)
	s_barrier
	s_barrier
	s_and_saveexec_b64 s[10:11], s[2:3]
; %bb.665:
	v_lshlrev_b32_e32 v25, 3, v16
	v_lshl_or_b32 v25, v17, 9, v25
	ds_write_b64 v25, v[11:12] offset:10368
; %bb.666:
	s_or_b64 exec, exec, s[10:11]
	s_waitcnt lgkmcnt(0)
	s_barrier
	s_barrier
	s_and_saveexec_b64 s[10:11], vcc
	s_cbranch_execz .LBB136_668
; %bb.667:
	v_mov_b32_e32 v29, 0
	ds_read_b128 v[25:28], v29 offset:9872
	ds_read_b64 v[11:12], v29 offset:9360
	s_waitcnt lgkmcnt(0)
	v_mul_f64 v[11:12], v[11:12], v[27:28]
	v_mul_f64 v[11:12], v[25:26], v[11:12]
	ds_write_b64 v29, v[11:12] offset:9872
.LBB136_668:
	s_or_b64 exec, exec, s[10:11]
	v_mov_b32_e32 v11, 0
	v_mov_b32_e32 v12, 0
	s_waitcnt lgkmcnt(0)
	s_barrier
	buffer_wbinvl1_vol
	s_and_saveexec_b64 s[12:13], s[0:1]
	s_cbranch_execz .LBB136_672
; %bb.669:
	v_lshlrev_b32_e32 v25, 9, v13
	v_lshlrev_b32_e32 v11, 3, v1
	ds_read_b64 v[11:12], v11 offset:9344
	ds_read_b64 v[25:26], v25 offset:9360
	v_cmp_gt_u32_e64 s[10:11], 2, v15
	s_waitcnt lgkmcnt(0)
	v_fma_f64 v[11:12], v[11:12], v[25:26], 0
	s_and_saveexec_b64 s[16:17], s[10:11]
	s_cbranch_execz .LBB136_671
; %bb.670:
	v_lshlrev_b32_e32 v25, 3, v0
	v_mov_b32_e32 v27, 0
	ds_read_b64 v[25:26], v25 offset:9856
	ds_read_b64 v[27:28], v27 offset:9880
	s_waitcnt lgkmcnt(0)
	v_fma_f64 v[11:12], v[25:26], v[27:28], v[11:12]
.LBB136_671:
	s_or_b64 exec, exec, s[16:17]
.LBB136_672:
	s_or_b64 exec, exec, s[12:13]
	s_and_saveexec_b64 s[10:11], s[40:41]
	s_cbranch_execz .LBB136_674
; %bb.673:
	v_mov_b32_e32 v25, 0
	ds_read_b64 v[25:26], v25 offset:8840
	s_waitcnt lgkmcnt(0)
	v_mul_f64 v[11:12], v[11:12], v[25:26]
	v_xor_b32_e32 v26, 0x80000000, v12
	v_mov_b32_e32 v25, v11
	ds_write_b64 v14, v[25:26]
.LBB136_674:
	s_or_b64 exec, exec, s[10:11]
	s_waitcnt lgkmcnt(0)
	s_barrier
	s_and_saveexec_b64 s[10:11], s[38:39]
	s_cbranch_execz .LBB136_676
; %bb.675:
	v_mov_b32_e32 v25, 0
	ds_read_b64 v[25:26], v25 offset:8832
	ds_read_b64 v[27:28], v14
	s_waitcnt lgkmcnt(0)
	v_fma_f64 v[11:12], -v[25:26], v[27:28], v[11:12]
.LBB136_676:
	s_or_b64 exec, exec, s[10:11]
	s_barrier
	s_and_saveexec_b64 s[10:11], s[38:39]
	s_cbranch_execz .LBB136_678
; %bb.677:
	v_mov_b32_e32 v25, 0
	ds_read_b64 v[25:26], v25 offset:8320
	s_waitcnt lgkmcnt(0)
	v_mul_f64 v[11:12], v[11:12], v[25:26]
	v_xor_b32_e32 v26, 0x80000000, v12
	v_mov_b32_e32 v25, v11
	ds_write_b64 v14, v[25:26]
.LBB136_678:
	s_or_b64 exec, exec, s[10:11]
	s_waitcnt lgkmcnt(0)
	s_barrier
	s_barrier
	s_and_saveexec_b64 s[10:11], s[0:1]
; %bb.679:
	v_lshlrev_b32_e32 v25, 3, v1
	v_lshl_or_b32 v25, v13, 9, v25
	ds_write_b64 v25, v[11:12] offset:9344
; %bb.680:
	s_or_b64 exec, exec, s[10:11]
	s_waitcnt lgkmcnt(0)
	s_barrier
	s_barrier
	s_and_saveexec_b64 s[10:11], vcc
	s_cbranch_execz .LBB136_682
; %bb.681:
	v_mov_b32_e32 v29, 0
	ds_read_b128 v[25:28], v29 offset:8832
	ds_read_b64 v[11:12], v29 offset:8320
	s_waitcnt lgkmcnt(0)
	v_mul_f64 v[11:12], v[11:12], v[27:28]
	v_mul_f64 v[11:12], v[25:26], v[11:12]
	ds_write_b64 v29, v[11:12] offset:8832
.LBB136_682:
	s_or_b64 exec, exec, s[10:11]
	v_mov_b32_e32 v11, 0
	v_mov_b32_e32 v12, 0
	s_waitcnt lgkmcnt(0)
	s_barrier
	buffer_wbinvl1_vol
	s_and_saveexec_b64 s[12:13], s[8:9]
	s_cbranch_execz .LBB136_710
; %bb.683:
	v_lshlrev_b32_e32 v26, 3, v22
	v_lshlrev_b32_e32 v25, 9, v23
	ds_read_b64 v[11:12], v26 offset:8192
	ds_read_b64 v[27:28], v25 offset:8320
	s_movk_i32 s10, 0xf0
	v_cmp_gt_u32_e64 s[10:11], s10, v15
	s_waitcnt lgkmcnt(0)
	v_fma_f64 v[11:12], v[11:12], v[27:28], 0
	s_and_saveexec_b64 s[16:17], s[10:11]
	s_cbranch_execz .LBB136_685
; %bb.684:
	ds_read_b64 v[27:28], v26 offset:8704
	ds_read_b64 v[29:30], v25 offset:8328
	s_waitcnt lgkmcnt(0)
	v_fma_f64 v[11:12], v[27:28], v[29:30], v[11:12]
.LBB136_685:
	s_or_b64 exec, exec, s[16:17]
	s_movk_i32 s10, 0xe0
	v_cmp_gt_u32_e64 s[10:11], s10, v15
	s_and_saveexec_b64 s[16:17], s[10:11]
	s_cbranch_execz .LBB136_687
; %bb.686:
	ds_read_b64 v[27:28], v26 offset:9216
	ds_read_b64 v[29:30], v25 offset:8336
	s_waitcnt lgkmcnt(0)
	v_fma_f64 v[11:12], v[27:28], v[29:30], v[11:12]
.LBB136_687:
	s_or_b64 exec, exec, s[16:17]
	s_movk_i32 s10, 0xd0
	v_cmp_gt_u32_e64 s[10:11], s10, v15
	;; [unrolled: 11-line block ×10, first 2 shown]
	s_and_saveexec_b64 s[16:17], s[10:11]
	s_cbranch_execnz .LBB136_1071
; %bb.704:
	s_or_b64 exec, exec, s[16:17]
	s_and_saveexec_b64 s[10:11], s[14:15]
	s_cbranch_execnz .LBB136_1072
.LBB136_705:
	s_or_b64 exec, exec, s[10:11]
	v_cmp_gt_u32_e64 s[10:11], 48, v15
	s_and_saveexec_b64 s[16:17], s[10:11]
	s_cbranch_execnz .LBB136_1073
.LBB136_706:
	s_or_b64 exec, exec, s[16:17]
	v_cmp_gt_u32_e64 s[10:11], 32, v15
	s_and_saveexec_b64 s[16:17], s[10:11]
	s_cbranch_execnz .LBB136_1074
.LBB136_707:
	s_or_b64 exec, exec, s[16:17]
	v_cmp_gt_u32_e64 s[10:11], 16, v15
	s_and_saveexec_b64 s[16:17], s[10:11]
	s_cbranch_execz .LBB136_709
.LBB136_708:
	v_lshlrev_b32_e32 v25, 3, v0
	v_mov_b32_e32 v27, 0
	ds_read_b64 v[25:26], v25 offset:15872
	ds_read_b64 v[27:28], v27 offset:16120
	s_waitcnt lgkmcnt(0)
	v_fma_f64 v[11:12], v[25:26], v[27:28], v[11:12]
.LBB136_709:
	s_or_b64 exec, exec, s[16:17]
.LBB136_710:
	s_or_b64 exec, exec, s[12:13]
	s_mov_b64 s[10:11], exec
	v_readlane_b32 s12, v36, 3
	v_readlane_b32 s13, v36, 4
	s_and_b64 s[12:13], s[10:11], s[12:13]
	s_mov_b64 exec, s[12:13]
	s_cbranch_execz .LBB136_712
; %bb.711:
	v_mov_b32_e32 v25, 0
	ds_read_b64 v[25:26], v25 offset:7800
	s_waitcnt lgkmcnt(0)
	v_mul_f64 v[11:12], v[11:12], v[25:26]
	v_xor_b32_e32 v26, 0x80000000, v12
	v_mov_b32_e32 v25, v11
	ds_write_b64 v24, v[25:26]
.LBB136_712:
	s_or_b64 exec, exec, s[10:11]
	s_waitcnt lgkmcnt(0)
	s_barrier
	s_mov_b64 s[10:11], exec
	v_readlane_b32 s12, v36, 5
	v_readlane_b32 s13, v36, 6
	s_and_b64 s[12:13], s[10:11], s[12:13]
	s_mov_b64 exec, s[12:13]
	s_cbranch_execz .LBB136_714
; %bb.713:
	v_lshlrev_b32_e32 v25, 3, v22
	ds_read_b64 v[25:26], v25 offset:7680
	ds_read_b64 v[27:28], v24
	s_waitcnt lgkmcnt(0)
	v_fma_f64 v[11:12], -v[25:26], v[27:28], v[11:12]
.LBB136_714:
	s_or_b64 exec, exec, s[10:11]
	s_barrier
	s_mov_b64 s[10:11], exec
	v_readlane_b32 s12, v36, 7
	v_readlane_b32 s13, v36, 8
	s_and_b64 s[12:13], s[10:11], s[12:13]
	s_mov_b64 exec, s[12:13]
	s_cbranch_execz .LBB136_716
; %bb.715:
	v_mov_b32_e32 v25, 0
	ds_read_b64 v[25:26], v25 offset:7280
	s_waitcnt lgkmcnt(0)
	v_mul_f64 v[11:12], v[11:12], v[25:26]
	v_xor_b32_e32 v26, 0x80000000, v12
	v_mov_b32_e32 v25, v11
	ds_write_b64 v24, v[25:26]
.LBB136_716:
	s_or_b64 exec, exec, s[10:11]
	s_waitcnt lgkmcnt(0)
	s_barrier
	s_mov_b64 s[10:11], exec
	v_readlane_b32 s12, v36, 9
	v_readlane_b32 s13, v36, 10
	s_and_b64 s[12:13], s[10:11], s[12:13]
	s_mov_b64 exec, s[12:13]
	s_cbranch_execz .LBB136_718
; %bb.717:
	v_lshlrev_b32_e32 v25, 3, v22
	ds_read_b64 v[25:26], v25 offset:7168
	ds_read_b64 v[27:28], v24
	s_waitcnt lgkmcnt(0)
	v_fma_f64 v[11:12], -v[25:26], v[27:28], v[11:12]
.LBB136_718:
	s_or_b64 exec, exec, s[10:11]
	s_barrier
	;; [unrolled: 33-line block ×13, first 2 shown]
	s_and_saveexec_b64 s[10:11], s[88:89]
	s_cbranch_execz .LBB136_764
; %bb.763:
	v_mov_b32_e32 v25, 0
	ds_read_b64 v[25:26], v25 offset:1040
	s_waitcnt lgkmcnt(0)
	v_mul_f64 v[11:12], v[11:12], v[25:26]
	v_xor_b32_e32 v26, 0x80000000, v12
	v_mov_b32_e32 v25, v11
	ds_write_b64 v24, v[25:26]
.LBB136_764:
	s_or_b64 exec, exec, s[10:11]
	s_waitcnt lgkmcnt(0)
	s_barrier
	s_and_saveexec_b64 s[10:11], s[90:91]
	s_cbranch_execz .LBB136_766
; %bb.765:
	v_lshlrev_b32_e32 v25, 3, v22
	ds_read_b64 v[25:26], v25 offset:1024
	ds_read_b64 v[27:28], v24
	s_waitcnt lgkmcnt(0)
	v_fma_f64 v[11:12], -v[25:26], v[27:28], v[11:12]
.LBB136_766:
	s_or_b64 exec, exec, s[10:11]
	s_barrier
	s_and_saveexec_b64 s[10:11], s[94:95]
	s_cbranch_execz .LBB136_768
; %bb.767:
	v_mov_b32_e32 v25, 0
	ds_read_b64 v[25:26], v25 offset:520
	s_waitcnt lgkmcnt(0)
	v_mul_f64 v[11:12], v[11:12], v[25:26]
	v_xor_b32_e32 v26, 0x80000000, v12
	v_mov_b32_e32 v25, v11
	ds_write_b64 v24, v[25:26]
.LBB136_768:
	s_or_b64 exec, exec, s[10:11]
	s_waitcnt lgkmcnt(0)
	s_barrier
	s_and_saveexec_b64 s[10:11], s[92:93]
	s_cbranch_execz .LBB136_770
; %bb.769:
	v_mov_b32_e32 v25, 0
	ds_read_b64 v[25:26], v25 offset:512
	ds_read_b64 v[27:28], v24
	s_waitcnt lgkmcnt(0)
	v_fma_f64 v[11:12], -v[25:26], v[27:28], v[11:12]
.LBB136_770:
	s_or_b64 exec, exec, s[10:11]
	s_barrier
	s_and_saveexec_b64 s[10:11], s[92:93]
	s_cbranch_execz .LBB136_772
; %bb.771:
	v_mov_b32_e32 v25, 0
	ds_read_b64 v[25:26], v25
	s_waitcnt lgkmcnt(0)
	v_mul_f64 v[11:12], v[11:12], v[25:26]
	v_xor_b32_e32 v26, 0x80000000, v12
	v_mov_b32_e32 v25, v11
	ds_write_b64 v24, v[25:26]
.LBB136_772:
	s_or_b64 exec, exec, s[10:11]
	s_waitcnt lgkmcnt(0)
	s_barrier
	s_barrier
	s_and_saveexec_b64 s[10:11], s[8:9]
; %bb.773:
	v_lshlrev_b32_e32 v22, 3, v22
	v_lshl_or_b32 v22, v23, 9, v22
	ds_write_b64 v22, v[11:12] offset:8192
; %bb.774:
	s_or_b64 exec, exec, s[10:11]
	s_waitcnt lgkmcnt(0)
	s_barrier
	s_barrier
	s_and_saveexec_b64 s[8:9], vcc
	s_cbranch_execz .LBB136_776
; %bb.775:
	v_mov_b32_e32 v26, 0
	ds_read_b128 v[22:25], v26 offset:7792
	ds_read_b64 v[11:12], v26 offset:7280
	s_waitcnt lgkmcnt(0)
	v_mul_f64 v[11:12], v[11:12], v[24:25]
	v_mul_f64 v[11:12], v[22:23], v[11:12]
	ds_write_b64 v26, v[11:12] offset:7792
.LBB136_776:
	s_or_b64 exec, exec, s[8:9]
	v_mov_b32_e32 v11, 0
	v_mov_b32_e32 v12, 0
	s_waitcnt lgkmcnt(0)
	s_barrier
	buffer_wbinvl1_vol
	s_and_saveexec_b64 s[10:11], s[0:1]
	s_cbranch_execz .LBB136_780
; %bb.777:
	v_lshlrev_b32_e32 v22, 9, v13
	v_lshlrev_b32_e32 v11, 3, v1
	ds_read_b64 v[11:12], v11 offset:7264
	ds_read_b64 v[22:23], v22 offset:7280
	v_cmp_gt_u32_e64 s[8:9], 2, v15
	s_waitcnt lgkmcnt(0)
	v_fma_f64 v[11:12], v[11:12], v[22:23], 0
	s_and_saveexec_b64 s[12:13], s[8:9]
	s_cbranch_execz .LBB136_779
; %bb.778:
	v_lshlrev_b32_e32 v22, 3, v0
	v_mov_b32_e32 v24, 0
	ds_read_b64 v[22:23], v22 offset:7776
	ds_read_b64 v[24:25], v24 offset:7800
	s_waitcnt lgkmcnt(0)
	v_fma_f64 v[11:12], v[22:23], v[24:25], v[11:12]
.LBB136_779:
	s_or_b64 exec, exec, s[12:13]
.LBB136_780:
	s_or_b64 exec, exec, s[10:11]
	s_and_saveexec_b64 s[8:9], s[40:41]
	s_cbranch_execz .LBB136_782
; %bb.781:
	v_mov_b32_e32 v22, 0
	ds_read_b64 v[22:23], v22 offset:6760
	s_waitcnt lgkmcnt(0)
	v_mul_f64 v[11:12], v[11:12], v[22:23]
	v_xor_b32_e32 v23, 0x80000000, v12
	v_mov_b32_e32 v22, v11
	ds_write_b64 v14, v[22:23]
.LBB136_782:
	s_or_b64 exec, exec, s[8:9]
	s_waitcnt lgkmcnt(0)
	s_barrier
	s_and_saveexec_b64 s[8:9], s[38:39]
	s_cbranch_execz .LBB136_784
; %bb.783:
	v_mov_b32_e32 v22, 0
	ds_read_b64 v[22:23], v22 offset:6752
	ds_read_b64 v[24:25], v14
	s_waitcnt lgkmcnt(0)
	v_fma_f64 v[11:12], -v[22:23], v[24:25], v[11:12]
.LBB136_784:
	s_or_b64 exec, exec, s[8:9]
	s_barrier
	s_and_saveexec_b64 s[8:9], s[38:39]
	s_cbranch_execz .LBB136_786
; %bb.785:
	v_mov_b32_e32 v22, 0
	ds_read_b64 v[22:23], v22 offset:6240
	s_waitcnt lgkmcnt(0)
	v_mul_f64 v[11:12], v[11:12], v[22:23]
	v_xor_b32_e32 v23, 0x80000000, v12
	v_mov_b32_e32 v22, v11
	ds_write_b64 v14, v[22:23]
.LBB136_786:
	s_or_b64 exec, exec, s[8:9]
	s_waitcnt lgkmcnt(0)
	s_barrier
	s_barrier
	s_and_saveexec_b64 s[8:9], s[0:1]
; %bb.787:
	v_lshlrev_b32_e32 v22, 3, v1
	v_lshl_or_b32 v22, v13, 9, v22
	ds_write_b64 v22, v[11:12] offset:7264
; %bb.788:
	s_or_b64 exec, exec, s[8:9]
	s_waitcnt lgkmcnt(0)
	s_barrier
	s_barrier
	s_and_saveexec_b64 s[8:9], vcc
	s_cbranch_execz .LBB136_790
; %bb.789:
	v_mov_b32_e32 v26, 0
	ds_read_b128 v[22:25], v26 offset:6752
	ds_read_b64 v[11:12], v26 offset:6240
	s_waitcnt lgkmcnt(0)
	v_mul_f64 v[11:12], v[11:12], v[24:25]
	v_mul_f64 v[11:12], v[22:23], v[11:12]
	ds_write_b64 v26, v[11:12] offset:6752
.LBB136_790:
	s_or_b64 exec, exec, s[8:9]
	v_mov_b32_e32 v11, 0
	v_mov_b32_e32 v12, 0
	s_waitcnt lgkmcnt(0)
	s_barrier
	buffer_wbinvl1_vol
	s_and_saveexec_b64 s[10:11], s[2:3]
	s_cbranch_execz .LBB136_796
; %bb.791:
	v_lshlrev_b32_e32 v23, 3, v16
	v_lshlrev_b32_e32 v22, 9, v17
	ds_read_b64 v[11:12], v23 offset:6208
	ds_read_b64 v[24:25], v22 offset:6240
	v_cmp_gt_u32_e64 s[8:9], 12, v15
	s_waitcnt lgkmcnt(0)
	v_fma_f64 v[11:12], v[11:12], v[24:25], 0
	s_and_saveexec_b64 s[12:13], s[8:9]
	s_cbranch_execnz .LBB136_1075
; %bb.792:
	s_or_b64 exec, exec, s[12:13]
	v_cmp_gt_u32_e64 s[8:9], 8, v15
	s_and_saveexec_b64 s[12:13], s[8:9]
	s_cbranch_execnz .LBB136_1076
.LBB136_793:
	s_or_b64 exec, exec, s[12:13]
	v_cmp_gt_u32_e64 s[8:9], 4, v15
	s_and_saveexec_b64 s[12:13], s[8:9]
	s_cbranch_execz .LBB136_795
.LBB136_794:
	v_lshlrev_b32_e32 v22, 3, v0
	v_mov_b32_e32 v24, 0
	ds_read_b64 v[22:23], v22 offset:7744
	ds_read_b64 v[24:25], v24 offset:7800
	s_waitcnt lgkmcnt(0)
	v_fma_f64 v[11:12], v[22:23], v[24:25], v[11:12]
.LBB136_795:
	s_or_b64 exec, exec, s[12:13]
.LBB136_796:
	s_or_b64 exec, exec, s[10:11]
	s_and_saveexec_b64 s[8:9], s[44:45]
	s_cbranch_execz .LBB136_798
; %bb.797:
	v_mov_b32_e32 v22, 0
	ds_read_b64 v[22:23], v22 offset:5720
	s_waitcnt lgkmcnt(0)
	v_mul_f64 v[11:12], v[11:12], v[22:23]
	v_xor_b32_e32 v23, 0x80000000, v12
	v_mov_b32_e32 v22, v11
	ds_write_b64 v18, v[22:23]
.LBB136_798:
	s_or_b64 exec, exec, s[8:9]
	s_waitcnt lgkmcnt(0)
	s_barrier
	s_and_saveexec_b64 s[8:9], s[46:47]
	s_cbranch_execz .LBB136_800
; %bb.799:
	v_lshlrev_b32_e32 v22, 3, v16
	ds_read_b64 v[22:23], v22 offset:5696
	ds_read_b64 v[24:25], v18
	s_waitcnt lgkmcnt(0)
	v_fma_f64 v[11:12], -v[22:23], v[24:25], v[11:12]
.LBB136_800:
	s_or_b64 exec, exec, s[8:9]
	s_barrier
	s_and_saveexec_b64 s[8:9], s[48:49]
	s_cbranch_execz .LBB136_802
; %bb.801:
	v_mov_b32_e32 v22, 0
	ds_read_b64 v[22:23], v22 offset:5200
	s_waitcnt lgkmcnt(0)
	v_mul_f64 v[11:12], v[11:12], v[22:23]
	v_xor_b32_e32 v23, 0x80000000, v12
	v_mov_b32_e32 v22, v11
	ds_write_b64 v18, v[22:23]
.LBB136_802:
	s_or_b64 exec, exec, s[8:9]
	s_waitcnt lgkmcnt(0)
	s_barrier
	s_and_saveexec_b64 s[8:9], s[50:51]
	s_cbranch_execz .LBB136_804
; %bb.803:
	v_lshlrev_b32_e32 v22, 3, v16
	ds_read_b64 v[22:23], v22 offset:5184
	ds_read_b64 v[24:25], v18
	s_waitcnt lgkmcnt(0)
	v_fma_f64 v[11:12], -v[22:23], v[24:25], v[11:12]
.LBB136_804:
	s_or_b64 exec, exec, s[8:9]
	s_barrier
	s_and_saveexec_b64 s[8:9], s[52:53]
	s_cbranch_execz .LBB136_806
; %bb.805:
	v_mov_b32_e32 v22, 0
	ds_read_b64 v[22:23], v22 offset:4680
	s_waitcnt lgkmcnt(0)
	v_mul_f64 v[11:12], v[11:12], v[22:23]
	v_xor_b32_e32 v23, 0x80000000, v12
	v_mov_b32_e32 v22, v11
	ds_write_b64 v18, v[22:23]
.LBB136_806:
	s_or_b64 exec, exec, s[8:9]
	s_waitcnt lgkmcnt(0)
	s_barrier
	s_and_saveexec_b64 s[8:9], s[42:43]
	s_cbranch_execz .LBB136_808
; %bb.807:
	v_mov_b32_e32 v22, 0
	ds_read_b64 v[22:23], v22 offset:4672
	ds_read_b64 v[24:25], v18
	s_waitcnt lgkmcnt(0)
	v_fma_f64 v[11:12], -v[22:23], v[24:25], v[11:12]
.LBB136_808:
	s_or_b64 exec, exec, s[8:9]
	s_barrier
	s_and_saveexec_b64 s[8:9], s[42:43]
	s_cbranch_execz .LBB136_810
; %bb.809:
	v_mov_b32_e32 v22, 0
	ds_read_b64 v[22:23], v22 offset:4160
	s_waitcnt lgkmcnt(0)
	v_mul_f64 v[11:12], v[11:12], v[22:23]
	v_xor_b32_e32 v23, 0x80000000, v12
	v_mov_b32_e32 v22, v11
	ds_write_b64 v18, v[22:23]
.LBB136_810:
	s_or_b64 exec, exec, s[8:9]
	s_waitcnt lgkmcnt(0)
	s_barrier
	s_barrier
	s_and_saveexec_b64 s[8:9], s[2:3]
; %bb.811:
	v_lshlrev_b32_e32 v22, 3, v16
	v_lshl_or_b32 v22, v17, 9, v22
	ds_write_b64 v22, v[11:12] offset:6208
; %bb.812:
	s_or_b64 exec, exec, s[8:9]
	s_waitcnt lgkmcnt(0)
	s_barrier
	s_barrier
	s_and_saveexec_b64 s[8:9], vcc
	s_cbranch_execz .LBB136_814
; %bb.813:
	v_mov_b32_e32 v26, 0
	ds_read_b128 v[22:25], v26 offset:5712
	ds_read_b64 v[11:12], v26 offset:5200
	s_waitcnt lgkmcnt(0)
	v_mul_f64 v[11:12], v[11:12], v[24:25]
	v_mul_f64 v[11:12], v[22:23], v[11:12]
	ds_write_b64 v26, v[11:12] offset:5712
.LBB136_814:
	s_or_b64 exec, exec, s[8:9]
	v_mov_b32_e32 v11, 0
	v_mov_b32_e32 v12, 0
	s_waitcnt lgkmcnt(0)
	s_barrier
	buffer_wbinvl1_vol
	s_and_saveexec_b64 s[10:11], s[0:1]
	s_cbranch_execz .LBB136_818
; %bb.815:
	v_lshlrev_b32_e32 v22, 9, v13
	v_lshlrev_b32_e32 v11, 3, v1
	ds_read_b64 v[11:12], v11 offset:5184
	ds_read_b64 v[22:23], v22 offset:5200
	v_cmp_gt_u32_e64 s[8:9], 2, v15
	s_waitcnt lgkmcnt(0)
	v_fma_f64 v[11:12], v[11:12], v[22:23], 0
	s_and_saveexec_b64 s[12:13], s[8:9]
	s_cbranch_execz .LBB136_817
; %bb.816:
	v_lshlrev_b32_e32 v22, 3, v0
	v_mov_b32_e32 v24, 0
	ds_read_b64 v[22:23], v22 offset:5696
	ds_read_b64 v[24:25], v24 offset:5720
	s_waitcnt lgkmcnt(0)
	v_fma_f64 v[11:12], v[22:23], v[24:25], v[11:12]
.LBB136_817:
	s_or_b64 exec, exec, s[12:13]
.LBB136_818:
	s_or_b64 exec, exec, s[10:11]
	s_and_saveexec_b64 s[8:9], s[40:41]
	s_cbranch_execz .LBB136_820
; %bb.819:
	v_mov_b32_e32 v22, 0
	ds_read_b64 v[22:23], v22 offset:4680
	s_waitcnt lgkmcnt(0)
	v_mul_f64 v[11:12], v[11:12], v[22:23]
	v_xor_b32_e32 v23, 0x80000000, v12
	v_mov_b32_e32 v22, v11
	ds_write_b64 v14, v[22:23]
.LBB136_820:
	s_or_b64 exec, exec, s[8:9]
	s_waitcnt lgkmcnt(0)
	s_barrier
	s_and_saveexec_b64 s[8:9], s[38:39]
	s_cbranch_execz .LBB136_822
; %bb.821:
	v_mov_b32_e32 v22, 0
	ds_read_b64 v[22:23], v22 offset:4672
	ds_read_b64 v[24:25], v14
	s_waitcnt lgkmcnt(0)
	v_fma_f64 v[11:12], -v[22:23], v[24:25], v[11:12]
.LBB136_822:
	s_or_b64 exec, exec, s[8:9]
	s_barrier
	s_and_saveexec_b64 s[8:9], s[38:39]
	s_cbranch_execz .LBB136_824
; %bb.823:
	v_mov_b32_e32 v22, 0
	ds_read_b64 v[22:23], v22 offset:4160
	s_waitcnt lgkmcnt(0)
	v_mul_f64 v[11:12], v[11:12], v[22:23]
	v_xor_b32_e32 v23, 0x80000000, v12
	v_mov_b32_e32 v22, v11
	ds_write_b64 v14, v[22:23]
.LBB136_824:
	s_or_b64 exec, exec, s[8:9]
	s_waitcnt lgkmcnt(0)
	s_barrier
	s_barrier
	s_and_saveexec_b64 s[8:9], s[0:1]
; %bb.825:
	v_lshlrev_b32_e32 v22, 3, v1
	v_lshl_or_b32 v22, v13, 9, v22
	ds_write_b64 v22, v[11:12] offset:5184
; %bb.826:
	s_or_b64 exec, exec, s[8:9]
	s_waitcnt lgkmcnt(0)
	s_barrier
	s_barrier
	s_and_saveexec_b64 s[8:9], vcc
	s_cbranch_execz .LBB136_828
; %bb.827:
	v_mov_b32_e32 v26, 0
	ds_read_b128 v[22:25], v26 offset:4672
	ds_read_b64 v[11:12], v26 offset:4160
	s_waitcnt lgkmcnt(0)
	v_mul_f64 v[11:12], v[11:12], v[24:25]
	v_mul_f64 v[11:12], v[22:23], v[11:12]
	ds_write_b64 v26, v[11:12] offset:4672
.LBB136_828:
	s_or_b64 exec, exec, s[8:9]
	v_mov_b32_e32 v11, 0
	v_mov_b32_e32 v12, 0
	s_waitcnt lgkmcnt(0)
	s_barrier
	buffer_wbinvl1_vol
	s_and_saveexec_b64 s[10:11], s[14:15]
	s_cbranch_execz .LBB136_838
; %bb.829:
	v_lshlrev_b32_e32 v23, 3, v19
	v_lshlrev_b32_e32 v22, 9, v20
	ds_read_b64 v[11:12], v23 offset:4096
	ds_read_b64 v[24:25], v22 offset:4160
	v_cmp_gt_u32_e64 s[8:9], 56, v15
	s_waitcnt lgkmcnt(0)
	v_fma_f64 v[11:12], v[11:12], v[24:25], 0
	s_and_saveexec_b64 s[12:13], s[8:9]
	s_cbranch_execnz .LBB136_1077
; %bb.830:
	s_or_b64 exec, exec, s[12:13]
	v_cmp_gt_u32_e64 s[8:9], 48, v15
	s_and_saveexec_b64 s[12:13], s[8:9]
	s_cbranch_execnz .LBB136_1078
.LBB136_831:
	s_or_b64 exec, exec, s[12:13]
	v_cmp_gt_u32_e64 s[8:9], 40, v15
	s_and_saveexec_b64 s[12:13], s[8:9]
	s_cbranch_execnz .LBB136_1079
.LBB136_832:
	s_or_b64 exec, exec, s[12:13]
	v_cmp_gt_u32_e64 s[8:9], 32, v15
	s_and_saveexec_b64 s[12:13], s[8:9]
	s_cbranch_execnz .LBB136_1080
.LBB136_833:
	s_or_b64 exec, exec, s[12:13]
	v_cmp_gt_u32_e64 s[8:9], 24, v15
	s_and_saveexec_b64 s[12:13], s[8:9]
	s_cbranch_execnz .LBB136_1081
.LBB136_834:
	s_or_b64 exec, exec, s[12:13]
	s_and_saveexec_b64 s[8:9], s[2:3]
	s_cbranch_execnz .LBB136_1082
.LBB136_835:
	s_or_b64 exec, exec, s[8:9]
	v_cmp_gt_u32_e64 s[8:9], 8, v15
	s_and_saveexec_b64 s[12:13], s[8:9]
	s_cbranch_execz .LBB136_837
.LBB136_836:
	v_lshlrev_b32_e32 v22, 3, v0
	v_mov_b32_e32 v24, 0
	ds_read_b64 v[22:23], v22 offset:7680
	ds_read_b64 v[24:25], v24 offset:7800
	s_waitcnt lgkmcnt(0)
	v_fma_f64 v[11:12], v[22:23], v[24:25], v[11:12]
.LBB136_837:
	s_or_b64 exec, exec, s[12:13]
.LBB136_838:
	s_or_b64 exec, exec, s[10:11]
	s_and_saveexec_b64 s[8:9], s[54:55]
	s_cbranch_execz .LBB136_840
; %bb.839:
	v_mov_b32_e32 v22, 0
	ds_read_b64 v[22:23], v22 offset:3640
	s_waitcnt lgkmcnt(0)
	v_mul_f64 v[11:12], v[11:12], v[22:23]
	v_xor_b32_e32 v23, 0x80000000, v12
	v_mov_b32_e32 v22, v11
	ds_write_b64 v21, v[22:23]
.LBB136_840:
	s_or_b64 exec, exec, s[8:9]
	s_waitcnt lgkmcnt(0)
	s_barrier
	s_and_saveexec_b64 s[8:9], s[56:57]
	v_readlane_b32 s54, v36, 2
	s_cbranch_execz .LBB136_842
; %bb.841:
	v_lshlrev_b32_e32 v22, 3, v19
	ds_read_b64 v[22:23], v22 offset:3584
	ds_read_b64 v[24:25], v21
	s_waitcnt lgkmcnt(0)
	v_fma_f64 v[11:12], -v[22:23], v[24:25], v[11:12]
.LBB136_842:
	s_or_b64 exec, exec, s[8:9]
	s_barrier
	s_and_saveexec_b64 s[8:9], s[58:59]
	s_cbranch_execz .LBB136_844
; %bb.843:
	v_mov_b32_e32 v22, 0
	ds_read_b64 v[22:23], v22 offset:3120
	s_waitcnt lgkmcnt(0)
	v_mul_f64 v[11:12], v[11:12], v[22:23]
	v_xor_b32_e32 v23, 0x80000000, v12
	v_mov_b32_e32 v22, v11
	ds_write_b64 v21, v[22:23]
.LBB136_844:
	s_or_b64 exec, exec, s[8:9]
	s_waitcnt lgkmcnt(0)
	s_barrier
	s_and_saveexec_b64 s[8:9], s[60:61]
	s_cbranch_execz .LBB136_846
; %bb.845:
	v_lshlrev_b32_e32 v22, 3, v19
	ds_read_b64 v[22:23], v22 offset:3072
	ds_read_b64 v[24:25], v21
	s_waitcnt lgkmcnt(0)
	v_fma_f64 v[11:12], -v[22:23], v[24:25], v[11:12]
.LBB136_846:
	s_or_b64 exec, exec, s[8:9]
	s_barrier
	s_and_saveexec_b64 s[8:9], s[62:63]
	s_cbranch_execz .LBB136_848
; %bb.847:
	v_mov_b32_e32 v22, 0
	ds_read_b64 v[22:23], v22 offset:2600
	s_waitcnt lgkmcnt(0)
	v_mul_f64 v[11:12], v[11:12], v[22:23]
	v_xor_b32_e32 v23, 0x80000000, v12
	v_mov_b32_e32 v22, v11
	ds_write_b64 v21, v[22:23]
.LBB136_848:
	s_or_b64 exec, exec, s[8:9]
	s_waitcnt lgkmcnt(0)
	s_barrier
	s_and_saveexec_b64 s[8:9], s[66:67]
	;; [unrolled: 25-line block ×6, first 2 shown]
	s_cbranch_execz .LBB136_866
; %bb.865:
	v_mov_b32_e32 v22, 0
	ds_read_b64 v[22:23], v22 offset:512
	ds_read_b64 v[24:25], v21
	s_waitcnt lgkmcnt(0)
	v_fma_f64 v[11:12], -v[22:23], v[24:25], v[11:12]
.LBB136_866:
	s_or_b64 exec, exec, s[8:9]
	s_barrier
	s_and_saveexec_b64 s[8:9], s[64:65]
	s_cbranch_execz .LBB136_868
; %bb.867:
	v_mov_b32_e32 v22, 0
	ds_read_b64 v[22:23], v22
	s_waitcnt lgkmcnt(0)
	v_mul_f64 v[11:12], v[11:12], v[22:23]
	v_xor_b32_e32 v23, 0x80000000, v12
	v_mov_b32_e32 v22, v11
	ds_write_b64 v21, v[22:23]
.LBB136_868:
	s_or_b64 exec, exec, s[8:9]
	s_waitcnt lgkmcnt(0)
	s_barrier
	s_barrier
	s_and_saveexec_b64 s[8:9], s[14:15]
; %bb.869:
	v_lshlrev_b32_e32 v19, 3, v19
	v_lshl_or_b32 v19, v20, 9, v19
	ds_write_b64 v19, v[11:12] offset:4096
; %bb.870:
	s_or_b64 exec, exec, s[8:9]
	s_waitcnt lgkmcnt(0)
	s_barrier
	s_barrier
	s_and_saveexec_b64 s[8:9], vcc
	s_cbranch_execz .LBB136_872
; %bb.871:
	v_mov_b32_e32 v23, 0
	ds_read_b128 v[19:22], v23 offset:3632
	ds_read_b64 v[11:12], v23 offset:3120
	s_waitcnt lgkmcnt(0)
	v_mul_f64 v[11:12], v[11:12], v[21:22]
	v_mul_f64 v[11:12], v[19:20], v[11:12]
	ds_write_b64 v23, v[11:12] offset:3632
.LBB136_872:
	s_or_b64 exec, exec, s[8:9]
	v_mov_b32_e32 v11, 0
	v_mov_b32_e32 v12, 0
	s_waitcnt lgkmcnt(0)
	s_barrier
	buffer_wbinvl1_vol
	s_and_saveexec_b64 s[10:11], s[0:1]
	s_cbranch_execz .LBB136_876
; %bb.873:
	v_lshlrev_b32_e32 v19, 9, v13
	v_lshlrev_b32_e32 v11, 3, v1
	ds_read_b64 v[11:12], v11 offset:3104
	ds_read_b64 v[19:20], v19 offset:3120
	v_cmp_gt_u32_e64 s[8:9], 2, v15
	s_waitcnt lgkmcnt(0)
	v_fma_f64 v[11:12], v[11:12], v[19:20], 0
	s_and_saveexec_b64 s[12:13], s[8:9]
	s_cbranch_execz .LBB136_875
; %bb.874:
	v_lshlrev_b32_e32 v19, 3, v0
	v_mov_b32_e32 v21, 0
	ds_read_b64 v[19:20], v19 offset:3616
	ds_read_b64 v[21:22], v21 offset:3640
	s_waitcnt lgkmcnt(0)
	v_fma_f64 v[11:12], v[19:20], v[21:22], v[11:12]
.LBB136_875:
	s_or_b64 exec, exec, s[12:13]
.LBB136_876:
	s_or_b64 exec, exec, s[10:11]
	s_and_saveexec_b64 s[8:9], s[40:41]
	s_cbranch_execz .LBB136_878
; %bb.877:
	v_mov_b32_e32 v19, 0
	ds_read_b64 v[19:20], v19 offset:2600
	s_waitcnt lgkmcnt(0)
	v_mul_f64 v[11:12], v[11:12], v[19:20]
	v_xor_b32_e32 v20, 0x80000000, v12
	v_mov_b32_e32 v19, v11
	ds_write_b64 v14, v[19:20]
.LBB136_878:
	s_or_b64 exec, exec, s[8:9]
	s_waitcnt lgkmcnt(0)
	s_barrier
	s_and_saveexec_b64 s[8:9], s[38:39]
	s_cbranch_execz .LBB136_880
; %bb.879:
	v_mov_b32_e32 v19, 0
	ds_read_b64 v[19:20], v19 offset:2592
	ds_read_b64 v[21:22], v14
	s_waitcnt lgkmcnt(0)
	v_fma_f64 v[11:12], -v[19:20], v[21:22], v[11:12]
.LBB136_880:
	s_or_b64 exec, exec, s[8:9]
	s_barrier
	s_and_saveexec_b64 s[8:9], s[38:39]
	s_cbranch_execz .LBB136_882
; %bb.881:
	v_mov_b32_e32 v19, 0
	ds_read_b64 v[19:20], v19 offset:2080
	s_waitcnt lgkmcnt(0)
	v_mul_f64 v[11:12], v[11:12], v[19:20]
	v_xor_b32_e32 v20, 0x80000000, v12
	v_mov_b32_e32 v19, v11
	ds_write_b64 v14, v[19:20]
.LBB136_882:
	s_or_b64 exec, exec, s[8:9]
	s_waitcnt lgkmcnt(0)
	s_barrier
	s_barrier
	s_and_saveexec_b64 s[8:9], s[0:1]
; %bb.883:
	v_lshlrev_b32_e32 v19, 3, v1
	v_lshl_or_b32 v19, v13, 9, v19
	ds_write_b64 v19, v[11:12] offset:3104
; %bb.884:
	s_or_b64 exec, exec, s[8:9]
	s_waitcnt lgkmcnt(0)
	s_barrier
	s_barrier
	s_and_saveexec_b64 s[8:9], vcc
	s_cbranch_execz .LBB136_886
; %bb.885:
	v_mov_b32_e32 v23, 0
	ds_read_b128 v[19:22], v23 offset:2592
	ds_read_b64 v[11:12], v23 offset:2080
	s_waitcnt lgkmcnt(0)
	v_mul_f64 v[11:12], v[11:12], v[21:22]
	v_mul_f64 v[11:12], v[19:20], v[11:12]
	ds_write_b64 v23, v[11:12] offset:2592
.LBB136_886:
	s_or_b64 exec, exec, s[8:9]
	v_mov_b32_e32 v11, 0
	v_mov_b32_e32 v12, 0
	s_waitcnt lgkmcnt(0)
	s_barrier
	buffer_wbinvl1_vol
	s_and_saveexec_b64 s[10:11], s[2:3]
	s_cbranch_execz .LBB136_892
; %bb.887:
	v_lshlrev_b32_e32 v20, 3, v16
	v_lshlrev_b32_e32 v19, 9, v17
	ds_read_b64 v[11:12], v20 offset:2048
	ds_read_b64 v[21:22], v19 offset:2080
	v_cmp_gt_u32_e64 s[8:9], 12, v15
	s_waitcnt lgkmcnt(0)
	v_fma_f64 v[11:12], v[11:12], v[21:22], 0
	s_and_saveexec_b64 s[12:13], s[8:9]
	s_cbranch_execnz .LBB136_1083
; %bb.888:
	s_or_b64 exec, exec, s[12:13]
	v_cmp_gt_u32_e64 s[8:9], 8, v15
	s_and_saveexec_b64 s[12:13], s[8:9]
	s_cbranch_execnz .LBB136_1084
.LBB136_889:
	s_or_b64 exec, exec, s[12:13]
	v_cmp_gt_u32_e64 s[8:9], 4, v15
	s_and_saveexec_b64 s[12:13], s[8:9]
	s_cbranch_execz .LBB136_891
.LBB136_890:
	v_lshlrev_b32_e32 v19, 3, v0
	v_mov_b32_e32 v21, 0
	ds_read_b64 v[19:20], v19 offset:3584
	ds_read_b64 v[21:22], v21 offset:3640
	s_waitcnt lgkmcnt(0)
	v_fma_f64 v[11:12], v[19:20], v[21:22], v[11:12]
.LBB136_891:
	s_or_b64 exec, exec, s[12:13]
.LBB136_892:
	s_or_b64 exec, exec, s[10:11]
	s_and_saveexec_b64 s[8:9], s[44:45]
	s_cbranch_execz .LBB136_894
; %bb.893:
	v_mov_b32_e32 v19, 0
	ds_read_b64 v[19:20], v19 offset:1560
	s_waitcnt lgkmcnt(0)
	v_mul_f64 v[11:12], v[11:12], v[19:20]
	v_xor_b32_e32 v20, 0x80000000, v12
	v_mov_b32_e32 v19, v11
	ds_write_b64 v18, v[19:20]
.LBB136_894:
	s_or_b64 exec, exec, s[8:9]
	s_waitcnt lgkmcnt(0)
	s_barrier
	s_and_saveexec_b64 s[8:9], s[46:47]
	s_load_dword s34, s[4:5], 0x6c
	v_readlane_b32 s44, v36, 0
	v_readlane_b32 s45, v36, 1
	s_cbranch_execz .LBB136_896
; %bb.895:
	v_lshlrev_b32_e32 v19, 3, v16
	ds_read_b64 v[19:20], v19 offset:1536
	ds_read_b64 v[21:22], v18
	s_waitcnt lgkmcnt(0)
	v_fma_f64 v[11:12], -v[19:20], v[21:22], v[11:12]
.LBB136_896:
	s_or_b64 exec, exec, s[8:9]
	s_waitcnt lgkmcnt(0)
	s_barrier
	s_and_saveexec_b64 s[8:9], s[48:49]
	s_cbranch_execz .LBB136_898
; %bb.897:
	v_mov_b32_e32 v19, 0
	ds_read_b64 v[19:20], v19 offset:1040
	s_waitcnt lgkmcnt(0)
	v_mul_f64 v[11:12], v[11:12], v[19:20]
	v_xor_b32_e32 v20, 0x80000000, v12
	v_mov_b32_e32 v19, v11
	ds_write_b64 v18, v[19:20]
.LBB136_898:
	s_or_b64 exec, exec, s[8:9]
	s_waitcnt lgkmcnt(0)
	s_barrier
	s_and_saveexec_b64 s[8:9], s[50:51]
	s_cbranch_execz .LBB136_900
; %bb.899:
	v_lshlrev_b32_e32 v19, 3, v16
	ds_read_b64 v[19:20], v19 offset:1024
	ds_read_b64 v[21:22], v18
	s_waitcnt lgkmcnt(0)
	v_fma_f64 v[11:12], -v[19:20], v[21:22], v[11:12]
.LBB136_900:
	s_or_b64 exec, exec, s[8:9]
	s_barrier
	s_and_saveexec_b64 s[8:9], s[52:53]
	s_cbranch_execz .LBB136_902
; %bb.901:
	v_mov_b32_e32 v19, 0
	ds_read_b64 v[19:20], v19 offset:520
	s_waitcnt lgkmcnt(0)
	v_mul_f64 v[11:12], v[11:12], v[19:20]
	v_xor_b32_e32 v20, 0x80000000, v12
	v_mov_b32_e32 v19, v11
	ds_write_b64 v18, v[19:20]
.LBB136_902:
	s_or_b64 exec, exec, s[8:9]
	s_waitcnt lgkmcnt(0)
	s_barrier
	s_and_saveexec_b64 s[8:9], s[42:43]
	s_cbranch_execz .LBB136_904
; %bb.903:
	v_mov_b32_e32 v19, 0
	ds_read_b64 v[19:20], v19 offset:512
	ds_read_b64 v[21:22], v18
	s_waitcnt lgkmcnt(0)
	v_fma_f64 v[11:12], -v[19:20], v[21:22], v[11:12]
.LBB136_904:
	s_or_b64 exec, exec, s[8:9]
	s_barrier
	s_and_saveexec_b64 s[8:9], s[42:43]
	s_cbranch_execz .LBB136_906
; %bb.905:
	v_mov_b32_e32 v19, 0
	ds_read_b64 v[19:20], v19
	s_waitcnt lgkmcnt(0)
	v_mul_f64 v[11:12], v[11:12], v[19:20]
	v_xor_b32_e32 v20, 0x80000000, v12
	v_mov_b32_e32 v19, v11
	ds_write_b64 v18, v[19:20]
.LBB136_906:
	s_or_b64 exec, exec, s[8:9]
	s_waitcnt lgkmcnt(0)
	s_barrier
	s_barrier
	s_and_saveexec_b64 s[8:9], s[2:3]
; %bb.907:
	v_lshlrev_b32_e32 v16, 3, v16
	v_lshl_or_b32 v16, v17, 9, v16
	ds_write_b64 v16, v[11:12] offset:2048
; %bb.908:
	s_or_b64 exec, exec, s[8:9]
	s_waitcnt lgkmcnt(0)
	s_barrier
	s_barrier
	s_and_saveexec_b64 s[2:3], vcc
	s_cbranch_execz .LBB136_910
; %bb.909:
	v_mov_b32_e32 v20, 0
	ds_read_b128 v[16:19], v20 offset:1552
	ds_read_b64 v[11:12], v20 offset:1040
	s_waitcnt lgkmcnt(0)
	v_mul_f64 v[11:12], v[11:12], v[18:19]
	v_mul_f64 v[11:12], v[16:17], v[11:12]
	ds_write_b64 v20, v[11:12] offset:1552
.LBB136_910:
	s_or_b64 exec, exec, s[2:3]
	v_mov_b32_e32 v11, 0
	v_mov_b32_e32 v12, 0
	s_waitcnt lgkmcnt(0)
	s_barrier
	buffer_wbinvl1_vol
	s_and_saveexec_b64 s[8:9], s[0:1]
	s_cbranch_execz .LBB136_914
; %bb.911:
	v_lshlrev_b32_e32 v16, 9, v13
	v_lshlrev_b32_e32 v11, 3, v1
	ds_read_b64 v[11:12], v11 offset:1024
	ds_read_b64 v[16:17], v16 offset:1040
	v_cmp_gt_u32_e64 s[2:3], 2, v15
	s_waitcnt lgkmcnt(0)
	v_fma_f64 v[11:12], v[11:12], v[16:17], 0
	s_and_saveexec_b64 s[10:11], s[2:3]
	s_cbranch_execz .LBB136_913
; %bb.912:
	v_lshlrev_b32_e32 v15, 3, v0
	v_mov_b32_e32 v17, 0
	ds_read_b64 v[15:16], v15 offset:1536
	ds_read_b64 v[17:18], v17 offset:1560
	s_waitcnt lgkmcnt(0)
	v_fma_f64 v[11:12], v[15:16], v[17:18], v[11:12]
.LBB136_913:
	s_or_b64 exec, exec, s[10:11]
.LBB136_914:
	s_or_b64 exec, exec, s[8:9]
	s_and_saveexec_b64 s[2:3], s[40:41]
	s_cbranch_execz .LBB136_916
; %bb.915:
	v_mov_b32_e32 v15, 0
	ds_read_b64 v[15:16], v15 offset:520
	s_waitcnt lgkmcnt(0)
	v_mul_f64 v[11:12], v[11:12], v[15:16]
	v_xor_b32_e32 v16, 0x80000000, v12
	v_mov_b32_e32 v15, v11
	ds_write_b64 v14, v[15:16]
.LBB136_916:
	s_or_b64 exec, exec, s[2:3]
	s_waitcnt lgkmcnt(0)
	s_barrier
	s_and_saveexec_b64 s[2:3], s[38:39]
	s_cbranch_execz .LBB136_918
; %bb.917:
	v_mov_b32_e32 v15, 0
	ds_read_b64 v[15:16], v15 offset:512
	ds_read_b64 v[17:18], v14
	s_waitcnt lgkmcnt(0)
	v_fma_f64 v[11:12], -v[15:16], v[17:18], v[11:12]
.LBB136_918:
	s_or_b64 exec, exec, s[2:3]
	s_barrier
	s_and_saveexec_b64 s[2:3], s[38:39]
	s_cbranch_execz .LBB136_920
; %bb.919:
	v_mov_b32_e32 v15, 0
	ds_read_b64 v[15:16], v15
	s_waitcnt lgkmcnt(0)
	v_mul_f64 v[11:12], v[11:12], v[15:16]
	v_xor_b32_e32 v16, 0x80000000, v12
	v_mov_b32_e32 v15, v11
	ds_write_b64 v14, v[15:16]
.LBB136_920:
	s_or_b64 exec, exec, s[2:3]
	s_waitcnt lgkmcnt(0)
	s_barrier
	s_barrier
	s_and_saveexec_b64 s[2:3], s[0:1]
; %bb.921:
	v_lshlrev_b32_e32 v1, 3, v1
	v_lshl_or_b32 v1, v13, 9, v1
	ds_write_b64 v1, v[11:12] offset:1024
; %bb.922:
	s_or_b64 exec, exec, s[2:3]
	s_waitcnt lgkmcnt(0)
	s_barrier
	s_barrier
	s_and_saveexec_b64 s[0:1], vcc
	s_cbranch_execz .LBB136_924
; %bb.923:
	v_mov_b32_e32 v1, 0
	ds_read_b128 v[11:14], v1 offset:512
	ds_read_b64 v[15:16], v1
	s_waitcnt lgkmcnt(0)
	v_mul_f64 v[13:14], v[15:16], v[13:14]
	v_mul_f64 v[11:12], v[11:12], v[13:14]
	ds_write_b64 v1, v[11:12] offset:512
.LBB136_924:
	s_or_b64 exec, exec, s[0:1]
.LBB136_925:
	s_lshl_b64 s[0:1], s[24:25], 3
	s_add_u32 s38, s44, s0
	v_cmp_le_i32_e32 vcc, s84, v0
	s_addc_u32 s39, s45, s1
	s_and_b64 s[14:15], vcc, s[22:23]
	v_cmp_eq_u32_e64 s[0:1], 0, v2
	s_xor_b64 s[2:3], s[14:15], -1
	v_mov_b32_e32 v11, 0
	s_and_b64 s[8:9], s[0:1], s[2:3]
	v_mov_b32_e32 v12, 0
	v_add_u32_e32 v13, s33, v0
	s_waitcnt lgkmcnt(0)
	s_barrier
	s_and_saveexec_b64 s[2:3], s[8:9]
	s_cbranch_execz .LBB136_927
; %bb.926:
	v_ashrrev_i32_e32 v1, 31, v13
	v_mul_lo_u32 v14, s27, v13
	v_mad_u64_u32 v[11:12], s[8:9], s26, v13, 0
	v_mul_lo_u32 v1, s26, v1
	v_add3_u32 v12, v12, v1, v14
	v_lshlrev_b64 v[11:12], 3, v[11:12]
	v_mov_b32_e32 v1, s39
	v_add_co_u32_e32 v11, vcc, s38, v11
	v_addc_co_u32_e32 v12, vcc, v1, v12, vcc
	flat_load_dwordx2 v[11:12], v[11:12]
	s_waitcnt vmcnt(0) lgkmcnt(0)
	v_mul_f64 v[11:12], v[11:12], -s[20:21]
.LBB136_927:
	s_or_b64 exec, exec, s[2:3]
	s_load_dwordx2 s[12:13], s[4:5], 0x50
	s_and_b32 s2, 0xffff, s34
	v_mad_u32_u24 v17, v2, s2, v0
	v_mov_b32_e32 v1, 0
	s_cmp_lt_i32 s6, 1
	v_cmp_eq_u32_e64 s[2:3], 0, v17
	s_cbranch_scc1 .LBB136_953
; %bb.928:
	v_ashrrev_i32_e32 v14, 31, v13
	v_cmp_gt_i32_e64 s[10:11], s28, v13
	v_lshlrev_b64 v[13:14], 3, v[13:14]
	s_lshl_b64 s[4:5], s[18:19], 2
	v_mov_b32_e32 v15, 0xa000
	s_waitcnt lgkmcnt(0)
	s_add_u32 s16, s12, s4
	v_lshl_add_u32 v18, v17, 3, v15
	v_lshl_or_b32 v19, v2, 3, v15
	v_mov_b32_e32 v15, s86
	v_add_co_u32_e32 v20, vcc, s85, v13
	s_mul_i32 s8, s31, 0x180
	s_mul_hi_u32 s9, s30, 0x180
	s_mov_b32 s40, 0
	s_addc_u32 s17, s13, s5
	v_cmp_gt_u32_e64 s[4:5], 64, v17
	s_add_i32 s87, s87, 1
	v_addc_co_u32_e32 v21, vcc, v15, v14, vcc
	s_lshl_b64 s[20:21], s[30:31], 7
	s_lshl_b64 s[24:25], s[30:31], 8
	s_add_i32 s41, s9, s8
	s_mul_i32 s42, s30, 0x180
	v_mov_b32_e32 v22, -1
	s_branch .LBB136_931
.LBB136_929:                            ;   in Loop: Header=BB136_931 Depth=1
	ds_read_b64 v[13:14], v19 offset:384
	s_waitcnt vmcnt(0) lgkmcnt(0)
	v_fma_f64 v[11:12], v[15:16], v[13:14], v[11:12]
.LBB136_930:                            ;   in Loop: Header=BB136_931 Depth=1
	s_or_b64 exec, exec, s[34:35]
	s_add_i32 s40, s40, 1
	s_cmp_eq_u32 s40, s6
	s_cbranch_scc1 .LBB136_953
.LBB136_931:                            ; =>This Loop Header: Depth=1
                                        ;     Child Loop BB136_933 Depth 2
	v_cmp_gt_i32_e32 vcc, s40, v22
	s_and_b64 s[34:35], s[2:3], vcc
	s_and_saveexec_b64 s[8:9], s[34:35]
	s_cbranch_execz .LBB136_934
; %bb.932:                              ;   in Loop: Header=BB136_931 Depth=1
	global_load_dword v22, v1, s[16:17]
	s_waitcnt vmcnt(0)
	v_cmp_le_i32_e32 vcc, s40, v22
	s_cbranch_vccnz .LBB136_934
.LBB136_933:                            ;   Parent Loop BB136_931 Depth=1
                                        ; =>  This Inner Loop Header: Depth=2
	buffer_wbinvl1_vol
	global_load_dword v22, v1, s[16:17]
	s_waitcnt vmcnt(0)
	v_cmp_gt_i32_e32 vcc, s40, v22
	s_cbranch_vccnz .LBB136_933
.LBB136_934:                            ;   in Loop: Header=BB136_931 Depth=1
	s_or_b64 exec, exec, s[8:9]
	s_sub_i32 s43, s7, s40
	s_lshl_b32 s44, s43, 6
	buffer_wbinvl1_vol
	s_barrier
	s_and_saveexec_b64 s[8:9], s[4:5]
	s_cbranch_execz .LBB136_938
; %bb.935:                              ;   in Loop: Header=BB136_931 Depth=1
	s_ashr_i32 s34, s44, 31
	v_mov_b32_e32 v14, s34
	v_or_b32_e32 v13, s44, v17
	v_cmp_gt_i64_e32 vcc, s[28:29], v[13:14]
	v_mov_b32_e32 v15, 0
	v_mov_b32_e32 v16, 0
	s_and_saveexec_b64 s[34:35], vcc
	s_cbranch_execz .LBB136_937
; %bb.936:                              ;   in Loop: Header=BB136_931 Depth=1
	v_mul_lo_u32 v15, v14, s26
	v_mul_lo_u32 v16, v13, s27
	v_mad_u64_u32 v[13:14], s[46:47], v13, s26, 0
	v_add3_u32 v14, v14, v16, v15
	v_lshlrev_b64 v[13:14], 3, v[13:14]
	v_mov_b32_e32 v15, s39
	v_add_co_u32_e32 v13, vcc, s38, v13
	v_addc_co_u32_e32 v14, vcc, v15, v14, vcc
	flat_load_dwordx2 v[15:16], v[13:14]
.LBB136_937:                            ;   in Loop: Header=BB136_931 Depth=1
	s_or_b64 exec, exec, s[34:35]
	s_waitcnt vmcnt(0) lgkmcnt(0)
	ds_write_b64 v18, v[15:16]
.LBB136_938:                            ;   in Loop: Header=BB136_931 Depth=1
	s_or_b64 exec, exec, s[8:9]
	v_add_u32_e32 v23, s44, v2
	v_ashrrev_i32_e32 v15, 31, v23
	v_mul_lo_u32 v16, s31, v23
	v_mad_u64_u32 v[13:14], s[8:9], s30, v23, 0
	v_mul_lo_u32 v15, s30, v15
	s_cmp_lg_u32 s43, s87
	s_cselect_b64 s[8:9], -1, 0
	s_waitcnt lgkmcnt(0)
	v_add3_u32 v14, v14, v15, v16
	v_lshlrev_b64 v[13:14], 3, v[13:14]
	v_cndmask_b32_e64 v15, 0, 1, s[8:9]
	v_add_co_u32_e32 v13, vcc, v20, v13
	v_addc_co_u32_e32 v14, vcc, v21, v14, vcc
	v_cmp_gt_i32_e32 vcc, s28, v23
	s_and_b64 s[44:45], s[10:11], vcc
	v_cmp_ne_u32_e64 s[8:9], 1, v15
	s_barrier
	s_and_saveexec_b64 s[34:35], s[44:45]
	s_cbranch_execz .LBB136_942
; %bb.939:                              ;   in Loop: Header=BB136_931 Depth=1
	v_mov_b32_e32 v16, v4
	s_and_b64 vcc, exec, s[8:9]
	v_mov_b32_e32 v15, v3
	s_cbranch_vccnz .LBB136_941
; %bb.940:                              ;   in Loop: Header=BB136_931 Depth=1
	flat_load_dwordx2 v[15:16], v[13:14]
.LBB136_941:                            ;   in Loop: Header=BB136_931 Depth=1
	ds_read_b64 v[24:25], v19
	s_waitcnt vmcnt(0) lgkmcnt(0)
	v_fma_f64 v[11:12], v[15:16], v[24:25], v[11:12]
.LBB136_942:                            ;   in Loop: Header=BB136_931 Depth=1
	s_or_b64 exec, exec, s[34:35]
	v_add_u32_e32 v15, 16, v23
	v_cmp_gt_i32_e32 vcc, s28, v15
	s_and_b64 s[44:45], s[10:11], vcc
	s_and_saveexec_b64 s[34:35], s[44:45]
	s_cbranch_execz .LBB136_946
; %bb.943:                              ;   in Loop: Header=BB136_931 Depth=1
	v_mov_b32_e32 v16, v6
	s_and_b64 vcc, exec, s[8:9]
	v_mov_b32_e32 v15, v5
	s_cbranch_vccnz .LBB136_945
; %bb.944:                              ;   in Loop: Header=BB136_931 Depth=1
	v_mov_b32_e32 v16, s21
	v_add_co_u32_e32 v15, vcc, s20, v13
	v_addc_co_u32_e32 v16, vcc, v14, v16, vcc
	flat_load_dwordx2 v[15:16], v[15:16]
.LBB136_945:                            ;   in Loop: Header=BB136_931 Depth=1
	ds_read_b64 v[24:25], v19 offset:128
	s_waitcnt vmcnt(0) lgkmcnt(0)
	v_fma_f64 v[11:12], v[15:16], v[24:25], v[11:12]
.LBB136_946:                            ;   in Loop: Header=BB136_931 Depth=1
	s_or_b64 exec, exec, s[34:35]
	v_add_u32_e32 v15, 32, v23
	v_cmp_gt_i32_e32 vcc, s28, v15
	s_and_b64 s[44:45], s[10:11], vcc
	s_and_saveexec_b64 s[34:35], s[44:45]
	s_cbranch_execz .LBB136_950
; %bb.947:                              ;   in Loop: Header=BB136_931 Depth=1
	v_mov_b32_e32 v16, v10
	s_and_b64 vcc, exec, s[8:9]
	v_mov_b32_e32 v15, v9
	s_cbranch_vccnz .LBB136_949
; %bb.948:                              ;   in Loop: Header=BB136_931 Depth=1
	v_mov_b32_e32 v16, s25
	v_add_co_u32_e32 v15, vcc, s24, v13
	v_addc_co_u32_e32 v16, vcc, v14, v16, vcc
	flat_load_dwordx2 v[15:16], v[15:16]
.LBB136_949:                            ;   in Loop: Header=BB136_931 Depth=1
	ds_read_b64 v[24:25], v19 offset:256
	s_waitcnt vmcnt(0) lgkmcnt(0)
	v_fma_f64 v[11:12], v[15:16], v[24:25], v[11:12]
.LBB136_950:                            ;   in Loop: Header=BB136_931 Depth=1
	s_or_b64 exec, exec, s[34:35]
	v_add_u32_e32 v15, 48, v23
	v_cmp_gt_i32_e32 vcc, s28, v15
	s_and_b64 s[44:45], s[10:11], vcc
	s_and_saveexec_b64 s[34:35], s[44:45]
	s_cbranch_execz .LBB136_930
; %bb.951:                              ;   in Loop: Header=BB136_931 Depth=1
	v_mov_b32_e32 v16, v8
	s_and_b64 vcc, exec, s[8:9]
	v_mov_b32_e32 v15, v7
	s_cbranch_vccnz .LBB136_929
; %bb.952:                              ;   in Loop: Header=BB136_931 Depth=1
	v_mov_b32_e32 v15, s41
	v_add_co_u32_e32 v13, vcc, s42, v13
	v_addc_co_u32_e32 v14, vcc, v14, v15, vcc
	flat_load_dwordx2 v[15:16], v[13:14]
	s_branch .LBB136_929
.LBB136_953:
	v_lshl_add_u32 v1, v2, 6, v0
	s_xor_b64 s[2:3], s[22:23], -1
	s_xor_b64 s[4:5], s[36:37], -1
	v_lshlrev_b32_e32 v1, 3, v1
	ds_write_b64 v1, v[11:12] offset:32768
	s_waitcnt lgkmcnt(0)
	s_barrier
	s_and_saveexec_b64 s[6:7], s[0:1]
	s_cbranch_execz .LBB136_955
; %bb.954:
	v_lshlrev_b32_e32 v15, 3, v0
	ds_read2st64_b64 v[3:6], v15 offset0:65 offset1:66
	ds_read_b64 v[13:14], v15 offset:40448
	s_waitcnt lgkmcnt(1)
	v_add_f64 v[3:4], v[11:12], v[3:4]
	v_add_f64 v[11:12], v[3:4], v[5:6]
	ds_read2st64_b64 v[3:6], v15 offset0:67 offset1:68
	ds_read2st64_b64 v[7:10], v15 offset0:69 offset1:70
	s_waitcnt lgkmcnt(1)
	v_add_f64 v[3:4], v[11:12], v[3:4]
	v_add_f64 v[3:4], v[3:4], v[5:6]
	s_waitcnt lgkmcnt(0)
	v_add_f64 v[3:4], v[3:4], v[7:8]
	v_add_f64 v[11:12], v[3:4], v[9:10]
	ds_read2st64_b64 v[3:6], v15 offset0:71 offset1:72
	ds_read2st64_b64 v[7:10], v15 offset0:73 offset1:74
	s_waitcnt lgkmcnt(1)
	v_add_f64 v[3:4], v[11:12], v[3:4]
	v_add_f64 v[3:4], v[3:4], v[5:6]
	;; [unrolled: 8-line block ×3, first 2 shown]
	s_waitcnt lgkmcnt(0)
	v_add_f64 v[3:4], v[3:4], v[7:8]
	v_add_f64 v[3:4], v[3:4], v[9:10]
	;; [unrolled: 1-line block ×3, first 2 shown]
	v_xor_b32_e32 v4, 0x80000000, v4
	v_cndmask_b32_e64 v12, v4, 0, s[14:15]
	v_cndmask_b32_e64 v11, v3, 0, s[14:15]
.LBB136_955:
	s_or_b64 exec, exec, s[6:7]
	s_andn2_b64 vcc, exec, s[4:5]
	s_cbranch_vccnz .LBB136_968
; %bb.956:
	v_mov_b32_e32 v3, 0xa000
	v_lshl_or_b32 v5, v2, 3, v3
	s_and_saveexec_b64 s[4:5], s[0:1]
; %bb.957:
	v_lshl_add_u32 v3, v0, 3, v5
	ds_write_b64 v3, v[11:12]
; %bb.958:
	s_or_b64 exec, exec, s[4:5]
	v_mov_b32_e32 v3, 0
	v_mov_b32_e32 v4, 0
	v_cmp_le_u32_e32 vcc, v0, v2
	s_waitcnt lgkmcnt(0)
	s_barrier
	s_and_saveexec_b64 s[4:5], vcc
	s_cbranch_execz .LBB136_960
; %bb.959:
	ds_read_b64 v[3:4], v1
	ds_read_b64 v[6:7], v5
	s_waitcnt lgkmcnt(0)
	v_fma_f64 v[3:4], v[3:4], v[6:7], 0
.LBB136_960:
	s_or_b64 exec, exec, s[4:5]
	v_add_u32_e32 v6, 16, v2
	v_cmp_le_u32_e32 vcc, v0, v6
	s_and_saveexec_b64 s[4:5], vcc
	s_cbranch_execz .LBB136_962
; %bb.961:
	ds_read_b64 v[6:7], v1 offset:8192
	ds_read_b64 v[8:9], v5 offset:128
	s_waitcnt lgkmcnt(0)
	v_fma_f64 v[3:4], v[6:7], v[8:9], v[3:4]
.LBB136_962:
	s_or_b64 exec, exec, s[4:5]
	v_add_u32_e32 v6, 32, v2
	v_cmp_le_u32_e32 vcc, v0, v6
	s_and_saveexec_b64 s[4:5], vcc
	s_cbranch_execz .LBB136_964
; %bb.963:
	ds_read_b64 v[6:7], v1 offset:16384
	ds_read_b64 v[8:9], v5 offset:256
	s_waitcnt lgkmcnt(0)
	v_fma_f64 v[3:4], v[6:7], v[8:9], v[3:4]
.LBB136_964:
	s_or_b64 exec, exec, s[4:5]
	v_add_u32_e32 v2, 48, v2
	v_add_u32_e32 v6, 0x8000, v1
	v_cmp_le_u32_e32 vcc, v0, v2
	s_and_saveexec_b64 s[4:5], vcc
	s_cbranch_execz .LBB136_966
; %bb.965:
	ds_read_b64 v[1:2], v1 offset:24576
	ds_read_b64 v[7:8], v5 offset:384
	s_waitcnt lgkmcnt(0)
	v_fma_f64 v[3:4], v[1:2], v[7:8], v[3:4]
.LBB136_966:
	s_or_b64 exec, exec, s[4:5]
	s_mov_b64 s[6:7], 0
	s_mov_b64 s[4:5], 0
	ds_write_b64 v6, v[3:4]
	s_waitcnt lgkmcnt(0)
	s_barrier
                                        ; implicit-def: $vgpr1_vgpr2
	s_and_saveexec_b64 s[8:9], s[0:1]
	s_cbranch_execz .LBB136_1031
; %bb.967:
	v_lshlrev_b32_e32 v15, 3, v0
	ds_read2st64_b64 v[5:8], v15 offset0:65 offset1:66
	ds_read_b64 v[9:10], v15 offset:40448
	s_mov_b64 s[4:5], exec
	s_waitcnt lgkmcnt(1)
	v_add_f64 v[1:2], v[3:4], v[5:6]
	v_add_f64 v[13:14], v[7:8], v[1:2]
	ds_read2st64_b64 v[1:4], v15 offset0:67 offset1:68
	ds_read2st64_b64 v[5:8], v15 offset0:69 offset1:70
	s_waitcnt lgkmcnt(1)
	v_add_f64 v[1:2], v[1:2], v[13:14]
	v_add_f64 v[1:2], v[3:4], v[1:2]
	s_waitcnt lgkmcnt(0)
	v_add_f64 v[1:2], v[5:6], v[1:2]
	v_add_f64 v[13:14], v[7:8], v[1:2]
	ds_read2st64_b64 v[1:4], v15 offset0:71 offset1:72
	ds_read2st64_b64 v[5:8], v15 offset0:73 offset1:74
	s_waitcnt lgkmcnt(1)
	v_add_f64 v[1:2], v[1:2], v[13:14]
	v_add_f64 v[1:2], v[3:4], v[1:2]
	;; [unrolled: 8-line block ×3, first 2 shown]
	s_waitcnt lgkmcnt(0)
	v_add_f64 v[1:2], v[5:6], v[1:2]
	v_add_f64 v[1:2], v[7:8], v[1:2]
	;; [unrolled: 1-line block ×3, first 2 shown]
	s_or_b64 exec, exec, s[8:9]
	s_and_b64 vcc, exec, s[6:7]
	s_cbranch_vccnz .LBB136_969
	s_branch .LBB136_1032
.LBB136_968:
	s_mov_b64 s[4:5], 0
                                        ; implicit-def: $vgpr1_vgpr2
	s_cbranch_execz .LBB136_1032
.LBB136_969:
	s_movk_i32 s6, 0x208
	v_lshlrev_b32_e32 v2, 9, v0
	v_mov_b32_e32 v3, 0x7800
	v_mul_u32_u24_e32 v1, 0x208, v0
	v_sub_u32_e32 v2, 0, v2
	v_mad_u32_u24 v3, v0, s6, v3
	s_mov_b32 s8, 63
	s_movk_i32 s9, 0x8200
	v_mov_b32_e32 v4, 0
	s_branch .LBB136_971
.LBB136_970:                            ;   in Loop: Header=BB136_971 Depth=1
	s_or_b64 exec, exec, s[6:7]
	s_add_i32 s8, s8, -4
	s_cmp_lg_u32 s10, 0
	v_add_u32_e32 v2, 0xfffff800, v2
	s_barrier
	s_cbranch_scc0 .LBB136_987
.LBB136_971:                            ; =>This Inner Loop Header: Depth=1
	v_cmp_eq_u32_e32 vcc, s9, v2
	s_and_b64 s[10:11], s[0:1], vcc
	s_and_saveexec_b64 s[6:7], s[10:11]
	s_cbranch_execz .LBB136_973
; %bb.972:                              ;   in Loop: Header=BB136_971 Depth=1
	ds_read_b64 v[5:6], v1
	s_waitcnt lgkmcnt(0)
	v_mul_f64 v[11:12], v[11:12], v[5:6]
	ds_write_b64 v4, v[11:12] offset:41472
.LBB136_973:                            ;   in Loop: Header=BB136_971 Depth=1
	s_or_b64 exec, exec, s[6:7]
	v_cmp_gt_u32_e32 vcc, s8, v0
	s_and_b64 s[10:11], s[0:1], vcc
	v_add_u32_e32 v5, v3, v2
	s_waitcnt lgkmcnt(0)
	s_barrier
	s_and_saveexec_b64 s[6:7], s[10:11]
	s_cbranch_execz .LBB136_975
; %bb.974:                              ;   in Loop: Header=BB136_971 Depth=1
	ds_read_b64 v[6:7], v5 offset:1536
	ds_read_b64 v[8:9], v4 offset:41472
	s_waitcnt lgkmcnt(0)
	v_fma_f64 v[11:12], v[6:7], v[8:9], v[11:12]
.LBB136_975:                            ;   in Loop: Header=BB136_971 Depth=1
	s_or_b64 exec, exec, s[6:7]
	s_add_i32 s10, s8, -1
	v_cmp_eq_u32_e32 vcc, s10, v0
	s_and_b64 s[14:15], s[0:1], vcc
	s_barrier
	s_and_saveexec_b64 s[6:7], s[14:15]
	s_cbranch_execz .LBB136_977
; %bb.976:                              ;   in Loop: Header=BB136_971 Depth=1
	ds_read_b64 v[6:7], v1
	s_waitcnt lgkmcnt(0)
	v_mul_f64 v[11:12], v[11:12], v[6:7]
	ds_write_b64 v4, v[11:12] offset:41472
.LBB136_977:                            ;   in Loop: Header=BB136_971 Depth=1
	s_or_b64 exec, exec, s[6:7]
	v_cmp_gt_u32_e32 vcc, s10, v0
	s_and_b64 s[10:11], s[0:1], vcc
	s_waitcnt lgkmcnt(0)
	s_barrier
	s_and_saveexec_b64 s[6:7], s[10:11]
	s_cbranch_execz .LBB136_979
; %bb.978:                              ;   in Loop: Header=BB136_971 Depth=1
	ds_read_b64 v[6:7], v5 offset:1024
	ds_read_b64 v[8:9], v4 offset:41472
	s_waitcnt lgkmcnt(0)
	v_fma_f64 v[11:12], v[6:7], v[8:9], v[11:12]
.LBB136_979:                            ;   in Loop: Header=BB136_971 Depth=1
	s_or_b64 exec, exec, s[6:7]
	s_add_i32 s10, s8, -2
	v_cmp_eq_u32_e32 vcc, s10, v0
	s_and_b64 s[14:15], s[0:1], vcc
	s_barrier
	s_and_saveexec_b64 s[6:7], s[14:15]
	s_cbranch_execz .LBB136_981
; %bb.980:                              ;   in Loop: Header=BB136_971 Depth=1
	ds_read_b64 v[6:7], v1
	s_waitcnt lgkmcnt(0)
	v_mul_f64 v[11:12], v[11:12], v[6:7]
	ds_write_b64 v4, v[11:12] offset:41472
.LBB136_981:                            ;   in Loop: Header=BB136_971 Depth=1
	s_or_b64 exec, exec, s[6:7]
	v_cmp_gt_u32_e32 vcc, s10, v0
	s_and_b64 s[10:11], s[0:1], vcc
	;; [unrolled: 26-line block ×3, first 2 shown]
	s_waitcnt lgkmcnt(0)
	s_barrier
	s_and_saveexec_b64 s[6:7], s[14:15]
	s_cbranch_execz .LBB136_970
; %bb.986:                              ;   in Loop: Header=BB136_971 Depth=1
	ds_read_b64 v[5:6], v5
	ds_read_b64 v[7:8], v4 offset:41472
	s_waitcnt lgkmcnt(0)
	v_fma_f64 v[11:12], v[5:6], v[7:8], v[11:12]
	s_branch .LBB136_970
.LBB136_987:
	s_mov_b64 s[6:7], -1
	s_and_b64 vcc, exec, s[2:3]
	s_cbranch_vccnz .LBB136_1033
; %bb.988:
	s_andn2_b64 vcc, exec, s[6:7]
	s_cbranch_vccz .LBB136_1034
.LBB136_989:
	s_and_saveexec_b64 s[0:1], s[4:5]
	s_cbranch_execz .LBB136_991
.LBB136_990:
	v_mov_b32_e32 v0, s54
	v_add_co_u32_e32 v1, vcc, s33, v17
	v_addc_co_u32_e32 v0, vcc, 0, v0, vcc
	v_mul_lo_u32 v2, v0, s26
	v_mul_lo_u32 v3, v1, s27
	v_mad_u64_u32 v[0:1], s[2:3], v1, s26, 0
	v_add3_u32 v1, v1, v3, v2
	v_lshlrev_b64 v[0:1], 3, v[0:1]
	v_mov_b32_e32 v2, s39
	v_add_co_u32_e32 v0, vcc, s38, v0
	v_addc_co_u32_e32 v1, vcc, v2, v1, vcc
	flat_store_dwordx2 v[0:1], v[11:12]
.LBB136_991:
	s_or_b64 exec, exec, s[0:1]
	v_cmp_eq_u32_e32 vcc, 0, v17
	s_waitcnt vmcnt(0) lgkmcnt(0)
	buffer_wbinvl1_vol
	s_barrier
	s_and_saveexec_b64 s[0:1], vcc
	s_cbranch_execz .LBB136_993
; %bb.992:
	s_lshl_b64 s[2:3], s[18:19], 2
	s_add_u32 s2, s12, s2
	s_addc_u32 s3, s13, s3
	v_mov_b32_e32 v0, 0
	global_load_dword v1, v0, s[2:3]
	s_waitcnt vmcnt(0)
	v_add_u32_e32 v1, 1, v1
	global_store_dword v0, v1, s[2:3]
.LBB136_993:
	s_or_b64 exec, exec, s[0:1]
	s_waitcnt vmcnt(0)
	buffer_wbinvl1_vol
	s_endpgm
.LBB136_994:
                                        ; implicit-def: $vgpr7_vgpr8
                                        ; implicit-def: $vgpr9_vgpr10
                                        ; implicit-def: $vgpr5_vgpr6
                                        ; implicit-def: $vgpr3_vgpr4
                                        ; implicit-def: $sgpr33
	s_cbranch_execnz .LBB136_10
	s_branch .LBB136_11
.LBB136_995:
	v_cmp_ne_u32_e32 vcc, v0, v2
	s_and_saveexec_b64 s[8:9], vcc
	s_xor_b64 s[8:9], exec, s[8:9]
; %bb.996:
	v_or_b32_e32 v1, v2, v0
	v_cmp_gt_u32_e32 vcc, 64, v1
	s_and_b64 s[2:3], vcc, exec
                                        ; implicit-def: $vgpr15_vgpr16
; %bb.997:
	s_or_saveexec_b64 s[8:9], s[8:9]
	v_mov_b32_e32 v13, 0
	v_mov_b32_e32 v14, 0
	s_xor_b64 exec, exec, s[8:9]
	s_cbranch_execz .LBB136_999
; %bb.998:
	v_lshlrev_b64 v[13:14], 3, v[15:16]
	v_mov_b32_e32 v1, s86
	v_add_co_u32_e32 v13, vcc, s85, v13
	v_addc_co_u32_e32 v14, vcc, v1, v14, vcc
	flat_load_dwordx2 v[13:14], v[13:14]
	s_or_b64 s[2:3], s[2:3], exec
	s_waitcnt vmcnt(0) lgkmcnt(0)
	v_div_scale_f64 v[15:16], s[10:11], v[13:14], v[13:14], 1.0
	v_div_scale_f64 v[21:22], vcc, 1.0, v[13:14], 1.0
	v_rcp_f64_e32 v[17:18], v[15:16]
	v_fma_f64 v[19:20], -v[15:16], v[17:18], 1.0
	v_fma_f64 v[17:18], v[17:18], v[19:20], v[17:18]
	v_fma_f64 v[19:20], -v[15:16], v[17:18], 1.0
	v_fma_f64 v[17:18], v[17:18], v[19:20], v[17:18]
	v_mul_f64 v[19:20], v[21:22], v[17:18]
	v_fma_f64 v[15:16], -v[15:16], v[19:20], v[21:22]
	v_div_fmas_f64 v[15:16], v[15:16], v[17:18], v[19:20]
	v_div_fixup_f64 v[13:14], v[15:16], v[13:14], 1.0
.LBB136_999:
	s_or_b64 exec, exec, s[8:9]
	s_and_b64 s[2:3], s[2:3], exec
                                        ; implicit-def: $vgpr15_vgpr16
	s_andn2_saveexec_b64 s[0:1], s[0:1]
	s_cbranch_execz .LBB136_14
.LBB136_1000:
	v_lshlrev_b64 v[13:14], 3, v[15:16]
	v_mov_b32_e32 v1, s86
	v_add_co_u32_e32 v13, vcc, s85, v13
	v_addc_co_u32_e32 v14, vcc, v1, v14, vcc
	flat_load_dwordx2 v[13:14], v[13:14]
	s_or_b64 s[2:3], s[2:3], exec
	s_waitcnt vmcnt(0) lgkmcnt(0)
	v_xor_b32_e32 v14, 0x80000000, v14
	s_or_b64 exec, exec, s[0:1]
	s_and_saveexec_b64 s[0:1], s[2:3]
	s_cbranch_execnz .LBB136_15
	s_branch .LBB136_16
.LBB136_1001:
	v_cmp_ne_u32_e32 vcc, v0, v1
	s_and_saveexec_b64 s[8:9], vcc
	s_xor_b64 s[8:9], exec, s[8:9]
; %bb.1002:
	v_or_b32_e32 v13, v1, v0
	v_cmp_gt_u32_e32 vcc, 64, v13
	s_and_b64 s[2:3], vcc, exec
                                        ; implicit-def: $vgpr15_vgpr16
; %bb.1003:
	s_or_saveexec_b64 s[8:9], s[8:9]
	v_mov_b32_e32 v13, 0
	v_mov_b32_e32 v14, 0
	s_xor_b64 exec, exec, s[8:9]
	s_cbranch_execz .LBB136_1005
; %bb.1004:
	v_lshlrev_b64 v[13:14], 3, v[15:16]
	v_mov_b32_e32 v15, s86
	v_add_co_u32_e32 v13, vcc, s85, v13
	v_addc_co_u32_e32 v14, vcc, v15, v14, vcc
	flat_load_dwordx2 v[13:14], v[13:14]
	s_or_b64 s[2:3], s[2:3], exec
	s_waitcnt vmcnt(0) lgkmcnt(0)
	v_div_scale_f64 v[15:16], s[10:11], v[13:14], v[13:14], 1.0
	v_div_scale_f64 v[21:22], vcc, 1.0, v[13:14], 1.0
	v_rcp_f64_e32 v[17:18], v[15:16]
	v_fma_f64 v[19:20], -v[15:16], v[17:18], 1.0
	v_fma_f64 v[17:18], v[17:18], v[19:20], v[17:18]
	v_fma_f64 v[19:20], -v[15:16], v[17:18], 1.0
	v_fma_f64 v[17:18], v[17:18], v[19:20], v[17:18]
	v_mul_f64 v[19:20], v[21:22], v[17:18]
	v_fma_f64 v[15:16], -v[15:16], v[19:20], v[21:22]
	v_div_fmas_f64 v[15:16], v[15:16], v[17:18], v[19:20]
	v_div_fixup_f64 v[13:14], v[15:16], v[13:14], 1.0
.LBB136_1005:
	s_or_b64 exec, exec, s[8:9]
	s_and_b64 s[2:3], s[2:3], exec
                                        ; implicit-def: $vgpr15_vgpr16
	s_andn2_saveexec_b64 s[0:1], s[0:1]
	s_cbranch_execz .LBB136_18
.LBB136_1006:
	v_lshlrev_b64 v[13:14], 3, v[15:16]
	v_mov_b32_e32 v15, s86
	v_add_co_u32_e32 v13, vcc, s85, v13
	v_addc_co_u32_e32 v14, vcc, v15, v14, vcc
	flat_load_dwordx2 v[13:14], v[13:14]
	s_or_b64 s[2:3], s[2:3], exec
	s_waitcnt vmcnt(0) lgkmcnt(0)
	v_xor_b32_e32 v14, 0x80000000, v14
	s_or_b64 exec, exec, s[0:1]
	s_and_saveexec_b64 s[0:1], s[2:3]
	s_cbranch_execnz .LBB136_19
	s_branch .LBB136_20
.LBB136_1007:
	v_cmp_ne_u32_e32 vcc, v0, v1
	s_and_saveexec_b64 s[8:9], vcc
	s_xor_b64 s[8:9], exec, s[8:9]
; %bb.1008:
	v_or_b32_e32 v13, v1, v0
	v_cmp_gt_u32_e32 vcc, 64, v13
	s_and_b64 s[2:3], vcc, exec
                                        ; implicit-def: $vgpr15_vgpr16
; %bb.1009:
	s_or_saveexec_b64 s[8:9], s[8:9]
	v_mov_b32_e32 v13, 0
	v_mov_b32_e32 v14, 0
	s_xor_b64 exec, exec, s[8:9]
	s_cbranch_execz .LBB136_1011
; %bb.1010:
	v_lshlrev_b64 v[13:14], 3, v[15:16]
	v_mov_b32_e32 v15, s86
	v_add_co_u32_e32 v13, vcc, s85, v13
	v_addc_co_u32_e32 v14, vcc, v15, v14, vcc
	flat_load_dwordx2 v[13:14], v[13:14]
	s_or_b64 s[2:3], s[2:3], exec
	s_waitcnt vmcnt(0) lgkmcnt(0)
	v_div_scale_f64 v[15:16], s[10:11], v[13:14], v[13:14], 1.0
	v_div_scale_f64 v[21:22], vcc, 1.0, v[13:14], 1.0
	v_rcp_f64_e32 v[17:18], v[15:16]
	v_fma_f64 v[19:20], -v[15:16], v[17:18], 1.0
	v_fma_f64 v[17:18], v[17:18], v[19:20], v[17:18]
	v_fma_f64 v[19:20], -v[15:16], v[17:18], 1.0
	v_fma_f64 v[17:18], v[17:18], v[19:20], v[17:18]
	v_mul_f64 v[19:20], v[21:22], v[17:18]
	v_fma_f64 v[15:16], -v[15:16], v[19:20], v[21:22]
	v_div_fmas_f64 v[15:16], v[15:16], v[17:18], v[19:20]
	v_div_fixup_f64 v[13:14], v[15:16], v[13:14], 1.0
.LBB136_1011:
	s_or_b64 exec, exec, s[8:9]
	s_and_b64 s[2:3], s[2:3], exec
                                        ; implicit-def: $vgpr15_vgpr16
	s_andn2_saveexec_b64 s[0:1], s[0:1]
	s_cbranch_execz .LBB136_22
.LBB136_1012:
	v_lshlrev_b64 v[13:14], 3, v[15:16]
	v_mov_b32_e32 v15, s86
	v_add_co_u32_e32 v13, vcc, s85, v13
	v_addc_co_u32_e32 v14, vcc, v15, v14, vcc
	flat_load_dwordx2 v[13:14], v[13:14]
	s_or_b64 s[2:3], s[2:3], exec
	s_waitcnt vmcnt(0) lgkmcnt(0)
	v_xor_b32_e32 v14, 0x80000000, v14
	s_or_b64 exec, exec, s[0:1]
	s_and_saveexec_b64 s[0:1], s[2:3]
	s_cbranch_execnz .LBB136_23
	s_branch .LBB136_24
.LBB136_1013:
	v_cmp_ne_u32_e32 vcc, v0, v2
	s_xor_b64 s[10:11], s[0:1], -1
	s_or_b64 s[12:13], s[10:11], vcc
	s_mov_b64 s[10:11], 0
	s_and_saveexec_b64 s[14:15], s[12:13]
	s_xor_b64 s[12:13], exec, s[14:15]
; %bb.1014:
	v_or_b32_e32 v1, v2, v0
	v_cmp_gt_u32_e32 vcc, 64, v1
	s_and_b64 s[10:11], vcc, exec
                                        ; implicit-def: $vgpr13_vgpr14
; %bb.1015:
	s_or_saveexec_b64 s[12:13], s[12:13]
	v_mov_b32_e32 v15, 0
	v_mov_b32_e32 v16, 0
	s_xor_b64 exec, exec, s[12:13]
	s_cbranch_execz .LBB136_1017
; %bb.1016:
	v_lshlrev_b64 v[13:14], 3, v[13:14]
	v_mov_b32_e32 v1, s86
	v_add_co_u32_e32 v13, vcc, s85, v13
	v_addc_co_u32_e32 v14, vcc, v1, v14, vcc
	flat_load_dwordx2 v[13:14], v[13:14]
	s_or_b64 s[10:11], s[10:11], exec
	s_waitcnt vmcnt(0) lgkmcnt(0)
	v_div_scale_f64 v[15:16], s[14:15], v[13:14], v[13:14], 1.0
	v_div_scale_f64 v[21:22], vcc, 1.0, v[13:14], 1.0
	v_rcp_f64_e32 v[17:18], v[15:16]
	v_fma_f64 v[19:20], -v[15:16], v[17:18], 1.0
	v_fma_f64 v[17:18], v[17:18], v[19:20], v[17:18]
	v_fma_f64 v[19:20], -v[15:16], v[17:18], 1.0
	v_fma_f64 v[17:18], v[17:18], v[19:20], v[17:18]
	v_mul_f64 v[19:20], v[21:22], v[17:18]
	v_fma_f64 v[15:16], -v[15:16], v[19:20], v[21:22]
	v_div_fmas_f64 v[15:16], v[15:16], v[17:18], v[19:20]
	v_div_fixup_f64 v[15:16], v[15:16], v[13:14], 1.0
.LBB136_1017:
	s_or_b64 exec, exec, s[12:13]
	s_and_b64 s[10:11], s[10:11], exec
                                        ; implicit-def: $vgpr13_vgpr14
	s_andn2_saveexec_b64 s[2:3], s[2:3]
	s_cbranch_execz .LBB136_36
.LBB136_1018:
	v_lshlrev_b64 v[13:14], 3, v[13:14]
	v_mov_b32_e32 v1, s86
	v_add_co_u32_e32 v13, vcc, s85, v13
	v_addc_co_u32_e32 v14, vcc, v1, v14, vcc
	flat_load_dwordx2 v[15:16], v[13:14]
	s_or_b64 s[10:11], s[10:11], exec
	s_waitcnt vmcnt(0) lgkmcnt(0)
	v_xor_b32_e32 v16, 0x80000000, v16
	s_or_b64 exec, exec, s[2:3]
	s_and_saveexec_b64 s[2:3], s[10:11]
	s_cbranch_execnz .LBB136_37
	s_branch .LBB136_38
.LBB136_1019:
	v_cmp_ne_u32_e32 vcc, v0, v1
	s_xor_b64 s[10:11], s[0:1], -1
	s_or_b64 s[12:13], s[10:11], vcc
	s_mov_b64 s[10:11], 0
	s_and_saveexec_b64 s[14:15], s[12:13]
	s_xor_b64 s[12:13], exec, s[14:15]
; %bb.1020:
	v_or_b32_e32 v13, v1, v0
	v_cmp_gt_u32_e32 vcc, 64, v13
	s_and_b64 s[10:11], vcc, exec
                                        ; implicit-def: $vgpr13_vgpr14
; %bb.1021:
	s_or_saveexec_b64 s[12:13], s[12:13]
	v_mov_b32_e32 v15, 0
	v_mov_b32_e32 v16, 0
	s_xor_b64 exec, exec, s[12:13]
	s_cbranch_execz .LBB136_1023
; %bb.1022:
	v_lshlrev_b64 v[13:14], 3, v[13:14]
	v_mov_b32_e32 v15, s86
	v_add_co_u32_e32 v13, vcc, s85, v13
	v_addc_co_u32_e32 v14, vcc, v15, v14, vcc
	flat_load_dwordx2 v[13:14], v[13:14]
	s_or_b64 s[10:11], s[10:11], exec
	s_waitcnt vmcnt(0) lgkmcnt(0)
	v_div_scale_f64 v[15:16], s[14:15], v[13:14], v[13:14], 1.0
	v_div_scale_f64 v[21:22], vcc, 1.0, v[13:14], 1.0
	v_rcp_f64_e32 v[17:18], v[15:16]
	v_fma_f64 v[19:20], -v[15:16], v[17:18], 1.0
	v_fma_f64 v[17:18], v[17:18], v[19:20], v[17:18]
	v_fma_f64 v[19:20], -v[15:16], v[17:18], 1.0
	v_fma_f64 v[17:18], v[17:18], v[19:20], v[17:18]
	v_mul_f64 v[19:20], v[21:22], v[17:18]
	v_fma_f64 v[15:16], -v[15:16], v[19:20], v[21:22]
	v_div_fmas_f64 v[15:16], v[15:16], v[17:18], v[19:20]
	v_div_fixup_f64 v[15:16], v[15:16], v[13:14], 1.0
.LBB136_1023:
	s_or_b64 exec, exec, s[12:13]
	s_and_b64 s[10:11], s[10:11], exec
                                        ; implicit-def: $vgpr13_vgpr14
	s_andn2_saveexec_b64 s[2:3], s[2:3]
	s_cbranch_execz .LBB136_40
.LBB136_1024:
	v_lshlrev_b64 v[13:14], 3, v[13:14]
	v_mov_b32_e32 v15, s86
	v_add_co_u32_e32 v13, vcc, s85, v13
	v_addc_co_u32_e32 v14, vcc, v15, v14, vcc
	flat_load_dwordx2 v[15:16], v[13:14]
	s_or_b64 s[10:11], s[10:11], exec
	s_waitcnt vmcnt(0) lgkmcnt(0)
	v_xor_b32_e32 v16, 0x80000000, v16
	s_or_b64 exec, exec, s[2:3]
	s_and_saveexec_b64 s[2:3], s[10:11]
	s_cbranch_execnz .LBB136_41
	s_branch .LBB136_42
.LBB136_1025:
	v_cmp_ne_u32_e32 vcc, v0, v1
	s_xor_b64 s[10:11], s[0:1], -1
	s_or_b64 s[12:13], s[10:11], vcc
	s_mov_b64 s[10:11], 0
	s_and_saveexec_b64 s[14:15], s[12:13]
	s_xor_b64 s[12:13], exec, s[14:15]
; %bb.1026:
	v_or_b32_e32 v13, v1, v0
	v_cmp_gt_u32_e32 vcc, 64, v13
	s_and_b64 s[10:11], vcc, exec
                                        ; implicit-def: $vgpr13_vgpr14
; %bb.1027:
	s_or_saveexec_b64 s[12:13], s[12:13]
	v_mov_b32_e32 v15, 0
	v_mov_b32_e32 v16, 0
	s_xor_b64 exec, exec, s[12:13]
	s_cbranch_execz .LBB136_1029
; %bb.1028:
	v_lshlrev_b64 v[13:14], 3, v[13:14]
	v_mov_b32_e32 v15, s86
	v_add_co_u32_e32 v13, vcc, s85, v13
	v_addc_co_u32_e32 v14, vcc, v15, v14, vcc
	flat_load_dwordx2 v[13:14], v[13:14]
	s_or_b64 s[10:11], s[10:11], exec
	s_waitcnt vmcnt(0) lgkmcnt(0)
	v_div_scale_f64 v[15:16], s[14:15], v[13:14], v[13:14], 1.0
	v_div_scale_f64 v[21:22], vcc, 1.0, v[13:14], 1.0
	v_rcp_f64_e32 v[17:18], v[15:16]
	v_fma_f64 v[19:20], -v[15:16], v[17:18], 1.0
	v_fma_f64 v[17:18], v[17:18], v[19:20], v[17:18]
	v_fma_f64 v[19:20], -v[15:16], v[17:18], 1.0
	v_fma_f64 v[17:18], v[17:18], v[19:20], v[17:18]
	v_mul_f64 v[19:20], v[21:22], v[17:18]
	v_fma_f64 v[15:16], -v[15:16], v[19:20], v[21:22]
	v_div_fmas_f64 v[15:16], v[15:16], v[17:18], v[19:20]
	v_div_fixup_f64 v[15:16], v[15:16], v[13:14], 1.0
.LBB136_1029:
	s_or_b64 exec, exec, s[12:13]
	s_and_b64 s[10:11], s[10:11], exec
                                        ; implicit-def: $vgpr13_vgpr14
	s_andn2_saveexec_b64 s[2:3], s[2:3]
	s_cbranch_execz .LBB136_44
.LBB136_1030:
	v_lshlrev_b64 v[13:14], 3, v[13:14]
	v_mov_b32_e32 v15, s86
	v_add_co_u32_e32 v13, vcc, s85, v13
	v_addc_co_u32_e32 v14, vcc, v15, v14, vcc
	flat_load_dwordx2 v[15:16], v[13:14]
	s_or_b64 s[10:11], s[10:11], exec
	s_waitcnt vmcnt(0) lgkmcnt(0)
	v_xor_b32_e32 v16, 0x80000000, v16
	s_or_b64 exec, exec, s[2:3]
	s_and_saveexec_b64 s[2:3], s[10:11]
	s_cbranch_execnz .LBB136_45
	s_branch .LBB136_46
.LBB136_1031:
	s_or_b64 exec, exec, s[8:9]
	s_and_b64 vcc, exec, s[6:7]
	s_cbranch_vccnz .LBB136_969
.LBB136_1032:
	v_mov_b32_e32 v12, v2
	v_mov_b32_e32 v11, v1
	s_and_saveexec_b64 s[0:1], s[4:5]
	s_cbranch_execnz .LBB136_990
	s_branch .LBB136_991
.LBB136_1033:
	s_andn2_b64 s[2:3], s[4:5], exec
	s_and_b64 s[4:5], s[0:1], exec
	s_or_b64 s[4:5], s[2:3], s[4:5]
	s_cbranch_execnz .LBB136_989
.LBB136_1034:
	v_cmp_gt_i32_e32 vcc, s84, v0
	s_and_b64 s[0:1], s[0:1], vcc
	s_andn2_b64 s[2:3], s[4:5], exec
	s_and_b64 s[0:1], s[0:1], exec
	s_or_b64 s[4:5], s[2:3], s[0:1]
	s_and_saveexec_b64 s[0:1], s[4:5]
	s_cbranch_execnz .LBB136_990
	s_branch .LBB136_991
.LBB136_1035:
	ds_read_b64 v[21:22], v20 offset:31680
	ds_read_b64 v[23:24], v19 offset:31208
	s_waitcnt lgkmcnt(0)
	v_fma_f64 v[11:12], v[21:22], v[23:24], v[11:12]
	s_or_b64 exec, exec, s[14:15]
	v_cmp_gt_u32_e64 s[10:11], 8, v15
	s_and_saveexec_b64 s[14:15], s[10:11]
	s_cbranch_execz .LBB136_77
.LBB136_1036:
	ds_read_b64 v[20:21], v20 offset:32192
	ds_read_b64 v[22:23], v19 offset:31216
	s_waitcnt lgkmcnt(0)
	v_fma_f64 v[11:12], v[20:21], v[22:23], v[11:12]
	s_or_b64 exec, exec, s[14:15]
	v_cmp_gt_u32_e64 s[10:11], 4, v15
	s_and_saveexec_b64 s[14:15], s[10:11]
	s_cbranch_execnz .LBB136_78
	s_branch .LBB136_79
.LBB136_1037:
	ds_read_b64 v[24:25], v23 offset:29568
	ds_read_b64 v[26:27], v22 offset:29128
	s_waitcnt lgkmcnt(0)
	v_fma_f64 v[11:12], v[24:25], v[26:27], v[11:12]
	s_or_b64 exec, exec, s[16:17]
	v_cmp_gt_u32_e64 s[10:11], 48, v15
	s_and_saveexec_b64 s[16:17], s[10:11]
	s_cbranch_execz .LBB136_115
.LBB136_1038:
	ds_read_b64 v[24:25], v23 offset:30080
	ds_read_b64 v[26:27], v22 offset:29136
	s_waitcnt lgkmcnt(0)
	v_fma_f64 v[11:12], v[24:25], v[26:27], v[11:12]
	s_or_b64 exec, exec, s[16:17]
	v_cmp_gt_u32_e64 s[10:11], 40, v15
	s_and_saveexec_b64 s[16:17], s[10:11]
	s_cbranch_execz .LBB136_116
.LBB136_1039:
	ds_read_b64 v[24:25], v23 offset:30592
	ds_read_b64 v[26:27], v22 offset:29144
	s_waitcnt lgkmcnt(0)
	v_fma_f64 v[11:12], v[24:25], v[26:27], v[11:12]
	s_or_b64 exec, exec, s[16:17]
	v_cmp_gt_u32_e64 s[10:11], 32, v15
	s_and_saveexec_b64 s[16:17], s[10:11]
	s_cbranch_execz .LBB136_117
.LBB136_1040:
	ds_read_b64 v[24:25], v23 offset:31104
	ds_read_b64 v[26:27], v22 offset:29152
	s_waitcnt lgkmcnt(0)
	v_fma_f64 v[11:12], v[24:25], v[26:27], v[11:12]
	s_or_b64 exec, exec, s[16:17]
	v_cmp_gt_u32_e64 s[10:11], 24, v15
	s_and_saveexec_b64 s[16:17], s[10:11]
	s_cbranch_execz .LBB136_118
.LBB136_1041:
	ds_read_b64 v[24:25], v23 offset:31616
	ds_read_b64 v[26:27], v22 offset:29160
	s_waitcnt lgkmcnt(0)
	v_fma_f64 v[11:12], v[24:25], v[26:27], v[11:12]
	s_or_b64 exec, exec, s[16:17]
	s_and_saveexec_b64 s[10:11], s[2:3]
	s_cbranch_execz .LBB136_119
.LBB136_1042:
	ds_read_b64 v[23:24], v23 offset:32128
	ds_read_b64 v[25:26], v22 offset:29168
	s_waitcnt lgkmcnt(0)
	v_fma_f64 v[11:12], v[23:24], v[25:26], v[11:12]
	s_or_b64 exec, exec, s[10:11]
	v_cmp_gt_u32_e64 s[10:11], 8, v15
	s_and_saveexec_b64 s[16:17], s[10:11]
	s_cbranch_execnz .LBB136_120
	s_branch .LBB136_121
.LBB136_1043:
	ds_read_b64 v[24:25], v23 offset:27520
	ds_read_b64 v[26:27], v22 offset:27048
	s_waitcnt lgkmcnt(0)
	v_fma_f64 v[11:12], v[24:25], v[26:27], v[11:12]
	s_or_b64 exec, exec, s[12:13]
	v_cmp_gt_u32_e64 s[8:9], 8, v15
	s_and_saveexec_b64 s[12:13], s[8:9]
	s_cbranch_execz .LBB136_173
.LBB136_1044:
	ds_read_b64 v[23:24], v23 offset:28032
	ds_read_b64 v[25:26], v22 offset:27056
	s_waitcnt lgkmcnt(0)
	v_fma_f64 v[11:12], v[23:24], v[25:26], v[11:12]
	s_or_b64 exec, exec, s[12:13]
	v_cmp_gt_u32_e64 s[8:9], 4, v15
	s_and_saveexec_b64 s[12:13], s[8:9]
	s_cbranch_execnz .LBB136_174
	s_branch .LBB136_175
.LBB136_1045:
	ds_read_b64 v[27:28], v26 offset:30464
	ds_read_b64 v[29:30], v25 offset:25048
	s_waitcnt lgkmcnt(0)
	v_fma_f64 v[11:12], v[27:28], v[29:30], v[11:12]
	s_or_b64 exec, exec, s[34:35]
	s_and_saveexec_b64 s[12:13], s[14:15]
	s_cbranch_execz .LBB136_231
.LBB136_1046:
	ds_read_b64 v[27:28], v26 offset:30976
	ds_read_b64 v[29:30], v25 offset:25056
	s_waitcnt lgkmcnt(0)
	v_fma_f64 v[11:12], v[27:28], v[29:30], v[11:12]
	s_or_b64 exec, exec, s[12:13]
	v_cmp_gt_u32_e64 s[12:13], 48, v15
	s_and_saveexec_b64 s[34:35], s[12:13]
	s_cbranch_execz .LBB136_232
.LBB136_1047:
	ds_read_b64 v[27:28], v26 offset:31488
	ds_read_b64 v[29:30], v25 offset:25064
	s_waitcnt lgkmcnt(0)
	v_fma_f64 v[11:12], v[27:28], v[29:30], v[11:12]
	s_or_b64 exec, exec, s[34:35]
	v_cmp_gt_u32_e64 s[12:13], 32, v15
	s_and_saveexec_b64 s[34:35], s[12:13]
	s_cbranch_execz .LBB136_233
.LBB136_1048:
	ds_read_b64 v[26:27], v26 offset:32000
	ds_read_b64 v[28:29], v25 offset:25072
	s_waitcnt lgkmcnt(0)
	v_fma_f64 v[11:12], v[26:27], v[28:29], v[11:12]
	s_or_b64 exec, exec, s[34:35]
	v_cmp_gt_u32_e64 s[12:13], 16, v15
	s_and_saveexec_b64 s[34:35], s[12:13]
	s_cbranch_execnz .LBB136_234
	s_branch .LBB136_235
.LBB136_1049:
	ds_read_b64 v[27:28], v26 offset:23360
	ds_read_b64 v[29:30], v25 offset:22888
	s_waitcnt lgkmcnt(0)
	v_fma_f64 v[11:12], v[27:28], v[29:30], v[11:12]
	s_or_b64 exec, exec, s[16:17]
	v_cmp_gt_u32_e64 s[10:11], 8, v15
	s_and_saveexec_b64 s[16:17], s[10:11]
	s_cbranch_execz .LBB136_319
.LBB136_1050:
	ds_read_b64 v[26:27], v26 offset:23872
	ds_read_b64 v[28:29], v25 offset:22896
	s_waitcnt lgkmcnt(0)
	v_fma_f64 v[11:12], v[26:27], v[28:29], v[11:12]
	s_or_b64 exec, exec, s[16:17]
	v_cmp_gt_u32_e64 s[10:11], 4, v15
	s_and_saveexec_b64 s[16:17], s[10:11]
	s_cbranch_execnz .LBB136_320
	s_branch .LBB136_321
.LBB136_1051:
	ds_read_b64 v[27:28], v26 offset:21248
	ds_read_b64 v[29:30], v25 offset:20808
	s_waitcnt lgkmcnt(0)
	v_fma_f64 v[11:12], v[27:28], v[29:30], v[11:12]
	s_or_b64 exec, exec, s[16:17]
	v_cmp_gt_u32_e64 s[10:11], 48, v15
	s_and_saveexec_b64 s[16:17], s[10:11]
	s_cbranch_execz .LBB136_357
.LBB136_1052:
	ds_read_b64 v[27:28], v26 offset:21760
	ds_read_b64 v[29:30], v25 offset:20816
	s_waitcnt lgkmcnt(0)
	v_fma_f64 v[11:12], v[27:28], v[29:30], v[11:12]
	s_or_b64 exec, exec, s[16:17]
	v_cmp_gt_u32_e64 s[10:11], 40, v15
	s_and_saveexec_b64 s[16:17], s[10:11]
	s_cbranch_execz .LBB136_358
.LBB136_1053:
	ds_read_b64 v[27:28], v26 offset:22272
	ds_read_b64 v[29:30], v25 offset:20824
	s_waitcnt lgkmcnt(0)
	v_fma_f64 v[11:12], v[27:28], v[29:30], v[11:12]
	s_or_b64 exec, exec, s[16:17]
	v_cmp_gt_u32_e64 s[10:11], 32, v15
	s_and_saveexec_b64 s[16:17], s[10:11]
	s_cbranch_execz .LBB136_359
.LBB136_1054:
	ds_read_b64 v[27:28], v26 offset:22784
	ds_read_b64 v[29:30], v25 offset:20832
	s_waitcnt lgkmcnt(0)
	v_fma_f64 v[11:12], v[27:28], v[29:30], v[11:12]
	s_or_b64 exec, exec, s[16:17]
	v_cmp_gt_u32_e64 s[10:11], 24, v15
	s_and_saveexec_b64 s[16:17], s[10:11]
	s_cbranch_execz .LBB136_360
.LBB136_1055:
	ds_read_b64 v[27:28], v26 offset:23296
	ds_read_b64 v[29:30], v25 offset:20840
	s_waitcnt lgkmcnt(0)
	v_fma_f64 v[11:12], v[27:28], v[29:30], v[11:12]
	s_or_b64 exec, exec, s[16:17]
	s_and_saveexec_b64 s[10:11], s[2:3]
	s_cbranch_execz .LBB136_361
.LBB136_1056:
	ds_read_b64 v[26:27], v26 offset:23808
	ds_read_b64 v[28:29], v25 offset:20848
	s_waitcnt lgkmcnt(0)
	v_fma_f64 v[11:12], v[26:27], v[28:29], v[11:12]
	s_or_b64 exec, exec, s[10:11]
	v_cmp_gt_u32_e64 s[10:11], 8, v15
	s_and_saveexec_b64 s[16:17], s[10:11]
	s_cbranch_execnz .LBB136_362
	s_branch .LBB136_363
.LBB136_1057:
	ds_read_b64 v[27:28], v26 offset:19200
	ds_read_b64 v[29:30], v25 offset:18728
	s_waitcnt lgkmcnt(0)
	v_fma_f64 v[11:12], v[27:28], v[29:30], v[11:12]
	s_or_b64 exec, exec, s[16:17]
	v_cmp_gt_u32_e64 s[10:11], 8, v15
	s_and_saveexec_b64 s[16:17], s[10:11]
	s_cbranch_execz .LBB136_415
.LBB136_1058:
	ds_read_b64 v[26:27], v26 offset:19712
	ds_read_b64 v[28:29], v25 offset:18736
	s_waitcnt lgkmcnt(0)
	v_fma_f64 v[11:12], v[26:27], v[28:29], v[11:12]
	s_or_b64 exec, exec, s[16:17]
	v_cmp_gt_u32_e64 s[10:11], 4, v15
	s_and_saveexec_b64 s[16:17], s[10:11]
	s_cbranch_execnz .LBB136_416
	s_branch .LBB136_417
.LBB136_1059:
	ds_read_b64 v[30:31], v29 offset:31232
	ds_read_b64 v[32:33], v28 offset:16872
	s_waitcnt lgkmcnt(0)
	v_fma_f64 v[11:12], v[30:31], v[32:33], v[11:12]
	s_or_b64 exec, exec, s[82:83]
	s_and_saveexec_b64 s[16:17], s[14:15]
	s_cbranch_execz .LBB136_509
.LBB136_1060:
	ds_read_b64 v[29:30], v29 offset:31744
	ds_read_b64 v[31:32], v28 offset:16880
	s_waitcnt lgkmcnt(0)
	v_fma_f64 v[11:12], v[29:30], v[31:32], v[11:12]
	s_or_b64 exec, exec, s[16:17]
	v_cmp_gt_u32_e64 s[16:17], 32, v15
	s_and_saveexec_b64 s[82:83], s[16:17]
	s_cbranch_execnz .LBB136_510
	s_branch .LBB136_511
.LBB136_1061:
	ds_read_b64 v[27:28], v26 offset:15040
	ds_read_b64 v[29:30], v25 offset:14568
	s_waitcnt lgkmcnt(0)
	v_fma_f64 v[11:12], v[27:28], v[29:30], v[11:12]
	s_or_b64 exec, exec, s[16:17]
	v_cmp_gt_u32_e64 s[10:11], 8, v15
	s_and_saveexec_b64 s[16:17], s[10:11]
	s_cbranch_execz .LBB136_551
.LBB136_1062:
	ds_read_b64 v[26:27], v26 offset:15552
	ds_read_b64 v[28:29], v25 offset:14576
	s_waitcnt lgkmcnt(0)
	v_fma_f64 v[11:12], v[26:27], v[28:29], v[11:12]
	s_or_b64 exec, exec, s[16:17]
	v_cmp_gt_u32_e64 s[10:11], 4, v15
	s_and_saveexec_b64 s[16:17], s[10:11]
	s_cbranch_execnz .LBB136_552
	s_branch .LBB136_553
.LBB136_1063:
	ds_read_b64 v[27:28], v26 offset:12928
	ds_read_b64 v[29:30], v25 offset:12488
	s_waitcnt lgkmcnt(0)
	v_fma_f64 v[11:12], v[27:28], v[29:30], v[11:12]
	s_or_b64 exec, exec, s[16:17]
	v_cmp_gt_u32_e64 s[10:11], 48, v15
	s_and_saveexec_b64 s[16:17], s[10:11]
	s_cbranch_execz .LBB136_589
.LBB136_1064:
	ds_read_b64 v[27:28], v26 offset:13440
	ds_read_b64 v[29:30], v25 offset:12496
	s_waitcnt lgkmcnt(0)
	v_fma_f64 v[11:12], v[27:28], v[29:30], v[11:12]
	s_or_b64 exec, exec, s[16:17]
	v_cmp_gt_u32_e64 s[10:11], 40, v15
	s_and_saveexec_b64 s[16:17], s[10:11]
	s_cbranch_execz .LBB136_590
.LBB136_1065:
	ds_read_b64 v[27:28], v26 offset:13952
	ds_read_b64 v[29:30], v25 offset:12504
	s_waitcnt lgkmcnt(0)
	v_fma_f64 v[11:12], v[27:28], v[29:30], v[11:12]
	s_or_b64 exec, exec, s[16:17]
	v_cmp_gt_u32_e64 s[10:11], 32, v15
	s_and_saveexec_b64 s[16:17], s[10:11]
	s_cbranch_execz .LBB136_591
.LBB136_1066:
	ds_read_b64 v[27:28], v26 offset:14464
	ds_read_b64 v[29:30], v25 offset:12512
	s_waitcnt lgkmcnt(0)
	v_fma_f64 v[11:12], v[27:28], v[29:30], v[11:12]
	s_or_b64 exec, exec, s[16:17]
	v_cmp_gt_u32_e64 s[10:11], 24, v15
	s_and_saveexec_b64 s[16:17], s[10:11]
	s_cbranch_execz .LBB136_592
.LBB136_1067:
	ds_read_b64 v[27:28], v26 offset:14976
	ds_read_b64 v[29:30], v25 offset:12520
	s_waitcnt lgkmcnt(0)
	v_fma_f64 v[11:12], v[27:28], v[29:30], v[11:12]
	s_or_b64 exec, exec, s[16:17]
	s_and_saveexec_b64 s[10:11], s[2:3]
	s_cbranch_execz .LBB136_593
.LBB136_1068:
	ds_read_b64 v[26:27], v26 offset:15488
	ds_read_b64 v[28:29], v25 offset:12528
	s_waitcnt lgkmcnt(0)
	v_fma_f64 v[11:12], v[26:27], v[28:29], v[11:12]
	s_or_b64 exec, exec, s[10:11]
	v_cmp_gt_u32_e64 s[10:11], 8, v15
	s_and_saveexec_b64 s[16:17], s[10:11]
	s_cbranch_execnz .LBB136_594
	s_branch .LBB136_595
.LBB136_1069:
	ds_read_b64 v[27:28], v26 offset:10880
	ds_read_b64 v[29:30], v25 offset:10408
	s_waitcnt lgkmcnt(0)
	v_fma_f64 v[11:12], v[27:28], v[29:30], v[11:12]
	s_or_b64 exec, exec, s[16:17]
	v_cmp_gt_u32_e64 s[10:11], 8, v15
	s_and_saveexec_b64 s[16:17], s[10:11]
	s_cbranch_execz .LBB136_647
.LBB136_1070:
	ds_read_b64 v[26:27], v26 offset:11392
	ds_read_b64 v[28:29], v25 offset:10416
	s_waitcnt lgkmcnt(0)
	v_fma_f64 v[11:12], v[26:27], v[28:29], v[11:12]
	s_or_b64 exec, exec, s[16:17]
	v_cmp_gt_u32_e64 s[10:11], 4, v15
	s_and_saveexec_b64 s[16:17], s[10:11]
	s_cbranch_execnz .LBB136_648
	s_branch .LBB136_649
.LBB136_1071:
	ds_read_b64 v[27:28], v26 offset:13824
	ds_read_b64 v[29:30], v25 offset:8408
	s_waitcnt lgkmcnt(0)
	v_fma_f64 v[11:12], v[27:28], v[29:30], v[11:12]
	s_or_b64 exec, exec, s[16:17]
	s_and_saveexec_b64 s[10:11], s[14:15]
	s_cbranch_execz .LBB136_705
.LBB136_1072:
	ds_read_b64 v[27:28], v26 offset:14336
	ds_read_b64 v[29:30], v25 offset:8416
	s_waitcnt lgkmcnt(0)
	v_fma_f64 v[11:12], v[27:28], v[29:30], v[11:12]
	s_or_b64 exec, exec, s[10:11]
	v_cmp_gt_u32_e64 s[10:11], 48, v15
	s_and_saveexec_b64 s[16:17], s[10:11]
	s_cbranch_execz .LBB136_706
.LBB136_1073:
	ds_read_b64 v[27:28], v26 offset:14848
	ds_read_b64 v[29:30], v25 offset:8424
	s_waitcnt lgkmcnt(0)
	v_fma_f64 v[11:12], v[27:28], v[29:30], v[11:12]
	s_or_b64 exec, exec, s[16:17]
	v_cmp_gt_u32_e64 s[10:11], 32, v15
	s_and_saveexec_b64 s[16:17], s[10:11]
	s_cbranch_execz .LBB136_707
.LBB136_1074:
	ds_read_b64 v[26:27], v26 offset:15360
	ds_read_b64 v[28:29], v25 offset:8432
	s_waitcnt lgkmcnt(0)
	v_fma_f64 v[11:12], v[26:27], v[28:29], v[11:12]
	s_or_b64 exec, exec, s[16:17]
	v_cmp_gt_u32_e64 s[10:11], 16, v15
	s_and_saveexec_b64 s[16:17], s[10:11]
	s_cbranch_execnz .LBB136_708
	s_branch .LBB136_709
.LBB136_1075:
	ds_read_b64 v[24:25], v23 offset:6720
	ds_read_b64 v[26:27], v22 offset:6248
	s_waitcnt lgkmcnt(0)
	v_fma_f64 v[11:12], v[24:25], v[26:27], v[11:12]
	s_or_b64 exec, exec, s[12:13]
	v_cmp_gt_u32_e64 s[8:9], 8, v15
	s_and_saveexec_b64 s[12:13], s[8:9]
	s_cbranch_execz .LBB136_793
.LBB136_1076:
	ds_read_b64 v[23:24], v23 offset:7232
	ds_read_b64 v[25:26], v22 offset:6256
	s_waitcnt lgkmcnt(0)
	v_fma_f64 v[11:12], v[23:24], v[25:26], v[11:12]
	s_or_b64 exec, exec, s[12:13]
	v_cmp_gt_u32_e64 s[8:9], 4, v15
	s_and_saveexec_b64 s[12:13], s[8:9]
	s_cbranch_execnz .LBB136_794
	s_branch .LBB136_795
.LBB136_1077:
	ds_read_b64 v[24:25], v23 offset:4608
	ds_read_b64 v[26:27], v22 offset:4168
	s_waitcnt lgkmcnt(0)
	v_fma_f64 v[11:12], v[24:25], v[26:27], v[11:12]
	s_or_b64 exec, exec, s[12:13]
	v_cmp_gt_u32_e64 s[8:9], 48, v15
	s_and_saveexec_b64 s[12:13], s[8:9]
	s_cbranch_execz .LBB136_831
.LBB136_1078:
	ds_read_b64 v[24:25], v23 offset:5120
	ds_read_b64 v[26:27], v22 offset:4176
	s_waitcnt lgkmcnt(0)
	v_fma_f64 v[11:12], v[24:25], v[26:27], v[11:12]
	s_or_b64 exec, exec, s[12:13]
	v_cmp_gt_u32_e64 s[8:9], 40, v15
	s_and_saveexec_b64 s[12:13], s[8:9]
	s_cbranch_execz .LBB136_832
.LBB136_1079:
	ds_read_b64 v[24:25], v23 offset:5632
	ds_read_b64 v[26:27], v22 offset:4184
	s_waitcnt lgkmcnt(0)
	v_fma_f64 v[11:12], v[24:25], v[26:27], v[11:12]
	s_or_b64 exec, exec, s[12:13]
	v_cmp_gt_u32_e64 s[8:9], 32, v15
	s_and_saveexec_b64 s[12:13], s[8:9]
	s_cbranch_execz .LBB136_833
.LBB136_1080:
	ds_read_b64 v[24:25], v23 offset:6144
	ds_read_b64 v[26:27], v22 offset:4192
	s_waitcnt lgkmcnt(0)
	v_fma_f64 v[11:12], v[24:25], v[26:27], v[11:12]
	s_or_b64 exec, exec, s[12:13]
	v_cmp_gt_u32_e64 s[8:9], 24, v15
	s_and_saveexec_b64 s[12:13], s[8:9]
	s_cbranch_execz .LBB136_834
.LBB136_1081:
	ds_read_b64 v[24:25], v23 offset:6656
	ds_read_b64 v[26:27], v22 offset:4200
	s_waitcnt lgkmcnt(0)
	v_fma_f64 v[11:12], v[24:25], v[26:27], v[11:12]
	s_or_b64 exec, exec, s[12:13]
	s_and_saveexec_b64 s[8:9], s[2:3]
	s_cbranch_execz .LBB136_835
.LBB136_1082:
	ds_read_b64 v[23:24], v23 offset:7168
	ds_read_b64 v[25:26], v22 offset:4208
	s_waitcnt lgkmcnt(0)
	v_fma_f64 v[11:12], v[23:24], v[25:26], v[11:12]
	s_or_b64 exec, exec, s[8:9]
	v_cmp_gt_u32_e64 s[8:9], 8, v15
	s_and_saveexec_b64 s[12:13], s[8:9]
	s_cbranch_execnz .LBB136_836
	s_branch .LBB136_837
.LBB136_1083:
	ds_read_b64 v[21:22], v20 offset:2560
	ds_read_b64 v[23:24], v19 offset:2088
	s_waitcnt lgkmcnt(0)
	v_fma_f64 v[11:12], v[21:22], v[23:24], v[11:12]
	s_or_b64 exec, exec, s[12:13]
	v_cmp_gt_u32_e64 s[8:9], 8, v15
	s_and_saveexec_b64 s[12:13], s[8:9]
	s_cbranch_execz .LBB136_889
.LBB136_1084:
	ds_read_b64 v[20:21], v20 offset:3072
	ds_read_b64 v[22:23], v19 offset:2096
	s_waitcnt lgkmcnt(0)
	v_fma_f64 v[11:12], v[20:21], v[22:23], v[11:12]
	s_or_b64 exec, exec, s[12:13]
	v_cmp_gt_u32_e64 s[8:9], 4, v15
	s_and_saveexec_b64 s[12:13], s[8:9]
	s_cbranch_execnz .LBB136_890
	s_branch .LBB136_891
	.section	.rodata,"a",@progbits
	.p2align	6, 0x0
	.amdhsa_kernel _ZL19rocblas_trsv_deviceILi64ELi16ELb0ELb0ELb0ELb0EddPKPKdPKPdEviT7_lllT6_T8_lllPii
		.amdhsa_group_segment_fixed_size 41480
		.amdhsa_private_segment_fixed_size 0
		.amdhsa_kernarg_size 352
		.amdhsa_user_sgpr_count 6
		.amdhsa_user_sgpr_private_segment_buffer 1
		.amdhsa_user_sgpr_dispatch_ptr 0
		.amdhsa_user_sgpr_queue_ptr 0
		.amdhsa_user_sgpr_kernarg_segment_ptr 1
		.amdhsa_user_sgpr_dispatch_id 0
		.amdhsa_user_sgpr_flat_scratch_init 0
		.amdhsa_user_sgpr_private_segment_size 0
		.amdhsa_uses_dynamic_stack 0
		.amdhsa_system_sgpr_private_segment_wavefront_offset 0
		.amdhsa_system_sgpr_workgroup_id_x 1
		.amdhsa_system_sgpr_workgroup_id_y 0
		.amdhsa_system_sgpr_workgroup_id_z 1
		.amdhsa_system_sgpr_workgroup_info 0
		.amdhsa_system_vgpr_workitem_id 1
		.amdhsa_next_free_vgpr 49
		.amdhsa_next_free_sgpr 98
		.amdhsa_reserve_vcc 1
		.amdhsa_reserve_flat_scratch 0
		.amdhsa_float_round_mode_32 0
		.amdhsa_float_round_mode_16_64 0
		.amdhsa_float_denorm_mode_32 3
		.amdhsa_float_denorm_mode_16_64 3
		.amdhsa_dx10_clamp 1
		.amdhsa_ieee_mode 1
		.amdhsa_fp16_overflow 0
		.amdhsa_exception_fp_ieee_invalid_op 0
		.amdhsa_exception_fp_denorm_src 0
		.amdhsa_exception_fp_ieee_div_zero 0
		.amdhsa_exception_fp_ieee_overflow 0
		.amdhsa_exception_fp_ieee_underflow 0
		.amdhsa_exception_fp_ieee_inexact 0
		.amdhsa_exception_int_div_zero 0
	.end_amdhsa_kernel
	.section	.text._ZL19rocblas_trsv_deviceILi64ELi16ELb0ELb0ELb0ELb0EddPKPKdPKPdEviT7_lllT6_T8_lllPii,"axG",@progbits,_ZL19rocblas_trsv_deviceILi64ELi16ELb0ELb0ELb0ELb0EddPKPKdPKPdEviT7_lllT6_T8_lllPii,comdat
.Lfunc_end136:
	.size	_ZL19rocblas_trsv_deviceILi64ELi16ELb0ELb0ELb0ELb0EddPKPKdPKPdEviT7_lllT6_T8_lllPii, .Lfunc_end136-_ZL19rocblas_trsv_deviceILi64ELi16ELb0ELb0ELb0ELb0EddPKPKdPKPdEviT7_lllT6_T8_lllPii
                                        ; -- End function
	.set _ZL19rocblas_trsv_deviceILi64ELi16ELb0ELb0ELb0ELb0EddPKPKdPKPdEviT7_lllT6_T8_lllPii.num_vgpr, 37
	.set _ZL19rocblas_trsv_deviceILi64ELi16ELb0ELb0ELb0ELb0EddPKPKdPKPdEviT7_lllT6_T8_lllPii.num_agpr, 0
	.set _ZL19rocblas_trsv_deviceILi64ELi16ELb0ELb0ELb0ELb0EddPKPKdPKPdEviT7_lllT6_T8_lllPii.numbered_sgpr, 96
	.set _ZL19rocblas_trsv_deviceILi64ELi16ELb0ELb0ELb0ELb0EddPKPKdPKPdEviT7_lllT6_T8_lllPii.num_named_barrier, 0
	.set _ZL19rocblas_trsv_deviceILi64ELi16ELb0ELb0ELb0ELb0EddPKPKdPKPdEviT7_lllT6_T8_lllPii.private_seg_size, 0
	.set _ZL19rocblas_trsv_deviceILi64ELi16ELb0ELb0ELb0ELb0EddPKPKdPKPdEviT7_lllT6_T8_lllPii.uses_vcc, 1
	.set _ZL19rocblas_trsv_deviceILi64ELi16ELb0ELb0ELb0ELb0EddPKPKdPKPdEviT7_lllT6_T8_lllPii.uses_flat_scratch, 0
	.set _ZL19rocblas_trsv_deviceILi64ELi16ELb0ELb0ELb0ELb0EddPKPKdPKPdEviT7_lllT6_T8_lllPii.has_dyn_sized_stack, 0
	.set _ZL19rocblas_trsv_deviceILi64ELi16ELb0ELb0ELb0ELb0EddPKPKdPKPdEviT7_lllT6_T8_lllPii.has_recursion, 0
	.set _ZL19rocblas_trsv_deviceILi64ELi16ELb0ELb0ELb0ELb0EddPKPKdPKPdEviT7_lllT6_T8_lllPii.has_indirect_call, 0
	.section	.AMDGPU.csdata,"",@progbits
; Kernel info:
; codeLenInByte = 34732
; TotalNumSgprs: 100
; NumVgprs: 37
; ScratchSize: 0
; MemoryBound: 0
; FloatMode: 240
; IeeeMode: 1
; LDSByteSize: 41480 bytes/workgroup (compile time only)
; SGPRBlocks: 12
; VGPRBlocks: 12
; NumSGPRsForWavesPerEU: 102
; NumVGPRsForWavesPerEU: 49
; Occupancy: 4
; WaveLimiterHint : 1
; COMPUTE_PGM_RSRC2:SCRATCH_EN: 0
; COMPUTE_PGM_RSRC2:USER_SGPR: 6
; COMPUTE_PGM_RSRC2:TRAP_HANDLER: 0
; COMPUTE_PGM_RSRC2:TGID_X_EN: 1
; COMPUTE_PGM_RSRC2:TGID_Y_EN: 0
; COMPUTE_PGM_RSRC2:TGID_Z_EN: 1
; COMPUTE_PGM_RSRC2:TIDIG_COMP_CNT: 1
	.section	.text._ZL19rocblas_trsv_deviceILi64ELi16ELb0ELb1ELb0ELb0EddPKPKdPKPdEviT7_lllT6_T8_lllPii,"axG",@progbits,_ZL19rocblas_trsv_deviceILi64ELi16ELb0ELb1ELb0ELb0EddPKPKdPKPdEviT7_lllT6_T8_lllPii,comdat
	.globl	_ZL19rocblas_trsv_deviceILi64ELi16ELb0ELb1ELb0ELb0EddPKPKdPKPdEviT7_lllT6_T8_lllPii ; -- Begin function _ZL19rocblas_trsv_deviceILi64ELi16ELb0ELb1ELb0ELb0EddPKPKdPKPdEviT7_lllT6_T8_lllPii
	.p2align	8
	.type	_ZL19rocblas_trsv_deviceILi64ELi16ELb0ELb1ELb0ELb0EddPKPKdPKPdEviT7_lllT6_T8_lllPii,@function
_ZL19rocblas_trsv_deviceILi64ELi16ELb0ELb1ELb0ELb0EddPKPKdPKPdEviT7_lllT6_T8_lllPii: ; @_ZL19rocblas_trsv_deviceILi64ELi16ELb0ELb1ELb0ELb0EddPKPKdPKPdEviT7_lllT6_T8_lllPii
; %bb.0:
	s_load_dwordx4 s[0:3], s[4:5], 0x8
	s_mov_b32 s22, s7
	s_mov_b32 s23, 0
	s_lshl_b64 s[8:9], s[22:23], 3
	v_mov_b32_e32 v2, v1
	s_waitcnt lgkmcnt(0)
	s_add_u32 s0, s0, s8
	s_addc_u32 s1, s1, s9
	s_load_dwordx2 s[10:11], s[0:1], 0x0
	s_load_dword s7, s[4:5], 0x0
	s_load_dwordx8 s[24:31], s[4:5], 0x28
	s_load_dwordx2 s[34:35], s[4:5], 0x18
	s_lshl_b64 s[0:1], s[2:3], 3
	s_waitcnt lgkmcnt(0)
	s_add_u32 s37, s10, s0
	s_addc_u32 s88, s11, s1
	s_add_u32 s0, s26, s8
	s_addc_u32 s1, s27, s9
	s_load_dwordx2 s[20:21], s[0:1], 0x0
	s_load_dword s89, s[4:5], 0x6c
	s_cmp_eq_u32 s6, 0
	s_cbranch_scc1 .LBB137_10
; %bb.1:
	s_lshl_b32 s33, s6, 6
	v_add_u32_e32 v1, s33, v0
	v_ashrrev_i32_e32 v3, 31, v1
	v_mul_lo_u32 v5, s34, v3
	v_mul_lo_u32 v6, s35, v1
	v_mad_u64_u32 v[3:4], s[0:1], s34, v1, 0
	v_add_u32_e32 v7, s33, v2
	v_subrev_u32_e32 v11, 64, v7
	v_add3_u32 v4, v4, v5, v6
	v_lshlrev_b64 v[3:4], 3, v[3:4]
	v_ashrrev_i32_e32 v12, 31, v11
	v_cmp_gt_i32_e32 vcc, s7, v1
	v_mov_b32_e32 v1, s88
	v_add_co_u32_e64 v5, s[0:1], s37, v3
	v_addc_co_u32_e64 v1, s[0:1], v1, v4, s[0:1]
	v_lshlrev_b64 v[3:4], 3, v[11:12]
	s_waitcnt lgkmcnt(0)
	v_add_co_u32_e64 v12, s[0:1], v5, v3
	v_addc_co_u32_e64 v13, s[0:1], v1, v4, s[0:1]
	v_cmp_gt_i32_e64 s[0:1], s7, v11
	v_mov_b32_e32 v3, 0
	v_mov_b32_e32 v5, 0
	;; [unrolled: 1-line block ×4, first 2 shown]
	s_and_b64 s[2:3], s[0:1], vcc
	s_barrier
	s_and_saveexec_b64 s[0:1], s[2:3]
	s_cbranch_execz .LBB137_3
; %bb.2:
	flat_load_dwordx2 v[5:6], v[12:13]
.LBB137_3:
	s_or_b64 exec, exec, s[0:1]
	v_add_u32_e32 v1, 16, v11
	v_cmp_gt_i32_e64 s[0:1], s7, v1
	s_and_b64 s[2:3], s[0:1], vcc
	s_waitcnt vmcnt(0) lgkmcnt(0)
	s_barrier
	s_and_saveexec_b64 s[0:1], s[2:3]
	s_cbranch_execz .LBB137_5
; %bb.4:
	flat_load_dwordx2 v[3:4], v[12:13] offset:128
.LBB137_5:
	s_or_b64 exec, exec, s[0:1]
	v_add_u32_e32 v1, 32, v11
	v_cmp_gt_i32_e64 s[0:1], s7, v1
	v_mov_b32_e32 v7, 0
	v_mov_b32_e32 v9, 0
	;; [unrolled: 1-line block ×4, first 2 shown]
	s_and_b64 s[2:3], s[0:1], vcc
	s_waitcnt vmcnt(0) lgkmcnt(0)
	s_barrier
	s_and_saveexec_b64 s[0:1], s[2:3]
	s_cbranch_execz .LBB137_7
; %bb.6:
	flat_load_dwordx2 v[9:10], v[12:13] offset:256
.LBB137_7:
	s_or_b64 exec, exec, s[0:1]
	v_add_u32_e32 v1, 48, v11
	v_cmp_gt_i32_e64 s[0:1], s7, v1
	s_and_b64 s[2:3], s[0:1], vcc
	s_waitcnt vmcnt(0) lgkmcnt(0)
	s_barrier
	s_and_saveexec_b64 s[0:1], s[2:3]
	s_cbranch_execz .LBB137_9
; %bb.8:
	flat_load_dwordx2 v[7:8], v[12:13] offset:384
.LBB137_9:
	s_or_b64 exec, exec, s[0:1]
	s_branch .LBB137_11
.LBB137_10:
                                        ; implicit-def: $vgpr7_vgpr8
                                        ; implicit-def: $vgpr9_vgpr10
                                        ; implicit-def: $vgpr3_vgpr4
                                        ; implicit-def: $vgpr5_vgpr6
	s_mov_b32 s33, s23
.LBB137_11:
	s_ashr_i32 s0, s7, 31
	s_lshr_b32 s0, s0, 26
	s_add_i32 s0, s7, s0
	s_andn2_b32 s0, s0, 63
	s_sub_i32 s36, s7, s0
	s_add_i32 s0, s7, -1
	s_ashr_i32 s1, s0, 31
	s_lshr_b32 s1, s1, 26
	s_add_i32 s0, s0, s1
	s_ashr_i32 s0, s0, 6
	s_cmp_eq_u32 s0, s6
	s_cselect_b64 s[0:1], -1, 0
	s_cmp_lg_u32 s36, 0
	s_cselect_b64 s[2:3], -1, 0
	s_and_b64 s[26:27], s[2:3], s[0:1]
	s_cmp_lt_i32 s6, 5
	s_cselect_b64 s[2:3], -1, 0
	s_or_b64 s[0:1], s[2:3], s[26:27]
	s_ashr_i32 s46, s33, 31
	s_add_u32 s10, s34, 1
	v_mov_b32_e32 v1, 0
	v_mov_b32_e32 v11, s33
	v_mad_u64_u32 v[11:12], s[8:9], s10, v11, v[0:1]
	s_addc_u32 s11, s35, 0
	s_mul_i32 s8, s10, s46
	s_mul_i32 s11, s11, s33
	s_add_i32 s8, s8, s11
	s_mov_b64 s[12:13], -1
	v_lshlrev_b32_e32 v17, 6, v0
	v_add_u32_e32 v12, s8, v12
	s_and_b64 vcc, exec, s[26:27]
	v_cmp_le_u32_e64 s[8:9], v2, v0
	s_cbranch_vccnz .LBB137_33
; %bb.12:
	v_mad_u64_u32 v[15:16], s[10:11], s34, v2, v[11:12]
	v_mov_b32_e32 v1, v16
	v_mad_u64_u32 v[13:14], s[10:11], s35, v2, v[1:2]
	s_mov_b64 s[10:11], 0
	v_mov_b32_e32 v16, v13
                                        ; implicit-def: $vgpr13_vgpr14
	s_and_saveexec_b64 s[12:13], s[8:9]
	s_xor_b64 s[8:9], exec, s[12:13]
	s_cbranch_execnz .LBB137_1051
; %bb.13:
	s_andn2_saveexec_b64 s[8:9], s[8:9]
	s_cbranch_execnz .LBB137_1056
.LBB137_14:
	s_or_b64 exec, exec, s[8:9]
	s_and_saveexec_b64 s[8:9], s[10:11]
.LBB137_15:
	v_add_u32_e32 v1, v2, v17
	v_lshl_add_u32 v15, v2, 6, v0
	v_cndmask_b32_e64 v1, v15, v1, s[2:3]
	v_lshlrev_b32_e32 v1, 3, v1
	ds_write_b64 v1, v[13:14]
.LBB137_16:
	s_or_b64 exec, exec, s[8:9]
	v_add_u32_e32 v1, 16, v2
	v_mad_u64_u32 v[15:16], s[2:3], s34, v1, v[11:12]
	v_cmp_le_u32_e32 vcc, v1, v0
	s_mov_b64 s[8:9], 0
	v_mov_b32_e32 v13, v16
	v_mad_u64_u32 v[13:14], s[2:3], s35, v1, v[13:14]
	v_mov_b32_e32 v16, v13
                                        ; implicit-def: $vgpr13_vgpr14
	s_and_saveexec_b64 s[2:3], vcc
	s_xor_b64 s[2:3], exec, s[2:3]
	s_cbranch_execnz .LBB137_1057
; %bb.17:
	s_andn2_saveexec_b64 s[2:3], s[2:3]
	s_cbranch_execnz .LBB137_1062
.LBB137_18:
	s_or_b64 exec, exec, s[2:3]
	s_and_saveexec_b64 s[2:3], s[8:9]
.LBB137_19:
	v_add_u32_e32 v15, v1, v17
	v_lshl_add_u32 v1, v1, 6, v0
	v_cndmask_b32_e64 v1, v1, v15, s[0:1]
	v_lshlrev_b32_e32 v1, 3, v1
	ds_write_b64 v1, v[13:14]
.LBB137_20:
	s_or_b64 exec, exec, s[2:3]
	v_add_u32_e32 v1, 32, v2
	v_mad_u64_u32 v[15:16], s[2:3], s34, v1, v[11:12]
	v_cmp_le_u32_e32 vcc, v1, v0
	s_mov_b64 s[8:9], 0
	v_mov_b32_e32 v13, v16
	v_mad_u64_u32 v[13:14], s[2:3], s35, v1, v[13:14]
	v_mov_b32_e32 v16, v13
                                        ; implicit-def: $vgpr13_vgpr14
	s_and_saveexec_b64 s[2:3], vcc
	s_xor_b64 s[2:3], exec, s[2:3]
	s_cbranch_execnz .LBB137_1063
; %bb.21:
	s_andn2_saveexec_b64 s[2:3], s[2:3]
	s_cbranch_execnz .LBB137_1068
.LBB137_22:
	s_or_b64 exec, exec, s[2:3]
	s_and_saveexec_b64 s[2:3], s[8:9]
.LBB137_23:
	v_add_u32_e32 v15, v1, v17
	v_lshl_add_u32 v1, v1, 6, v0
	v_cndmask_b32_e64 v1, v1, v15, s[0:1]
	v_lshlrev_b32_e32 v1, 3, v1
	ds_write_b64 v1, v[13:14]
.LBB137_24:
	s_or_b64 exec, exec, s[2:3]
	v_add_u32_e32 v1, 48, v2
	v_mad_u64_u32 v[15:16], s[2:3], s34, v1, v[11:12]
	v_cmp_le_u32_e32 vcc, v1, v0
	s_mov_b64 s[10:11], 0
	v_mov_b32_e32 v13, v16
	v_mad_u64_u32 v[13:14], s[2:3], s35, v1, v[13:14]
	v_mov_b32_e32 v16, v13
                                        ; implicit-def: $vgpr13_vgpr14
	s_and_saveexec_b64 s[2:3], vcc
	s_xor_b64 s[2:3], exec, s[2:3]
	s_cbranch_execz .LBB137_30
; %bb.25:
	v_cmp_ne_u32_e32 vcc, v0, v1
	s_mov_b64 s[8:9], 0
	s_and_saveexec_b64 s[10:11], vcc
	s_xor_b64 s[10:11], exec, s[10:11]
; %bb.26:
	v_or_b32_e32 v13, v1, v0
	v_cmp_gt_u32_e32 vcc, 64, v13
	s_and_b64 s[8:9], vcc, exec
                                        ; implicit-def: $vgpr15_vgpr16
; %bb.27:
	s_or_saveexec_b64 s[10:11], s[10:11]
	v_mov_b32_e32 v13, 0
	v_mov_b32_e32 v14, 0
	s_xor_b64 exec, exec, s[10:11]
	s_cbranch_execz .LBB137_29
; %bb.28:
	v_lshlrev_b64 v[13:14], 3, v[15:16]
	v_mov_b32_e32 v15, s88
	v_add_co_u32_e32 v13, vcc, s37, v13
	v_addc_co_u32_e32 v14, vcc, v15, v14, vcc
	flat_load_dwordx2 v[13:14], v[13:14]
	s_or_b64 s[8:9], s[8:9], exec
	s_waitcnt vmcnt(0) lgkmcnt(0)
	v_div_scale_f64 v[15:16], s[12:13], v[13:14], v[13:14], 1.0
	v_div_scale_f64 v[22:23], vcc, 1.0, v[13:14], 1.0
	v_rcp_f64_e32 v[18:19], v[15:16]
	v_fma_f64 v[20:21], -v[15:16], v[18:19], 1.0
	v_fma_f64 v[18:19], v[18:19], v[20:21], v[18:19]
	v_fma_f64 v[20:21], -v[15:16], v[18:19], 1.0
	v_fma_f64 v[18:19], v[18:19], v[20:21], v[18:19]
	v_mul_f64 v[20:21], v[22:23], v[18:19]
	v_fma_f64 v[15:16], -v[15:16], v[20:21], v[22:23]
	v_div_fmas_f64 v[15:16], v[15:16], v[18:19], v[20:21]
	v_div_fixup_f64 v[13:14], v[15:16], v[13:14], 1.0
.LBB137_29:
	s_or_b64 exec, exec, s[10:11]
	s_and_b64 s[10:11], s[8:9], exec
                                        ; implicit-def: $vgpr15_vgpr16
.LBB137_30:
	s_or_saveexec_b64 s[2:3], s[2:3]
	v_add_u32_e32 v18, v1, v17
	v_lshl_add_u32 v1, v1, 6, v0
	s_xor_b64 exec, exec, s[2:3]
	s_cbranch_execz .LBB137_32
; %bb.31:
	v_lshlrev_b64 v[13:14], 3, v[15:16]
	v_mov_b32_e32 v15, s88
	v_add_co_u32_e32 v13, vcc, s37, v13
	v_addc_co_u32_e32 v14, vcc, v15, v14, vcc
	flat_load_dwordx2 v[13:14], v[13:14]
	s_or_b64 s[10:11], s[10:11], exec
	s_waitcnt vmcnt(0) lgkmcnt(0)
	v_xor_b32_e32 v14, 0x80000000, v14
.LBB137_32:
	s_or_b64 exec, exec, s[2:3]
	v_cndmask_b32_e64 v1, v1, v18, s[0:1]
	s_branch .LBB137_55
.LBB137_33:
	s_mov_b64 s[10:11], 0
                                        ; implicit-def: $vgpr13_vgpr14
                                        ; implicit-def: $vgpr1
	s_and_b64 vcc, exec, s[12:13]
	s_cbranch_vccz .LBB137_55
; %bb.34:
	v_mad_u64_u32 v[13:14], s[2:3], s34, v2, v[11:12]
	v_cmp_le_u32_e32 vcc, v2, v0
	v_cmp_gt_i32_e64 s[2:3], s36, v0
	v_mov_b32_e32 v1, v14
	v_mad_u64_u32 v[14:15], s[8:9], s35, v2, v[1:2]
	v_max_i32_e32 v1, v2, v0
	v_cmp_le_i32_e64 s[8:9], s36, v1
	s_or_b64 s[8:9], s[8:9], vcc
	s_mov_b64 s[12:13], 0
                                        ; implicit-def: $vgpr15_vgpr16
	s_and_saveexec_b64 s[14:15], s[8:9]
	s_xor_b64 s[8:9], exec, s[14:15]
	s_cbranch_execnz .LBB137_1069
; %bb.35:
	s_andn2_saveexec_b64 s[8:9], s[8:9]
	s_cbranch_execnz .LBB137_1074
.LBB137_36:
	s_or_b64 exec, exec, s[8:9]
	s_and_saveexec_b64 s[8:9], s[12:13]
.LBB137_37:
	v_lshlrev_b32_e32 v1, 3, v17
	v_lshl_add_u32 v1, v2, 3, v1
	ds_write_b64 v1, v[15:16]
.LBB137_38:
	s_or_b64 exec, exec, s[8:9]
	v_add_u32_e32 v1, 16, v2
	v_mad_u64_u32 v[13:14], s[8:9], s34, v1, v[11:12]
	v_cmp_gt_u32_e32 vcc, v1, v0
	s_mov_b64 s[12:13], 0
	v_mad_u64_u32 v[14:15], s[8:9], s35, v1, v[14:15]
	v_cmp_gt_i32_e64 s[8:9], s36, v1
	s_and_b64 s[8:9], vcc, s[8:9]
	s_and_b64 s[8:9], s[2:3], s[8:9]
	s_xor_b64 s[8:9], s[8:9], -1
                                        ; implicit-def: $vgpr15_vgpr16
	s_and_saveexec_b64 s[14:15], s[8:9]
	s_xor_b64 s[8:9], exec, s[14:15]
	s_cbranch_execnz .LBB137_1075
; %bb.39:
	s_andn2_saveexec_b64 s[8:9], s[8:9]
	s_cbranch_execnz .LBB137_1080
.LBB137_40:
	s_or_b64 exec, exec, s[8:9]
	s_and_saveexec_b64 s[8:9], s[12:13]
.LBB137_41:
	v_add_u32_e32 v13, v1, v17
	v_lshl_add_u32 v1, v1, 6, v0
	v_cndmask_b32_e64 v1, v1, v13, s[0:1]
	v_lshlrev_b32_e32 v1, 3, v1
	ds_write_b64 v1, v[15:16]
.LBB137_42:
	s_or_b64 exec, exec, s[8:9]
	v_add_u32_e32 v1, 32, v2
	v_mad_u64_u32 v[13:14], s[8:9], s34, v1, v[11:12]
	v_cmp_gt_u32_e32 vcc, v1, v0
	s_mov_b64 s[12:13], 0
	v_mad_u64_u32 v[14:15], s[8:9], s35, v1, v[14:15]
	v_cmp_gt_i32_e64 s[8:9], s36, v1
	s_and_b64 s[8:9], vcc, s[8:9]
	s_and_b64 s[8:9], s[2:3], s[8:9]
	s_xor_b64 s[8:9], s[8:9], -1
                                        ; implicit-def: $vgpr15_vgpr16
	s_and_saveexec_b64 s[14:15], s[8:9]
	s_xor_b64 s[8:9], exec, s[14:15]
	s_cbranch_execnz .LBB137_1081
; %bb.43:
	s_andn2_saveexec_b64 s[8:9], s[8:9]
	s_cbranch_execnz .LBB137_1086
.LBB137_44:
	s_or_b64 exec, exec, s[8:9]
	s_and_saveexec_b64 s[8:9], s[12:13]
.LBB137_45:
	v_add_u32_e32 v13, v1, v17
	v_lshl_add_u32 v1, v1, 6, v0
	v_cndmask_b32_e64 v1, v1, v13, s[0:1]
	v_lshlrev_b32_e32 v1, 3, v1
	ds_write_b64 v1, v[15:16]
.LBB137_46:
	s_or_b64 exec, exec, s[8:9]
	v_add_u32_e32 v1, 48, v2
	v_mad_u64_u32 v[11:12], s[8:9], s34, v1, v[11:12]
	v_cmp_gt_u32_e32 vcc, v1, v0
	v_mad_u64_u32 v[12:13], s[8:9], s35, v1, v[12:13]
	v_cmp_gt_i32_e64 s[8:9], s36, v1
	s_and_b64 s[8:9], vcc, s[8:9]
	s_and_b64 s[8:9], s[2:3], s[8:9]
	s_xor_b64 s[8:9], s[8:9], -1
                                        ; implicit-def: $vgpr13_vgpr14
	s_and_saveexec_b64 s[12:13], s[8:9]
	s_xor_b64 s[8:9], exec, s[12:13]
	s_cbranch_execz .LBB137_52
; %bb.47:
	v_cmp_ne_u32_e32 vcc, v0, v1
	s_xor_b64 s[2:3], s[2:3], -1
	s_or_b64 s[12:13], s[2:3], vcc
	s_mov_b64 s[2:3], s[10:11]
	s_and_saveexec_b64 s[14:15], s[12:13]
	s_xor_b64 s[12:13], exec, s[14:15]
; %bb.48:
	v_or_b32_e32 v11, v1, v0
	v_cmp_gt_u32_e32 vcc, 64, v11
	s_andn2_b64 s[2:3], s[10:11], exec
	s_and_b64 s[14:15], vcc, exec
	s_or_b64 s[2:3], s[2:3], s[14:15]
                                        ; implicit-def: $vgpr11_vgpr12
; %bb.49:
	s_or_saveexec_b64 s[12:13], s[12:13]
	v_mov_b32_e32 v13, 0
	v_mov_b32_e32 v14, 0
	s_xor_b64 exec, exec, s[12:13]
	s_cbranch_execz .LBB137_51
; %bb.50:
	v_lshlrev_b64 v[11:12], 3, v[11:12]
	v_mov_b32_e32 v13, s88
	v_add_co_u32_e32 v11, vcc, s37, v11
	v_addc_co_u32_e32 v12, vcc, v13, v12, vcc
	flat_load_dwordx2 v[11:12], v[11:12]
	s_or_b64 s[2:3], s[2:3], exec
	s_waitcnt vmcnt(0) lgkmcnt(0)
	v_div_scale_f64 v[13:14], s[14:15], v[11:12], v[11:12], 1.0
	v_div_scale_f64 v[20:21], vcc, 1.0, v[11:12], 1.0
	v_rcp_f64_e32 v[15:16], v[13:14]
	v_fma_f64 v[18:19], -v[13:14], v[15:16], 1.0
	v_fma_f64 v[15:16], v[15:16], v[18:19], v[15:16]
	v_fma_f64 v[18:19], -v[13:14], v[15:16], 1.0
	v_fma_f64 v[15:16], v[15:16], v[18:19], v[15:16]
	v_mul_f64 v[18:19], v[20:21], v[15:16]
	v_fma_f64 v[13:14], -v[13:14], v[18:19], v[20:21]
	v_div_fmas_f64 v[13:14], v[13:14], v[15:16], v[18:19]
	v_div_fixup_f64 v[13:14], v[13:14], v[11:12], 1.0
.LBB137_51:
	s_or_b64 exec, exec, s[12:13]
	s_andn2_b64 s[10:11], s[10:11], exec
	s_and_b64 s[2:3], s[2:3], exec
	s_or_b64 s[10:11], s[10:11], s[2:3]
                                        ; implicit-def: $vgpr11_vgpr12
.LBB137_52:
	s_or_saveexec_b64 s[2:3], s[8:9]
	v_add_u32_e32 v15, v1, v17
	v_lshl_add_u32 v1, v1, 6, v0
	s_xor_b64 exec, exec, s[2:3]
	s_cbranch_execz .LBB137_54
; %bb.53:
	v_lshlrev_b64 v[11:12], 3, v[11:12]
	v_mov_b32_e32 v13, s88
	v_add_co_u32_e32 v11, vcc, s37, v11
	v_addc_co_u32_e32 v12, vcc, v13, v12, vcc
	flat_load_dwordx2 v[13:14], v[11:12]
	s_or_b64 s[10:11], s[10:11], exec
	s_waitcnt vmcnt(0) lgkmcnt(0)
	v_xor_b32_e32 v14, 0x80000000, v14
.LBB137_54:
	s_or_b64 exec, exec, s[2:3]
	v_cndmask_b32_e64 v1, v1, v15, s[0:1]
.LBB137_55:
	s_xor_b64 s[0:1], s[0:1], -1
	s_and_saveexec_b64 s[2:3], s[10:11]
; %bb.56:
	v_lshlrev_b32_e32 v1, 3, v1
	ds_write_b64 v1, v[13:14]
; %bb.57:
	s_or_b64 exec, exec, s[2:3]
	v_cndmask_b32_e64 v1, 0, 1, s[0:1]
	v_cmp_ne_u32_e64 s[58:59], 1, v1
	s_andn2_b64 vcc, exec, s[0:1]
	s_waitcnt vmcnt(0) lgkmcnt(0)
	s_barrier
	s_cbranch_vccnz .LBB137_987
; %bb.58:
	v_or_b32_e32 v1, v0, v2
	v_cmp_eq_u32_e32 vcc, 0, v1
	s_and_saveexec_b64 s[0:1], vcc
	s_cbranch_execz .LBB137_60
; %bb.59:
	v_mov_b32_e32 v1, 0
	ds_read_b128 v[11:14], v1 offset:32752
	ds_read_b64 v[15:16], v1 offset:32240
	s_movk_i32 s2, 0x7800
	v_add_u32_e64 v1, s2, 0
	s_waitcnt lgkmcnt(0)
	v_mul_f64 v[13:14], v[15:16], v[13:14]
	v_mul_f64 v[11:12], v[11:12], v[13:14]
	ds_write2_b64 v1, v[11:12], v[11:12] offset0:191 offset1:254
.LBB137_60:
	s_or_b64 exec, exec, s[0:1]
	v_lshlrev_b32_e32 v11, 6, v2
	v_add_u32_e32 v15, v11, v0
	v_and_b32_e32 v12, v11, v0
	v_xor_b32_e32 v11, v11, v0
	v_lshrrev_b16_e32 v11, 1, v11
	v_add_u16_e32 v14, v12, v11
	v_mov_b32_e32 v11, 0
	v_and_b32_e32 v1, 1, v0
	v_sub_u32_e32 v13, 1, v14
	v_cmp_lt_u32_e64 s[8:9], 3, v15
	v_mov_b32_e32 v12, 0
	v_cmp_gt_u32_e64 s[2:3], 4, v15
	s_waitcnt lgkmcnt(0)
	s_barrier
	buffer_wbinvl1_vol
	s_and_saveexec_b64 s[0:1], s[2:3]
	s_cbranch_execz .LBB137_64
; %bb.61:
	v_lshlrev_b32_e32 v16, 9, v13
	v_lshlrev_b32_e32 v11, 3, v1
	ds_read_b64 v[11:12], v11 offset:32224
	ds_read_b64 v[16:17], v16 offset:32240
	v_cmp_gt_u32_e64 s[10:11], 2, v15
	s_waitcnt lgkmcnt(0)
	v_fma_f64 v[11:12], v[11:12], v[16:17], 0
	s_and_saveexec_b64 s[12:13], s[10:11]
	s_cbranch_execz .LBB137_63
; %bb.62:
	v_lshlrev_b32_e32 v16, 3, v0
	v_mov_b32_e32 v18, 0
	ds_read_b64 v[16:17], v16 offset:32736
	ds_read_b64 v[18:19], v18 offset:32760
	s_waitcnt lgkmcnt(0)
	v_fma_f64 v[11:12], v[16:17], v[18:19], v[11:12]
.LBB137_63:
	s_or_b64 exec, exec, s[12:13]
.LBB137_64:
	s_or_b64 exec, exec, s[0:1]
	v_mov_b32_e32 v16, 0x8000
	v_cmp_ne_u32_e64 s[10:11], 0, v1
	s_xor_b64 s[0:1], s[8:9], -1
	v_lshl_add_u32 v14, v14, 3, v16
	s_and_b64 s[40:41], s[10:11], s[0:1]
	s_and_saveexec_b64 s[8:9], s[40:41]
	s_cbranch_execz .LBB137_66
; %bb.65:
	v_mov_b32_e32 v16, 0
	ds_read_b64 v[16:17], v16 offset:31720
	s_waitcnt lgkmcnt(0)
	v_mul_f64 v[11:12], v[11:12], v[16:17]
	v_xor_b32_e32 v17, 0x80000000, v12
	v_mov_b32_e32 v16, v11
	ds_write_b64 v14, v[16:17]
.LBB137_66:
	s_or_b64 exec, exec, s[8:9]
	v_cmp_eq_u32_e64 s[8:9], 0, v1
	s_and_b64 s[38:39], s[8:9], s[0:1]
	s_waitcnt lgkmcnt(0)
	s_barrier
	s_and_saveexec_b64 s[0:1], s[38:39]
	s_cbranch_execz .LBB137_68
; %bb.67:
	v_mov_b32_e32 v16, 0
	ds_read_b64 v[16:17], v16 offset:31712
	ds_read_b64 v[18:19], v14
	s_waitcnt lgkmcnt(0)
	v_fma_f64 v[11:12], -v[16:17], v[18:19], v[11:12]
.LBB137_68:
	s_or_b64 exec, exec, s[0:1]
	s_barrier
	s_and_saveexec_b64 s[0:1], s[38:39]
	s_cbranch_execz .LBB137_70
; %bb.69:
	v_mov_b32_e32 v16, 0
	ds_read_b64 v[16:17], v16 offset:31200
	s_waitcnt lgkmcnt(0)
	v_mul_f64 v[11:12], v[11:12], v[16:17]
	v_xor_b32_e32 v17, 0x80000000, v12
	v_mov_b32_e32 v16, v11
	ds_write_b64 v14, v[16:17]
.LBB137_70:
	s_or_b64 exec, exec, s[0:1]
	s_waitcnt lgkmcnt(0)
	s_barrier
	s_barrier
	s_and_saveexec_b64 s[0:1], s[2:3]
; %bb.71:
	v_lshlrev_b32_e32 v16, 3, v1
	v_lshl_or_b32 v16, v13, 9, v16
	ds_write_b64 v16, v[11:12] offset:32224
; %bb.72:
	s_or_b64 exec, exec, s[0:1]
	v_cmp_eq_u32_e64 s[12:13], 0, v2
	v_cmp_gt_u32_e64 s[8:9], 2, v0
	s_and_b64 s[42:43], s[12:13], s[8:9]
	s_waitcnt lgkmcnt(0)
	s_barrier
	s_barrier
	s_and_saveexec_b64 s[0:1], s[42:43]
	s_cbranch_execz .LBB137_74
; %bb.73:
	v_lshlrev_b32_e32 v16, 3, v0
	s_movk_i32 s8, 0x1f8
	v_mad_u32_u24 v17, v0, s8, v16
	ds_read_b64 v[11:12], v17 offset:32224
	s_waitcnt lgkmcnt(0)
	ds_write_b64 v16, v[11:12] offset:31216
	ds_read_b64 v[11:12], v17 offset:32232
	s_waitcnt lgkmcnt(0)
	ds_write_b64 v16, v[11:12] offset:31728
.LBB137_74:
	s_or_b64 exec, exec, s[0:1]
	s_waitcnt lgkmcnt(0)
	s_barrier
	s_and_saveexec_b64 s[0:1], vcc
	s_cbranch_execz .LBB137_76
; %bb.75:
	v_mov_b32_e32 v11, 0
	ds_read_b128 v[16:19], v11 offset:31712
	ds_read_b64 v[11:12], v11 offset:31200
	s_movk_i32 s8, 0x7800
	s_waitcnt lgkmcnt(0)
	v_mul_f64 v[11:12], v[11:12], v[18:19]
	v_mul_f64 v[11:12], v[16:17], v[11:12]
	v_add_u32_e64 v16, s8, 0
	ds_write2_b64 v16, v[11:12], v[11:12] offset0:61 offset1:124
.LBB137_76:
	s_or_b64 exec, exec, s[0:1]
	v_lshrrev_b32_e32 v18, 2, v15
	v_mov_b32_e32 v11, 0
	v_and_b32_e32 v16, 3, v0
	v_sub_u32_e32 v17, 3, v18
	v_cmp_lt_u32_e64 s[8:9], 15, v15
	v_mov_b32_e32 v12, 0
	v_cmp_gt_u32_e64 s[18:19], 16, v15
	s_waitcnt lgkmcnt(0)
	s_barrier
	buffer_wbinvl1_vol
	s_and_saveexec_b64 s[0:1], s[18:19]
	s_cbranch_execz .LBB137_82
; %bb.77:
	v_lshlrev_b32_e32 v20, 3, v16
	v_lshlrev_b32_e32 v19, 9, v17
	ds_read_b64 v[11:12], v20 offset:31168
	ds_read_b64 v[21:22], v19 offset:31200
	v_cmp_gt_u32_e64 s[10:11], 12, v15
	s_waitcnt lgkmcnt(0)
	v_fma_f64 v[11:12], v[11:12], v[21:22], 0
	s_and_saveexec_b64 s[14:15], s[10:11]
	s_cbranch_execnz .LBB137_1098
; %bb.78:
	s_or_b64 exec, exec, s[14:15]
	v_cmp_gt_u32_e64 s[10:11], 8, v15
	s_and_saveexec_b64 s[14:15], s[10:11]
	s_cbranch_execnz .LBB137_1099
.LBB137_79:
	s_or_b64 exec, exec, s[14:15]
	v_cmp_gt_u32_e64 s[10:11], 4, v15
	s_and_saveexec_b64 s[14:15], s[10:11]
	s_cbranch_execz .LBB137_81
.LBB137_80:
	v_lshlrev_b32_e32 v19, 3, v0
	v_mov_b32_e32 v21, 0
	ds_read_b64 v[19:20], v19 offset:32704
	ds_read_b64 v[21:22], v21 offset:32760
	s_waitcnt lgkmcnt(0)
	v_fma_f64 v[11:12], v[19:20], v[21:22], v[11:12]
.LBB137_81:
	s_or_b64 exec, exec, s[14:15]
.LBB137_82:
                                        ; implicit-def: $vgpr36 : SGPR spill to VGPR lane
	v_writelane_b32 v36, s46, 0
	s_or_b64 exec, exec, s[0:1]
	v_mov_b32_e32 v19, 0x8000
	v_cmp_eq_u32_e64 s[10:11], 3, v16
	s_xor_b64 s[0:1], s[8:9], -1
	v_lshl_add_u32 v18, v18, 3, v19
	s_and_b64 s[46:47], s[10:11], s[0:1]
	s_and_saveexec_b64 s[8:9], s[46:47]
	s_cbranch_execz .LBB137_84
; %bb.83:
	v_mov_b32_e32 v19, 0
	ds_read_b64 v[19:20], v19 offset:30680
	s_waitcnt lgkmcnt(0)
	v_mul_f64 v[11:12], v[11:12], v[19:20]
	v_xor_b32_e32 v20, 0x80000000, v12
	v_mov_b32_e32 v19, v11
	ds_write_b64 v18, v[19:20]
.LBB137_84:
	s_or_b64 exec, exec, s[8:9]
	v_cmp_ne_u32_e64 s[8:9], 3, v16
	s_and_b64 s[48:49], s[8:9], s[0:1]
	s_waitcnt lgkmcnt(0)
	s_barrier
	s_and_saveexec_b64 s[8:9], s[48:49]
	s_cbranch_execz .LBB137_86
; %bb.85:
	v_lshlrev_b32_e32 v19, 3, v16
	ds_read_b64 v[19:20], v19 offset:30656
	ds_read_b64 v[21:22], v18
	s_waitcnt lgkmcnt(0)
	v_fma_f64 v[11:12], -v[19:20], v[21:22], v[11:12]
.LBB137_86:
	s_or_b64 exec, exec, s[8:9]
	v_cmp_eq_u32_e64 s[8:9], 2, v16
	s_and_b64 s[50:51], s[8:9], s[0:1]
	s_barrier
	s_and_saveexec_b64 s[8:9], s[50:51]
	s_cbranch_execz .LBB137_88
; %bb.87:
	v_mov_b32_e32 v19, 0
	ds_read_b64 v[19:20], v19 offset:30160
	s_waitcnt lgkmcnt(0)
	v_mul_f64 v[11:12], v[11:12], v[19:20]
	v_xor_b32_e32 v20, 0x80000000, v12
	v_mov_b32_e32 v19, v11
	ds_write_b64 v18, v[19:20]
.LBB137_88:
	s_or_b64 exec, exec, s[8:9]
	v_cmp_gt_u32_e64 s[8:9], 2, v16
	s_and_b64 s[52:53], s[8:9], s[0:1]
	s_waitcnt lgkmcnt(0)
	s_barrier
	s_and_saveexec_b64 s[8:9], s[52:53]
	s_cbranch_execz .LBB137_90
; %bb.89:
	v_lshlrev_b32_e32 v19, 3, v16
	ds_read_b64 v[19:20], v19 offset:30144
	ds_read_b64 v[21:22], v18
	s_waitcnt lgkmcnt(0)
	v_fma_f64 v[11:12], -v[19:20], v[21:22], v[11:12]
.LBB137_90:
	s_or_b64 exec, exec, s[8:9]
	v_cmp_eq_u32_e64 s[8:9], 1, v16
	s_and_b64 s[54:55], s[8:9], s[0:1]
	s_barrier
	s_and_saveexec_b64 s[8:9], s[54:55]
	s_cbranch_execz .LBB137_92
; %bb.91:
	v_mov_b32_e32 v19, 0
	ds_read_b64 v[19:20], v19 offset:29640
	s_waitcnt lgkmcnt(0)
	v_mul_f64 v[11:12], v[11:12], v[19:20]
	v_xor_b32_e32 v20, 0x80000000, v12
	v_mov_b32_e32 v19, v11
	ds_write_b64 v18, v[19:20]
.LBB137_92:
	s_or_b64 exec, exec, s[8:9]
	v_cmp_eq_u32_e64 s[8:9], 0, v16
	s_and_b64 s[44:45], s[8:9], s[0:1]
	s_waitcnt lgkmcnt(0)
	s_barrier
	s_and_saveexec_b64 s[0:1], s[44:45]
	s_cbranch_execz .LBB137_94
; %bb.93:
	v_mov_b32_e32 v19, 0
	ds_read_b64 v[19:20], v19 offset:29632
	ds_read_b64 v[21:22], v18
	s_waitcnt lgkmcnt(0)
	v_fma_f64 v[11:12], -v[19:20], v[21:22], v[11:12]
.LBB137_94:
	s_or_b64 exec, exec, s[0:1]
	s_barrier
	s_and_saveexec_b64 s[0:1], s[44:45]
	s_cbranch_execz .LBB137_96
; %bb.95:
	v_mov_b32_e32 v19, 0
	ds_read_b64 v[19:20], v19 offset:29120
	s_waitcnt lgkmcnt(0)
	v_mul_f64 v[11:12], v[11:12], v[19:20]
	v_xor_b32_e32 v20, 0x80000000, v12
	v_mov_b32_e32 v19, v11
	ds_write_b64 v18, v[19:20]
.LBB137_96:
	s_or_b64 exec, exec, s[0:1]
	s_waitcnt lgkmcnt(0)
	s_barrier
	s_barrier
	s_and_saveexec_b64 s[0:1], s[18:19]
; %bb.97:
	v_lshlrev_b32_e32 v19, 3, v16
	v_lshl_or_b32 v19, v17, 9, v19
	ds_write_b64 v19, v[11:12] offset:31168
; %bb.98:
	s_or_b64 exec, exec, s[0:1]
	v_cmp_gt_u32_e64 s[8:9], 4, v0
	s_and_b64 s[56:57], s[12:13], s[8:9]
	s_waitcnt lgkmcnt(0)
	s_barrier
	s_barrier
	s_and_saveexec_b64 s[0:1], s[56:57]
	s_cbranch_execz .LBB137_100
; %bb.99:
	v_lshlrev_b32_e32 v19, 9, v0
	ds_read_b64 v[11:12], v19 offset:31168
	s_movk_i32 s8, 0xfe08
	v_mad_i32_i24 v20, v0, s8, v19
	s_waitcnt lgkmcnt(0)
	ds_write_b64 v20, v[11:12] offset:29152
	ds_read_b64 v[11:12], v19 offset:31176
	s_waitcnt lgkmcnt(0)
	ds_write_b64 v20, v[11:12] offset:29664
	ds_read_b64 v[11:12], v19 offset:31184
	;; [unrolled: 3-line block ×3, first 2 shown]
	s_waitcnt lgkmcnt(0)
	ds_write_b64 v20, v[11:12] offset:30688
.LBB137_100:
	s_or_b64 exec, exec, s[0:1]
	s_waitcnt lgkmcnt(0)
	s_barrier
	s_and_saveexec_b64 s[0:1], vcc
	s_cbranch_execz .LBB137_102
; %bb.101:
	v_mov_b32_e32 v11, 0
	ds_read_b128 v[19:22], v11 offset:30672
	ds_read_b64 v[11:12], v11 offset:30160
	s_movk_i32 s8, 0x7000
	s_waitcnt lgkmcnt(0)
	v_mul_f64 v[11:12], v[11:12], v[21:22]
	v_mul_f64 v[11:12], v[19:20], v[11:12]
	v_add_u32_e64 v19, s8, 0
	ds_write2_b64 v19, v[11:12], v[11:12] offset0:187 offset1:250
.LBB137_102:
	s_or_b64 exec, exec, s[0:1]
	v_mov_b32_e32 v11, 0
	v_mov_b32_e32 v12, 0
	s_waitcnt lgkmcnt(0)
	s_barrier
	buffer_wbinvl1_vol
	s_and_saveexec_b64 s[0:1], s[2:3]
	s_cbranch_execz .LBB137_106
; %bb.103:
	v_lshlrev_b32_e32 v19, 9, v13
	v_lshlrev_b32_e32 v11, 3, v1
	ds_read_b64 v[11:12], v11 offset:30144
	ds_read_b64 v[19:20], v19 offset:30160
	v_cmp_gt_u32_e64 s[8:9], 2, v15
	s_waitcnt lgkmcnt(0)
	v_fma_f64 v[11:12], v[11:12], v[19:20], 0
	s_and_saveexec_b64 s[10:11], s[8:9]
	s_cbranch_execz .LBB137_105
; %bb.104:
	v_lshlrev_b32_e32 v19, 3, v0
	v_mov_b32_e32 v21, 0
	ds_read_b64 v[19:20], v19 offset:30656
	ds_read_b64 v[21:22], v21 offset:30680
	s_waitcnt lgkmcnt(0)
	v_fma_f64 v[11:12], v[19:20], v[21:22], v[11:12]
.LBB137_105:
	s_or_b64 exec, exec, s[10:11]
.LBB137_106:
	s_or_b64 exec, exec, s[0:1]
	s_and_saveexec_b64 s[0:1], s[40:41]
	s_cbranch_execz .LBB137_108
; %bb.107:
	v_mov_b32_e32 v19, 0
	ds_read_b64 v[19:20], v19 offset:29640
	s_waitcnt lgkmcnt(0)
	v_mul_f64 v[11:12], v[11:12], v[19:20]
	v_xor_b32_e32 v20, 0x80000000, v12
	v_mov_b32_e32 v19, v11
	ds_write_b64 v14, v[19:20]
.LBB137_108:
	s_or_b64 exec, exec, s[0:1]
	s_waitcnt lgkmcnt(0)
	s_barrier
	s_and_saveexec_b64 s[0:1], s[38:39]
	s_cbranch_execz .LBB137_110
; %bb.109:
	v_mov_b32_e32 v19, 0
	ds_read_b64 v[19:20], v19 offset:29632
	ds_read_b64 v[21:22], v14
	s_waitcnt lgkmcnt(0)
	v_fma_f64 v[11:12], -v[19:20], v[21:22], v[11:12]
.LBB137_110:
	s_or_b64 exec, exec, s[0:1]
	s_barrier
	s_and_saveexec_b64 s[0:1], s[38:39]
	s_cbranch_execz .LBB137_112
; %bb.111:
	v_mov_b32_e32 v19, 0
	ds_read_b64 v[19:20], v19 offset:29120
	s_waitcnt lgkmcnt(0)
	v_mul_f64 v[11:12], v[11:12], v[19:20]
	v_xor_b32_e32 v20, 0x80000000, v12
	v_mov_b32_e32 v19, v11
	ds_write_b64 v14, v[19:20]
.LBB137_112:
	s_or_b64 exec, exec, s[0:1]
	s_waitcnt lgkmcnt(0)
	s_barrier
	s_barrier
	s_and_saveexec_b64 s[0:1], s[2:3]
; %bb.113:
	v_lshlrev_b32_e32 v19, 3, v1
	v_lshl_or_b32 v19, v13, 9, v19
	ds_write_b64 v19, v[11:12] offset:30144
; %bb.114:
	s_or_b64 exec, exec, s[0:1]
	s_waitcnt lgkmcnt(0)
	s_barrier
	s_barrier
	s_and_saveexec_b64 s[0:1], s[42:43]
	s_cbranch_execz .LBB137_116
; %bb.115:
	v_lshlrev_b32_e32 v19, 3, v0
	s_movk_i32 s8, 0x1f8
	v_mad_u32_u24 v20, v0, s8, v19
	ds_read_b64 v[11:12], v20 offset:30144
	s_waitcnt lgkmcnt(0)
	ds_write_b64 v19, v[11:12] offset:29136
	ds_read_b64 v[11:12], v20 offset:30152
	s_waitcnt lgkmcnt(0)
	ds_write_b64 v19, v[11:12] offset:29648
.LBB137_116:
	s_or_b64 exec, exec, s[0:1]
	s_waitcnt lgkmcnt(0)
	s_barrier
	s_and_saveexec_b64 s[0:1], vcc
	s_cbranch_execz .LBB137_118
; %bb.117:
	v_mov_b32_e32 v11, 0
	ds_read_b128 v[19:22], v11 offset:29632
	ds_read_b64 v[11:12], v11 offset:29120
	s_movk_i32 s8, 0x7000
	s_waitcnt lgkmcnt(0)
	v_mul_f64 v[11:12], v[11:12], v[21:22]
	v_mul_f64 v[11:12], v[19:20], v[11:12]
	v_add_u32_e64 v19, s8, 0
	ds_write2_b64 v19, v[11:12], v[11:12] offset0:57 offset1:120
.LBB137_118:
	s_or_b64 exec, exec, s[0:1]
	v_lshrrev_b32_e32 v21, 3, v15
	v_mov_b32_e32 v11, 0
	v_and_b32_e32 v19, 7, v0
	v_sub_u32_e32 v20, 7, v21
	v_cmp_lt_u32_e64 s[10:11], 63, v15
	v_mov_b32_e32 v12, 0
	v_cmp_gt_u32_e64 s[8:9], 64, v15
	s_waitcnt lgkmcnt(0)
	s_barrier
	buffer_wbinvl1_vol
	s_and_saveexec_b64 s[0:1], s[8:9]
	s_cbranch_execz .LBB137_128
; %bb.119:
	v_lshlrev_b32_e32 v23, 3, v19
	v_lshlrev_b32_e32 v22, 9, v20
	ds_read_b64 v[11:12], v23 offset:29056
	ds_read_b64 v[24:25], v22 offset:29120
	v_cmp_gt_u32_e64 s[14:15], 56, v15
	s_waitcnt lgkmcnt(0)
	v_fma_f64 v[11:12], v[11:12], v[24:25], 0
	s_and_saveexec_b64 s[16:17], s[14:15]
	s_cbranch_execnz .LBB137_1100
; %bb.120:
	s_or_b64 exec, exec, s[16:17]
	v_cmp_gt_u32_e64 s[14:15], 48, v15
	s_and_saveexec_b64 s[16:17], s[14:15]
	s_cbranch_execnz .LBB137_1101
.LBB137_121:
	s_or_b64 exec, exec, s[16:17]
	v_cmp_gt_u32_e64 s[14:15], 40, v15
	s_and_saveexec_b64 s[16:17], s[14:15]
	s_cbranch_execnz .LBB137_1102
.LBB137_122:
	s_or_b64 exec, exec, s[16:17]
	v_cmp_gt_u32_e64 s[14:15], 32, v15
	s_and_saveexec_b64 s[16:17], s[14:15]
	s_cbranch_execnz .LBB137_1103
.LBB137_123:
	s_or_b64 exec, exec, s[16:17]
	v_cmp_gt_u32_e64 s[14:15], 24, v15
	s_and_saveexec_b64 s[16:17], s[14:15]
	s_cbranch_execnz .LBB137_1104
.LBB137_124:
	s_or_b64 exec, exec, s[16:17]
	s_and_saveexec_b64 s[14:15], s[18:19]
	s_cbranch_execnz .LBB137_1105
.LBB137_125:
	s_or_b64 exec, exec, s[14:15]
	v_cmp_gt_u32_e64 s[14:15], 8, v15
	s_and_saveexec_b64 s[16:17], s[14:15]
	s_cbranch_execz .LBB137_127
.LBB137_126:
	v_lshlrev_b32_e32 v22, 3, v0
	v_mov_b32_e32 v24, 0
	ds_read_b64 v[22:23], v22 offset:32640
	ds_read_b64 v[24:25], v24 offset:32760
	s_waitcnt lgkmcnt(0)
	v_fma_f64 v[11:12], v[22:23], v[24:25], v[11:12]
.LBB137_127:
	s_or_b64 exec, exec, s[16:17]
.LBB137_128:
	v_writelane_b32 v36, s58, 1
	v_writelane_b32 v36, s59, 2
	;; [unrolled: 1-line block ×4, first 2 shown]
	s_or_b64 exec, exec, s[0:1]
	v_mov_b32_e32 v22, 0x8000
	v_cmp_eq_u32_e64 s[14:15], 7, v19
	s_xor_b64 s[0:1], s[10:11], -1
	v_lshl_add_u32 v21, v21, 3, v22
	s_and_b64 s[58:59], s[14:15], s[0:1]
	s_and_saveexec_b64 s[10:11], s[58:59]
	s_cbranch_execz .LBB137_130
; %bb.129:
	v_mov_b32_e32 v22, 0
	ds_read_b64 v[22:23], v22 offset:28600
	s_waitcnt lgkmcnt(0)
	v_mul_f64 v[11:12], v[11:12], v[22:23]
	v_xor_b32_e32 v23, 0x80000000, v12
	v_mov_b32_e32 v22, v11
	ds_write_b64 v21, v[22:23]
.LBB137_130:
	s_or_b64 exec, exec, s[10:11]
	v_cmp_ne_u32_e64 s[10:11], 7, v19
	s_and_b64 s[60:61], s[10:11], s[0:1]
	s_waitcnt lgkmcnt(0)
	s_barrier
	s_and_saveexec_b64 s[10:11], s[60:61]
	s_cbranch_execz .LBB137_132
; %bb.131:
	v_lshlrev_b32_e32 v22, 3, v19
	ds_read_b64 v[22:23], v22 offset:28544
	ds_read_b64 v[24:25], v21
	s_waitcnt lgkmcnt(0)
	v_fma_f64 v[11:12], -v[22:23], v[24:25], v[11:12]
.LBB137_132:
	s_or_b64 exec, exec, s[10:11]
	v_cmp_eq_u32_e64 s[10:11], 6, v19
	s_and_b64 s[62:63], s[10:11], s[0:1]
	s_barrier
	s_and_saveexec_b64 s[10:11], s[62:63]
	s_cbranch_execz .LBB137_134
; %bb.133:
	v_mov_b32_e32 v22, 0
	ds_read_b64 v[22:23], v22 offset:28080
	s_waitcnt lgkmcnt(0)
	v_mul_f64 v[11:12], v[11:12], v[22:23]
	v_xor_b32_e32 v23, 0x80000000, v12
	v_mov_b32_e32 v22, v11
	ds_write_b64 v21, v[22:23]
.LBB137_134:
	s_or_b64 exec, exec, s[10:11]
	v_cmp_gt_u32_e64 s[10:11], 6, v19
	s_and_b64 s[64:65], s[10:11], s[0:1]
	s_waitcnt lgkmcnt(0)
	s_barrier
	s_and_saveexec_b64 s[10:11], s[64:65]
	s_cbranch_execz .LBB137_136
; %bb.135:
	v_lshlrev_b32_e32 v22, 3, v19
	ds_read_b64 v[22:23], v22 offset:28032
	ds_read_b64 v[24:25], v21
	s_waitcnt lgkmcnt(0)
	v_fma_f64 v[11:12], -v[22:23], v[24:25], v[11:12]
.LBB137_136:
	s_or_b64 exec, exec, s[10:11]
	v_cmp_eq_u32_e64 s[10:11], 5, v19
	s_and_b64 s[66:67], s[10:11], s[0:1]
	s_barrier
	s_and_saveexec_b64 s[10:11], s[66:67]
	s_cbranch_execz .LBB137_138
; %bb.137:
	v_mov_b32_e32 v22, 0
	ds_read_b64 v[22:23], v22 offset:27560
	s_waitcnt lgkmcnt(0)
	v_mul_f64 v[11:12], v[11:12], v[22:23]
	v_xor_b32_e32 v23, 0x80000000, v12
	v_mov_b32_e32 v22, v11
	ds_write_b64 v21, v[22:23]
.LBB137_138:
	s_or_b64 exec, exec, s[10:11]
	v_cmp_gt_u32_e64 s[10:11], 5, v19
	s_and_b64 s[70:71], s[10:11], s[0:1]
	s_waitcnt lgkmcnt(0)
	s_barrier
	s_and_saveexec_b64 s[10:11], s[70:71]
	s_cbranch_execz .LBB137_140
; %bb.139:
	v_lshlrev_b32_e32 v22, 3, v19
	ds_read_b64 v[22:23], v22 offset:27520
	ds_read_b64 v[24:25], v21
	s_waitcnt lgkmcnt(0)
	v_fma_f64 v[11:12], -v[22:23], v[24:25], v[11:12]
.LBB137_140:
	s_or_b64 exec, exec, s[10:11]
	v_cmp_eq_u32_e64 s[10:11], 4, v19
	s_and_b64 s[72:73], s[10:11], s[0:1]
	s_barrier
	s_and_saveexec_b64 s[10:11], s[72:73]
	s_cbranch_execz .LBB137_142
; %bb.141:
	v_mov_b32_e32 v22, 0
	ds_read_b64 v[22:23], v22 offset:27040
	s_waitcnt lgkmcnt(0)
	v_mul_f64 v[11:12], v[11:12], v[22:23]
	v_xor_b32_e32 v23, 0x80000000, v12
	v_mov_b32_e32 v22, v11
	ds_write_b64 v21, v[22:23]
.LBB137_142:
	s_or_b64 exec, exec, s[10:11]
	v_cmp_gt_u32_e64 s[10:11], 4, v19
	s_and_b64 s[74:75], s[10:11], s[0:1]
	s_waitcnt lgkmcnt(0)
	s_barrier
	s_and_saveexec_b64 s[10:11], s[74:75]
	s_cbranch_execz .LBB137_144
; %bb.143:
	v_lshlrev_b32_e32 v22, 3, v19
	ds_read_b64 v[22:23], v22 offset:27008
	ds_read_b64 v[24:25], v21
	s_waitcnt lgkmcnt(0)
	v_fma_f64 v[11:12], -v[22:23], v[24:25], v[11:12]
.LBB137_144:
	s_or_b64 exec, exec, s[10:11]
	v_cmp_eq_u32_e64 s[10:11], 3, v19
	s_and_b64 s[76:77], s[10:11], s[0:1]
	s_barrier
	s_and_saveexec_b64 s[10:11], s[76:77]
	s_cbranch_execz .LBB137_146
; %bb.145:
	v_mov_b32_e32 v22, 0
	ds_read_b64 v[22:23], v22 offset:26520
	s_waitcnt lgkmcnt(0)
	v_mul_f64 v[11:12], v[11:12], v[22:23]
	v_xor_b32_e32 v23, 0x80000000, v12
	v_mov_b32_e32 v22, v11
	ds_write_b64 v21, v[22:23]
.LBB137_146:
	s_or_b64 exec, exec, s[10:11]
	v_cmp_gt_u32_e64 s[10:11], 3, v19
	s_and_b64 s[78:79], s[10:11], s[0:1]
	s_waitcnt lgkmcnt(0)
	s_barrier
	s_and_saveexec_b64 s[10:11], s[78:79]
	s_cbranch_execz .LBB137_148
; %bb.147:
	v_lshlrev_b32_e32 v22, 3, v19
	ds_read_b64 v[22:23], v22 offset:26496
	ds_read_b64 v[24:25], v21
	s_waitcnt lgkmcnt(0)
	v_fma_f64 v[11:12], -v[22:23], v[24:25], v[11:12]
.LBB137_148:
	s_or_b64 exec, exec, s[10:11]
	v_cmp_eq_u32_e64 s[10:11], 2, v19
	s_and_b64 s[80:81], s[10:11], s[0:1]
	s_barrier
	s_and_saveexec_b64 s[10:11], s[80:81]
	s_cbranch_execz .LBB137_150
; %bb.149:
	v_mov_b32_e32 v22, 0
	ds_read_b64 v[22:23], v22 offset:26000
	s_waitcnt lgkmcnt(0)
	v_mul_f64 v[11:12], v[11:12], v[22:23]
	v_xor_b32_e32 v23, 0x80000000, v12
	v_mov_b32_e32 v22, v11
	ds_write_b64 v21, v[22:23]
.LBB137_150:
	s_or_b64 exec, exec, s[10:11]
	v_cmp_gt_u32_e64 s[10:11], 2, v19
	s_and_b64 s[82:83], s[10:11], s[0:1]
	s_waitcnt lgkmcnt(0)
	s_barrier
	s_and_saveexec_b64 s[10:11], s[82:83]
	s_cbranch_execz .LBB137_152
; %bb.151:
	v_lshlrev_b32_e32 v22, 3, v19
	ds_read_b64 v[22:23], v22 offset:25984
	ds_read_b64 v[24:25], v21
	s_waitcnt lgkmcnt(0)
	v_fma_f64 v[11:12], -v[22:23], v[24:25], v[11:12]
.LBB137_152:
	s_or_b64 exec, exec, s[10:11]
	v_cmp_eq_u32_e64 s[10:11], 1, v19
	s_and_b64 s[84:85], s[10:11], s[0:1]
	s_barrier
	s_and_saveexec_b64 s[10:11], s[84:85]
	s_cbranch_execz .LBB137_154
; %bb.153:
	v_mov_b32_e32 v22, 0
	ds_read_b64 v[22:23], v22 offset:25480
	s_waitcnt lgkmcnt(0)
	v_mul_f64 v[11:12], v[11:12], v[22:23]
	v_xor_b32_e32 v23, 0x80000000, v12
	v_mov_b32_e32 v22, v11
	ds_write_b64 v21, v[22:23]
.LBB137_154:
	s_or_b64 exec, exec, s[10:11]
	v_cmp_eq_u32_e64 s[10:11], 0, v19
	s_and_b64 s[68:69], s[10:11], s[0:1]
	s_waitcnt lgkmcnt(0)
	s_barrier
	s_and_saveexec_b64 s[0:1], s[68:69]
	s_cbranch_execz .LBB137_156
; %bb.155:
	v_mov_b32_e32 v22, 0
	ds_read_b64 v[22:23], v22 offset:25472
	ds_read_b64 v[24:25], v21
	s_waitcnt lgkmcnt(0)
	v_fma_f64 v[11:12], -v[22:23], v[24:25], v[11:12]
.LBB137_156:
	s_or_b64 exec, exec, s[0:1]
	s_barrier
	s_and_saveexec_b64 s[0:1], s[68:69]
	s_cbranch_execz .LBB137_158
; %bb.157:
	v_mov_b32_e32 v22, 0
	ds_read_b64 v[22:23], v22 offset:24960
	s_waitcnt lgkmcnt(0)
	v_mul_f64 v[11:12], v[11:12], v[22:23]
	v_xor_b32_e32 v23, 0x80000000, v12
	v_mov_b32_e32 v22, v11
	ds_write_b64 v21, v[22:23]
.LBB137_158:
	s_or_b64 exec, exec, s[0:1]
	s_waitcnt lgkmcnt(0)
	s_barrier
	s_barrier
	s_and_saveexec_b64 s[0:1], s[8:9]
; %bb.159:
	v_lshlrev_b32_e32 v22, 3, v19
	v_lshl_or_b32 v22, v20, 9, v22
	ds_write_b64 v22, v[11:12] offset:29056
; %bb.160:
	s_or_b64 exec, exec, s[0:1]
	v_cmp_gt_u32_e64 s[10:11], 8, v0
	s_and_b64 s[86:87], s[12:13], s[10:11]
	s_waitcnt lgkmcnt(0)
	s_barrier
	s_barrier
	s_and_saveexec_b64 s[0:1], s[86:87]
	s_cbranch_execz .LBB137_162
; %bb.161:
	v_lshlrev_b32_e32 v22, 9, v0
	ds_read_b64 v[11:12], v22 offset:29056
	s_movk_i32 s10, 0xfe08
	v_mad_i32_i24 v23, v0, s10, v22
	s_waitcnt lgkmcnt(0)
	ds_write_b64 v23, v[11:12] offset:25024
	ds_read_b64 v[11:12], v22 offset:29064
	s_waitcnt lgkmcnt(0)
	ds_write_b64 v23, v[11:12] offset:25536
	ds_read_b64 v[11:12], v22 offset:29072
	;; [unrolled: 3-line block ×7, first 2 shown]
	s_waitcnt lgkmcnt(0)
	ds_write_b64 v23, v[11:12] offset:28608
.LBB137_162:
	s_or_b64 exec, exec, s[0:1]
	s_waitcnt lgkmcnt(0)
	s_barrier
	s_and_saveexec_b64 s[0:1], vcc
	s_cbranch_execz .LBB137_164
; %bb.163:
	v_mov_b32_e32 v11, 0
	ds_read_b128 v[22:25], v11 offset:28592
	ds_read_b64 v[11:12], v11 offset:28080
	s_movk_i32 s10, 0x6800
	s_waitcnt lgkmcnt(0)
	v_mul_f64 v[11:12], v[11:12], v[24:25]
	v_mul_f64 v[11:12], v[22:23], v[11:12]
	v_add_u32_e64 v22, s10, 0
	ds_write2_b64 v22, v[11:12], v[11:12] offset0:183 offset1:246
.LBB137_164:
	s_or_b64 exec, exec, s[0:1]
	v_mov_b32_e32 v11, 0
	v_mov_b32_e32 v12, 0
	s_waitcnt lgkmcnt(0)
	s_barrier
	buffer_wbinvl1_vol
	s_and_saveexec_b64 s[0:1], s[2:3]
	s_cbranch_execz .LBB137_168
; %bb.165:
	v_lshlrev_b32_e32 v22, 9, v13
	v_lshlrev_b32_e32 v11, 3, v1
	ds_read_b64 v[11:12], v11 offset:28064
	ds_read_b64 v[22:23], v22 offset:28080
	v_cmp_gt_u32_e64 s[10:11], 2, v15
	s_waitcnt lgkmcnt(0)
	v_fma_f64 v[11:12], v[11:12], v[22:23], 0
	s_and_saveexec_b64 s[14:15], s[10:11]
	s_cbranch_execz .LBB137_167
; %bb.166:
	v_lshlrev_b32_e32 v22, 3, v0
	v_mov_b32_e32 v24, 0
	ds_read_b64 v[22:23], v22 offset:28576
	ds_read_b64 v[24:25], v24 offset:28600
	s_waitcnt lgkmcnt(0)
	v_fma_f64 v[11:12], v[22:23], v[24:25], v[11:12]
.LBB137_167:
	s_or_b64 exec, exec, s[14:15]
.LBB137_168:
	s_or_b64 exec, exec, s[0:1]
	s_and_saveexec_b64 s[0:1], s[40:41]
	s_cbranch_execz .LBB137_170
; %bb.169:
	v_mov_b32_e32 v22, 0
	ds_read_b64 v[22:23], v22 offset:27560
	s_waitcnt lgkmcnt(0)
	v_mul_f64 v[11:12], v[11:12], v[22:23]
	v_xor_b32_e32 v23, 0x80000000, v12
	v_mov_b32_e32 v22, v11
	ds_write_b64 v14, v[22:23]
.LBB137_170:
	s_or_b64 exec, exec, s[0:1]
	s_waitcnt lgkmcnt(0)
	s_barrier
	s_and_saveexec_b64 s[0:1], s[38:39]
	s_cbranch_execz .LBB137_172
; %bb.171:
	v_mov_b32_e32 v22, 0
	ds_read_b64 v[22:23], v22 offset:27552
	ds_read_b64 v[24:25], v14
	s_waitcnt lgkmcnt(0)
	v_fma_f64 v[11:12], -v[22:23], v[24:25], v[11:12]
.LBB137_172:
	s_or_b64 exec, exec, s[0:1]
	s_barrier
	s_and_saveexec_b64 s[0:1], s[38:39]
	s_cbranch_execz .LBB137_174
; %bb.173:
	v_mov_b32_e32 v22, 0
	ds_read_b64 v[22:23], v22 offset:27040
	s_waitcnt lgkmcnt(0)
	v_mul_f64 v[11:12], v[11:12], v[22:23]
	v_xor_b32_e32 v23, 0x80000000, v12
	v_mov_b32_e32 v22, v11
	ds_write_b64 v14, v[22:23]
.LBB137_174:
	s_or_b64 exec, exec, s[0:1]
	s_waitcnt lgkmcnt(0)
	s_barrier
	s_barrier
	s_and_saveexec_b64 s[0:1], s[2:3]
; %bb.175:
	v_lshlrev_b32_e32 v22, 3, v1
	v_lshl_or_b32 v22, v13, 9, v22
	ds_write_b64 v22, v[11:12] offset:28064
; %bb.176:
	s_or_b64 exec, exec, s[0:1]
	s_waitcnt lgkmcnt(0)
	s_barrier
	s_barrier
	s_and_saveexec_b64 s[0:1], s[42:43]
	s_cbranch_execz .LBB137_178
; %bb.177:
	v_lshlrev_b32_e32 v22, 3, v0
	s_movk_i32 s10, 0x1f8
	v_mad_u32_u24 v23, v0, s10, v22
	ds_read_b64 v[11:12], v23 offset:28064
	s_waitcnt lgkmcnt(0)
	ds_write_b64 v22, v[11:12] offset:27056
	ds_read_b64 v[11:12], v23 offset:28072
	s_waitcnt lgkmcnt(0)
	ds_write_b64 v22, v[11:12] offset:27568
.LBB137_178:
	s_or_b64 exec, exec, s[0:1]
	s_waitcnt lgkmcnt(0)
	s_barrier
	s_and_saveexec_b64 s[0:1], vcc
	s_cbranch_execz .LBB137_180
; %bb.179:
	v_mov_b32_e32 v11, 0
	ds_read_b128 v[22:25], v11 offset:27552
	ds_read_b64 v[11:12], v11 offset:27040
	s_movk_i32 s10, 0x6800
	s_waitcnt lgkmcnt(0)
	v_mul_f64 v[11:12], v[11:12], v[24:25]
	v_mul_f64 v[11:12], v[22:23], v[11:12]
	v_add_u32_e64 v22, s10, 0
	ds_write2_b64 v22, v[11:12], v[11:12] offset0:53 offset1:116
.LBB137_180:
	s_or_b64 exec, exec, s[0:1]
	v_mov_b32_e32 v11, 0
	v_mov_b32_e32 v12, 0
	s_waitcnt lgkmcnt(0)
	s_barrier
	buffer_wbinvl1_vol
	s_and_saveexec_b64 s[0:1], s[18:19]
	s_cbranch_execz .LBB137_186
; %bb.181:
	v_lshlrev_b32_e32 v23, 3, v16
	v_lshlrev_b32_e32 v22, 9, v17
	ds_read_b64 v[11:12], v23 offset:27008
	ds_read_b64 v[24:25], v22 offset:27040
	v_cmp_gt_u32_e64 s[10:11], 12, v15
	s_waitcnt lgkmcnt(0)
	v_fma_f64 v[11:12], v[11:12], v[24:25], 0
	s_and_saveexec_b64 s[14:15], s[10:11]
	s_cbranch_execnz .LBB137_1106
; %bb.182:
	s_or_b64 exec, exec, s[14:15]
	v_cmp_gt_u32_e64 s[10:11], 8, v15
	s_and_saveexec_b64 s[14:15], s[10:11]
	s_cbranch_execnz .LBB137_1107
.LBB137_183:
	s_or_b64 exec, exec, s[14:15]
	v_cmp_gt_u32_e64 s[10:11], 4, v15
	s_and_saveexec_b64 s[14:15], s[10:11]
	s_cbranch_execz .LBB137_185
.LBB137_184:
	v_lshlrev_b32_e32 v22, 3, v0
	v_mov_b32_e32 v24, 0
	ds_read_b64 v[22:23], v22 offset:28544
	ds_read_b64 v[24:25], v24 offset:28600
	s_waitcnt lgkmcnt(0)
	v_fma_f64 v[11:12], v[22:23], v[24:25], v[11:12]
.LBB137_185:
	s_or_b64 exec, exec, s[14:15]
.LBB137_186:
	s_or_b64 exec, exec, s[0:1]
	s_and_saveexec_b64 s[0:1], s[46:47]
	s_cbranch_execz .LBB137_188
; %bb.187:
	v_mov_b32_e32 v22, 0
	ds_read_b64 v[22:23], v22 offset:26520
	s_waitcnt lgkmcnt(0)
	v_mul_f64 v[11:12], v[11:12], v[22:23]
	v_xor_b32_e32 v23, 0x80000000, v12
	v_mov_b32_e32 v22, v11
	ds_write_b64 v18, v[22:23]
.LBB137_188:
	s_or_b64 exec, exec, s[0:1]
	s_waitcnt lgkmcnt(0)
	s_barrier
	s_and_saveexec_b64 s[0:1], s[48:49]
	s_cbranch_execz .LBB137_190
; %bb.189:
	v_lshlrev_b32_e32 v22, 3, v16
	ds_read_b64 v[22:23], v22 offset:26496
	ds_read_b64 v[24:25], v18
	s_waitcnt lgkmcnt(0)
	v_fma_f64 v[11:12], -v[22:23], v[24:25], v[11:12]
.LBB137_190:
	s_or_b64 exec, exec, s[0:1]
	s_barrier
	s_and_saveexec_b64 s[0:1], s[50:51]
	s_cbranch_execz .LBB137_192
; %bb.191:
	v_mov_b32_e32 v22, 0
	ds_read_b64 v[22:23], v22 offset:26000
	s_waitcnt lgkmcnt(0)
	v_mul_f64 v[11:12], v[11:12], v[22:23]
	v_xor_b32_e32 v23, 0x80000000, v12
	v_mov_b32_e32 v22, v11
	ds_write_b64 v18, v[22:23]
.LBB137_192:
	s_or_b64 exec, exec, s[0:1]
	s_waitcnt lgkmcnt(0)
	s_barrier
	s_and_saveexec_b64 s[0:1], s[52:53]
	s_cbranch_execz .LBB137_194
; %bb.193:
	v_lshlrev_b32_e32 v22, 3, v16
	ds_read_b64 v[22:23], v22 offset:25984
	ds_read_b64 v[24:25], v18
	s_waitcnt lgkmcnt(0)
	v_fma_f64 v[11:12], -v[22:23], v[24:25], v[11:12]
.LBB137_194:
	s_or_b64 exec, exec, s[0:1]
	s_barrier
	s_and_saveexec_b64 s[0:1], s[54:55]
	s_cbranch_execz .LBB137_196
; %bb.195:
	v_mov_b32_e32 v22, 0
	ds_read_b64 v[22:23], v22 offset:25480
	s_waitcnt lgkmcnt(0)
	v_mul_f64 v[11:12], v[11:12], v[22:23]
	v_xor_b32_e32 v23, 0x80000000, v12
	v_mov_b32_e32 v22, v11
	ds_write_b64 v18, v[22:23]
.LBB137_196:
	s_or_b64 exec, exec, s[0:1]
	s_waitcnt lgkmcnt(0)
	s_barrier
	s_and_saveexec_b64 s[0:1], s[44:45]
	s_cbranch_execz .LBB137_198
; %bb.197:
	v_mov_b32_e32 v22, 0
	ds_read_b64 v[22:23], v22 offset:25472
	ds_read_b64 v[24:25], v18
	s_waitcnt lgkmcnt(0)
	v_fma_f64 v[11:12], -v[22:23], v[24:25], v[11:12]
.LBB137_198:
	s_or_b64 exec, exec, s[0:1]
	s_barrier
	s_and_saveexec_b64 s[0:1], s[44:45]
	s_cbranch_execz .LBB137_200
; %bb.199:
	v_mov_b32_e32 v22, 0
	ds_read_b64 v[22:23], v22 offset:24960
	s_waitcnt lgkmcnt(0)
	v_mul_f64 v[11:12], v[11:12], v[22:23]
	v_xor_b32_e32 v23, 0x80000000, v12
	v_mov_b32_e32 v22, v11
	ds_write_b64 v18, v[22:23]
.LBB137_200:
	s_or_b64 exec, exec, s[0:1]
	s_waitcnt lgkmcnt(0)
	s_barrier
	s_barrier
	s_and_saveexec_b64 s[0:1], s[18:19]
; %bb.201:
	v_lshlrev_b32_e32 v22, 3, v16
	v_lshl_or_b32 v22, v17, 9, v22
	ds_write_b64 v22, v[11:12] offset:27008
; %bb.202:
	s_or_b64 exec, exec, s[0:1]
	s_waitcnt lgkmcnt(0)
	s_barrier
	s_barrier
	s_and_saveexec_b64 s[0:1], s[56:57]
	s_cbranch_execz .LBB137_204
; %bb.203:
	v_lshlrev_b32_e32 v22, 9, v0
	ds_read_b64 v[11:12], v22 offset:27008
	s_movk_i32 s10, 0xfe08
	v_mad_i32_i24 v23, v0, s10, v22
	s_waitcnt lgkmcnt(0)
	ds_write_b64 v23, v[11:12] offset:24992
	ds_read_b64 v[11:12], v22 offset:27016
	s_waitcnt lgkmcnt(0)
	ds_write_b64 v23, v[11:12] offset:25504
	ds_read_b64 v[11:12], v22 offset:27024
	;; [unrolled: 3-line block ×3, first 2 shown]
	s_waitcnt lgkmcnt(0)
	ds_write_b64 v23, v[11:12] offset:26528
.LBB137_204:
	s_or_b64 exec, exec, s[0:1]
	s_waitcnt lgkmcnt(0)
	s_barrier
	s_and_saveexec_b64 s[0:1], vcc
	s_cbranch_execz .LBB137_206
; %bb.205:
	v_mov_b32_e32 v11, 0
	ds_read_b128 v[22:25], v11 offset:26512
	ds_read_b64 v[11:12], v11 offset:26000
	s_movk_i32 s10, 0x6000
	s_waitcnt lgkmcnt(0)
	v_mul_f64 v[11:12], v[11:12], v[24:25]
	v_mul_f64 v[11:12], v[22:23], v[11:12]
	v_add_u32_e64 v22, s10, 0
	ds_write2_b64 v22, v[11:12], v[11:12] offset0:179 offset1:242
.LBB137_206:
	s_or_b64 exec, exec, s[0:1]
	v_mov_b32_e32 v11, 0
	v_mov_b32_e32 v12, 0
	s_waitcnt lgkmcnt(0)
	s_barrier
	buffer_wbinvl1_vol
	s_and_saveexec_b64 s[0:1], s[2:3]
	s_cbranch_execz .LBB137_210
; %bb.207:
	v_lshlrev_b32_e32 v22, 9, v13
	v_lshlrev_b32_e32 v11, 3, v1
	ds_read_b64 v[11:12], v11 offset:25984
	ds_read_b64 v[22:23], v22 offset:26000
	v_cmp_gt_u32_e64 s[10:11], 2, v15
	s_waitcnt lgkmcnt(0)
	v_fma_f64 v[11:12], v[11:12], v[22:23], 0
	s_and_saveexec_b64 s[14:15], s[10:11]
	s_cbranch_execz .LBB137_209
; %bb.208:
	v_lshlrev_b32_e32 v22, 3, v0
	v_mov_b32_e32 v24, 0
	ds_read_b64 v[22:23], v22 offset:26496
	ds_read_b64 v[24:25], v24 offset:26520
	s_waitcnt lgkmcnt(0)
	v_fma_f64 v[11:12], v[22:23], v[24:25], v[11:12]
.LBB137_209:
	s_or_b64 exec, exec, s[14:15]
.LBB137_210:
	s_or_b64 exec, exec, s[0:1]
	s_and_saveexec_b64 s[0:1], s[40:41]
	s_cbranch_execz .LBB137_212
; %bb.211:
	v_mov_b32_e32 v22, 0
	ds_read_b64 v[22:23], v22 offset:25480
	s_waitcnt lgkmcnt(0)
	v_mul_f64 v[11:12], v[11:12], v[22:23]
	v_xor_b32_e32 v23, 0x80000000, v12
	v_mov_b32_e32 v22, v11
	ds_write_b64 v14, v[22:23]
.LBB137_212:
	s_or_b64 exec, exec, s[0:1]
	s_waitcnt lgkmcnt(0)
	s_barrier
	s_and_saveexec_b64 s[0:1], s[38:39]
	s_cbranch_execz .LBB137_214
; %bb.213:
	v_mov_b32_e32 v22, 0
	ds_read_b64 v[22:23], v22 offset:25472
	ds_read_b64 v[24:25], v14
	s_waitcnt lgkmcnt(0)
	v_fma_f64 v[11:12], -v[22:23], v[24:25], v[11:12]
.LBB137_214:
	s_or_b64 exec, exec, s[0:1]
	s_barrier
	s_and_saveexec_b64 s[0:1], s[38:39]
	s_cbranch_execz .LBB137_216
; %bb.215:
	v_mov_b32_e32 v22, 0
	ds_read_b64 v[22:23], v22 offset:24960
	s_waitcnt lgkmcnt(0)
	v_mul_f64 v[11:12], v[11:12], v[22:23]
	v_xor_b32_e32 v23, 0x80000000, v12
	v_mov_b32_e32 v22, v11
	ds_write_b64 v14, v[22:23]
.LBB137_216:
	s_or_b64 exec, exec, s[0:1]
	s_waitcnt lgkmcnt(0)
	s_barrier
	s_barrier
	s_and_saveexec_b64 s[0:1], s[2:3]
; %bb.217:
	v_lshlrev_b32_e32 v22, 3, v1
	v_lshl_or_b32 v22, v13, 9, v22
	ds_write_b64 v22, v[11:12] offset:25984
; %bb.218:
	s_or_b64 exec, exec, s[0:1]
	s_waitcnt lgkmcnt(0)
	s_barrier
	s_barrier
	s_and_saveexec_b64 s[0:1], s[42:43]
	s_cbranch_execz .LBB137_220
; %bb.219:
	v_lshlrev_b32_e32 v22, 3, v0
	s_movk_i32 s10, 0x1f8
	v_mad_u32_u24 v23, v0, s10, v22
	ds_read_b64 v[11:12], v23 offset:25984
	s_waitcnt lgkmcnt(0)
	ds_write_b64 v22, v[11:12] offset:24976
	ds_read_b64 v[11:12], v23 offset:25992
	s_waitcnt lgkmcnt(0)
	ds_write_b64 v22, v[11:12] offset:25488
.LBB137_220:
	s_or_b64 exec, exec, s[0:1]
	s_waitcnt lgkmcnt(0)
	s_barrier
	s_and_saveexec_b64 s[0:1], vcc
	s_cbranch_execz .LBB137_222
; %bb.221:
	v_mov_b32_e32 v11, 0
	ds_read_b128 v[22:25], v11 offset:25472
	ds_read_b64 v[11:12], v11 offset:24960
	s_movk_i32 s10, 0x6000
	s_waitcnt lgkmcnt(0)
	v_mul_f64 v[11:12], v[11:12], v[24:25]
	v_mul_f64 v[11:12], v[22:23], v[11:12]
	v_add_u32_e64 v22, s10, 0
	ds_write2_b64 v22, v[11:12], v[11:12] offset0:49 offset1:112
.LBB137_222:
	s_or_b64 exec, exec, s[0:1]
	s_movk_i32 s0, 0xff
	v_lshrrev_b32_e32 v24, 4, v15
	v_cmp_lt_u32_e64 s[14:15], s0, v15
	s_movk_i32 s0, 0x100
	v_mov_b32_e32 v11, 0
	v_and_b32_e32 v22, 15, v0
	v_sub_u32_e32 v23, 15, v24
	v_mov_b32_e32 v12, 0
	v_cmp_gt_u32_e64 s[10:11], s0, v15
	s_waitcnt lgkmcnt(0)
	s_barrier
	buffer_wbinvl1_vol
	s_and_saveexec_b64 s[0:1], s[10:11]
	s_cbranch_execz .LBB137_250
; %bb.223:
	v_lshlrev_b32_e32 v26, 3, v22
	v_lshlrev_b32_e32 v25, 9, v23
	ds_read_b64 v[11:12], v26 offset:24832
	ds_read_b64 v[27:28], v25 offset:24960
	s_movk_i32 s16, 0xf0
	v_cmp_gt_u32_e64 s[16:17], s16, v15
	s_waitcnt lgkmcnt(0)
	v_fma_f64 v[11:12], v[11:12], v[27:28], 0
	s_and_saveexec_b64 s[20:21], s[16:17]
	s_cbranch_execz .LBB137_225
; %bb.224:
	ds_read_b64 v[27:28], v26 offset:25344
	ds_read_b64 v[29:30], v25 offset:24968
	s_waitcnt lgkmcnt(0)
	v_fma_f64 v[11:12], v[27:28], v[29:30], v[11:12]
.LBB137_225:
	s_or_b64 exec, exec, s[20:21]
	s_movk_i32 s16, 0xe0
	v_cmp_gt_u32_e64 s[16:17], s16, v15
	s_and_saveexec_b64 s[20:21], s[16:17]
	s_cbranch_execz .LBB137_227
; %bb.226:
	ds_read_b64 v[27:28], v26 offset:25856
	ds_read_b64 v[29:30], v25 offset:24976
	s_waitcnt lgkmcnt(0)
	v_fma_f64 v[11:12], v[27:28], v[29:30], v[11:12]
.LBB137_227:
	s_or_b64 exec, exec, s[20:21]
	s_movk_i32 s16, 0xd0
	v_cmp_gt_u32_e64 s[16:17], s16, v15
	s_and_saveexec_b64 s[20:21], s[16:17]
	s_cbranch_execz .LBB137_229
; %bb.228:
	ds_read_b64 v[27:28], v26 offset:26368
	ds_read_b64 v[29:30], v25 offset:24984
	s_waitcnt lgkmcnt(0)
	v_fma_f64 v[11:12], v[27:28], v[29:30], v[11:12]
.LBB137_229:
	s_or_b64 exec, exec, s[20:21]
	s_movk_i32 s16, 0xc0
	v_cmp_gt_u32_e64 s[16:17], s16, v15
	s_and_saveexec_b64 s[20:21], s[16:17]
	s_cbranch_execz .LBB137_231
; %bb.230:
	ds_read_b64 v[27:28], v26 offset:26880
	ds_read_b64 v[29:30], v25 offset:24992
	s_waitcnt lgkmcnt(0)
	v_fma_f64 v[11:12], v[27:28], v[29:30], v[11:12]
.LBB137_231:
	s_or_b64 exec, exec, s[20:21]
	s_movk_i32 s16, 0xb0
	v_cmp_gt_u32_e64 s[16:17], s16, v15
	s_and_saveexec_b64 s[20:21], s[16:17]
	s_cbranch_execz .LBB137_233
; %bb.232:
	ds_read_b64 v[27:28], v26 offset:27392
	ds_read_b64 v[29:30], v25 offset:25000
	s_waitcnt lgkmcnt(0)
	v_fma_f64 v[11:12], v[27:28], v[29:30], v[11:12]
.LBB137_233:
	s_or_b64 exec, exec, s[20:21]
	s_movk_i32 s16, 0xa0
	v_cmp_gt_u32_e64 s[16:17], s16, v15
	s_and_saveexec_b64 s[20:21], s[16:17]
	s_cbranch_execz .LBB137_235
; %bb.234:
	ds_read_b64 v[27:28], v26 offset:27904
	ds_read_b64 v[29:30], v25 offset:25008
	s_waitcnt lgkmcnt(0)
	v_fma_f64 v[11:12], v[27:28], v[29:30], v[11:12]
.LBB137_235:
	s_or_b64 exec, exec, s[20:21]
	s_movk_i32 s16, 0x90
	v_cmp_gt_u32_e64 s[16:17], s16, v15
	s_and_saveexec_b64 s[20:21], s[16:17]
	s_cbranch_execz .LBB137_237
; %bb.236:
	ds_read_b64 v[27:28], v26 offset:28416
	ds_read_b64 v[29:30], v25 offset:25016
	s_waitcnt lgkmcnt(0)
	v_fma_f64 v[11:12], v[27:28], v[29:30], v[11:12]
.LBB137_237:
	s_or_b64 exec, exec, s[20:21]
	s_movk_i32 s16, 0x80
	v_cmp_gt_u32_e64 s[16:17], s16, v15
	s_and_saveexec_b64 s[20:21], s[16:17]
	s_cbranch_execz .LBB137_239
; %bb.238:
	ds_read_b64 v[27:28], v26 offset:28928
	ds_read_b64 v[29:30], v25 offset:25024
	s_waitcnt lgkmcnt(0)
	v_fma_f64 v[11:12], v[27:28], v[29:30], v[11:12]
.LBB137_239:
	s_or_b64 exec, exec, s[20:21]
	s_movk_i32 s16, 0x70
	v_cmp_gt_u32_e64 s[16:17], s16, v15
	s_and_saveexec_b64 s[20:21], s[16:17]
	s_cbranch_execz .LBB137_241
; %bb.240:
	ds_read_b64 v[27:28], v26 offset:29440
	ds_read_b64 v[29:30], v25 offset:25032
	s_waitcnt lgkmcnt(0)
	v_fma_f64 v[11:12], v[27:28], v[29:30], v[11:12]
.LBB137_241:
	s_or_b64 exec, exec, s[20:21]
	s_movk_i32 s16, 0x60
	v_cmp_gt_u32_e64 s[16:17], s16, v15
	s_and_saveexec_b64 s[20:21], s[16:17]
	s_cbranch_execz .LBB137_243
; %bb.242:
	ds_read_b64 v[27:28], v26 offset:29952
	ds_read_b64 v[29:30], v25 offset:25040
	s_waitcnt lgkmcnt(0)
	v_fma_f64 v[11:12], v[27:28], v[29:30], v[11:12]
.LBB137_243:
	s_or_b64 exec, exec, s[20:21]
	s_movk_i32 s16, 0x50
	v_cmp_gt_u32_e64 s[16:17], s16, v15
	s_and_saveexec_b64 s[20:21], s[16:17]
	s_cbranch_execnz .LBB137_1108
; %bb.244:
	s_or_b64 exec, exec, s[20:21]
	s_and_saveexec_b64 s[16:17], s[8:9]
	s_cbranch_execnz .LBB137_1109
.LBB137_245:
	s_or_b64 exec, exec, s[16:17]
	v_cmp_gt_u32_e64 s[16:17], 48, v15
	s_and_saveexec_b64 s[20:21], s[16:17]
	s_cbranch_execnz .LBB137_1110
.LBB137_246:
	s_or_b64 exec, exec, s[20:21]
	v_cmp_gt_u32_e64 s[16:17], 32, v15
	s_and_saveexec_b64 s[20:21], s[16:17]
	s_cbranch_execnz .LBB137_1111
.LBB137_247:
	s_or_b64 exec, exec, s[20:21]
	v_cmp_gt_u32_e64 s[16:17], 16, v15
	s_and_saveexec_b64 s[20:21], s[16:17]
	s_cbranch_execz .LBB137_249
.LBB137_248:
	v_lshlrev_b32_e32 v25, 3, v0
	v_mov_b32_e32 v27, 0
	ds_read_b64 v[25:26], v25 offset:32512
	ds_read_b64 v[27:28], v27 offset:32760
	s_waitcnt lgkmcnt(0)
	v_fma_f64 v[11:12], v[25:26], v[27:28], v[11:12]
.LBB137_249:
	s_or_b64 exec, exec, s[20:21]
.LBB137_250:
	s_or_b64 exec, exec, s[0:1]
	v_mov_b32_e32 v25, 0x8000
	v_lshl_add_u32 v24, v24, 3, v25
	v_cmp_eq_u32_e64 s[16:17], 15, v22
	s_xor_b64 s[20:21], s[14:15], -1
	s_and_b64 s[14:15], s[16:17], s[20:21]
	s_mov_b64 s[0:1], exec
	v_writelane_b32 v36, s14, 5
	v_writelane_b32 v36, s15, 6
	s_and_b64 s[14:15], s[0:1], s[14:15]
	s_mov_b64 exec, s[14:15]
	s_cbranch_execz .LBB137_252
; %bb.251:
	v_mov_b32_e32 v25, 0
	ds_read_b64 v[25:26], v25 offset:24440
	s_waitcnt lgkmcnt(0)
	v_mul_f64 v[11:12], v[11:12], v[25:26]
	v_xor_b32_e32 v26, 0x80000000, v12
	v_mov_b32_e32 v25, v11
	ds_write_b64 v24, v[25:26]
.LBB137_252:
	s_or_b64 exec, exec, s[0:1]
	v_cmp_ne_u32_e64 s[14:15], 15, v22
	s_waitcnt lgkmcnt(0)
	s_barrier
	s_and_b64 s[14:15], s[14:15], s[20:21]
	s_mov_b64 s[0:1], exec
	v_writelane_b32 v36, s14, 7
	v_writelane_b32 v36, s15, 8
	s_and_b64 s[14:15], s[0:1], s[14:15]
	s_mov_b64 exec, s[14:15]
	s_cbranch_execz .LBB137_254
; %bb.253:
	v_lshlrev_b32_e32 v25, 3, v22
	ds_read_b64 v[25:26], v25 offset:24320
	ds_read_b64 v[27:28], v24
	s_waitcnt lgkmcnt(0)
	v_fma_f64 v[11:12], -v[25:26], v[27:28], v[11:12]
.LBB137_254:
	s_or_b64 exec, exec, s[0:1]
	v_cmp_eq_u32_e64 s[14:15], 14, v22
	s_barrier
	s_and_b64 s[14:15], s[14:15], s[20:21]
	s_mov_b64 s[0:1], exec
	v_writelane_b32 v36, s14, 9
	v_writelane_b32 v36, s15, 10
	s_and_b64 s[14:15], s[0:1], s[14:15]
	s_mov_b64 exec, s[14:15]
	s_cbranch_execz .LBB137_256
; %bb.255:
	v_mov_b32_e32 v25, 0
	ds_read_b64 v[25:26], v25 offset:23920
	s_waitcnt lgkmcnt(0)
	v_mul_f64 v[11:12], v[11:12], v[25:26]
	v_xor_b32_e32 v26, 0x80000000, v12
	v_mov_b32_e32 v25, v11
	ds_write_b64 v24, v[25:26]
.LBB137_256:
	s_or_b64 exec, exec, s[0:1]
	v_cmp_gt_u32_e64 s[14:15], 14, v22
	s_waitcnt lgkmcnt(0)
	s_barrier
	s_and_b64 s[14:15], s[14:15], s[20:21]
	s_mov_b64 s[0:1], exec
	v_writelane_b32 v36, s14, 11
	v_writelane_b32 v36, s15, 12
	s_and_b64 s[14:15], s[0:1], s[14:15]
	s_mov_b64 exec, s[14:15]
	s_cbranch_execz .LBB137_258
; %bb.257:
	v_lshlrev_b32_e32 v25, 3, v22
	ds_read_b64 v[25:26], v25 offset:23808
	ds_read_b64 v[27:28], v24
	s_waitcnt lgkmcnt(0)
	v_fma_f64 v[11:12], -v[25:26], v[27:28], v[11:12]
.LBB137_258:
	s_or_b64 exec, exec, s[0:1]
	v_cmp_eq_u32_e64 s[14:15], 13, v22
	s_barrier
	s_and_b64 s[14:15], s[14:15], s[20:21]
	s_mov_b64 s[0:1], exec
	v_writelane_b32 v36, s14, 13
	v_writelane_b32 v36, s15, 14
	s_and_b64 s[14:15], s[0:1], s[14:15]
	s_mov_b64 exec, s[14:15]
	s_cbranch_execz .LBB137_260
; %bb.259:
	v_mov_b32_e32 v25, 0
	ds_read_b64 v[25:26], v25 offset:23400
	s_waitcnt lgkmcnt(0)
	v_mul_f64 v[11:12], v[11:12], v[25:26]
	v_xor_b32_e32 v26, 0x80000000, v12
	v_mov_b32_e32 v25, v11
	ds_write_b64 v24, v[25:26]
.LBB137_260:
	s_or_b64 exec, exec, s[0:1]
	v_cmp_gt_u32_e64 s[14:15], 13, v22
	;; [unrolled: 37-line block ×13, first 2 shown]
	s_waitcnt lgkmcnt(0)
	s_barrier
	s_and_b64 s[14:15], s[14:15], s[20:21]
	s_mov_b64 s[0:1], exec
	v_writelane_b32 v36, s14, 59
	v_writelane_b32 v36, s15, 60
	s_and_b64 s[14:15], s[0:1], s[14:15]
	s_mov_b64 exec, s[14:15]
	s_cbranch_execz .LBB137_306
; %bb.305:
	v_lshlrev_b32_e32 v25, 3, v22
	ds_read_b64 v[25:26], v25 offset:17664
	ds_read_b64 v[27:28], v24
	s_waitcnt lgkmcnt(0)
	v_fma_f64 v[11:12], -v[25:26], v[27:28], v[11:12]
.LBB137_306:
	s_or_b64 exec, exec, s[0:1]
	v_cmp_eq_u32_e64 s[14:15], 1, v22
	s_barrier
	s_and_b64 s[0:1], s[14:15], s[20:21]
	s_mov_b64 s[14:15], exec
	v_writelane_b32 v36, s0, 61
	v_writelane_b32 v36, s1, 62
	s_and_b64 s[0:1], s[14:15], s[0:1]
	s_mov_b64 exec, s[0:1]
	s_cbranch_execz .LBB137_308
; %bb.307:
	v_mov_b32_e32 v25, 0
	ds_read_b64 v[25:26], v25 offset:17160
	s_waitcnt lgkmcnt(0)
	v_mul_f64 v[11:12], v[11:12], v[25:26]
	v_xor_b32_e32 v26, 0x80000000, v12
	v_mov_b32_e32 v25, v11
	ds_write_b64 v24, v[25:26]
.LBB137_308:
	s_or_b64 exec, exec, s[14:15]
	v_cmp_eq_u32_e64 s[14:15], 0, v22
	s_and_b64 s[94:95], s[14:15], s[20:21]
	s_waitcnt lgkmcnt(0)
	s_barrier
	s_and_saveexec_b64 s[0:1], s[94:95]
	s_cbranch_execz .LBB137_310
; %bb.309:
	v_mov_b32_e32 v25, 0
	ds_read_b64 v[25:26], v25 offset:17152
	ds_read_b64 v[27:28], v24
	s_waitcnt lgkmcnt(0)
	v_fma_f64 v[11:12], -v[25:26], v[27:28], v[11:12]
.LBB137_310:
	s_or_b64 exec, exec, s[0:1]
	s_barrier
	s_and_saveexec_b64 s[14:15], s[94:95]
	s_cbranch_execz .LBB137_312
; %bb.311:
	v_mov_b32_e32 v25, 0
	ds_read_b64 v[25:26], v25 offset:16640
	s_waitcnt lgkmcnt(0)
	v_mul_f64 v[11:12], v[11:12], v[25:26]
	v_xor_b32_e32 v26, 0x80000000, v12
	v_mov_b32_e32 v25, v11
	ds_write_b64 v24, v[25:26]
.LBB137_312:
	s_or_b64 exec, exec, s[14:15]
	s_waitcnt lgkmcnt(0)
	s_barrier
	s_barrier
	s_and_saveexec_b64 s[0:1], s[10:11]
; %bb.313:
	v_lshlrev_b32_e32 v25, 3, v22
	v_lshl_or_b32 v25, v23, 9, v25
	ds_write_b64 v25, v[11:12] offset:24832
; %bb.314:
	s_or_b64 exec, exec, s[0:1]
	v_cmp_gt_u32_e64 s[14:15], 16, v0
	s_and_b64 s[90:91], s[12:13], s[14:15]
	s_waitcnt lgkmcnt(0)
	s_barrier
	s_barrier
	s_and_saveexec_b64 s[14:15], s[90:91]
	s_cbranch_execz .LBB137_316
; %bb.315:
	v_lshlrev_b32_e32 v25, 9, v0
	ds_read_b64 v[11:12], v25 offset:24832
	s_movk_i32 s0, 0xfe08
	v_mad_i32_i24 v26, v0, s0, v25
	s_waitcnt lgkmcnt(0)
	ds_write_b64 v26, v[11:12] offset:16768
	ds_read_b64 v[11:12], v25 offset:24840
	s_waitcnt lgkmcnt(0)
	ds_write_b64 v26, v[11:12] offset:17280
	ds_read_b64 v[11:12], v25 offset:24848
	;; [unrolled: 3-line block ×15, first 2 shown]
	s_waitcnt lgkmcnt(0)
	ds_write_b64 v26, v[11:12] offset:24448
.LBB137_316:
	s_or_b64 exec, exec, s[14:15]
	s_waitcnt lgkmcnt(0)
	s_barrier
	s_and_saveexec_b64 s[14:15], vcc
	s_cbranch_execz .LBB137_318
; %bb.317:
	v_mov_b32_e32 v11, 0
	ds_read_b128 v[25:28], v11 offset:24432
	ds_read_b64 v[11:12], v11 offset:23920
	s_movk_i32 s0, 0x5800
	s_waitcnt lgkmcnt(0)
	v_mul_f64 v[11:12], v[11:12], v[27:28]
	v_mul_f64 v[11:12], v[25:26], v[11:12]
	v_add_u32_e64 v25, s0, 0
	ds_write2_b64 v25, v[11:12], v[11:12] offset0:175 offset1:238
.LBB137_318:
	s_or_b64 exec, exec, s[14:15]
	v_mov_b32_e32 v11, 0
	v_mov_b32_e32 v12, 0
	s_waitcnt lgkmcnt(0)
	s_barrier
	buffer_wbinvl1_vol
	s_and_saveexec_b64 s[16:17], s[2:3]
	s_cbranch_execz .LBB137_322
; %bb.319:
	v_lshlrev_b32_e32 v25, 9, v13
	v_lshlrev_b32_e32 v11, 3, v1
	ds_read_b64 v[11:12], v11 offset:23904
	ds_read_b64 v[25:26], v25 offset:23920
	v_cmp_gt_u32_e64 s[14:15], 2, v15
	s_waitcnt lgkmcnt(0)
	v_fma_f64 v[11:12], v[11:12], v[25:26], 0
	s_and_saveexec_b64 s[20:21], s[14:15]
	s_cbranch_execz .LBB137_321
; %bb.320:
	v_lshlrev_b32_e32 v25, 3, v0
	v_mov_b32_e32 v27, 0
	ds_read_b64 v[25:26], v25 offset:24416
	ds_read_b64 v[27:28], v27 offset:24440
	s_waitcnt lgkmcnt(0)
	v_fma_f64 v[11:12], v[25:26], v[27:28], v[11:12]
.LBB137_321:
	s_or_b64 exec, exec, s[20:21]
.LBB137_322:
	s_or_b64 exec, exec, s[16:17]
	s_and_saveexec_b64 s[14:15], s[40:41]
	s_cbranch_execz .LBB137_324
; %bb.323:
	v_mov_b32_e32 v25, 0
	ds_read_b64 v[25:26], v25 offset:23400
	s_waitcnt lgkmcnt(0)
	v_mul_f64 v[11:12], v[11:12], v[25:26]
	v_xor_b32_e32 v26, 0x80000000, v12
	v_mov_b32_e32 v25, v11
	ds_write_b64 v14, v[25:26]
.LBB137_324:
	s_or_b64 exec, exec, s[14:15]
	s_waitcnt lgkmcnt(0)
	s_barrier
	s_and_saveexec_b64 s[0:1], s[38:39]
	s_cbranch_execz .LBB137_326
; %bb.325:
	v_mov_b32_e32 v25, 0
	ds_read_b64 v[25:26], v25 offset:23392
	ds_read_b64 v[27:28], v14
	s_waitcnt lgkmcnt(0)
	v_fma_f64 v[11:12], -v[25:26], v[27:28], v[11:12]
.LBB137_326:
	s_or_b64 exec, exec, s[0:1]
	s_barrier
	s_and_saveexec_b64 s[14:15], s[38:39]
	s_cbranch_execz .LBB137_328
; %bb.327:
	v_mov_b32_e32 v25, 0
	ds_read_b64 v[25:26], v25 offset:22880
	s_waitcnt lgkmcnt(0)
	v_mul_f64 v[11:12], v[11:12], v[25:26]
	v_xor_b32_e32 v26, 0x80000000, v12
	v_mov_b32_e32 v25, v11
	ds_write_b64 v14, v[25:26]
.LBB137_328:
	s_or_b64 exec, exec, s[14:15]
	s_waitcnt lgkmcnt(0)
	s_barrier
	s_barrier
	s_and_saveexec_b64 s[0:1], s[2:3]
; %bb.329:
	v_lshlrev_b32_e32 v25, 3, v1
	v_lshl_or_b32 v25, v13, 9, v25
	ds_write_b64 v25, v[11:12] offset:23904
; %bb.330:
	s_or_b64 exec, exec, s[0:1]
	s_waitcnt lgkmcnt(0)
	s_barrier
	s_barrier
	s_and_saveexec_b64 s[14:15], s[42:43]
	s_cbranch_execz .LBB137_332
; %bb.331:
	v_lshlrev_b32_e32 v25, 3, v0
	s_movk_i32 s0, 0x1f8
	v_mad_u32_u24 v26, v0, s0, v25
	ds_read_b64 v[11:12], v26 offset:23904
	s_waitcnt lgkmcnt(0)
	ds_write_b64 v25, v[11:12] offset:22896
	ds_read_b64 v[11:12], v26 offset:23912
	s_waitcnt lgkmcnt(0)
	ds_write_b64 v25, v[11:12] offset:23408
.LBB137_332:
	s_or_b64 exec, exec, s[14:15]
	s_waitcnt lgkmcnt(0)
	s_barrier
	s_and_saveexec_b64 s[14:15], vcc
	s_cbranch_execz .LBB137_334
; %bb.333:
	v_mov_b32_e32 v11, 0
	ds_read_b128 v[25:28], v11 offset:23392
	ds_read_b64 v[11:12], v11 offset:22880
	s_movk_i32 s0, 0x5800
	s_waitcnt lgkmcnt(0)
	v_mul_f64 v[11:12], v[11:12], v[27:28]
	v_mul_f64 v[11:12], v[25:26], v[11:12]
	v_add_u32_e64 v25, s0, 0
	ds_write2_b64 v25, v[11:12], v[11:12] offset0:45 offset1:108
.LBB137_334:
	s_or_b64 exec, exec, s[14:15]
	v_mov_b32_e32 v11, 0
	v_mov_b32_e32 v12, 0
	s_waitcnt lgkmcnt(0)
	s_barrier
	buffer_wbinvl1_vol
	s_and_saveexec_b64 s[16:17], s[18:19]
	s_cbranch_execz .LBB137_340
; %bb.335:
	v_lshlrev_b32_e32 v26, 3, v16
	v_lshlrev_b32_e32 v25, 9, v17
	ds_read_b64 v[11:12], v26 offset:22848
	ds_read_b64 v[27:28], v25 offset:22880
	v_cmp_gt_u32_e64 s[14:15], 12, v15
	s_waitcnt lgkmcnt(0)
	v_fma_f64 v[11:12], v[11:12], v[27:28], 0
	s_and_saveexec_b64 s[0:1], s[14:15]
	s_cbranch_execnz .LBB137_1112
; %bb.336:
	s_or_b64 exec, exec, s[0:1]
	v_cmp_gt_u32_e64 s[14:15], 8, v15
	s_and_saveexec_b64 s[0:1], s[14:15]
	s_cbranch_execnz .LBB137_1113
.LBB137_337:
	s_or_b64 exec, exec, s[0:1]
	v_cmp_gt_u32_e64 s[14:15], 4, v15
	s_and_saveexec_b64 s[20:21], s[14:15]
	s_cbranch_execz .LBB137_339
.LBB137_338:
	v_lshlrev_b32_e32 v25, 3, v0
	v_mov_b32_e32 v27, 0
	ds_read_b64 v[25:26], v25 offset:24384
	ds_read_b64 v[27:28], v27 offset:24440
	s_waitcnt lgkmcnt(0)
	v_fma_f64 v[11:12], v[25:26], v[27:28], v[11:12]
.LBB137_339:
	s_or_b64 exec, exec, s[20:21]
.LBB137_340:
	s_or_b64 exec, exec, s[16:17]
	s_and_saveexec_b64 s[14:15], s[46:47]
	s_cbranch_execz .LBB137_342
; %bb.341:
	v_mov_b32_e32 v25, 0
	ds_read_b64 v[25:26], v25 offset:22360
	s_waitcnt lgkmcnt(0)
	v_mul_f64 v[11:12], v[11:12], v[25:26]
	v_xor_b32_e32 v26, 0x80000000, v12
	v_mov_b32_e32 v25, v11
	ds_write_b64 v18, v[25:26]
.LBB137_342:
	s_or_b64 exec, exec, s[14:15]
	s_waitcnt lgkmcnt(0)
	s_barrier
	s_and_saveexec_b64 s[0:1], s[48:49]
	s_cbranch_execz .LBB137_344
; %bb.343:
	v_lshlrev_b32_e32 v25, 3, v16
	ds_read_b64 v[25:26], v25 offset:22336
	ds_read_b64 v[27:28], v18
	s_waitcnt lgkmcnt(0)
	v_fma_f64 v[11:12], -v[25:26], v[27:28], v[11:12]
.LBB137_344:
	s_or_b64 exec, exec, s[0:1]
	s_barrier
	s_and_saveexec_b64 s[14:15], s[50:51]
	s_cbranch_execz .LBB137_346
; %bb.345:
	v_mov_b32_e32 v25, 0
	ds_read_b64 v[25:26], v25 offset:21840
	s_waitcnt lgkmcnt(0)
	v_mul_f64 v[11:12], v[11:12], v[25:26]
	v_xor_b32_e32 v26, 0x80000000, v12
	v_mov_b32_e32 v25, v11
	ds_write_b64 v18, v[25:26]
.LBB137_346:
	s_or_b64 exec, exec, s[14:15]
	s_waitcnt lgkmcnt(0)
	s_barrier
	s_and_saveexec_b64 s[0:1], s[52:53]
	s_cbranch_execz .LBB137_348
; %bb.347:
	v_lshlrev_b32_e32 v25, 3, v16
	ds_read_b64 v[25:26], v25 offset:21824
	ds_read_b64 v[27:28], v18
	s_waitcnt lgkmcnt(0)
	v_fma_f64 v[11:12], -v[25:26], v[27:28], v[11:12]
.LBB137_348:
	s_or_b64 exec, exec, s[0:1]
	s_barrier
	s_and_saveexec_b64 s[14:15], s[54:55]
	s_cbranch_execz .LBB137_350
; %bb.349:
	v_mov_b32_e32 v25, 0
	ds_read_b64 v[25:26], v25 offset:21320
	s_waitcnt lgkmcnt(0)
	v_mul_f64 v[11:12], v[11:12], v[25:26]
	v_xor_b32_e32 v26, 0x80000000, v12
	v_mov_b32_e32 v25, v11
	ds_write_b64 v18, v[25:26]
.LBB137_350:
	s_or_b64 exec, exec, s[14:15]
	s_waitcnt lgkmcnt(0)
	s_barrier
	s_and_saveexec_b64 s[0:1], s[44:45]
	s_cbranch_execz .LBB137_352
; %bb.351:
	v_mov_b32_e32 v25, 0
	ds_read_b64 v[25:26], v25 offset:21312
	ds_read_b64 v[27:28], v18
	s_waitcnt lgkmcnt(0)
	v_fma_f64 v[11:12], -v[25:26], v[27:28], v[11:12]
.LBB137_352:
	s_or_b64 exec, exec, s[0:1]
	s_barrier
	s_and_saveexec_b64 s[14:15], s[44:45]
	s_cbranch_execz .LBB137_354
; %bb.353:
	v_mov_b32_e32 v25, 0
	ds_read_b64 v[25:26], v25 offset:20800
	s_waitcnt lgkmcnt(0)
	v_mul_f64 v[11:12], v[11:12], v[25:26]
	v_xor_b32_e32 v26, 0x80000000, v12
	v_mov_b32_e32 v25, v11
	ds_write_b64 v18, v[25:26]
.LBB137_354:
	s_or_b64 exec, exec, s[14:15]
	s_waitcnt lgkmcnt(0)
	s_barrier
	s_barrier
	s_and_saveexec_b64 s[0:1], s[18:19]
; %bb.355:
	v_lshlrev_b32_e32 v25, 3, v16
	v_lshl_or_b32 v25, v17, 9, v25
	ds_write_b64 v25, v[11:12] offset:22848
; %bb.356:
	s_or_b64 exec, exec, s[0:1]
	s_waitcnt lgkmcnt(0)
	s_barrier
	s_barrier
	s_and_saveexec_b64 s[14:15], s[56:57]
	s_cbranch_execz .LBB137_358
; %bb.357:
	v_lshlrev_b32_e32 v25, 9, v0
	ds_read_b64 v[11:12], v25 offset:22848
	s_movk_i32 s0, 0xfe08
	v_mad_i32_i24 v26, v0, s0, v25
	s_waitcnt lgkmcnt(0)
	ds_write_b64 v26, v[11:12] offset:20832
	ds_read_b64 v[11:12], v25 offset:22856
	s_waitcnt lgkmcnt(0)
	ds_write_b64 v26, v[11:12] offset:21344
	ds_read_b64 v[11:12], v25 offset:22864
	;; [unrolled: 3-line block ×3, first 2 shown]
	s_waitcnt lgkmcnt(0)
	ds_write_b64 v26, v[11:12] offset:22368
.LBB137_358:
	s_or_b64 exec, exec, s[14:15]
	s_waitcnt lgkmcnt(0)
	s_barrier
	s_and_saveexec_b64 s[14:15], vcc
	s_cbranch_execz .LBB137_360
; %bb.359:
	v_mov_b32_e32 v11, 0
	ds_read_b128 v[25:28], v11 offset:22352
	ds_read_b64 v[11:12], v11 offset:21840
	s_movk_i32 s0, 0x5000
	s_waitcnt lgkmcnt(0)
	v_mul_f64 v[11:12], v[11:12], v[27:28]
	v_mul_f64 v[11:12], v[25:26], v[11:12]
	v_add_u32_e64 v25, s0, 0
	ds_write2_b64 v25, v[11:12], v[11:12] offset0:171 offset1:234
.LBB137_360:
	s_or_b64 exec, exec, s[14:15]
	v_mov_b32_e32 v11, 0
	v_mov_b32_e32 v12, 0
	s_waitcnt lgkmcnt(0)
	s_barrier
	buffer_wbinvl1_vol
	s_and_saveexec_b64 s[16:17], s[2:3]
	s_cbranch_execz .LBB137_364
; %bb.361:
	v_lshlrev_b32_e32 v25, 9, v13
	v_lshlrev_b32_e32 v11, 3, v1
	ds_read_b64 v[11:12], v11 offset:21824
	ds_read_b64 v[25:26], v25 offset:21840
	v_cmp_gt_u32_e64 s[14:15], 2, v15
	s_waitcnt lgkmcnt(0)
	v_fma_f64 v[11:12], v[11:12], v[25:26], 0
	s_and_saveexec_b64 s[20:21], s[14:15]
	s_cbranch_execz .LBB137_363
; %bb.362:
	v_lshlrev_b32_e32 v25, 3, v0
	v_mov_b32_e32 v27, 0
	ds_read_b64 v[25:26], v25 offset:22336
	ds_read_b64 v[27:28], v27 offset:22360
	s_waitcnt lgkmcnt(0)
	v_fma_f64 v[11:12], v[25:26], v[27:28], v[11:12]
.LBB137_363:
	s_or_b64 exec, exec, s[20:21]
.LBB137_364:
	s_or_b64 exec, exec, s[16:17]
	s_and_saveexec_b64 s[14:15], s[40:41]
	s_cbranch_execz .LBB137_366
; %bb.365:
	v_mov_b32_e32 v25, 0
	ds_read_b64 v[25:26], v25 offset:21320
	s_waitcnt lgkmcnt(0)
	v_mul_f64 v[11:12], v[11:12], v[25:26]
	v_xor_b32_e32 v26, 0x80000000, v12
	v_mov_b32_e32 v25, v11
	ds_write_b64 v14, v[25:26]
.LBB137_366:
	s_or_b64 exec, exec, s[14:15]
	s_waitcnt lgkmcnt(0)
	s_barrier
	s_and_saveexec_b64 s[0:1], s[38:39]
	s_cbranch_execz .LBB137_368
; %bb.367:
	v_mov_b32_e32 v25, 0
	ds_read_b64 v[25:26], v25 offset:21312
	ds_read_b64 v[27:28], v14
	s_waitcnt lgkmcnt(0)
	v_fma_f64 v[11:12], -v[25:26], v[27:28], v[11:12]
.LBB137_368:
	s_or_b64 exec, exec, s[0:1]
	s_barrier
	s_and_saveexec_b64 s[14:15], s[38:39]
	s_cbranch_execz .LBB137_370
; %bb.369:
	v_mov_b32_e32 v25, 0
	ds_read_b64 v[25:26], v25 offset:20800
	s_waitcnt lgkmcnt(0)
	v_mul_f64 v[11:12], v[11:12], v[25:26]
	v_xor_b32_e32 v26, 0x80000000, v12
	v_mov_b32_e32 v25, v11
	ds_write_b64 v14, v[25:26]
.LBB137_370:
	s_or_b64 exec, exec, s[14:15]
	s_waitcnt lgkmcnt(0)
	s_barrier
	s_barrier
	s_and_saveexec_b64 s[0:1], s[2:3]
; %bb.371:
	v_lshlrev_b32_e32 v25, 3, v1
	v_lshl_or_b32 v25, v13, 9, v25
	ds_write_b64 v25, v[11:12] offset:21824
; %bb.372:
	s_or_b64 exec, exec, s[0:1]
	s_waitcnt lgkmcnt(0)
	s_barrier
	s_barrier
	s_and_saveexec_b64 s[14:15], s[42:43]
	s_cbranch_execz .LBB137_374
; %bb.373:
	v_lshlrev_b32_e32 v25, 3, v0
	s_movk_i32 s0, 0x1f8
	v_mad_u32_u24 v26, v0, s0, v25
	ds_read_b64 v[11:12], v26 offset:21824
	s_waitcnt lgkmcnt(0)
	ds_write_b64 v25, v[11:12] offset:20816
	ds_read_b64 v[11:12], v26 offset:21832
	s_waitcnt lgkmcnt(0)
	ds_write_b64 v25, v[11:12] offset:21328
.LBB137_374:
	s_or_b64 exec, exec, s[14:15]
	s_waitcnt lgkmcnt(0)
	s_barrier
	s_and_saveexec_b64 s[14:15], vcc
	s_cbranch_execz .LBB137_376
; %bb.375:
	v_mov_b32_e32 v11, 0
	ds_read_b128 v[25:28], v11 offset:21312
	ds_read_b64 v[11:12], v11 offset:20800
	s_movk_i32 s0, 0x5000
	s_waitcnt lgkmcnt(0)
	v_mul_f64 v[11:12], v[11:12], v[27:28]
	v_mul_f64 v[11:12], v[25:26], v[11:12]
	v_add_u32_e64 v25, s0, 0
	ds_write2_b64 v25, v[11:12], v[11:12] offset0:41 offset1:104
.LBB137_376:
	s_or_b64 exec, exec, s[14:15]
	v_mov_b32_e32 v11, 0
	v_mov_b32_e32 v12, 0
	s_waitcnt lgkmcnt(0)
	s_barrier
	buffer_wbinvl1_vol
	s_and_saveexec_b64 s[16:17], s[8:9]
	s_cbranch_execz .LBB137_386
; %bb.377:
	v_lshlrev_b32_e32 v26, 3, v19
	v_lshlrev_b32_e32 v25, 9, v20
	ds_read_b64 v[11:12], v26 offset:20736
	ds_read_b64 v[27:28], v25 offset:20800
	v_cmp_gt_u32_e64 s[14:15], 56, v15
	s_waitcnt lgkmcnt(0)
	v_fma_f64 v[11:12], v[11:12], v[27:28], 0
	s_and_saveexec_b64 s[0:1], s[14:15]
	s_cbranch_execnz .LBB137_1114
; %bb.378:
	s_or_b64 exec, exec, s[0:1]
	v_cmp_gt_u32_e64 s[14:15], 48, v15
	s_and_saveexec_b64 s[0:1], s[14:15]
	s_cbranch_execnz .LBB137_1115
.LBB137_379:
	s_or_b64 exec, exec, s[0:1]
	v_cmp_gt_u32_e64 s[14:15], 40, v15
	s_and_saveexec_b64 s[0:1], s[14:15]
	s_cbranch_execnz .LBB137_1116
.LBB137_380:
	s_or_b64 exec, exec, s[0:1]
	v_cmp_gt_u32_e64 s[14:15], 32, v15
	s_and_saveexec_b64 s[0:1], s[14:15]
	s_cbranch_execnz .LBB137_1117
.LBB137_381:
	s_or_b64 exec, exec, s[0:1]
	v_cmp_gt_u32_e64 s[14:15], 24, v15
	s_and_saveexec_b64 s[0:1], s[14:15]
	s_cbranch_execnz .LBB137_1118
.LBB137_382:
	s_or_b64 exec, exec, s[0:1]
	s_and_saveexec_b64 s[0:1], s[18:19]
	s_cbranch_execnz .LBB137_1119
.LBB137_383:
	s_or_b64 exec, exec, s[0:1]
	v_cmp_gt_u32_e64 s[14:15], 8, v15
	s_and_saveexec_b64 s[20:21], s[14:15]
	s_cbranch_execz .LBB137_385
.LBB137_384:
	v_lshlrev_b32_e32 v25, 3, v0
	v_mov_b32_e32 v27, 0
	ds_read_b64 v[25:26], v25 offset:24320
	ds_read_b64 v[27:28], v27 offset:24440
	s_waitcnt lgkmcnt(0)
	v_fma_f64 v[11:12], v[25:26], v[27:28], v[11:12]
.LBB137_385:
	s_or_b64 exec, exec, s[20:21]
.LBB137_386:
	s_or_b64 exec, exec, s[16:17]
	s_and_saveexec_b64 s[14:15], s[58:59]
	s_cbranch_execz .LBB137_388
; %bb.387:
	v_mov_b32_e32 v25, 0
	ds_read_b64 v[25:26], v25 offset:20280
	s_waitcnt lgkmcnt(0)
	v_mul_f64 v[11:12], v[11:12], v[25:26]
	v_xor_b32_e32 v26, 0x80000000, v12
	v_mov_b32_e32 v25, v11
	ds_write_b64 v21, v[25:26]
.LBB137_388:
	s_or_b64 exec, exec, s[14:15]
	s_waitcnt lgkmcnt(0)
	s_barrier
	s_and_saveexec_b64 s[0:1], s[60:61]
	s_cbranch_execz .LBB137_390
; %bb.389:
	v_lshlrev_b32_e32 v25, 3, v19
	ds_read_b64 v[25:26], v25 offset:20224
	ds_read_b64 v[27:28], v21
	s_waitcnt lgkmcnt(0)
	v_fma_f64 v[11:12], -v[25:26], v[27:28], v[11:12]
.LBB137_390:
	s_or_b64 exec, exec, s[0:1]
	s_barrier
	s_and_saveexec_b64 s[14:15], s[62:63]
	s_cbranch_execz .LBB137_392
; %bb.391:
	v_mov_b32_e32 v25, 0
	ds_read_b64 v[25:26], v25 offset:19760
	s_waitcnt lgkmcnt(0)
	v_mul_f64 v[11:12], v[11:12], v[25:26]
	v_xor_b32_e32 v26, 0x80000000, v12
	v_mov_b32_e32 v25, v11
	ds_write_b64 v21, v[25:26]
.LBB137_392:
	s_or_b64 exec, exec, s[14:15]
	s_waitcnt lgkmcnt(0)
	s_barrier
	s_and_saveexec_b64 s[0:1], s[64:65]
	s_cbranch_execz .LBB137_394
; %bb.393:
	v_lshlrev_b32_e32 v25, 3, v19
	ds_read_b64 v[25:26], v25 offset:19712
	ds_read_b64 v[27:28], v21
	s_waitcnt lgkmcnt(0)
	v_fma_f64 v[11:12], -v[25:26], v[27:28], v[11:12]
.LBB137_394:
	s_or_b64 exec, exec, s[0:1]
	s_barrier
	;; [unrolled: 25-line block ×6, first 2 shown]
	s_and_saveexec_b64 s[14:15], s[84:85]
	s_cbranch_execz .LBB137_412
; %bb.411:
	v_mov_b32_e32 v25, 0
	ds_read_b64 v[25:26], v25 offset:17160
	s_waitcnt lgkmcnt(0)
	v_mul_f64 v[11:12], v[11:12], v[25:26]
	v_xor_b32_e32 v26, 0x80000000, v12
	v_mov_b32_e32 v25, v11
	ds_write_b64 v21, v[25:26]
.LBB137_412:
	s_or_b64 exec, exec, s[14:15]
	s_waitcnt lgkmcnt(0)
	s_barrier
	s_and_saveexec_b64 s[0:1], s[68:69]
	s_cbranch_execz .LBB137_414
; %bb.413:
	v_mov_b32_e32 v25, 0
	ds_read_b64 v[25:26], v25 offset:17152
	ds_read_b64 v[27:28], v21
	s_waitcnt lgkmcnt(0)
	v_fma_f64 v[11:12], -v[25:26], v[27:28], v[11:12]
.LBB137_414:
	s_or_b64 exec, exec, s[0:1]
	s_barrier
	s_and_saveexec_b64 s[14:15], s[68:69]
	s_cbranch_execz .LBB137_416
; %bb.415:
	v_mov_b32_e32 v25, 0
	ds_read_b64 v[25:26], v25 offset:16640
	s_waitcnt lgkmcnt(0)
	v_mul_f64 v[11:12], v[11:12], v[25:26]
	v_xor_b32_e32 v26, 0x80000000, v12
	v_mov_b32_e32 v25, v11
	ds_write_b64 v21, v[25:26]
.LBB137_416:
	s_or_b64 exec, exec, s[14:15]
	s_waitcnt lgkmcnt(0)
	s_barrier
	s_barrier
	s_and_saveexec_b64 s[0:1], s[8:9]
; %bb.417:
	v_lshlrev_b32_e32 v25, 3, v19
	v_lshl_or_b32 v25, v20, 9, v25
	ds_write_b64 v25, v[11:12] offset:20736
; %bb.418:
	s_or_b64 exec, exec, s[0:1]
	s_waitcnt lgkmcnt(0)
	s_barrier
	s_barrier
	s_and_saveexec_b64 s[14:15], s[86:87]
	s_cbranch_execz .LBB137_420
; %bb.419:
	v_lshlrev_b32_e32 v25, 9, v0
	ds_read_b64 v[11:12], v25 offset:20736
	s_movk_i32 s0, 0xfe08
	v_mad_i32_i24 v26, v0, s0, v25
	s_waitcnt lgkmcnt(0)
	ds_write_b64 v26, v[11:12] offset:16704
	ds_read_b64 v[11:12], v25 offset:20744
	s_waitcnt lgkmcnt(0)
	ds_write_b64 v26, v[11:12] offset:17216
	ds_read_b64 v[11:12], v25 offset:20752
	;; [unrolled: 3-line block ×7, first 2 shown]
	s_waitcnt lgkmcnt(0)
	ds_write_b64 v26, v[11:12] offset:20288
.LBB137_420:
	s_or_b64 exec, exec, s[14:15]
	s_waitcnt lgkmcnt(0)
	s_barrier
	s_and_saveexec_b64 s[14:15], vcc
	s_cbranch_execz .LBB137_422
; %bb.421:
	v_mov_b32_e32 v11, 0
	ds_read_b128 v[25:28], v11 offset:20272
	ds_read_b64 v[11:12], v11 offset:19760
	s_movk_i32 s0, 0x4800
	s_waitcnt lgkmcnt(0)
	v_mul_f64 v[11:12], v[11:12], v[27:28]
	v_mul_f64 v[11:12], v[25:26], v[11:12]
	v_add_u32_e64 v25, s0, 0
	ds_write2_b64 v25, v[11:12], v[11:12] offset0:167 offset1:230
.LBB137_422:
	s_or_b64 exec, exec, s[14:15]
	v_mov_b32_e32 v11, 0
	v_mov_b32_e32 v12, 0
	s_waitcnt lgkmcnt(0)
	s_barrier
	buffer_wbinvl1_vol
	s_and_saveexec_b64 s[16:17], s[2:3]
	s_cbranch_execz .LBB137_426
; %bb.423:
	v_lshlrev_b32_e32 v25, 9, v13
	v_lshlrev_b32_e32 v11, 3, v1
	ds_read_b64 v[11:12], v11 offset:19744
	ds_read_b64 v[25:26], v25 offset:19760
	v_cmp_gt_u32_e64 s[14:15], 2, v15
	s_waitcnt lgkmcnt(0)
	v_fma_f64 v[11:12], v[11:12], v[25:26], 0
	s_and_saveexec_b64 s[20:21], s[14:15]
	s_cbranch_execz .LBB137_425
; %bb.424:
	v_lshlrev_b32_e32 v25, 3, v0
	v_mov_b32_e32 v27, 0
	ds_read_b64 v[25:26], v25 offset:20256
	ds_read_b64 v[27:28], v27 offset:20280
	s_waitcnt lgkmcnt(0)
	v_fma_f64 v[11:12], v[25:26], v[27:28], v[11:12]
.LBB137_425:
	s_or_b64 exec, exec, s[20:21]
.LBB137_426:
	s_or_b64 exec, exec, s[16:17]
	s_and_saveexec_b64 s[14:15], s[40:41]
	s_cbranch_execz .LBB137_428
; %bb.427:
	v_mov_b32_e32 v25, 0
	ds_read_b64 v[25:26], v25 offset:19240
	s_waitcnt lgkmcnt(0)
	v_mul_f64 v[11:12], v[11:12], v[25:26]
	v_xor_b32_e32 v26, 0x80000000, v12
	v_mov_b32_e32 v25, v11
	ds_write_b64 v14, v[25:26]
.LBB137_428:
	s_or_b64 exec, exec, s[14:15]
	s_waitcnt lgkmcnt(0)
	s_barrier
	s_and_saveexec_b64 s[0:1], s[38:39]
	s_cbranch_execz .LBB137_430
; %bb.429:
	v_mov_b32_e32 v25, 0
	ds_read_b64 v[25:26], v25 offset:19232
	ds_read_b64 v[27:28], v14
	s_waitcnt lgkmcnt(0)
	v_fma_f64 v[11:12], -v[25:26], v[27:28], v[11:12]
.LBB137_430:
	s_or_b64 exec, exec, s[0:1]
	s_barrier
	s_and_saveexec_b64 s[14:15], s[38:39]
	s_cbranch_execz .LBB137_432
; %bb.431:
	v_mov_b32_e32 v25, 0
	ds_read_b64 v[25:26], v25 offset:18720
	s_waitcnt lgkmcnt(0)
	v_mul_f64 v[11:12], v[11:12], v[25:26]
	v_xor_b32_e32 v26, 0x80000000, v12
	v_mov_b32_e32 v25, v11
	ds_write_b64 v14, v[25:26]
.LBB137_432:
	s_or_b64 exec, exec, s[14:15]
	s_waitcnt lgkmcnt(0)
	s_barrier
	s_barrier
	s_and_saveexec_b64 s[0:1], s[2:3]
; %bb.433:
	v_lshlrev_b32_e32 v25, 3, v1
	v_lshl_or_b32 v25, v13, 9, v25
	ds_write_b64 v25, v[11:12] offset:19744
; %bb.434:
	s_or_b64 exec, exec, s[0:1]
	s_waitcnt lgkmcnt(0)
	s_barrier
	s_barrier
	s_and_saveexec_b64 s[14:15], s[42:43]
	s_cbranch_execz .LBB137_436
; %bb.435:
	v_lshlrev_b32_e32 v25, 3, v0
	s_movk_i32 s0, 0x1f8
	v_mad_u32_u24 v26, v0, s0, v25
	ds_read_b64 v[11:12], v26 offset:19744
	s_waitcnt lgkmcnt(0)
	ds_write_b64 v25, v[11:12] offset:18736
	ds_read_b64 v[11:12], v26 offset:19752
	s_waitcnt lgkmcnt(0)
	ds_write_b64 v25, v[11:12] offset:19248
.LBB137_436:
	s_or_b64 exec, exec, s[14:15]
	s_waitcnt lgkmcnt(0)
	s_barrier
	s_and_saveexec_b64 s[14:15], vcc
	s_cbranch_execz .LBB137_438
; %bb.437:
	v_mov_b32_e32 v11, 0
	ds_read_b128 v[25:28], v11 offset:19232
	ds_read_b64 v[11:12], v11 offset:18720
	s_movk_i32 s0, 0x4800
	s_waitcnt lgkmcnt(0)
	v_mul_f64 v[11:12], v[11:12], v[27:28]
	v_mul_f64 v[11:12], v[25:26], v[11:12]
	v_add_u32_e64 v25, s0, 0
	ds_write2_b64 v25, v[11:12], v[11:12] offset0:37 offset1:100
.LBB137_438:
	s_or_b64 exec, exec, s[14:15]
	v_mov_b32_e32 v11, 0
	v_mov_b32_e32 v12, 0
	s_waitcnt lgkmcnt(0)
	s_barrier
	buffer_wbinvl1_vol
	s_and_saveexec_b64 s[16:17], s[18:19]
	s_cbranch_execz .LBB137_444
; %bb.439:
	v_lshlrev_b32_e32 v26, 3, v16
	v_lshlrev_b32_e32 v25, 9, v17
	ds_read_b64 v[11:12], v26 offset:18688
	ds_read_b64 v[27:28], v25 offset:18720
	v_cmp_gt_u32_e64 s[14:15], 12, v15
	s_waitcnt lgkmcnt(0)
	v_fma_f64 v[11:12], v[11:12], v[27:28], 0
	s_and_saveexec_b64 s[0:1], s[14:15]
	s_cbranch_execnz .LBB137_1120
; %bb.440:
	s_or_b64 exec, exec, s[0:1]
	v_cmp_gt_u32_e64 s[14:15], 8, v15
	s_and_saveexec_b64 s[0:1], s[14:15]
	s_cbranch_execnz .LBB137_1121
.LBB137_441:
	s_or_b64 exec, exec, s[0:1]
	v_cmp_gt_u32_e64 s[14:15], 4, v15
	s_and_saveexec_b64 s[20:21], s[14:15]
	s_cbranch_execz .LBB137_443
.LBB137_442:
	v_lshlrev_b32_e32 v25, 3, v0
	v_mov_b32_e32 v27, 0
	ds_read_b64 v[25:26], v25 offset:20224
	ds_read_b64 v[27:28], v27 offset:20280
	s_waitcnt lgkmcnt(0)
	v_fma_f64 v[11:12], v[25:26], v[27:28], v[11:12]
.LBB137_443:
	s_or_b64 exec, exec, s[20:21]
.LBB137_444:
	s_or_b64 exec, exec, s[16:17]
	s_and_saveexec_b64 s[14:15], s[46:47]
	s_cbranch_execz .LBB137_446
; %bb.445:
	v_mov_b32_e32 v25, 0
	ds_read_b64 v[25:26], v25 offset:18200
	s_waitcnt lgkmcnt(0)
	v_mul_f64 v[11:12], v[11:12], v[25:26]
	v_xor_b32_e32 v26, 0x80000000, v12
	v_mov_b32_e32 v25, v11
	ds_write_b64 v18, v[25:26]
.LBB137_446:
	s_or_b64 exec, exec, s[14:15]
	s_waitcnt lgkmcnt(0)
	s_barrier
	s_and_saveexec_b64 s[0:1], s[48:49]
	s_cbranch_execz .LBB137_448
; %bb.447:
	v_lshlrev_b32_e32 v25, 3, v16
	ds_read_b64 v[25:26], v25 offset:18176
	ds_read_b64 v[27:28], v18
	s_waitcnt lgkmcnt(0)
	v_fma_f64 v[11:12], -v[25:26], v[27:28], v[11:12]
.LBB137_448:
	s_or_b64 exec, exec, s[0:1]
	s_barrier
	s_and_saveexec_b64 s[14:15], s[50:51]
	s_cbranch_execz .LBB137_450
; %bb.449:
	v_mov_b32_e32 v25, 0
	ds_read_b64 v[25:26], v25 offset:17680
	s_waitcnt lgkmcnt(0)
	v_mul_f64 v[11:12], v[11:12], v[25:26]
	v_xor_b32_e32 v26, 0x80000000, v12
	v_mov_b32_e32 v25, v11
	ds_write_b64 v18, v[25:26]
.LBB137_450:
	s_or_b64 exec, exec, s[14:15]
	s_waitcnt lgkmcnt(0)
	s_barrier
	s_and_saveexec_b64 s[0:1], s[52:53]
	s_cbranch_execz .LBB137_452
; %bb.451:
	v_lshlrev_b32_e32 v25, 3, v16
	ds_read_b64 v[25:26], v25 offset:17664
	ds_read_b64 v[27:28], v18
	s_waitcnt lgkmcnt(0)
	v_fma_f64 v[11:12], -v[25:26], v[27:28], v[11:12]
.LBB137_452:
	s_or_b64 exec, exec, s[0:1]
	s_barrier
	s_and_saveexec_b64 s[14:15], s[54:55]
	s_cbranch_execz .LBB137_454
; %bb.453:
	v_mov_b32_e32 v25, 0
	ds_read_b64 v[25:26], v25 offset:17160
	s_waitcnt lgkmcnt(0)
	v_mul_f64 v[11:12], v[11:12], v[25:26]
	v_xor_b32_e32 v26, 0x80000000, v12
	v_mov_b32_e32 v25, v11
	ds_write_b64 v18, v[25:26]
.LBB137_454:
	s_or_b64 exec, exec, s[14:15]
	s_waitcnt lgkmcnt(0)
	s_barrier
	s_and_saveexec_b64 s[0:1], s[44:45]
	s_cbranch_execz .LBB137_456
; %bb.455:
	v_mov_b32_e32 v25, 0
	ds_read_b64 v[25:26], v25 offset:17152
	ds_read_b64 v[27:28], v18
	s_waitcnt lgkmcnt(0)
	v_fma_f64 v[11:12], -v[25:26], v[27:28], v[11:12]
.LBB137_456:
	s_or_b64 exec, exec, s[0:1]
	s_barrier
	s_and_saveexec_b64 s[14:15], s[44:45]
	s_cbranch_execz .LBB137_458
; %bb.457:
	v_mov_b32_e32 v25, 0
	ds_read_b64 v[25:26], v25 offset:16640
	s_waitcnt lgkmcnt(0)
	v_mul_f64 v[11:12], v[11:12], v[25:26]
	v_xor_b32_e32 v26, 0x80000000, v12
	v_mov_b32_e32 v25, v11
	ds_write_b64 v18, v[25:26]
.LBB137_458:
	s_or_b64 exec, exec, s[14:15]
	s_waitcnt lgkmcnt(0)
	s_barrier
	s_barrier
	s_and_saveexec_b64 s[0:1], s[18:19]
; %bb.459:
	v_lshlrev_b32_e32 v25, 3, v16
	v_lshl_or_b32 v25, v17, 9, v25
	ds_write_b64 v25, v[11:12] offset:18688
; %bb.460:
	s_or_b64 exec, exec, s[0:1]
	s_waitcnt lgkmcnt(0)
	s_barrier
	s_barrier
	s_and_saveexec_b64 s[14:15], s[56:57]
	s_cbranch_execz .LBB137_462
; %bb.461:
	v_lshlrev_b32_e32 v25, 9, v0
	ds_read_b64 v[11:12], v25 offset:18688
	s_movk_i32 s0, 0xfe08
	v_mad_i32_i24 v26, v0, s0, v25
	s_waitcnt lgkmcnt(0)
	ds_write_b64 v26, v[11:12] offset:16672
	ds_read_b64 v[11:12], v25 offset:18696
	s_waitcnt lgkmcnt(0)
	ds_write_b64 v26, v[11:12] offset:17184
	ds_read_b64 v[11:12], v25 offset:18704
	;; [unrolled: 3-line block ×3, first 2 shown]
	s_waitcnt lgkmcnt(0)
	ds_write_b64 v26, v[11:12] offset:18208
.LBB137_462:
	s_or_b64 exec, exec, s[14:15]
	s_waitcnt lgkmcnt(0)
	s_barrier
	s_and_saveexec_b64 s[14:15], vcc
	s_cbranch_execz .LBB137_464
; %bb.463:
	v_mov_b32_e32 v11, 0
	ds_read_b128 v[25:28], v11 offset:18192
	ds_read_b64 v[11:12], v11 offset:17680
	s_movk_i32 s0, 0x4000
	s_waitcnt lgkmcnt(0)
	v_mul_f64 v[11:12], v[11:12], v[27:28]
	v_mul_f64 v[11:12], v[25:26], v[11:12]
	v_add_u32_e64 v25, s0, 0
	ds_write2_b64 v25, v[11:12], v[11:12] offset0:163 offset1:226
.LBB137_464:
	s_or_b64 exec, exec, s[14:15]
	v_mov_b32_e32 v11, 0
	v_mov_b32_e32 v12, 0
	s_waitcnt lgkmcnt(0)
	s_barrier
	buffer_wbinvl1_vol
	s_and_saveexec_b64 s[16:17], s[2:3]
	s_cbranch_execz .LBB137_468
; %bb.465:
	v_lshlrev_b32_e32 v25, 9, v13
	v_lshlrev_b32_e32 v11, 3, v1
	ds_read_b64 v[11:12], v11 offset:17664
	ds_read_b64 v[25:26], v25 offset:17680
	v_cmp_gt_u32_e64 s[14:15], 2, v15
	s_waitcnt lgkmcnt(0)
	v_fma_f64 v[11:12], v[11:12], v[25:26], 0
	s_and_saveexec_b64 s[20:21], s[14:15]
	s_cbranch_execz .LBB137_467
; %bb.466:
	v_lshlrev_b32_e32 v25, 3, v0
	v_mov_b32_e32 v27, 0
	ds_read_b64 v[25:26], v25 offset:18176
	ds_read_b64 v[27:28], v27 offset:18200
	s_waitcnt lgkmcnt(0)
	v_fma_f64 v[11:12], v[25:26], v[27:28], v[11:12]
.LBB137_467:
	s_or_b64 exec, exec, s[20:21]
.LBB137_468:
	s_or_b64 exec, exec, s[16:17]
	s_and_saveexec_b64 s[14:15], s[40:41]
	s_cbranch_execz .LBB137_470
; %bb.469:
	v_mov_b32_e32 v25, 0
	ds_read_b64 v[25:26], v25 offset:17160
	s_waitcnt lgkmcnt(0)
	v_mul_f64 v[11:12], v[11:12], v[25:26]
	v_xor_b32_e32 v26, 0x80000000, v12
	v_mov_b32_e32 v25, v11
	ds_write_b64 v14, v[25:26]
.LBB137_470:
	s_or_b64 exec, exec, s[14:15]
	s_waitcnt lgkmcnt(0)
	s_barrier
	s_and_saveexec_b64 s[0:1], s[38:39]
	s_cbranch_execz .LBB137_472
; %bb.471:
	v_mov_b32_e32 v25, 0
	ds_read_b64 v[25:26], v25 offset:17152
	ds_read_b64 v[27:28], v14
	s_waitcnt lgkmcnt(0)
	v_fma_f64 v[11:12], -v[25:26], v[27:28], v[11:12]
.LBB137_472:
	s_or_b64 exec, exec, s[0:1]
	s_barrier
	s_and_saveexec_b64 s[14:15], s[38:39]
	s_cbranch_execz .LBB137_474
; %bb.473:
	v_mov_b32_e32 v25, 0
	ds_read_b64 v[25:26], v25 offset:16640
	s_waitcnt lgkmcnt(0)
	v_mul_f64 v[11:12], v[11:12], v[25:26]
	v_xor_b32_e32 v26, 0x80000000, v12
	v_mov_b32_e32 v25, v11
	ds_write_b64 v14, v[25:26]
.LBB137_474:
	s_or_b64 exec, exec, s[14:15]
	s_waitcnt lgkmcnt(0)
	s_barrier
	s_barrier
	s_and_saveexec_b64 s[0:1], s[2:3]
; %bb.475:
	v_lshlrev_b32_e32 v25, 3, v1
	v_lshl_or_b32 v25, v13, 9, v25
	ds_write_b64 v25, v[11:12] offset:17664
; %bb.476:
	s_or_b64 exec, exec, s[0:1]
	s_waitcnt lgkmcnt(0)
	s_barrier
	s_barrier
	s_and_saveexec_b64 s[14:15], s[42:43]
	s_cbranch_execz .LBB137_478
; %bb.477:
	v_lshlrev_b32_e32 v25, 3, v0
	s_movk_i32 s0, 0x1f8
	v_mad_u32_u24 v26, v0, s0, v25
	ds_read_b64 v[11:12], v26 offset:17664
	s_waitcnt lgkmcnt(0)
	ds_write_b64 v25, v[11:12] offset:16656
	ds_read_b64 v[11:12], v26 offset:17672
	s_waitcnt lgkmcnt(0)
	ds_write_b64 v25, v[11:12] offset:17168
.LBB137_478:
	s_or_b64 exec, exec, s[14:15]
	s_waitcnt lgkmcnt(0)
	s_barrier
	s_and_saveexec_b64 s[14:15], vcc
	s_cbranch_execz .LBB137_480
; %bb.479:
	v_mov_b32_e32 v11, 0
	ds_read_b128 v[25:28], v11 offset:17152
	ds_read_b64 v[11:12], v11 offset:16640
	s_movk_i32 s0, 0x4000
	s_waitcnt lgkmcnt(0)
	v_mul_f64 v[11:12], v[11:12], v[27:28]
	v_mul_f64 v[11:12], v[25:26], v[11:12]
	v_add_u32_e64 v25, s0, 0
	ds_write2_b64 v25, v[11:12], v[11:12] offset0:33 offset1:96
.LBB137_480:
	s_or_b64 exec, exec, s[14:15]
	s_movk_i32 s0, 0x3ff
	v_lshrrev_b32_e32 v27, 5, v15
	v_cmp_lt_u32_e64 s[16:17], s0, v15
	s_movk_i32 s0, 0x400
	v_mov_b32_e32 v11, 0
	v_and_b32_e32 v25, 31, v0
	v_sub_u32_e32 v26, 31, v27
	v_mov_b32_e32 v12, 0
	v_cmp_gt_u32_e64 s[14:15], s0, v15
	s_waitcnt lgkmcnt(0)
	s_barrier
	buffer_wbinvl1_vol
	s_and_saveexec_b64 s[92:93], s[14:15]
	s_cbranch_execz .LBB137_542
; %bb.481:
	v_lshlrev_b32_e32 v29, 3, v25
	v_lshlrev_b32_e32 v28, 9, v26
	ds_read_b64 v[11:12], v29 offset:16384
	ds_read_b64 v[30:31], v28 offset:16640
	s_movk_i32 s0, 0x3e0
	v_cmp_gt_u32_e64 s[20:21], s0, v15
	s_waitcnt lgkmcnt(0)
	v_fma_f64 v[11:12], v[11:12], v[30:31], 0
	s_and_saveexec_b64 s[0:1], s[20:21]
	s_cbranch_execz .LBB137_483
; %bb.482:
	ds_read_b64 v[30:31], v29 offset:16896
	ds_read_b64 v[32:33], v28 offset:16648
	s_waitcnt lgkmcnt(0)
	v_fma_f64 v[11:12], v[30:31], v[32:33], v[11:12]
.LBB137_483:
	s_or_b64 exec, exec, s[0:1]
	s_movk_i32 s0, 0x3c0
	v_cmp_gt_u32_e64 s[20:21], s0, v15
	s_and_saveexec_b64 s[0:1], s[20:21]
	s_cbranch_execz .LBB137_485
; %bb.484:
	ds_read_b64 v[30:31], v29 offset:17408
	ds_read_b64 v[32:33], v28 offset:16656
	s_waitcnt lgkmcnt(0)
	v_fma_f64 v[11:12], v[30:31], v[32:33], v[11:12]
.LBB137_485:
	s_or_b64 exec, exec, s[0:1]
	s_movk_i32 s0, 0x3a0
	v_cmp_gt_u32_e64 s[20:21], s0, v15
	;; [unrolled: 11-line block ×22, first 2 shown]
	s_and_saveexec_b64 s[0:1], s[20:21]
	s_cbranch_execz .LBB137_527
; %bb.526:
	ds_read_b64 v[30:31], v29 offset:28160
	ds_read_b64 v[32:33], v28 offset:16824
	s_waitcnt lgkmcnt(0)
	v_fma_f64 v[11:12], v[30:31], v[32:33], v[11:12]
.LBB137_527:
	s_or_b64 exec, exec, s[0:1]
	s_and_saveexec_b64 s[0:1], s[10:11]
	s_cbranch_execz .LBB137_529
; %bb.528:
	ds_read_b64 v[30:31], v29 offset:28672
	ds_read_b64 v[32:33], v28 offset:16832
	s_waitcnt lgkmcnt(0)
	v_fma_f64 v[11:12], v[30:31], v[32:33], v[11:12]
.LBB137_529:
	s_or_b64 exec, exec, s[0:1]
	s_movk_i32 s0, 0xe0
	v_cmp_gt_u32_e64 s[20:21], s0, v15
	s_and_saveexec_b64 s[0:1], s[20:21]
	s_cbranch_execz .LBB137_531
; %bb.530:
	ds_read_b64 v[30:31], v29 offset:29184
	ds_read_b64 v[32:33], v28 offset:16840
	s_waitcnt lgkmcnt(0)
	v_fma_f64 v[11:12], v[30:31], v[32:33], v[11:12]
.LBB137_531:
	s_or_b64 exec, exec, s[0:1]
	s_movk_i32 s0, 0xc0
	v_cmp_gt_u32_e64 s[20:21], s0, v15
	;; [unrolled: 11-line block ×5, first 2 shown]
	s_and_saveexec_b64 s[0:1], s[20:21]
	s_cbranch_execnz .LBB137_1122
; %bb.538:
	s_or_b64 exec, exec, s[0:1]
	s_and_saveexec_b64 s[0:1], s[8:9]
	s_cbranch_execnz .LBB137_1123
.LBB137_539:
	s_or_b64 exec, exec, s[0:1]
	v_cmp_gt_u32_e64 s[20:21], 32, v15
	s_and_saveexec_b64 s[0:1], s[20:21]
	s_cbranch_execz .LBB137_541
.LBB137_540:
	v_lshlrev_b32_e32 v28, 3, v0
	v_mov_b32_e32 v30, 0
	ds_read_b64 v[28:29], v28 offset:32256
	ds_read_b64 v[30:31], v30 offset:32760
	s_waitcnt lgkmcnt(0)
	v_fma_f64 v[11:12], v[28:29], v[30:31], v[11:12]
.LBB137_541:
	s_or_b64 exec, exec, s[0:1]
.LBB137_542:
	s_or_b64 exec, exec, s[92:93]
	v_mov_b32_e32 v28, 0x8000
	s_movk_i32 s0, 0x208
	v_lshlrev_b32_e32 v29, 9, v25
	v_mov_b32_e32 v30, 0x3800
	v_lshl_add_u32 v27, v27, 3, v28
	v_mul_u32_u24_e32 v28, 0x208, v25
	v_sub_u32_e32 v29, 0, v29
	v_mad_u32_u24 v30, v25, s0, v30
	s_mov_b32 s92, 31
	s_xor_b64 s[20:21], s[16:17], -1
	s_branch .LBB137_544
.LBB137_543:                            ;   in Loop: Header=BB137_544 Depth=1
	s_or_b64 exec, exec, s[0:1]
	s_add_i32 s92, s92, -4
	s_cmp_eq_u32 s93, 0
	v_add_u32_e32 v29, 0xfffff800, v29
	s_barrier
	s_cbranch_scc1 .LBB137_560
.LBB137_544:                            ; =>This Inner Loop Header: Depth=1
	s_movk_i32 s0, 0xc200
	v_cmp_eq_u32_e64 s[16:17], s0, v29
	s_and_b64 s[16:17], s[20:21], s[16:17]
	s_and_saveexec_b64 s[0:1], s[16:17]
	s_cbranch_execz .LBB137_546
; %bb.545:                              ;   in Loop: Header=BB137_544 Depth=1
	ds_read_b64 v[31:32], v28
	s_waitcnt lgkmcnt(0)
	v_mul_f64 v[11:12], v[11:12], v[31:32]
	v_xor_b32_e32 v32, 0x80000000, v12
	v_mov_b32_e32 v31, v11
	ds_write_b64 v27, v[31:32]
.LBB137_546:                            ;   in Loop: Header=BB137_544 Depth=1
	s_or_b64 exec, exec, s[0:1]
	v_cmp_gt_u32_e64 s[16:17], s92, v25
	s_and_b64 s[16:17], s[20:21], s[16:17]
	v_add_u32_e32 v31, v30, v29
	s_waitcnt lgkmcnt(0)
	s_barrier
	s_and_saveexec_b64 s[0:1], s[16:17]
	s_cbranch_execz .LBB137_548
; %bb.547:                              ;   in Loop: Header=BB137_544 Depth=1
	ds_read_b64 v[32:33], v31 offset:1536
	ds_read_b64 v[34:35], v27
	s_waitcnt lgkmcnt(0)
	v_fma_f64 v[11:12], -v[32:33], v[34:35], v[11:12]
.LBB137_548:                            ;   in Loop: Header=BB137_544 Depth=1
	s_or_b64 exec, exec, s[0:1]
	s_add_i32 s93, s92, -1
	v_cmp_eq_u32_e64 s[16:17], s93, v25
	s_and_b64 s[16:17], s[20:21], s[16:17]
	s_barrier
	s_and_saveexec_b64 s[0:1], s[16:17]
	s_cbranch_execz .LBB137_550
; %bb.549:                              ;   in Loop: Header=BB137_544 Depth=1
	ds_read_b64 v[32:33], v28
	s_waitcnt lgkmcnt(0)
	v_mul_f64 v[11:12], v[11:12], v[32:33]
	v_xor_b32_e32 v33, 0x80000000, v12
	v_mov_b32_e32 v32, v11
	ds_write_b64 v27, v[32:33]
.LBB137_550:                            ;   in Loop: Header=BB137_544 Depth=1
	s_or_b64 exec, exec, s[0:1]
	v_cmp_gt_u32_e64 s[16:17], s93, v25
	s_and_b64 s[16:17], s[20:21], s[16:17]
	s_waitcnt lgkmcnt(0)
	s_barrier
	s_and_saveexec_b64 s[0:1], s[16:17]
	s_cbranch_execz .LBB137_552
; %bb.551:                              ;   in Loop: Header=BB137_544 Depth=1
	ds_read_b64 v[32:33], v31 offset:1024
	ds_read_b64 v[34:35], v27
	s_waitcnt lgkmcnt(0)
	v_fma_f64 v[11:12], -v[32:33], v[34:35], v[11:12]
.LBB137_552:                            ;   in Loop: Header=BB137_544 Depth=1
	s_or_b64 exec, exec, s[0:1]
	s_add_i32 s93, s92, -2
	v_cmp_eq_u32_e64 s[16:17], s93, v25
	s_and_b64 s[16:17], s[20:21], s[16:17]
	s_barrier
	s_and_saveexec_b64 s[0:1], s[16:17]
	s_cbranch_execz .LBB137_554
; %bb.553:                              ;   in Loop: Header=BB137_544 Depth=1
	ds_read_b64 v[32:33], v28
	s_waitcnt lgkmcnt(0)
	v_mul_f64 v[11:12], v[11:12], v[32:33]
	v_xor_b32_e32 v33, 0x80000000, v12
	v_mov_b32_e32 v32, v11
	ds_write_b64 v27, v[32:33]
.LBB137_554:                            ;   in Loop: Header=BB137_544 Depth=1
	s_or_b64 exec, exec, s[0:1]
	v_cmp_gt_u32_e64 s[16:17], s93, v25
	s_and_b64 s[16:17], s[20:21], s[16:17]
	;; [unrolled: 28-line block ×3, first 2 shown]
	s_waitcnt lgkmcnt(0)
	s_barrier
	s_and_saveexec_b64 s[0:1], s[16:17]
	s_cbranch_execz .LBB137_543
; %bb.559:                              ;   in Loop: Header=BB137_544 Depth=1
	ds_read_b64 v[31:32], v31
	ds_read_b64 v[33:34], v27
	s_waitcnt lgkmcnt(0)
	v_fma_f64 v[11:12], -v[31:32], v[33:34], v[11:12]
	s_branch .LBB137_543
.LBB137_560:
	s_and_saveexec_b64 s[0:1], s[14:15]
; %bb.561:
	v_lshlrev_b32_e32 v25, 3, v25
	v_lshl_or_b32 v25, v26, 9, v25
	ds_write_b64 v25, v[11:12] offset:16384
; %bb.562:
	s_or_b64 exec, exec, s[0:1]
	v_cmp_gt_u32_e64 s[14:15], 32, v0
	s_and_b64 s[0:1], s[12:13], s[14:15]
	s_waitcnt lgkmcnt(0)
	s_barrier
	s_barrier
	s_and_saveexec_b64 s[12:13], s[0:1]
	s_cbranch_execz .LBB137_564
; %bb.563:
	v_lshlrev_b32_e32 v25, 9, v0
	ds_read_b64 v[11:12], v25 offset:16384
	s_movk_i32 s0, 0xfe08
	v_mad_i32_i24 v26, v0, s0, v25
	s_waitcnt lgkmcnt(0)
	ds_write_b64 v26, v[11:12] offset:256
	ds_read_b64 v[11:12], v25 offset:16392
	s_waitcnt lgkmcnt(0)
	ds_write_b64 v26, v[11:12] offset:768
	ds_read_b64 v[11:12], v25 offset:16400
	;; [unrolled: 3-line block ×31, first 2 shown]
	s_waitcnt lgkmcnt(0)
	ds_write_b64 v26, v[11:12] offset:16128
.LBB137_564:
	s_or_b64 exec, exec, s[12:13]
	s_waitcnt lgkmcnt(0)
	s_barrier
	s_and_saveexec_b64 s[12:13], vcc
	s_cbranch_execz .LBB137_566
; %bb.565:
	v_mov_b32_e32 v11, 0
	ds_read_b128 v[25:28], v11 offset:16112
	ds_read_b64 v[11:12], v11 offset:15600
	s_movk_i32 s0, 0x3800
	s_waitcnt lgkmcnt(0)
	v_mul_f64 v[11:12], v[11:12], v[27:28]
	v_mul_f64 v[11:12], v[25:26], v[11:12]
	v_add_u32_e64 v25, s0, 0
	ds_write2_b64 v25, v[11:12], v[11:12] offset0:159 offset1:222
.LBB137_566:
	s_or_b64 exec, exec, s[12:13]
	v_mov_b32_e32 v11, 0
	v_mov_b32_e32 v12, 0
	s_waitcnt lgkmcnt(0)
	s_barrier
	buffer_wbinvl1_vol
	s_and_saveexec_b64 s[14:15], s[2:3]
	s_cbranch_execz .LBB137_570
; %bb.567:
	v_lshlrev_b32_e32 v25, 9, v13
	v_lshlrev_b32_e32 v11, 3, v1
	ds_read_b64 v[11:12], v11 offset:15584
	ds_read_b64 v[25:26], v25 offset:15600
	v_cmp_gt_u32_e64 s[12:13], 2, v15
	s_waitcnt lgkmcnt(0)
	v_fma_f64 v[11:12], v[11:12], v[25:26], 0
	s_and_saveexec_b64 s[0:1], s[12:13]
	s_cbranch_execz .LBB137_569
; %bb.568:
	v_lshlrev_b32_e32 v25, 3, v0
	v_mov_b32_e32 v27, 0
	ds_read_b64 v[25:26], v25 offset:16096
	ds_read_b64 v[27:28], v27 offset:16120
	s_waitcnt lgkmcnt(0)
	v_fma_f64 v[11:12], v[25:26], v[27:28], v[11:12]
.LBB137_569:
	s_or_b64 exec, exec, s[0:1]
.LBB137_570:
	s_or_b64 exec, exec, s[14:15]
	s_and_saveexec_b64 s[12:13], s[40:41]
	s_cbranch_execz .LBB137_572
; %bb.571:
	v_mov_b32_e32 v25, 0
	ds_read_b64 v[25:26], v25 offset:15080
	s_waitcnt lgkmcnt(0)
	v_mul_f64 v[11:12], v[11:12], v[25:26]
	v_xor_b32_e32 v26, 0x80000000, v12
	v_mov_b32_e32 v25, v11
	ds_write_b64 v14, v[25:26]
.LBB137_572:
	s_or_b64 exec, exec, s[12:13]
	s_waitcnt lgkmcnt(0)
	s_barrier
	s_and_saveexec_b64 s[0:1], s[38:39]
	s_cbranch_execz .LBB137_574
; %bb.573:
	v_mov_b32_e32 v25, 0
	ds_read_b64 v[25:26], v25 offset:15072
	ds_read_b64 v[27:28], v14
	s_waitcnt lgkmcnt(0)
	v_fma_f64 v[11:12], -v[25:26], v[27:28], v[11:12]
.LBB137_574:
	s_or_b64 exec, exec, s[0:1]
	s_barrier
	s_and_saveexec_b64 s[12:13], s[38:39]
	s_cbranch_execz .LBB137_576
; %bb.575:
	v_mov_b32_e32 v25, 0
	ds_read_b64 v[25:26], v25 offset:14560
	s_waitcnt lgkmcnt(0)
	v_mul_f64 v[11:12], v[11:12], v[25:26]
	v_xor_b32_e32 v26, 0x80000000, v12
	v_mov_b32_e32 v25, v11
	ds_write_b64 v14, v[25:26]
.LBB137_576:
	s_or_b64 exec, exec, s[12:13]
	s_waitcnt lgkmcnt(0)
	s_barrier
	s_barrier
	s_and_saveexec_b64 s[0:1], s[2:3]
; %bb.577:
	v_lshlrev_b32_e32 v25, 3, v1
	v_lshl_or_b32 v25, v13, 9, v25
	ds_write_b64 v25, v[11:12] offset:15584
; %bb.578:
	s_or_b64 exec, exec, s[0:1]
	s_waitcnt lgkmcnt(0)
	s_barrier
	s_barrier
	s_and_saveexec_b64 s[0:1], s[42:43]
	s_cbranch_execz .LBB137_580
; %bb.579:
	v_lshlrev_b32_e32 v25, 3, v0
	s_movk_i32 s12, 0x1f8
	v_mad_u32_u24 v26, v0, s12, v25
	ds_read_b64 v[11:12], v26 offset:15584
	s_waitcnt lgkmcnt(0)
	ds_write_b64 v25, v[11:12] offset:14576
	ds_read_b64 v[11:12], v26 offset:15592
	s_waitcnt lgkmcnt(0)
	ds_write_b64 v25, v[11:12] offset:15088
.LBB137_580:
	s_or_b64 exec, exec, s[0:1]
	s_waitcnt lgkmcnt(0)
	s_barrier
	s_and_saveexec_b64 s[12:13], vcc
	s_cbranch_execz .LBB137_582
; %bb.581:
	v_mov_b32_e32 v11, 0
	ds_read_b128 v[25:28], v11 offset:15072
	ds_read_b64 v[11:12], v11 offset:14560
	s_movk_i32 s0, 0x3800
	s_waitcnt lgkmcnt(0)
	v_mul_f64 v[11:12], v[11:12], v[27:28]
	v_mul_f64 v[11:12], v[25:26], v[11:12]
	v_add_u32_e64 v25, s0, 0
	ds_write2_b64 v25, v[11:12], v[11:12] offset0:29 offset1:92
.LBB137_582:
	s_or_b64 exec, exec, s[12:13]
	v_mov_b32_e32 v11, 0
	v_mov_b32_e32 v12, 0
	s_waitcnt lgkmcnt(0)
	s_barrier
	buffer_wbinvl1_vol
	s_and_saveexec_b64 s[14:15], s[18:19]
	s_cbranch_execz .LBB137_588
; %bb.583:
	v_lshlrev_b32_e32 v26, 3, v16
	v_lshlrev_b32_e32 v25, 9, v17
	ds_read_b64 v[11:12], v26 offset:14528
	ds_read_b64 v[27:28], v25 offset:14560
	v_cmp_gt_u32_e64 s[12:13], 12, v15
	s_waitcnt lgkmcnt(0)
	v_fma_f64 v[11:12], v[11:12], v[27:28], 0
	s_and_saveexec_b64 s[0:1], s[12:13]
	s_cbranch_execnz .LBB137_1124
; %bb.584:
	s_or_b64 exec, exec, s[0:1]
	v_cmp_gt_u32_e64 s[12:13], 8, v15
	s_and_saveexec_b64 s[0:1], s[12:13]
	s_cbranch_execnz .LBB137_1125
.LBB137_585:
	s_or_b64 exec, exec, s[0:1]
	v_cmp_gt_u32_e64 s[12:13], 4, v15
	s_and_saveexec_b64 s[0:1], s[12:13]
	s_cbranch_execz .LBB137_587
.LBB137_586:
	v_lshlrev_b32_e32 v25, 3, v0
	v_mov_b32_e32 v27, 0
	ds_read_b64 v[25:26], v25 offset:16064
	ds_read_b64 v[27:28], v27 offset:16120
	s_waitcnt lgkmcnt(0)
	v_fma_f64 v[11:12], v[25:26], v[27:28], v[11:12]
.LBB137_587:
	s_or_b64 exec, exec, s[0:1]
.LBB137_588:
	s_or_b64 exec, exec, s[14:15]
	s_and_saveexec_b64 s[12:13], s[46:47]
	s_cbranch_execz .LBB137_590
; %bb.589:
	v_mov_b32_e32 v25, 0
	ds_read_b64 v[25:26], v25 offset:14040
	s_waitcnt lgkmcnt(0)
	v_mul_f64 v[11:12], v[11:12], v[25:26]
	v_xor_b32_e32 v26, 0x80000000, v12
	v_mov_b32_e32 v25, v11
	ds_write_b64 v18, v[25:26]
.LBB137_590:
	s_or_b64 exec, exec, s[12:13]
	s_waitcnt lgkmcnt(0)
	s_barrier
	s_and_saveexec_b64 s[0:1], s[48:49]
	s_cbranch_execz .LBB137_592
; %bb.591:
	v_lshlrev_b32_e32 v25, 3, v16
	ds_read_b64 v[25:26], v25 offset:14016
	ds_read_b64 v[27:28], v18
	s_waitcnt lgkmcnt(0)
	v_fma_f64 v[11:12], -v[25:26], v[27:28], v[11:12]
.LBB137_592:
	s_or_b64 exec, exec, s[0:1]
	s_barrier
	s_and_saveexec_b64 s[12:13], s[50:51]
	s_cbranch_execz .LBB137_594
; %bb.593:
	v_mov_b32_e32 v25, 0
	ds_read_b64 v[25:26], v25 offset:13520
	s_waitcnt lgkmcnt(0)
	v_mul_f64 v[11:12], v[11:12], v[25:26]
	v_xor_b32_e32 v26, 0x80000000, v12
	v_mov_b32_e32 v25, v11
	ds_write_b64 v18, v[25:26]
.LBB137_594:
	s_or_b64 exec, exec, s[12:13]
	s_waitcnt lgkmcnt(0)
	s_barrier
	s_and_saveexec_b64 s[0:1], s[52:53]
	s_cbranch_execz .LBB137_596
; %bb.595:
	v_lshlrev_b32_e32 v25, 3, v16
	ds_read_b64 v[25:26], v25 offset:13504
	ds_read_b64 v[27:28], v18
	s_waitcnt lgkmcnt(0)
	v_fma_f64 v[11:12], -v[25:26], v[27:28], v[11:12]
.LBB137_596:
	s_or_b64 exec, exec, s[0:1]
	s_barrier
	s_and_saveexec_b64 s[12:13], s[54:55]
	s_cbranch_execz .LBB137_598
; %bb.597:
	v_mov_b32_e32 v25, 0
	ds_read_b64 v[25:26], v25 offset:13000
	s_waitcnt lgkmcnt(0)
	v_mul_f64 v[11:12], v[11:12], v[25:26]
	v_xor_b32_e32 v26, 0x80000000, v12
	v_mov_b32_e32 v25, v11
	ds_write_b64 v18, v[25:26]
.LBB137_598:
	s_or_b64 exec, exec, s[12:13]
	s_waitcnt lgkmcnt(0)
	s_barrier
	s_and_saveexec_b64 s[0:1], s[44:45]
	s_cbranch_execz .LBB137_600
; %bb.599:
	v_mov_b32_e32 v25, 0
	ds_read_b64 v[25:26], v25 offset:12992
	ds_read_b64 v[27:28], v18
	s_waitcnt lgkmcnt(0)
	v_fma_f64 v[11:12], -v[25:26], v[27:28], v[11:12]
.LBB137_600:
	s_or_b64 exec, exec, s[0:1]
	s_barrier
	s_and_saveexec_b64 s[12:13], s[44:45]
	s_cbranch_execz .LBB137_602
; %bb.601:
	v_mov_b32_e32 v25, 0
	ds_read_b64 v[25:26], v25 offset:12480
	s_waitcnt lgkmcnt(0)
	v_mul_f64 v[11:12], v[11:12], v[25:26]
	v_xor_b32_e32 v26, 0x80000000, v12
	v_mov_b32_e32 v25, v11
	ds_write_b64 v18, v[25:26]
.LBB137_602:
	s_or_b64 exec, exec, s[12:13]
	s_waitcnt lgkmcnt(0)
	s_barrier
	s_barrier
	s_and_saveexec_b64 s[0:1], s[18:19]
; %bb.603:
	v_lshlrev_b32_e32 v25, 3, v16
	v_lshl_or_b32 v25, v17, 9, v25
	ds_write_b64 v25, v[11:12] offset:14528
; %bb.604:
	s_or_b64 exec, exec, s[0:1]
	s_waitcnt lgkmcnt(0)
	s_barrier
	s_barrier
	s_and_saveexec_b64 s[12:13], s[56:57]
	s_cbranch_execz .LBB137_606
; %bb.605:
	v_lshlrev_b32_e32 v25, 9, v0
	ds_read_b64 v[11:12], v25 offset:14528
	s_movk_i32 s0, 0xfe08
	v_mad_i32_i24 v26, v0, s0, v25
	s_waitcnt lgkmcnt(0)
	ds_write_b64 v26, v[11:12] offset:12512
	ds_read_b64 v[11:12], v25 offset:14536
	s_waitcnt lgkmcnt(0)
	ds_write_b64 v26, v[11:12] offset:13024
	ds_read_b64 v[11:12], v25 offset:14544
	;; [unrolled: 3-line block ×3, first 2 shown]
	s_waitcnt lgkmcnt(0)
	ds_write_b64 v26, v[11:12] offset:14048
.LBB137_606:
	s_or_b64 exec, exec, s[12:13]
	s_waitcnt lgkmcnt(0)
	s_barrier
	s_and_saveexec_b64 s[12:13], vcc
	s_cbranch_execz .LBB137_608
; %bb.607:
	v_mov_b32_e32 v11, 0
	ds_read_b128 v[25:28], v11 offset:14032
	ds_read_b64 v[11:12], v11 offset:13520
	s_movk_i32 s0, 0x3000
	s_waitcnt lgkmcnt(0)
	v_mul_f64 v[11:12], v[11:12], v[27:28]
	v_mul_f64 v[11:12], v[25:26], v[11:12]
	v_add_u32_e64 v25, s0, 0
	ds_write2_b64 v25, v[11:12], v[11:12] offset0:155 offset1:218
.LBB137_608:
	s_or_b64 exec, exec, s[12:13]
	v_mov_b32_e32 v11, 0
	v_mov_b32_e32 v12, 0
	s_waitcnt lgkmcnt(0)
	s_barrier
	buffer_wbinvl1_vol
	s_and_saveexec_b64 s[14:15], s[2:3]
	s_cbranch_execz .LBB137_612
; %bb.609:
	v_lshlrev_b32_e32 v25, 9, v13
	v_lshlrev_b32_e32 v11, 3, v1
	ds_read_b64 v[11:12], v11 offset:13504
	ds_read_b64 v[25:26], v25 offset:13520
	v_cmp_gt_u32_e64 s[12:13], 2, v15
	s_waitcnt lgkmcnt(0)
	v_fma_f64 v[11:12], v[11:12], v[25:26], 0
	s_and_saveexec_b64 s[0:1], s[12:13]
	s_cbranch_execz .LBB137_611
; %bb.610:
	v_lshlrev_b32_e32 v25, 3, v0
	v_mov_b32_e32 v27, 0
	ds_read_b64 v[25:26], v25 offset:14016
	ds_read_b64 v[27:28], v27 offset:14040
	s_waitcnt lgkmcnt(0)
	v_fma_f64 v[11:12], v[25:26], v[27:28], v[11:12]
.LBB137_611:
	s_or_b64 exec, exec, s[0:1]
.LBB137_612:
	s_or_b64 exec, exec, s[14:15]
	s_and_saveexec_b64 s[12:13], s[40:41]
	s_cbranch_execz .LBB137_614
; %bb.613:
	v_mov_b32_e32 v25, 0
	ds_read_b64 v[25:26], v25 offset:13000
	s_waitcnt lgkmcnt(0)
	v_mul_f64 v[11:12], v[11:12], v[25:26]
	v_xor_b32_e32 v26, 0x80000000, v12
	v_mov_b32_e32 v25, v11
	ds_write_b64 v14, v[25:26]
.LBB137_614:
	s_or_b64 exec, exec, s[12:13]
	s_waitcnt lgkmcnt(0)
	s_barrier
	s_and_saveexec_b64 s[0:1], s[38:39]
	s_cbranch_execz .LBB137_616
; %bb.615:
	v_mov_b32_e32 v25, 0
	ds_read_b64 v[25:26], v25 offset:12992
	ds_read_b64 v[27:28], v14
	s_waitcnt lgkmcnt(0)
	v_fma_f64 v[11:12], -v[25:26], v[27:28], v[11:12]
.LBB137_616:
	s_or_b64 exec, exec, s[0:1]
	s_barrier
	s_and_saveexec_b64 s[12:13], s[38:39]
	s_cbranch_execz .LBB137_618
; %bb.617:
	v_mov_b32_e32 v25, 0
	ds_read_b64 v[25:26], v25 offset:12480
	s_waitcnt lgkmcnt(0)
	v_mul_f64 v[11:12], v[11:12], v[25:26]
	v_xor_b32_e32 v26, 0x80000000, v12
	v_mov_b32_e32 v25, v11
	ds_write_b64 v14, v[25:26]
.LBB137_618:
	s_or_b64 exec, exec, s[12:13]
	s_waitcnt lgkmcnt(0)
	s_barrier
	s_barrier
	s_and_saveexec_b64 s[0:1], s[2:3]
; %bb.619:
	v_lshlrev_b32_e32 v25, 3, v1
	v_lshl_or_b32 v25, v13, 9, v25
	ds_write_b64 v25, v[11:12] offset:13504
; %bb.620:
	s_or_b64 exec, exec, s[0:1]
	s_waitcnt lgkmcnt(0)
	s_barrier
	s_barrier
	s_and_saveexec_b64 s[0:1], s[42:43]
	s_cbranch_execz .LBB137_622
; %bb.621:
	v_lshlrev_b32_e32 v25, 3, v0
	s_movk_i32 s12, 0x1f8
	v_mad_u32_u24 v26, v0, s12, v25
	ds_read_b64 v[11:12], v26 offset:13504
	s_waitcnt lgkmcnt(0)
	ds_write_b64 v25, v[11:12] offset:12496
	ds_read_b64 v[11:12], v26 offset:13512
	s_waitcnt lgkmcnt(0)
	ds_write_b64 v25, v[11:12] offset:13008
.LBB137_622:
	s_or_b64 exec, exec, s[0:1]
	s_waitcnt lgkmcnt(0)
	s_barrier
	s_and_saveexec_b64 s[12:13], vcc
	s_cbranch_execz .LBB137_624
; %bb.623:
	v_mov_b32_e32 v11, 0
	ds_read_b128 v[25:28], v11 offset:12992
	ds_read_b64 v[11:12], v11 offset:12480
	s_movk_i32 s0, 0x3000
	s_waitcnt lgkmcnt(0)
	v_mul_f64 v[11:12], v[11:12], v[27:28]
	v_mul_f64 v[11:12], v[25:26], v[11:12]
	v_add_u32_e64 v25, s0, 0
	ds_write2_b64 v25, v[11:12], v[11:12] offset0:25 offset1:88
.LBB137_624:
	s_or_b64 exec, exec, s[12:13]
	v_mov_b32_e32 v11, 0
	v_mov_b32_e32 v12, 0
	s_waitcnt lgkmcnt(0)
	s_barrier
	buffer_wbinvl1_vol
	s_and_saveexec_b64 s[14:15], s[8:9]
	s_cbranch_execz .LBB137_634
; %bb.625:
	v_lshlrev_b32_e32 v26, 3, v19
	v_lshlrev_b32_e32 v25, 9, v20
	ds_read_b64 v[11:12], v26 offset:12416
	ds_read_b64 v[27:28], v25 offset:12480
	v_cmp_gt_u32_e64 s[12:13], 56, v15
	s_waitcnt lgkmcnt(0)
	v_fma_f64 v[11:12], v[11:12], v[27:28], 0
	s_and_saveexec_b64 s[0:1], s[12:13]
	s_cbranch_execnz .LBB137_1126
; %bb.626:
	s_or_b64 exec, exec, s[0:1]
	v_cmp_gt_u32_e64 s[12:13], 48, v15
	s_and_saveexec_b64 s[0:1], s[12:13]
	s_cbranch_execnz .LBB137_1127
.LBB137_627:
	s_or_b64 exec, exec, s[0:1]
	v_cmp_gt_u32_e64 s[12:13], 40, v15
	s_and_saveexec_b64 s[0:1], s[12:13]
	s_cbranch_execnz .LBB137_1128
.LBB137_628:
	s_or_b64 exec, exec, s[0:1]
	v_cmp_gt_u32_e64 s[12:13], 32, v15
	s_and_saveexec_b64 s[0:1], s[12:13]
	s_cbranch_execnz .LBB137_1129
.LBB137_629:
	s_or_b64 exec, exec, s[0:1]
	v_cmp_gt_u32_e64 s[12:13], 24, v15
	s_and_saveexec_b64 s[0:1], s[12:13]
	s_cbranch_execnz .LBB137_1130
.LBB137_630:
	s_or_b64 exec, exec, s[0:1]
	s_and_saveexec_b64 s[0:1], s[18:19]
	s_cbranch_execnz .LBB137_1131
.LBB137_631:
	s_or_b64 exec, exec, s[0:1]
	v_cmp_gt_u32_e64 s[12:13], 8, v15
	s_and_saveexec_b64 s[0:1], s[12:13]
	s_cbranch_execz .LBB137_633
.LBB137_632:
	v_lshlrev_b32_e32 v25, 3, v0
	v_mov_b32_e32 v27, 0
	ds_read_b64 v[25:26], v25 offset:16000
	ds_read_b64 v[27:28], v27 offset:16120
	s_waitcnt lgkmcnt(0)
	v_fma_f64 v[11:12], v[25:26], v[27:28], v[11:12]
.LBB137_633:
	s_or_b64 exec, exec, s[0:1]
.LBB137_634:
	s_or_b64 exec, exec, s[14:15]
	s_and_saveexec_b64 s[12:13], s[58:59]
	s_cbranch_execz .LBB137_636
; %bb.635:
	v_mov_b32_e32 v25, 0
	ds_read_b64 v[25:26], v25 offset:11960
	s_waitcnt lgkmcnt(0)
	v_mul_f64 v[11:12], v[11:12], v[25:26]
	v_xor_b32_e32 v26, 0x80000000, v12
	v_mov_b32_e32 v25, v11
	ds_write_b64 v21, v[25:26]
.LBB137_636:
	s_or_b64 exec, exec, s[12:13]
	s_waitcnt lgkmcnt(0)
	s_barrier
	s_and_saveexec_b64 s[0:1], s[60:61]
	s_cbranch_execz .LBB137_638
; %bb.637:
	v_lshlrev_b32_e32 v25, 3, v19
	ds_read_b64 v[25:26], v25 offset:11904
	ds_read_b64 v[27:28], v21
	s_waitcnt lgkmcnt(0)
	v_fma_f64 v[11:12], -v[25:26], v[27:28], v[11:12]
.LBB137_638:
	s_or_b64 exec, exec, s[0:1]
	s_barrier
	s_and_saveexec_b64 s[12:13], s[62:63]
	s_cbranch_execz .LBB137_640
; %bb.639:
	v_mov_b32_e32 v25, 0
	ds_read_b64 v[25:26], v25 offset:11440
	s_waitcnt lgkmcnt(0)
	v_mul_f64 v[11:12], v[11:12], v[25:26]
	v_xor_b32_e32 v26, 0x80000000, v12
	v_mov_b32_e32 v25, v11
	ds_write_b64 v21, v[25:26]
.LBB137_640:
	s_or_b64 exec, exec, s[12:13]
	s_waitcnt lgkmcnt(0)
	s_barrier
	s_and_saveexec_b64 s[0:1], s[64:65]
	s_cbranch_execz .LBB137_642
; %bb.641:
	v_lshlrev_b32_e32 v25, 3, v19
	ds_read_b64 v[25:26], v25 offset:11392
	ds_read_b64 v[27:28], v21
	s_waitcnt lgkmcnt(0)
	v_fma_f64 v[11:12], -v[25:26], v[27:28], v[11:12]
.LBB137_642:
	s_or_b64 exec, exec, s[0:1]
	s_barrier
	;; [unrolled: 25-line block ×6, first 2 shown]
	s_and_saveexec_b64 s[12:13], s[84:85]
	s_cbranch_execz .LBB137_660
; %bb.659:
	v_mov_b32_e32 v25, 0
	ds_read_b64 v[25:26], v25 offset:8840
	s_waitcnt lgkmcnt(0)
	v_mul_f64 v[11:12], v[11:12], v[25:26]
	v_xor_b32_e32 v26, 0x80000000, v12
	v_mov_b32_e32 v25, v11
	ds_write_b64 v21, v[25:26]
.LBB137_660:
	s_or_b64 exec, exec, s[12:13]
	s_waitcnt lgkmcnt(0)
	s_barrier
	s_and_saveexec_b64 s[0:1], s[68:69]
	s_cbranch_execz .LBB137_662
; %bb.661:
	v_mov_b32_e32 v25, 0
	ds_read_b64 v[25:26], v25 offset:8832
	ds_read_b64 v[27:28], v21
	s_waitcnt lgkmcnt(0)
	v_fma_f64 v[11:12], -v[25:26], v[27:28], v[11:12]
.LBB137_662:
	s_or_b64 exec, exec, s[0:1]
	s_barrier
	s_and_saveexec_b64 s[12:13], s[68:69]
	s_cbranch_execz .LBB137_664
; %bb.663:
	v_mov_b32_e32 v25, 0
	ds_read_b64 v[25:26], v25 offset:8320
	s_waitcnt lgkmcnt(0)
	v_mul_f64 v[11:12], v[11:12], v[25:26]
	v_xor_b32_e32 v26, 0x80000000, v12
	v_mov_b32_e32 v25, v11
	ds_write_b64 v21, v[25:26]
.LBB137_664:
	s_or_b64 exec, exec, s[12:13]
	s_waitcnt lgkmcnt(0)
	s_barrier
	s_barrier
	s_and_saveexec_b64 s[0:1], s[8:9]
; %bb.665:
	v_lshlrev_b32_e32 v25, 3, v19
	v_lshl_or_b32 v25, v20, 9, v25
	ds_write_b64 v25, v[11:12] offset:12416
; %bb.666:
	s_or_b64 exec, exec, s[0:1]
	s_waitcnt lgkmcnt(0)
	s_barrier
	s_barrier
	s_and_saveexec_b64 s[12:13], s[86:87]
	s_cbranch_execz .LBB137_668
; %bb.667:
	v_lshlrev_b32_e32 v25, 9, v0
	ds_read_b64 v[11:12], v25 offset:12416
	s_movk_i32 s0, 0xfe08
	v_mad_i32_i24 v26, v0, s0, v25
	s_waitcnt lgkmcnt(0)
	ds_write_b64 v26, v[11:12] offset:8384
	ds_read_b64 v[11:12], v25 offset:12424
	s_waitcnt lgkmcnt(0)
	ds_write_b64 v26, v[11:12] offset:8896
	ds_read_b64 v[11:12], v25 offset:12432
	;; [unrolled: 3-line block ×7, first 2 shown]
	s_waitcnt lgkmcnt(0)
	ds_write_b64 v26, v[11:12] offset:11968
.LBB137_668:
	s_or_b64 exec, exec, s[12:13]
	s_waitcnt lgkmcnt(0)
	s_barrier
	s_and_saveexec_b64 s[12:13], vcc
	s_cbranch_execz .LBB137_670
; %bb.669:
	v_mov_b32_e32 v11, 0
	ds_read_b128 v[25:28], v11 offset:11952
	ds_read_b64 v[11:12], v11 offset:11440
	s_movk_i32 s0, 0x2800
	s_waitcnt lgkmcnt(0)
	v_mul_f64 v[11:12], v[11:12], v[27:28]
	v_mul_f64 v[11:12], v[25:26], v[11:12]
	v_add_u32_e64 v25, s0, 0
	ds_write2_b64 v25, v[11:12], v[11:12] offset0:151 offset1:214
.LBB137_670:
	s_or_b64 exec, exec, s[12:13]
	v_mov_b32_e32 v11, 0
	v_mov_b32_e32 v12, 0
	s_waitcnt lgkmcnt(0)
	s_barrier
	buffer_wbinvl1_vol
	s_and_saveexec_b64 s[14:15], s[2:3]
	s_cbranch_execz .LBB137_674
; %bb.671:
	v_lshlrev_b32_e32 v25, 9, v13
	v_lshlrev_b32_e32 v11, 3, v1
	ds_read_b64 v[11:12], v11 offset:11424
	ds_read_b64 v[25:26], v25 offset:11440
	v_cmp_gt_u32_e64 s[12:13], 2, v15
	s_waitcnt lgkmcnt(0)
	v_fma_f64 v[11:12], v[11:12], v[25:26], 0
	s_and_saveexec_b64 s[0:1], s[12:13]
	s_cbranch_execz .LBB137_673
; %bb.672:
	v_lshlrev_b32_e32 v25, 3, v0
	v_mov_b32_e32 v27, 0
	ds_read_b64 v[25:26], v25 offset:11936
	ds_read_b64 v[27:28], v27 offset:11960
	s_waitcnt lgkmcnt(0)
	v_fma_f64 v[11:12], v[25:26], v[27:28], v[11:12]
.LBB137_673:
	s_or_b64 exec, exec, s[0:1]
.LBB137_674:
	s_or_b64 exec, exec, s[14:15]
	s_and_saveexec_b64 s[12:13], s[40:41]
	s_cbranch_execz .LBB137_676
; %bb.675:
	v_mov_b32_e32 v25, 0
	ds_read_b64 v[25:26], v25 offset:10920
	s_waitcnt lgkmcnt(0)
	v_mul_f64 v[11:12], v[11:12], v[25:26]
	v_xor_b32_e32 v26, 0x80000000, v12
	v_mov_b32_e32 v25, v11
	ds_write_b64 v14, v[25:26]
.LBB137_676:
	s_or_b64 exec, exec, s[12:13]
	s_waitcnt lgkmcnt(0)
	s_barrier
	s_and_saveexec_b64 s[0:1], s[38:39]
	s_cbranch_execz .LBB137_678
; %bb.677:
	v_mov_b32_e32 v25, 0
	ds_read_b64 v[25:26], v25 offset:10912
	ds_read_b64 v[27:28], v14
	s_waitcnt lgkmcnt(0)
	v_fma_f64 v[11:12], -v[25:26], v[27:28], v[11:12]
.LBB137_678:
	s_or_b64 exec, exec, s[0:1]
	s_barrier
	s_and_saveexec_b64 s[12:13], s[38:39]
	s_cbranch_execz .LBB137_680
; %bb.679:
	v_mov_b32_e32 v25, 0
	ds_read_b64 v[25:26], v25 offset:10400
	s_waitcnt lgkmcnt(0)
	v_mul_f64 v[11:12], v[11:12], v[25:26]
	v_xor_b32_e32 v26, 0x80000000, v12
	v_mov_b32_e32 v25, v11
	ds_write_b64 v14, v[25:26]
.LBB137_680:
	s_or_b64 exec, exec, s[12:13]
	s_waitcnt lgkmcnt(0)
	s_barrier
	s_barrier
	s_and_saveexec_b64 s[0:1], s[2:3]
; %bb.681:
	v_lshlrev_b32_e32 v25, 3, v1
	v_lshl_or_b32 v25, v13, 9, v25
	ds_write_b64 v25, v[11:12] offset:11424
; %bb.682:
	s_or_b64 exec, exec, s[0:1]
	s_waitcnt lgkmcnt(0)
	s_barrier
	s_barrier
	s_and_saveexec_b64 s[0:1], s[42:43]
	s_cbranch_execz .LBB137_684
; %bb.683:
	v_lshlrev_b32_e32 v25, 3, v0
	s_movk_i32 s12, 0x1f8
	v_mad_u32_u24 v26, v0, s12, v25
	ds_read_b64 v[11:12], v26 offset:11424
	s_waitcnt lgkmcnt(0)
	ds_write_b64 v25, v[11:12] offset:10416
	ds_read_b64 v[11:12], v26 offset:11432
	s_waitcnt lgkmcnt(0)
	ds_write_b64 v25, v[11:12] offset:10928
.LBB137_684:
	s_or_b64 exec, exec, s[0:1]
	s_waitcnt lgkmcnt(0)
	s_barrier
	s_and_saveexec_b64 s[12:13], vcc
	s_cbranch_execz .LBB137_686
; %bb.685:
	v_mov_b32_e32 v11, 0
	ds_read_b128 v[25:28], v11 offset:10912
	ds_read_b64 v[11:12], v11 offset:10400
	s_movk_i32 s0, 0x2800
	s_waitcnt lgkmcnt(0)
	v_mul_f64 v[11:12], v[11:12], v[27:28]
	v_mul_f64 v[11:12], v[25:26], v[11:12]
	v_add_u32_e64 v25, s0, 0
	ds_write2_b64 v25, v[11:12], v[11:12] offset0:21 offset1:84
.LBB137_686:
	s_or_b64 exec, exec, s[12:13]
	v_mov_b32_e32 v11, 0
	v_mov_b32_e32 v12, 0
	s_waitcnt lgkmcnt(0)
	s_barrier
	buffer_wbinvl1_vol
	s_and_saveexec_b64 s[14:15], s[18:19]
	s_cbranch_execz .LBB137_692
; %bb.687:
	v_lshlrev_b32_e32 v26, 3, v16
	v_lshlrev_b32_e32 v25, 9, v17
	ds_read_b64 v[11:12], v26 offset:10368
	ds_read_b64 v[27:28], v25 offset:10400
	v_cmp_gt_u32_e64 s[12:13], 12, v15
	s_waitcnt lgkmcnt(0)
	v_fma_f64 v[11:12], v[11:12], v[27:28], 0
	s_and_saveexec_b64 s[0:1], s[12:13]
	s_cbranch_execnz .LBB137_1132
; %bb.688:
	s_or_b64 exec, exec, s[0:1]
	v_cmp_gt_u32_e64 s[12:13], 8, v15
	s_and_saveexec_b64 s[0:1], s[12:13]
	s_cbranch_execnz .LBB137_1133
.LBB137_689:
	s_or_b64 exec, exec, s[0:1]
	v_cmp_gt_u32_e64 s[12:13], 4, v15
	s_and_saveexec_b64 s[0:1], s[12:13]
	s_cbranch_execz .LBB137_691
.LBB137_690:
	v_lshlrev_b32_e32 v25, 3, v0
	v_mov_b32_e32 v27, 0
	ds_read_b64 v[25:26], v25 offset:11904
	ds_read_b64 v[27:28], v27 offset:11960
	s_waitcnt lgkmcnt(0)
	v_fma_f64 v[11:12], v[25:26], v[27:28], v[11:12]
.LBB137_691:
	s_or_b64 exec, exec, s[0:1]
.LBB137_692:
	s_or_b64 exec, exec, s[14:15]
	s_and_saveexec_b64 s[12:13], s[46:47]
	s_cbranch_execz .LBB137_694
; %bb.693:
	v_mov_b32_e32 v25, 0
	ds_read_b64 v[25:26], v25 offset:9880
	s_waitcnt lgkmcnt(0)
	v_mul_f64 v[11:12], v[11:12], v[25:26]
	v_xor_b32_e32 v26, 0x80000000, v12
	v_mov_b32_e32 v25, v11
	ds_write_b64 v18, v[25:26]
.LBB137_694:
	s_or_b64 exec, exec, s[12:13]
	s_waitcnt lgkmcnt(0)
	s_barrier
	s_and_saveexec_b64 s[0:1], s[48:49]
	s_cbranch_execz .LBB137_696
; %bb.695:
	v_lshlrev_b32_e32 v25, 3, v16
	ds_read_b64 v[25:26], v25 offset:9856
	ds_read_b64 v[27:28], v18
	s_waitcnt lgkmcnt(0)
	v_fma_f64 v[11:12], -v[25:26], v[27:28], v[11:12]
.LBB137_696:
	s_or_b64 exec, exec, s[0:1]
	s_barrier
	s_and_saveexec_b64 s[12:13], s[50:51]
	s_cbranch_execz .LBB137_698
; %bb.697:
	v_mov_b32_e32 v25, 0
	ds_read_b64 v[25:26], v25 offset:9360
	s_waitcnt lgkmcnt(0)
	v_mul_f64 v[11:12], v[11:12], v[25:26]
	v_xor_b32_e32 v26, 0x80000000, v12
	v_mov_b32_e32 v25, v11
	ds_write_b64 v18, v[25:26]
.LBB137_698:
	s_or_b64 exec, exec, s[12:13]
	s_waitcnt lgkmcnt(0)
	s_barrier
	s_and_saveexec_b64 s[0:1], s[52:53]
	s_cbranch_execz .LBB137_700
; %bb.699:
	v_lshlrev_b32_e32 v25, 3, v16
	ds_read_b64 v[25:26], v25 offset:9344
	ds_read_b64 v[27:28], v18
	s_waitcnt lgkmcnt(0)
	v_fma_f64 v[11:12], -v[25:26], v[27:28], v[11:12]
.LBB137_700:
	s_or_b64 exec, exec, s[0:1]
	s_barrier
	s_and_saveexec_b64 s[12:13], s[54:55]
	s_cbranch_execz .LBB137_702
; %bb.701:
	v_mov_b32_e32 v25, 0
	ds_read_b64 v[25:26], v25 offset:8840
	s_waitcnt lgkmcnt(0)
	v_mul_f64 v[11:12], v[11:12], v[25:26]
	v_xor_b32_e32 v26, 0x80000000, v12
	v_mov_b32_e32 v25, v11
	ds_write_b64 v18, v[25:26]
.LBB137_702:
	s_or_b64 exec, exec, s[12:13]
	s_waitcnt lgkmcnt(0)
	s_barrier
	s_and_saveexec_b64 s[0:1], s[44:45]
	s_cbranch_execz .LBB137_704
; %bb.703:
	v_mov_b32_e32 v25, 0
	ds_read_b64 v[25:26], v25 offset:8832
	ds_read_b64 v[27:28], v18
	s_waitcnt lgkmcnt(0)
	v_fma_f64 v[11:12], -v[25:26], v[27:28], v[11:12]
.LBB137_704:
	s_or_b64 exec, exec, s[0:1]
	s_barrier
	s_and_saveexec_b64 s[12:13], s[44:45]
	s_cbranch_execz .LBB137_706
; %bb.705:
	v_mov_b32_e32 v25, 0
	ds_read_b64 v[25:26], v25 offset:8320
	s_waitcnt lgkmcnt(0)
	v_mul_f64 v[11:12], v[11:12], v[25:26]
	v_xor_b32_e32 v26, 0x80000000, v12
	v_mov_b32_e32 v25, v11
	ds_write_b64 v18, v[25:26]
.LBB137_706:
	s_or_b64 exec, exec, s[12:13]
	s_waitcnt lgkmcnt(0)
	s_barrier
	s_barrier
	s_and_saveexec_b64 s[0:1], s[18:19]
; %bb.707:
	v_lshlrev_b32_e32 v25, 3, v16
	v_lshl_or_b32 v25, v17, 9, v25
	ds_write_b64 v25, v[11:12] offset:10368
; %bb.708:
	s_or_b64 exec, exec, s[0:1]
	s_waitcnt lgkmcnt(0)
	s_barrier
	s_barrier
	s_and_saveexec_b64 s[12:13], s[56:57]
	s_cbranch_execz .LBB137_710
; %bb.709:
	v_lshlrev_b32_e32 v25, 9, v0
	ds_read_b64 v[11:12], v25 offset:10368
	s_movk_i32 s0, 0xfe08
	v_mad_i32_i24 v26, v0, s0, v25
	s_waitcnt lgkmcnt(0)
	ds_write_b64 v26, v[11:12] offset:8352
	ds_read_b64 v[11:12], v25 offset:10376
	s_waitcnt lgkmcnt(0)
	ds_write_b64 v26, v[11:12] offset:8864
	ds_read_b64 v[11:12], v25 offset:10384
	;; [unrolled: 3-line block ×3, first 2 shown]
	s_waitcnt lgkmcnt(0)
	ds_write_b64 v26, v[11:12] offset:9888
.LBB137_710:
	s_or_b64 exec, exec, s[12:13]
	s_waitcnt lgkmcnt(0)
	s_barrier
	s_and_saveexec_b64 s[12:13], vcc
	s_cbranch_execz .LBB137_712
; %bb.711:
	v_mov_b32_e32 v11, 0
	ds_read_b128 v[25:28], v11 offset:9872
	ds_read_b64 v[11:12], v11 offset:9360
	s_movk_i32 s0, 0x2000
	s_waitcnt lgkmcnt(0)
	v_mul_f64 v[11:12], v[11:12], v[27:28]
	v_mul_f64 v[11:12], v[25:26], v[11:12]
	v_add_u32_e64 v25, s0, 0
	ds_write2_b64 v25, v[11:12], v[11:12] offset0:147 offset1:210
.LBB137_712:
	s_or_b64 exec, exec, s[12:13]
	v_mov_b32_e32 v11, 0
	v_mov_b32_e32 v12, 0
	s_waitcnt lgkmcnt(0)
	s_barrier
	buffer_wbinvl1_vol
	s_and_saveexec_b64 s[14:15], s[2:3]
	s_cbranch_execz .LBB137_716
; %bb.713:
	v_lshlrev_b32_e32 v25, 9, v13
	v_lshlrev_b32_e32 v11, 3, v1
	ds_read_b64 v[11:12], v11 offset:9344
	ds_read_b64 v[25:26], v25 offset:9360
	v_cmp_gt_u32_e64 s[12:13], 2, v15
	s_waitcnt lgkmcnt(0)
	v_fma_f64 v[11:12], v[11:12], v[25:26], 0
	s_and_saveexec_b64 s[0:1], s[12:13]
	s_cbranch_execz .LBB137_715
; %bb.714:
	v_lshlrev_b32_e32 v25, 3, v0
	v_mov_b32_e32 v27, 0
	ds_read_b64 v[25:26], v25 offset:9856
	ds_read_b64 v[27:28], v27 offset:9880
	s_waitcnt lgkmcnt(0)
	v_fma_f64 v[11:12], v[25:26], v[27:28], v[11:12]
.LBB137_715:
	s_or_b64 exec, exec, s[0:1]
.LBB137_716:
	s_or_b64 exec, exec, s[14:15]
	s_and_saveexec_b64 s[12:13], s[40:41]
	s_cbranch_execz .LBB137_718
; %bb.717:
	v_mov_b32_e32 v25, 0
	ds_read_b64 v[25:26], v25 offset:8840
	s_waitcnt lgkmcnt(0)
	v_mul_f64 v[11:12], v[11:12], v[25:26]
	v_xor_b32_e32 v26, 0x80000000, v12
	v_mov_b32_e32 v25, v11
	ds_write_b64 v14, v[25:26]
.LBB137_718:
	s_or_b64 exec, exec, s[12:13]
	s_waitcnt lgkmcnt(0)
	s_barrier
	s_and_saveexec_b64 s[0:1], s[38:39]
	s_cbranch_execz .LBB137_720
; %bb.719:
	v_mov_b32_e32 v25, 0
	ds_read_b64 v[25:26], v25 offset:8832
	ds_read_b64 v[27:28], v14
	s_waitcnt lgkmcnt(0)
	v_fma_f64 v[11:12], -v[25:26], v[27:28], v[11:12]
.LBB137_720:
	s_or_b64 exec, exec, s[0:1]
	s_barrier
	s_and_saveexec_b64 s[12:13], s[38:39]
	s_cbranch_execz .LBB137_722
; %bb.721:
	v_mov_b32_e32 v25, 0
	ds_read_b64 v[25:26], v25 offset:8320
	s_waitcnt lgkmcnt(0)
	v_mul_f64 v[11:12], v[11:12], v[25:26]
	v_xor_b32_e32 v26, 0x80000000, v12
	v_mov_b32_e32 v25, v11
	ds_write_b64 v14, v[25:26]
.LBB137_722:
	s_or_b64 exec, exec, s[12:13]
	s_waitcnt lgkmcnt(0)
	s_barrier
	s_barrier
	s_and_saveexec_b64 s[0:1], s[2:3]
; %bb.723:
	v_lshlrev_b32_e32 v25, 3, v1
	v_lshl_or_b32 v25, v13, 9, v25
	ds_write_b64 v25, v[11:12] offset:9344
; %bb.724:
	s_or_b64 exec, exec, s[0:1]
	s_waitcnt lgkmcnt(0)
	s_barrier
	s_barrier
	s_and_saveexec_b64 s[0:1], s[42:43]
	s_cbranch_execz .LBB137_726
; %bb.725:
	v_lshlrev_b32_e32 v25, 3, v0
	s_movk_i32 s12, 0x1f8
	v_mad_u32_u24 v26, v0, s12, v25
	ds_read_b64 v[11:12], v26 offset:9344
	s_waitcnt lgkmcnt(0)
	ds_write_b64 v25, v[11:12] offset:8336
	ds_read_b64 v[11:12], v26 offset:9352
	s_waitcnt lgkmcnt(0)
	ds_write_b64 v25, v[11:12] offset:8848
.LBB137_726:
	s_or_b64 exec, exec, s[0:1]
	s_waitcnt lgkmcnt(0)
	s_barrier
	s_and_saveexec_b64 s[12:13], vcc
	s_cbranch_execz .LBB137_728
; %bb.727:
	v_mov_b32_e32 v11, 0
	ds_read_b128 v[25:28], v11 offset:8832
	ds_read_b64 v[11:12], v11 offset:8320
	s_movk_i32 s0, 0x2000
	s_waitcnt lgkmcnt(0)
	v_mul_f64 v[11:12], v[11:12], v[27:28]
	v_mul_f64 v[11:12], v[25:26], v[11:12]
	v_add_u32_e64 v25, s0, 0
	ds_write2_b64 v25, v[11:12], v[11:12] offset0:17 offset1:80
.LBB137_728:
	s_or_b64 exec, exec, s[12:13]
	v_mov_b32_e32 v11, 0
	v_mov_b32_e32 v12, 0
	s_waitcnt lgkmcnt(0)
	s_barrier
	buffer_wbinvl1_vol
	s_and_saveexec_b64 s[14:15], s[10:11]
	s_cbranch_execz .LBB137_756
; %bb.729:
	v_lshlrev_b32_e32 v26, 3, v22
	v_lshlrev_b32_e32 v25, 9, v23
	ds_read_b64 v[11:12], v26 offset:8192
	ds_read_b64 v[27:28], v25 offset:8320
	s_movk_i32 s0, 0xf0
	v_cmp_gt_u32_e64 s[12:13], s0, v15
	s_waitcnt lgkmcnt(0)
	v_fma_f64 v[11:12], v[11:12], v[27:28], 0
	s_and_saveexec_b64 s[0:1], s[12:13]
	s_cbranch_execz .LBB137_731
; %bb.730:
	ds_read_b64 v[27:28], v26 offset:8704
	ds_read_b64 v[29:30], v25 offset:8328
	s_waitcnt lgkmcnt(0)
	v_fma_f64 v[11:12], v[27:28], v[29:30], v[11:12]
.LBB137_731:
	s_or_b64 exec, exec, s[0:1]
	s_movk_i32 s0, 0xe0
	v_cmp_gt_u32_e64 s[12:13], s0, v15
	s_and_saveexec_b64 s[0:1], s[12:13]
	s_cbranch_execz .LBB137_733
; %bb.732:
	ds_read_b64 v[27:28], v26 offset:9216
	ds_read_b64 v[29:30], v25 offset:8336
	s_waitcnt lgkmcnt(0)
	v_fma_f64 v[11:12], v[27:28], v[29:30], v[11:12]
.LBB137_733:
	s_or_b64 exec, exec, s[0:1]
	s_movk_i32 s0, 0xd0
	v_cmp_gt_u32_e64 s[12:13], s0, v15
	;; [unrolled: 11-line block ×10, first 2 shown]
	s_and_saveexec_b64 s[0:1], s[12:13]
	s_cbranch_execnz .LBB137_1134
; %bb.750:
	s_or_b64 exec, exec, s[0:1]
	s_and_saveexec_b64 s[0:1], s[8:9]
	s_cbranch_execnz .LBB137_1135
.LBB137_751:
	s_or_b64 exec, exec, s[0:1]
	v_cmp_gt_u32_e64 s[12:13], 48, v15
	s_and_saveexec_b64 s[0:1], s[12:13]
	s_cbranch_execnz .LBB137_1136
.LBB137_752:
	s_or_b64 exec, exec, s[0:1]
	v_cmp_gt_u32_e64 s[12:13], 32, v15
	s_and_saveexec_b64 s[0:1], s[12:13]
	s_cbranch_execnz .LBB137_1137
.LBB137_753:
	s_or_b64 exec, exec, s[0:1]
	v_cmp_gt_u32_e64 s[12:13], 16, v15
	s_and_saveexec_b64 s[0:1], s[12:13]
	s_cbranch_execz .LBB137_755
.LBB137_754:
	v_lshlrev_b32_e32 v25, 3, v0
	v_mov_b32_e32 v27, 0
	ds_read_b64 v[25:26], v25 offset:15872
	ds_read_b64 v[27:28], v27 offset:16120
	s_waitcnt lgkmcnt(0)
	v_fma_f64 v[11:12], v[25:26], v[27:28], v[11:12]
.LBB137_755:
	s_or_b64 exec, exec, s[0:1]
.LBB137_756:
	s_or_b64 exec, exec, s[14:15]
	s_mov_b64 s[12:13], exec
	v_readlane_b32 s0, v36, 5
	v_readlane_b32 s1, v36, 6
	s_and_b64 s[0:1], s[12:13], s[0:1]
	s_mov_b64 exec, s[0:1]
	s_cbranch_execz .LBB137_758
; %bb.757:
	v_mov_b32_e32 v25, 0
	ds_read_b64 v[25:26], v25 offset:7800
	s_waitcnt lgkmcnt(0)
	v_mul_f64 v[11:12], v[11:12], v[25:26]
	v_xor_b32_e32 v26, 0x80000000, v12
	v_mov_b32_e32 v25, v11
	ds_write_b64 v24, v[25:26]
.LBB137_758:
	s_or_b64 exec, exec, s[12:13]
	s_waitcnt lgkmcnt(0)
	s_barrier
	s_mov_b64 s[0:1], exec
	v_readlane_b32 s12, v36, 7
	v_readlane_b32 s13, v36, 8
	s_and_b64 s[12:13], s[0:1], s[12:13]
	s_mov_b64 exec, s[12:13]
	s_cbranch_execz .LBB137_760
; %bb.759:
	v_lshlrev_b32_e32 v25, 3, v22
	ds_read_b64 v[25:26], v25 offset:7680
	ds_read_b64 v[27:28], v24
	s_waitcnt lgkmcnt(0)
	v_fma_f64 v[11:12], -v[25:26], v[27:28], v[11:12]
.LBB137_760:
	s_or_b64 exec, exec, s[0:1]
	s_barrier
	s_mov_b64 s[12:13], exec
	v_readlane_b32 s0, v36, 9
	v_readlane_b32 s1, v36, 10
	s_and_b64 s[0:1], s[12:13], s[0:1]
	s_mov_b64 exec, s[0:1]
	s_cbranch_execz .LBB137_762
; %bb.761:
	v_mov_b32_e32 v25, 0
	ds_read_b64 v[25:26], v25 offset:7280
	s_waitcnt lgkmcnt(0)
	v_mul_f64 v[11:12], v[11:12], v[25:26]
	v_xor_b32_e32 v26, 0x80000000, v12
	v_mov_b32_e32 v25, v11
	ds_write_b64 v24, v[25:26]
.LBB137_762:
	s_or_b64 exec, exec, s[12:13]
	s_waitcnt lgkmcnt(0)
	s_barrier
	s_mov_b64 s[0:1], exec
	v_readlane_b32 s12, v36, 11
	v_readlane_b32 s13, v36, 12
	s_and_b64 s[12:13], s[0:1], s[12:13]
	s_mov_b64 exec, s[12:13]
	s_cbranch_execz .LBB137_764
; %bb.763:
	v_lshlrev_b32_e32 v25, 3, v22
	ds_read_b64 v[25:26], v25 offset:7168
	ds_read_b64 v[27:28], v24
	s_waitcnt lgkmcnt(0)
	v_fma_f64 v[11:12], -v[25:26], v[27:28], v[11:12]
.LBB137_764:
	s_or_b64 exec, exec, s[0:1]
	s_barrier
	s_mov_b64 s[12:13], exec
	v_readlane_b32 s0, v36, 13
	v_readlane_b32 s1, v36, 14
	s_and_b64 s[0:1], s[12:13], s[0:1]
	s_mov_b64 exec, s[0:1]
	s_cbranch_execz .LBB137_766
; %bb.765:
	v_mov_b32_e32 v25, 0
	ds_read_b64 v[25:26], v25 offset:6760
	s_waitcnt lgkmcnt(0)
	v_mul_f64 v[11:12], v[11:12], v[25:26]
	v_xor_b32_e32 v26, 0x80000000, v12
	v_mov_b32_e32 v25, v11
	ds_write_b64 v24, v[25:26]
.LBB137_766:
	s_or_b64 exec, exec, s[12:13]
	s_waitcnt lgkmcnt(0)
	s_barrier
	s_mov_b64 s[0:1], exec
	v_readlane_b32 s12, v36, 15
	v_readlane_b32 s13, v36, 16
	s_and_b64 s[12:13], s[0:1], s[12:13]
	s_mov_b64 exec, s[12:13]
	s_cbranch_execz .LBB137_768
; %bb.767:
	v_lshlrev_b32_e32 v25, 3, v22
	ds_read_b64 v[25:26], v25 offset:6656
	ds_read_b64 v[27:28], v24
	s_waitcnt lgkmcnt(0)
	v_fma_f64 v[11:12], -v[25:26], v[27:28], v[11:12]
.LBB137_768:
	s_or_b64 exec, exec, s[0:1]
	s_barrier
	s_mov_b64 s[12:13], exec
	v_readlane_b32 s0, v36, 17
	v_readlane_b32 s1, v36, 18
	s_and_b64 s[0:1], s[12:13], s[0:1]
	s_mov_b64 exec, s[0:1]
	s_cbranch_execz .LBB137_770
; %bb.769:
	v_mov_b32_e32 v25, 0
	ds_read_b64 v[25:26], v25 offset:6240
	s_waitcnt lgkmcnt(0)
	v_mul_f64 v[11:12], v[11:12], v[25:26]
	v_xor_b32_e32 v26, 0x80000000, v12
	v_mov_b32_e32 v25, v11
	ds_write_b64 v24, v[25:26]
.LBB137_770:
	s_or_b64 exec, exec, s[12:13]
	s_waitcnt lgkmcnt(0)
	s_barrier
	s_mov_b64 s[0:1], exec
	v_readlane_b32 s12, v36, 19
	v_readlane_b32 s13, v36, 20
	s_and_b64 s[12:13], s[0:1], s[12:13]
	s_mov_b64 exec, s[12:13]
	s_cbranch_execz .LBB137_772
; %bb.771:
	v_lshlrev_b32_e32 v25, 3, v22
	ds_read_b64 v[25:26], v25 offset:6144
	ds_read_b64 v[27:28], v24
	s_waitcnt lgkmcnt(0)
	v_fma_f64 v[11:12], -v[25:26], v[27:28], v[11:12]
.LBB137_772:
	s_or_b64 exec, exec, s[0:1]
	s_barrier
	s_mov_b64 s[12:13], exec
	v_readlane_b32 s0, v36, 21
	v_readlane_b32 s1, v36, 22
	s_and_b64 s[0:1], s[12:13], s[0:1]
	s_mov_b64 exec, s[0:1]
	s_cbranch_execz .LBB137_774
; %bb.773:
	v_mov_b32_e32 v25, 0
	ds_read_b64 v[25:26], v25 offset:5720
	s_waitcnt lgkmcnt(0)
	v_mul_f64 v[11:12], v[11:12], v[25:26]
	v_xor_b32_e32 v26, 0x80000000, v12
	v_mov_b32_e32 v25, v11
	ds_write_b64 v24, v[25:26]
.LBB137_774:
	s_or_b64 exec, exec, s[12:13]
	s_waitcnt lgkmcnt(0)
	s_barrier
	s_mov_b64 s[0:1], exec
	v_readlane_b32 s12, v36, 23
	v_readlane_b32 s13, v36, 24
	s_and_b64 s[12:13], s[0:1], s[12:13]
	s_mov_b64 exec, s[12:13]
	s_cbranch_execz .LBB137_776
; %bb.775:
	v_lshlrev_b32_e32 v25, 3, v22
	ds_read_b64 v[25:26], v25 offset:5632
	ds_read_b64 v[27:28], v24
	s_waitcnt lgkmcnt(0)
	v_fma_f64 v[11:12], -v[25:26], v[27:28], v[11:12]
.LBB137_776:
	s_or_b64 exec, exec, s[0:1]
	s_barrier
	s_mov_b64 s[12:13], exec
	v_readlane_b32 s0, v36, 25
	v_readlane_b32 s1, v36, 26
	s_and_b64 s[0:1], s[12:13], s[0:1]
	s_mov_b64 exec, s[0:1]
	s_cbranch_execz .LBB137_778
; %bb.777:
	v_mov_b32_e32 v25, 0
	ds_read_b64 v[25:26], v25 offset:5200
	s_waitcnt lgkmcnt(0)
	v_mul_f64 v[11:12], v[11:12], v[25:26]
	v_xor_b32_e32 v26, 0x80000000, v12
	v_mov_b32_e32 v25, v11
	ds_write_b64 v24, v[25:26]
.LBB137_778:
	s_or_b64 exec, exec, s[12:13]
	s_waitcnt lgkmcnt(0)
	s_barrier
	s_mov_b64 s[0:1], exec
	v_readlane_b32 s12, v36, 27
	v_readlane_b32 s13, v36, 28
	s_and_b64 s[12:13], s[0:1], s[12:13]
	s_mov_b64 exec, s[12:13]
	s_cbranch_execz .LBB137_780
; %bb.779:
	v_lshlrev_b32_e32 v25, 3, v22
	ds_read_b64 v[25:26], v25 offset:5120
	ds_read_b64 v[27:28], v24
	s_waitcnt lgkmcnt(0)
	v_fma_f64 v[11:12], -v[25:26], v[27:28], v[11:12]
.LBB137_780:
	s_or_b64 exec, exec, s[0:1]
	s_barrier
	s_mov_b64 s[12:13], exec
	v_readlane_b32 s0, v36, 29
	v_readlane_b32 s1, v36, 30
	s_and_b64 s[0:1], s[12:13], s[0:1]
	s_mov_b64 exec, s[0:1]
	s_cbranch_execz .LBB137_782
; %bb.781:
	v_mov_b32_e32 v25, 0
	ds_read_b64 v[25:26], v25 offset:4680
	s_waitcnt lgkmcnt(0)
	v_mul_f64 v[11:12], v[11:12], v[25:26]
	v_xor_b32_e32 v26, 0x80000000, v12
	v_mov_b32_e32 v25, v11
	ds_write_b64 v24, v[25:26]
.LBB137_782:
	s_or_b64 exec, exec, s[12:13]
	s_waitcnt lgkmcnt(0)
	s_barrier
	s_mov_b64 s[0:1], exec
	v_readlane_b32 s12, v36, 31
	v_readlane_b32 s13, v36, 32
	s_and_b64 s[12:13], s[0:1], s[12:13]
	s_mov_b64 exec, s[12:13]
	s_cbranch_execz .LBB137_784
; %bb.783:
	v_lshlrev_b32_e32 v25, 3, v22
	ds_read_b64 v[25:26], v25 offset:4608
	ds_read_b64 v[27:28], v24
	s_waitcnt lgkmcnt(0)
	v_fma_f64 v[11:12], -v[25:26], v[27:28], v[11:12]
.LBB137_784:
	s_or_b64 exec, exec, s[0:1]
	s_barrier
	s_mov_b64 s[12:13], exec
	v_readlane_b32 s0, v36, 33
	v_readlane_b32 s1, v36, 34
	s_and_b64 s[0:1], s[12:13], s[0:1]
	s_mov_b64 exec, s[0:1]
	s_cbranch_execz .LBB137_786
; %bb.785:
	v_mov_b32_e32 v25, 0
	ds_read_b64 v[25:26], v25 offset:4160
	s_waitcnt lgkmcnt(0)
	v_mul_f64 v[11:12], v[11:12], v[25:26]
	v_xor_b32_e32 v26, 0x80000000, v12
	v_mov_b32_e32 v25, v11
	ds_write_b64 v24, v[25:26]
.LBB137_786:
	s_or_b64 exec, exec, s[12:13]
	s_waitcnt lgkmcnt(0)
	s_barrier
	s_mov_b64 s[0:1], exec
	v_readlane_b32 s12, v36, 35
	v_readlane_b32 s13, v36, 36
	s_and_b64 s[12:13], s[0:1], s[12:13]
	s_mov_b64 exec, s[12:13]
	s_cbranch_execz .LBB137_788
; %bb.787:
	v_lshlrev_b32_e32 v25, 3, v22
	ds_read_b64 v[25:26], v25 offset:4096
	ds_read_b64 v[27:28], v24
	s_waitcnt lgkmcnt(0)
	v_fma_f64 v[11:12], -v[25:26], v[27:28], v[11:12]
.LBB137_788:
	s_or_b64 exec, exec, s[0:1]
	s_barrier
	s_mov_b64 s[12:13], exec
	v_readlane_b32 s0, v36, 37
	v_readlane_b32 s1, v36, 38
	s_and_b64 s[0:1], s[12:13], s[0:1]
	s_mov_b64 exec, s[0:1]
	s_cbranch_execz .LBB137_790
; %bb.789:
	v_mov_b32_e32 v25, 0
	ds_read_b64 v[25:26], v25 offset:3640
	s_waitcnt lgkmcnt(0)
	v_mul_f64 v[11:12], v[11:12], v[25:26]
	v_xor_b32_e32 v26, 0x80000000, v12
	v_mov_b32_e32 v25, v11
	ds_write_b64 v24, v[25:26]
.LBB137_790:
	s_or_b64 exec, exec, s[12:13]
	s_waitcnt lgkmcnt(0)
	s_barrier
	s_mov_b64 s[0:1], exec
	v_readlane_b32 s12, v36, 39
	v_readlane_b32 s13, v36, 40
	s_and_b64 s[12:13], s[0:1], s[12:13]
	s_mov_b64 exec, s[12:13]
	s_cbranch_execz .LBB137_792
; %bb.791:
	v_lshlrev_b32_e32 v25, 3, v22
	ds_read_b64 v[25:26], v25 offset:3584
	ds_read_b64 v[27:28], v24
	s_waitcnt lgkmcnt(0)
	v_fma_f64 v[11:12], -v[25:26], v[27:28], v[11:12]
.LBB137_792:
	s_or_b64 exec, exec, s[0:1]
	s_barrier
	s_mov_b64 s[12:13], exec
	v_readlane_b32 s0, v36, 41
	v_readlane_b32 s1, v36, 42
	s_and_b64 s[0:1], s[12:13], s[0:1]
	s_mov_b64 exec, s[0:1]
	s_cbranch_execz .LBB137_794
; %bb.793:
	v_mov_b32_e32 v25, 0
	ds_read_b64 v[25:26], v25 offset:3120
	s_waitcnt lgkmcnt(0)
	v_mul_f64 v[11:12], v[11:12], v[25:26]
	v_xor_b32_e32 v26, 0x80000000, v12
	v_mov_b32_e32 v25, v11
	ds_write_b64 v24, v[25:26]
.LBB137_794:
	s_or_b64 exec, exec, s[12:13]
	s_waitcnt lgkmcnt(0)
	s_barrier
	s_mov_b64 s[0:1], exec
	v_readlane_b32 s12, v36, 43
	v_readlane_b32 s13, v36, 44
	s_and_b64 s[12:13], s[0:1], s[12:13]
	s_mov_b64 exec, s[12:13]
	s_cbranch_execz .LBB137_796
; %bb.795:
	v_lshlrev_b32_e32 v25, 3, v22
	ds_read_b64 v[25:26], v25 offset:3072
	ds_read_b64 v[27:28], v24
	s_waitcnt lgkmcnt(0)
	v_fma_f64 v[11:12], -v[25:26], v[27:28], v[11:12]
.LBB137_796:
	s_or_b64 exec, exec, s[0:1]
	s_barrier
	s_mov_b64 s[12:13], exec
	v_readlane_b32 s0, v36, 45
	v_readlane_b32 s1, v36, 46
	s_and_b64 s[0:1], s[12:13], s[0:1]
	s_mov_b64 exec, s[0:1]
	s_cbranch_execz .LBB137_798
; %bb.797:
	v_mov_b32_e32 v25, 0
	ds_read_b64 v[25:26], v25 offset:2600
	s_waitcnt lgkmcnt(0)
	v_mul_f64 v[11:12], v[11:12], v[25:26]
	v_xor_b32_e32 v26, 0x80000000, v12
	v_mov_b32_e32 v25, v11
	ds_write_b64 v24, v[25:26]
.LBB137_798:
	s_or_b64 exec, exec, s[12:13]
	s_waitcnt lgkmcnt(0)
	s_barrier
	s_mov_b64 s[0:1], exec
	v_readlane_b32 s12, v36, 47
	v_readlane_b32 s13, v36, 48
	s_and_b64 s[12:13], s[0:1], s[12:13]
	s_mov_b64 exec, s[12:13]
	s_cbranch_execz .LBB137_800
; %bb.799:
	v_lshlrev_b32_e32 v25, 3, v22
	ds_read_b64 v[25:26], v25 offset:2560
	ds_read_b64 v[27:28], v24
	s_waitcnt lgkmcnt(0)
	v_fma_f64 v[11:12], -v[25:26], v[27:28], v[11:12]
.LBB137_800:
	s_or_b64 exec, exec, s[0:1]
	s_barrier
	s_mov_b64 s[12:13], exec
	v_readlane_b32 s0, v36, 49
	v_readlane_b32 s1, v36, 50
	s_and_b64 s[0:1], s[12:13], s[0:1]
	s_mov_b64 exec, s[0:1]
	s_cbranch_execz .LBB137_802
; %bb.801:
	v_mov_b32_e32 v25, 0
	ds_read_b64 v[25:26], v25 offset:2080
	s_waitcnt lgkmcnt(0)
	v_mul_f64 v[11:12], v[11:12], v[25:26]
	v_xor_b32_e32 v26, 0x80000000, v12
	v_mov_b32_e32 v25, v11
	ds_write_b64 v24, v[25:26]
.LBB137_802:
	s_or_b64 exec, exec, s[12:13]
	s_waitcnt lgkmcnt(0)
	s_barrier
	s_mov_b64 s[0:1], exec
	v_readlane_b32 s12, v36, 51
	v_readlane_b32 s13, v36, 52
	s_and_b64 s[12:13], s[0:1], s[12:13]
	s_mov_b64 exec, s[12:13]
	s_cbranch_execz .LBB137_804
; %bb.803:
	v_lshlrev_b32_e32 v25, 3, v22
	ds_read_b64 v[25:26], v25 offset:2048
	ds_read_b64 v[27:28], v24
	s_waitcnt lgkmcnt(0)
	v_fma_f64 v[11:12], -v[25:26], v[27:28], v[11:12]
.LBB137_804:
	s_or_b64 exec, exec, s[0:1]
	s_barrier
	s_mov_b64 s[12:13], exec
	v_readlane_b32 s0, v36, 53
	v_readlane_b32 s1, v36, 54
	s_and_b64 s[0:1], s[12:13], s[0:1]
	s_mov_b64 exec, s[0:1]
	s_cbranch_execz .LBB137_806
; %bb.805:
	v_mov_b32_e32 v25, 0
	ds_read_b64 v[25:26], v25 offset:1560
	s_waitcnt lgkmcnt(0)
	v_mul_f64 v[11:12], v[11:12], v[25:26]
	v_xor_b32_e32 v26, 0x80000000, v12
	v_mov_b32_e32 v25, v11
	ds_write_b64 v24, v[25:26]
.LBB137_806:
	s_or_b64 exec, exec, s[12:13]
	s_waitcnt lgkmcnt(0)
	s_barrier
	s_mov_b64 s[0:1], exec
	v_readlane_b32 s12, v36, 55
	v_readlane_b32 s13, v36, 56
	s_and_b64 s[12:13], s[0:1], s[12:13]
	s_mov_b64 exec, s[12:13]
	s_cbranch_execz .LBB137_808
; %bb.807:
	v_lshlrev_b32_e32 v25, 3, v22
	ds_read_b64 v[25:26], v25 offset:1536
	ds_read_b64 v[27:28], v24
	s_waitcnt lgkmcnt(0)
	v_fma_f64 v[11:12], -v[25:26], v[27:28], v[11:12]
.LBB137_808:
	s_or_b64 exec, exec, s[0:1]
	s_barrier
	s_mov_b64 s[12:13], exec
	v_readlane_b32 s0, v36, 57
	v_readlane_b32 s1, v36, 58
	s_and_b64 s[0:1], s[12:13], s[0:1]
	s_mov_b64 exec, s[0:1]
	s_cbranch_execz .LBB137_810
; %bb.809:
	v_mov_b32_e32 v25, 0
	ds_read_b64 v[25:26], v25 offset:1040
	s_waitcnt lgkmcnt(0)
	v_mul_f64 v[11:12], v[11:12], v[25:26]
	v_xor_b32_e32 v26, 0x80000000, v12
	v_mov_b32_e32 v25, v11
	ds_write_b64 v24, v[25:26]
.LBB137_810:
	s_or_b64 exec, exec, s[12:13]
	s_waitcnt lgkmcnt(0)
	s_barrier
	s_mov_b64 s[0:1], exec
	v_readlane_b32 s12, v36, 59
	v_readlane_b32 s13, v36, 60
	s_and_b64 s[12:13], s[0:1], s[12:13]
	s_mov_b64 exec, s[12:13]
	s_cbranch_execz .LBB137_812
; %bb.811:
	v_lshlrev_b32_e32 v25, 3, v22
	ds_read_b64 v[25:26], v25 offset:1024
	ds_read_b64 v[27:28], v24
	s_waitcnt lgkmcnt(0)
	v_fma_f64 v[11:12], -v[25:26], v[27:28], v[11:12]
.LBB137_812:
	s_or_b64 exec, exec, s[0:1]
	s_barrier
	s_mov_b64 s[0:1], exec
	v_readlane_b32 s12, v36, 61
	v_readlane_b32 s13, v36, 62
	s_and_b64 s[12:13], s[0:1], s[12:13]
	s_mov_b64 exec, s[12:13]
	s_cbranch_execz .LBB137_814
; %bb.813:
	v_mov_b32_e32 v25, 0
	ds_read_b64 v[25:26], v25 offset:520
	s_waitcnt lgkmcnt(0)
	v_mul_f64 v[11:12], v[11:12], v[25:26]
	v_xor_b32_e32 v26, 0x80000000, v12
	v_mov_b32_e32 v25, v11
	ds_write_b64 v24, v[25:26]
.LBB137_814:
	s_or_b64 exec, exec, s[0:1]
	s_waitcnt lgkmcnt(0)
	s_barrier
	s_and_saveexec_b64 s[0:1], s[94:95]
	s_cbranch_execz .LBB137_816
; %bb.815:
	v_mov_b32_e32 v25, 0
	ds_read_b64 v[25:26], v25 offset:512
	ds_read_b64 v[27:28], v24
	s_waitcnt lgkmcnt(0)
	v_fma_f64 v[11:12], -v[25:26], v[27:28], v[11:12]
.LBB137_816:
	s_or_b64 exec, exec, s[0:1]
	s_barrier
	s_and_saveexec_b64 s[0:1], s[94:95]
	s_cbranch_execz .LBB137_818
; %bb.817:
	v_mov_b32_e32 v25, 0
	ds_read_b64 v[25:26], v25
	s_waitcnt lgkmcnt(0)
	v_mul_f64 v[11:12], v[11:12], v[25:26]
	v_xor_b32_e32 v26, 0x80000000, v12
	v_mov_b32_e32 v25, v11
	ds_write_b64 v24, v[25:26]
.LBB137_818:
	s_or_b64 exec, exec, s[0:1]
	s_waitcnt lgkmcnt(0)
	s_barrier
	s_barrier
	s_and_saveexec_b64 s[0:1], s[10:11]
; %bb.819:
	v_lshlrev_b32_e32 v22, 3, v22
	v_lshl_or_b32 v22, v23, 9, v22
	ds_write_b64 v22, v[11:12] offset:8192
; %bb.820:
	s_or_b64 exec, exec, s[0:1]
	s_waitcnt lgkmcnt(0)
	s_barrier
	s_barrier
	s_and_saveexec_b64 s[0:1], s[90:91]
	s_cbranch_execz .LBB137_822
; %bb.821:
	v_lshlrev_b32_e32 v22, 9, v0
	ds_read_b64 v[11:12], v22 offset:8192
	s_movk_i32 s10, 0xfe08
	v_mad_i32_i24 v23, v0, s10, v22
	s_waitcnt lgkmcnt(0)
	ds_write_b64 v23, v[11:12] offset:128
	ds_read_b64 v[11:12], v22 offset:8200
	s_waitcnt lgkmcnt(0)
	ds_write_b64 v23, v[11:12] offset:640
	ds_read_b64 v[11:12], v22 offset:8208
	;; [unrolled: 3-line block ×15, first 2 shown]
	s_waitcnt lgkmcnt(0)
	ds_write_b64 v23, v[11:12] offset:7808
.LBB137_822:
	s_or_b64 exec, exec, s[0:1]
	s_waitcnt lgkmcnt(0)
	s_barrier
	s_and_saveexec_b64 s[0:1], vcc
	s_cbranch_execz .LBB137_824
; %bb.823:
	v_mov_b32_e32 v11, 0
	ds_read_b128 v[22:25], v11 offset:7792
	ds_read_b64 v[11:12], v11 offset:7280
	s_movk_i32 s10, 0x1800
	s_waitcnt lgkmcnt(0)
	v_mul_f64 v[11:12], v[11:12], v[24:25]
	v_mul_f64 v[11:12], v[22:23], v[11:12]
	v_add_u32_e64 v22, s10, 0
	ds_write2_b64 v22, v[11:12], v[11:12] offset0:143 offset1:206
.LBB137_824:
	s_or_b64 exec, exec, s[0:1]
	v_mov_b32_e32 v11, 0
	v_mov_b32_e32 v12, 0
	s_waitcnt lgkmcnt(0)
	s_barrier
	buffer_wbinvl1_vol
	s_and_saveexec_b64 s[0:1], s[2:3]
	s_cbranch_execz .LBB137_828
; %bb.825:
	v_lshlrev_b32_e32 v22, 9, v13
	v_lshlrev_b32_e32 v11, 3, v1
	ds_read_b64 v[11:12], v11 offset:7264
	ds_read_b64 v[22:23], v22 offset:7280
	v_cmp_gt_u32_e64 s[10:11], 2, v15
	s_waitcnt lgkmcnt(0)
	v_fma_f64 v[11:12], v[11:12], v[22:23], 0
	s_and_saveexec_b64 s[12:13], s[10:11]
	s_cbranch_execz .LBB137_827
; %bb.826:
	v_lshlrev_b32_e32 v22, 3, v0
	v_mov_b32_e32 v24, 0
	ds_read_b64 v[22:23], v22 offset:7776
	ds_read_b64 v[24:25], v24 offset:7800
	s_waitcnt lgkmcnt(0)
	v_fma_f64 v[11:12], v[22:23], v[24:25], v[11:12]
.LBB137_827:
	s_or_b64 exec, exec, s[12:13]
.LBB137_828:
	s_or_b64 exec, exec, s[0:1]
	s_and_saveexec_b64 s[0:1], s[40:41]
	s_cbranch_execz .LBB137_830
; %bb.829:
	v_mov_b32_e32 v22, 0
	ds_read_b64 v[22:23], v22 offset:6760
	s_waitcnt lgkmcnt(0)
	v_mul_f64 v[11:12], v[11:12], v[22:23]
	v_xor_b32_e32 v23, 0x80000000, v12
	v_mov_b32_e32 v22, v11
	ds_write_b64 v14, v[22:23]
.LBB137_830:
	s_or_b64 exec, exec, s[0:1]
	s_waitcnt lgkmcnt(0)
	s_barrier
	s_and_saveexec_b64 s[0:1], s[38:39]
	s_cbranch_execz .LBB137_832
; %bb.831:
	v_mov_b32_e32 v22, 0
	ds_read_b64 v[22:23], v22 offset:6752
	ds_read_b64 v[24:25], v14
	s_waitcnt lgkmcnt(0)
	v_fma_f64 v[11:12], -v[22:23], v[24:25], v[11:12]
.LBB137_832:
	s_or_b64 exec, exec, s[0:1]
	s_barrier
	s_and_saveexec_b64 s[0:1], s[38:39]
	s_cbranch_execz .LBB137_834
; %bb.833:
	v_mov_b32_e32 v22, 0
	ds_read_b64 v[22:23], v22 offset:6240
	s_waitcnt lgkmcnt(0)
	v_mul_f64 v[11:12], v[11:12], v[22:23]
	v_xor_b32_e32 v23, 0x80000000, v12
	v_mov_b32_e32 v22, v11
	ds_write_b64 v14, v[22:23]
.LBB137_834:
	s_or_b64 exec, exec, s[0:1]
	s_waitcnt lgkmcnt(0)
	s_barrier
	s_barrier
	s_and_saveexec_b64 s[0:1], s[2:3]
; %bb.835:
	v_lshlrev_b32_e32 v22, 3, v1
	v_lshl_or_b32 v22, v13, 9, v22
	ds_write_b64 v22, v[11:12] offset:7264
; %bb.836:
	s_or_b64 exec, exec, s[0:1]
	s_waitcnt lgkmcnt(0)
	s_barrier
	s_barrier
	s_and_saveexec_b64 s[0:1], s[42:43]
	s_cbranch_execz .LBB137_838
; %bb.837:
	v_lshlrev_b32_e32 v22, 3, v0
	s_movk_i32 s10, 0x1f8
	v_mad_u32_u24 v23, v0, s10, v22
	ds_read_b64 v[11:12], v23 offset:7264
	s_waitcnt lgkmcnt(0)
	ds_write_b64 v22, v[11:12] offset:6256
	ds_read_b64 v[11:12], v23 offset:7272
	s_waitcnt lgkmcnt(0)
	ds_write_b64 v22, v[11:12] offset:6768
.LBB137_838:
	s_or_b64 exec, exec, s[0:1]
	s_waitcnt lgkmcnt(0)
	s_barrier
	s_and_saveexec_b64 s[0:1], vcc
	s_cbranch_execz .LBB137_840
; %bb.839:
	v_mov_b32_e32 v11, 0
	ds_read_b128 v[22:25], v11 offset:6752
	ds_read_b64 v[11:12], v11 offset:6240
	s_movk_i32 s10, 0x1800
	s_waitcnt lgkmcnt(0)
	v_mul_f64 v[11:12], v[11:12], v[24:25]
	v_mul_f64 v[11:12], v[22:23], v[11:12]
	v_add_u32_e64 v22, s10, 0
	ds_write2_b64 v22, v[11:12], v[11:12] offset0:13 offset1:76
.LBB137_840:
	s_or_b64 exec, exec, s[0:1]
	v_mov_b32_e32 v11, 0
	v_mov_b32_e32 v12, 0
	s_waitcnt lgkmcnt(0)
	s_barrier
	buffer_wbinvl1_vol
	s_and_saveexec_b64 s[0:1], s[18:19]
	s_cbranch_execz .LBB137_846
; %bb.841:
	v_lshlrev_b32_e32 v23, 3, v16
	v_lshlrev_b32_e32 v22, 9, v17
	ds_read_b64 v[11:12], v23 offset:6208
	ds_read_b64 v[24:25], v22 offset:6240
	v_cmp_gt_u32_e64 s[10:11], 12, v15
	s_waitcnt lgkmcnt(0)
	v_fma_f64 v[11:12], v[11:12], v[24:25], 0
	s_and_saveexec_b64 s[12:13], s[10:11]
	s_cbranch_execnz .LBB137_1138
; %bb.842:
	s_or_b64 exec, exec, s[12:13]
	v_cmp_gt_u32_e64 s[10:11], 8, v15
	s_and_saveexec_b64 s[12:13], s[10:11]
	s_cbranch_execnz .LBB137_1139
.LBB137_843:
	s_or_b64 exec, exec, s[12:13]
	v_cmp_gt_u32_e64 s[10:11], 4, v15
	s_and_saveexec_b64 s[12:13], s[10:11]
	s_cbranch_execz .LBB137_845
.LBB137_844:
	v_lshlrev_b32_e32 v22, 3, v0
	v_mov_b32_e32 v24, 0
	ds_read_b64 v[22:23], v22 offset:7744
	ds_read_b64 v[24:25], v24 offset:7800
	s_waitcnt lgkmcnt(0)
	v_fma_f64 v[11:12], v[22:23], v[24:25], v[11:12]
.LBB137_845:
	s_or_b64 exec, exec, s[12:13]
.LBB137_846:
	s_or_b64 exec, exec, s[0:1]
	s_and_saveexec_b64 s[0:1], s[46:47]
	s_cbranch_execz .LBB137_848
; %bb.847:
	v_mov_b32_e32 v22, 0
	ds_read_b64 v[22:23], v22 offset:5720
	s_waitcnt lgkmcnt(0)
	v_mul_f64 v[11:12], v[11:12], v[22:23]
	v_xor_b32_e32 v23, 0x80000000, v12
	v_mov_b32_e32 v22, v11
	ds_write_b64 v18, v[22:23]
.LBB137_848:
	s_or_b64 exec, exec, s[0:1]
	s_waitcnt lgkmcnt(0)
	s_barrier
	s_and_saveexec_b64 s[0:1], s[48:49]
	s_cbranch_execz .LBB137_850
; %bb.849:
	v_lshlrev_b32_e32 v22, 3, v16
	ds_read_b64 v[22:23], v22 offset:5696
	ds_read_b64 v[24:25], v18
	s_waitcnt lgkmcnt(0)
	v_fma_f64 v[11:12], -v[22:23], v[24:25], v[11:12]
.LBB137_850:
	s_or_b64 exec, exec, s[0:1]
	s_barrier
	s_and_saveexec_b64 s[0:1], s[50:51]
	s_cbranch_execz .LBB137_852
; %bb.851:
	v_mov_b32_e32 v22, 0
	ds_read_b64 v[22:23], v22 offset:5200
	s_waitcnt lgkmcnt(0)
	v_mul_f64 v[11:12], v[11:12], v[22:23]
	v_xor_b32_e32 v23, 0x80000000, v12
	v_mov_b32_e32 v22, v11
	ds_write_b64 v18, v[22:23]
.LBB137_852:
	s_or_b64 exec, exec, s[0:1]
	s_waitcnt lgkmcnt(0)
	s_barrier
	s_and_saveexec_b64 s[0:1], s[52:53]
	s_cbranch_execz .LBB137_854
; %bb.853:
	v_lshlrev_b32_e32 v22, 3, v16
	ds_read_b64 v[22:23], v22 offset:5184
	ds_read_b64 v[24:25], v18
	s_waitcnt lgkmcnt(0)
	v_fma_f64 v[11:12], -v[22:23], v[24:25], v[11:12]
.LBB137_854:
	s_or_b64 exec, exec, s[0:1]
	s_barrier
	s_and_saveexec_b64 s[0:1], s[54:55]
	s_cbranch_execz .LBB137_856
; %bb.855:
	v_mov_b32_e32 v22, 0
	ds_read_b64 v[22:23], v22 offset:4680
	s_waitcnt lgkmcnt(0)
	v_mul_f64 v[11:12], v[11:12], v[22:23]
	v_xor_b32_e32 v23, 0x80000000, v12
	v_mov_b32_e32 v22, v11
	ds_write_b64 v18, v[22:23]
.LBB137_856:
	s_or_b64 exec, exec, s[0:1]
	s_waitcnt lgkmcnt(0)
	s_barrier
	s_and_saveexec_b64 s[0:1], s[44:45]
	s_cbranch_execz .LBB137_858
; %bb.857:
	v_mov_b32_e32 v22, 0
	ds_read_b64 v[22:23], v22 offset:4672
	ds_read_b64 v[24:25], v18
	s_waitcnt lgkmcnt(0)
	v_fma_f64 v[11:12], -v[22:23], v[24:25], v[11:12]
.LBB137_858:
	s_or_b64 exec, exec, s[0:1]
	s_barrier
	s_and_saveexec_b64 s[0:1], s[44:45]
	s_cbranch_execz .LBB137_860
; %bb.859:
	v_mov_b32_e32 v22, 0
	ds_read_b64 v[22:23], v22 offset:4160
	s_waitcnt lgkmcnt(0)
	v_mul_f64 v[11:12], v[11:12], v[22:23]
	v_xor_b32_e32 v23, 0x80000000, v12
	v_mov_b32_e32 v22, v11
	ds_write_b64 v18, v[22:23]
.LBB137_860:
	s_or_b64 exec, exec, s[0:1]
	s_waitcnt lgkmcnt(0)
	s_barrier
	s_barrier
	s_and_saveexec_b64 s[0:1], s[18:19]
; %bb.861:
	v_lshlrev_b32_e32 v22, 3, v16
	v_lshl_or_b32 v22, v17, 9, v22
	ds_write_b64 v22, v[11:12] offset:6208
; %bb.862:
	s_or_b64 exec, exec, s[0:1]
	s_waitcnt lgkmcnt(0)
	s_barrier
	s_barrier
	s_and_saveexec_b64 s[0:1], s[56:57]
	s_cbranch_execz .LBB137_864
; %bb.863:
	v_lshlrev_b32_e32 v22, 9, v0
	ds_read_b64 v[11:12], v22 offset:6208
	s_movk_i32 s10, 0xfe08
	v_mad_i32_i24 v23, v0, s10, v22
	s_waitcnt lgkmcnt(0)
	ds_write_b64 v23, v[11:12] offset:4192
	ds_read_b64 v[11:12], v22 offset:6216
	s_waitcnt lgkmcnt(0)
	ds_write_b64 v23, v[11:12] offset:4704
	ds_read_b64 v[11:12], v22 offset:6224
	;; [unrolled: 3-line block ×3, first 2 shown]
	s_waitcnt lgkmcnt(0)
	ds_write_b64 v23, v[11:12] offset:5728
.LBB137_864:
	s_or_b64 exec, exec, s[0:1]
	s_waitcnt lgkmcnt(0)
	s_barrier
	s_and_saveexec_b64 s[0:1], vcc
	s_cbranch_execz .LBB137_866
; %bb.865:
	v_mov_b32_e32 v11, 0
	ds_read_b128 v[22:25], v11 offset:5712
	ds_read_b64 v[11:12], v11 offset:5200
	s_movk_i32 s10, 0x1000
	s_waitcnt lgkmcnt(0)
	v_mul_f64 v[11:12], v[11:12], v[24:25]
	v_mul_f64 v[11:12], v[22:23], v[11:12]
	v_add_u32_e64 v22, s10, 0
	ds_write2_b64 v22, v[11:12], v[11:12] offset0:139 offset1:202
.LBB137_866:
	s_or_b64 exec, exec, s[0:1]
	v_mov_b32_e32 v11, 0
	v_mov_b32_e32 v12, 0
	s_waitcnt lgkmcnt(0)
	s_barrier
	buffer_wbinvl1_vol
	s_and_saveexec_b64 s[0:1], s[2:3]
	s_cbranch_execz .LBB137_870
; %bb.867:
	v_lshlrev_b32_e32 v22, 9, v13
	v_lshlrev_b32_e32 v11, 3, v1
	ds_read_b64 v[11:12], v11 offset:5184
	ds_read_b64 v[22:23], v22 offset:5200
	v_cmp_gt_u32_e64 s[10:11], 2, v15
	s_waitcnt lgkmcnt(0)
	v_fma_f64 v[11:12], v[11:12], v[22:23], 0
	s_and_saveexec_b64 s[12:13], s[10:11]
	s_cbranch_execz .LBB137_869
; %bb.868:
	v_lshlrev_b32_e32 v22, 3, v0
	v_mov_b32_e32 v24, 0
	ds_read_b64 v[22:23], v22 offset:5696
	ds_read_b64 v[24:25], v24 offset:5720
	s_waitcnt lgkmcnt(0)
	v_fma_f64 v[11:12], v[22:23], v[24:25], v[11:12]
.LBB137_869:
	s_or_b64 exec, exec, s[12:13]
.LBB137_870:
	s_or_b64 exec, exec, s[0:1]
	s_and_saveexec_b64 s[0:1], s[40:41]
	s_cbranch_execz .LBB137_872
; %bb.871:
	v_mov_b32_e32 v22, 0
	ds_read_b64 v[22:23], v22 offset:4680
	s_waitcnt lgkmcnt(0)
	v_mul_f64 v[11:12], v[11:12], v[22:23]
	v_xor_b32_e32 v23, 0x80000000, v12
	v_mov_b32_e32 v22, v11
	ds_write_b64 v14, v[22:23]
.LBB137_872:
	s_or_b64 exec, exec, s[0:1]
	s_waitcnt lgkmcnt(0)
	s_barrier
	s_and_saveexec_b64 s[0:1], s[38:39]
	s_cbranch_execz .LBB137_874
; %bb.873:
	v_mov_b32_e32 v22, 0
	ds_read_b64 v[22:23], v22 offset:4672
	ds_read_b64 v[24:25], v14
	s_waitcnt lgkmcnt(0)
	v_fma_f64 v[11:12], -v[22:23], v[24:25], v[11:12]
.LBB137_874:
	s_or_b64 exec, exec, s[0:1]
	s_barrier
	s_and_saveexec_b64 s[0:1], s[38:39]
	s_cbranch_execz .LBB137_876
; %bb.875:
	v_mov_b32_e32 v22, 0
	ds_read_b64 v[22:23], v22 offset:4160
	s_waitcnt lgkmcnt(0)
	v_mul_f64 v[11:12], v[11:12], v[22:23]
	v_xor_b32_e32 v23, 0x80000000, v12
	v_mov_b32_e32 v22, v11
	ds_write_b64 v14, v[22:23]
.LBB137_876:
	s_or_b64 exec, exec, s[0:1]
	s_waitcnt lgkmcnt(0)
	s_barrier
	s_barrier
	s_and_saveexec_b64 s[0:1], s[2:3]
; %bb.877:
	v_lshlrev_b32_e32 v22, 3, v1
	v_lshl_or_b32 v22, v13, 9, v22
	ds_write_b64 v22, v[11:12] offset:5184
; %bb.878:
	s_or_b64 exec, exec, s[0:1]
	s_waitcnt lgkmcnt(0)
	s_barrier
	s_barrier
	s_and_saveexec_b64 s[0:1], s[42:43]
	s_cbranch_execz .LBB137_880
; %bb.879:
	v_lshlrev_b32_e32 v22, 3, v0
	s_movk_i32 s10, 0x1f8
	v_mad_u32_u24 v23, v0, s10, v22
	ds_read_b64 v[11:12], v23 offset:5184
	s_waitcnt lgkmcnt(0)
	ds_write_b64 v22, v[11:12] offset:4176
	ds_read_b64 v[11:12], v23 offset:5192
	s_waitcnt lgkmcnt(0)
	ds_write_b64 v22, v[11:12] offset:4688
.LBB137_880:
	s_or_b64 exec, exec, s[0:1]
	s_waitcnt lgkmcnt(0)
	s_barrier
	s_and_saveexec_b64 s[0:1], vcc
	s_cbranch_execz .LBB137_882
; %bb.881:
	v_mov_b32_e32 v11, 0
	ds_read_b128 v[22:25], v11 offset:4672
	ds_read_b64 v[11:12], v11 offset:4160
	s_movk_i32 s10, 0x1000
	s_waitcnt lgkmcnt(0)
	v_mul_f64 v[11:12], v[11:12], v[24:25]
	v_mul_f64 v[11:12], v[22:23], v[11:12]
	v_add_u32_e64 v22, s10, 0
	ds_write2_b64 v22, v[11:12], v[11:12] offset0:9 offset1:72
.LBB137_882:
	s_or_b64 exec, exec, s[0:1]
	v_mov_b32_e32 v11, 0
	v_mov_b32_e32 v12, 0
	s_waitcnt lgkmcnt(0)
	s_barrier
	buffer_wbinvl1_vol
	s_and_saveexec_b64 s[0:1], s[8:9]
	s_cbranch_execz .LBB137_892
; %bb.883:
	v_lshlrev_b32_e32 v23, 3, v19
	v_lshlrev_b32_e32 v22, 9, v20
	ds_read_b64 v[11:12], v23 offset:4096
	ds_read_b64 v[24:25], v22 offset:4160
	v_cmp_gt_u32_e64 s[10:11], 56, v15
	s_waitcnt lgkmcnt(0)
	v_fma_f64 v[11:12], v[11:12], v[24:25], 0
	s_and_saveexec_b64 s[12:13], s[10:11]
	s_cbranch_execnz .LBB137_1140
; %bb.884:
	s_or_b64 exec, exec, s[12:13]
	v_cmp_gt_u32_e64 s[10:11], 48, v15
	s_and_saveexec_b64 s[12:13], s[10:11]
	s_cbranch_execnz .LBB137_1141
.LBB137_885:
	s_or_b64 exec, exec, s[12:13]
	v_cmp_gt_u32_e64 s[10:11], 40, v15
	s_and_saveexec_b64 s[12:13], s[10:11]
	s_cbranch_execnz .LBB137_1142
.LBB137_886:
	s_or_b64 exec, exec, s[12:13]
	v_cmp_gt_u32_e64 s[10:11], 32, v15
	s_and_saveexec_b64 s[12:13], s[10:11]
	s_cbranch_execnz .LBB137_1143
.LBB137_887:
	s_or_b64 exec, exec, s[12:13]
	v_cmp_gt_u32_e64 s[10:11], 24, v15
	s_and_saveexec_b64 s[12:13], s[10:11]
	s_cbranch_execnz .LBB137_1144
.LBB137_888:
	s_or_b64 exec, exec, s[12:13]
	s_and_saveexec_b64 s[10:11], s[18:19]
	s_cbranch_execnz .LBB137_1145
.LBB137_889:
	s_or_b64 exec, exec, s[10:11]
	v_cmp_gt_u32_e64 s[10:11], 8, v15
	s_and_saveexec_b64 s[12:13], s[10:11]
	s_cbranch_execz .LBB137_891
.LBB137_890:
	v_lshlrev_b32_e32 v22, 3, v0
	v_mov_b32_e32 v24, 0
	ds_read_b64 v[22:23], v22 offset:7680
	ds_read_b64 v[24:25], v24 offset:7800
	s_waitcnt lgkmcnt(0)
	v_fma_f64 v[11:12], v[22:23], v[24:25], v[11:12]
.LBB137_891:
	s_or_b64 exec, exec, s[12:13]
.LBB137_892:
	s_or_b64 exec, exec, s[0:1]
	s_and_saveexec_b64 s[0:1], s[58:59]
	s_cbranch_execz .LBB137_894
; %bb.893:
	v_mov_b32_e32 v22, 0
	ds_read_b64 v[22:23], v22 offset:3640
	s_waitcnt lgkmcnt(0)
	v_mul_f64 v[11:12], v[11:12], v[22:23]
	v_xor_b32_e32 v23, 0x80000000, v12
	v_mov_b32_e32 v22, v11
	ds_write_b64 v21, v[22:23]
.LBB137_894:
	s_or_b64 exec, exec, s[0:1]
	s_waitcnt lgkmcnt(0)
	s_barrier
	s_and_saveexec_b64 s[0:1], s[60:61]
	v_readlane_b32 s20, v36, 3
	v_readlane_b32 s58, v36, 1
	;; [unrolled: 1-line block ×4, first 2 shown]
	s_cbranch_execz .LBB137_896
; %bb.895:
	v_lshlrev_b32_e32 v22, 3, v19
	ds_read_b64 v[22:23], v22 offset:3584
	ds_read_b64 v[24:25], v21
	s_waitcnt lgkmcnt(0)
	v_fma_f64 v[11:12], -v[22:23], v[24:25], v[11:12]
.LBB137_896:
	s_or_b64 exec, exec, s[0:1]
	s_barrier
	s_and_saveexec_b64 s[0:1], s[62:63]
	s_cbranch_execz .LBB137_898
; %bb.897:
	v_mov_b32_e32 v22, 0
	ds_read_b64 v[22:23], v22 offset:3120
	s_waitcnt lgkmcnt(0)
	v_mul_f64 v[11:12], v[11:12], v[22:23]
	v_xor_b32_e32 v23, 0x80000000, v12
	v_mov_b32_e32 v22, v11
	ds_write_b64 v21, v[22:23]
.LBB137_898:
	s_or_b64 exec, exec, s[0:1]
	s_waitcnt lgkmcnt(0)
	s_barrier
	s_and_saveexec_b64 s[0:1], s[64:65]
	s_cbranch_execz .LBB137_900
; %bb.899:
	v_lshlrev_b32_e32 v22, 3, v19
	ds_read_b64 v[22:23], v22 offset:3072
	ds_read_b64 v[24:25], v21
	s_waitcnt lgkmcnt(0)
	v_fma_f64 v[11:12], -v[22:23], v[24:25], v[11:12]
.LBB137_900:
	s_or_b64 exec, exec, s[0:1]
	s_barrier
	s_and_saveexec_b64 s[0:1], s[66:67]
	s_cbranch_execz .LBB137_902
; %bb.901:
	v_mov_b32_e32 v22, 0
	ds_read_b64 v[22:23], v22 offset:2600
	s_waitcnt lgkmcnt(0)
	v_mul_f64 v[11:12], v[11:12], v[22:23]
	v_xor_b32_e32 v23, 0x80000000, v12
	v_mov_b32_e32 v22, v11
	ds_write_b64 v21, v[22:23]
.LBB137_902:
	s_or_b64 exec, exec, s[0:1]
	s_waitcnt lgkmcnt(0)
	s_barrier
	s_and_saveexec_b64 s[0:1], s[70:71]
	;; [unrolled: 25-line block ×6, first 2 shown]
	s_cbranch_execz .LBB137_920
; %bb.919:
	v_mov_b32_e32 v22, 0
	ds_read_b64 v[22:23], v22 offset:512
	ds_read_b64 v[24:25], v21
	s_waitcnt lgkmcnt(0)
	v_fma_f64 v[11:12], -v[22:23], v[24:25], v[11:12]
.LBB137_920:
	s_or_b64 exec, exec, s[0:1]
	s_barrier
	s_and_saveexec_b64 s[0:1], s[68:69]
	s_cbranch_execz .LBB137_922
; %bb.921:
	v_mov_b32_e32 v22, 0
	ds_read_b64 v[22:23], v22
	s_waitcnt lgkmcnt(0)
	v_mul_f64 v[11:12], v[11:12], v[22:23]
	v_xor_b32_e32 v23, 0x80000000, v12
	v_mov_b32_e32 v22, v11
	ds_write_b64 v21, v[22:23]
.LBB137_922:
	s_or_b64 exec, exec, s[0:1]
	s_waitcnt lgkmcnt(0)
	s_barrier
	s_barrier
	s_and_saveexec_b64 s[0:1], s[8:9]
; %bb.923:
	v_lshlrev_b32_e32 v19, 3, v19
	v_lshl_or_b32 v19, v20, 9, v19
	ds_write_b64 v19, v[11:12] offset:4096
; %bb.924:
	s_or_b64 exec, exec, s[0:1]
	s_waitcnt lgkmcnt(0)
	s_barrier
	s_barrier
	s_and_saveexec_b64 s[0:1], s[86:87]
	s_cbranch_execz .LBB137_926
; %bb.925:
	v_lshlrev_b32_e32 v19, 9, v0
	ds_read_b64 v[11:12], v19 offset:4096
	s_movk_i32 s8, 0xfe08
	v_mad_i32_i24 v20, v0, s8, v19
	s_waitcnt lgkmcnt(0)
	ds_write_b64 v20, v[11:12] offset:64
	ds_read_b64 v[11:12], v19 offset:4104
	s_waitcnt lgkmcnt(0)
	ds_write_b64 v20, v[11:12] offset:576
	ds_read_b64 v[11:12], v19 offset:4112
	s_waitcnt lgkmcnt(0)
	ds_write_b64 v20, v[11:12] offset:1088
	ds_read_b64 v[11:12], v19 offset:4120
	s_waitcnt lgkmcnt(0)
	ds_write_b64 v20, v[11:12] offset:1600
	ds_read_b64 v[11:12], v19 offset:4128
	s_waitcnt lgkmcnt(0)
	ds_write_b64 v20, v[11:12] offset:2112
	ds_read_b64 v[11:12], v19 offset:4136
	s_waitcnt lgkmcnt(0)
	ds_write_b64 v20, v[11:12] offset:2624
	ds_read_b64 v[11:12], v19 offset:4144
	s_waitcnt lgkmcnt(0)
	ds_write_b64 v20, v[11:12] offset:3136
	ds_read_b64 v[11:12], v19 offset:4152
	s_waitcnt lgkmcnt(0)
	ds_write_b64 v20, v[11:12] offset:3648
.LBB137_926:
	s_or_b64 exec, exec, s[0:1]
	s_waitcnt lgkmcnt(0)
	s_barrier
	s_and_saveexec_b64 s[0:1], vcc
	s_cbranch_execz .LBB137_928
; %bb.927:
	v_mov_b32_e32 v11, 0
	ds_read_b128 v[19:22], v11 offset:3632
	ds_read_b64 v[11:12], v11 offset:3120
	s_movk_i32 s8, 0x800
	s_waitcnt lgkmcnt(0)
	v_mul_f64 v[11:12], v[11:12], v[21:22]
	v_mul_f64 v[11:12], v[19:20], v[11:12]
	v_add_u32_e64 v19, s8, 0
	ds_write2_b64 v19, v[11:12], v[11:12] offset0:135 offset1:198
.LBB137_928:
	s_or_b64 exec, exec, s[0:1]
	v_mov_b32_e32 v11, 0
	v_mov_b32_e32 v12, 0
	s_waitcnt lgkmcnt(0)
	s_barrier
	buffer_wbinvl1_vol
	s_and_saveexec_b64 s[0:1], s[2:3]
	s_cbranch_execz .LBB137_932
; %bb.929:
	v_lshlrev_b32_e32 v19, 9, v13
	v_lshlrev_b32_e32 v11, 3, v1
	ds_read_b64 v[11:12], v11 offset:3104
	ds_read_b64 v[19:20], v19 offset:3120
	v_cmp_gt_u32_e64 s[8:9], 2, v15
	s_waitcnt lgkmcnt(0)
	v_fma_f64 v[11:12], v[11:12], v[19:20], 0
	s_and_saveexec_b64 s[10:11], s[8:9]
	s_cbranch_execz .LBB137_931
; %bb.930:
	v_lshlrev_b32_e32 v19, 3, v0
	v_mov_b32_e32 v21, 0
	ds_read_b64 v[19:20], v19 offset:3616
	ds_read_b64 v[21:22], v21 offset:3640
	s_waitcnt lgkmcnt(0)
	v_fma_f64 v[11:12], v[19:20], v[21:22], v[11:12]
.LBB137_931:
	s_or_b64 exec, exec, s[10:11]
.LBB137_932:
	s_or_b64 exec, exec, s[0:1]
	s_and_saveexec_b64 s[0:1], s[40:41]
	s_cbranch_execz .LBB137_934
; %bb.933:
	v_mov_b32_e32 v19, 0
	ds_read_b64 v[19:20], v19 offset:2600
	s_waitcnt lgkmcnt(0)
	v_mul_f64 v[11:12], v[11:12], v[19:20]
	v_xor_b32_e32 v20, 0x80000000, v12
	v_mov_b32_e32 v19, v11
	ds_write_b64 v14, v[19:20]
.LBB137_934:
	s_or_b64 exec, exec, s[0:1]
	s_waitcnt lgkmcnt(0)
	s_barrier
	s_and_saveexec_b64 s[0:1], s[38:39]
	s_cbranch_execz .LBB137_936
; %bb.935:
	v_mov_b32_e32 v19, 0
	ds_read_b64 v[19:20], v19 offset:2592
	ds_read_b64 v[21:22], v14
	s_waitcnt lgkmcnt(0)
	v_fma_f64 v[11:12], -v[19:20], v[21:22], v[11:12]
.LBB137_936:
	s_or_b64 exec, exec, s[0:1]
	s_barrier
	s_and_saveexec_b64 s[0:1], s[38:39]
	s_cbranch_execz .LBB137_938
; %bb.937:
	v_mov_b32_e32 v19, 0
	ds_read_b64 v[19:20], v19 offset:2080
	s_waitcnt lgkmcnt(0)
	v_mul_f64 v[11:12], v[11:12], v[19:20]
	v_xor_b32_e32 v20, 0x80000000, v12
	v_mov_b32_e32 v19, v11
	ds_write_b64 v14, v[19:20]
.LBB137_938:
	s_or_b64 exec, exec, s[0:1]
	s_waitcnt lgkmcnt(0)
	s_barrier
	s_barrier
	s_and_saveexec_b64 s[0:1], s[2:3]
; %bb.939:
	v_lshlrev_b32_e32 v19, 3, v1
	v_lshl_or_b32 v19, v13, 9, v19
	ds_write_b64 v19, v[11:12] offset:3104
; %bb.940:
	s_or_b64 exec, exec, s[0:1]
	s_waitcnt lgkmcnt(0)
	s_barrier
	s_barrier
	s_and_saveexec_b64 s[0:1], s[42:43]
	s_cbranch_execz .LBB137_942
; %bb.941:
	v_lshlrev_b32_e32 v19, 3, v0
	s_movk_i32 s8, 0x1f8
	v_mad_u32_u24 v20, v0, s8, v19
	ds_read_b64 v[11:12], v20 offset:3104
	s_waitcnt lgkmcnt(0)
	ds_write_b64 v19, v[11:12] offset:2096
	ds_read_b64 v[11:12], v20 offset:3112
	s_waitcnt lgkmcnt(0)
	ds_write_b64 v19, v[11:12] offset:2608
.LBB137_942:
	s_or_b64 exec, exec, s[0:1]
	s_waitcnt lgkmcnt(0)
	s_barrier
	s_and_saveexec_b64 s[0:1], vcc
	s_cbranch_execz .LBB137_944
; %bb.943:
	v_mov_b32_e32 v11, 0
	ds_read_b128 v[19:22], v11 offset:2592
	ds_read_b64 v[11:12], v11 offset:2080
	s_movk_i32 s8, 0x800
	s_waitcnt lgkmcnt(0)
	v_mul_f64 v[11:12], v[11:12], v[21:22]
	v_mul_f64 v[11:12], v[19:20], v[11:12]
	v_add_u32_e64 v19, s8, 0
	ds_write2_b64 v19, v[11:12], v[11:12] offset0:5 offset1:68
.LBB137_944:
	s_or_b64 exec, exec, s[0:1]
	v_mov_b32_e32 v11, 0
	v_mov_b32_e32 v12, 0
	s_waitcnt lgkmcnt(0)
	s_barrier
	buffer_wbinvl1_vol
	s_and_saveexec_b64 s[0:1], s[18:19]
	s_cbranch_execz .LBB137_950
; %bb.945:
	v_lshlrev_b32_e32 v20, 3, v16
	v_lshlrev_b32_e32 v19, 9, v17
	ds_read_b64 v[11:12], v20 offset:2048
	ds_read_b64 v[21:22], v19 offset:2080
	v_cmp_gt_u32_e64 s[8:9], 12, v15
	s_waitcnt lgkmcnt(0)
	v_fma_f64 v[11:12], v[11:12], v[21:22], 0
	s_and_saveexec_b64 s[10:11], s[8:9]
	s_cbranch_execnz .LBB137_1146
; %bb.946:
	s_or_b64 exec, exec, s[10:11]
	v_cmp_gt_u32_e64 s[8:9], 8, v15
	s_and_saveexec_b64 s[10:11], s[8:9]
	s_cbranch_execnz .LBB137_1147
.LBB137_947:
	s_or_b64 exec, exec, s[10:11]
	v_cmp_gt_u32_e64 s[8:9], 4, v15
	s_and_saveexec_b64 s[10:11], s[8:9]
	s_cbranch_execz .LBB137_949
.LBB137_948:
	v_lshlrev_b32_e32 v19, 3, v0
	v_mov_b32_e32 v21, 0
	ds_read_b64 v[19:20], v19 offset:3584
	ds_read_b64 v[21:22], v21 offset:3640
	s_waitcnt lgkmcnt(0)
	v_fma_f64 v[11:12], v[19:20], v[21:22], v[11:12]
.LBB137_949:
	s_or_b64 exec, exec, s[10:11]
.LBB137_950:
	s_or_b64 exec, exec, s[0:1]
	s_and_saveexec_b64 s[0:1], s[46:47]
	s_cbranch_execz .LBB137_952
; %bb.951:
	v_mov_b32_e32 v19, 0
	ds_read_b64 v[19:20], v19 offset:1560
	s_waitcnt lgkmcnt(0)
	v_mul_f64 v[11:12], v[11:12], v[19:20]
	v_xor_b32_e32 v20, 0x80000000, v12
	v_mov_b32_e32 v19, v11
	ds_write_b64 v18, v[19:20]
.LBB137_952:
	s_or_b64 exec, exec, s[0:1]
	s_waitcnt lgkmcnt(0)
	s_barrier
	s_and_saveexec_b64 s[0:1], s[48:49]
	v_readlane_b32 s46, v36, 0
	s_cbranch_execz .LBB137_954
; %bb.953:
	v_lshlrev_b32_e32 v19, 3, v16
	ds_read_b64 v[19:20], v19 offset:1536
	ds_read_b64 v[21:22], v18
	s_waitcnt lgkmcnt(0)
	v_fma_f64 v[11:12], -v[19:20], v[21:22], v[11:12]
.LBB137_954:
	s_or_b64 exec, exec, s[0:1]
	s_barrier
	s_and_saveexec_b64 s[0:1], s[50:51]
	s_cbranch_execz .LBB137_956
; %bb.955:
	v_mov_b32_e32 v19, 0
	ds_read_b64 v[19:20], v19 offset:1040
	s_waitcnt lgkmcnt(0)
	v_mul_f64 v[11:12], v[11:12], v[19:20]
	v_xor_b32_e32 v20, 0x80000000, v12
	v_mov_b32_e32 v19, v11
	ds_write_b64 v18, v[19:20]
.LBB137_956:
	s_or_b64 exec, exec, s[0:1]
	s_waitcnt lgkmcnt(0)
	s_barrier
	s_and_saveexec_b64 s[0:1], s[52:53]
	s_cbranch_execz .LBB137_958
; %bb.957:
	v_lshlrev_b32_e32 v19, 3, v16
	ds_read_b64 v[19:20], v19 offset:1024
	ds_read_b64 v[21:22], v18
	s_waitcnt lgkmcnt(0)
	v_fma_f64 v[11:12], -v[19:20], v[21:22], v[11:12]
.LBB137_958:
	s_or_b64 exec, exec, s[0:1]
	s_barrier
	s_and_saveexec_b64 s[0:1], s[54:55]
	s_cbranch_execz .LBB137_960
; %bb.959:
	v_mov_b32_e32 v19, 0
	ds_read_b64 v[19:20], v19 offset:520
	s_waitcnt lgkmcnt(0)
	v_mul_f64 v[11:12], v[11:12], v[19:20]
	v_xor_b32_e32 v20, 0x80000000, v12
	v_mov_b32_e32 v19, v11
	ds_write_b64 v18, v[19:20]
.LBB137_960:
	s_or_b64 exec, exec, s[0:1]
	s_waitcnt lgkmcnt(0)
	s_barrier
	s_and_saveexec_b64 s[0:1], s[44:45]
	s_cbranch_execz .LBB137_962
; %bb.961:
	v_mov_b32_e32 v19, 0
	ds_read_b64 v[19:20], v19 offset:512
	ds_read_b64 v[21:22], v18
	s_waitcnt lgkmcnt(0)
	v_fma_f64 v[11:12], -v[19:20], v[21:22], v[11:12]
.LBB137_962:
	s_or_b64 exec, exec, s[0:1]
	s_barrier
	s_and_saveexec_b64 s[0:1], s[44:45]
	s_cbranch_execz .LBB137_964
; %bb.963:
	v_mov_b32_e32 v19, 0
	ds_read_b64 v[19:20], v19
	s_waitcnt lgkmcnt(0)
	v_mul_f64 v[11:12], v[11:12], v[19:20]
	v_xor_b32_e32 v20, 0x80000000, v12
	v_mov_b32_e32 v19, v11
	ds_write_b64 v18, v[19:20]
.LBB137_964:
	s_or_b64 exec, exec, s[0:1]
	s_waitcnt lgkmcnt(0)
	s_barrier
	s_barrier
	s_and_saveexec_b64 s[0:1], s[18:19]
; %bb.965:
	v_lshlrev_b32_e32 v16, 3, v16
	v_lshl_or_b32 v16, v17, 9, v16
	ds_write_b64 v16, v[11:12] offset:2048
; %bb.966:
	s_or_b64 exec, exec, s[0:1]
	s_waitcnt lgkmcnt(0)
	s_barrier
	s_barrier
	s_and_saveexec_b64 s[0:1], s[56:57]
	s_cbranch_execz .LBB137_968
; %bb.967:
	v_lshlrev_b32_e32 v16, 9, v0
	ds_read_b64 v[11:12], v16 offset:2048
	s_movk_i32 s8, 0xfe08
	v_mad_i32_i24 v17, v0, s8, v16
	s_waitcnt lgkmcnt(0)
	ds_write_b64 v17, v[11:12] offset:32
	ds_read_b64 v[11:12], v16 offset:2056
	s_waitcnt lgkmcnt(0)
	ds_write_b64 v17, v[11:12] offset:544
	ds_read_b64 v[11:12], v16 offset:2064
	;; [unrolled: 3-line block ×3, first 2 shown]
	s_waitcnt lgkmcnt(0)
	ds_write_b64 v17, v[11:12] offset:1568
.LBB137_968:
	s_or_b64 exec, exec, s[0:1]
	s_waitcnt lgkmcnt(0)
	s_barrier
	s_and_saveexec_b64 s[0:1], vcc
	s_cbranch_execz .LBB137_970
; %bb.969:
	v_mov_b32_e32 v20, 0
	ds_read_b128 v[16:19], v20 offset:1552
	ds_read_b64 v[11:12], v20 offset:1040
	s_waitcnt lgkmcnt(0)
	v_mul_f64 v[11:12], v[11:12], v[18:19]
	v_mul_f64 v[11:12], v[16:17], v[11:12]
	ds_write2_b64 v20, v[11:12], v[11:12] offset0:131 offset1:194
.LBB137_970:
	s_or_b64 exec, exec, s[0:1]
	v_mov_b32_e32 v11, 0
	v_mov_b32_e32 v12, 0
	s_waitcnt lgkmcnt(0)
	s_barrier
	buffer_wbinvl1_vol
	s_and_saveexec_b64 s[0:1], s[2:3]
	s_cbranch_execz .LBB137_974
; %bb.971:
	v_lshlrev_b32_e32 v16, 9, v13
	v_lshlrev_b32_e32 v11, 3, v1
	ds_read_b64 v[11:12], v11 offset:1024
	ds_read_b64 v[16:17], v16 offset:1040
	v_cmp_gt_u32_e64 s[8:9], 2, v15
	s_waitcnt lgkmcnt(0)
	v_fma_f64 v[11:12], v[11:12], v[16:17], 0
	s_and_saveexec_b64 s[10:11], s[8:9]
	s_cbranch_execz .LBB137_973
; %bb.972:
	v_lshlrev_b32_e32 v15, 3, v0
	v_mov_b32_e32 v17, 0
	ds_read_b64 v[15:16], v15 offset:1536
	ds_read_b64 v[17:18], v17 offset:1560
	s_waitcnt lgkmcnt(0)
	v_fma_f64 v[11:12], v[15:16], v[17:18], v[11:12]
.LBB137_973:
	s_or_b64 exec, exec, s[10:11]
.LBB137_974:
	s_or_b64 exec, exec, s[0:1]
	s_and_saveexec_b64 s[0:1], s[40:41]
	s_cbranch_execz .LBB137_976
; %bb.975:
	v_mov_b32_e32 v15, 0
	ds_read_b64 v[15:16], v15 offset:520
	s_waitcnt lgkmcnt(0)
	v_mul_f64 v[11:12], v[11:12], v[15:16]
	v_xor_b32_e32 v16, 0x80000000, v12
	v_mov_b32_e32 v15, v11
	ds_write_b64 v14, v[15:16]
.LBB137_976:
	s_or_b64 exec, exec, s[0:1]
	s_waitcnt lgkmcnt(0)
	s_barrier
	s_and_saveexec_b64 s[0:1], s[38:39]
	s_cbranch_execz .LBB137_978
; %bb.977:
	v_mov_b32_e32 v15, 0
	ds_read_b64 v[15:16], v15 offset:512
	ds_read_b64 v[17:18], v14
	s_waitcnt lgkmcnt(0)
	v_fma_f64 v[11:12], -v[15:16], v[17:18], v[11:12]
.LBB137_978:
	s_or_b64 exec, exec, s[0:1]
	s_barrier
	s_and_saveexec_b64 s[0:1], s[38:39]
	s_cbranch_execz .LBB137_980
; %bb.979:
	v_mov_b32_e32 v15, 0
	ds_read_b64 v[15:16], v15
	s_waitcnt lgkmcnt(0)
	v_mul_f64 v[11:12], v[11:12], v[15:16]
	v_xor_b32_e32 v16, 0x80000000, v12
	v_mov_b32_e32 v15, v11
	ds_write_b64 v14, v[15:16]
.LBB137_980:
	s_or_b64 exec, exec, s[0:1]
	s_waitcnt lgkmcnt(0)
	s_barrier
	s_barrier
	s_and_saveexec_b64 s[0:1], s[2:3]
; %bb.981:
	v_lshlrev_b32_e32 v1, 3, v1
	v_lshl_or_b32 v1, v13, 9, v1
	ds_write_b64 v1, v[11:12] offset:1024
; %bb.982:
	s_or_b64 exec, exec, s[0:1]
	s_waitcnt lgkmcnt(0)
	s_barrier
	s_barrier
	s_and_saveexec_b64 s[0:1], s[42:43]
	s_cbranch_execz .LBB137_984
; %bb.983:
	v_lshlrev_b32_e32 v1, 3, v0
	s_movk_i32 s2, 0x1f8
	v_mad_u32_u24 v13, v0, s2, v1
	ds_read_b64 v[11:12], v13 offset:1024
	s_waitcnt lgkmcnt(0)
	ds_write_b64 v1, v[11:12] offset:16
	ds_read_b64 v[11:12], v13 offset:1032
	s_waitcnt lgkmcnt(0)
	ds_write_b64 v1, v[11:12] offset:528
.LBB137_984:
	s_or_b64 exec, exec, s[0:1]
	s_waitcnt lgkmcnt(0)
	s_barrier
	s_and_saveexec_b64 s[0:1], vcc
	s_cbranch_execz .LBB137_986
; %bb.985:
	v_mov_b32_e32 v1, 0
	ds_read_b128 v[11:14], v1 offset:512
	ds_read_b64 v[15:16], v1
	s_waitcnt lgkmcnt(0)
	v_mul_f64 v[13:14], v[15:16], v[13:14]
	v_mul_f64 v[11:12], v[11:12], v[13:14]
	ds_write2_b64 v1, v[11:12], v[11:12] offset0:1 offset1:64
.LBB137_986:
	s_or_b64 exec, exec, s[0:1]
.LBB137_987:
	s_lshl_b64 s[0:1], s[28:29], 3
	s_add_u32 s20, s20, s0
	v_cmp_le_i32_e32 vcc, s36, v0
	s_addc_u32 s21, s21, s1
	s_and_b64 s[14:15], vcc, s[26:27]
	v_cmp_eq_u32_e64 s[2:3], 0, v2
	s_xor_b64 s[0:1], s[14:15], -1
	v_mov_b32_e32 v11, 0
	s_and_b64 s[8:9], s[2:3], s[0:1]
	v_mov_b32_e32 v12, 0
	v_add_u32_e32 v13, s33, v0
	s_waitcnt lgkmcnt(0)
	s_barrier
	s_and_saveexec_b64 s[0:1], s[8:9]
	s_cbranch_execz .LBB137_989
; %bb.988:
	v_ashrrev_i32_e32 v1, 31, v13
	v_mul_lo_u32 v14, s31, v13
	v_mad_u64_u32 v[11:12], s[8:9], s30, v13, 0
	v_mul_lo_u32 v1, s30, v1
	v_add3_u32 v12, v12, v1, v14
	v_lshlrev_b64 v[11:12], 3, v[11:12]
	v_mov_b32_e32 v1, s21
	v_add_co_u32_e32 v11, vcc, s20, v11
	v_addc_co_u32_e32 v12, vcc, v1, v12, vcc
	flat_load_dwordx2 v[11:12], v[11:12]
	s_waitcnt vmcnt(0) lgkmcnt(0)
	v_mul_f64 v[11:12], v[11:12], -s[24:25]
.LBB137_989:
	s_or_b64 exec, exec, s[0:1]
	s_load_dwordx2 s[0:1], s[4:5], 0x50
	s_and_b32 s4, 0xffff, s89
	v_mad_u32_u24 v19, v2, s4, v0
	v_mov_b32_e32 v14, 0
	s_cmp_lt_i32 s6, 1
	v_cmp_eq_u32_e64 s[4:5], 0, v19
	s_cbranch_scc1 .LBB137_1015
; %bb.990:
	v_mad_u64_u32 v[15:16], s[8:9], s34, v13, 0
	s_mov_b32 s24, 0
	v_cmp_gt_u32_e64 s[12:13], 64, v19
	v_mov_b32_e32 v1, v16
	v_mad_u64_u32 v[16:17], s[8:9], s35, v13, v[1:2]
	s_lshl_b64 s[8:9], s[22:23], 2
	s_waitcnt lgkmcnt(0)
	s_add_u32 s16, s0, s8
	v_lshlrev_b64 v[15:16], 3, v[15:16]
	s_addc_u32 s17, s1, s9
	v_mov_b32_e32 v17, 0xa000
	v_cmp_gt_i32_e64 s[8:9], s7, v13
	v_mov_b32_e32 v13, s88
	v_add_co_u32_e32 v21, vcc, s37, v15
	v_lshl_add_u32 v1, v19, 3, v17
	v_lshl_or_b32 v20, v2, 3, v17
	s_add_i32 s25, s6, -1
	v_addc_co_u32_e32 v22, vcc, v13, v16, vcc
	v_mov_b32_e32 v23, -1
	s_branch .LBB137_993
.LBB137_991:                            ;   in Loop: Header=BB137_993 Depth=1
	ds_read_b64 v[15:16], v20 offset:384
	s_waitcnt vmcnt(0) lgkmcnt(0)
	v_fma_f64 v[11:12], v[17:18], v[15:16], v[11:12]
.LBB137_992:                            ;   in Loop: Header=BB137_993 Depth=1
	s_or_b64 exec, exec, s[18:19]
	s_add_i32 s24, s24, 1
	s_cmp_eq_u32 s24, s6
	s_cbranch_scc1 .LBB137_1015
.LBB137_993:                            ; =>This Loop Header: Depth=1
                                        ;     Child Loop BB137_995 Depth 2
	v_cmp_gt_i32_e32 vcc, s24, v23
	s_and_b64 s[18:19], s[4:5], vcc
	s_and_saveexec_b64 s[10:11], s[18:19]
	s_cbranch_execz .LBB137_996
; %bb.994:                              ;   in Loop: Header=BB137_993 Depth=1
	global_load_dword v23, v14, s[16:17]
	s_waitcnt vmcnt(0)
	v_cmp_le_i32_e32 vcc, s24, v23
	s_cbranch_vccnz .LBB137_996
.LBB137_995:                            ;   Parent Loop BB137_993 Depth=1
                                        ; =>  This Inner Loop Header: Depth=2
	buffer_wbinvl1_vol
	global_load_dword v23, v14, s[16:17]
	s_waitcnt vmcnt(0)
	v_cmp_gt_i32_e32 vcc, s24, v23
	s_cbranch_vccnz .LBB137_995
.LBB137_996:                            ;   in Loop: Header=BB137_993 Depth=1
	s_or_b64 exec, exec, s[10:11]
	s_lshl_b32 s28, s24, 6
	buffer_wbinvl1_vol
	s_barrier
	s_and_saveexec_b64 s[10:11], s[12:13]
	s_cbranch_execz .LBB137_1000
; %bb.997:                              ;   in Loop: Header=BB137_993 Depth=1
	v_or_b32_e32 v13, s28, v19
	v_mov_b32_e32 v15, 0
	v_mov_b32_e32 v16, 0
	v_cmp_gt_i32_e32 vcc, s7, v13
	s_and_saveexec_b64 s[18:19], vcc
	s_cbranch_execz .LBB137_999
; %bb.998:                              ;   in Loop: Header=BB137_993 Depth=1
	v_mad_u64_u32 v[15:16], s[34:35], s30, v13, 0
	v_mad_u64_u32 v[16:17], s[34:35], s31, v13, v[16:17]
	v_mov_b32_e32 v13, s21
	v_lshlrev_b64 v[15:16], 3, v[15:16]
	v_add_co_u32_e32 v15, vcc, s20, v15
	v_addc_co_u32_e32 v16, vcc, v13, v16, vcc
	flat_load_dwordx2 v[15:16], v[15:16]
.LBB137_999:                            ;   in Loop: Header=BB137_993 Depth=1
	s_or_b64 exec, exec, s[18:19]
	s_waitcnt vmcnt(0) lgkmcnt(0)
	ds_write_b64 v1, v[15:16]
.LBB137_1000:                           ;   in Loop: Header=BB137_993 Depth=1
	s_or_b64 exec, exec, s[10:11]
	v_add_u32_e32 v13, s28, v2
	v_lshlrev_b64 v[15:16], 3, v[13:14]
	s_cmp_lg_u32 s24, s25
	v_add_co_u32_e32 v15, vcc, v21, v15
	s_cselect_b64 s[10:11], -1, 0
	v_addc_co_u32_e32 v16, vcc, v22, v16, vcc
	v_cmp_gt_i32_e32 vcc, s7, v13
	v_cndmask_b32_e64 v17, 0, 1, s[10:11]
	s_and_b64 s[28:29], vcc, s[8:9]
	v_cmp_ne_u32_e64 s[10:11], 1, v17
	s_waitcnt lgkmcnt(0)
	s_barrier
	s_and_saveexec_b64 s[18:19], s[28:29]
	s_cbranch_execz .LBB137_1004
; %bb.1001:                             ;   in Loop: Header=BB137_993 Depth=1
	v_mov_b32_e32 v18, v6
	s_and_b64 vcc, exec, s[10:11]
	v_mov_b32_e32 v17, v5
	s_cbranch_vccnz .LBB137_1003
; %bb.1002:                             ;   in Loop: Header=BB137_993 Depth=1
	flat_load_dwordx2 v[17:18], v[15:16]
.LBB137_1003:                           ;   in Loop: Header=BB137_993 Depth=1
	ds_read_b64 v[24:25], v20
	s_waitcnt vmcnt(0) lgkmcnt(0)
	v_fma_f64 v[11:12], v[17:18], v[24:25], v[11:12]
.LBB137_1004:                           ;   in Loop: Header=BB137_993 Depth=1
	s_or_b64 exec, exec, s[18:19]
	v_add_u32_e32 v17, 16, v13
	v_cmp_gt_i32_e32 vcc, s7, v17
	s_and_b64 s[28:29], vcc, s[8:9]
	s_and_saveexec_b64 s[18:19], s[28:29]
	s_cbranch_execz .LBB137_1008
; %bb.1005:                             ;   in Loop: Header=BB137_993 Depth=1
	v_mov_b32_e32 v18, v4
	s_and_b64 vcc, exec, s[10:11]
	v_mov_b32_e32 v17, v3
	s_cbranch_vccnz .LBB137_1007
; %bb.1006:                             ;   in Loop: Header=BB137_993 Depth=1
	flat_load_dwordx2 v[17:18], v[15:16] offset:128
.LBB137_1007:                           ;   in Loop: Header=BB137_993 Depth=1
	ds_read_b64 v[24:25], v20 offset:128
	s_waitcnt vmcnt(0) lgkmcnt(0)
	v_fma_f64 v[11:12], v[17:18], v[24:25], v[11:12]
.LBB137_1008:                           ;   in Loop: Header=BB137_993 Depth=1
	s_or_b64 exec, exec, s[18:19]
	v_add_u32_e32 v17, 32, v13
	v_cmp_gt_i32_e32 vcc, s7, v17
	s_and_b64 s[28:29], vcc, s[8:9]
	s_and_saveexec_b64 s[18:19], s[28:29]
	s_cbranch_execz .LBB137_1012
; %bb.1009:                             ;   in Loop: Header=BB137_993 Depth=1
	v_mov_b32_e32 v18, v10
	s_and_b64 vcc, exec, s[10:11]
	v_mov_b32_e32 v17, v9
	s_cbranch_vccnz .LBB137_1011
; %bb.1010:                             ;   in Loop: Header=BB137_993 Depth=1
	flat_load_dwordx2 v[17:18], v[15:16] offset:256
.LBB137_1011:                           ;   in Loop: Header=BB137_993 Depth=1
	ds_read_b64 v[24:25], v20 offset:256
	s_waitcnt vmcnt(0) lgkmcnt(0)
	v_fma_f64 v[11:12], v[17:18], v[24:25], v[11:12]
.LBB137_1012:                           ;   in Loop: Header=BB137_993 Depth=1
	s_or_b64 exec, exec, s[18:19]
	v_add_u32_e32 v13, 48, v13
	v_cmp_gt_i32_e32 vcc, s7, v13
	s_and_b64 s[28:29], vcc, s[8:9]
	s_and_saveexec_b64 s[18:19], s[28:29]
	s_cbranch_execz .LBB137_992
; %bb.1013:                             ;   in Loop: Header=BB137_993 Depth=1
	v_mov_b32_e32 v18, v8
	s_and_b64 vcc, exec, s[10:11]
	v_mov_b32_e32 v17, v7
	s_cbranch_vccnz .LBB137_991
; %bb.1014:                             ;   in Loop: Header=BB137_993 Depth=1
	flat_load_dwordx2 v[17:18], v[15:16] offset:384
	s_branch .LBB137_991
.LBB137_1015:
	v_lshl_add_u32 v1, v2, 6, v0
	s_xor_b64 s[4:5], s[26:27], -1
	v_lshlrev_b32_e32 v1, 3, v1
	ds_write_b64 v1, v[11:12] offset:32768
	s_waitcnt lgkmcnt(0)
	s_barrier
	s_and_saveexec_b64 s[6:7], s[2:3]
	s_cbranch_execz .LBB137_1017
; %bb.1016:
	v_lshlrev_b32_e32 v15, 3, v0
	ds_read2st64_b64 v[3:6], v15 offset0:65 offset1:66
	ds_read_b64 v[13:14], v15 offset:40448
	s_waitcnt lgkmcnt(1)
	v_add_f64 v[3:4], v[11:12], v[3:4]
	v_add_f64 v[11:12], v[3:4], v[5:6]
	ds_read2st64_b64 v[3:6], v15 offset0:67 offset1:68
	ds_read2st64_b64 v[7:10], v15 offset0:69 offset1:70
	s_waitcnt lgkmcnt(1)
	v_add_f64 v[3:4], v[11:12], v[3:4]
	v_add_f64 v[3:4], v[3:4], v[5:6]
	s_waitcnt lgkmcnt(0)
	v_add_f64 v[3:4], v[3:4], v[7:8]
	v_add_f64 v[11:12], v[3:4], v[9:10]
	ds_read2st64_b64 v[3:6], v15 offset0:71 offset1:72
	ds_read2st64_b64 v[7:10], v15 offset0:73 offset1:74
	s_waitcnt lgkmcnt(1)
	v_add_f64 v[3:4], v[11:12], v[3:4]
	v_add_f64 v[3:4], v[3:4], v[5:6]
	;; [unrolled: 8-line block ×3, first 2 shown]
	s_waitcnt lgkmcnt(0)
	v_add_f64 v[3:4], v[3:4], v[7:8]
	v_add_f64 v[3:4], v[3:4], v[9:10]
	;; [unrolled: 1-line block ×3, first 2 shown]
	v_xor_b32_e32 v4, 0x80000000, v4
	v_cndmask_b32_e64 v12, v4, 0, s[14:15]
	v_cndmask_b32_e64 v11, v3, 0, s[14:15]
.LBB137_1017:
	s_or_b64 exec, exec, s[6:7]
	s_and_b64 vcc, exec, s[58:59]
	s_cbranch_vccnz .LBB137_1030
; %bb.1018:
	v_mov_b32_e32 v3, 0xa000
	v_lshl_or_b32 v5, v2, 3, v3
	s_and_saveexec_b64 s[6:7], s[2:3]
; %bb.1019:
	v_lshl_add_u32 v3, v0, 3, v5
	ds_write_b64 v3, v[11:12]
; %bb.1020:
	s_or_b64 exec, exec, s[6:7]
	v_mov_b32_e32 v3, 0
	v_mov_b32_e32 v4, 0
	v_cmp_le_u32_e32 vcc, v2, v0
	s_waitcnt lgkmcnt(0)
	s_barrier
	s_and_saveexec_b64 s[6:7], vcc
	s_cbranch_execz .LBB137_1022
; %bb.1021:
	ds_read_b64 v[3:4], v1
	ds_read_b64 v[6:7], v5
	s_waitcnt lgkmcnt(0)
	v_fma_f64 v[3:4], v[3:4], v[6:7], 0
.LBB137_1022:
	s_or_b64 exec, exec, s[6:7]
	v_add_u32_e32 v6, 16, v2
	v_cmp_ge_u32_e32 vcc, v0, v6
	s_and_saveexec_b64 s[6:7], vcc
	s_cbranch_execz .LBB137_1024
; %bb.1023:
	ds_read_b64 v[6:7], v1 offset:8192
	ds_read_b64 v[8:9], v5 offset:128
	s_waitcnt lgkmcnt(0)
	v_fma_f64 v[3:4], v[6:7], v[8:9], v[3:4]
.LBB137_1024:
	s_or_b64 exec, exec, s[6:7]
	v_add_u32_e32 v6, 32, v2
	v_cmp_ge_u32_e32 vcc, v0, v6
	s_and_saveexec_b64 s[6:7], vcc
	s_cbranch_execz .LBB137_1026
; %bb.1025:
	ds_read_b64 v[6:7], v1 offset:16384
	ds_read_b64 v[8:9], v5 offset:256
	s_waitcnt lgkmcnt(0)
	v_fma_f64 v[3:4], v[6:7], v[8:9], v[3:4]
.LBB137_1026:
	s_or_b64 exec, exec, s[6:7]
	v_add_u32_e32 v2, 48, v2
	v_add_u32_e32 v6, 0x8000, v1
	v_cmp_ge_u32_e32 vcc, v0, v2
	s_and_saveexec_b64 s[6:7], vcc
	s_cbranch_execz .LBB137_1028
; %bb.1027:
	ds_read_b64 v[1:2], v1 offset:24576
	ds_read_b64 v[7:8], v5 offset:384
	s_waitcnt lgkmcnt(0)
	v_fma_f64 v[3:4], v[1:2], v[7:8], v[3:4]
.LBB137_1028:
	s_or_b64 exec, exec, s[6:7]
	s_mov_b64 s[8:9], 0
	s_mov_b64 s[6:7], 0
	ds_write_b64 v6, v[3:4]
	s_waitcnt lgkmcnt(0)
	s_barrier
                                        ; implicit-def: $vgpr5_vgpr6
                                        ; implicit-def: $vgpr1_vgpr2
	s_and_saveexec_b64 s[10:11], s[2:3]
	s_cbranch_execz .LBB137_1087
; %bb.1029:
	v_lshlrev_b32_e32 v15, 3, v0
	ds_read2st64_b64 v[5:8], v15 offset0:65 offset1:66
	ds_read_b64 v[9:10], v15 offset:40448
	s_mov_b64 s[6:7], exec
	s_waitcnt lgkmcnt(1)
	v_add_f64 v[1:2], v[3:4], v[5:6]
	v_add_f64 v[13:14], v[7:8], v[1:2]
	ds_read2st64_b64 v[1:4], v15 offset0:67 offset1:68
	ds_read2st64_b64 v[5:8], v15 offset0:69 offset1:70
	s_waitcnt lgkmcnt(1)
	v_add_f64 v[1:2], v[1:2], v[13:14]
	v_add_f64 v[1:2], v[3:4], v[1:2]
	s_waitcnt lgkmcnt(0)
	v_add_f64 v[1:2], v[5:6], v[1:2]
	v_add_f64 v[13:14], v[7:8], v[1:2]
	ds_read2st64_b64 v[1:4], v15 offset0:71 offset1:72
	ds_read2st64_b64 v[5:8], v15 offset0:73 offset1:74
	s_waitcnt lgkmcnt(1)
	v_add_f64 v[1:2], v[1:2], v[13:14]
	v_add_f64 v[1:2], v[3:4], v[1:2]
	;; [unrolled: 8-line block ×3, first 2 shown]
	s_waitcnt lgkmcnt(0)
	v_add_f64 v[1:2], v[5:6], v[1:2]
	v_add_f64 v[3:4], v[7:8], v[1:2]
	v_add_u32_e32 v7, s33, v19
	v_mad_u64_u32 v[1:2], s[12:13], s30, v7, 0
	v_add_f64 v[5:6], v[9:10], v[3:4]
	v_mad_u64_u32 v[2:3], s[12:13], s31, v7, v[2:3]
	s_or_b64 exec, exec, s[10:11]
	s_and_b64 vcc, exec, s[8:9]
	s_cbranch_vccnz .LBB137_1031
	s_branch .LBB137_1088
.LBB137_1030:
	s_mov_b64 s[6:7], 0
                                        ; implicit-def: $vgpr5_vgpr6
                                        ; implicit-def: $vgpr1_vgpr2
	s_cbranch_execz .LBB137_1088
.LBB137_1031:
	v_mul_u32_u24_e32 v1, 0x208, v0
	v_lshlrev_b32_e32 v2, 9, v0
	v_sub_u32_e32 v2, v1, v2
	s_mov_b32 s10, 0
	v_mov_b32_e32 v3, 0
	v_mov_b32_e32 v4, v0
	s_branch .LBB137_1033
.LBB137_1032:                           ;   in Loop: Header=BB137_1033 Depth=1
	s_or_b64 exec, exec, s[8:9]
	s_add_i32 s10, s10, 4
	v_add_u32_e32 v2, 0x800, v2
	s_cmp_lg_u32 s10, 64
	v_add_u32_e32 v4, -4, v4
	s_barrier
	s_cbranch_scc0 .LBB137_1049
.LBB137_1033:                           ; =>This Inner Loop Header: Depth=1
	v_cmp_eq_u32_e32 vcc, 0, v4
	s_and_b64 s[12:13], s[2:3], vcc
	s_and_saveexec_b64 s[8:9], s[12:13]
	s_cbranch_execz .LBB137_1035
; %bb.1034:                             ;   in Loop: Header=BB137_1033 Depth=1
	ds_read_b64 v[5:6], v1
	s_waitcnt lgkmcnt(0)
	v_mul_f64 v[11:12], v[11:12], v[5:6]
	ds_write_b64 v3, v[11:12] offset:41472
.LBB137_1035:                           ;   in Loop: Header=BB137_1033 Depth=1
	s_or_b64 exec, exec, s[8:9]
	v_cmp_lt_u32_e32 vcc, s10, v0
	s_and_b64 s[12:13], s[2:3], vcc
	s_waitcnt lgkmcnt(0)
	s_barrier
	s_and_saveexec_b64 s[8:9], s[12:13]
	s_cbranch_execz .LBB137_1037
; %bb.1036:                             ;   in Loop: Header=BB137_1033 Depth=1
	ds_read_b64 v[5:6], v2
	ds_read_b64 v[7:8], v3 offset:41472
	s_waitcnt lgkmcnt(0)
	v_fma_f64 v[11:12], v[5:6], v[7:8], v[11:12]
.LBB137_1037:                           ;   in Loop: Header=BB137_1033 Depth=1
	s_or_b64 exec, exec, s[8:9]
	s_or_b32 s11, s10, 1
	v_cmp_eq_u32_e32 vcc, s11, v0
	s_and_b64 s[12:13], s[2:3], vcc
	s_barrier
	s_and_saveexec_b64 s[8:9], s[12:13]
	s_cbranch_execz .LBB137_1039
; %bb.1038:                             ;   in Loop: Header=BB137_1033 Depth=1
	ds_read_b64 v[5:6], v1
	s_waitcnt lgkmcnt(0)
	v_mul_f64 v[11:12], v[11:12], v[5:6]
	ds_write_b64 v3, v[11:12] offset:41472
.LBB137_1039:                           ;   in Loop: Header=BB137_1033 Depth=1
	s_or_b64 exec, exec, s[8:9]
	v_cmp_lt_u32_e32 vcc, s11, v0
	s_and_b64 s[12:13], s[2:3], vcc
	s_waitcnt lgkmcnt(0)
	s_barrier
	s_and_saveexec_b64 s[8:9], s[12:13]
	s_cbranch_execz .LBB137_1041
; %bb.1040:                             ;   in Loop: Header=BB137_1033 Depth=1
	ds_read_b64 v[5:6], v2 offset:512
	ds_read_b64 v[7:8], v3 offset:41472
	s_waitcnt lgkmcnt(0)
	v_fma_f64 v[11:12], v[5:6], v[7:8], v[11:12]
.LBB137_1041:                           ;   in Loop: Header=BB137_1033 Depth=1
	s_or_b64 exec, exec, s[8:9]
	s_or_b32 s11, s10, 2
	v_cmp_eq_u32_e32 vcc, s11, v0
	s_and_b64 s[12:13], s[2:3], vcc
	s_barrier
	s_and_saveexec_b64 s[8:9], s[12:13]
	s_cbranch_execz .LBB137_1043
; %bb.1042:                             ;   in Loop: Header=BB137_1033 Depth=1
	ds_read_b64 v[5:6], v1
	s_waitcnt lgkmcnt(0)
	v_mul_f64 v[11:12], v[11:12], v[5:6]
	ds_write_b64 v3, v[11:12] offset:41472
.LBB137_1043:                           ;   in Loop: Header=BB137_1033 Depth=1
	s_or_b64 exec, exec, s[8:9]
	v_cmp_lt_u32_e32 vcc, s11, v0
	s_and_b64 s[12:13], s[2:3], vcc
	s_waitcnt lgkmcnt(0)
	s_barrier
	s_and_saveexec_b64 s[8:9], s[12:13]
	s_cbranch_execz .LBB137_1045
; %bb.1044:                             ;   in Loop: Header=BB137_1033 Depth=1
	ds_read_b64 v[5:6], v2 offset:1024
	ds_read_b64 v[7:8], v3 offset:41472
	s_waitcnt lgkmcnt(0)
	v_fma_f64 v[11:12], v[5:6], v[7:8], v[11:12]
.LBB137_1045:                           ;   in Loop: Header=BB137_1033 Depth=1
	s_or_b64 exec, exec, s[8:9]
	s_or_b32 s11, s10, 3
	v_cmp_eq_u32_e32 vcc, s11, v0
	s_and_b64 s[12:13], s[2:3], vcc
	s_barrier
	s_and_saveexec_b64 s[8:9], s[12:13]
	s_cbranch_execz .LBB137_1047
; %bb.1046:                             ;   in Loop: Header=BB137_1033 Depth=1
	ds_read_b64 v[5:6], v1
	s_waitcnt lgkmcnt(0)
	v_mul_f64 v[11:12], v[11:12], v[5:6]
	ds_write_b64 v3, v[11:12] offset:41472
.LBB137_1047:                           ;   in Loop: Header=BB137_1033 Depth=1
	s_or_b64 exec, exec, s[8:9]
	v_cmp_lt_u32_e32 vcc, s11, v0
	s_and_b64 s[12:13], s[2:3], vcc
	s_waitcnt lgkmcnt(0)
	s_barrier
	s_and_saveexec_b64 s[8:9], s[12:13]
	s_cbranch_execz .LBB137_1032
; %bb.1048:                             ;   in Loop: Header=BB137_1033 Depth=1
	ds_read_b64 v[5:6], v2 offset:1536
	ds_read_b64 v[7:8], v3 offset:41472
	s_waitcnt lgkmcnt(0)
	v_fma_f64 v[11:12], v[5:6], v[7:8], v[11:12]
	s_branch .LBB137_1032
.LBB137_1049:
	s_and_b64 vcc, exec, s[4:5]
	s_cbranch_vccz .LBB137_1089
; %bb.1050:
	s_and_b64 s[4:5], s[2:3], exec
	s_cbranch_execz .LBB137_1090
	s_branch .LBB137_1091
.LBB137_1051:
	v_cmp_ne_u32_e32 vcc, v0, v2
	s_and_saveexec_b64 s[12:13], vcc
	s_xor_b64 s[12:13], exec, s[12:13]
; %bb.1052:
	v_or_b32_e32 v1, v2, v0
	v_cmp_gt_u32_e32 vcc, 64, v1
	s_and_b64 s[10:11], vcc, exec
                                        ; implicit-def: $vgpr15_vgpr16
; %bb.1053:
	s_or_saveexec_b64 s[12:13], s[12:13]
	v_mov_b32_e32 v13, 0
	v_mov_b32_e32 v14, 0
	s_xor_b64 exec, exec, s[12:13]
	s_cbranch_execz .LBB137_1055
; %bb.1054:
	v_lshlrev_b64 v[13:14], 3, v[15:16]
	v_mov_b32_e32 v1, s88
	v_add_co_u32_e32 v13, vcc, s37, v13
	v_addc_co_u32_e32 v14, vcc, v1, v14, vcc
	flat_load_dwordx2 v[13:14], v[13:14]
	s_or_b64 s[10:11], s[10:11], exec
	s_waitcnt vmcnt(0) lgkmcnt(0)
	v_div_scale_f64 v[15:16], s[14:15], v[13:14], v[13:14], 1.0
	v_div_scale_f64 v[22:23], vcc, 1.0, v[13:14], 1.0
	v_rcp_f64_e32 v[18:19], v[15:16]
	v_fma_f64 v[20:21], -v[15:16], v[18:19], 1.0
	v_fma_f64 v[18:19], v[18:19], v[20:21], v[18:19]
	v_fma_f64 v[20:21], -v[15:16], v[18:19], 1.0
	v_fma_f64 v[18:19], v[18:19], v[20:21], v[18:19]
	v_mul_f64 v[20:21], v[22:23], v[18:19]
	v_fma_f64 v[15:16], -v[15:16], v[20:21], v[22:23]
	v_div_fmas_f64 v[15:16], v[15:16], v[18:19], v[20:21]
	v_div_fixup_f64 v[13:14], v[15:16], v[13:14], 1.0
.LBB137_1055:
	s_or_b64 exec, exec, s[12:13]
	s_and_b64 s[10:11], s[10:11], exec
                                        ; implicit-def: $vgpr15_vgpr16
	s_andn2_saveexec_b64 s[8:9], s[8:9]
	s_cbranch_execz .LBB137_14
.LBB137_1056:
	v_lshlrev_b64 v[13:14], 3, v[15:16]
	v_mov_b32_e32 v1, s88
	v_add_co_u32_e32 v13, vcc, s37, v13
	v_addc_co_u32_e32 v14, vcc, v1, v14, vcc
	flat_load_dwordx2 v[13:14], v[13:14]
	s_or_b64 s[10:11], s[10:11], exec
	s_waitcnt vmcnt(0) lgkmcnt(0)
	v_xor_b32_e32 v14, 0x80000000, v14
	s_or_b64 exec, exec, s[8:9]
	s_and_saveexec_b64 s[8:9], s[10:11]
	s_cbranch_execnz .LBB137_15
	s_branch .LBB137_16
.LBB137_1057:
	v_cmp_ne_u32_e32 vcc, v0, v1
	s_and_saveexec_b64 s[10:11], vcc
	s_xor_b64 s[10:11], exec, s[10:11]
; %bb.1058:
	v_or_b32_e32 v13, v1, v0
	v_cmp_gt_u32_e32 vcc, 64, v13
	s_and_b64 s[8:9], vcc, exec
                                        ; implicit-def: $vgpr15_vgpr16
; %bb.1059:
	s_or_saveexec_b64 s[10:11], s[10:11]
	v_mov_b32_e32 v13, 0
	v_mov_b32_e32 v14, 0
	s_xor_b64 exec, exec, s[10:11]
	s_cbranch_execz .LBB137_1061
; %bb.1060:
	v_lshlrev_b64 v[13:14], 3, v[15:16]
	v_mov_b32_e32 v15, s88
	v_add_co_u32_e32 v13, vcc, s37, v13
	v_addc_co_u32_e32 v14, vcc, v15, v14, vcc
	flat_load_dwordx2 v[13:14], v[13:14]
	s_or_b64 s[8:9], s[8:9], exec
	s_waitcnt vmcnt(0) lgkmcnt(0)
	v_div_scale_f64 v[15:16], s[12:13], v[13:14], v[13:14], 1.0
	v_div_scale_f64 v[22:23], vcc, 1.0, v[13:14], 1.0
	v_rcp_f64_e32 v[18:19], v[15:16]
	v_fma_f64 v[20:21], -v[15:16], v[18:19], 1.0
	v_fma_f64 v[18:19], v[18:19], v[20:21], v[18:19]
	v_fma_f64 v[20:21], -v[15:16], v[18:19], 1.0
	v_fma_f64 v[18:19], v[18:19], v[20:21], v[18:19]
	v_mul_f64 v[20:21], v[22:23], v[18:19]
	v_fma_f64 v[15:16], -v[15:16], v[20:21], v[22:23]
	v_div_fmas_f64 v[15:16], v[15:16], v[18:19], v[20:21]
	v_div_fixup_f64 v[13:14], v[15:16], v[13:14], 1.0
.LBB137_1061:
	s_or_b64 exec, exec, s[10:11]
	s_and_b64 s[8:9], s[8:9], exec
                                        ; implicit-def: $vgpr15_vgpr16
	s_andn2_saveexec_b64 s[2:3], s[2:3]
	s_cbranch_execz .LBB137_18
.LBB137_1062:
	v_lshlrev_b64 v[13:14], 3, v[15:16]
	v_mov_b32_e32 v15, s88
	v_add_co_u32_e32 v13, vcc, s37, v13
	v_addc_co_u32_e32 v14, vcc, v15, v14, vcc
	flat_load_dwordx2 v[13:14], v[13:14]
	s_or_b64 s[8:9], s[8:9], exec
	s_waitcnt vmcnt(0) lgkmcnt(0)
	v_xor_b32_e32 v14, 0x80000000, v14
	s_or_b64 exec, exec, s[2:3]
	s_and_saveexec_b64 s[2:3], s[8:9]
	s_cbranch_execnz .LBB137_19
	s_branch .LBB137_20
.LBB137_1063:
	v_cmp_ne_u32_e32 vcc, v0, v1
	s_and_saveexec_b64 s[10:11], vcc
	s_xor_b64 s[10:11], exec, s[10:11]
; %bb.1064:
	v_or_b32_e32 v13, v1, v0
	v_cmp_gt_u32_e32 vcc, 64, v13
	s_and_b64 s[8:9], vcc, exec
                                        ; implicit-def: $vgpr15_vgpr16
; %bb.1065:
	s_or_saveexec_b64 s[10:11], s[10:11]
	v_mov_b32_e32 v13, 0
	v_mov_b32_e32 v14, 0
	s_xor_b64 exec, exec, s[10:11]
	s_cbranch_execz .LBB137_1067
; %bb.1066:
	v_lshlrev_b64 v[13:14], 3, v[15:16]
	v_mov_b32_e32 v15, s88
	v_add_co_u32_e32 v13, vcc, s37, v13
	v_addc_co_u32_e32 v14, vcc, v15, v14, vcc
	flat_load_dwordx2 v[13:14], v[13:14]
	s_or_b64 s[8:9], s[8:9], exec
	s_waitcnt vmcnt(0) lgkmcnt(0)
	v_div_scale_f64 v[15:16], s[12:13], v[13:14], v[13:14], 1.0
	v_div_scale_f64 v[22:23], vcc, 1.0, v[13:14], 1.0
	v_rcp_f64_e32 v[18:19], v[15:16]
	v_fma_f64 v[20:21], -v[15:16], v[18:19], 1.0
	v_fma_f64 v[18:19], v[18:19], v[20:21], v[18:19]
	v_fma_f64 v[20:21], -v[15:16], v[18:19], 1.0
	v_fma_f64 v[18:19], v[18:19], v[20:21], v[18:19]
	v_mul_f64 v[20:21], v[22:23], v[18:19]
	v_fma_f64 v[15:16], -v[15:16], v[20:21], v[22:23]
	v_div_fmas_f64 v[15:16], v[15:16], v[18:19], v[20:21]
	v_div_fixup_f64 v[13:14], v[15:16], v[13:14], 1.0
.LBB137_1067:
	s_or_b64 exec, exec, s[10:11]
	s_and_b64 s[8:9], s[8:9], exec
                                        ; implicit-def: $vgpr15_vgpr16
	s_andn2_saveexec_b64 s[2:3], s[2:3]
	s_cbranch_execz .LBB137_22
.LBB137_1068:
	v_lshlrev_b64 v[13:14], 3, v[15:16]
	v_mov_b32_e32 v15, s88
	v_add_co_u32_e32 v13, vcc, s37, v13
	v_addc_co_u32_e32 v14, vcc, v15, v14, vcc
	flat_load_dwordx2 v[13:14], v[13:14]
	s_or_b64 s[8:9], s[8:9], exec
	s_waitcnt vmcnt(0) lgkmcnt(0)
	v_xor_b32_e32 v14, 0x80000000, v14
	s_or_b64 exec, exec, s[2:3]
	s_and_saveexec_b64 s[2:3], s[8:9]
	s_cbranch_execnz .LBB137_23
	s_branch .LBB137_24
.LBB137_1069:
	v_cmp_ne_u32_e32 vcc, v0, v2
	s_xor_b64 s[12:13], s[2:3], -1
	s_or_b64 s[14:15], s[12:13], vcc
	s_mov_b64 s[12:13], 0
	s_and_saveexec_b64 s[16:17], s[14:15]
	s_xor_b64 s[14:15], exec, s[16:17]
; %bb.1070:
	v_or_b32_e32 v1, v2, v0
	v_cmp_gt_u32_e32 vcc, 64, v1
	s_and_b64 s[12:13], vcc, exec
                                        ; implicit-def: $vgpr13_vgpr14
; %bb.1071:
	s_or_saveexec_b64 s[14:15], s[14:15]
	v_mov_b32_e32 v15, 0
	v_mov_b32_e32 v16, 0
	s_xor_b64 exec, exec, s[14:15]
	s_cbranch_execz .LBB137_1073
; %bb.1072:
	v_lshlrev_b64 v[13:14], 3, v[13:14]
	v_mov_b32_e32 v1, s88
	v_add_co_u32_e32 v13, vcc, s37, v13
	v_addc_co_u32_e32 v14, vcc, v1, v14, vcc
	flat_load_dwordx2 v[13:14], v[13:14]
	s_or_b64 s[12:13], s[12:13], exec
	s_waitcnt vmcnt(0) lgkmcnt(0)
	v_div_scale_f64 v[15:16], s[16:17], v[13:14], v[13:14], 1.0
	v_div_scale_f64 v[22:23], vcc, 1.0, v[13:14], 1.0
	v_rcp_f64_e32 v[18:19], v[15:16]
	v_fma_f64 v[20:21], -v[15:16], v[18:19], 1.0
	v_fma_f64 v[18:19], v[18:19], v[20:21], v[18:19]
	v_fma_f64 v[20:21], -v[15:16], v[18:19], 1.0
	v_fma_f64 v[18:19], v[18:19], v[20:21], v[18:19]
	v_mul_f64 v[20:21], v[22:23], v[18:19]
	v_fma_f64 v[15:16], -v[15:16], v[20:21], v[22:23]
	v_div_fmas_f64 v[15:16], v[15:16], v[18:19], v[20:21]
	v_div_fixup_f64 v[15:16], v[15:16], v[13:14], 1.0
.LBB137_1073:
	s_or_b64 exec, exec, s[14:15]
	s_and_b64 s[12:13], s[12:13], exec
                                        ; implicit-def: $vgpr13_vgpr14
	s_andn2_saveexec_b64 s[8:9], s[8:9]
	s_cbranch_execz .LBB137_36
.LBB137_1074:
	v_lshlrev_b64 v[13:14], 3, v[13:14]
	v_mov_b32_e32 v1, s88
	v_add_co_u32_e32 v13, vcc, s37, v13
	v_addc_co_u32_e32 v14, vcc, v1, v14, vcc
	flat_load_dwordx2 v[15:16], v[13:14]
	s_or_b64 s[12:13], s[12:13], exec
	s_waitcnt vmcnt(0) lgkmcnt(0)
	v_xor_b32_e32 v16, 0x80000000, v16
	s_or_b64 exec, exec, s[8:9]
	s_and_saveexec_b64 s[8:9], s[12:13]
	s_cbranch_execnz .LBB137_37
	s_branch .LBB137_38
.LBB137_1075:
	v_cmp_ne_u32_e32 vcc, v0, v1
	s_xor_b64 s[12:13], s[2:3], -1
	s_or_b64 s[14:15], s[12:13], vcc
	s_mov_b64 s[12:13], 0
	s_and_saveexec_b64 s[16:17], s[14:15]
	s_xor_b64 s[14:15], exec, s[16:17]
; %bb.1076:
	v_or_b32_e32 v13, v1, v0
	v_cmp_gt_u32_e32 vcc, 64, v13
	s_and_b64 s[12:13], vcc, exec
                                        ; implicit-def: $vgpr13_vgpr14
; %bb.1077:
	s_or_saveexec_b64 s[14:15], s[14:15]
	v_mov_b32_e32 v15, 0
	v_mov_b32_e32 v16, 0
	s_xor_b64 exec, exec, s[14:15]
	s_cbranch_execz .LBB137_1079
; %bb.1078:
	v_lshlrev_b64 v[13:14], 3, v[13:14]
	v_mov_b32_e32 v15, s88
	v_add_co_u32_e32 v13, vcc, s37, v13
	v_addc_co_u32_e32 v14, vcc, v15, v14, vcc
	flat_load_dwordx2 v[13:14], v[13:14]
	s_or_b64 s[12:13], s[12:13], exec
	s_waitcnt vmcnt(0) lgkmcnt(0)
	v_div_scale_f64 v[15:16], s[16:17], v[13:14], v[13:14], 1.0
	v_div_scale_f64 v[22:23], vcc, 1.0, v[13:14], 1.0
	v_rcp_f64_e32 v[18:19], v[15:16]
	v_fma_f64 v[20:21], -v[15:16], v[18:19], 1.0
	v_fma_f64 v[18:19], v[18:19], v[20:21], v[18:19]
	v_fma_f64 v[20:21], -v[15:16], v[18:19], 1.0
	v_fma_f64 v[18:19], v[18:19], v[20:21], v[18:19]
	v_mul_f64 v[20:21], v[22:23], v[18:19]
	v_fma_f64 v[15:16], -v[15:16], v[20:21], v[22:23]
	v_div_fmas_f64 v[15:16], v[15:16], v[18:19], v[20:21]
	v_div_fixup_f64 v[15:16], v[15:16], v[13:14], 1.0
.LBB137_1079:
	s_or_b64 exec, exec, s[14:15]
	s_and_b64 s[12:13], s[12:13], exec
                                        ; implicit-def: $vgpr13_vgpr14
	s_andn2_saveexec_b64 s[8:9], s[8:9]
	s_cbranch_execz .LBB137_40
.LBB137_1080:
	v_lshlrev_b64 v[13:14], 3, v[13:14]
	v_mov_b32_e32 v15, s88
	v_add_co_u32_e32 v13, vcc, s37, v13
	v_addc_co_u32_e32 v14, vcc, v15, v14, vcc
	flat_load_dwordx2 v[15:16], v[13:14]
	s_or_b64 s[12:13], s[12:13], exec
	s_waitcnt vmcnt(0) lgkmcnt(0)
	v_xor_b32_e32 v16, 0x80000000, v16
	s_or_b64 exec, exec, s[8:9]
	s_and_saveexec_b64 s[8:9], s[12:13]
	s_cbranch_execnz .LBB137_41
	s_branch .LBB137_42
.LBB137_1081:
	v_cmp_ne_u32_e32 vcc, v0, v1
	s_xor_b64 s[12:13], s[2:3], -1
	s_or_b64 s[14:15], s[12:13], vcc
	s_mov_b64 s[12:13], 0
	s_and_saveexec_b64 s[16:17], s[14:15]
	s_xor_b64 s[14:15], exec, s[16:17]
; %bb.1082:
	v_or_b32_e32 v13, v1, v0
	v_cmp_gt_u32_e32 vcc, 64, v13
	s_and_b64 s[12:13], vcc, exec
                                        ; implicit-def: $vgpr13_vgpr14
; %bb.1083:
	s_or_saveexec_b64 s[14:15], s[14:15]
	v_mov_b32_e32 v15, 0
	v_mov_b32_e32 v16, 0
	s_xor_b64 exec, exec, s[14:15]
	s_cbranch_execz .LBB137_1085
; %bb.1084:
	v_lshlrev_b64 v[13:14], 3, v[13:14]
	v_mov_b32_e32 v15, s88
	v_add_co_u32_e32 v13, vcc, s37, v13
	v_addc_co_u32_e32 v14, vcc, v15, v14, vcc
	flat_load_dwordx2 v[13:14], v[13:14]
	s_or_b64 s[12:13], s[12:13], exec
	s_waitcnt vmcnt(0) lgkmcnt(0)
	v_div_scale_f64 v[15:16], s[16:17], v[13:14], v[13:14], 1.0
	v_div_scale_f64 v[22:23], vcc, 1.0, v[13:14], 1.0
	v_rcp_f64_e32 v[18:19], v[15:16]
	v_fma_f64 v[20:21], -v[15:16], v[18:19], 1.0
	v_fma_f64 v[18:19], v[18:19], v[20:21], v[18:19]
	v_fma_f64 v[20:21], -v[15:16], v[18:19], 1.0
	v_fma_f64 v[18:19], v[18:19], v[20:21], v[18:19]
	v_mul_f64 v[20:21], v[22:23], v[18:19]
	v_fma_f64 v[15:16], -v[15:16], v[20:21], v[22:23]
	v_div_fmas_f64 v[15:16], v[15:16], v[18:19], v[20:21]
	v_div_fixup_f64 v[15:16], v[15:16], v[13:14], 1.0
.LBB137_1085:
	s_or_b64 exec, exec, s[14:15]
	s_and_b64 s[12:13], s[12:13], exec
                                        ; implicit-def: $vgpr13_vgpr14
	s_andn2_saveexec_b64 s[8:9], s[8:9]
	s_cbranch_execz .LBB137_44
.LBB137_1086:
	v_lshlrev_b64 v[13:14], 3, v[13:14]
	v_mov_b32_e32 v15, s88
	v_add_co_u32_e32 v13, vcc, s37, v13
	v_addc_co_u32_e32 v14, vcc, v15, v14, vcc
	flat_load_dwordx2 v[15:16], v[13:14]
	s_or_b64 s[12:13], s[12:13], exec
	s_waitcnt vmcnt(0) lgkmcnt(0)
	v_xor_b32_e32 v16, 0x80000000, v16
	s_or_b64 exec, exec, s[8:9]
	s_and_saveexec_b64 s[8:9], s[12:13]
	s_cbranch_execnz .LBB137_45
	s_branch .LBB137_46
.LBB137_1087:
	s_or_b64 exec, exec, s[10:11]
	s_and_b64 vcc, exec, s[8:9]
	s_cbranch_vccnz .LBB137_1031
.LBB137_1088:
	v_mov_b32_e32 v12, v6
	v_mov_b32_e32 v11, v5
	s_and_saveexec_b64 s[2:3], s[6:7]
	s_cbranch_execnz .LBB137_1094
	s_branch .LBB137_1095
.LBB137_1089:
	s_mov_b64 s[4:5], 0
.LBB137_1090:
	v_cmp_gt_i32_e32 vcc, s36, v0
	s_and_b64 s[2:3], s[2:3], vcc
	s_andn2_b64 s[4:5], s[4:5], exec
	s_and_b64 s[2:3], s[2:3], exec
	s_or_b64 s[4:5], s[4:5], s[2:3]
.LBB137_1091:
                                        ; implicit-def: $vgpr1_vgpr2
	s_and_saveexec_b64 s[2:3], s[4:5]
	s_cbranch_execz .LBB137_1093
; %bb.1092:
	v_mov_b32_e32 v0, s46
	v_add_co_u32_e32 v1, vcc, s33, v19
	v_addc_co_u32_e32 v0, vcc, 0, v0, vcc
	v_mul_lo_u32 v0, v0, s30
	v_mul_lo_u32 v3, v1, s31
	v_mad_u64_u32 v[1:2], s[4:5], v1, s30, 0
	s_or_b64 s[6:7], s[6:7], exec
	v_add3_u32 v2, v2, v3, v0
.LBB137_1093:
	s_or_b64 exec, exec, s[2:3]
	s_and_saveexec_b64 s[2:3], s[6:7]
	s_cbranch_execz .LBB137_1095
.LBB137_1094:
	v_lshlrev_b64 v[0:1], 3, v[1:2]
	v_mov_b32_e32 v2, s21
	v_add_co_u32_e32 v0, vcc, s20, v0
	v_addc_co_u32_e32 v1, vcc, v2, v1, vcc
	flat_store_dwordx2 v[0:1], v[11:12]
.LBB137_1095:
	s_or_b64 exec, exec, s[2:3]
	v_cmp_eq_u32_e32 vcc, 0, v19
	s_waitcnt vmcnt(0) lgkmcnt(0)
	buffer_wbinvl1_vol
	s_barrier
	s_and_saveexec_b64 s[2:3], vcc
	s_cbranch_execz .LBB137_1097
; %bb.1096:
	s_lshl_b64 s[4:5], s[22:23], 2
	s_add_u32 s0, s0, s4
	s_addc_u32 s1, s1, s5
	v_mov_b32_e32 v0, 0
	global_load_dword v1, v0, s[0:1]
	s_waitcnt vmcnt(0)
	v_add_u32_e32 v1, 1, v1
	global_store_dword v0, v1, s[0:1]
.LBB137_1097:
	s_or_b64 exec, exec, s[2:3]
	s_waitcnt vmcnt(0)
	buffer_wbinvl1_vol
	s_endpgm
.LBB137_1098:
	ds_read_b64 v[21:22], v20 offset:31680
	ds_read_b64 v[23:24], v19 offset:31208
	s_waitcnt lgkmcnt(0)
	v_fma_f64 v[11:12], v[21:22], v[23:24], v[11:12]
	s_or_b64 exec, exec, s[14:15]
	v_cmp_gt_u32_e64 s[10:11], 8, v15
	s_and_saveexec_b64 s[14:15], s[10:11]
	s_cbranch_execz .LBB137_79
.LBB137_1099:
	ds_read_b64 v[20:21], v20 offset:32192
	ds_read_b64 v[22:23], v19 offset:31216
	s_waitcnt lgkmcnt(0)
	v_fma_f64 v[11:12], v[20:21], v[22:23], v[11:12]
	s_or_b64 exec, exec, s[14:15]
	v_cmp_gt_u32_e64 s[10:11], 4, v15
	s_and_saveexec_b64 s[14:15], s[10:11]
	s_cbranch_execnz .LBB137_80
	s_branch .LBB137_81
.LBB137_1100:
	ds_read_b64 v[24:25], v23 offset:29568
	ds_read_b64 v[26:27], v22 offset:29128
	s_waitcnt lgkmcnt(0)
	v_fma_f64 v[11:12], v[24:25], v[26:27], v[11:12]
	s_or_b64 exec, exec, s[16:17]
	v_cmp_gt_u32_e64 s[14:15], 48, v15
	s_and_saveexec_b64 s[16:17], s[14:15]
	s_cbranch_execz .LBB137_121
.LBB137_1101:
	ds_read_b64 v[24:25], v23 offset:30080
	ds_read_b64 v[26:27], v22 offset:29136
	s_waitcnt lgkmcnt(0)
	v_fma_f64 v[11:12], v[24:25], v[26:27], v[11:12]
	s_or_b64 exec, exec, s[16:17]
	v_cmp_gt_u32_e64 s[14:15], 40, v15
	s_and_saveexec_b64 s[16:17], s[14:15]
	s_cbranch_execz .LBB137_122
.LBB137_1102:
	ds_read_b64 v[24:25], v23 offset:30592
	ds_read_b64 v[26:27], v22 offset:29144
	s_waitcnt lgkmcnt(0)
	v_fma_f64 v[11:12], v[24:25], v[26:27], v[11:12]
	s_or_b64 exec, exec, s[16:17]
	v_cmp_gt_u32_e64 s[14:15], 32, v15
	s_and_saveexec_b64 s[16:17], s[14:15]
	s_cbranch_execz .LBB137_123
.LBB137_1103:
	ds_read_b64 v[24:25], v23 offset:31104
	ds_read_b64 v[26:27], v22 offset:29152
	s_waitcnt lgkmcnt(0)
	v_fma_f64 v[11:12], v[24:25], v[26:27], v[11:12]
	s_or_b64 exec, exec, s[16:17]
	v_cmp_gt_u32_e64 s[14:15], 24, v15
	s_and_saveexec_b64 s[16:17], s[14:15]
	s_cbranch_execz .LBB137_124
.LBB137_1104:
	ds_read_b64 v[24:25], v23 offset:31616
	ds_read_b64 v[26:27], v22 offset:29160
	s_waitcnt lgkmcnt(0)
	v_fma_f64 v[11:12], v[24:25], v[26:27], v[11:12]
	s_or_b64 exec, exec, s[16:17]
	s_and_saveexec_b64 s[14:15], s[18:19]
	s_cbranch_execz .LBB137_125
.LBB137_1105:
	ds_read_b64 v[23:24], v23 offset:32128
	ds_read_b64 v[25:26], v22 offset:29168
	s_waitcnt lgkmcnt(0)
	v_fma_f64 v[11:12], v[23:24], v[25:26], v[11:12]
	s_or_b64 exec, exec, s[14:15]
	v_cmp_gt_u32_e64 s[14:15], 8, v15
	s_and_saveexec_b64 s[16:17], s[14:15]
	s_cbranch_execnz .LBB137_126
	s_branch .LBB137_127
.LBB137_1106:
	ds_read_b64 v[24:25], v23 offset:27520
	ds_read_b64 v[26:27], v22 offset:27048
	s_waitcnt lgkmcnt(0)
	v_fma_f64 v[11:12], v[24:25], v[26:27], v[11:12]
	s_or_b64 exec, exec, s[14:15]
	v_cmp_gt_u32_e64 s[10:11], 8, v15
	s_and_saveexec_b64 s[14:15], s[10:11]
	s_cbranch_execz .LBB137_183
.LBB137_1107:
	ds_read_b64 v[23:24], v23 offset:28032
	ds_read_b64 v[25:26], v22 offset:27056
	s_waitcnt lgkmcnt(0)
	v_fma_f64 v[11:12], v[23:24], v[25:26], v[11:12]
	s_or_b64 exec, exec, s[14:15]
	v_cmp_gt_u32_e64 s[10:11], 4, v15
	s_and_saveexec_b64 s[14:15], s[10:11]
	s_cbranch_execnz .LBB137_184
	s_branch .LBB137_185
.LBB137_1108:
	ds_read_b64 v[27:28], v26 offset:30464
	ds_read_b64 v[29:30], v25 offset:25048
	s_waitcnt lgkmcnt(0)
	v_fma_f64 v[11:12], v[27:28], v[29:30], v[11:12]
	s_or_b64 exec, exec, s[20:21]
	s_and_saveexec_b64 s[16:17], s[8:9]
	s_cbranch_execz .LBB137_245
.LBB137_1109:
	ds_read_b64 v[27:28], v26 offset:30976
	ds_read_b64 v[29:30], v25 offset:25056
	s_waitcnt lgkmcnt(0)
	v_fma_f64 v[11:12], v[27:28], v[29:30], v[11:12]
	s_or_b64 exec, exec, s[16:17]
	v_cmp_gt_u32_e64 s[16:17], 48, v15
	s_and_saveexec_b64 s[20:21], s[16:17]
	s_cbranch_execz .LBB137_246
.LBB137_1110:
	ds_read_b64 v[27:28], v26 offset:31488
	ds_read_b64 v[29:30], v25 offset:25064
	s_waitcnt lgkmcnt(0)
	v_fma_f64 v[11:12], v[27:28], v[29:30], v[11:12]
	s_or_b64 exec, exec, s[20:21]
	v_cmp_gt_u32_e64 s[16:17], 32, v15
	s_and_saveexec_b64 s[20:21], s[16:17]
	s_cbranch_execz .LBB137_247
.LBB137_1111:
	ds_read_b64 v[26:27], v26 offset:32000
	ds_read_b64 v[28:29], v25 offset:25072
	s_waitcnt lgkmcnt(0)
	v_fma_f64 v[11:12], v[26:27], v[28:29], v[11:12]
	s_or_b64 exec, exec, s[20:21]
	v_cmp_gt_u32_e64 s[16:17], 16, v15
	s_and_saveexec_b64 s[20:21], s[16:17]
	s_cbranch_execnz .LBB137_248
	s_branch .LBB137_249
.LBB137_1112:
	ds_read_b64 v[27:28], v26 offset:23360
	ds_read_b64 v[29:30], v25 offset:22888
	s_waitcnt lgkmcnt(0)
	v_fma_f64 v[11:12], v[27:28], v[29:30], v[11:12]
	s_or_b64 exec, exec, s[0:1]
	v_cmp_gt_u32_e64 s[14:15], 8, v15
	s_and_saveexec_b64 s[0:1], s[14:15]
	s_cbranch_execz .LBB137_337
.LBB137_1113:
	ds_read_b64 v[26:27], v26 offset:23872
	ds_read_b64 v[28:29], v25 offset:22896
	s_waitcnt lgkmcnt(0)
	v_fma_f64 v[11:12], v[26:27], v[28:29], v[11:12]
	s_or_b64 exec, exec, s[0:1]
	v_cmp_gt_u32_e64 s[14:15], 4, v15
	s_and_saveexec_b64 s[20:21], s[14:15]
	s_cbranch_execnz .LBB137_338
	s_branch .LBB137_339
.LBB137_1114:
	ds_read_b64 v[27:28], v26 offset:21248
	ds_read_b64 v[29:30], v25 offset:20808
	s_waitcnt lgkmcnt(0)
	v_fma_f64 v[11:12], v[27:28], v[29:30], v[11:12]
	s_or_b64 exec, exec, s[0:1]
	v_cmp_gt_u32_e64 s[14:15], 48, v15
	s_and_saveexec_b64 s[0:1], s[14:15]
	s_cbranch_execz .LBB137_379
.LBB137_1115:
	ds_read_b64 v[27:28], v26 offset:21760
	ds_read_b64 v[29:30], v25 offset:20816
	s_waitcnt lgkmcnt(0)
	v_fma_f64 v[11:12], v[27:28], v[29:30], v[11:12]
	s_or_b64 exec, exec, s[0:1]
	v_cmp_gt_u32_e64 s[14:15], 40, v15
	s_and_saveexec_b64 s[0:1], s[14:15]
	s_cbranch_execz .LBB137_380
.LBB137_1116:
	ds_read_b64 v[27:28], v26 offset:22272
	ds_read_b64 v[29:30], v25 offset:20824
	s_waitcnt lgkmcnt(0)
	v_fma_f64 v[11:12], v[27:28], v[29:30], v[11:12]
	s_or_b64 exec, exec, s[0:1]
	v_cmp_gt_u32_e64 s[14:15], 32, v15
	s_and_saveexec_b64 s[0:1], s[14:15]
	s_cbranch_execz .LBB137_381
.LBB137_1117:
	ds_read_b64 v[27:28], v26 offset:22784
	ds_read_b64 v[29:30], v25 offset:20832
	s_waitcnt lgkmcnt(0)
	v_fma_f64 v[11:12], v[27:28], v[29:30], v[11:12]
	s_or_b64 exec, exec, s[0:1]
	v_cmp_gt_u32_e64 s[14:15], 24, v15
	s_and_saveexec_b64 s[0:1], s[14:15]
	s_cbranch_execz .LBB137_382
.LBB137_1118:
	ds_read_b64 v[27:28], v26 offset:23296
	ds_read_b64 v[29:30], v25 offset:20840
	s_waitcnt lgkmcnt(0)
	v_fma_f64 v[11:12], v[27:28], v[29:30], v[11:12]
	s_or_b64 exec, exec, s[0:1]
	s_and_saveexec_b64 s[0:1], s[18:19]
	s_cbranch_execz .LBB137_383
.LBB137_1119:
	ds_read_b64 v[26:27], v26 offset:23808
	ds_read_b64 v[28:29], v25 offset:20848
	s_waitcnt lgkmcnt(0)
	v_fma_f64 v[11:12], v[26:27], v[28:29], v[11:12]
	s_or_b64 exec, exec, s[0:1]
	v_cmp_gt_u32_e64 s[14:15], 8, v15
	s_and_saveexec_b64 s[20:21], s[14:15]
	s_cbranch_execnz .LBB137_384
	s_branch .LBB137_385
.LBB137_1120:
	ds_read_b64 v[27:28], v26 offset:19200
	ds_read_b64 v[29:30], v25 offset:18728
	s_waitcnt lgkmcnt(0)
	v_fma_f64 v[11:12], v[27:28], v[29:30], v[11:12]
	s_or_b64 exec, exec, s[0:1]
	v_cmp_gt_u32_e64 s[14:15], 8, v15
	s_and_saveexec_b64 s[0:1], s[14:15]
	s_cbranch_execz .LBB137_441
.LBB137_1121:
	ds_read_b64 v[26:27], v26 offset:19712
	ds_read_b64 v[28:29], v25 offset:18736
	s_waitcnt lgkmcnt(0)
	v_fma_f64 v[11:12], v[26:27], v[28:29], v[11:12]
	s_or_b64 exec, exec, s[0:1]
	v_cmp_gt_u32_e64 s[14:15], 4, v15
	s_and_saveexec_b64 s[20:21], s[14:15]
	s_cbranch_execnz .LBB137_442
	s_branch .LBB137_443
.LBB137_1122:
	ds_read_b64 v[30:31], v29 offset:31232
	ds_read_b64 v[32:33], v28 offset:16872
	s_waitcnt lgkmcnt(0)
	v_fma_f64 v[11:12], v[30:31], v[32:33], v[11:12]
	s_or_b64 exec, exec, s[0:1]
	s_and_saveexec_b64 s[0:1], s[8:9]
	s_cbranch_execz .LBB137_539
.LBB137_1123:
	ds_read_b64 v[29:30], v29 offset:31744
	ds_read_b64 v[31:32], v28 offset:16880
	s_waitcnt lgkmcnt(0)
	v_fma_f64 v[11:12], v[29:30], v[31:32], v[11:12]
	s_or_b64 exec, exec, s[0:1]
	v_cmp_gt_u32_e64 s[20:21], 32, v15
	s_and_saveexec_b64 s[0:1], s[20:21]
	s_cbranch_execnz .LBB137_540
	s_branch .LBB137_541
.LBB137_1124:
	ds_read_b64 v[27:28], v26 offset:15040
	ds_read_b64 v[29:30], v25 offset:14568
	s_waitcnt lgkmcnt(0)
	v_fma_f64 v[11:12], v[27:28], v[29:30], v[11:12]
	s_or_b64 exec, exec, s[0:1]
	v_cmp_gt_u32_e64 s[12:13], 8, v15
	s_and_saveexec_b64 s[0:1], s[12:13]
	s_cbranch_execz .LBB137_585
.LBB137_1125:
	ds_read_b64 v[26:27], v26 offset:15552
	ds_read_b64 v[28:29], v25 offset:14576
	s_waitcnt lgkmcnt(0)
	v_fma_f64 v[11:12], v[26:27], v[28:29], v[11:12]
	s_or_b64 exec, exec, s[0:1]
	v_cmp_gt_u32_e64 s[12:13], 4, v15
	s_and_saveexec_b64 s[0:1], s[12:13]
	s_cbranch_execnz .LBB137_586
	s_branch .LBB137_587
.LBB137_1126:
	ds_read_b64 v[27:28], v26 offset:12928
	ds_read_b64 v[29:30], v25 offset:12488
	s_waitcnt lgkmcnt(0)
	v_fma_f64 v[11:12], v[27:28], v[29:30], v[11:12]
	s_or_b64 exec, exec, s[0:1]
	v_cmp_gt_u32_e64 s[12:13], 48, v15
	s_and_saveexec_b64 s[0:1], s[12:13]
	s_cbranch_execz .LBB137_627
.LBB137_1127:
	ds_read_b64 v[27:28], v26 offset:13440
	ds_read_b64 v[29:30], v25 offset:12496
	s_waitcnt lgkmcnt(0)
	v_fma_f64 v[11:12], v[27:28], v[29:30], v[11:12]
	s_or_b64 exec, exec, s[0:1]
	v_cmp_gt_u32_e64 s[12:13], 40, v15
	s_and_saveexec_b64 s[0:1], s[12:13]
	s_cbranch_execz .LBB137_628
.LBB137_1128:
	ds_read_b64 v[27:28], v26 offset:13952
	ds_read_b64 v[29:30], v25 offset:12504
	s_waitcnt lgkmcnt(0)
	v_fma_f64 v[11:12], v[27:28], v[29:30], v[11:12]
	s_or_b64 exec, exec, s[0:1]
	v_cmp_gt_u32_e64 s[12:13], 32, v15
	s_and_saveexec_b64 s[0:1], s[12:13]
	s_cbranch_execz .LBB137_629
.LBB137_1129:
	ds_read_b64 v[27:28], v26 offset:14464
	ds_read_b64 v[29:30], v25 offset:12512
	s_waitcnt lgkmcnt(0)
	v_fma_f64 v[11:12], v[27:28], v[29:30], v[11:12]
	s_or_b64 exec, exec, s[0:1]
	v_cmp_gt_u32_e64 s[12:13], 24, v15
	s_and_saveexec_b64 s[0:1], s[12:13]
	s_cbranch_execz .LBB137_630
.LBB137_1130:
	ds_read_b64 v[27:28], v26 offset:14976
	ds_read_b64 v[29:30], v25 offset:12520
	s_waitcnt lgkmcnt(0)
	v_fma_f64 v[11:12], v[27:28], v[29:30], v[11:12]
	s_or_b64 exec, exec, s[0:1]
	s_and_saveexec_b64 s[0:1], s[18:19]
	s_cbranch_execz .LBB137_631
.LBB137_1131:
	ds_read_b64 v[26:27], v26 offset:15488
	ds_read_b64 v[28:29], v25 offset:12528
	s_waitcnt lgkmcnt(0)
	v_fma_f64 v[11:12], v[26:27], v[28:29], v[11:12]
	s_or_b64 exec, exec, s[0:1]
	v_cmp_gt_u32_e64 s[12:13], 8, v15
	s_and_saveexec_b64 s[0:1], s[12:13]
	s_cbranch_execnz .LBB137_632
	s_branch .LBB137_633
.LBB137_1132:
	ds_read_b64 v[27:28], v26 offset:10880
	ds_read_b64 v[29:30], v25 offset:10408
	s_waitcnt lgkmcnt(0)
	v_fma_f64 v[11:12], v[27:28], v[29:30], v[11:12]
	s_or_b64 exec, exec, s[0:1]
	v_cmp_gt_u32_e64 s[12:13], 8, v15
	s_and_saveexec_b64 s[0:1], s[12:13]
	s_cbranch_execz .LBB137_689
.LBB137_1133:
	ds_read_b64 v[26:27], v26 offset:11392
	ds_read_b64 v[28:29], v25 offset:10416
	s_waitcnt lgkmcnt(0)
	v_fma_f64 v[11:12], v[26:27], v[28:29], v[11:12]
	s_or_b64 exec, exec, s[0:1]
	v_cmp_gt_u32_e64 s[12:13], 4, v15
	s_and_saveexec_b64 s[0:1], s[12:13]
	s_cbranch_execnz .LBB137_690
	s_branch .LBB137_691
.LBB137_1134:
	ds_read_b64 v[27:28], v26 offset:13824
	ds_read_b64 v[29:30], v25 offset:8408
	s_waitcnt lgkmcnt(0)
	v_fma_f64 v[11:12], v[27:28], v[29:30], v[11:12]
	s_or_b64 exec, exec, s[0:1]
	s_and_saveexec_b64 s[0:1], s[8:9]
	s_cbranch_execz .LBB137_751
.LBB137_1135:
	ds_read_b64 v[27:28], v26 offset:14336
	ds_read_b64 v[29:30], v25 offset:8416
	s_waitcnt lgkmcnt(0)
	v_fma_f64 v[11:12], v[27:28], v[29:30], v[11:12]
	s_or_b64 exec, exec, s[0:1]
	v_cmp_gt_u32_e64 s[12:13], 48, v15
	s_and_saveexec_b64 s[0:1], s[12:13]
	s_cbranch_execz .LBB137_752
.LBB137_1136:
	ds_read_b64 v[27:28], v26 offset:14848
	ds_read_b64 v[29:30], v25 offset:8424
	s_waitcnt lgkmcnt(0)
	v_fma_f64 v[11:12], v[27:28], v[29:30], v[11:12]
	s_or_b64 exec, exec, s[0:1]
	v_cmp_gt_u32_e64 s[12:13], 32, v15
	s_and_saveexec_b64 s[0:1], s[12:13]
	s_cbranch_execz .LBB137_753
.LBB137_1137:
	ds_read_b64 v[26:27], v26 offset:15360
	ds_read_b64 v[28:29], v25 offset:8432
	s_waitcnt lgkmcnt(0)
	v_fma_f64 v[11:12], v[26:27], v[28:29], v[11:12]
	s_or_b64 exec, exec, s[0:1]
	v_cmp_gt_u32_e64 s[12:13], 16, v15
	s_and_saveexec_b64 s[0:1], s[12:13]
	s_cbranch_execnz .LBB137_754
	s_branch .LBB137_755
.LBB137_1138:
	ds_read_b64 v[24:25], v23 offset:6720
	ds_read_b64 v[26:27], v22 offset:6248
	s_waitcnt lgkmcnt(0)
	v_fma_f64 v[11:12], v[24:25], v[26:27], v[11:12]
	s_or_b64 exec, exec, s[12:13]
	v_cmp_gt_u32_e64 s[10:11], 8, v15
	s_and_saveexec_b64 s[12:13], s[10:11]
	s_cbranch_execz .LBB137_843
.LBB137_1139:
	ds_read_b64 v[23:24], v23 offset:7232
	ds_read_b64 v[25:26], v22 offset:6256
	s_waitcnt lgkmcnt(0)
	v_fma_f64 v[11:12], v[23:24], v[25:26], v[11:12]
	s_or_b64 exec, exec, s[12:13]
	v_cmp_gt_u32_e64 s[10:11], 4, v15
	s_and_saveexec_b64 s[12:13], s[10:11]
	s_cbranch_execnz .LBB137_844
	s_branch .LBB137_845
.LBB137_1140:
	ds_read_b64 v[24:25], v23 offset:4608
	ds_read_b64 v[26:27], v22 offset:4168
	s_waitcnt lgkmcnt(0)
	v_fma_f64 v[11:12], v[24:25], v[26:27], v[11:12]
	s_or_b64 exec, exec, s[12:13]
	v_cmp_gt_u32_e64 s[10:11], 48, v15
	s_and_saveexec_b64 s[12:13], s[10:11]
	s_cbranch_execz .LBB137_885
.LBB137_1141:
	ds_read_b64 v[24:25], v23 offset:5120
	ds_read_b64 v[26:27], v22 offset:4176
	s_waitcnt lgkmcnt(0)
	v_fma_f64 v[11:12], v[24:25], v[26:27], v[11:12]
	s_or_b64 exec, exec, s[12:13]
	v_cmp_gt_u32_e64 s[10:11], 40, v15
	s_and_saveexec_b64 s[12:13], s[10:11]
	s_cbranch_execz .LBB137_886
.LBB137_1142:
	ds_read_b64 v[24:25], v23 offset:5632
	ds_read_b64 v[26:27], v22 offset:4184
	s_waitcnt lgkmcnt(0)
	v_fma_f64 v[11:12], v[24:25], v[26:27], v[11:12]
	s_or_b64 exec, exec, s[12:13]
	v_cmp_gt_u32_e64 s[10:11], 32, v15
	s_and_saveexec_b64 s[12:13], s[10:11]
	s_cbranch_execz .LBB137_887
.LBB137_1143:
	ds_read_b64 v[24:25], v23 offset:6144
	ds_read_b64 v[26:27], v22 offset:4192
	s_waitcnt lgkmcnt(0)
	v_fma_f64 v[11:12], v[24:25], v[26:27], v[11:12]
	s_or_b64 exec, exec, s[12:13]
	v_cmp_gt_u32_e64 s[10:11], 24, v15
	s_and_saveexec_b64 s[12:13], s[10:11]
	s_cbranch_execz .LBB137_888
.LBB137_1144:
	ds_read_b64 v[24:25], v23 offset:6656
	ds_read_b64 v[26:27], v22 offset:4200
	s_waitcnt lgkmcnt(0)
	v_fma_f64 v[11:12], v[24:25], v[26:27], v[11:12]
	s_or_b64 exec, exec, s[12:13]
	s_and_saveexec_b64 s[10:11], s[18:19]
	s_cbranch_execz .LBB137_889
.LBB137_1145:
	ds_read_b64 v[23:24], v23 offset:7168
	ds_read_b64 v[25:26], v22 offset:4208
	s_waitcnt lgkmcnt(0)
	v_fma_f64 v[11:12], v[23:24], v[25:26], v[11:12]
	s_or_b64 exec, exec, s[10:11]
	v_cmp_gt_u32_e64 s[10:11], 8, v15
	s_and_saveexec_b64 s[12:13], s[10:11]
	s_cbranch_execnz .LBB137_890
	s_branch .LBB137_891
.LBB137_1146:
	ds_read_b64 v[21:22], v20 offset:2560
	ds_read_b64 v[23:24], v19 offset:2088
	s_waitcnt lgkmcnt(0)
	v_fma_f64 v[11:12], v[21:22], v[23:24], v[11:12]
	s_or_b64 exec, exec, s[10:11]
	v_cmp_gt_u32_e64 s[8:9], 8, v15
	s_and_saveexec_b64 s[10:11], s[8:9]
	s_cbranch_execz .LBB137_947
.LBB137_1147:
	ds_read_b64 v[20:21], v20 offset:3072
	ds_read_b64 v[22:23], v19 offset:2096
	s_waitcnt lgkmcnt(0)
	v_fma_f64 v[11:12], v[20:21], v[22:23], v[11:12]
	s_or_b64 exec, exec, s[10:11]
	v_cmp_gt_u32_e64 s[8:9], 4, v15
	s_and_saveexec_b64 s[10:11], s[8:9]
	s_cbranch_execnz .LBB137_948
	s_branch .LBB137_949
	.section	.rodata,"a",@progbits
	.p2align	6, 0x0
	.amdhsa_kernel _ZL19rocblas_trsv_deviceILi64ELi16ELb0ELb1ELb0ELb0EddPKPKdPKPdEviT7_lllT6_T8_lllPii
		.amdhsa_group_segment_fixed_size 41480
		.amdhsa_private_segment_fixed_size 0
		.amdhsa_kernarg_size 352
		.amdhsa_user_sgpr_count 6
		.amdhsa_user_sgpr_private_segment_buffer 1
		.amdhsa_user_sgpr_dispatch_ptr 0
		.amdhsa_user_sgpr_queue_ptr 0
		.amdhsa_user_sgpr_kernarg_segment_ptr 1
		.amdhsa_user_sgpr_dispatch_id 0
		.amdhsa_user_sgpr_flat_scratch_init 0
		.amdhsa_user_sgpr_private_segment_size 0
		.amdhsa_uses_dynamic_stack 0
		.amdhsa_system_sgpr_private_segment_wavefront_offset 0
		.amdhsa_system_sgpr_workgroup_id_x 1
		.amdhsa_system_sgpr_workgroup_id_y 0
		.amdhsa_system_sgpr_workgroup_id_z 1
		.amdhsa_system_sgpr_workgroup_info 0
		.amdhsa_system_vgpr_workitem_id 1
		.amdhsa_next_free_vgpr 49
		.amdhsa_next_free_sgpr 98
		.amdhsa_reserve_vcc 1
		.amdhsa_reserve_flat_scratch 0
		.amdhsa_float_round_mode_32 0
		.amdhsa_float_round_mode_16_64 0
		.amdhsa_float_denorm_mode_32 3
		.amdhsa_float_denorm_mode_16_64 3
		.amdhsa_dx10_clamp 1
		.amdhsa_ieee_mode 1
		.amdhsa_fp16_overflow 0
		.amdhsa_exception_fp_ieee_invalid_op 0
		.amdhsa_exception_fp_denorm_src 0
		.amdhsa_exception_fp_ieee_div_zero 0
		.amdhsa_exception_fp_ieee_overflow 0
		.amdhsa_exception_fp_ieee_underflow 0
		.amdhsa_exception_fp_ieee_inexact 0
		.amdhsa_exception_int_div_zero 0
	.end_amdhsa_kernel
	.section	.text._ZL19rocblas_trsv_deviceILi64ELi16ELb0ELb1ELb0ELb0EddPKPKdPKPdEviT7_lllT6_T8_lllPii,"axG",@progbits,_ZL19rocblas_trsv_deviceILi64ELi16ELb0ELb1ELb0ELb0EddPKPKdPKPdEviT7_lllT6_T8_lllPii,comdat
.Lfunc_end137:
	.size	_ZL19rocblas_trsv_deviceILi64ELi16ELb0ELb1ELb0ELb0EddPKPKdPKPdEviT7_lllT6_T8_lllPii, .Lfunc_end137-_ZL19rocblas_trsv_deviceILi64ELi16ELb0ELb1ELb0ELb0EddPKPKdPKPdEviT7_lllT6_T8_lllPii
                                        ; -- End function
	.set _ZL19rocblas_trsv_deviceILi64ELi16ELb0ELb1ELb0ELb0EddPKPKdPKPdEviT7_lllT6_T8_lllPii.num_vgpr, 37
	.set _ZL19rocblas_trsv_deviceILi64ELi16ELb0ELb1ELb0ELb0EddPKPKdPKPdEviT7_lllT6_T8_lllPii.num_agpr, 0
	.set _ZL19rocblas_trsv_deviceILi64ELi16ELb0ELb1ELb0ELb0EddPKPKdPKPdEviT7_lllT6_T8_lllPii.numbered_sgpr, 96
	.set _ZL19rocblas_trsv_deviceILi64ELi16ELb0ELb1ELb0ELb0EddPKPKdPKPdEviT7_lllT6_T8_lllPii.num_named_barrier, 0
	.set _ZL19rocblas_trsv_deviceILi64ELi16ELb0ELb1ELb0ELb0EddPKPKdPKPdEviT7_lllT6_T8_lllPii.private_seg_size, 0
	.set _ZL19rocblas_trsv_deviceILi64ELi16ELb0ELb1ELb0ELb0EddPKPKdPKPdEviT7_lllT6_T8_lllPii.uses_vcc, 1
	.set _ZL19rocblas_trsv_deviceILi64ELi16ELb0ELb1ELb0ELb0EddPKPKdPKPdEviT7_lllT6_T8_lllPii.uses_flat_scratch, 0
	.set _ZL19rocblas_trsv_deviceILi64ELi16ELb0ELb1ELb0ELb0EddPKPKdPKPdEviT7_lllT6_T8_lllPii.has_dyn_sized_stack, 0
	.set _ZL19rocblas_trsv_deviceILi64ELi16ELb0ELb1ELb0ELb0EddPKPKdPKPdEviT7_lllT6_T8_lllPii.has_recursion, 0
	.set _ZL19rocblas_trsv_deviceILi64ELi16ELb0ELb1ELb0ELb0EddPKPKdPKPdEviT7_lllT6_T8_lllPii.has_indirect_call, 0
	.section	.AMDGPU.csdata,"",@progbits
; Kernel info:
; codeLenInByte = 39524
; TotalNumSgprs: 100
; NumVgprs: 37
; ScratchSize: 0
; MemoryBound: 0
; FloatMode: 240
; IeeeMode: 1
; LDSByteSize: 41480 bytes/workgroup (compile time only)
; SGPRBlocks: 12
; VGPRBlocks: 12
; NumSGPRsForWavesPerEU: 102
; NumVGPRsForWavesPerEU: 49
; Occupancy: 4
; WaveLimiterHint : 1
; COMPUTE_PGM_RSRC2:SCRATCH_EN: 0
; COMPUTE_PGM_RSRC2:USER_SGPR: 6
; COMPUTE_PGM_RSRC2:TRAP_HANDLER: 0
; COMPUTE_PGM_RSRC2:TGID_X_EN: 1
; COMPUTE_PGM_RSRC2:TGID_Y_EN: 0
; COMPUTE_PGM_RSRC2:TGID_Z_EN: 1
; COMPUTE_PGM_RSRC2:TIDIG_COMP_CNT: 1
	.section	.text._ZL19rocblas_trsv_deviceILi64ELi16ELb0ELb1ELb1ELb0EddPKPKdPKPdEviT7_lllT6_T8_lllPii,"axG",@progbits,_ZL19rocblas_trsv_deviceILi64ELi16ELb0ELb1ELb1ELb0EddPKPKdPKPdEviT7_lllT6_T8_lllPii,comdat
	.globl	_ZL19rocblas_trsv_deviceILi64ELi16ELb0ELb1ELb1ELb0EddPKPKdPKPdEviT7_lllT6_T8_lllPii ; -- Begin function _ZL19rocblas_trsv_deviceILi64ELi16ELb0ELb1ELb1ELb0EddPKPKdPKPdEviT7_lllT6_T8_lllPii
	.p2align	8
	.type	_ZL19rocblas_trsv_deviceILi64ELi16ELb0ELb1ELb1ELb0EddPKPKdPKPdEviT7_lllT6_T8_lllPii,@function
_ZL19rocblas_trsv_deviceILi64ELi16ELb0ELb1ELb1ELb0EddPKPKdPKPdEviT7_lllT6_T8_lllPii: ; @_ZL19rocblas_trsv_deviceILi64ELi16ELb0ELb1ELb1ELb0EddPKPKdPKPdEviT7_lllT6_T8_lllPii
; %bb.0:
	s_load_dwordx4 s[0:3], s[4:5], 0x8
	s_mov_b32 s22, s7
	s_mov_b32 s23, 0
	s_lshl_b64 s[8:9], s[22:23], 3
	v_mov_b32_e32 v2, v1
	s_waitcnt lgkmcnt(0)
	s_add_u32 s0, s0, s8
	s_addc_u32 s1, s1, s9
	s_load_dwordx2 s[10:11], s[0:1], 0x0
	s_load_dword s7, s[4:5], 0x0
	s_load_dwordx8 s[24:31], s[4:5], 0x28
	s_load_dwordx2 s[34:35], s[4:5], 0x18
	s_lshl_b64 s[0:1], s[2:3], 3
	s_waitcnt lgkmcnt(0)
	s_add_u32 s37, s10, s0
	s_addc_u32 s88, s11, s1
	s_add_u32 s0, s26, s8
	s_addc_u32 s1, s27, s9
	s_load_dwordx2 s[20:21], s[0:1], 0x0
	s_load_dword s89, s[4:5], 0x6c
	s_cmp_eq_u32 s6, 0
	s_cbranch_scc1 .LBB138_10
; %bb.1:
	s_lshl_b32 s33, s6, 6
	v_add_u32_e32 v1, s33, v0
	v_ashrrev_i32_e32 v3, 31, v1
	v_mul_lo_u32 v5, s34, v3
	v_mul_lo_u32 v6, s35, v1
	v_mad_u64_u32 v[3:4], s[0:1], s34, v1, 0
	v_add_u32_e32 v7, s33, v2
	v_subrev_u32_e32 v11, 64, v7
	v_add3_u32 v4, v4, v5, v6
	v_lshlrev_b64 v[3:4], 3, v[3:4]
	v_ashrrev_i32_e32 v12, 31, v11
	v_cmp_gt_i32_e32 vcc, s7, v1
	v_mov_b32_e32 v1, s88
	v_add_co_u32_e64 v5, s[0:1], s37, v3
	v_addc_co_u32_e64 v1, s[0:1], v1, v4, s[0:1]
	v_lshlrev_b64 v[3:4], 3, v[11:12]
	s_waitcnt lgkmcnt(0)
	v_add_co_u32_e64 v12, s[0:1], v5, v3
	v_addc_co_u32_e64 v13, s[0:1], v1, v4, s[0:1]
	v_cmp_gt_i32_e64 s[0:1], s7, v11
	v_mov_b32_e32 v3, 0
	v_mov_b32_e32 v5, 0
	v_mov_b32_e32 v4, 0
	v_mov_b32_e32 v6, 0
	s_and_b64 s[2:3], s[0:1], vcc
	s_barrier
	s_and_saveexec_b64 s[0:1], s[2:3]
	s_cbranch_execz .LBB138_3
; %bb.2:
	flat_load_dwordx2 v[5:6], v[12:13]
.LBB138_3:
	s_or_b64 exec, exec, s[0:1]
	v_add_u32_e32 v1, 16, v11
	v_cmp_gt_i32_e64 s[0:1], s7, v1
	s_and_b64 s[2:3], s[0:1], vcc
	s_waitcnt vmcnt(0) lgkmcnt(0)
	s_barrier
	s_and_saveexec_b64 s[0:1], s[2:3]
	s_cbranch_execz .LBB138_5
; %bb.4:
	flat_load_dwordx2 v[3:4], v[12:13] offset:128
.LBB138_5:
	s_or_b64 exec, exec, s[0:1]
	v_add_u32_e32 v1, 32, v11
	v_cmp_gt_i32_e64 s[0:1], s7, v1
	v_mov_b32_e32 v7, 0
	v_mov_b32_e32 v9, 0
	;; [unrolled: 1-line block ×4, first 2 shown]
	s_and_b64 s[2:3], s[0:1], vcc
	s_waitcnt vmcnt(0) lgkmcnt(0)
	s_barrier
	s_and_saveexec_b64 s[0:1], s[2:3]
	s_cbranch_execz .LBB138_7
; %bb.6:
	flat_load_dwordx2 v[9:10], v[12:13] offset:256
.LBB138_7:
	s_or_b64 exec, exec, s[0:1]
	v_add_u32_e32 v1, 48, v11
	v_cmp_gt_i32_e64 s[0:1], s7, v1
	s_and_b64 s[2:3], s[0:1], vcc
	s_waitcnt vmcnt(0) lgkmcnt(0)
	s_barrier
	s_and_saveexec_b64 s[0:1], s[2:3]
	s_cbranch_execz .LBB138_9
; %bb.8:
	flat_load_dwordx2 v[7:8], v[12:13] offset:384
.LBB138_9:
	s_or_b64 exec, exec, s[0:1]
	s_branch .LBB138_11
.LBB138_10:
                                        ; implicit-def: $vgpr7_vgpr8
                                        ; implicit-def: $vgpr9_vgpr10
                                        ; implicit-def: $vgpr3_vgpr4
                                        ; implicit-def: $vgpr5_vgpr6
	s_mov_b32 s33, s23
.LBB138_11:
	s_ashr_i32 s0, s7, 31
	s_lshr_b32 s0, s0, 26
	s_add_i32 s0, s7, s0
	s_andn2_b32 s0, s0, 63
	s_sub_i32 s36, s7, s0
	s_add_i32 s0, s7, -1
	s_ashr_i32 s1, s0, 31
	s_lshr_b32 s1, s1, 26
	s_add_i32 s0, s0, s1
	s_ashr_i32 s0, s0, 6
	s_cmp_eq_u32 s0, s6
	s_cselect_b64 s[0:1], -1, 0
	s_cmp_lg_u32 s36, 0
	s_cselect_b64 s[2:3], -1, 0
	s_and_b64 s[26:27], s[2:3], s[0:1]
	s_cmp_lt_i32 s6, 5
	s_cselect_b64 s[2:3], -1, 0
	s_or_b64 s[0:1], s[2:3], s[26:27]
	s_ashr_i32 s46, s33, 31
	s_add_u32 s10, s34, 1
	v_mov_b32_e32 v1, 0
	v_mov_b32_e32 v11, s33
	v_mad_u64_u32 v[11:12], s[8:9], s10, v11, v[0:1]
	s_addc_u32 s11, s35, 0
	s_mul_i32 s8, s10, s46
	s_mul_i32 s11, s11, s33
	s_add_i32 s8, s8, s11
	s_mov_b64 s[12:13], -1
	v_lshlrev_b32_e32 v17, 6, v0
	v_add_u32_e32 v12, s8, v12
	s_and_b64 vcc, exec, s[26:27]
	v_cmp_le_u32_e64 s[8:9], v2, v0
	s_cbranch_vccnz .LBB138_33
; %bb.12:
	v_mad_u64_u32 v[15:16], s[10:11], s34, v2, v[11:12]
	v_mov_b32_e32 v1, v16
	v_mad_u64_u32 v[13:14], s[10:11], s35, v2, v[1:2]
	s_mov_b64 s[10:11], 0
	v_mov_b32_e32 v16, v13
                                        ; implicit-def: $vgpr13_vgpr14
	s_and_saveexec_b64 s[12:13], s[8:9]
	s_xor_b64 s[8:9], exec, s[12:13]
	s_cbranch_execnz .LBB138_1051
; %bb.13:
	s_andn2_saveexec_b64 s[8:9], s[8:9]
	s_cbranch_execnz .LBB138_1056
.LBB138_14:
	s_or_b64 exec, exec, s[8:9]
	s_and_saveexec_b64 s[8:9], s[10:11]
.LBB138_15:
	v_add_u32_e32 v1, v2, v17
	v_lshl_add_u32 v15, v2, 6, v0
	v_cndmask_b32_e64 v1, v15, v1, s[2:3]
	v_lshlrev_b32_e32 v1, 3, v1
	ds_write_b64 v1, v[13:14]
.LBB138_16:
	s_or_b64 exec, exec, s[8:9]
	v_add_u32_e32 v1, 16, v2
	v_mad_u64_u32 v[15:16], s[2:3], s34, v1, v[11:12]
	v_cmp_le_u32_e32 vcc, v1, v0
	s_mov_b64 s[8:9], 0
	v_mov_b32_e32 v13, v16
	v_mad_u64_u32 v[13:14], s[2:3], s35, v1, v[13:14]
	v_mov_b32_e32 v16, v13
                                        ; implicit-def: $vgpr13_vgpr14
	s_and_saveexec_b64 s[2:3], vcc
	s_xor_b64 s[2:3], exec, s[2:3]
	s_cbranch_execnz .LBB138_1057
; %bb.17:
	s_andn2_saveexec_b64 s[2:3], s[2:3]
	s_cbranch_execnz .LBB138_1062
.LBB138_18:
	s_or_b64 exec, exec, s[2:3]
	s_and_saveexec_b64 s[2:3], s[8:9]
.LBB138_19:
	v_add_u32_e32 v15, v1, v17
	v_lshl_add_u32 v1, v1, 6, v0
	v_cndmask_b32_e64 v1, v1, v15, s[0:1]
	v_lshlrev_b32_e32 v1, 3, v1
	ds_write_b64 v1, v[13:14]
.LBB138_20:
	s_or_b64 exec, exec, s[2:3]
	v_add_u32_e32 v1, 32, v2
	v_mad_u64_u32 v[15:16], s[2:3], s34, v1, v[11:12]
	v_cmp_le_u32_e32 vcc, v1, v0
	s_mov_b64 s[8:9], 0
	v_mov_b32_e32 v13, v16
	v_mad_u64_u32 v[13:14], s[2:3], s35, v1, v[13:14]
	v_mov_b32_e32 v16, v13
                                        ; implicit-def: $vgpr13_vgpr14
	s_and_saveexec_b64 s[2:3], vcc
	s_xor_b64 s[2:3], exec, s[2:3]
	s_cbranch_execnz .LBB138_1063
; %bb.21:
	s_andn2_saveexec_b64 s[2:3], s[2:3]
	s_cbranch_execnz .LBB138_1068
.LBB138_22:
	s_or_b64 exec, exec, s[2:3]
	s_and_saveexec_b64 s[2:3], s[8:9]
.LBB138_23:
	v_add_u32_e32 v15, v1, v17
	v_lshl_add_u32 v1, v1, 6, v0
	v_cndmask_b32_e64 v1, v1, v15, s[0:1]
	v_lshlrev_b32_e32 v1, 3, v1
	ds_write_b64 v1, v[13:14]
.LBB138_24:
	s_or_b64 exec, exec, s[2:3]
	v_add_u32_e32 v1, 48, v2
	v_mad_u64_u32 v[15:16], s[2:3], s34, v1, v[11:12]
	v_cmp_le_u32_e32 vcc, v1, v0
	s_mov_b64 s[10:11], 0
	v_mov_b32_e32 v13, v16
	v_mad_u64_u32 v[13:14], s[2:3], s35, v1, v[13:14]
	v_mov_b32_e32 v16, v13
                                        ; implicit-def: $vgpr13_vgpr14
	s_and_saveexec_b64 s[2:3], vcc
	s_xor_b64 s[2:3], exec, s[2:3]
	s_cbranch_execz .LBB138_30
; %bb.25:
	v_cmp_ne_u32_e32 vcc, v0, v1
	s_mov_b64 s[8:9], 0
	s_and_saveexec_b64 s[10:11], vcc
	s_xor_b64 s[10:11], exec, s[10:11]
; %bb.26:
	v_or_b32_e32 v13, v1, v0
	v_cmp_gt_u32_e32 vcc, 64, v13
	s_and_b64 s[8:9], vcc, exec
                                        ; implicit-def: $vgpr15_vgpr16
; %bb.27:
	s_or_saveexec_b64 s[10:11], s[10:11]
	v_mov_b32_e32 v13, 0
	v_mov_b32_e32 v14, 0
	s_xor_b64 exec, exec, s[10:11]
	s_cbranch_execz .LBB138_29
; %bb.28:
	v_lshlrev_b64 v[13:14], 3, v[15:16]
	v_mov_b32_e32 v15, s88
	v_add_co_u32_e32 v13, vcc, s37, v13
	v_addc_co_u32_e32 v14, vcc, v15, v14, vcc
	flat_load_dwordx2 v[13:14], v[13:14]
	s_or_b64 s[8:9], s[8:9], exec
	s_waitcnt vmcnt(0) lgkmcnt(0)
	v_div_scale_f64 v[15:16], s[12:13], v[13:14], v[13:14], 1.0
	v_div_scale_f64 v[22:23], vcc, 1.0, v[13:14], 1.0
	v_rcp_f64_e32 v[18:19], v[15:16]
	v_fma_f64 v[20:21], -v[15:16], v[18:19], 1.0
	v_fma_f64 v[18:19], v[18:19], v[20:21], v[18:19]
	v_fma_f64 v[20:21], -v[15:16], v[18:19], 1.0
	v_fma_f64 v[18:19], v[18:19], v[20:21], v[18:19]
	v_mul_f64 v[20:21], v[22:23], v[18:19]
	v_fma_f64 v[15:16], -v[15:16], v[20:21], v[22:23]
	v_div_fmas_f64 v[15:16], v[15:16], v[18:19], v[20:21]
	v_div_fixup_f64 v[13:14], v[15:16], v[13:14], 1.0
.LBB138_29:
	s_or_b64 exec, exec, s[10:11]
	s_and_b64 s[10:11], s[8:9], exec
                                        ; implicit-def: $vgpr15_vgpr16
.LBB138_30:
	s_or_saveexec_b64 s[2:3], s[2:3]
	v_add_u32_e32 v18, v1, v17
	v_lshl_add_u32 v1, v1, 6, v0
	s_xor_b64 exec, exec, s[2:3]
	s_cbranch_execz .LBB138_32
; %bb.31:
	v_lshlrev_b64 v[13:14], 3, v[15:16]
	v_mov_b32_e32 v15, s88
	v_add_co_u32_e32 v13, vcc, s37, v13
	v_addc_co_u32_e32 v14, vcc, v15, v14, vcc
	flat_load_dwordx2 v[13:14], v[13:14]
	s_or_b64 s[10:11], s[10:11], exec
	s_waitcnt vmcnt(0) lgkmcnt(0)
	v_xor_b32_e32 v14, 0x80000000, v14
.LBB138_32:
	s_or_b64 exec, exec, s[2:3]
	v_cndmask_b32_e64 v1, v1, v18, s[0:1]
	s_branch .LBB138_55
.LBB138_33:
	s_mov_b64 s[10:11], 0
                                        ; implicit-def: $vgpr13_vgpr14
                                        ; implicit-def: $vgpr1
	s_and_b64 vcc, exec, s[12:13]
	s_cbranch_vccz .LBB138_55
; %bb.34:
	v_mad_u64_u32 v[13:14], s[2:3], s34, v2, v[11:12]
	v_cmp_le_u32_e32 vcc, v2, v0
	v_cmp_gt_i32_e64 s[2:3], s36, v0
	v_mov_b32_e32 v1, v14
	v_mad_u64_u32 v[14:15], s[8:9], s35, v2, v[1:2]
	v_max_i32_e32 v1, v2, v0
	v_cmp_le_i32_e64 s[8:9], s36, v1
	s_or_b64 s[8:9], s[8:9], vcc
	s_mov_b64 s[12:13], 0
                                        ; implicit-def: $vgpr15_vgpr16
	s_and_saveexec_b64 s[14:15], s[8:9]
	s_xor_b64 s[8:9], exec, s[14:15]
	s_cbranch_execnz .LBB138_1069
; %bb.35:
	s_andn2_saveexec_b64 s[8:9], s[8:9]
	s_cbranch_execnz .LBB138_1074
.LBB138_36:
	s_or_b64 exec, exec, s[8:9]
	s_and_saveexec_b64 s[8:9], s[12:13]
.LBB138_37:
	v_lshlrev_b32_e32 v1, 3, v17
	v_lshl_add_u32 v1, v2, 3, v1
	ds_write_b64 v1, v[15:16]
.LBB138_38:
	s_or_b64 exec, exec, s[8:9]
	v_add_u32_e32 v1, 16, v2
	v_mad_u64_u32 v[13:14], s[8:9], s34, v1, v[11:12]
	v_cmp_gt_u32_e32 vcc, v1, v0
	s_mov_b64 s[12:13], 0
	v_mad_u64_u32 v[14:15], s[8:9], s35, v1, v[14:15]
	v_cmp_gt_i32_e64 s[8:9], s36, v1
	s_and_b64 s[8:9], vcc, s[8:9]
	s_and_b64 s[8:9], s[2:3], s[8:9]
	s_xor_b64 s[8:9], s[8:9], -1
                                        ; implicit-def: $vgpr15_vgpr16
	s_and_saveexec_b64 s[14:15], s[8:9]
	s_xor_b64 s[8:9], exec, s[14:15]
	s_cbranch_execnz .LBB138_1075
; %bb.39:
	s_andn2_saveexec_b64 s[8:9], s[8:9]
	s_cbranch_execnz .LBB138_1080
.LBB138_40:
	s_or_b64 exec, exec, s[8:9]
	s_and_saveexec_b64 s[8:9], s[12:13]
.LBB138_41:
	v_add_u32_e32 v13, v1, v17
	v_lshl_add_u32 v1, v1, 6, v0
	v_cndmask_b32_e64 v1, v1, v13, s[0:1]
	v_lshlrev_b32_e32 v1, 3, v1
	ds_write_b64 v1, v[15:16]
.LBB138_42:
	s_or_b64 exec, exec, s[8:9]
	v_add_u32_e32 v1, 32, v2
	v_mad_u64_u32 v[13:14], s[8:9], s34, v1, v[11:12]
	v_cmp_gt_u32_e32 vcc, v1, v0
	s_mov_b64 s[12:13], 0
	v_mad_u64_u32 v[14:15], s[8:9], s35, v1, v[14:15]
	v_cmp_gt_i32_e64 s[8:9], s36, v1
	s_and_b64 s[8:9], vcc, s[8:9]
	s_and_b64 s[8:9], s[2:3], s[8:9]
	s_xor_b64 s[8:9], s[8:9], -1
                                        ; implicit-def: $vgpr15_vgpr16
	s_and_saveexec_b64 s[14:15], s[8:9]
	s_xor_b64 s[8:9], exec, s[14:15]
	s_cbranch_execnz .LBB138_1081
; %bb.43:
	s_andn2_saveexec_b64 s[8:9], s[8:9]
	s_cbranch_execnz .LBB138_1086
.LBB138_44:
	s_or_b64 exec, exec, s[8:9]
	s_and_saveexec_b64 s[8:9], s[12:13]
.LBB138_45:
	v_add_u32_e32 v13, v1, v17
	v_lshl_add_u32 v1, v1, 6, v0
	v_cndmask_b32_e64 v1, v1, v13, s[0:1]
	v_lshlrev_b32_e32 v1, 3, v1
	ds_write_b64 v1, v[15:16]
.LBB138_46:
	s_or_b64 exec, exec, s[8:9]
	v_add_u32_e32 v1, 48, v2
	v_mad_u64_u32 v[11:12], s[8:9], s34, v1, v[11:12]
	v_cmp_gt_u32_e32 vcc, v1, v0
	v_mad_u64_u32 v[12:13], s[8:9], s35, v1, v[12:13]
	v_cmp_gt_i32_e64 s[8:9], s36, v1
	s_and_b64 s[8:9], vcc, s[8:9]
	s_and_b64 s[8:9], s[2:3], s[8:9]
	s_xor_b64 s[8:9], s[8:9], -1
                                        ; implicit-def: $vgpr13_vgpr14
	s_and_saveexec_b64 s[12:13], s[8:9]
	s_xor_b64 s[8:9], exec, s[12:13]
	s_cbranch_execz .LBB138_52
; %bb.47:
	v_cmp_ne_u32_e32 vcc, v0, v1
	s_xor_b64 s[2:3], s[2:3], -1
	s_or_b64 s[12:13], s[2:3], vcc
	s_mov_b64 s[2:3], s[10:11]
	s_and_saveexec_b64 s[14:15], s[12:13]
	s_xor_b64 s[12:13], exec, s[14:15]
; %bb.48:
	v_or_b32_e32 v11, v1, v0
	v_cmp_gt_u32_e32 vcc, 64, v11
	s_andn2_b64 s[2:3], s[10:11], exec
	s_and_b64 s[14:15], vcc, exec
	s_or_b64 s[2:3], s[2:3], s[14:15]
                                        ; implicit-def: $vgpr11_vgpr12
; %bb.49:
	s_or_saveexec_b64 s[12:13], s[12:13]
	v_mov_b32_e32 v13, 0
	v_mov_b32_e32 v14, 0
	s_xor_b64 exec, exec, s[12:13]
	s_cbranch_execz .LBB138_51
; %bb.50:
	v_lshlrev_b64 v[11:12], 3, v[11:12]
	v_mov_b32_e32 v13, s88
	v_add_co_u32_e32 v11, vcc, s37, v11
	v_addc_co_u32_e32 v12, vcc, v13, v12, vcc
	flat_load_dwordx2 v[11:12], v[11:12]
	s_or_b64 s[2:3], s[2:3], exec
	s_waitcnt vmcnt(0) lgkmcnt(0)
	v_div_scale_f64 v[13:14], s[14:15], v[11:12], v[11:12], 1.0
	v_div_scale_f64 v[20:21], vcc, 1.0, v[11:12], 1.0
	v_rcp_f64_e32 v[15:16], v[13:14]
	v_fma_f64 v[18:19], -v[13:14], v[15:16], 1.0
	v_fma_f64 v[15:16], v[15:16], v[18:19], v[15:16]
	v_fma_f64 v[18:19], -v[13:14], v[15:16], 1.0
	v_fma_f64 v[15:16], v[15:16], v[18:19], v[15:16]
	v_mul_f64 v[18:19], v[20:21], v[15:16]
	v_fma_f64 v[13:14], -v[13:14], v[18:19], v[20:21]
	v_div_fmas_f64 v[13:14], v[13:14], v[15:16], v[18:19]
	v_div_fixup_f64 v[13:14], v[13:14], v[11:12], 1.0
.LBB138_51:
	s_or_b64 exec, exec, s[12:13]
	s_andn2_b64 s[10:11], s[10:11], exec
	s_and_b64 s[2:3], s[2:3], exec
	s_or_b64 s[10:11], s[10:11], s[2:3]
                                        ; implicit-def: $vgpr11_vgpr12
.LBB138_52:
	s_or_saveexec_b64 s[2:3], s[8:9]
	v_add_u32_e32 v15, v1, v17
	v_lshl_add_u32 v1, v1, 6, v0
	s_xor_b64 exec, exec, s[2:3]
	s_cbranch_execz .LBB138_54
; %bb.53:
	v_lshlrev_b64 v[11:12], 3, v[11:12]
	v_mov_b32_e32 v13, s88
	v_add_co_u32_e32 v11, vcc, s37, v11
	v_addc_co_u32_e32 v12, vcc, v13, v12, vcc
	flat_load_dwordx2 v[13:14], v[11:12]
	s_or_b64 s[10:11], s[10:11], exec
	s_waitcnt vmcnt(0) lgkmcnt(0)
	v_xor_b32_e32 v14, 0x80000000, v14
.LBB138_54:
	s_or_b64 exec, exec, s[2:3]
	v_cndmask_b32_e64 v1, v1, v15, s[0:1]
.LBB138_55:
	s_xor_b64 s[0:1], s[0:1], -1
	s_and_saveexec_b64 s[2:3], s[10:11]
; %bb.56:
	v_lshlrev_b32_e32 v1, 3, v1
	ds_write_b64 v1, v[13:14]
; %bb.57:
	s_or_b64 exec, exec, s[2:3]
	v_cndmask_b32_e64 v1, 0, 1, s[0:1]
	v_cmp_ne_u32_e64 s[58:59], 1, v1
	s_andn2_b64 vcc, exec, s[0:1]
	s_waitcnt vmcnt(0) lgkmcnt(0)
	s_barrier
	s_cbranch_vccnz .LBB138_987
; %bb.58:
	v_or_b32_e32 v1, v0, v2
	v_cmp_eq_u32_e32 vcc, 0, v1
	s_and_saveexec_b64 s[0:1], vcc
	s_cbranch_execz .LBB138_60
; %bb.59:
	v_mov_b32_e32 v1, 0
	ds_read_b128 v[11:14], v1 offset:32752
	ds_read_b64 v[15:16], v1 offset:32240
	s_movk_i32 s2, 0x7800
	v_add_u32_e64 v1, s2, 0
	s_waitcnt lgkmcnt(0)
	v_mul_f64 v[13:14], v[15:16], v[13:14]
	v_mul_f64 v[11:12], v[11:12], v[13:14]
	ds_write2_b64 v1, v[11:12], v[11:12] offset0:191 offset1:254
.LBB138_60:
	s_or_b64 exec, exec, s[0:1]
	v_lshlrev_b32_e32 v11, 6, v2
	v_add_u32_e32 v15, v11, v0
	v_and_b32_e32 v12, v11, v0
	v_xor_b32_e32 v11, v11, v0
	v_lshrrev_b16_e32 v11, 1, v11
	v_add_u16_e32 v14, v12, v11
	v_mov_b32_e32 v11, 0
	v_and_b32_e32 v1, 1, v0
	v_sub_u32_e32 v13, 1, v14
	v_cmp_lt_u32_e64 s[8:9], 3, v15
	v_mov_b32_e32 v12, 0
	v_cmp_gt_u32_e64 s[2:3], 4, v15
	s_waitcnt lgkmcnt(0)
	s_barrier
	buffer_wbinvl1_vol
	s_and_saveexec_b64 s[0:1], s[2:3]
	s_cbranch_execz .LBB138_64
; %bb.61:
	v_lshlrev_b32_e32 v16, 9, v13
	v_lshlrev_b32_e32 v11, 3, v1
	ds_read_b64 v[11:12], v11 offset:32224
	ds_read_b64 v[16:17], v16 offset:32240
	v_cmp_gt_u32_e64 s[10:11], 2, v15
	s_waitcnt lgkmcnt(0)
	v_fma_f64 v[11:12], v[11:12], v[16:17], 0
	s_and_saveexec_b64 s[12:13], s[10:11]
	s_cbranch_execz .LBB138_63
; %bb.62:
	v_lshlrev_b32_e32 v16, 3, v0
	v_mov_b32_e32 v18, 0
	ds_read_b64 v[16:17], v16 offset:32736
	ds_read_b64 v[18:19], v18 offset:32760
	s_waitcnt lgkmcnt(0)
	v_fma_f64 v[11:12], v[16:17], v[18:19], v[11:12]
.LBB138_63:
	s_or_b64 exec, exec, s[12:13]
.LBB138_64:
	s_or_b64 exec, exec, s[0:1]
	v_mov_b32_e32 v16, 0x8000
	v_cmp_ne_u32_e64 s[10:11], 0, v1
	s_xor_b64 s[0:1], s[8:9], -1
	v_lshl_add_u32 v14, v14, 3, v16
	s_and_b64 s[40:41], s[10:11], s[0:1]
	s_and_saveexec_b64 s[8:9], s[40:41]
	s_cbranch_execz .LBB138_66
; %bb.65:
	v_mov_b32_e32 v16, 0
	ds_read_b64 v[16:17], v16 offset:31720
	s_waitcnt lgkmcnt(0)
	v_mul_f64 v[11:12], v[11:12], v[16:17]
	v_xor_b32_e32 v17, 0x80000000, v12
	v_mov_b32_e32 v16, v11
	ds_write_b64 v14, v[16:17]
.LBB138_66:
	s_or_b64 exec, exec, s[8:9]
	v_cmp_eq_u32_e64 s[8:9], 0, v1
	s_and_b64 s[38:39], s[8:9], s[0:1]
	s_waitcnt lgkmcnt(0)
	s_barrier
	s_and_saveexec_b64 s[0:1], s[38:39]
	s_cbranch_execz .LBB138_68
; %bb.67:
	v_mov_b32_e32 v16, 0
	ds_read_b64 v[16:17], v16 offset:31712
	ds_read_b64 v[18:19], v14
	s_waitcnt lgkmcnt(0)
	v_fma_f64 v[11:12], -v[16:17], v[18:19], v[11:12]
.LBB138_68:
	s_or_b64 exec, exec, s[0:1]
	s_barrier
	s_and_saveexec_b64 s[0:1], s[38:39]
	s_cbranch_execz .LBB138_70
; %bb.69:
	v_mov_b32_e32 v16, 0
	ds_read_b64 v[16:17], v16 offset:31200
	s_waitcnt lgkmcnt(0)
	v_mul_f64 v[11:12], v[11:12], v[16:17]
	v_xor_b32_e32 v17, 0x80000000, v12
	v_mov_b32_e32 v16, v11
	ds_write_b64 v14, v[16:17]
.LBB138_70:
	s_or_b64 exec, exec, s[0:1]
	s_waitcnt lgkmcnt(0)
	s_barrier
	s_barrier
	s_and_saveexec_b64 s[0:1], s[2:3]
; %bb.71:
	v_lshlrev_b32_e32 v16, 3, v1
	v_lshl_or_b32 v16, v13, 9, v16
	ds_write_b64 v16, v[11:12] offset:32224
; %bb.72:
	s_or_b64 exec, exec, s[0:1]
	v_cmp_eq_u32_e64 s[12:13], 0, v2
	v_cmp_gt_u32_e64 s[8:9], 2, v0
	s_and_b64 s[42:43], s[12:13], s[8:9]
	s_waitcnt lgkmcnt(0)
	s_barrier
	s_barrier
	s_and_saveexec_b64 s[0:1], s[42:43]
	s_cbranch_execz .LBB138_74
; %bb.73:
	v_lshlrev_b32_e32 v16, 3, v0
	s_movk_i32 s8, 0x1f8
	v_mad_u32_u24 v17, v0, s8, v16
	ds_read_b64 v[11:12], v17 offset:32224
	s_waitcnt lgkmcnt(0)
	ds_write_b64 v16, v[11:12] offset:31216
	ds_read_b64 v[11:12], v17 offset:32232
	s_waitcnt lgkmcnt(0)
	ds_write_b64 v16, v[11:12] offset:31728
.LBB138_74:
	s_or_b64 exec, exec, s[0:1]
	s_waitcnt lgkmcnt(0)
	s_barrier
	s_and_saveexec_b64 s[0:1], vcc
	s_cbranch_execz .LBB138_76
; %bb.75:
	v_mov_b32_e32 v11, 0
	ds_read_b128 v[16:19], v11 offset:31712
	ds_read_b64 v[11:12], v11 offset:31200
	s_movk_i32 s8, 0x7800
	s_waitcnt lgkmcnt(0)
	v_mul_f64 v[11:12], v[11:12], v[18:19]
	v_mul_f64 v[11:12], v[16:17], v[11:12]
	v_add_u32_e64 v16, s8, 0
	ds_write2_b64 v16, v[11:12], v[11:12] offset0:61 offset1:124
.LBB138_76:
	s_or_b64 exec, exec, s[0:1]
	v_lshrrev_b32_e32 v18, 2, v15
	v_mov_b32_e32 v11, 0
	v_and_b32_e32 v16, 3, v0
	v_sub_u32_e32 v17, 3, v18
	v_cmp_lt_u32_e64 s[8:9], 15, v15
	v_mov_b32_e32 v12, 0
	v_cmp_gt_u32_e64 s[18:19], 16, v15
	s_waitcnt lgkmcnt(0)
	s_barrier
	buffer_wbinvl1_vol
	s_and_saveexec_b64 s[0:1], s[18:19]
	s_cbranch_execz .LBB138_82
; %bb.77:
	v_lshlrev_b32_e32 v20, 3, v16
	v_lshlrev_b32_e32 v19, 9, v17
	ds_read_b64 v[11:12], v20 offset:31168
	ds_read_b64 v[21:22], v19 offset:31200
	v_cmp_gt_u32_e64 s[10:11], 12, v15
	s_waitcnt lgkmcnt(0)
	v_fma_f64 v[11:12], v[11:12], v[21:22], 0
	s_and_saveexec_b64 s[14:15], s[10:11]
	s_cbranch_execnz .LBB138_1098
; %bb.78:
	s_or_b64 exec, exec, s[14:15]
	v_cmp_gt_u32_e64 s[10:11], 8, v15
	s_and_saveexec_b64 s[14:15], s[10:11]
	s_cbranch_execnz .LBB138_1099
.LBB138_79:
	s_or_b64 exec, exec, s[14:15]
	v_cmp_gt_u32_e64 s[10:11], 4, v15
	s_and_saveexec_b64 s[14:15], s[10:11]
	s_cbranch_execz .LBB138_81
.LBB138_80:
	v_lshlrev_b32_e32 v19, 3, v0
	v_mov_b32_e32 v21, 0
	ds_read_b64 v[19:20], v19 offset:32704
	ds_read_b64 v[21:22], v21 offset:32760
	s_waitcnt lgkmcnt(0)
	v_fma_f64 v[11:12], v[19:20], v[21:22], v[11:12]
.LBB138_81:
	s_or_b64 exec, exec, s[14:15]
.LBB138_82:
                                        ; implicit-def: $vgpr36 : SGPR spill to VGPR lane
	v_writelane_b32 v36, s46, 0
	s_or_b64 exec, exec, s[0:1]
	v_mov_b32_e32 v19, 0x8000
	v_cmp_eq_u32_e64 s[10:11], 3, v16
	s_xor_b64 s[0:1], s[8:9], -1
	v_lshl_add_u32 v18, v18, 3, v19
	s_and_b64 s[46:47], s[10:11], s[0:1]
	s_and_saveexec_b64 s[8:9], s[46:47]
	s_cbranch_execz .LBB138_84
; %bb.83:
	v_mov_b32_e32 v19, 0
	ds_read_b64 v[19:20], v19 offset:30680
	s_waitcnt lgkmcnt(0)
	v_mul_f64 v[11:12], v[11:12], v[19:20]
	v_xor_b32_e32 v20, 0x80000000, v12
	v_mov_b32_e32 v19, v11
	ds_write_b64 v18, v[19:20]
.LBB138_84:
	s_or_b64 exec, exec, s[8:9]
	v_cmp_ne_u32_e64 s[8:9], 3, v16
	s_and_b64 s[48:49], s[8:9], s[0:1]
	s_waitcnt lgkmcnt(0)
	s_barrier
	s_and_saveexec_b64 s[8:9], s[48:49]
	s_cbranch_execz .LBB138_86
; %bb.85:
	v_lshlrev_b32_e32 v19, 3, v16
	ds_read_b64 v[19:20], v19 offset:30656
	ds_read_b64 v[21:22], v18
	s_waitcnt lgkmcnt(0)
	v_fma_f64 v[11:12], -v[19:20], v[21:22], v[11:12]
.LBB138_86:
	s_or_b64 exec, exec, s[8:9]
	v_cmp_eq_u32_e64 s[8:9], 2, v16
	s_and_b64 s[50:51], s[8:9], s[0:1]
	s_barrier
	s_and_saveexec_b64 s[8:9], s[50:51]
	s_cbranch_execz .LBB138_88
; %bb.87:
	v_mov_b32_e32 v19, 0
	ds_read_b64 v[19:20], v19 offset:30160
	s_waitcnt lgkmcnt(0)
	v_mul_f64 v[11:12], v[11:12], v[19:20]
	v_xor_b32_e32 v20, 0x80000000, v12
	v_mov_b32_e32 v19, v11
	ds_write_b64 v18, v[19:20]
.LBB138_88:
	s_or_b64 exec, exec, s[8:9]
	v_cmp_gt_u32_e64 s[8:9], 2, v16
	s_and_b64 s[52:53], s[8:9], s[0:1]
	s_waitcnt lgkmcnt(0)
	s_barrier
	s_and_saveexec_b64 s[8:9], s[52:53]
	s_cbranch_execz .LBB138_90
; %bb.89:
	v_lshlrev_b32_e32 v19, 3, v16
	ds_read_b64 v[19:20], v19 offset:30144
	ds_read_b64 v[21:22], v18
	s_waitcnt lgkmcnt(0)
	v_fma_f64 v[11:12], -v[19:20], v[21:22], v[11:12]
.LBB138_90:
	s_or_b64 exec, exec, s[8:9]
	v_cmp_eq_u32_e64 s[8:9], 1, v16
	s_and_b64 s[54:55], s[8:9], s[0:1]
	s_barrier
	s_and_saveexec_b64 s[8:9], s[54:55]
	s_cbranch_execz .LBB138_92
; %bb.91:
	v_mov_b32_e32 v19, 0
	ds_read_b64 v[19:20], v19 offset:29640
	s_waitcnt lgkmcnt(0)
	v_mul_f64 v[11:12], v[11:12], v[19:20]
	v_xor_b32_e32 v20, 0x80000000, v12
	v_mov_b32_e32 v19, v11
	ds_write_b64 v18, v[19:20]
.LBB138_92:
	s_or_b64 exec, exec, s[8:9]
	v_cmp_eq_u32_e64 s[8:9], 0, v16
	s_and_b64 s[44:45], s[8:9], s[0:1]
	s_waitcnt lgkmcnt(0)
	s_barrier
	s_and_saveexec_b64 s[0:1], s[44:45]
	s_cbranch_execz .LBB138_94
; %bb.93:
	v_mov_b32_e32 v19, 0
	ds_read_b64 v[19:20], v19 offset:29632
	ds_read_b64 v[21:22], v18
	s_waitcnt lgkmcnt(0)
	v_fma_f64 v[11:12], -v[19:20], v[21:22], v[11:12]
.LBB138_94:
	s_or_b64 exec, exec, s[0:1]
	s_barrier
	s_and_saveexec_b64 s[0:1], s[44:45]
	s_cbranch_execz .LBB138_96
; %bb.95:
	v_mov_b32_e32 v19, 0
	ds_read_b64 v[19:20], v19 offset:29120
	s_waitcnt lgkmcnt(0)
	v_mul_f64 v[11:12], v[11:12], v[19:20]
	v_xor_b32_e32 v20, 0x80000000, v12
	v_mov_b32_e32 v19, v11
	ds_write_b64 v18, v[19:20]
.LBB138_96:
	s_or_b64 exec, exec, s[0:1]
	s_waitcnt lgkmcnt(0)
	s_barrier
	s_barrier
	s_and_saveexec_b64 s[0:1], s[18:19]
; %bb.97:
	v_lshlrev_b32_e32 v19, 3, v16
	v_lshl_or_b32 v19, v17, 9, v19
	ds_write_b64 v19, v[11:12] offset:31168
; %bb.98:
	s_or_b64 exec, exec, s[0:1]
	v_cmp_gt_u32_e64 s[8:9], 4, v0
	s_and_b64 s[56:57], s[12:13], s[8:9]
	s_waitcnt lgkmcnt(0)
	s_barrier
	s_barrier
	s_and_saveexec_b64 s[0:1], s[56:57]
	s_cbranch_execz .LBB138_100
; %bb.99:
	v_lshlrev_b32_e32 v19, 9, v0
	ds_read_b64 v[11:12], v19 offset:31168
	s_movk_i32 s8, 0xfe08
	v_mad_i32_i24 v20, v0, s8, v19
	s_waitcnt lgkmcnt(0)
	ds_write_b64 v20, v[11:12] offset:29152
	ds_read_b64 v[11:12], v19 offset:31176
	s_waitcnt lgkmcnt(0)
	ds_write_b64 v20, v[11:12] offset:29664
	ds_read_b64 v[11:12], v19 offset:31184
	;; [unrolled: 3-line block ×3, first 2 shown]
	s_waitcnt lgkmcnt(0)
	ds_write_b64 v20, v[11:12] offset:30688
.LBB138_100:
	s_or_b64 exec, exec, s[0:1]
	s_waitcnt lgkmcnt(0)
	s_barrier
	s_and_saveexec_b64 s[0:1], vcc
	s_cbranch_execz .LBB138_102
; %bb.101:
	v_mov_b32_e32 v11, 0
	ds_read_b128 v[19:22], v11 offset:30672
	ds_read_b64 v[11:12], v11 offset:30160
	s_movk_i32 s8, 0x7000
	s_waitcnt lgkmcnt(0)
	v_mul_f64 v[11:12], v[11:12], v[21:22]
	v_mul_f64 v[11:12], v[19:20], v[11:12]
	v_add_u32_e64 v19, s8, 0
	ds_write2_b64 v19, v[11:12], v[11:12] offset0:187 offset1:250
.LBB138_102:
	s_or_b64 exec, exec, s[0:1]
	v_mov_b32_e32 v11, 0
	v_mov_b32_e32 v12, 0
	s_waitcnt lgkmcnt(0)
	s_barrier
	buffer_wbinvl1_vol
	s_and_saveexec_b64 s[0:1], s[2:3]
	s_cbranch_execz .LBB138_106
; %bb.103:
	v_lshlrev_b32_e32 v19, 9, v13
	v_lshlrev_b32_e32 v11, 3, v1
	ds_read_b64 v[11:12], v11 offset:30144
	ds_read_b64 v[19:20], v19 offset:30160
	v_cmp_gt_u32_e64 s[8:9], 2, v15
	s_waitcnt lgkmcnt(0)
	v_fma_f64 v[11:12], v[11:12], v[19:20], 0
	s_and_saveexec_b64 s[10:11], s[8:9]
	s_cbranch_execz .LBB138_105
; %bb.104:
	v_lshlrev_b32_e32 v19, 3, v0
	v_mov_b32_e32 v21, 0
	ds_read_b64 v[19:20], v19 offset:30656
	ds_read_b64 v[21:22], v21 offset:30680
	s_waitcnt lgkmcnt(0)
	v_fma_f64 v[11:12], v[19:20], v[21:22], v[11:12]
.LBB138_105:
	s_or_b64 exec, exec, s[10:11]
.LBB138_106:
	s_or_b64 exec, exec, s[0:1]
	s_and_saveexec_b64 s[0:1], s[40:41]
	s_cbranch_execz .LBB138_108
; %bb.107:
	v_mov_b32_e32 v19, 0
	ds_read_b64 v[19:20], v19 offset:29640
	s_waitcnt lgkmcnt(0)
	v_mul_f64 v[11:12], v[11:12], v[19:20]
	v_xor_b32_e32 v20, 0x80000000, v12
	v_mov_b32_e32 v19, v11
	ds_write_b64 v14, v[19:20]
.LBB138_108:
	s_or_b64 exec, exec, s[0:1]
	s_waitcnt lgkmcnt(0)
	s_barrier
	s_and_saveexec_b64 s[0:1], s[38:39]
	s_cbranch_execz .LBB138_110
; %bb.109:
	v_mov_b32_e32 v19, 0
	ds_read_b64 v[19:20], v19 offset:29632
	ds_read_b64 v[21:22], v14
	s_waitcnt lgkmcnt(0)
	v_fma_f64 v[11:12], -v[19:20], v[21:22], v[11:12]
.LBB138_110:
	s_or_b64 exec, exec, s[0:1]
	s_barrier
	s_and_saveexec_b64 s[0:1], s[38:39]
	s_cbranch_execz .LBB138_112
; %bb.111:
	v_mov_b32_e32 v19, 0
	ds_read_b64 v[19:20], v19 offset:29120
	s_waitcnt lgkmcnt(0)
	v_mul_f64 v[11:12], v[11:12], v[19:20]
	v_xor_b32_e32 v20, 0x80000000, v12
	v_mov_b32_e32 v19, v11
	ds_write_b64 v14, v[19:20]
.LBB138_112:
	s_or_b64 exec, exec, s[0:1]
	s_waitcnt lgkmcnt(0)
	s_barrier
	s_barrier
	s_and_saveexec_b64 s[0:1], s[2:3]
; %bb.113:
	v_lshlrev_b32_e32 v19, 3, v1
	v_lshl_or_b32 v19, v13, 9, v19
	ds_write_b64 v19, v[11:12] offset:30144
; %bb.114:
	s_or_b64 exec, exec, s[0:1]
	s_waitcnt lgkmcnt(0)
	s_barrier
	s_barrier
	s_and_saveexec_b64 s[0:1], s[42:43]
	s_cbranch_execz .LBB138_116
; %bb.115:
	v_lshlrev_b32_e32 v19, 3, v0
	s_movk_i32 s8, 0x1f8
	v_mad_u32_u24 v20, v0, s8, v19
	ds_read_b64 v[11:12], v20 offset:30144
	s_waitcnt lgkmcnt(0)
	ds_write_b64 v19, v[11:12] offset:29136
	ds_read_b64 v[11:12], v20 offset:30152
	s_waitcnt lgkmcnt(0)
	ds_write_b64 v19, v[11:12] offset:29648
.LBB138_116:
	s_or_b64 exec, exec, s[0:1]
	s_waitcnt lgkmcnt(0)
	s_barrier
	s_and_saveexec_b64 s[0:1], vcc
	s_cbranch_execz .LBB138_118
; %bb.117:
	v_mov_b32_e32 v11, 0
	ds_read_b128 v[19:22], v11 offset:29632
	ds_read_b64 v[11:12], v11 offset:29120
	s_movk_i32 s8, 0x7000
	s_waitcnt lgkmcnt(0)
	v_mul_f64 v[11:12], v[11:12], v[21:22]
	v_mul_f64 v[11:12], v[19:20], v[11:12]
	v_add_u32_e64 v19, s8, 0
	ds_write2_b64 v19, v[11:12], v[11:12] offset0:57 offset1:120
.LBB138_118:
	s_or_b64 exec, exec, s[0:1]
	v_lshrrev_b32_e32 v21, 3, v15
	v_mov_b32_e32 v11, 0
	v_and_b32_e32 v19, 7, v0
	v_sub_u32_e32 v20, 7, v21
	v_cmp_lt_u32_e64 s[10:11], 63, v15
	v_mov_b32_e32 v12, 0
	v_cmp_gt_u32_e64 s[8:9], 64, v15
	s_waitcnt lgkmcnt(0)
	s_barrier
	buffer_wbinvl1_vol
	s_and_saveexec_b64 s[0:1], s[8:9]
	s_cbranch_execz .LBB138_128
; %bb.119:
	v_lshlrev_b32_e32 v23, 3, v19
	v_lshlrev_b32_e32 v22, 9, v20
	ds_read_b64 v[11:12], v23 offset:29056
	ds_read_b64 v[24:25], v22 offset:29120
	v_cmp_gt_u32_e64 s[14:15], 56, v15
	s_waitcnt lgkmcnt(0)
	v_fma_f64 v[11:12], v[11:12], v[24:25], 0
	s_and_saveexec_b64 s[16:17], s[14:15]
	s_cbranch_execnz .LBB138_1100
; %bb.120:
	s_or_b64 exec, exec, s[16:17]
	v_cmp_gt_u32_e64 s[14:15], 48, v15
	s_and_saveexec_b64 s[16:17], s[14:15]
	s_cbranch_execnz .LBB138_1101
.LBB138_121:
	s_or_b64 exec, exec, s[16:17]
	v_cmp_gt_u32_e64 s[14:15], 40, v15
	s_and_saveexec_b64 s[16:17], s[14:15]
	s_cbranch_execnz .LBB138_1102
.LBB138_122:
	s_or_b64 exec, exec, s[16:17]
	v_cmp_gt_u32_e64 s[14:15], 32, v15
	s_and_saveexec_b64 s[16:17], s[14:15]
	s_cbranch_execnz .LBB138_1103
.LBB138_123:
	s_or_b64 exec, exec, s[16:17]
	v_cmp_gt_u32_e64 s[14:15], 24, v15
	s_and_saveexec_b64 s[16:17], s[14:15]
	s_cbranch_execnz .LBB138_1104
.LBB138_124:
	s_or_b64 exec, exec, s[16:17]
	s_and_saveexec_b64 s[14:15], s[18:19]
	s_cbranch_execnz .LBB138_1105
.LBB138_125:
	s_or_b64 exec, exec, s[14:15]
	v_cmp_gt_u32_e64 s[14:15], 8, v15
	s_and_saveexec_b64 s[16:17], s[14:15]
	s_cbranch_execz .LBB138_127
.LBB138_126:
	v_lshlrev_b32_e32 v22, 3, v0
	v_mov_b32_e32 v24, 0
	ds_read_b64 v[22:23], v22 offset:32640
	ds_read_b64 v[24:25], v24 offset:32760
	s_waitcnt lgkmcnt(0)
	v_fma_f64 v[11:12], v[22:23], v[24:25], v[11:12]
.LBB138_127:
	s_or_b64 exec, exec, s[16:17]
.LBB138_128:
	v_writelane_b32 v36, s58, 1
	v_writelane_b32 v36, s59, 2
	;; [unrolled: 1-line block ×4, first 2 shown]
	s_or_b64 exec, exec, s[0:1]
	v_mov_b32_e32 v22, 0x8000
	v_cmp_eq_u32_e64 s[14:15], 7, v19
	s_xor_b64 s[0:1], s[10:11], -1
	v_lshl_add_u32 v21, v21, 3, v22
	s_and_b64 s[58:59], s[14:15], s[0:1]
	s_and_saveexec_b64 s[10:11], s[58:59]
	s_cbranch_execz .LBB138_130
; %bb.129:
	v_mov_b32_e32 v22, 0
	ds_read_b64 v[22:23], v22 offset:28600
	s_waitcnt lgkmcnt(0)
	v_mul_f64 v[11:12], v[11:12], v[22:23]
	v_xor_b32_e32 v23, 0x80000000, v12
	v_mov_b32_e32 v22, v11
	ds_write_b64 v21, v[22:23]
.LBB138_130:
	s_or_b64 exec, exec, s[10:11]
	v_cmp_ne_u32_e64 s[10:11], 7, v19
	s_and_b64 s[60:61], s[10:11], s[0:1]
	s_waitcnt lgkmcnt(0)
	s_barrier
	s_and_saveexec_b64 s[10:11], s[60:61]
	s_cbranch_execz .LBB138_132
; %bb.131:
	v_lshlrev_b32_e32 v22, 3, v19
	ds_read_b64 v[22:23], v22 offset:28544
	ds_read_b64 v[24:25], v21
	s_waitcnt lgkmcnt(0)
	v_fma_f64 v[11:12], -v[22:23], v[24:25], v[11:12]
.LBB138_132:
	s_or_b64 exec, exec, s[10:11]
	v_cmp_eq_u32_e64 s[10:11], 6, v19
	s_and_b64 s[62:63], s[10:11], s[0:1]
	s_barrier
	s_and_saveexec_b64 s[10:11], s[62:63]
	s_cbranch_execz .LBB138_134
; %bb.133:
	v_mov_b32_e32 v22, 0
	ds_read_b64 v[22:23], v22 offset:28080
	s_waitcnt lgkmcnt(0)
	v_mul_f64 v[11:12], v[11:12], v[22:23]
	v_xor_b32_e32 v23, 0x80000000, v12
	v_mov_b32_e32 v22, v11
	ds_write_b64 v21, v[22:23]
.LBB138_134:
	s_or_b64 exec, exec, s[10:11]
	v_cmp_gt_u32_e64 s[10:11], 6, v19
	s_and_b64 s[64:65], s[10:11], s[0:1]
	s_waitcnt lgkmcnt(0)
	s_barrier
	s_and_saveexec_b64 s[10:11], s[64:65]
	s_cbranch_execz .LBB138_136
; %bb.135:
	v_lshlrev_b32_e32 v22, 3, v19
	ds_read_b64 v[22:23], v22 offset:28032
	ds_read_b64 v[24:25], v21
	s_waitcnt lgkmcnt(0)
	v_fma_f64 v[11:12], -v[22:23], v[24:25], v[11:12]
.LBB138_136:
	s_or_b64 exec, exec, s[10:11]
	v_cmp_eq_u32_e64 s[10:11], 5, v19
	s_and_b64 s[66:67], s[10:11], s[0:1]
	s_barrier
	s_and_saveexec_b64 s[10:11], s[66:67]
	s_cbranch_execz .LBB138_138
; %bb.137:
	v_mov_b32_e32 v22, 0
	ds_read_b64 v[22:23], v22 offset:27560
	s_waitcnt lgkmcnt(0)
	v_mul_f64 v[11:12], v[11:12], v[22:23]
	v_xor_b32_e32 v23, 0x80000000, v12
	v_mov_b32_e32 v22, v11
	ds_write_b64 v21, v[22:23]
.LBB138_138:
	s_or_b64 exec, exec, s[10:11]
	v_cmp_gt_u32_e64 s[10:11], 5, v19
	;; [unrolled: 29-line block ×5, first 2 shown]
	s_and_b64 s[82:83], s[10:11], s[0:1]
	s_waitcnt lgkmcnt(0)
	s_barrier
	s_and_saveexec_b64 s[10:11], s[82:83]
	s_cbranch_execz .LBB138_152
; %bb.151:
	v_lshlrev_b32_e32 v22, 3, v19
	ds_read_b64 v[22:23], v22 offset:25984
	ds_read_b64 v[24:25], v21
	s_waitcnt lgkmcnt(0)
	v_fma_f64 v[11:12], -v[22:23], v[24:25], v[11:12]
.LBB138_152:
	s_or_b64 exec, exec, s[10:11]
	v_cmp_eq_u32_e64 s[10:11], 1, v19
	s_and_b64 s[84:85], s[10:11], s[0:1]
	s_barrier
	s_and_saveexec_b64 s[10:11], s[84:85]
	s_cbranch_execz .LBB138_154
; %bb.153:
	v_mov_b32_e32 v22, 0
	ds_read_b64 v[22:23], v22 offset:25480
	s_waitcnt lgkmcnt(0)
	v_mul_f64 v[11:12], v[11:12], v[22:23]
	v_xor_b32_e32 v23, 0x80000000, v12
	v_mov_b32_e32 v22, v11
	ds_write_b64 v21, v[22:23]
.LBB138_154:
	s_or_b64 exec, exec, s[10:11]
	v_cmp_eq_u32_e64 s[10:11], 0, v19
	s_and_b64 s[68:69], s[10:11], s[0:1]
	s_waitcnt lgkmcnt(0)
	s_barrier
	s_and_saveexec_b64 s[0:1], s[68:69]
	s_cbranch_execz .LBB138_156
; %bb.155:
	v_mov_b32_e32 v22, 0
	ds_read_b64 v[22:23], v22 offset:25472
	ds_read_b64 v[24:25], v21
	s_waitcnt lgkmcnt(0)
	v_fma_f64 v[11:12], -v[22:23], v[24:25], v[11:12]
.LBB138_156:
	s_or_b64 exec, exec, s[0:1]
	s_barrier
	s_and_saveexec_b64 s[0:1], s[68:69]
	s_cbranch_execz .LBB138_158
; %bb.157:
	v_mov_b32_e32 v22, 0
	ds_read_b64 v[22:23], v22 offset:24960
	s_waitcnt lgkmcnt(0)
	v_mul_f64 v[11:12], v[11:12], v[22:23]
	v_xor_b32_e32 v23, 0x80000000, v12
	v_mov_b32_e32 v22, v11
	ds_write_b64 v21, v[22:23]
.LBB138_158:
	s_or_b64 exec, exec, s[0:1]
	s_waitcnt lgkmcnt(0)
	s_barrier
	s_barrier
	s_and_saveexec_b64 s[0:1], s[8:9]
; %bb.159:
	v_lshlrev_b32_e32 v22, 3, v19
	v_lshl_or_b32 v22, v20, 9, v22
	ds_write_b64 v22, v[11:12] offset:29056
; %bb.160:
	s_or_b64 exec, exec, s[0:1]
	v_cmp_gt_u32_e64 s[10:11], 8, v0
	s_and_b64 s[86:87], s[12:13], s[10:11]
	s_waitcnt lgkmcnt(0)
	s_barrier
	s_barrier
	s_and_saveexec_b64 s[0:1], s[86:87]
	s_cbranch_execz .LBB138_162
; %bb.161:
	v_lshlrev_b32_e32 v22, 9, v0
	ds_read_b64 v[11:12], v22 offset:29056
	s_movk_i32 s10, 0xfe08
	v_mad_i32_i24 v23, v0, s10, v22
	s_waitcnt lgkmcnt(0)
	ds_write_b64 v23, v[11:12] offset:25024
	ds_read_b64 v[11:12], v22 offset:29064
	s_waitcnt lgkmcnt(0)
	ds_write_b64 v23, v[11:12] offset:25536
	ds_read_b64 v[11:12], v22 offset:29072
	;; [unrolled: 3-line block ×7, first 2 shown]
	s_waitcnt lgkmcnt(0)
	ds_write_b64 v23, v[11:12] offset:28608
.LBB138_162:
	s_or_b64 exec, exec, s[0:1]
	s_waitcnt lgkmcnt(0)
	s_barrier
	s_and_saveexec_b64 s[0:1], vcc
	s_cbranch_execz .LBB138_164
; %bb.163:
	v_mov_b32_e32 v11, 0
	ds_read_b128 v[22:25], v11 offset:28592
	ds_read_b64 v[11:12], v11 offset:28080
	s_movk_i32 s10, 0x6800
	s_waitcnt lgkmcnt(0)
	v_mul_f64 v[11:12], v[11:12], v[24:25]
	v_mul_f64 v[11:12], v[22:23], v[11:12]
	v_add_u32_e64 v22, s10, 0
	ds_write2_b64 v22, v[11:12], v[11:12] offset0:183 offset1:246
.LBB138_164:
	s_or_b64 exec, exec, s[0:1]
	v_mov_b32_e32 v11, 0
	v_mov_b32_e32 v12, 0
	s_waitcnt lgkmcnt(0)
	s_barrier
	buffer_wbinvl1_vol
	s_and_saveexec_b64 s[0:1], s[2:3]
	s_cbranch_execz .LBB138_168
; %bb.165:
	v_lshlrev_b32_e32 v22, 9, v13
	v_lshlrev_b32_e32 v11, 3, v1
	ds_read_b64 v[11:12], v11 offset:28064
	ds_read_b64 v[22:23], v22 offset:28080
	v_cmp_gt_u32_e64 s[10:11], 2, v15
	s_waitcnt lgkmcnt(0)
	v_fma_f64 v[11:12], v[11:12], v[22:23], 0
	s_and_saveexec_b64 s[14:15], s[10:11]
	s_cbranch_execz .LBB138_167
; %bb.166:
	v_lshlrev_b32_e32 v22, 3, v0
	v_mov_b32_e32 v24, 0
	ds_read_b64 v[22:23], v22 offset:28576
	ds_read_b64 v[24:25], v24 offset:28600
	s_waitcnt lgkmcnt(0)
	v_fma_f64 v[11:12], v[22:23], v[24:25], v[11:12]
.LBB138_167:
	s_or_b64 exec, exec, s[14:15]
.LBB138_168:
	s_or_b64 exec, exec, s[0:1]
	s_and_saveexec_b64 s[0:1], s[40:41]
	s_cbranch_execz .LBB138_170
; %bb.169:
	v_mov_b32_e32 v22, 0
	ds_read_b64 v[22:23], v22 offset:27560
	s_waitcnt lgkmcnt(0)
	v_mul_f64 v[11:12], v[11:12], v[22:23]
	v_xor_b32_e32 v23, 0x80000000, v12
	v_mov_b32_e32 v22, v11
	ds_write_b64 v14, v[22:23]
.LBB138_170:
	s_or_b64 exec, exec, s[0:1]
	s_waitcnt lgkmcnt(0)
	s_barrier
	s_and_saveexec_b64 s[0:1], s[38:39]
	s_cbranch_execz .LBB138_172
; %bb.171:
	v_mov_b32_e32 v22, 0
	ds_read_b64 v[22:23], v22 offset:27552
	ds_read_b64 v[24:25], v14
	s_waitcnt lgkmcnt(0)
	v_fma_f64 v[11:12], -v[22:23], v[24:25], v[11:12]
.LBB138_172:
	s_or_b64 exec, exec, s[0:1]
	s_barrier
	s_and_saveexec_b64 s[0:1], s[38:39]
	s_cbranch_execz .LBB138_174
; %bb.173:
	v_mov_b32_e32 v22, 0
	ds_read_b64 v[22:23], v22 offset:27040
	s_waitcnt lgkmcnt(0)
	v_mul_f64 v[11:12], v[11:12], v[22:23]
	v_xor_b32_e32 v23, 0x80000000, v12
	v_mov_b32_e32 v22, v11
	ds_write_b64 v14, v[22:23]
.LBB138_174:
	s_or_b64 exec, exec, s[0:1]
	s_waitcnt lgkmcnt(0)
	s_barrier
	s_barrier
	s_and_saveexec_b64 s[0:1], s[2:3]
; %bb.175:
	v_lshlrev_b32_e32 v22, 3, v1
	v_lshl_or_b32 v22, v13, 9, v22
	ds_write_b64 v22, v[11:12] offset:28064
; %bb.176:
	s_or_b64 exec, exec, s[0:1]
	s_waitcnt lgkmcnt(0)
	s_barrier
	s_barrier
	s_and_saveexec_b64 s[0:1], s[42:43]
	s_cbranch_execz .LBB138_178
; %bb.177:
	v_lshlrev_b32_e32 v22, 3, v0
	s_movk_i32 s10, 0x1f8
	v_mad_u32_u24 v23, v0, s10, v22
	ds_read_b64 v[11:12], v23 offset:28064
	s_waitcnt lgkmcnt(0)
	ds_write_b64 v22, v[11:12] offset:27056
	ds_read_b64 v[11:12], v23 offset:28072
	s_waitcnt lgkmcnt(0)
	ds_write_b64 v22, v[11:12] offset:27568
.LBB138_178:
	s_or_b64 exec, exec, s[0:1]
	s_waitcnt lgkmcnt(0)
	s_barrier
	s_and_saveexec_b64 s[0:1], vcc
	s_cbranch_execz .LBB138_180
; %bb.179:
	v_mov_b32_e32 v11, 0
	ds_read_b128 v[22:25], v11 offset:27552
	ds_read_b64 v[11:12], v11 offset:27040
	s_movk_i32 s10, 0x6800
	s_waitcnt lgkmcnt(0)
	v_mul_f64 v[11:12], v[11:12], v[24:25]
	v_mul_f64 v[11:12], v[22:23], v[11:12]
	v_add_u32_e64 v22, s10, 0
	ds_write2_b64 v22, v[11:12], v[11:12] offset0:53 offset1:116
.LBB138_180:
	s_or_b64 exec, exec, s[0:1]
	v_mov_b32_e32 v11, 0
	v_mov_b32_e32 v12, 0
	s_waitcnt lgkmcnt(0)
	s_barrier
	buffer_wbinvl1_vol
	s_and_saveexec_b64 s[0:1], s[18:19]
	s_cbranch_execz .LBB138_186
; %bb.181:
	v_lshlrev_b32_e32 v23, 3, v16
	v_lshlrev_b32_e32 v22, 9, v17
	ds_read_b64 v[11:12], v23 offset:27008
	ds_read_b64 v[24:25], v22 offset:27040
	v_cmp_gt_u32_e64 s[10:11], 12, v15
	s_waitcnt lgkmcnt(0)
	v_fma_f64 v[11:12], v[11:12], v[24:25], 0
	s_and_saveexec_b64 s[14:15], s[10:11]
	s_cbranch_execnz .LBB138_1106
; %bb.182:
	s_or_b64 exec, exec, s[14:15]
	v_cmp_gt_u32_e64 s[10:11], 8, v15
	s_and_saveexec_b64 s[14:15], s[10:11]
	s_cbranch_execnz .LBB138_1107
.LBB138_183:
	s_or_b64 exec, exec, s[14:15]
	v_cmp_gt_u32_e64 s[10:11], 4, v15
	s_and_saveexec_b64 s[14:15], s[10:11]
	s_cbranch_execz .LBB138_185
.LBB138_184:
	v_lshlrev_b32_e32 v22, 3, v0
	v_mov_b32_e32 v24, 0
	ds_read_b64 v[22:23], v22 offset:28544
	ds_read_b64 v[24:25], v24 offset:28600
	s_waitcnt lgkmcnt(0)
	v_fma_f64 v[11:12], v[22:23], v[24:25], v[11:12]
.LBB138_185:
	s_or_b64 exec, exec, s[14:15]
.LBB138_186:
	s_or_b64 exec, exec, s[0:1]
	s_and_saveexec_b64 s[0:1], s[46:47]
	s_cbranch_execz .LBB138_188
; %bb.187:
	v_mov_b32_e32 v22, 0
	ds_read_b64 v[22:23], v22 offset:26520
	s_waitcnt lgkmcnt(0)
	v_mul_f64 v[11:12], v[11:12], v[22:23]
	v_xor_b32_e32 v23, 0x80000000, v12
	v_mov_b32_e32 v22, v11
	ds_write_b64 v18, v[22:23]
.LBB138_188:
	s_or_b64 exec, exec, s[0:1]
	s_waitcnt lgkmcnt(0)
	s_barrier
	s_and_saveexec_b64 s[0:1], s[48:49]
	s_cbranch_execz .LBB138_190
; %bb.189:
	v_lshlrev_b32_e32 v22, 3, v16
	ds_read_b64 v[22:23], v22 offset:26496
	ds_read_b64 v[24:25], v18
	s_waitcnt lgkmcnt(0)
	v_fma_f64 v[11:12], -v[22:23], v[24:25], v[11:12]
.LBB138_190:
	s_or_b64 exec, exec, s[0:1]
	s_barrier
	s_and_saveexec_b64 s[0:1], s[50:51]
	s_cbranch_execz .LBB138_192
; %bb.191:
	v_mov_b32_e32 v22, 0
	ds_read_b64 v[22:23], v22 offset:26000
	s_waitcnt lgkmcnt(0)
	v_mul_f64 v[11:12], v[11:12], v[22:23]
	v_xor_b32_e32 v23, 0x80000000, v12
	v_mov_b32_e32 v22, v11
	ds_write_b64 v18, v[22:23]
.LBB138_192:
	s_or_b64 exec, exec, s[0:1]
	s_waitcnt lgkmcnt(0)
	s_barrier
	s_and_saveexec_b64 s[0:1], s[52:53]
	s_cbranch_execz .LBB138_194
; %bb.193:
	v_lshlrev_b32_e32 v22, 3, v16
	ds_read_b64 v[22:23], v22 offset:25984
	ds_read_b64 v[24:25], v18
	s_waitcnt lgkmcnt(0)
	v_fma_f64 v[11:12], -v[22:23], v[24:25], v[11:12]
.LBB138_194:
	s_or_b64 exec, exec, s[0:1]
	s_barrier
	s_and_saveexec_b64 s[0:1], s[54:55]
	s_cbranch_execz .LBB138_196
; %bb.195:
	v_mov_b32_e32 v22, 0
	ds_read_b64 v[22:23], v22 offset:25480
	s_waitcnt lgkmcnt(0)
	v_mul_f64 v[11:12], v[11:12], v[22:23]
	v_xor_b32_e32 v23, 0x80000000, v12
	v_mov_b32_e32 v22, v11
	ds_write_b64 v18, v[22:23]
.LBB138_196:
	s_or_b64 exec, exec, s[0:1]
	s_waitcnt lgkmcnt(0)
	s_barrier
	s_and_saveexec_b64 s[0:1], s[44:45]
	s_cbranch_execz .LBB138_198
; %bb.197:
	v_mov_b32_e32 v22, 0
	ds_read_b64 v[22:23], v22 offset:25472
	ds_read_b64 v[24:25], v18
	s_waitcnt lgkmcnt(0)
	v_fma_f64 v[11:12], -v[22:23], v[24:25], v[11:12]
.LBB138_198:
	s_or_b64 exec, exec, s[0:1]
	s_barrier
	s_and_saveexec_b64 s[0:1], s[44:45]
	s_cbranch_execz .LBB138_200
; %bb.199:
	v_mov_b32_e32 v22, 0
	ds_read_b64 v[22:23], v22 offset:24960
	s_waitcnt lgkmcnt(0)
	v_mul_f64 v[11:12], v[11:12], v[22:23]
	v_xor_b32_e32 v23, 0x80000000, v12
	v_mov_b32_e32 v22, v11
	ds_write_b64 v18, v[22:23]
.LBB138_200:
	s_or_b64 exec, exec, s[0:1]
	s_waitcnt lgkmcnt(0)
	s_barrier
	s_barrier
	s_and_saveexec_b64 s[0:1], s[18:19]
; %bb.201:
	v_lshlrev_b32_e32 v22, 3, v16
	v_lshl_or_b32 v22, v17, 9, v22
	ds_write_b64 v22, v[11:12] offset:27008
; %bb.202:
	s_or_b64 exec, exec, s[0:1]
	s_waitcnt lgkmcnt(0)
	s_barrier
	s_barrier
	s_and_saveexec_b64 s[0:1], s[56:57]
	s_cbranch_execz .LBB138_204
; %bb.203:
	v_lshlrev_b32_e32 v22, 9, v0
	ds_read_b64 v[11:12], v22 offset:27008
	s_movk_i32 s10, 0xfe08
	v_mad_i32_i24 v23, v0, s10, v22
	s_waitcnt lgkmcnt(0)
	ds_write_b64 v23, v[11:12] offset:24992
	ds_read_b64 v[11:12], v22 offset:27016
	s_waitcnt lgkmcnt(0)
	ds_write_b64 v23, v[11:12] offset:25504
	ds_read_b64 v[11:12], v22 offset:27024
	;; [unrolled: 3-line block ×3, first 2 shown]
	s_waitcnt lgkmcnt(0)
	ds_write_b64 v23, v[11:12] offset:26528
.LBB138_204:
	s_or_b64 exec, exec, s[0:1]
	s_waitcnt lgkmcnt(0)
	s_barrier
	s_and_saveexec_b64 s[0:1], vcc
	s_cbranch_execz .LBB138_206
; %bb.205:
	v_mov_b32_e32 v11, 0
	ds_read_b128 v[22:25], v11 offset:26512
	ds_read_b64 v[11:12], v11 offset:26000
	s_movk_i32 s10, 0x6000
	s_waitcnt lgkmcnt(0)
	v_mul_f64 v[11:12], v[11:12], v[24:25]
	v_mul_f64 v[11:12], v[22:23], v[11:12]
	v_add_u32_e64 v22, s10, 0
	ds_write2_b64 v22, v[11:12], v[11:12] offset0:179 offset1:242
.LBB138_206:
	s_or_b64 exec, exec, s[0:1]
	v_mov_b32_e32 v11, 0
	v_mov_b32_e32 v12, 0
	s_waitcnt lgkmcnt(0)
	s_barrier
	buffer_wbinvl1_vol
	s_and_saveexec_b64 s[0:1], s[2:3]
	s_cbranch_execz .LBB138_210
; %bb.207:
	v_lshlrev_b32_e32 v22, 9, v13
	v_lshlrev_b32_e32 v11, 3, v1
	ds_read_b64 v[11:12], v11 offset:25984
	ds_read_b64 v[22:23], v22 offset:26000
	v_cmp_gt_u32_e64 s[10:11], 2, v15
	s_waitcnt lgkmcnt(0)
	v_fma_f64 v[11:12], v[11:12], v[22:23], 0
	s_and_saveexec_b64 s[14:15], s[10:11]
	s_cbranch_execz .LBB138_209
; %bb.208:
	v_lshlrev_b32_e32 v22, 3, v0
	v_mov_b32_e32 v24, 0
	ds_read_b64 v[22:23], v22 offset:26496
	ds_read_b64 v[24:25], v24 offset:26520
	s_waitcnt lgkmcnt(0)
	v_fma_f64 v[11:12], v[22:23], v[24:25], v[11:12]
.LBB138_209:
	s_or_b64 exec, exec, s[14:15]
.LBB138_210:
	s_or_b64 exec, exec, s[0:1]
	s_and_saveexec_b64 s[0:1], s[40:41]
	s_cbranch_execz .LBB138_212
; %bb.211:
	v_mov_b32_e32 v22, 0
	ds_read_b64 v[22:23], v22 offset:25480
	s_waitcnt lgkmcnt(0)
	v_mul_f64 v[11:12], v[11:12], v[22:23]
	v_xor_b32_e32 v23, 0x80000000, v12
	v_mov_b32_e32 v22, v11
	ds_write_b64 v14, v[22:23]
.LBB138_212:
	s_or_b64 exec, exec, s[0:1]
	s_waitcnt lgkmcnt(0)
	s_barrier
	s_and_saveexec_b64 s[0:1], s[38:39]
	s_cbranch_execz .LBB138_214
; %bb.213:
	v_mov_b32_e32 v22, 0
	ds_read_b64 v[22:23], v22 offset:25472
	ds_read_b64 v[24:25], v14
	s_waitcnt lgkmcnt(0)
	v_fma_f64 v[11:12], -v[22:23], v[24:25], v[11:12]
.LBB138_214:
	s_or_b64 exec, exec, s[0:1]
	s_barrier
	s_and_saveexec_b64 s[0:1], s[38:39]
	s_cbranch_execz .LBB138_216
; %bb.215:
	v_mov_b32_e32 v22, 0
	ds_read_b64 v[22:23], v22 offset:24960
	s_waitcnt lgkmcnt(0)
	v_mul_f64 v[11:12], v[11:12], v[22:23]
	v_xor_b32_e32 v23, 0x80000000, v12
	v_mov_b32_e32 v22, v11
	ds_write_b64 v14, v[22:23]
.LBB138_216:
	s_or_b64 exec, exec, s[0:1]
	s_waitcnt lgkmcnt(0)
	s_barrier
	s_barrier
	s_and_saveexec_b64 s[0:1], s[2:3]
; %bb.217:
	v_lshlrev_b32_e32 v22, 3, v1
	v_lshl_or_b32 v22, v13, 9, v22
	ds_write_b64 v22, v[11:12] offset:25984
; %bb.218:
	s_or_b64 exec, exec, s[0:1]
	s_waitcnt lgkmcnt(0)
	s_barrier
	s_barrier
	s_and_saveexec_b64 s[0:1], s[42:43]
	s_cbranch_execz .LBB138_220
; %bb.219:
	v_lshlrev_b32_e32 v22, 3, v0
	s_movk_i32 s10, 0x1f8
	v_mad_u32_u24 v23, v0, s10, v22
	ds_read_b64 v[11:12], v23 offset:25984
	s_waitcnt lgkmcnt(0)
	ds_write_b64 v22, v[11:12] offset:24976
	ds_read_b64 v[11:12], v23 offset:25992
	s_waitcnt lgkmcnt(0)
	ds_write_b64 v22, v[11:12] offset:25488
.LBB138_220:
	s_or_b64 exec, exec, s[0:1]
	s_waitcnt lgkmcnt(0)
	s_barrier
	s_and_saveexec_b64 s[0:1], vcc
	s_cbranch_execz .LBB138_222
; %bb.221:
	v_mov_b32_e32 v11, 0
	ds_read_b128 v[22:25], v11 offset:25472
	ds_read_b64 v[11:12], v11 offset:24960
	s_movk_i32 s10, 0x6000
	s_waitcnt lgkmcnt(0)
	v_mul_f64 v[11:12], v[11:12], v[24:25]
	v_mul_f64 v[11:12], v[22:23], v[11:12]
	v_add_u32_e64 v22, s10, 0
	ds_write2_b64 v22, v[11:12], v[11:12] offset0:49 offset1:112
.LBB138_222:
	s_or_b64 exec, exec, s[0:1]
	s_movk_i32 s0, 0xff
	v_lshrrev_b32_e32 v24, 4, v15
	v_cmp_lt_u32_e64 s[14:15], s0, v15
	s_movk_i32 s0, 0x100
	v_mov_b32_e32 v11, 0
	v_and_b32_e32 v22, 15, v0
	v_sub_u32_e32 v23, 15, v24
	v_mov_b32_e32 v12, 0
	v_cmp_gt_u32_e64 s[10:11], s0, v15
	s_waitcnt lgkmcnt(0)
	s_barrier
	buffer_wbinvl1_vol
	s_and_saveexec_b64 s[0:1], s[10:11]
	s_cbranch_execz .LBB138_250
; %bb.223:
	v_lshlrev_b32_e32 v26, 3, v22
	v_lshlrev_b32_e32 v25, 9, v23
	ds_read_b64 v[11:12], v26 offset:24832
	ds_read_b64 v[27:28], v25 offset:24960
	s_movk_i32 s16, 0xf0
	v_cmp_gt_u32_e64 s[16:17], s16, v15
	s_waitcnt lgkmcnt(0)
	v_fma_f64 v[11:12], v[11:12], v[27:28], 0
	s_and_saveexec_b64 s[20:21], s[16:17]
	s_cbranch_execz .LBB138_225
; %bb.224:
	ds_read_b64 v[27:28], v26 offset:25344
	ds_read_b64 v[29:30], v25 offset:24968
	s_waitcnt lgkmcnt(0)
	v_fma_f64 v[11:12], v[27:28], v[29:30], v[11:12]
.LBB138_225:
	s_or_b64 exec, exec, s[20:21]
	s_movk_i32 s16, 0xe0
	v_cmp_gt_u32_e64 s[16:17], s16, v15
	s_and_saveexec_b64 s[20:21], s[16:17]
	s_cbranch_execz .LBB138_227
; %bb.226:
	ds_read_b64 v[27:28], v26 offset:25856
	ds_read_b64 v[29:30], v25 offset:24976
	s_waitcnt lgkmcnt(0)
	v_fma_f64 v[11:12], v[27:28], v[29:30], v[11:12]
.LBB138_227:
	s_or_b64 exec, exec, s[20:21]
	s_movk_i32 s16, 0xd0
	v_cmp_gt_u32_e64 s[16:17], s16, v15
	;; [unrolled: 11-line block ×10, first 2 shown]
	s_and_saveexec_b64 s[20:21], s[16:17]
	s_cbranch_execnz .LBB138_1108
; %bb.244:
	s_or_b64 exec, exec, s[20:21]
	s_and_saveexec_b64 s[16:17], s[8:9]
	s_cbranch_execnz .LBB138_1109
.LBB138_245:
	s_or_b64 exec, exec, s[16:17]
	v_cmp_gt_u32_e64 s[16:17], 48, v15
	s_and_saveexec_b64 s[20:21], s[16:17]
	s_cbranch_execnz .LBB138_1110
.LBB138_246:
	s_or_b64 exec, exec, s[20:21]
	v_cmp_gt_u32_e64 s[16:17], 32, v15
	s_and_saveexec_b64 s[20:21], s[16:17]
	s_cbranch_execnz .LBB138_1111
.LBB138_247:
	s_or_b64 exec, exec, s[20:21]
	v_cmp_gt_u32_e64 s[16:17], 16, v15
	s_and_saveexec_b64 s[20:21], s[16:17]
	s_cbranch_execz .LBB138_249
.LBB138_248:
	v_lshlrev_b32_e32 v25, 3, v0
	v_mov_b32_e32 v27, 0
	ds_read_b64 v[25:26], v25 offset:32512
	ds_read_b64 v[27:28], v27 offset:32760
	s_waitcnt lgkmcnt(0)
	v_fma_f64 v[11:12], v[25:26], v[27:28], v[11:12]
.LBB138_249:
	s_or_b64 exec, exec, s[20:21]
.LBB138_250:
	s_or_b64 exec, exec, s[0:1]
	v_mov_b32_e32 v25, 0x8000
	v_lshl_add_u32 v24, v24, 3, v25
	v_cmp_eq_u32_e64 s[16:17], 15, v22
	s_xor_b64 s[20:21], s[14:15], -1
	s_and_b64 s[14:15], s[16:17], s[20:21]
	s_mov_b64 s[0:1], exec
	v_writelane_b32 v36, s14, 5
	v_writelane_b32 v36, s15, 6
	s_and_b64 s[14:15], s[0:1], s[14:15]
	s_mov_b64 exec, s[14:15]
	s_cbranch_execz .LBB138_252
; %bb.251:
	v_mov_b32_e32 v25, 0
	ds_read_b64 v[25:26], v25 offset:24440
	s_waitcnt lgkmcnt(0)
	v_mul_f64 v[11:12], v[11:12], v[25:26]
	v_xor_b32_e32 v26, 0x80000000, v12
	v_mov_b32_e32 v25, v11
	ds_write_b64 v24, v[25:26]
.LBB138_252:
	s_or_b64 exec, exec, s[0:1]
	v_cmp_ne_u32_e64 s[14:15], 15, v22
	s_waitcnt lgkmcnt(0)
	s_barrier
	s_and_b64 s[14:15], s[14:15], s[20:21]
	s_mov_b64 s[0:1], exec
	v_writelane_b32 v36, s14, 7
	v_writelane_b32 v36, s15, 8
	s_and_b64 s[14:15], s[0:1], s[14:15]
	s_mov_b64 exec, s[14:15]
	s_cbranch_execz .LBB138_254
; %bb.253:
	v_lshlrev_b32_e32 v25, 3, v22
	ds_read_b64 v[25:26], v25 offset:24320
	ds_read_b64 v[27:28], v24
	s_waitcnt lgkmcnt(0)
	v_fma_f64 v[11:12], -v[25:26], v[27:28], v[11:12]
.LBB138_254:
	s_or_b64 exec, exec, s[0:1]
	v_cmp_eq_u32_e64 s[14:15], 14, v22
	s_barrier
	s_and_b64 s[14:15], s[14:15], s[20:21]
	s_mov_b64 s[0:1], exec
	v_writelane_b32 v36, s14, 9
	v_writelane_b32 v36, s15, 10
	s_and_b64 s[14:15], s[0:1], s[14:15]
	s_mov_b64 exec, s[14:15]
	s_cbranch_execz .LBB138_256
; %bb.255:
	v_mov_b32_e32 v25, 0
	ds_read_b64 v[25:26], v25 offset:23920
	s_waitcnt lgkmcnt(0)
	v_mul_f64 v[11:12], v[11:12], v[25:26]
	v_xor_b32_e32 v26, 0x80000000, v12
	v_mov_b32_e32 v25, v11
	ds_write_b64 v24, v[25:26]
.LBB138_256:
	s_or_b64 exec, exec, s[0:1]
	v_cmp_gt_u32_e64 s[14:15], 14, v22
	s_waitcnt lgkmcnt(0)
	s_barrier
	s_and_b64 s[14:15], s[14:15], s[20:21]
	s_mov_b64 s[0:1], exec
	v_writelane_b32 v36, s14, 11
	v_writelane_b32 v36, s15, 12
	s_and_b64 s[14:15], s[0:1], s[14:15]
	s_mov_b64 exec, s[14:15]
	s_cbranch_execz .LBB138_258
; %bb.257:
	v_lshlrev_b32_e32 v25, 3, v22
	ds_read_b64 v[25:26], v25 offset:23808
	ds_read_b64 v[27:28], v24
	s_waitcnt lgkmcnt(0)
	v_fma_f64 v[11:12], -v[25:26], v[27:28], v[11:12]
.LBB138_258:
	s_or_b64 exec, exec, s[0:1]
	v_cmp_eq_u32_e64 s[14:15], 13, v22
	s_barrier
	s_and_b64 s[14:15], s[14:15], s[20:21]
	s_mov_b64 s[0:1], exec
	v_writelane_b32 v36, s14, 13
	v_writelane_b32 v36, s15, 14
	s_and_b64 s[14:15], s[0:1], s[14:15]
	s_mov_b64 exec, s[14:15]
	s_cbranch_execz .LBB138_260
; %bb.259:
	v_mov_b32_e32 v25, 0
	ds_read_b64 v[25:26], v25 offset:23400
	s_waitcnt lgkmcnt(0)
	v_mul_f64 v[11:12], v[11:12], v[25:26]
	v_xor_b32_e32 v26, 0x80000000, v12
	v_mov_b32_e32 v25, v11
	ds_write_b64 v24, v[25:26]
.LBB138_260:
	s_or_b64 exec, exec, s[0:1]
	v_cmp_gt_u32_e64 s[14:15], 13, v22
	;; [unrolled: 37-line block ×13, first 2 shown]
	s_waitcnt lgkmcnt(0)
	s_barrier
	s_and_b64 s[14:15], s[14:15], s[20:21]
	s_mov_b64 s[0:1], exec
	v_writelane_b32 v36, s14, 59
	v_writelane_b32 v36, s15, 60
	s_and_b64 s[14:15], s[0:1], s[14:15]
	s_mov_b64 exec, s[14:15]
	s_cbranch_execz .LBB138_306
; %bb.305:
	v_lshlrev_b32_e32 v25, 3, v22
	ds_read_b64 v[25:26], v25 offset:17664
	ds_read_b64 v[27:28], v24
	s_waitcnt lgkmcnt(0)
	v_fma_f64 v[11:12], -v[25:26], v[27:28], v[11:12]
.LBB138_306:
	s_or_b64 exec, exec, s[0:1]
	v_cmp_eq_u32_e64 s[14:15], 1, v22
	s_barrier
	s_and_b64 s[0:1], s[14:15], s[20:21]
	s_mov_b64 s[14:15], exec
	v_writelane_b32 v36, s0, 61
	v_writelane_b32 v36, s1, 62
	s_and_b64 s[0:1], s[14:15], s[0:1]
	s_mov_b64 exec, s[0:1]
	s_cbranch_execz .LBB138_308
; %bb.307:
	v_mov_b32_e32 v25, 0
	ds_read_b64 v[25:26], v25 offset:17160
	s_waitcnt lgkmcnt(0)
	v_mul_f64 v[11:12], v[11:12], v[25:26]
	v_xor_b32_e32 v26, 0x80000000, v12
	v_mov_b32_e32 v25, v11
	ds_write_b64 v24, v[25:26]
.LBB138_308:
	s_or_b64 exec, exec, s[14:15]
	v_cmp_eq_u32_e64 s[14:15], 0, v22
	s_and_b64 s[94:95], s[14:15], s[20:21]
	s_waitcnt lgkmcnt(0)
	s_barrier
	s_and_saveexec_b64 s[0:1], s[94:95]
	s_cbranch_execz .LBB138_310
; %bb.309:
	v_mov_b32_e32 v25, 0
	ds_read_b64 v[25:26], v25 offset:17152
	ds_read_b64 v[27:28], v24
	s_waitcnt lgkmcnt(0)
	v_fma_f64 v[11:12], -v[25:26], v[27:28], v[11:12]
.LBB138_310:
	s_or_b64 exec, exec, s[0:1]
	s_barrier
	s_and_saveexec_b64 s[14:15], s[94:95]
	s_cbranch_execz .LBB138_312
; %bb.311:
	v_mov_b32_e32 v25, 0
	ds_read_b64 v[25:26], v25 offset:16640
	s_waitcnt lgkmcnt(0)
	v_mul_f64 v[11:12], v[11:12], v[25:26]
	v_xor_b32_e32 v26, 0x80000000, v12
	v_mov_b32_e32 v25, v11
	ds_write_b64 v24, v[25:26]
.LBB138_312:
	s_or_b64 exec, exec, s[14:15]
	s_waitcnt lgkmcnt(0)
	s_barrier
	s_barrier
	s_and_saveexec_b64 s[0:1], s[10:11]
; %bb.313:
	v_lshlrev_b32_e32 v25, 3, v22
	v_lshl_or_b32 v25, v23, 9, v25
	ds_write_b64 v25, v[11:12] offset:24832
; %bb.314:
	s_or_b64 exec, exec, s[0:1]
	v_cmp_gt_u32_e64 s[14:15], 16, v0
	s_and_b64 s[90:91], s[12:13], s[14:15]
	s_waitcnt lgkmcnt(0)
	s_barrier
	s_barrier
	s_and_saveexec_b64 s[14:15], s[90:91]
	s_cbranch_execz .LBB138_316
; %bb.315:
	v_lshlrev_b32_e32 v25, 9, v0
	ds_read_b64 v[11:12], v25 offset:24832
	s_movk_i32 s0, 0xfe08
	v_mad_i32_i24 v26, v0, s0, v25
	s_waitcnt lgkmcnt(0)
	ds_write_b64 v26, v[11:12] offset:16768
	ds_read_b64 v[11:12], v25 offset:24840
	s_waitcnt lgkmcnt(0)
	ds_write_b64 v26, v[11:12] offset:17280
	ds_read_b64 v[11:12], v25 offset:24848
	;; [unrolled: 3-line block ×15, first 2 shown]
	s_waitcnt lgkmcnt(0)
	ds_write_b64 v26, v[11:12] offset:24448
.LBB138_316:
	s_or_b64 exec, exec, s[14:15]
	s_waitcnt lgkmcnt(0)
	s_barrier
	s_and_saveexec_b64 s[14:15], vcc
	s_cbranch_execz .LBB138_318
; %bb.317:
	v_mov_b32_e32 v11, 0
	ds_read_b128 v[25:28], v11 offset:24432
	ds_read_b64 v[11:12], v11 offset:23920
	s_movk_i32 s0, 0x5800
	s_waitcnt lgkmcnt(0)
	v_mul_f64 v[11:12], v[11:12], v[27:28]
	v_mul_f64 v[11:12], v[25:26], v[11:12]
	v_add_u32_e64 v25, s0, 0
	ds_write2_b64 v25, v[11:12], v[11:12] offset0:175 offset1:238
.LBB138_318:
	s_or_b64 exec, exec, s[14:15]
	v_mov_b32_e32 v11, 0
	v_mov_b32_e32 v12, 0
	s_waitcnt lgkmcnt(0)
	s_barrier
	buffer_wbinvl1_vol
	s_and_saveexec_b64 s[16:17], s[2:3]
	s_cbranch_execz .LBB138_322
; %bb.319:
	v_lshlrev_b32_e32 v25, 9, v13
	v_lshlrev_b32_e32 v11, 3, v1
	ds_read_b64 v[11:12], v11 offset:23904
	ds_read_b64 v[25:26], v25 offset:23920
	v_cmp_gt_u32_e64 s[14:15], 2, v15
	s_waitcnt lgkmcnt(0)
	v_fma_f64 v[11:12], v[11:12], v[25:26], 0
	s_and_saveexec_b64 s[20:21], s[14:15]
	s_cbranch_execz .LBB138_321
; %bb.320:
	v_lshlrev_b32_e32 v25, 3, v0
	v_mov_b32_e32 v27, 0
	ds_read_b64 v[25:26], v25 offset:24416
	ds_read_b64 v[27:28], v27 offset:24440
	s_waitcnt lgkmcnt(0)
	v_fma_f64 v[11:12], v[25:26], v[27:28], v[11:12]
.LBB138_321:
	s_or_b64 exec, exec, s[20:21]
.LBB138_322:
	s_or_b64 exec, exec, s[16:17]
	s_and_saveexec_b64 s[14:15], s[40:41]
	s_cbranch_execz .LBB138_324
; %bb.323:
	v_mov_b32_e32 v25, 0
	ds_read_b64 v[25:26], v25 offset:23400
	s_waitcnt lgkmcnt(0)
	v_mul_f64 v[11:12], v[11:12], v[25:26]
	v_xor_b32_e32 v26, 0x80000000, v12
	v_mov_b32_e32 v25, v11
	ds_write_b64 v14, v[25:26]
.LBB138_324:
	s_or_b64 exec, exec, s[14:15]
	s_waitcnt lgkmcnt(0)
	s_barrier
	s_and_saveexec_b64 s[0:1], s[38:39]
	s_cbranch_execz .LBB138_326
; %bb.325:
	v_mov_b32_e32 v25, 0
	ds_read_b64 v[25:26], v25 offset:23392
	ds_read_b64 v[27:28], v14
	s_waitcnt lgkmcnt(0)
	v_fma_f64 v[11:12], -v[25:26], v[27:28], v[11:12]
.LBB138_326:
	s_or_b64 exec, exec, s[0:1]
	s_barrier
	s_and_saveexec_b64 s[14:15], s[38:39]
	s_cbranch_execz .LBB138_328
; %bb.327:
	v_mov_b32_e32 v25, 0
	ds_read_b64 v[25:26], v25 offset:22880
	s_waitcnt lgkmcnt(0)
	v_mul_f64 v[11:12], v[11:12], v[25:26]
	v_xor_b32_e32 v26, 0x80000000, v12
	v_mov_b32_e32 v25, v11
	ds_write_b64 v14, v[25:26]
.LBB138_328:
	s_or_b64 exec, exec, s[14:15]
	s_waitcnt lgkmcnt(0)
	s_barrier
	s_barrier
	s_and_saveexec_b64 s[0:1], s[2:3]
; %bb.329:
	v_lshlrev_b32_e32 v25, 3, v1
	v_lshl_or_b32 v25, v13, 9, v25
	ds_write_b64 v25, v[11:12] offset:23904
; %bb.330:
	s_or_b64 exec, exec, s[0:1]
	s_waitcnt lgkmcnt(0)
	s_barrier
	s_barrier
	s_and_saveexec_b64 s[14:15], s[42:43]
	s_cbranch_execz .LBB138_332
; %bb.331:
	v_lshlrev_b32_e32 v25, 3, v0
	s_movk_i32 s0, 0x1f8
	v_mad_u32_u24 v26, v0, s0, v25
	ds_read_b64 v[11:12], v26 offset:23904
	s_waitcnt lgkmcnt(0)
	ds_write_b64 v25, v[11:12] offset:22896
	ds_read_b64 v[11:12], v26 offset:23912
	s_waitcnt lgkmcnt(0)
	ds_write_b64 v25, v[11:12] offset:23408
.LBB138_332:
	s_or_b64 exec, exec, s[14:15]
	s_waitcnt lgkmcnt(0)
	s_barrier
	s_and_saveexec_b64 s[14:15], vcc
	s_cbranch_execz .LBB138_334
; %bb.333:
	v_mov_b32_e32 v11, 0
	ds_read_b128 v[25:28], v11 offset:23392
	ds_read_b64 v[11:12], v11 offset:22880
	s_movk_i32 s0, 0x5800
	s_waitcnt lgkmcnt(0)
	v_mul_f64 v[11:12], v[11:12], v[27:28]
	v_mul_f64 v[11:12], v[25:26], v[11:12]
	v_add_u32_e64 v25, s0, 0
	ds_write2_b64 v25, v[11:12], v[11:12] offset0:45 offset1:108
.LBB138_334:
	s_or_b64 exec, exec, s[14:15]
	v_mov_b32_e32 v11, 0
	v_mov_b32_e32 v12, 0
	s_waitcnt lgkmcnt(0)
	s_barrier
	buffer_wbinvl1_vol
	s_and_saveexec_b64 s[16:17], s[18:19]
	s_cbranch_execz .LBB138_340
; %bb.335:
	v_lshlrev_b32_e32 v26, 3, v16
	v_lshlrev_b32_e32 v25, 9, v17
	ds_read_b64 v[11:12], v26 offset:22848
	ds_read_b64 v[27:28], v25 offset:22880
	v_cmp_gt_u32_e64 s[14:15], 12, v15
	s_waitcnt lgkmcnt(0)
	v_fma_f64 v[11:12], v[11:12], v[27:28], 0
	s_and_saveexec_b64 s[0:1], s[14:15]
	s_cbranch_execnz .LBB138_1112
; %bb.336:
	s_or_b64 exec, exec, s[0:1]
	v_cmp_gt_u32_e64 s[14:15], 8, v15
	s_and_saveexec_b64 s[0:1], s[14:15]
	s_cbranch_execnz .LBB138_1113
.LBB138_337:
	s_or_b64 exec, exec, s[0:1]
	v_cmp_gt_u32_e64 s[14:15], 4, v15
	s_and_saveexec_b64 s[20:21], s[14:15]
	s_cbranch_execz .LBB138_339
.LBB138_338:
	v_lshlrev_b32_e32 v25, 3, v0
	v_mov_b32_e32 v27, 0
	ds_read_b64 v[25:26], v25 offset:24384
	ds_read_b64 v[27:28], v27 offset:24440
	s_waitcnt lgkmcnt(0)
	v_fma_f64 v[11:12], v[25:26], v[27:28], v[11:12]
.LBB138_339:
	s_or_b64 exec, exec, s[20:21]
.LBB138_340:
	s_or_b64 exec, exec, s[16:17]
	s_and_saveexec_b64 s[14:15], s[46:47]
	s_cbranch_execz .LBB138_342
; %bb.341:
	v_mov_b32_e32 v25, 0
	ds_read_b64 v[25:26], v25 offset:22360
	s_waitcnt lgkmcnt(0)
	v_mul_f64 v[11:12], v[11:12], v[25:26]
	v_xor_b32_e32 v26, 0x80000000, v12
	v_mov_b32_e32 v25, v11
	ds_write_b64 v18, v[25:26]
.LBB138_342:
	s_or_b64 exec, exec, s[14:15]
	s_waitcnt lgkmcnt(0)
	s_barrier
	s_and_saveexec_b64 s[0:1], s[48:49]
	s_cbranch_execz .LBB138_344
; %bb.343:
	v_lshlrev_b32_e32 v25, 3, v16
	ds_read_b64 v[25:26], v25 offset:22336
	ds_read_b64 v[27:28], v18
	s_waitcnt lgkmcnt(0)
	v_fma_f64 v[11:12], -v[25:26], v[27:28], v[11:12]
.LBB138_344:
	s_or_b64 exec, exec, s[0:1]
	s_barrier
	s_and_saveexec_b64 s[14:15], s[50:51]
	s_cbranch_execz .LBB138_346
; %bb.345:
	v_mov_b32_e32 v25, 0
	ds_read_b64 v[25:26], v25 offset:21840
	s_waitcnt lgkmcnt(0)
	v_mul_f64 v[11:12], v[11:12], v[25:26]
	v_xor_b32_e32 v26, 0x80000000, v12
	v_mov_b32_e32 v25, v11
	ds_write_b64 v18, v[25:26]
.LBB138_346:
	s_or_b64 exec, exec, s[14:15]
	s_waitcnt lgkmcnt(0)
	s_barrier
	s_and_saveexec_b64 s[0:1], s[52:53]
	s_cbranch_execz .LBB138_348
; %bb.347:
	v_lshlrev_b32_e32 v25, 3, v16
	ds_read_b64 v[25:26], v25 offset:21824
	ds_read_b64 v[27:28], v18
	s_waitcnt lgkmcnt(0)
	v_fma_f64 v[11:12], -v[25:26], v[27:28], v[11:12]
.LBB138_348:
	s_or_b64 exec, exec, s[0:1]
	s_barrier
	s_and_saveexec_b64 s[14:15], s[54:55]
	s_cbranch_execz .LBB138_350
; %bb.349:
	v_mov_b32_e32 v25, 0
	ds_read_b64 v[25:26], v25 offset:21320
	s_waitcnt lgkmcnt(0)
	v_mul_f64 v[11:12], v[11:12], v[25:26]
	v_xor_b32_e32 v26, 0x80000000, v12
	v_mov_b32_e32 v25, v11
	ds_write_b64 v18, v[25:26]
.LBB138_350:
	s_or_b64 exec, exec, s[14:15]
	s_waitcnt lgkmcnt(0)
	s_barrier
	s_and_saveexec_b64 s[0:1], s[44:45]
	s_cbranch_execz .LBB138_352
; %bb.351:
	v_mov_b32_e32 v25, 0
	ds_read_b64 v[25:26], v25 offset:21312
	ds_read_b64 v[27:28], v18
	s_waitcnt lgkmcnt(0)
	v_fma_f64 v[11:12], -v[25:26], v[27:28], v[11:12]
.LBB138_352:
	s_or_b64 exec, exec, s[0:1]
	s_barrier
	s_and_saveexec_b64 s[14:15], s[44:45]
	s_cbranch_execz .LBB138_354
; %bb.353:
	v_mov_b32_e32 v25, 0
	ds_read_b64 v[25:26], v25 offset:20800
	s_waitcnt lgkmcnt(0)
	v_mul_f64 v[11:12], v[11:12], v[25:26]
	v_xor_b32_e32 v26, 0x80000000, v12
	v_mov_b32_e32 v25, v11
	ds_write_b64 v18, v[25:26]
.LBB138_354:
	s_or_b64 exec, exec, s[14:15]
	s_waitcnt lgkmcnt(0)
	s_barrier
	s_barrier
	s_and_saveexec_b64 s[0:1], s[18:19]
; %bb.355:
	v_lshlrev_b32_e32 v25, 3, v16
	v_lshl_or_b32 v25, v17, 9, v25
	ds_write_b64 v25, v[11:12] offset:22848
; %bb.356:
	s_or_b64 exec, exec, s[0:1]
	s_waitcnt lgkmcnt(0)
	s_barrier
	s_barrier
	s_and_saveexec_b64 s[14:15], s[56:57]
	s_cbranch_execz .LBB138_358
; %bb.357:
	v_lshlrev_b32_e32 v25, 9, v0
	ds_read_b64 v[11:12], v25 offset:22848
	s_movk_i32 s0, 0xfe08
	v_mad_i32_i24 v26, v0, s0, v25
	s_waitcnt lgkmcnt(0)
	ds_write_b64 v26, v[11:12] offset:20832
	ds_read_b64 v[11:12], v25 offset:22856
	s_waitcnt lgkmcnt(0)
	ds_write_b64 v26, v[11:12] offset:21344
	ds_read_b64 v[11:12], v25 offset:22864
	;; [unrolled: 3-line block ×3, first 2 shown]
	s_waitcnt lgkmcnt(0)
	ds_write_b64 v26, v[11:12] offset:22368
.LBB138_358:
	s_or_b64 exec, exec, s[14:15]
	s_waitcnt lgkmcnt(0)
	s_barrier
	s_and_saveexec_b64 s[14:15], vcc
	s_cbranch_execz .LBB138_360
; %bb.359:
	v_mov_b32_e32 v11, 0
	ds_read_b128 v[25:28], v11 offset:22352
	ds_read_b64 v[11:12], v11 offset:21840
	s_movk_i32 s0, 0x5000
	s_waitcnt lgkmcnt(0)
	v_mul_f64 v[11:12], v[11:12], v[27:28]
	v_mul_f64 v[11:12], v[25:26], v[11:12]
	v_add_u32_e64 v25, s0, 0
	ds_write2_b64 v25, v[11:12], v[11:12] offset0:171 offset1:234
.LBB138_360:
	s_or_b64 exec, exec, s[14:15]
	v_mov_b32_e32 v11, 0
	v_mov_b32_e32 v12, 0
	s_waitcnt lgkmcnt(0)
	s_barrier
	buffer_wbinvl1_vol
	s_and_saveexec_b64 s[16:17], s[2:3]
	s_cbranch_execz .LBB138_364
; %bb.361:
	v_lshlrev_b32_e32 v25, 9, v13
	v_lshlrev_b32_e32 v11, 3, v1
	ds_read_b64 v[11:12], v11 offset:21824
	ds_read_b64 v[25:26], v25 offset:21840
	v_cmp_gt_u32_e64 s[14:15], 2, v15
	s_waitcnt lgkmcnt(0)
	v_fma_f64 v[11:12], v[11:12], v[25:26], 0
	s_and_saveexec_b64 s[20:21], s[14:15]
	s_cbranch_execz .LBB138_363
; %bb.362:
	v_lshlrev_b32_e32 v25, 3, v0
	v_mov_b32_e32 v27, 0
	ds_read_b64 v[25:26], v25 offset:22336
	ds_read_b64 v[27:28], v27 offset:22360
	s_waitcnt lgkmcnt(0)
	v_fma_f64 v[11:12], v[25:26], v[27:28], v[11:12]
.LBB138_363:
	s_or_b64 exec, exec, s[20:21]
.LBB138_364:
	s_or_b64 exec, exec, s[16:17]
	s_and_saveexec_b64 s[14:15], s[40:41]
	s_cbranch_execz .LBB138_366
; %bb.365:
	v_mov_b32_e32 v25, 0
	ds_read_b64 v[25:26], v25 offset:21320
	s_waitcnt lgkmcnt(0)
	v_mul_f64 v[11:12], v[11:12], v[25:26]
	v_xor_b32_e32 v26, 0x80000000, v12
	v_mov_b32_e32 v25, v11
	ds_write_b64 v14, v[25:26]
.LBB138_366:
	s_or_b64 exec, exec, s[14:15]
	s_waitcnt lgkmcnt(0)
	s_barrier
	s_and_saveexec_b64 s[0:1], s[38:39]
	s_cbranch_execz .LBB138_368
; %bb.367:
	v_mov_b32_e32 v25, 0
	ds_read_b64 v[25:26], v25 offset:21312
	ds_read_b64 v[27:28], v14
	s_waitcnt lgkmcnt(0)
	v_fma_f64 v[11:12], -v[25:26], v[27:28], v[11:12]
.LBB138_368:
	s_or_b64 exec, exec, s[0:1]
	s_barrier
	s_and_saveexec_b64 s[14:15], s[38:39]
	s_cbranch_execz .LBB138_370
; %bb.369:
	v_mov_b32_e32 v25, 0
	ds_read_b64 v[25:26], v25 offset:20800
	s_waitcnt lgkmcnt(0)
	v_mul_f64 v[11:12], v[11:12], v[25:26]
	v_xor_b32_e32 v26, 0x80000000, v12
	v_mov_b32_e32 v25, v11
	ds_write_b64 v14, v[25:26]
.LBB138_370:
	s_or_b64 exec, exec, s[14:15]
	s_waitcnt lgkmcnt(0)
	s_barrier
	s_barrier
	s_and_saveexec_b64 s[0:1], s[2:3]
; %bb.371:
	v_lshlrev_b32_e32 v25, 3, v1
	v_lshl_or_b32 v25, v13, 9, v25
	ds_write_b64 v25, v[11:12] offset:21824
; %bb.372:
	s_or_b64 exec, exec, s[0:1]
	s_waitcnt lgkmcnt(0)
	s_barrier
	s_barrier
	s_and_saveexec_b64 s[14:15], s[42:43]
	s_cbranch_execz .LBB138_374
; %bb.373:
	v_lshlrev_b32_e32 v25, 3, v0
	s_movk_i32 s0, 0x1f8
	v_mad_u32_u24 v26, v0, s0, v25
	ds_read_b64 v[11:12], v26 offset:21824
	s_waitcnt lgkmcnt(0)
	ds_write_b64 v25, v[11:12] offset:20816
	ds_read_b64 v[11:12], v26 offset:21832
	s_waitcnt lgkmcnt(0)
	ds_write_b64 v25, v[11:12] offset:21328
.LBB138_374:
	s_or_b64 exec, exec, s[14:15]
	s_waitcnt lgkmcnt(0)
	s_barrier
	s_and_saveexec_b64 s[14:15], vcc
	s_cbranch_execz .LBB138_376
; %bb.375:
	v_mov_b32_e32 v11, 0
	ds_read_b128 v[25:28], v11 offset:21312
	ds_read_b64 v[11:12], v11 offset:20800
	s_movk_i32 s0, 0x5000
	s_waitcnt lgkmcnt(0)
	v_mul_f64 v[11:12], v[11:12], v[27:28]
	v_mul_f64 v[11:12], v[25:26], v[11:12]
	v_add_u32_e64 v25, s0, 0
	ds_write2_b64 v25, v[11:12], v[11:12] offset0:41 offset1:104
.LBB138_376:
	s_or_b64 exec, exec, s[14:15]
	v_mov_b32_e32 v11, 0
	v_mov_b32_e32 v12, 0
	s_waitcnt lgkmcnt(0)
	s_barrier
	buffer_wbinvl1_vol
	s_and_saveexec_b64 s[16:17], s[8:9]
	s_cbranch_execz .LBB138_386
; %bb.377:
	v_lshlrev_b32_e32 v26, 3, v19
	v_lshlrev_b32_e32 v25, 9, v20
	ds_read_b64 v[11:12], v26 offset:20736
	ds_read_b64 v[27:28], v25 offset:20800
	v_cmp_gt_u32_e64 s[14:15], 56, v15
	s_waitcnt lgkmcnt(0)
	v_fma_f64 v[11:12], v[11:12], v[27:28], 0
	s_and_saveexec_b64 s[0:1], s[14:15]
	s_cbranch_execnz .LBB138_1114
; %bb.378:
	s_or_b64 exec, exec, s[0:1]
	v_cmp_gt_u32_e64 s[14:15], 48, v15
	s_and_saveexec_b64 s[0:1], s[14:15]
	s_cbranch_execnz .LBB138_1115
.LBB138_379:
	s_or_b64 exec, exec, s[0:1]
	v_cmp_gt_u32_e64 s[14:15], 40, v15
	s_and_saveexec_b64 s[0:1], s[14:15]
	s_cbranch_execnz .LBB138_1116
.LBB138_380:
	s_or_b64 exec, exec, s[0:1]
	v_cmp_gt_u32_e64 s[14:15], 32, v15
	s_and_saveexec_b64 s[0:1], s[14:15]
	s_cbranch_execnz .LBB138_1117
.LBB138_381:
	s_or_b64 exec, exec, s[0:1]
	v_cmp_gt_u32_e64 s[14:15], 24, v15
	s_and_saveexec_b64 s[0:1], s[14:15]
	s_cbranch_execnz .LBB138_1118
.LBB138_382:
	s_or_b64 exec, exec, s[0:1]
	s_and_saveexec_b64 s[0:1], s[18:19]
	s_cbranch_execnz .LBB138_1119
.LBB138_383:
	s_or_b64 exec, exec, s[0:1]
	v_cmp_gt_u32_e64 s[14:15], 8, v15
	s_and_saveexec_b64 s[20:21], s[14:15]
	s_cbranch_execz .LBB138_385
.LBB138_384:
	v_lshlrev_b32_e32 v25, 3, v0
	v_mov_b32_e32 v27, 0
	ds_read_b64 v[25:26], v25 offset:24320
	ds_read_b64 v[27:28], v27 offset:24440
	s_waitcnt lgkmcnt(0)
	v_fma_f64 v[11:12], v[25:26], v[27:28], v[11:12]
.LBB138_385:
	s_or_b64 exec, exec, s[20:21]
.LBB138_386:
	s_or_b64 exec, exec, s[16:17]
	s_and_saveexec_b64 s[14:15], s[58:59]
	s_cbranch_execz .LBB138_388
; %bb.387:
	v_mov_b32_e32 v25, 0
	ds_read_b64 v[25:26], v25 offset:20280
	s_waitcnt lgkmcnt(0)
	v_mul_f64 v[11:12], v[11:12], v[25:26]
	v_xor_b32_e32 v26, 0x80000000, v12
	v_mov_b32_e32 v25, v11
	ds_write_b64 v21, v[25:26]
.LBB138_388:
	s_or_b64 exec, exec, s[14:15]
	s_waitcnt lgkmcnt(0)
	s_barrier
	s_and_saveexec_b64 s[0:1], s[60:61]
	s_cbranch_execz .LBB138_390
; %bb.389:
	v_lshlrev_b32_e32 v25, 3, v19
	ds_read_b64 v[25:26], v25 offset:20224
	ds_read_b64 v[27:28], v21
	s_waitcnt lgkmcnt(0)
	v_fma_f64 v[11:12], -v[25:26], v[27:28], v[11:12]
.LBB138_390:
	s_or_b64 exec, exec, s[0:1]
	s_barrier
	s_and_saveexec_b64 s[14:15], s[62:63]
	s_cbranch_execz .LBB138_392
; %bb.391:
	v_mov_b32_e32 v25, 0
	ds_read_b64 v[25:26], v25 offset:19760
	s_waitcnt lgkmcnt(0)
	v_mul_f64 v[11:12], v[11:12], v[25:26]
	v_xor_b32_e32 v26, 0x80000000, v12
	v_mov_b32_e32 v25, v11
	ds_write_b64 v21, v[25:26]
.LBB138_392:
	s_or_b64 exec, exec, s[14:15]
	s_waitcnt lgkmcnt(0)
	s_barrier
	s_and_saveexec_b64 s[0:1], s[64:65]
	s_cbranch_execz .LBB138_394
; %bb.393:
	v_lshlrev_b32_e32 v25, 3, v19
	ds_read_b64 v[25:26], v25 offset:19712
	ds_read_b64 v[27:28], v21
	s_waitcnt lgkmcnt(0)
	v_fma_f64 v[11:12], -v[25:26], v[27:28], v[11:12]
.LBB138_394:
	s_or_b64 exec, exec, s[0:1]
	s_barrier
	;; [unrolled: 25-line block ×6, first 2 shown]
	s_and_saveexec_b64 s[14:15], s[84:85]
	s_cbranch_execz .LBB138_412
; %bb.411:
	v_mov_b32_e32 v25, 0
	ds_read_b64 v[25:26], v25 offset:17160
	s_waitcnt lgkmcnt(0)
	v_mul_f64 v[11:12], v[11:12], v[25:26]
	v_xor_b32_e32 v26, 0x80000000, v12
	v_mov_b32_e32 v25, v11
	ds_write_b64 v21, v[25:26]
.LBB138_412:
	s_or_b64 exec, exec, s[14:15]
	s_waitcnt lgkmcnt(0)
	s_barrier
	s_and_saveexec_b64 s[0:1], s[68:69]
	s_cbranch_execz .LBB138_414
; %bb.413:
	v_mov_b32_e32 v25, 0
	ds_read_b64 v[25:26], v25 offset:17152
	ds_read_b64 v[27:28], v21
	s_waitcnt lgkmcnt(0)
	v_fma_f64 v[11:12], -v[25:26], v[27:28], v[11:12]
.LBB138_414:
	s_or_b64 exec, exec, s[0:1]
	s_barrier
	s_and_saveexec_b64 s[14:15], s[68:69]
	s_cbranch_execz .LBB138_416
; %bb.415:
	v_mov_b32_e32 v25, 0
	ds_read_b64 v[25:26], v25 offset:16640
	s_waitcnt lgkmcnt(0)
	v_mul_f64 v[11:12], v[11:12], v[25:26]
	v_xor_b32_e32 v26, 0x80000000, v12
	v_mov_b32_e32 v25, v11
	ds_write_b64 v21, v[25:26]
.LBB138_416:
	s_or_b64 exec, exec, s[14:15]
	s_waitcnt lgkmcnt(0)
	s_barrier
	s_barrier
	s_and_saveexec_b64 s[0:1], s[8:9]
; %bb.417:
	v_lshlrev_b32_e32 v25, 3, v19
	v_lshl_or_b32 v25, v20, 9, v25
	ds_write_b64 v25, v[11:12] offset:20736
; %bb.418:
	s_or_b64 exec, exec, s[0:1]
	s_waitcnt lgkmcnt(0)
	s_barrier
	s_barrier
	s_and_saveexec_b64 s[14:15], s[86:87]
	s_cbranch_execz .LBB138_420
; %bb.419:
	v_lshlrev_b32_e32 v25, 9, v0
	ds_read_b64 v[11:12], v25 offset:20736
	s_movk_i32 s0, 0xfe08
	v_mad_i32_i24 v26, v0, s0, v25
	s_waitcnt lgkmcnt(0)
	ds_write_b64 v26, v[11:12] offset:16704
	ds_read_b64 v[11:12], v25 offset:20744
	s_waitcnt lgkmcnt(0)
	ds_write_b64 v26, v[11:12] offset:17216
	ds_read_b64 v[11:12], v25 offset:20752
	;; [unrolled: 3-line block ×7, first 2 shown]
	s_waitcnt lgkmcnt(0)
	ds_write_b64 v26, v[11:12] offset:20288
.LBB138_420:
	s_or_b64 exec, exec, s[14:15]
	s_waitcnt lgkmcnt(0)
	s_barrier
	s_and_saveexec_b64 s[14:15], vcc
	s_cbranch_execz .LBB138_422
; %bb.421:
	v_mov_b32_e32 v11, 0
	ds_read_b128 v[25:28], v11 offset:20272
	ds_read_b64 v[11:12], v11 offset:19760
	s_movk_i32 s0, 0x4800
	s_waitcnt lgkmcnt(0)
	v_mul_f64 v[11:12], v[11:12], v[27:28]
	v_mul_f64 v[11:12], v[25:26], v[11:12]
	v_add_u32_e64 v25, s0, 0
	ds_write2_b64 v25, v[11:12], v[11:12] offset0:167 offset1:230
.LBB138_422:
	s_or_b64 exec, exec, s[14:15]
	v_mov_b32_e32 v11, 0
	v_mov_b32_e32 v12, 0
	s_waitcnt lgkmcnt(0)
	s_barrier
	buffer_wbinvl1_vol
	s_and_saveexec_b64 s[16:17], s[2:3]
	s_cbranch_execz .LBB138_426
; %bb.423:
	v_lshlrev_b32_e32 v25, 9, v13
	v_lshlrev_b32_e32 v11, 3, v1
	ds_read_b64 v[11:12], v11 offset:19744
	ds_read_b64 v[25:26], v25 offset:19760
	v_cmp_gt_u32_e64 s[14:15], 2, v15
	s_waitcnt lgkmcnt(0)
	v_fma_f64 v[11:12], v[11:12], v[25:26], 0
	s_and_saveexec_b64 s[20:21], s[14:15]
	s_cbranch_execz .LBB138_425
; %bb.424:
	v_lshlrev_b32_e32 v25, 3, v0
	v_mov_b32_e32 v27, 0
	ds_read_b64 v[25:26], v25 offset:20256
	ds_read_b64 v[27:28], v27 offset:20280
	s_waitcnt lgkmcnt(0)
	v_fma_f64 v[11:12], v[25:26], v[27:28], v[11:12]
.LBB138_425:
	s_or_b64 exec, exec, s[20:21]
.LBB138_426:
	s_or_b64 exec, exec, s[16:17]
	s_and_saveexec_b64 s[14:15], s[40:41]
	s_cbranch_execz .LBB138_428
; %bb.427:
	v_mov_b32_e32 v25, 0
	ds_read_b64 v[25:26], v25 offset:19240
	s_waitcnt lgkmcnt(0)
	v_mul_f64 v[11:12], v[11:12], v[25:26]
	v_xor_b32_e32 v26, 0x80000000, v12
	v_mov_b32_e32 v25, v11
	ds_write_b64 v14, v[25:26]
.LBB138_428:
	s_or_b64 exec, exec, s[14:15]
	s_waitcnt lgkmcnt(0)
	s_barrier
	s_and_saveexec_b64 s[0:1], s[38:39]
	s_cbranch_execz .LBB138_430
; %bb.429:
	v_mov_b32_e32 v25, 0
	ds_read_b64 v[25:26], v25 offset:19232
	ds_read_b64 v[27:28], v14
	s_waitcnt lgkmcnt(0)
	v_fma_f64 v[11:12], -v[25:26], v[27:28], v[11:12]
.LBB138_430:
	s_or_b64 exec, exec, s[0:1]
	s_barrier
	s_and_saveexec_b64 s[14:15], s[38:39]
	s_cbranch_execz .LBB138_432
; %bb.431:
	v_mov_b32_e32 v25, 0
	ds_read_b64 v[25:26], v25 offset:18720
	s_waitcnt lgkmcnt(0)
	v_mul_f64 v[11:12], v[11:12], v[25:26]
	v_xor_b32_e32 v26, 0x80000000, v12
	v_mov_b32_e32 v25, v11
	ds_write_b64 v14, v[25:26]
.LBB138_432:
	s_or_b64 exec, exec, s[14:15]
	s_waitcnt lgkmcnt(0)
	s_barrier
	s_barrier
	s_and_saveexec_b64 s[0:1], s[2:3]
; %bb.433:
	v_lshlrev_b32_e32 v25, 3, v1
	v_lshl_or_b32 v25, v13, 9, v25
	ds_write_b64 v25, v[11:12] offset:19744
; %bb.434:
	s_or_b64 exec, exec, s[0:1]
	s_waitcnt lgkmcnt(0)
	s_barrier
	s_barrier
	s_and_saveexec_b64 s[14:15], s[42:43]
	s_cbranch_execz .LBB138_436
; %bb.435:
	v_lshlrev_b32_e32 v25, 3, v0
	s_movk_i32 s0, 0x1f8
	v_mad_u32_u24 v26, v0, s0, v25
	ds_read_b64 v[11:12], v26 offset:19744
	s_waitcnt lgkmcnt(0)
	ds_write_b64 v25, v[11:12] offset:18736
	ds_read_b64 v[11:12], v26 offset:19752
	s_waitcnt lgkmcnt(0)
	ds_write_b64 v25, v[11:12] offset:19248
.LBB138_436:
	s_or_b64 exec, exec, s[14:15]
	s_waitcnt lgkmcnt(0)
	s_barrier
	s_and_saveexec_b64 s[14:15], vcc
	s_cbranch_execz .LBB138_438
; %bb.437:
	v_mov_b32_e32 v11, 0
	ds_read_b128 v[25:28], v11 offset:19232
	ds_read_b64 v[11:12], v11 offset:18720
	s_movk_i32 s0, 0x4800
	s_waitcnt lgkmcnt(0)
	v_mul_f64 v[11:12], v[11:12], v[27:28]
	v_mul_f64 v[11:12], v[25:26], v[11:12]
	v_add_u32_e64 v25, s0, 0
	ds_write2_b64 v25, v[11:12], v[11:12] offset0:37 offset1:100
.LBB138_438:
	s_or_b64 exec, exec, s[14:15]
	v_mov_b32_e32 v11, 0
	v_mov_b32_e32 v12, 0
	s_waitcnt lgkmcnt(0)
	s_barrier
	buffer_wbinvl1_vol
	s_and_saveexec_b64 s[16:17], s[18:19]
	s_cbranch_execz .LBB138_444
; %bb.439:
	v_lshlrev_b32_e32 v26, 3, v16
	v_lshlrev_b32_e32 v25, 9, v17
	ds_read_b64 v[11:12], v26 offset:18688
	ds_read_b64 v[27:28], v25 offset:18720
	v_cmp_gt_u32_e64 s[14:15], 12, v15
	s_waitcnt lgkmcnt(0)
	v_fma_f64 v[11:12], v[11:12], v[27:28], 0
	s_and_saveexec_b64 s[0:1], s[14:15]
	s_cbranch_execnz .LBB138_1120
; %bb.440:
	s_or_b64 exec, exec, s[0:1]
	v_cmp_gt_u32_e64 s[14:15], 8, v15
	s_and_saveexec_b64 s[0:1], s[14:15]
	s_cbranch_execnz .LBB138_1121
.LBB138_441:
	s_or_b64 exec, exec, s[0:1]
	v_cmp_gt_u32_e64 s[14:15], 4, v15
	s_and_saveexec_b64 s[20:21], s[14:15]
	s_cbranch_execz .LBB138_443
.LBB138_442:
	v_lshlrev_b32_e32 v25, 3, v0
	v_mov_b32_e32 v27, 0
	ds_read_b64 v[25:26], v25 offset:20224
	ds_read_b64 v[27:28], v27 offset:20280
	s_waitcnt lgkmcnt(0)
	v_fma_f64 v[11:12], v[25:26], v[27:28], v[11:12]
.LBB138_443:
	s_or_b64 exec, exec, s[20:21]
.LBB138_444:
	s_or_b64 exec, exec, s[16:17]
	s_and_saveexec_b64 s[14:15], s[46:47]
	s_cbranch_execz .LBB138_446
; %bb.445:
	v_mov_b32_e32 v25, 0
	ds_read_b64 v[25:26], v25 offset:18200
	s_waitcnt lgkmcnt(0)
	v_mul_f64 v[11:12], v[11:12], v[25:26]
	v_xor_b32_e32 v26, 0x80000000, v12
	v_mov_b32_e32 v25, v11
	ds_write_b64 v18, v[25:26]
.LBB138_446:
	s_or_b64 exec, exec, s[14:15]
	s_waitcnt lgkmcnt(0)
	s_barrier
	s_and_saveexec_b64 s[0:1], s[48:49]
	s_cbranch_execz .LBB138_448
; %bb.447:
	v_lshlrev_b32_e32 v25, 3, v16
	ds_read_b64 v[25:26], v25 offset:18176
	ds_read_b64 v[27:28], v18
	s_waitcnt lgkmcnt(0)
	v_fma_f64 v[11:12], -v[25:26], v[27:28], v[11:12]
.LBB138_448:
	s_or_b64 exec, exec, s[0:1]
	s_barrier
	s_and_saveexec_b64 s[14:15], s[50:51]
	s_cbranch_execz .LBB138_450
; %bb.449:
	v_mov_b32_e32 v25, 0
	ds_read_b64 v[25:26], v25 offset:17680
	s_waitcnt lgkmcnt(0)
	v_mul_f64 v[11:12], v[11:12], v[25:26]
	v_xor_b32_e32 v26, 0x80000000, v12
	v_mov_b32_e32 v25, v11
	ds_write_b64 v18, v[25:26]
.LBB138_450:
	s_or_b64 exec, exec, s[14:15]
	s_waitcnt lgkmcnt(0)
	s_barrier
	s_and_saveexec_b64 s[0:1], s[52:53]
	s_cbranch_execz .LBB138_452
; %bb.451:
	v_lshlrev_b32_e32 v25, 3, v16
	ds_read_b64 v[25:26], v25 offset:17664
	ds_read_b64 v[27:28], v18
	s_waitcnt lgkmcnt(0)
	v_fma_f64 v[11:12], -v[25:26], v[27:28], v[11:12]
.LBB138_452:
	s_or_b64 exec, exec, s[0:1]
	s_barrier
	s_and_saveexec_b64 s[14:15], s[54:55]
	s_cbranch_execz .LBB138_454
; %bb.453:
	v_mov_b32_e32 v25, 0
	ds_read_b64 v[25:26], v25 offset:17160
	s_waitcnt lgkmcnt(0)
	v_mul_f64 v[11:12], v[11:12], v[25:26]
	v_xor_b32_e32 v26, 0x80000000, v12
	v_mov_b32_e32 v25, v11
	ds_write_b64 v18, v[25:26]
.LBB138_454:
	s_or_b64 exec, exec, s[14:15]
	s_waitcnt lgkmcnt(0)
	s_barrier
	s_and_saveexec_b64 s[0:1], s[44:45]
	s_cbranch_execz .LBB138_456
; %bb.455:
	v_mov_b32_e32 v25, 0
	ds_read_b64 v[25:26], v25 offset:17152
	ds_read_b64 v[27:28], v18
	s_waitcnt lgkmcnt(0)
	v_fma_f64 v[11:12], -v[25:26], v[27:28], v[11:12]
.LBB138_456:
	s_or_b64 exec, exec, s[0:1]
	s_barrier
	s_and_saveexec_b64 s[14:15], s[44:45]
	s_cbranch_execz .LBB138_458
; %bb.457:
	v_mov_b32_e32 v25, 0
	ds_read_b64 v[25:26], v25 offset:16640
	s_waitcnt lgkmcnt(0)
	v_mul_f64 v[11:12], v[11:12], v[25:26]
	v_xor_b32_e32 v26, 0x80000000, v12
	v_mov_b32_e32 v25, v11
	ds_write_b64 v18, v[25:26]
.LBB138_458:
	s_or_b64 exec, exec, s[14:15]
	s_waitcnt lgkmcnt(0)
	s_barrier
	s_barrier
	s_and_saveexec_b64 s[0:1], s[18:19]
; %bb.459:
	v_lshlrev_b32_e32 v25, 3, v16
	v_lshl_or_b32 v25, v17, 9, v25
	ds_write_b64 v25, v[11:12] offset:18688
; %bb.460:
	s_or_b64 exec, exec, s[0:1]
	s_waitcnt lgkmcnt(0)
	s_barrier
	s_barrier
	s_and_saveexec_b64 s[14:15], s[56:57]
	s_cbranch_execz .LBB138_462
; %bb.461:
	v_lshlrev_b32_e32 v25, 9, v0
	ds_read_b64 v[11:12], v25 offset:18688
	s_movk_i32 s0, 0xfe08
	v_mad_i32_i24 v26, v0, s0, v25
	s_waitcnt lgkmcnt(0)
	ds_write_b64 v26, v[11:12] offset:16672
	ds_read_b64 v[11:12], v25 offset:18696
	s_waitcnt lgkmcnt(0)
	ds_write_b64 v26, v[11:12] offset:17184
	ds_read_b64 v[11:12], v25 offset:18704
	;; [unrolled: 3-line block ×3, first 2 shown]
	s_waitcnt lgkmcnt(0)
	ds_write_b64 v26, v[11:12] offset:18208
.LBB138_462:
	s_or_b64 exec, exec, s[14:15]
	s_waitcnt lgkmcnt(0)
	s_barrier
	s_and_saveexec_b64 s[14:15], vcc
	s_cbranch_execz .LBB138_464
; %bb.463:
	v_mov_b32_e32 v11, 0
	ds_read_b128 v[25:28], v11 offset:18192
	ds_read_b64 v[11:12], v11 offset:17680
	s_movk_i32 s0, 0x4000
	s_waitcnt lgkmcnt(0)
	v_mul_f64 v[11:12], v[11:12], v[27:28]
	v_mul_f64 v[11:12], v[25:26], v[11:12]
	v_add_u32_e64 v25, s0, 0
	ds_write2_b64 v25, v[11:12], v[11:12] offset0:163 offset1:226
.LBB138_464:
	s_or_b64 exec, exec, s[14:15]
	v_mov_b32_e32 v11, 0
	v_mov_b32_e32 v12, 0
	s_waitcnt lgkmcnt(0)
	s_barrier
	buffer_wbinvl1_vol
	s_and_saveexec_b64 s[16:17], s[2:3]
	s_cbranch_execz .LBB138_468
; %bb.465:
	v_lshlrev_b32_e32 v25, 9, v13
	v_lshlrev_b32_e32 v11, 3, v1
	ds_read_b64 v[11:12], v11 offset:17664
	ds_read_b64 v[25:26], v25 offset:17680
	v_cmp_gt_u32_e64 s[14:15], 2, v15
	s_waitcnt lgkmcnt(0)
	v_fma_f64 v[11:12], v[11:12], v[25:26], 0
	s_and_saveexec_b64 s[20:21], s[14:15]
	s_cbranch_execz .LBB138_467
; %bb.466:
	v_lshlrev_b32_e32 v25, 3, v0
	v_mov_b32_e32 v27, 0
	ds_read_b64 v[25:26], v25 offset:18176
	ds_read_b64 v[27:28], v27 offset:18200
	s_waitcnt lgkmcnt(0)
	v_fma_f64 v[11:12], v[25:26], v[27:28], v[11:12]
.LBB138_467:
	s_or_b64 exec, exec, s[20:21]
.LBB138_468:
	s_or_b64 exec, exec, s[16:17]
	s_and_saveexec_b64 s[14:15], s[40:41]
	s_cbranch_execz .LBB138_470
; %bb.469:
	v_mov_b32_e32 v25, 0
	ds_read_b64 v[25:26], v25 offset:17160
	s_waitcnt lgkmcnt(0)
	v_mul_f64 v[11:12], v[11:12], v[25:26]
	v_xor_b32_e32 v26, 0x80000000, v12
	v_mov_b32_e32 v25, v11
	ds_write_b64 v14, v[25:26]
.LBB138_470:
	s_or_b64 exec, exec, s[14:15]
	s_waitcnt lgkmcnt(0)
	s_barrier
	s_and_saveexec_b64 s[0:1], s[38:39]
	s_cbranch_execz .LBB138_472
; %bb.471:
	v_mov_b32_e32 v25, 0
	ds_read_b64 v[25:26], v25 offset:17152
	ds_read_b64 v[27:28], v14
	s_waitcnt lgkmcnt(0)
	v_fma_f64 v[11:12], -v[25:26], v[27:28], v[11:12]
.LBB138_472:
	s_or_b64 exec, exec, s[0:1]
	s_barrier
	s_and_saveexec_b64 s[14:15], s[38:39]
	s_cbranch_execz .LBB138_474
; %bb.473:
	v_mov_b32_e32 v25, 0
	ds_read_b64 v[25:26], v25 offset:16640
	s_waitcnt lgkmcnt(0)
	v_mul_f64 v[11:12], v[11:12], v[25:26]
	v_xor_b32_e32 v26, 0x80000000, v12
	v_mov_b32_e32 v25, v11
	ds_write_b64 v14, v[25:26]
.LBB138_474:
	s_or_b64 exec, exec, s[14:15]
	s_waitcnt lgkmcnt(0)
	s_barrier
	s_barrier
	s_and_saveexec_b64 s[0:1], s[2:3]
; %bb.475:
	v_lshlrev_b32_e32 v25, 3, v1
	v_lshl_or_b32 v25, v13, 9, v25
	ds_write_b64 v25, v[11:12] offset:17664
; %bb.476:
	s_or_b64 exec, exec, s[0:1]
	s_waitcnt lgkmcnt(0)
	s_barrier
	s_barrier
	s_and_saveexec_b64 s[14:15], s[42:43]
	s_cbranch_execz .LBB138_478
; %bb.477:
	v_lshlrev_b32_e32 v25, 3, v0
	s_movk_i32 s0, 0x1f8
	v_mad_u32_u24 v26, v0, s0, v25
	ds_read_b64 v[11:12], v26 offset:17664
	s_waitcnt lgkmcnt(0)
	ds_write_b64 v25, v[11:12] offset:16656
	ds_read_b64 v[11:12], v26 offset:17672
	s_waitcnt lgkmcnt(0)
	ds_write_b64 v25, v[11:12] offset:17168
.LBB138_478:
	s_or_b64 exec, exec, s[14:15]
	s_waitcnt lgkmcnt(0)
	s_barrier
	s_and_saveexec_b64 s[14:15], vcc
	s_cbranch_execz .LBB138_480
; %bb.479:
	v_mov_b32_e32 v11, 0
	ds_read_b128 v[25:28], v11 offset:17152
	ds_read_b64 v[11:12], v11 offset:16640
	s_movk_i32 s0, 0x4000
	s_waitcnt lgkmcnt(0)
	v_mul_f64 v[11:12], v[11:12], v[27:28]
	v_mul_f64 v[11:12], v[25:26], v[11:12]
	v_add_u32_e64 v25, s0, 0
	ds_write2_b64 v25, v[11:12], v[11:12] offset0:33 offset1:96
.LBB138_480:
	s_or_b64 exec, exec, s[14:15]
	s_movk_i32 s0, 0x3ff
	v_lshrrev_b32_e32 v27, 5, v15
	v_cmp_lt_u32_e64 s[16:17], s0, v15
	s_movk_i32 s0, 0x400
	v_mov_b32_e32 v11, 0
	v_and_b32_e32 v25, 31, v0
	v_sub_u32_e32 v26, 31, v27
	v_mov_b32_e32 v12, 0
	v_cmp_gt_u32_e64 s[14:15], s0, v15
	s_waitcnt lgkmcnt(0)
	s_barrier
	buffer_wbinvl1_vol
	s_and_saveexec_b64 s[92:93], s[14:15]
	s_cbranch_execz .LBB138_542
; %bb.481:
	v_lshlrev_b32_e32 v29, 3, v25
	v_lshlrev_b32_e32 v28, 9, v26
	ds_read_b64 v[11:12], v29 offset:16384
	ds_read_b64 v[30:31], v28 offset:16640
	s_movk_i32 s0, 0x3e0
	v_cmp_gt_u32_e64 s[20:21], s0, v15
	s_waitcnt lgkmcnt(0)
	v_fma_f64 v[11:12], v[11:12], v[30:31], 0
	s_and_saveexec_b64 s[0:1], s[20:21]
	s_cbranch_execz .LBB138_483
; %bb.482:
	ds_read_b64 v[30:31], v29 offset:16896
	ds_read_b64 v[32:33], v28 offset:16648
	s_waitcnt lgkmcnt(0)
	v_fma_f64 v[11:12], v[30:31], v[32:33], v[11:12]
.LBB138_483:
	s_or_b64 exec, exec, s[0:1]
	s_movk_i32 s0, 0x3c0
	v_cmp_gt_u32_e64 s[20:21], s0, v15
	s_and_saveexec_b64 s[0:1], s[20:21]
	s_cbranch_execz .LBB138_485
; %bb.484:
	ds_read_b64 v[30:31], v29 offset:17408
	ds_read_b64 v[32:33], v28 offset:16656
	s_waitcnt lgkmcnt(0)
	v_fma_f64 v[11:12], v[30:31], v[32:33], v[11:12]
.LBB138_485:
	s_or_b64 exec, exec, s[0:1]
	s_movk_i32 s0, 0x3a0
	v_cmp_gt_u32_e64 s[20:21], s0, v15
	;; [unrolled: 11-line block ×22, first 2 shown]
	s_and_saveexec_b64 s[0:1], s[20:21]
	s_cbranch_execz .LBB138_527
; %bb.526:
	ds_read_b64 v[30:31], v29 offset:28160
	ds_read_b64 v[32:33], v28 offset:16824
	s_waitcnt lgkmcnt(0)
	v_fma_f64 v[11:12], v[30:31], v[32:33], v[11:12]
.LBB138_527:
	s_or_b64 exec, exec, s[0:1]
	s_and_saveexec_b64 s[0:1], s[10:11]
	s_cbranch_execz .LBB138_529
; %bb.528:
	ds_read_b64 v[30:31], v29 offset:28672
	ds_read_b64 v[32:33], v28 offset:16832
	s_waitcnt lgkmcnt(0)
	v_fma_f64 v[11:12], v[30:31], v[32:33], v[11:12]
.LBB138_529:
	s_or_b64 exec, exec, s[0:1]
	s_movk_i32 s0, 0xe0
	v_cmp_gt_u32_e64 s[20:21], s0, v15
	s_and_saveexec_b64 s[0:1], s[20:21]
	s_cbranch_execz .LBB138_531
; %bb.530:
	ds_read_b64 v[30:31], v29 offset:29184
	ds_read_b64 v[32:33], v28 offset:16840
	s_waitcnt lgkmcnt(0)
	v_fma_f64 v[11:12], v[30:31], v[32:33], v[11:12]
.LBB138_531:
	s_or_b64 exec, exec, s[0:1]
	s_movk_i32 s0, 0xc0
	v_cmp_gt_u32_e64 s[20:21], s0, v15
	;; [unrolled: 11-line block ×5, first 2 shown]
	s_and_saveexec_b64 s[0:1], s[20:21]
	s_cbranch_execnz .LBB138_1122
; %bb.538:
	s_or_b64 exec, exec, s[0:1]
	s_and_saveexec_b64 s[0:1], s[8:9]
	s_cbranch_execnz .LBB138_1123
.LBB138_539:
	s_or_b64 exec, exec, s[0:1]
	v_cmp_gt_u32_e64 s[20:21], 32, v15
	s_and_saveexec_b64 s[0:1], s[20:21]
	s_cbranch_execz .LBB138_541
.LBB138_540:
	v_lshlrev_b32_e32 v28, 3, v0
	v_mov_b32_e32 v30, 0
	ds_read_b64 v[28:29], v28 offset:32256
	ds_read_b64 v[30:31], v30 offset:32760
	s_waitcnt lgkmcnt(0)
	v_fma_f64 v[11:12], v[28:29], v[30:31], v[11:12]
.LBB138_541:
	s_or_b64 exec, exec, s[0:1]
.LBB138_542:
	s_or_b64 exec, exec, s[92:93]
	v_mov_b32_e32 v28, 0x8000
	s_movk_i32 s0, 0x208
	v_lshlrev_b32_e32 v29, 9, v25
	v_mov_b32_e32 v30, 0x3800
	v_lshl_add_u32 v27, v27, 3, v28
	v_mul_u32_u24_e32 v28, 0x208, v25
	v_sub_u32_e32 v29, 0, v29
	v_mad_u32_u24 v30, v25, s0, v30
	s_mov_b32 s92, 31
	s_xor_b64 s[20:21], s[16:17], -1
	s_branch .LBB138_544
.LBB138_543:                            ;   in Loop: Header=BB138_544 Depth=1
	s_or_b64 exec, exec, s[0:1]
	s_add_i32 s92, s92, -4
	s_cmp_eq_u32 s93, 0
	v_add_u32_e32 v29, 0xfffff800, v29
	s_barrier
	s_cbranch_scc1 .LBB138_560
.LBB138_544:                            ; =>This Inner Loop Header: Depth=1
	s_movk_i32 s0, 0xc200
	v_cmp_eq_u32_e64 s[16:17], s0, v29
	s_and_b64 s[16:17], s[20:21], s[16:17]
	s_and_saveexec_b64 s[0:1], s[16:17]
	s_cbranch_execz .LBB138_546
; %bb.545:                              ;   in Loop: Header=BB138_544 Depth=1
	ds_read_b64 v[31:32], v28
	s_waitcnt lgkmcnt(0)
	v_mul_f64 v[11:12], v[11:12], v[31:32]
	v_xor_b32_e32 v32, 0x80000000, v12
	v_mov_b32_e32 v31, v11
	ds_write_b64 v27, v[31:32]
.LBB138_546:                            ;   in Loop: Header=BB138_544 Depth=1
	s_or_b64 exec, exec, s[0:1]
	v_cmp_gt_u32_e64 s[16:17], s92, v25
	s_and_b64 s[16:17], s[20:21], s[16:17]
	v_add_u32_e32 v31, v30, v29
	s_waitcnt lgkmcnt(0)
	s_barrier
	s_and_saveexec_b64 s[0:1], s[16:17]
	s_cbranch_execz .LBB138_548
; %bb.547:                              ;   in Loop: Header=BB138_544 Depth=1
	ds_read_b64 v[32:33], v31 offset:1536
	ds_read_b64 v[34:35], v27
	s_waitcnt lgkmcnt(0)
	v_fma_f64 v[11:12], -v[32:33], v[34:35], v[11:12]
.LBB138_548:                            ;   in Loop: Header=BB138_544 Depth=1
	s_or_b64 exec, exec, s[0:1]
	s_add_i32 s93, s92, -1
	v_cmp_eq_u32_e64 s[16:17], s93, v25
	s_and_b64 s[16:17], s[20:21], s[16:17]
	s_barrier
	s_and_saveexec_b64 s[0:1], s[16:17]
	s_cbranch_execz .LBB138_550
; %bb.549:                              ;   in Loop: Header=BB138_544 Depth=1
	ds_read_b64 v[32:33], v28
	s_waitcnt lgkmcnt(0)
	v_mul_f64 v[11:12], v[11:12], v[32:33]
	v_xor_b32_e32 v33, 0x80000000, v12
	v_mov_b32_e32 v32, v11
	ds_write_b64 v27, v[32:33]
.LBB138_550:                            ;   in Loop: Header=BB138_544 Depth=1
	s_or_b64 exec, exec, s[0:1]
	v_cmp_gt_u32_e64 s[16:17], s93, v25
	s_and_b64 s[16:17], s[20:21], s[16:17]
	s_waitcnt lgkmcnt(0)
	s_barrier
	s_and_saveexec_b64 s[0:1], s[16:17]
	s_cbranch_execz .LBB138_552
; %bb.551:                              ;   in Loop: Header=BB138_544 Depth=1
	ds_read_b64 v[32:33], v31 offset:1024
	ds_read_b64 v[34:35], v27
	s_waitcnt lgkmcnt(0)
	v_fma_f64 v[11:12], -v[32:33], v[34:35], v[11:12]
.LBB138_552:                            ;   in Loop: Header=BB138_544 Depth=1
	s_or_b64 exec, exec, s[0:1]
	s_add_i32 s93, s92, -2
	v_cmp_eq_u32_e64 s[16:17], s93, v25
	s_and_b64 s[16:17], s[20:21], s[16:17]
	s_barrier
	s_and_saveexec_b64 s[0:1], s[16:17]
	s_cbranch_execz .LBB138_554
; %bb.553:                              ;   in Loop: Header=BB138_544 Depth=1
	ds_read_b64 v[32:33], v28
	s_waitcnt lgkmcnt(0)
	v_mul_f64 v[11:12], v[11:12], v[32:33]
	v_xor_b32_e32 v33, 0x80000000, v12
	v_mov_b32_e32 v32, v11
	ds_write_b64 v27, v[32:33]
.LBB138_554:                            ;   in Loop: Header=BB138_544 Depth=1
	s_or_b64 exec, exec, s[0:1]
	v_cmp_gt_u32_e64 s[16:17], s93, v25
	s_and_b64 s[16:17], s[20:21], s[16:17]
	s_waitcnt lgkmcnt(0)
	s_barrier
	s_and_saveexec_b64 s[0:1], s[16:17]
	s_cbranch_execz .LBB138_556
; %bb.555:                              ;   in Loop: Header=BB138_544 Depth=1
	ds_read_b64 v[32:33], v31 offset:512
	ds_read_b64 v[34:35], v27
	s_waitcnt lgkmcnt(0)
	v_fma_f64 v[11:12], -v[32:33], v[34:35], v[11:12]
.LBB138_556:                            ;   in Loop: Header=BB138_544 Depth=1
	s_or_b64 exec, exec, s[0:1]
	s_add_i32 s93, s92, -3
	v_cmp_eq_u32_e64 s[16:17], s93, v25
	s_and_b64 s[16:17], s[20:21], s[16:17]
	s_barrier
	s_and_saveexec_b64 s[0:1], s[16:17]
	s_cbranch_execz .LBB138_558
; %bb.557:                              ;   in Loop: Header=BB138_544 Depth=1
	ds_read_b64 v[32:33], v28
	s_waitcnt lgkmcnt(0)
	v_mul_f64 v[11:12], v[11:12], v[32:33]
	v_xor_b32_e32 v33, 0x80000000, v12
	v_mov_b32_e32 v32, v11
	ds_write_b64 v27, v[32:33]
.LBB138_558:                            ;   in Loop: Header=BB138_544 Depth=1
	s_or_b64 exec, exec, s[0:1]
	v_cmp_gt_u32_e64 s[16:17], s93, v25
	s_and_b64 s[16:17], s[20:21], s[16:17]
	s_waitcnt lgkmcnt(0)
	s_barrier
	s_and_saveexec_b64 s[0:1], s[16:17]
	s_cbranch_execz .LBB138_543
; %bb.559:                              ;   in Loop: Header=BB138_544 Depth=1
	ds_read_b64 v[31:32], v31
	ds_read_b64 v[33:34], v27
	s_waitcnt lgkmcnt(0)
	v_fma_f64 v[11:12], -v[31:32], v[33:34], v[11:12]
	s_branch .LBB138_543
.LBB138_560:
	s_and_saveexec_b64 s[0:1], s[14:15]
; %bb.561:
	v_lshlrev_b32_e32 v25, 3, v25
	v_lshl_or_b32 v25, v26, 9, v25
	ds_write_b64 v25, v[11:12] offset:16384
; %bb.562:
	s_or_b64 exec, exec, s[0:1]
	v_cmp_gt_u32_e64 s[14:15], 32, v0
	s_and_b64 s[0:1], s[12:13], s[14:15]
	s_waitcnt lgkmcnt(0)
	s_barrier
	s_barrier
	s_and_saveexec_b64 s[12:13], s[0:1]
	s_cbranch_execz .LBB138_564
; %bb.563:
	v_lshlrev_b32_e32 v25, 9, v0
	ds_read_b64 v[11:12], v25 offset:16384
	s_movk_i32 s0, 0xfe08
	v_mad_i32_i24 v26, v0, s0, v25
	s_waitcnt lgkmcnt(0)
	ds_write_b64 v26, v[11:12] offset:256
	ds_read_b64 v[11:12], v25 offset:16392
	s_waitcnt lgkmcnt(0)
	ds_write_b64 v26, v[11:12] offset:768
	ds_read_b64 v[11:12], v25 offset:16400
	;; [unrolled: 3-line block ×31, first 2 shown]
	s_waitcnt lgkmcnt(0)
	ds_write_b64 v26, v[11:12] offset:16128
.LBB138_564:
	s_or_b64 exec, exec, s[12:13]
	s_waitcnt lgkmcnt(0)
	s_barrier
	s_and_saveexec_b64 s[12:13], vcc
	s_cbranch_execz .LBB138_566
; %bb.565:
	v_mov_b32_e32 v11, 0
	ds_read_b128 v[25:28], v11 offset:16112
	ds_read_b64 v[11:12], v11 offset:15600
	s_movk_i32 s0, 0x3800
	s_waitcnt lgkmcnt(0)
	v_mul_f64 v[11:12], v[11:12], v[27:28]
	v_mul_f64 v[11:12], v[25:26], v[11:12]
	v_add_u32_e64 v25, s0, 0
	ds_write2_b64 v25, v[11:12], v[11:12] offset0:159 offset1:222
.LBB138_566:
	s_or_b64 exec, exec, s[12:13]
	v_mov_b32_e32 v11, 0
	v_mov_b32_e32 v12, 0
	s_waitcnt lgkmcnt(0)
	s_barrier
	buffer_wbinvl1_vol
	s_and_saveexec_b64 s[14:15], s[2:3]
	s_cbranch_execz .LBB138_570
; %bb.567:
	v_lshlrev_b32_e32 v25, 9, v13
	v_lshlrev_b32_e32 v11, 3, v1
	ds_read_b64 v[11:12], v11 offset:15584
	ds_read_b64 v[25:26], v25 offset:15600
	v_cmp_gt_u32_e64 s[12:13], 2, v15
	s_waitcnt lgkmcnt(0)
	v_fma_f64 v[11:12], v[11:12], v[25:26], 0
	s_and_saveexec_b64 s[0:1], s[12:13]
	s_cbranch_execz .LBB138_569
; %bb.568:
	v_lshlrev_b32_e32 v25, 3, v0
	v_mov_b32_e32 v27, 0
	ds_read_b64 v[25:26], v25 offset:16096
	ds_read_b64 v[27:28], v27 offset:16120
	s_waitcnt lgkmcnt(0)
	v_fma_f64 v[11:12], v[25:26], v[27:28], v[11:12]
.LBB138_569:
	s_or_b64 exec, exec, s[0:1]
.LBB138_570:
	s_or_b64 exec, exec, s[14:15]
	s_and_saveexec_b64 s[12:13], s[40:41]
	s_cbranch_execz .LBB138_572
; %bb.571:
	v_mov_b32_e32 v25, 0
	ds_read_b64 v[25:26], v25 offset:15080
	s_waitcnt lgkmcnt(0)
	v_mul_f64 v[11:12], v[11:12], v[25:26]
	v_xor_b32_e32 v26, 0x80000000, v12
	v_mov_b32_e32 v25, v11
	ds_write_b64 v14, v[25:26]
.LBB138_572:
	s_or_b64 exec, exec, s[12:13]
	s_waitcnt lgkmcnt(0)
	s_barrier
	s_and_saveexec_b64 s[0:1], s[38:39]
	s_cbranch_execz .LBB138_574
; %bb.573:
	v_mov_b32_e32 v25, 0
	ds_read_b64 v[25:26], v25 offset:15072
	ds_read_b64 v[27:28], v14
	s_waitcnt lgkmcnt(0)
	v_fma_f64 v[11:12], -v[25:26], v[27:28], v[11:12]
.LBB138_574:
	s_or_b64 exec, exec, s[0:1]
	s_barrier
	s_and_saveexec_b64 s[12:13], s[38:39]
	s_cbranch_execz .LBB138_576
; %bb.575:
	v_mov_b32_e32 v25, 0
	ds_read_b64 v[25:26], v25 offset:14560
	s_waitcnt lgkmcnt(0)
	v_mul_f64 v[11:12], v[11:12], v[25:26]
	v_xor_b32_e32 v26, 0x80000000, v12
	v_mov_b32_e32 v25, v11
	ds_write_b64 v14, v[25:26]
.LBB138_576:
	s_or_b64 exec, exec, s[12:13]
	s_waitcnt lgkmcnt(0)
	s_barrier
	s_barrier
	s_and_saveexec_b64 s[0:1], s[2:3]
; %bb.577:
	v_lshlrev_b32_e32 v25, 3, v1
	v_lshl_or_b32 v25, v13, 9, v25
	ds_write_b64 v25, v[11:12] offset:15584
; %bb.578:
	s_or_b64 exec, exec, s[0:1]
	s_waitcnt lgkmcnt(0)
	s_barrier
	s_barrier
	s_and_saveexec_b64 s[0:1], s[42:43]
	s_cbranch_execz .LBB138_580
; %bb.579:
	v_lshlrev_b32_e32 v25, 3, v0
	s_movk_i32 s12, 0x1f8
	v_mad_u32_u24 v26, v0, s12, v25
	ds_read_b64 v[11:12], v26 offset:15584
	s_waitcnt lgkmcnt(0)
	ds_write_b64 v25, v[11:12] offset:14576
	ds_read_b64 v[11:12], v26 offset:15592
	s_waitcnt lgkmcnt(0)
	ds_write_b64 v25, v[11:12] offset:15088
.LBB138_580:
	s_or_b64 exec, exec, s[0:1]
	s_waitcnt lgkmcnt(0)
	s_barrier
	s_and_saveexec_b64 s[12:13], vcc
	s_cbranch_execz .LBB138_582
; %bb.581:
	v_mov_b32_e32 v11, 0
	ds_read_b128 v[25:28], v11 offset:15072
	ds_read_b64 v[11:12], v11 offset:14560
	s_movk_i32 s0, 0x3800
	s_waitcnt lgkmcnt(0)
	v_mul_f64 v[11:12], v[11:12], v[27:28]
	v_mul_f64 v[11:12], v[25:26], v[11:12]
	v_add_u32_e64 v25, s0, 0
	ds_write2_b64 v25, v[11:12], v[11:12] offset0:29 offset1:92
.LBB138_582:
	s_or_b64 exec, exec, s[12:13]
	v_mov_b32_e32 v11, 0
	v_mov_b32_e32 v12, 0
	s_waitcnt lgkmcnt(0)
	s_barrier
	buffer_wbinvl1_vol
	s_and_saveexec_b64 s[14:15], s[18:19]
	s_cbranch_execz .LBB138_588
; %bb.583:
	v_lshlrev_b32_e32 v26, 3, v16
	v_lshlrev_b32_e32 v25, 9, v17
	ds_read_b64 v[11:12], v26 offset:14528
	ds_read_b64 v[27:28], v25 offset:14560
	v_cmp_gt_u32_e64 s[12:13], 12, v15
	s_waitcnt lgkmcnt(0)
	v_fma_f64 v[11:12], v[11:12], v[27:28], 0
	s_and_saveexec_b64 s[0:1], s[12:13]
	s_cbranch_execnz .LBB138_1124
; %bb.584:
	s_or_b64 exec, exec, s[0:1]
	v_cmp_gt_u32_e64 s[12:13], 8, v15
	s_and_saveexec_b64 s[0:1], s[12:13]
	s_cbranch_execnz .LBB138_1125
.LBB138_585:
	s_or_b64 exec, exec, s[0:1]
	v_cmp_gt_u32_e64 s[12:13], 4, v15
	s_and_saveexec_b64 s[0:1], s[12:13]
	s_cbranch_execz .LBB138_587
.LBB138_586:
	v_lshlrev_b32_e32 v25, 3, v0
	v_mov_b32_e32 v27, 0
	ds_read_b64 v[25:26], v25 offset:16064
	ds_read_b64 v[27:28], v27 offset:16120
	s_waitcnt lgkmcnt(0)
	v_fma_f64 v[11:12], v[25:26], v[27:28], v[11:12]
.LBB138_587:
	s_or_b64 exec, exec, s[0:1]
.LBB138_588:
	s_or_b64 exec, exec, s[14:15]
	s_and_saveexec_b64 s[12:13], s[46:47]
	s_cbranch_execz .LBB138_590
; %bb.589:
	v_mov_b32_e32 v25, 0
	ds_read_b64 v[25:26], v25 offset:14040
	s_waitcnt lgkmcnt(0)
	v_mul_f64 v[11:12], v[11:12], v[25:26]
	v_xor_b32_e32 v26, 0x80000000, v12
	v_mov_b32_e32 v25, v11
	ds_write_b64 v18, v[25:26]
.LBB138_590:
	s_or_b64 exec, exec, s[12:13]
	s_waitcnt lgkmcnt(0)
	s_barrier
	s_and_saveexec_b64 s[0:1], s[48:49]
	s_cbranch_execz .LBB138_592
; %bb.591:
	v_lshlrev_b32_e32 v25, 3, v16
	ds_read_b64 v[25:26], v25 offset:14016
	ds_read_b64 v[27:28], v18
	s_waitcnt lgkmcnt(0)
	v_fma_f64 v[11:12], -v[25:26], v[27:28], v[11:12]
.LBB138_592:
	s_or_b64 exec, exec, s[0:1]
	s_barrier
	s_and_saveexec_b64 s[12:13], s[50:51]
	s_cbranch_execz .LBB138_594
; %bb.593:
	v_mov_b32_e32 v25, 0
	ds_read_b64 v[25:26], v25 offset:13520
	s_waitcnt lgkmcnt(0)
	v_mul_f64 v[11:12], v[11:12], v[25:26]
	v_xor_b32_e32 v26, 0x80000000, v12
	v_mov_b32_e32 v25, v11
	ds_write_b64 v18, v[25:26]
.LBB138_594:
	s_or_b64 exec, exec, s[12:13]
	s_waitcnt lgkmcnt(0)
	s_barrier
	s_and_saveexec_b64 s[0:1], s[52:53]
	s_cbranch_execz .LBB138_596
; %bb.595:
	v_lshlrev_b32_e32 v25, 3, v16
	ds_read_b64 v[25:26], v25 offset:13504
	ds_read_b64 v[27:28], v18
	s_waitcnt lgkmcnt(0)
	v_fma_f64 v[11:12], -v[25:26], v[27:28], v[11:12]
.LBB138_596:
	s_or_b64 exec, exec, s[0:1]
	s_barrier
	s_and_saveexec_b64 s[12:13], s[54:55]
	s_cbranch_execz .LBB138_598
; %bb.597:
	v_mov_b32_e32 v25, 0
	ds_read_b64 v[25:26], v25 offset:13000
	s_waitcnt lgkmcnt(0)
	v_mul_f64 v[11:12], v[11:12], v[25:26]
	v_xor_b32_e32 v26, 0x80000000, v12
	v_mov_b32_e32 v25, v11
	ds_write_b64 v18, v[25:26]
.LBB138_598:
	s_or_b64 exec, exec, s[12:13]
	s_waitcnt lgkmcnt(0)
	s_barrier
	s_and_saveexec_b64 s[0:1], s[44:45]
	s_cbranch_execz .LBB138_600
; %bb.599:
	v_mov_b32_e32 v25, 0
	ds_read_b64 v[25:26], v25 offset:12992
	ds_read_b64 v[27:28], v18
	s_waitcnt lgkmcnt(0)
	v_fma_f64 v[11:12], -v[25:26], v[27:28], v[11:12]
.LBB138_600:
	s_or_b64 exec, exec, s[0:1]
	s_barrier
	s_and_saveexec_b64 s[12:13], s[44:45]
	s_cbranch_execz .LBB138_602
; %bb.601:
	v_mov_b32_e32 v25, 0
	ds_read_b64 v[25:26], v25 offset:12480
	s_waitcnt lgkmcnt(0)
	v_mul_f64 v[11:12], v[11:12], v[25:26]
	v_xor_b32_e32 v26, 0x80000000, v12
	v_mov_b32_e32 v25, v11
	ds_write_b64 v18, v[25:26]
.LBB138_602:
	s_or_b64 exec, exec, s[12:13]
	s_waitcnt lgkmcnt(0)
	s_barrier
	s_barrier
	s_and_saveexec_b64 s[0:1], s[18:19]
; %bb.603:
	v_lshlrev_b32_e32 v25, 3, v16
	v_lshl_or_b32 v25, v17, 9, v25
	ds_write_b64 v25, v[11:12] offset:14528
; %bb.604:
	s_or_b64 exec, exec, s[0:1]
	s_waitcnt lgkmcnt(0)
	s_barrier
	s_barrier
	s_and_saveexec_b64 s[12:13], s[56:57]
	s_cbranch_execz .LBB138_606
; %bb.605:
	v_lshlrev_b32_e32 v25, 9, v0
	ds_read_b64 v[11:12], v25 offset:14528
	s_movk_i32 s0, 0xfe08
	v_mad_i32_i24 v26, v0, s0, v25
	s_waitcnt lgkmcnt(0)
	ds_write_b64 v26, v[11:12] offset:12512
	ds_read_b64 v[11:12], v25 offset:14536
	s_waitcnt lgkmcnt(0)
	ds_write_b64 v26, v[11:12] offset:13024
	ds_read_b64 v[11:12], v25 offset:14544
	;; [unrolled: 3-line block ×3, first 2 shown]
	s_waitcnt lgkmcnt(0)
	ds_write_b64 v26, v[11:12] offset:14048
.LBB138_606:
	s_or_b64 exec, exec, s[12:13]
	s_waitcnt lgkmcnt(0)
	s_barrier
	s_and_saveexec_b64 s[12:13], vcc
	s_cbranch_execz .LBB138_608
; %bb.607:
	v_mov_b32_e32 v11, 0
	ds_read_b128 v[25:28], v11 offset:14032
	ds_read_b64 v[11:12], v11 offset:13520
	s_movk_i32 s0, 0x3000
	s_waitcnt lgkmcnt(0)
	v_mul_f64 v[11:12], v[11:12], v[27:28]
	v_mul_f64 v[11:12], v[25:26], v[11:12]
	v_add_u32_e64 v25, s0, 0
	ds_write2_b64 v25, v[11:12], v[11:12] offset0:155 offset1:218
.LBB138_608:
	s_or_b64 exec, exec, s[12:13]
	v_mov_b32_e32 v11, 0
	v_mov_b32_e32 v12, 0
	s_waitcnt lgkmcnt(0)
	s_barrier
	buffer_wbinvl1_vol
	s_and_saveexec_b64 s[14:15], s[2:3]
	s_cbranch_execz .LBB138_612
; %bb.609:
	v_lshlrev_b32_e32 v25, 9, v13
	v_lshlrev_b32_e32 v11, 3, v1
	ds_read_b64 v[11:12], v11 offset:13504
	ds_read_b64 v[25:26], v25 offset:13520
	v_cmp_gt_u32_e64 s[12:13], 2, v15
	s_waitcnt lgkmcnt(0)
	v_fma_f64 v[11:12], v[11:12], v[25:26], 0
	s_and_saveexec_b64 s[0:1], s[12:13]
	s_cbranch_execz .LBB138_611
; %bb.610:
	v_lshlrev_b32_e32 v25, 3, v0
	v_mov_b32_e32 v27, 0
	ds_read_b64 v[25:26], v25 offset:14016
	ds_read_b64 v[27:28], v27 offset:14040
	s_waitcnt lgkmcnt(0)
	v_fma_f64 v[11:12], v[25:26], v[27:28], v[11:12]
.LBB138_611:
	s_or_b64 exec, exec, s[0:1]
.LBB138_612:
	s_or_b64 exec, exec, s[14:15]
	s_and_saveexec_b64 s[12:13], s[40:41]
	s_cbranch_execz .LBB138_614
; %bb.613:
	v_mov_b32_e32 v25, 0
	ds_read_b64 v[25:26], v25 offset:13000
	s_waitcnt lgkmcnt(0)
	v_mul_f64 v[11:12], v[11:12], v[25:26]
	v_xor_b32_e32 v26, 0x80000000, v12
	v_mov_b32_e32 v25, v11
	ds_write_b64 v14, v[25:26]
.LBB138_614:
	s_or_b64 exec, exec, s[12:13]
	s_waitcnt lgkmcnt(0)
	s_barrier
	s_and_saveexec_b64 s[0:1], s[38:39]
	s_cbranch_execz .LBB138_616
; %bb.615:
	v_mov_b32_e32 v25, 0
	ds_read_b64 v[25:26], v25 offset:12992
	ds_read_b64 v[27:28], v14
	s_waitcnt lgkmcnt(0)
	v_fma_f64 v[11:12], -v[25:26], v[27:28], v[11:12]
.LBB138_616:
	s_or_b64 exec, exec, s[0:1]
	s_barrier
	s_and_saveexec_b64 s[12:13], s[38:39]
	s_cbranch_execz .LBB138_618
; %bb.617:
	v_mov_b32_e32 v25, 0
	ds_read_b64 v[25:26], v25 offset:12480
	s_waitcnt lgkmcnt(0)
	v_mul_f64 v[11:12], v[11:12], v[25:26]
	v_xor_b32_e32 v26, 0x80000000, v12
	v_mov_b32_e32 v25, v11
	ds_write_b64 v14, v[25:26]
.LBB138_618:
	s_or_b64 exec, exec, s[12:13]
	s_waitcnt lgkmcnt(0)
	s_barrier
	s_barrier
	s_and_saveexec_b64 s[0:1], s[2:3]
; %bb.619:
	v_lshlrev_b32_e32 v25, 3, v1
	v_lshl_or_b32 v25, v13, 9, v25
	ds_write_b64 v25, v[11:12] offset:13504
; %bb.620:
	s_or_b64 exec, exec, s[0:1]
	s_waitcnt lgkmcnt(0)
	s_barrier
	s_barrier
	s_and_saveexec_b64 s[0:1], s[42:43]
	s_cbranch_execz .LBB138_622
; %bb.621:
	v_lshlrev_b32_e32 v25, 3, v0
	s_movk_i32 s12, 0x1f8
	v_mad_u32_u24 v26, v0, s12, v25
	ds_read_b64 v[11:12], v26 offset:13504
	s_waitcnt lgkmcnt(0)
	ds_write_b64 v25, v[11:12] offset:12496
	ds_read_b64 v[11:12], v26 offset:13512
	s_waitcnt lgkmcnt(0)
	ds_write_b64 v25, v[11:12] offset:13008
.LBB138_622:
	s_or_b64 exec, exec, s[0:1]
	s_waitcnt lgkmcnt(0)
	s_barrier
	s_and_saveexec_b64 s[12:13], vcc
	s_cbranch_execz .LBB138_624
; %bb.623:
	v_mov_b32_e32 v11, 0
	ds_read_b128 v[25:28], v11 offset:12992
	ds_read_b64 v[11:12], v11 offset:12480
	s_movk_i32 s0, 0x3000
	s_waitcnt lgkmcnt(0)
	v_mul_f64 v[11:12], v[11:12], v[27:28]
	v_mul_f64 v[11:12], v[25:26], v[11:12]
	v_add_u32_e64 v25, s0, 0
	ds_write2_b64 v25, v[11:12], v[11:12] offset0:25 offset1:88
.LBB138_624:
	s_or_b64 exec, exec, s[12:13]
	v_mov_b32_e32 v11, 0
	v_mov_b32_e32 v12, 0
	s_waitcnt lgkmcnt(0)
	s_barrier
	buffer_wbinvl1_vol
	s_and_saveexec_b64 s[14:15], s[8:9]
	s_cbranch_execz .LBB138_634
; %bb.625:
	v_lshlrev_b32_e32 v26, 3, v19
	v_lshlrev_b32_e32 v25, 9, v20
	ds_read_b64 v[11:12], v26 offset:12416
	ds_read_b64 v[27:28], v25 offset:12480
	v_cmp_gt_u32_e64 s[12:13], 56, v15
	s_waitcnt lgkmcnt(0)
	v_fma_f64 v[11:12], v[11:12], v[27:28], 0
	s_and_saveexec_b64 s[0:1], s[12:13]
	s_cbranch_execnz .LBB138_1126
; %bb.626:
	s_or_b64 exec, exec, s[0:1]
	v_cmp_gt_u32_e64 s[12:13], 48, v15
	s_and_saveexec_b64 s[0:1], s[12:13]
	s_cbranch_execnz .LBB138_1127
.LBB138_627:
	s_or_b64 exec, exec, s[0:1]
	v_cmp_gt_u32_e64 s[12:13], 40, v15
	s_and_saveexec_b64 s[0:1], s[12:13]
	s_cbranch_execnz .LBB138_1128
.LBB138_628:
	s_or_b64 exec, exec, s[0:1]
	v_cmp_gt_u32_e64 s[12:13], 32, v15
	s_and_saveexec_b64 s[0:1], s[12:13]
	s_cbranch_execnz .LBB138_1129
.LBB138_629:
	s_or_b64 exec, exec, s[0:1]
	v_cmp_gt_u32_e64 s[12:13], 24, v15
	s_and_saveexec_b64 s[0:1], s[12:13]
	s_cbranch_execnz .LBB138_1130
.LBB138_630:
	s_or_b64 exec, exec, s[0:1]
	s_and_saveexec_b64 s[0:1], s[18:19]
	s_cbranch_execnz .LBB138_1131
.LBB138_631:
	s_or_b64 exec, exec, s[0:1]
	v_cmp_gt_u32_e64 s[12:13], 8, v15
	s_and_saveexec_b64 s[0:1], s[12:13]
	s_cbranch_execz .LBB138_633
.LBB138_632:
	v_lshlrev_b32_e32 v25, 3, v0
	v_mov_b32_e32 v27, 0
	ds_read_b64 v[25:26], v25 offset:16000
	ds_read_b64 v[27:28], v27 offset:16120
	s_waitcnt lgkmcnt(0)
	v_fma_f64 v[11:12], v[25:26], v[27:28], v[11:12]
.LBB138_633:
	s_or_b64 exec, exec, s[0:1]
.LBB138_634:
	s_or_b64 exec, exec, s[14:15]
	s_and_saveexec_b64 s[12:13], s[58:59]
	s_cbranch_execz .LBB138_636
; %bb.635:
	v_mov_b32_e32 v25, 0
	ds_read_b64 v[25:26], v25 offset:11960
	s_waitcnt lgkmcnt(0)
	v_mul_f64 v[11:12], v[11:12], v[25:26]
	v_xor_b32_e32 v26, 0x80000000, v12
	v_mov_b32_e32 v25, v11
	ds_write_b64 v21, v[25:26]
.LBB138_636:
	s_or_b64 exec, exec, s[12:13]
	s_waitcnt lgkmcnt(0)
	s_barrier
	s_and_saveexec_b64 s[0:1], s[60:61]
	s_cbranch_execz .LBB138_638
; %bb.637:
	v_lshlrev_b32_e32 v25, 3, v19
	ds_read_b64 v[25:26], v25 offset:11904
	ds_read_b64 v[27:28], v21
	s_waitcnt lgkmcnt(0)
	v_fma_f64 v[11:12], -v[25:26], v[27:28], v[11:12]
.LBB138_638:
	s_or_b64 exec, exec, s[0:1]
	s_barrier
	s_and_saveexec_b64 s[12:13], s[62:63]
	s_cbranch_execz .LBB138_640
; %bb.639:
	v_mov_b32_e32 v25, 0
	ds_read_b64 v[25:26], v25 offset:11440
	s_waitcnt lgkmcnt(0)
	v_mul_f64 v[11:12], v[11:12], v[25:26]
	v_xor_b32_e32 v26, 0x80000000, v12
	v_mov_b32_e32 v25, v11
	ds_write_b64 v21, v[25:26]
.LBB138_640:
	s_or_b64 exec, exec, s[12:13]
	s_waitcnt lgkmcnt(0)
	s_barrier
	s_and_saveexec_b64 s[0:1], s[64:65]
	s_cbranch_execz .LBB138_642
; %bb.641:
	v_lshlrev_b32_e32 v25, 3, v19
	ds_read_b64 v[25:26], v25 offset:11392
	ds_read_b64 v[27:28], v21
	s_waitcnt lgkmcnt(0)
	v_fma_f64 v[11:12], -v[25:26], v[27:28], v[11:12]
.LBB138_642:
	s_or_b64 exec, exec, s[0:1]
	s_barrier
	;; [unrolled: 25-line block ×6, first 2 shown]
	s_and_saveexec_b64 s[12:13], s[84:85]
	s_cbranch_execz .LBB138_660
; %bb.659:
	v_mov_b32_e32 v25, 0
	ds_read_b64 v[25:26], v25 offset:8840
	s_waitcnt lgkmcnt(0)
	v_mul_f64 v[11:12], v[11:12], v[25:26]
	v_xor_b32_e32 v26, 0x80000000, v12
	v_mov_b32_e32 v25, v11
	ds_write_b64 v21, v[25:26]
.LBB138_660:
	s_or_b64 exec, exec, s[12:13]
	s_waitcnt lgkmcnt(0)
	s_barrier
	s_and_saveexec_b64 s[0:1], s[68:69]
	s_cbranch_execz .LBB138_662
; %bb.661:
	v_mov_b32_e32 v25, 0
	ds_read_b64 v[25:26], v25 offset:8832
	ds_read_b64 v[27:28], v21
	s_waitcnt lgkmcnt(0)
	v_fma_f64 v[11:12], -v[25:26], v[27:28], v[11:12]
.LBB138_662:
	s_or_b64 exec, exec, s[0:1]
	s_barrier
	s_and_saveexec_b64 s[12:13], s[68:69]
	s_cbranch_execz .LBB138_664
; %bb.663:
	v_mov_b32_e32 v25, 0
	ds_read_b64 v[25:26], v25 offset:8320
	s_waitcnt lgkmcnt(0)
	v_mul_f64 v[11:12], v[11:12], v[25:26]
	v_xor_b32_e32 v26, 0x80000000, v12
	v_mov_b32_e32 v25, v11
	ds_write_b64 v21, v[25:26]
.LBB138_664:
	s_or_b64 exec, exec, s[12:13]
	s_waitcnt lgkmcnt(0)
	s_barrier
	s_barrier
	s_and_saveexec_b64 s[0:1], s[8:9]
; %bb.665:
	v_lshlrev_b32_e32 v25, 3, v19
	v_lshl_or_b32 v25, v20, 9, v25
	ds_write_b64 v25, v[11:12] offset:12416
; %bb.666:
	s_or_b64 exec, exec, s[0:1]
	s_waitcnt lgkmcnt(0)
	s_barrier
	s_barrier
	s_and_saveexec_b64 s[12:13], s[86:87]
	s_cbranch_execz .LBB138_668
; %bb.667:
	v_lshlrev_b32_e32 v25, 9, v0
	ds_read_b64 v[11:12], v25 offset:12416
	s_movk_i32 s0, 0xfe08
	v_mad_i32_i24 v26, v0, s0, v25
	s_waitcnt lgkmcnt(0)
	ds_write_b64 v26, v[11:12] offset:8384
	ds_read_b64 v[11:12], v25 offset:12424
	s_waitcnt lgkmcnt(0)
	ds_write_b64 v26, v[11:12] offset:8896
	ds_read_b64 v[11:12], v25 offset:12432
	;; [unrolled: 3-line block ×7, first 2 shown]
	s_waitcnt lgkmcnt(0)
	ds_write_b64 v26, v[11:12] offset:11968
.LBB138_668:
	s_or_b64 exec, exec, s[12:13]
	s_waitcnt lgkmcnt(0)
	s_barrier
	s_and_saveexec_b64 s[12:13], vcc
	s_cbranch_execz .LBB138_670
; %bb.669:
	v_mov_b32_e32 v11, 0
	ds_read_b128 v[25:28], v11 offset:11952
	ds_read_b64 v[11:12], v11 offset:11440
	s_movk_i32 s0, 0x2800
	s_waitcnt lgkmcnt(0)
	v_mul_f64 v[11:12], v[11:12], v[27:28]
	v_mul_f64 v[11:12], v[25:26], v[11:12]
	v_add_u32_e64 v25, s0, 0
	ds_write2_b64 v25, v[11:12], v[11:12] offset0:151 offset1:214
.LBB138_670:
	s_or_b64 exec, exec, s[12:13]
	v_mov_b32_e32 v11, 0
	v_mov_b32_e32 v12, 0
	s_waitcnt lgkmcnt(0)
	s_barrier
	buffer_wbinvl1_vol
	s_and_saveexec_b64 s[14:15], s[2:3]
	s_cbranch_execz .LBB138_674
; %bb.671:
	v_lshlrev_b32_e32 v25, 9, v13
	v_lshlrev_b32_e32 v11, 3, v1
	ds_read_b64 v[11:12], v11 offset:11424
	ds_read_b64 v[25:26], v25 offset:11440
	v_cmp_gt_u32_e64 s[12:13], 2, v15
	s_waitcnt lgkmcnt(0)
	v_fma_f64 v[11:12], v[11:12], v[25:26], 0
	s_and_saveexec_b64 s[0:1], s[12:13]
	s_cbranch_execz .LBB138_673
; %bb.672:
	v_lshlrev_b32_e32 v25, 3, v0
	v_mov_b32_e32 v27, 0
	ds_read_b64 v[25:26], v25 offset:11936
	ds_read_b64 v[27:28], v27 offset:11960
	s_waitcnt lgkmcnt(0)
	v_fma_f64 v[11:12], v[25:26], v[27:28], v[11:12]
.LBB138_673:
	s_or_b64 exec, exec, s[0:1]
.LBB138_674:
	s_or_b64 exec, exec, s[14:15]
	s_and_saveexec_b64 s[12:13], s[40:41]
	s_cbranch_execz .LBB138_676
; %bb.675:
	v_mov_b32_e32 v25, 0
	ds_read_b64 v[25:26], v25 offset:10920
	s_waitcnt lgkmcnt(0)
	v_mul_f64 v[11:12], v[11:12], v[25:26]
	v_xor_b32_e32 v26, 0x80000000, v12
	v_mov_b32_e32 v25, v11
	ds_write_b64 v14, v[25:26]
.LBB138_676:
	s_or_b64 exec, exec, s[12:13]
	s_waitcnt lgkmcnt(0)
	s_barrier
	s_and_saveexec_b64 s[0:1], s[38:39]
	s_cbranch_execz .LBB138_678
; %bb.677:
	v_mov_b32_e32 v25, 0
	ds_read_b64 v[25:26], v25 offset:10912
	ds_read_b64 v[27:28], v14
	s_waitcnt lgkmcnt(0)
	v_fma_f64 v[11:12], -v[25:26], v[27:28], v[11:12]
.LBB138_678:
	s_or_b64 exec, exec, s[0:1]
	s_barrier
	s_and_saveexec_b64 s[12:13], s[38:39]
	s_cbranch_execz .LBB138_680
; %bb.679:
	v_mov_b32_e32 v25, 0
	ds_read_b64 v[25:26], v25 offset:10400
	s_waitcnt lgkmcnt(0)
	v_mul_f64 v[11:12], v[11:12], v[25:26]
	v_xor_b32_e32 v26, 0x80000000, v12
	v_mov_b32_e32 v25, v11
	ds_write_b64 v14, v[25:26]
.LBB138_680:
	s_or_b64 exec, exec, s[12:13]
	s_waitcnt lgkmcnt(0)
	s_barrier
	s_barrier
	s_and_saveexec_b64 s[0:1], s[2:3]
; %bb.681:
	v_lshlrev_b32_e32 v25, 3, v1
	v_lshl_or_b32 v25, v13, 9, v25
	ds_write_b64 v25, v[11:12] offset:11424
; %bb.682:
	s_or_b64 exec, exec, s[0:1]
	s_waitcnt lgkmcnt(0)
	s_barrier
	s_barrier
	s_and_saveexec_b64 s[0:1], s[42:43]
	s_cbranch_execz .LBB138_684
; %bb.683:
	v_lshlrev_b32_e32 v25, 3, v0
	s_movk_i32 s12, 0x1f8
	v_mad_u32_u24 v26, v0, s12, v25
	ds_read_b64 v[11:12], v26 offset:11424
	s_waitcnt lgkmcnt(0)
	ds_write_b64 v25, v[11:12] offset:10416
	ds_read_b64 v[11:12], v26 offset:11432
	s_waitcnt lgkmcnt(0)
	ds_write_b64 v25, v[11:12] offset:10928
.LBB138_684:
	s_or_b64 exec, exec, s[0:1]
	s_waitcnt lgkmcnt(0)
	s_barrier
	s_and_saveexec_b64 s[12:13], vcc
	s_cbranch_execz .LBB138_686
; %bb.685:
	v_mov_b32_e32 v11, 0
	ds_read_b128 v[25:28], v11 offset:10912
	ds_read_b64 v[11:12], v11 offset:10400
	s_movk_i32 s0, 0x2800
	s_waitcnt lgkmcnt(0)
	v_mul_f64 v[11:12], v[11:12], v[27:28]
	v_mul_f64 v[11:12], v[25:26], v[11:12]
	v_add_u32_e64 v25, s0, 0
	ds_write2_b64 v25, v[11:12], v[11:12] offset0:21 offset1:84
.LBB138_686:
	s_or_b64 exec, exec, s[12:13]
	v_mov_b32_e32 v11, 0
	v_mov_b32_e32 v12, 0
	s_waitcnt lgkmcnt(0)
	s_barrier
	buffer_wbinvl1_vol
	s_and_saveexec_b64 s[14:15], s[18:19]
	s_cbranch_execz .LBB138_692
; %bb.687:
	v_lshlrev_b32_e32 v26, 3, v16
	v_lshlrev_b32_e32 v25, 9, v17
	ds_read_b64 v[11:12], v26 offset:10368
	ds_read_b64 v[27:28], v25 offset:10400
	v_cmp_gt_u32_e64 s[12:13], 12, v15
	s_waitcnt lgkmcnt(0)
	v_fma_f64 v[11:12], v[11:12], v[27:28], 0
	s_and_saveexec_b64 s[0:1], s[12:13]
	s_cbranch_execnz .LBB138_1132
; %bb.688:
	s_or_b64 exec, exec, s[0:1]
	v_cmp_gt_u32_e64 s[12:13], 8, v15
	s_and_saveexec_b64 s[0:1], s[12:13]
	s_cbranch_execnz .LBB138_1133
.LBB138_689:
	s_or_b64 exec, exec, s[0:1]
	v_cmp_gt_u32_e64 s[12:13], 4, v15
	s_and_saveexec_b64 s[0:1], s[12:13]
	s_cbranch_execz .LBB138_691
.LBB138_690:
	v_lshlrev_b32_e32 v25, 3, v0
	v_mov_b32_e32 v27, 0
	ds_read_b64 v[25:26], v25 offset:11904
	ds_read_b64 v[27:28], v27 offset:11960
	s_waitcnt lgkmcnt(0)
	v_fma_f64 v[11:12], v[25:26], v[27:28], v[11:12]
.LBB138_691:
	s_or_b64 exec, exec, s[0:1]
.LBB138_692:
	s_or_b64 exec, exec, s[14:15]
	s_and_saveexec_b64 s[12:13], s[46:47]
	s_cbranch_execz .LBB138_694
; %bb.693:
	v_mov_b32_e32 v25, 0
	ds_read_b64 v[25:26], v25 offset:9880
	s_waitcnt lgkmcnt(0)
	v_mul_f64 v[11:12], v[11:12], v[25:26]
	v_xor_b32_e32 v26, 0x80000000, v12
	v_mov_b32_e32 v25, v11
	ds_write_b64 v18, v[25:26]
.LBB138_694:
	s_or_b64 exec, exec, s[12:13]
	s_waitcnt lgkmcnt(0)
	s_barrier
	s_and_saveexec_b64 s[0:1], s[48:49]
	s_cbranch_execz .LBB138_696
; %bb.695:
	v_lshlrev_b32_e32 v25, 3, v16
	ds_read_b64 v[25:26], v25 offset:9856
	ds_read_b64 v[27:28], v18
	s_waitcnt lgkmcnt(0)
	v_fma_f64 v[11:12], -v[25:26], v[27:28], v[11:12]
.LBB138_696:
	s_or_b64 exec, exec, s[0:1]
	s_barrier
	s_and_saveexec_b64 s[12:13], s[50:51]
	s_cbranch_execz .LBB138_698
; %bb.697:
	v_mov_b32_e32 v25, 0
	ds_read_b64 v[25:26], v25 offset:9360
	s_waitcnt lgkmcnt(0)
	v_mul_f64 v[11:12], v[11:12], v[25:26]
	v_xor_b32_e32 v26, 0x80000000, v12
	v_mov_b32_e32 v25, v11
	ds_write_b64 v18, v[25:26]
.LBB138_698:
	s_or_b64 exec, exec, s[12:13]
	s_waitcnt lgkmcnt(0)
	s_barrier
	s_and_saveexec_b64 s[0:1], s[52:53]
	s_cbranch_execz .LBB138_700
; %bb.699:
	v_lshlrev_b32_e32 v25, 3, v16
	ds_read_b64 v[25:26], v25 offset:9344
	ds_read_b64 v[27:28], v18
	s_waitcnt lgkmcnt(0)
	v_fma_f64 v[11:12], -v[25:26], v[27:28], v[11:12]
.LBB138_700:
	s_or_b64 exec, exec, s[0:1]
	s_barrier
	s_and_saveexec_b64 s[12:13], s[54:55]
	s_cbranch_execz .LBB138_702
; %bb.701:
	v_mov_b32_e32 v25, 0
	ds_read_b64 v[25:26], v25 offset:8840
	s_waitcnt lgkmcnt(0)
	v_mul_f64 v[11:12], v[11:12], v[25:26]
	v_xor_b32_e32 v26, 0x80000000, v12
	v_mov_b32_e32 v25, v11
	ds_write_b64 v18, v[25:26]
.LBB138_702:
	s_or_b64 exec, exec, s[12:13]
	s_waitcnt lgkmcnt(0)
	s_barrier
	s_and_saveexec_b64 s[0:1], s[44:45]
	s_cbranch_execz .LBB138_704
; %bb.703:
	v_mov_b32_e32 v25, 0
	ds_read_b64 v[25:26], v25 offset:8832
	ds_read_b64 v[27:28], v18
	s_waitcnt lgkmcnt(0)
	v_fma_f64 v[11:12], -v[25:26], v[27:28], v[11:12]
.LBB138_704:
	s_or_b64 exec, exec, s[0:1]
	s_barrier
	s_and_saveexec_b64 s[12:13], s[44:45]
	s_cbranch_execz .LBB138_706
; %bb.705:
	v_mov_b32_e32 v25, 0
	ds_read_b64 v[25:26], v25 offset:8320
	s_waitcnt lgkmcnt(0)
	v_mul_f64 v[11:12], v[11:12], v[25:26]
	v_xor_b32_e32 v26, 0x80000000, v12
	v_mov_b32_e32 v25, v11
	ds_write_b64 v18, v[25:26]
.LBB138_706:
	s_or_b64 exec, exec, s[12:13]
	s_waitcnt lgkmcnt(0)
	s_barrier
	s_barrier
	s_and_saveexec_b64 s[0:1], s[18:19]
; %bb.707:
	v_lshlrev_b32_e32 v25, 3, v16
	v_lshl_or_b32 v25, v17, 9, v25
	ds_write_b64 v25, v[11:12] offset:10368
; %bb.708:
	s_or_b64 exec, exec, s[0:1]
	s_waitcnt lgkmcnt(0)
	s_barrier
	s_barrier
	s_and_saveexec_b64 s[12:13], s[56:57]
	s_cbranch_execz .LBB138_710
; %bb.709:
	v_lshlrev_b32_e32 v25, 9, v0
	ds_read_b64 v[11:12], v25 offset:10368
	s_movk_i32 s0, 0xfe08
	v_mad_i32_i24 v26, v0, s0, v25
	s_waitcnt lgkmcnt(0)
	ds_write_b64 v26, v[11:12] offset:8352
	ds_read_b64 v[11:12], v25 offset:10376
	s_waitcnt lgkmcnt(0)
	ds_write_b64 v26, v[11:12] offset:8864
	ds_read_b64 v[11:12], v25 offset:10384
	;; [unrolled: 3-line block ×3, first 2 shown]
	s_waitcnt lgkmcnt(0)
	ds_write_b64 v26, v[11:12] offset:9888
.LBB138_710:
	s_or_b64 exec, exec, s[12:13]
	s_waitcnt lgkmcnt(0)
	s_barrier
	s_and_saveexec_b64 s[12:13], vcc
	s_cbranch_execz .LBB138_712
; %bb.711:
	v_mov_b32_e32 v11, 0
	ds_read_b128 v[25:28], v11 offset:9872
	ds_read_b64 v[11:12], v11 offset:9360
	s_movk_i32 s0, 0x2000
	s_waitcnt lgkmcnt(0)
	v_mul_f64 v[11:12], v[11:12], v[27:28]
	v_mul_f64 v[11:12], v[25:26], v[11:12]
	v_add_u32_e64 v25, s0, 0
	ds_write2_b64 v25, v[11:12], v[11:12] offset0:147 offset1:210
.LBB138_712:
	s_or_b64 exec, exec, s[12:13]
	v_mov_b32_e32 v11, 0
	v_mov_b32_e32 v12, 0
	s_waitcnt lgkmcnt(0)
	s_barrier
	buffer_wbinvl1_vol
	s_and_saveexec_b64 s[14:15], s[2:3]
	s_cbranch_execz .LBB138_716
; %bb.713:
	v_lshlrev_b32_e32 v25, 9, v13
	v_lshlrev_b32_e32 v11, 3, v1
	ds_read_b64 v[11:12], v11 offset:9344
	ds_read_b64 v[25:26], v25 offset:9360
	v_cmp_gt_u32_e64 s[12:13], 2, v15
	s_waitcnt lgkmcnt(0)
	v_fma_f64 v[11:12], v[11:12], v[25:26], 0
	s_and_saveexec_b64 s[0:1], s[12:13]
	s_cbranch_execz .LBB138_715
; %bb.714:
	v_lshlrev_b32_e32 v25, 3, v0
	v_mov_b32_e32 v27, 0
	ds_read_b64 v[25:26], v25 offset:9856
	ds_read_b64 v[27:28], v27 offset:9880
	s_waitcnt lgkmcnt(0)
	v_fma_f64 v[11:12], v[25:26], v[27:28], v[11:12]
.LBB138_715:
	s_or_b64 exec, exec, s[0:1]
.LBB138_716:
	s_or_b64 exec, exec, s[14:15]
	s_and_saveexec_b64 s[12:13], s[40:41]
	s_cbranch_execz .LBB138_718
; %bb.717:
	v_mov_b32_e32 v25, 0
	ds_read_b64 v[25:26], v25 offset:8840
	s_waitcnt lgkmcnt(0)
	v_mul_f64 v[11:12], v[11:12], v[25:26]
	v_xor_b32_e32 v26, 0x80000000, v12
	v_mov_b32_e32 v25, v11
	ds_write_b64 v14, v[25:26]
.LBB138_718:
	s_or_b64 exec, exec, s[12:13]
	s_waitcnt lgkmcnt(0)
	s_barrier
	s_and_saveexec_b64 s[0:1], s[38:39]
	s_cbranch_execz .LBB138_720
; %bb.719:
	v_mov_b32_e32 v25, 0
	ds_read_b64 v[25:26], v25 offset:8832
	ds_read_b64 v[27:28], v14
	s_waitcnt lgkmcnt(0)
	v_fma_f64 v[11:12], -v[25:26], v[27:28], v[11:12]
.LBB138_720:
	s_or_b64 exec, exec, s[0:1]
	s_barrier
	s_and_saveexec_b64 s[12:13], s[38:39]
	s_cbranch_execz .LBB138_722
; %bb.721:
	v_mov_b32_e32 v25, 0
	ds_read_b64 v[25:26], v25 offset:8320
	s_waitcnt lgkmcnt(0)
	v_mul_f64 v[11:12], v[11:12], v[25:26]
	v_xor_b32_e32 v26, 0x80000000, v12
	v_mov_b32_e32 v25, v11
	ds_write_b64 v14, v[25:26]
.LBB138_722:
	s_or_b64 exec, exec, s[12:13]
	s_waitcnt lgkmcnt(0)
	s_barrier
	s_barrier
	s_and_saveexec_b64 s[0:1], s[2:3]
; %bb.723:
	v_lshlrev_b32_e32 v25, 3, v1
	v_lshl_or_b32 v25, v13, 9, v25
	ds_write_b64 v25, v[11:12] offset:9344
; %bb.724:
	s_or_b64 exec, exec, s[0:1]
	s_waitcnt lgkmcnt(0)
	s_barrier
	s_barrier
	s_and_saveexec_b64 s[0:1], s[42:43]
	s_cbranch_execz .LBB138_726
; %bb.725:
	v_lshlrev_b32_e32 v25, 3, v0
	s_movk_i32 s12, 0x1f8
	v_mad_u32_u24 v26, v0, s12, v25
	ds_read_b64 v[11:12], v26 offset:9344
	s_waitcnt lgkmcnt(0)
	ds_write_b64 v25, v[11:12] offset:8336
	ds_read_b64 v[11:12], v26 offset:9352
	s_waitcnt lgkmcnt(0)
	ds_write_b64 v25, v[11:12] offset:8848
.LBB138_726:
	s_or_b64 exec, exec, s[0:1]
	s_waitcnt lgkmcnt(0)
	s_barrier
	s_and_saveexec_b64 s[12:13], vcc
	s_cbranch_execz .LBB138_728
; %bb.727:
	v_mov_b32_e32 v11, 0
	ds_read_b128 v[25:28], v11 offset:8832
	ds_read_b64 v[11:12], v11 offset:8320
	s_movk_i32 s0, 0x2000
	s_waitcnt lgkmcnt(0)
	v_mul_f64 v[11:12], v[11:12], v[27:28]
	v_mul_f64 v[11:12], v[25:26], v[11:12]
	v_add_u32_e64 v25, s0, 0
	ds_write2_b64 v25, v[11:12], v[11:12] offset0:17 offset1:80
.LBB138_728:
	s_or_b64 exec, exec, s[12:13]
	v_mov_b32_e32 v11, 0
	v_mov_b32_e32 v12, 0
	s_waitcnt lgkmcnt(0)
	s_barrier
	buffer_wbinvl1_vol
	s_and_saveexec_b64 s[14:15], s[10:11]
	s_cbranch_execz .LBB138_756
; %bb.729:
	v_lshlrev_b32_e32 v26, 3, v22
	v_lshlrev_b32_e32 v25, 9, v23
	ds_read_b64 v[11:12], v26 offset:8192
	ds_read_b64 v[27:28], v25 offset:8320
	s_movk_i32 s0, 0xf0
	v_cmp_gt_u32_e64 s[12:13], s0, v15
	s_waitcnt lgkmcnt(0)
	v_fma_f64 v[11:12], v[11:12], v[27:28], 0
	s_and_saveexec_b64 s[0:1], s[12:13]
	s_cbranch_execz .LBB138_731
; %bb.730:
	ds_read_b64 v[27:28], v26 offset:8704
	ds_read_b64 v[29:30], v25 offset:8328
	s_waitcnt lgkmcnt(0)
	v_fma_f64 v[11:12], v[27:28], v[29:30], v[11:12]
.LBB138_731:
	s_or_b64 exec, exec, s[0:1]
	s_movk_i32 s0, 0xe0
	v_cmp_gt_u32_e64 s[12:13], s0, v15
	s_and_saveexec_b64 s[0:1], s[12:13]
	s_cbranch_execz .LBB138_733
; %bb.732:
	ds_read_b64 v[27:28], v26 offset:9216
	ds_read_b64 v[29:30], v25 offset:8336
	s_waitcnt lgkmcnt(0)
	v_fma_f64 v[11:12], v[27:28], v[29:30], v[11:12]
.LBB138_733:
	s_or_b64 exec, exec, s[0:1]
	s_movk_i32 s0, 0xd0
	v_cmp_gt_u32_e64 s[12:13], s0, v15
	;; [unrolled: 11-line block ×10, first 2 shown]
	s_and_saveexec_b64 s[0:1], s[12:13]
	s_cbranch_execnz .LBB138_1134
; %bb.750:
	s_or_b64 exec, exec, s[0:1]
	s_and_saveexec_b64 s[0:1], s[8:9]
	s_cbranch_execnz .LBB138_1135
.LBB138_751:
	s_or_b64 exec, exec, s[0:1]
	v_cmp_gt_u32_e64 s[12:13], 48, v15
	s_and_saveexec_b64 s[0:1], s[12:13]
	s_cbranch_execnz .LBB138_1136
.LBB138_752:
	s_or_b64 exec, exec, s[0:1]
	v_cmp_gt_u32_e64 s[12:13], 32, v15
	s_and_saveexec_b64 s[0:1], s[12:13]
	s_cbranch_execnz .LBB138_1137
.LBB138_753:
	s_or_b64 exec, exec, s[0:1]
	v_cmp_gt_u32_e64 s[12:13], 16, v15
	s_and_saveexec_b64 s[0:1], s[12:13]
	s_cbranch_execz .LBB138_755
.LBB138_754:
	v_lshlrev_b32_e32 v25, 3, v0
	v_mov_b32_e32 v27, 0
	ds_read_b64 v[25:26], v25 offset:15872
	ds_read_b64 v[27:28], v27 offset:16120
	s_waitcnt lgkmcnt(0)
	v_fma_f64 v[11:12], v[25:26], v[27:28], v[11:12]
.LBB138_755:
	s_or_b64 exec, exec, s[0:1]
.LBB138_756:
	s_or_b64 exec, exec, s[14:15]
	s_mov_b64 s[12:13], exec
	v_readlane_b32 s0, v36, 5
	v_readlane_b32 s1, v36, 6
	s_and_b64 s[0:1], s[12:13], s[0:1]
	s_mov_b64 exec, s[0:1]
	s_cbranch_execz .LBB138_758
; %bb.757:
	v_mov_b32_e32 v25, 0
	ds_read_b64 v[25:26], v25 offset:7800
	s_waitcnt lgkmcnt(0)
	v_mul_f64 v[11:12], v[11:12], v[25:26]
	v_xor_b32_e32 v26, 0x80000000, v12
	v_mov_b32_e32 v25, v11
	ds_write_b64 v24, v[25:26]
.LBB138_758:
	s_or_b64 exec, exec, s[12:13]
	s_waitcnt lgkmcnt(0)
	s_barrier
	s_mov_b64 s[0:1], exec
	v_readlane_b32 s12, v36, 7
	v_readlane_b32 s13, v36, 8
	s_and_b64 s[12:13], s[0:1], s[12:13]
	s_mov_b64 exec, s[12:13]
	s_cbranch_execz .LBB138_760
; %bb.759:
	v_lshlrev_b32_e32 v25, 3, v22
	ds_read_b64 v[25:26], v25 offset:7680
	ds_read_b64 v[27:28], v24
	s_waitcnt lgkmcnt(0)
	v_fma_f64 v[11:12], -v[25:26], v[27:28], v[11:12]
.LBB138_760:
	s_or_b64 exec, exec, s[0:1]
	s_barrier
	s_mov_b64 s[12:13], exec
	v_readlane_b32 s0, v36, 9
	v_readlane_b32 s1, v36, 10
	s_and_b64 s[0:1], s[12:13], s[0:1]
	s_mov_b64 exec, s[0:1]
	s_cbranch_execz .LBB138_762
; %bb.761:
	v_mov_b32_e32 v25, 0
	ds_read_b64 v[25:26], v25 offset:7280
	s_waitcnt lgkmcnt(0)
	v_mul_f64 v[11:12], v[11:12], v[25:26]
	v_xor_b32_e32 v26, 0x80000000, v12
	v_mov_b32_e32 v25, v11
	ds_write_b64 v24, v[25:26]
.LBB138_762:
	s_or_b64 exec, exec, s[12:13]
	s_waitcnt lgkmcnt(0)
	s_barrier
	s_mov_b64 s[0:1], exec
	v_readlane_b32 s12, v36, 11
	v_readlane_b32 s13, v36, 12
	s_and_b64 s[12:13], s[0:1], s[12:13]
	s_mov_b64 exec, s[12:13]
	s_cbranch_execz .LBB138_764
; %bb.763:
	v_lshlrev_b32_e32 v25, 3, v22
	ds_read_b64 v[25:26], v25 offset:7168
	ds_read_b64 v[27:28], v24
	s_waitcnt lgkmcnt(0)
	v_fma_f64 v[11:12], -v[25:26], v[27:28], v[11:12]
.LBB138_764:
	s_or_b64 exec, exec, s[0:1]
	s_barrier
	;; [unrolled: 33-line block ×14, first 2 shown]
	s_mov_b64 s[0:1], exec
	v_readlane_b32 s12, v36, 61
	v_readlane_b32 s13, v36, 62
	s_and_b64 s[12:13], s[0:1], s[12:13]
	s_mov_b64 exec, s[12:13]
	s_cbranch_execz .LBB138_814
; %bb.813:
	v_mov_b32_e32 v25, 0
	ds_read_b64 v[25:26], v25 offset:520
	s_waitcnt lgkmcnt(0)
	v_mul_f64 v[11:12], v[11:12], v[25:26]
	v_xor_b32_e32 v26, 0x80000000, v12
	v_mov_b32_e32 v25, v11
	ds_write_b64 v24, v[25:26]
.LBB138_814:
	s_or_b64 exec, exec, s[0:1]
	s_waitcnt lgkmcnt(0)
	s_barrier
	s_and_saveexec_b64 s[0:1], s[94:95]
	s_cbranch_execz .LBB138_816
; %bb.815:
	v_mov_b32_e32 v25, 0
	ds_read_b64 v[25:26], v25 offset:512
	ds_read_b64 v[27:28], v24
	s_waitcnt lgkmcnt(0)
	v_fma_f64 v[11:12], -v[25:26], v[27:28], v[11:12]
.LBB138_816:
	s_or_b64 exec, exec, s[0:1]
	s_barrier
	s_and_saveexec_b64 s[0:1], s[94:95]
	s_cbranch_execz .LBB138_818
; %bb.817:
	v_mov_b32_e32 v25, 0
	ds_read_b64 v[25:26], v25
	s_waitcnt lgkmcnt(0)
	v_mul_f64 v[11:12], v[11:12], v[25:26]
	v_xor_b32_e32 v26, 0x80000000, v12
	v_mov_b32_e32 v25, v11
	ds_write_b64 v24, v[25:26]
.LBB138_818:
	s_or_b64 exec, exec, s[0:1]
	s_waitcnt lgkmcnt(0)
	s_barrier
	s_barrier
	s_and_saveexec_b64 s[0:1], s[10:11]
; %bb.819:
	v_lshlrev_b32_e32 v22, 3, v22
	v_lshl_or_b32 v22, v23, 9, v22
	ds_write_b64 v22, v[11:12] offset:8192
; %bb.820:
	s_or_b64 exec, exec, s[0:1]
	s_waitcnt lgkmcnt(0)
	s_barrier
	s_barrier
	s_and_saveexec_b64 s[0:1], s[90:91]
	s_cbranch_execz .LBB138_822
; %bb.821:
	v_lshlrev_b32_e32 v22, 9, v0
	ds_read_b64 v[11:12], v22 offset:8192
	s_movk_i32 s10, 0xfe08
	v_mad_i32_i24 v23, v0, s10, v22
	s_waitcnt lgkmcnt(0)
	ds_write_b64 v23, v[11:12] offset:128
	ds_read_b64 v[11:12], v22 offset:8200
	s_waitcnt lgkmcnt(0)
	ds_write_b64 v23, v[11:12] offset:640
	ds_read_b64 v[11:12], v22 offset:8208
	;; [unrolled: 3-line block ×15, first 2 shown]
	s_waitcnt lgkmcnt(0)
	ds_write_b64 v23, v[11:12] offset:7808
.LBB138_822:
	s_or_b64 exec, exec, s[0:1]
	s_waitcnt lgkmcnt(0)
	s_barrier
	s_and_saveexec_b64 s[0:1], vcc
	s_cbranch_execz .LBB138_824
; %bb.823:
	v_mov_b32_e32 v11, 0
	ds_read_b128 v[22:25], v11 offset:7792
	ds_read_b64 v[11:12], v11 offset:7280
	s_movk_i32 s10, 0x1800
	s_waitcnt lgkmcnt(0)
	v_mul_f64 v[11:12], v[11:12], v[24:25]
	v_mul_f64 v[11:12], v[22:23], v[11:12]
	v_add_u32_e64 v22, s10, 0
	ds_write2_b64 v22, v[11:12], v[11:12] offset0:143 offset1:206
.LBB138_824:
	s_or_b64 exec, exec, s[0:1]
	v_mov_b32_e32 v11, 0
	v_mov_b32_e32 v12, 0
	s_waitcnt lgkmcnt(0)
	s_barrier
	buffer_wbinvl1_vol
	s_and_saveexec_b64 s[0:1], s[2:3]
	s_cbranch_execz .LBB138_828
; %bb.825:
	v_lshlrev_b32_e32 v22, 9, v13
	v_lshlrev_b32_e32 v11, 3, v1
	ds_read_b64 v[11:12], v11 offset:7264
	ds_read_b64 v[22:23], v22 offset:7280
	v_cmp_gt_u32_e64 s[10:11], 2, v15
	s_waitcnt lgkmcnt(0)
	v_fma_f64 v[11:12], v[11:12], v[22:23], 0
	s_and_saveexec_b64 s[12:13], s[10:11]
	s_cbranch_execz .LBB138_827
; %bb.826:
	v_lshlrev_b32_e32 v22, 3, v0
	v_mov_b32_e32 v24, 0
	ds_read_b64 v[22:23], v22 offset:7776
	ds_read_b64 v[24:25], v24 offset:7800
	s_waitcnt lgkmcnt(0)
	v_fma_f64 v[11:12], v[22:23], v[24:25], v[11:12]
.LBB138_827:
	s_or_b64 exec, exec, s[12:13]
.LBB138_828:
	s_or_b64 exec, exec, s[0:1]
	s_and_saveexec_b64 s[0:1], s[40:41]
	s_cbranch_execz .LBB138_830
; %bb.829:
	v_mov_b32_e32 v22, 0
	ds_read_b64 v[22:23], v22 offset:6760
	s_waitcnt lgkmcnt(0)
	v_mul_f64 v[11:12], v[11:12], v[22:23]
	v_xor_b32_e32 v23, 0x80000000, v12
	v_mov_b32_e32 v22, v11
	ds_write_b64 v14, v[22:23]
.LBB138_830:
	s_or_b64 exec, exec, s[0:1]
	s_waitcnt lgkmcnt(0)
	s_barrier
	s_and_saveexec_b64 s[0:1], s[38:39]
	s_cbranch_execz .LBB138_832
; %bb.831:
	v_mov_b32_e32 v22, 0
	ds_read_b64 v[22:23], v22 offset:6752
	ds_read_b64 v[24:25], v14
	s_waitcnt lgkmcnt(0)
	v_fma_f64 v[11:12], -v[22:23], v[24:25], v[11:12]
.LBB138_832:
	s_or_b64 exec, exec, s[0:1]
	s_barrier
	s_and_saveexec_b64 s[0:1], s[38:39]
	s_cbranch_execz .LBB138_834
; %bb.833:
	v_mov_b32_e32 v22, 0
	ds_read_b64 v[22:23], v22 offset:6240
	s_waitcnt lgkmcnt(0)
	v_mul_f64 v[11:12], v[11:12], v[22:23]
	v_xor_b32_e32 v23, 0x80000000, v12
	v_mov_b32_e32 v22, v11
	ds_write_b64 v14, v[22:23]
.LBB138_834:
	s_or_b64 exec, exec, s[0:1]
	s_waitcnt lgkmcnt(0)
	s_barrier
	s_barrier
	s_and_saveexec_b64 s[0:1], s[2:3]
; %bb.835:
	v_lshlrev_b32_e32 v22, 3, v1
	v_lshl_or_b32 v22, v13, 9, v22
	ds_write_b64 v22, v[11:12] offset:7264
; %bb.836:
	s_or_b64 exec, exec, s[0:1]
	s_waitcnt lgkmcnt(0)
	s_barrier
	s_barrier
	s_and_saveexec_b64 s[0:1], s[42:43]
	s_cbranch_execz .LBB138_838
; %bb.837:
	v_lshlrev_b32_e32 v22, 3, v0
	s_movk_i32 s10, 0x1f8
	v_mad_u32_u24 v23, v0, s10, v22
	ds_read_b64 v[11:12], v23 offset:7264
	s_waitcnt lgkmcnt(0)
	ds_write_b64 v22, v[11:12] offset:6256
	ds_read_b64 v[11:12], v23 offset:7272
	s_waitcnt lgkmcnt(0)
	ds_write_b64 v22, v[11:12] offset:6768
.LBB138_838:
	s_or_b64 exec, exec, s[0:1]
	s_waitcnt lgkmcnt(0)
	s_barrier
	s_and_saveexec_b64 s[0:1], vcc
	s_cbranch_execz .LBB138_840
; %bb.839:
	v_mov_b32_e32 v11, 0
	ds_read_b128 v[22:25], v11 offset:6752
	ds_read_b64 v[11:12], v11 offset:6240
	s_movk_i32 s10, 0x1800
	s_waitcnt lgkmcnt(0)
	v_mul_f64 v[11:12], v[11:12], v[24:25]
	v_mul_f64 v[11:12], v[22:23], v[11:12]
	v_add_u32_e64 v22, s10, 0
	ds_write2_b64 v22, v[11:12], v[11:12] offset0:13 offset1:76
.LBB138_840:
	s_or_b64 exec, exec, s[0:1]
	v_mov_b32_e32 v11, 0
	v_mov_b32_e32 v12, 0
	s_waitcnt lgkmcnt(0)
	s_barrier
	buffer_wbinvl1_vol
	s_and_saveexec_b64 s[0:1], s[18:19]
	s_cbranch_execz .LBB138_846
; %bb.841:
	v_lshlrev_b32_e32 v23, 3, v16
	v_lshlrev_b32_e32 v22, 9, v17
	ds_read_b64 v[11:12], v23 offset:6208
	ds_read_b64 v[24:25], v22 offset:6240
	v_cmp_gt_u32_e64 s[10:11], 12, v15
	s_waitcnt lgkmcnt(0)
	v_fma_f64 v[11:12], v[11:12], v[24:25], 0
	s_and_saveexec_b64 s[12:13], s[10:11]
	s_cbranch_execnz .LBB138_1138
; %bb.842:
	s_or_b64 exec, exec, s[12:13]
	v_cmp_gt_u32_e64 s[10:11], 8, v15
	s_and_saveexec_b64 s[12:13], s[10:11]
	s_cbranch_execnz .LBB138_1139
.LBB138_843:
	s_or_b64 exec, exec, s[12:13]
	v_cmp_gt_u32_e64 s[10:11], 4, v15
	s_and_saveexec_b64 s[12:13], s[10:11]
	s_cbranch_execz .LBB138_845
.LBB138_844:
	v_lshlrev_b32_e32 v22, 3, v0
	v_mov_b32_e32 v24, 0
	ds_read_b64 v[22:23], v22 offset:7744
	ds_read_b64 v[24:25], v24 offset:7800
	s_waitcnt lgkmcnt(0)
	v_fma_f64 v[11:12], v[22:23], v[24:25], v[11:12]
.LBB138_845:
	s_or_b64 exec, exec, s[12:13]
.LBB138_846:
	s_or_b64 exec, exec, s[0:1]
	s_and_saveexec_b64 s[0:1], s[46:47]
	s_cbranch_execz .LBB138_848
; %bb.847:
	v_mov_b32_e32 v22, 0
	ds_read_b64 v[22:23], v22 offset:5720
	s_waitcnt lgkmcnt(0)
	v_mul_f64 v[11:12], v[11:12], v[22:23]
	v_xor_b32_e32 v23, 0x80000000, v12
	v_mov_b32_e32 v22, v11
	ds_write_b64 v18, v[22:23]
.LBB138_848:
	s_or_b64 exec, exec, s[0:1]
	s_waitcnt lgkmcnt(0)
	s_barrier
	s_and_saveexec_b64 s[0:1], s[48:49]
	s_cbranch_execz .LBB138_850
; %bb.849:
	v_lshlrev_b32_e32 v22, 3, v16
	ds_read_b64 v[22:23], v22 offset:5696
	ds_read_b64 v[24:25], v18
	s_waitcnt lgkmcnt(0)
	v_fma_f64 v[11:12], -v[22:23], v[24:25], v[11:12]
.LBB138_850:
	s_or_b64 exec, exec, s[0:1]
	s_barrier
	s_and_saveexec_b64 s[0:1], s[50:51]
	s_cbranch_execz .LBB138_852
; %bb.851:
	v_mov_b32_e32 v22, 0
	ds_read_b64 v[22:23], v22 offset:5200
	s_waitcnt lgkmcnt(0)
	v_mul_f64 v[11:12], v[11:12], v[22:23]
	v_xor_b32_e32 v23, 0x80000000, v12
	v_mov_b32_e32 v22, v11
	ds_write_b64 v18, v[22:23]
.LBB138_852:
	s_or_b64 exec, exec, s[0:1]
	s_waitcnt lgkmcnt(0)
	s_barrier
	s_and_saveexec_b64 s[0:1], s[52:53]
	s_cbranch_execz .LBB138_854
; %bb.853:
	v_lshlrev_b32_e32 v22, 3, v16
	ds_read_b64 v[22:23], v22 offset:5184
	ds_read_b64 v[24:25], v18
	s_waitcnt lgkmcnt(0)
	v_fma_f64 v[11:12], -v[22:23], v[24:25], v[11:12]
.LBB138_854:
	s_or_b64 exec, exec, s[0:1]
	s_barrier
	s_and_saveexec_b64 s[0:1], s[54:55]
	s_cbranch_execz .LBB138_856
; %bb.855:
	v_mov_b32_e32 v22, 0
	ds_read_b64 v[22:23], v22 offset:4680
	s_waitcnt lgkmcnt(0)
	v_mul_f64 v[11:12], v[11:12], v[22:23]
	v_xor_b32_e32 v23, 0x80000000, v12
	v_mov_b32_e32 v22, v11
	ds_write_b64 v18, v[22:23]
.LBB138_856:
	s_or_b64 exec, exec, s[0:1]
	s_waitcnt lgkmcnt(0)
	s_barrier
	s_and_saveexec_b64 s[0:1], s[44:45]
	s_cbranch_execz .LBB138_858
; %bb.857:
	v_mov_b32_e32 v22, 0
	ds_read_b64 v[22:23], v22 offset:4672
	ds_read_b64 v[24:25], v18
	s_waitcnt lgkmcnt(0)
	v_fma_f64 v[11:12], -v[22:23], v[24:25], v[11:12]
.LBB138_858:
	s_or_b64 exec, exec, s[0:1]
	s_barrier
	s_and_saveexec_b64 s[0:1], s[44:45]
	s_cbranch_execz .LBB138_860
; %bb.859:
	v_mov_b32_e32 v22, 0
	ds_read_b64 v[22:23], v22 offset:4160
	s_waitcnt lgkmcnt(0)
	v_mul_f64 v[11:12], v[11:12], v[22:23]
	v_xor_b32_e32 v23, 0x80000000, v12
	v_mov_b32_e32 v22, v11
	ds_write_b64 v18, v[22:23]
.LBB138_860:
	s_or_b64 exec, exec, s[0:1]
	s_waitcnt lgkmcnt(0)
	s_barrier
	s_barrier
	s_and_saveexec_b64 s[0:1], s[18:19]
; %bb.861:
	v_lshlrev_b32_e32 v22, 3, v16
	v_lshl_or_b32 v22, v17, 9, v22
	ds_write_b64 v22, v[11:12] offset:6208
; %bb.862:
	s_or_b64 exec, exec, s[0:1]
	s_waitcnt lgkmcnt(0)
	s_barrier
	s_barrier
	s_and_saveexec_b64 s[0:1], s[56:57]
	s_cbranch_execz .LBB138_864
; %bb.863:
	v_lshlrev_b32_e32 v22, 9, v0
	ds_read_b64 v[11:12], v22 offset:6208
	s_movk_i32 s10, 0xfe08
	v_mad_i32_i24 v23, v0, s10, v22
	s_waitcnt lgkmcnt(0)
	ds_write_b64 v23, v[11:12] offset:4192
	ds_read_b64 v[11:12], v22 offset:6216
	s_waitcnt lgkmcnt(0)
	ds_write_b64 v23, v[11:12] offset:4704
	ds_read_b64 v[11:12], v22 offset:6224
	;; [unrolled: 3-line block ×3, first 2 shown]
	s_waitcnt lgkmcnt(0)
	ds_write_b64 v23, v[11:12] offset:5728
.LBB138_864:
	s_or_b64 exec, exec, s[0:1]
	s_waitcnt lgkmcnt(0)
	s_barrier
	s_and_saveexec_b64 s[0:1], vcc
	s_cbranch_execz .LBB138_866
; %bb.865:
	v_mov_b32_e32 v11, 0
	ds_read_b128 v[22:25], v11 offset:5712
	ds_read_b64 v[11:12], v11 offset:5200
	s_movk_i32 s10, 0x1000
	s_waitcnt lgkmcnt(0)
	v_mul_f64 v[11:12], v[11:12], v[24:25]
	v_mul_f64 v[11:12], v[22:23], v[11:12]
	v_add_u32_e64 v22, s10, 0
	ds_write2_b64 v22, v[11:12], v[11:12] offset0:139 offset1:202
.LBB138_866:
	s_or_b64 exec, exec, s[0:1]
	v_mov_b32_e32 v11, 0
	v_mov_b32_e32 v12, 0
	s_waitcnt lgkmcnt(0)
	s_barrier
	buffer_wbinvl1_vol
	s_and_saveexec_b64 s[0:1], s[2:3]
	s_cbranch_execz .LBB138_870
; %bb.867:
	v_lshlrev_b32_e32 v22, 9, v13
	v_lshlrev_b32_e32 v11, 3, v1
	ds_read_b64 v[11:12], v11 offset:5184
	ds_read_b64 v[22:23], v22 offset:5200
	v_cmp_gt_u32_e64 s[10:11], 2, v15
	s_waitcnt lgkmcnt(0)
	v_fma_f64 v[11:12], v[11:12], v[22:23], 0
	s_and_saveexec_b64 s[12:13], s[10:11]
	s_cbranch_execz .LBB138_869
; %bb.868:
	v_lshlrev_b32_e32 v22, 3, v0
	v_mov_b32_e32 v24, 0
	ds_read_b64 v[22:23], v22 offset:5696
	ds_read_b64 v[24:25], v24 offset:5720
	s_waitcnt lgkmcnt(0)
	v_fma_f64 v[11:12], v[22:23], v[24:25], v[11:12]
.LBB138_869:
	s_or_b64 exec, exec, s[12:13]
.LBB138_870:
	s_or_b64 exec, exec, s[0:1]
	s_and_saveexec_b64 s[0:1], s[40:41]
	s_cbranch_execz .LBB138_872
; %bb.871:
	v_mov_b32_e32 v22, 0
	ds_read_b64 v[22:23], v22 offset:4680
	s_waitcnt lgkmcnt(0)
	v_mul_f64 v[11:12], v[11:12], v[22:23]
	v_xor_b32_e32 v23, 0x80000000, v12
	v_mov_b32_e32 v22, v11
	ds_write_b64 v14, v[22:23]
.LBB138_872:
	s_or_b64 exec, exec, s[0:1]
	s_waitcnt lgkmcnt(0)
	s_barrier
	s_and_saveexec_b64 s[0:1], s[38:39]
	s_cbranch_execz .LBB138_874
; %bb.873:
	v_mov_b32_e32 v22, 0
	ds_read_b64 v[22:23], v22 offset:4672
	ds_read_b64 v[24:25], v14
	s_waitcnt lgkmcnt(0)
	v_fma_f64 v[11:12], -v[22:23], v[24:25], v[11:12]
.LBB138_874:
	s_or_b64 exec, exec, s[0:1]
	s_barrier
	s_and_saveexec_b64 s[0:1], s[38:39]
	s_cbranch_execz .LBB138_876
; %bb.875:
	v_mov_b32_e32 v22, 0
	ds_read_b64 v[22:23], v22 offset:4160
	s_waitcnt lgkmcnt(0)
	v_mul_f64 v[11:12], v[11:12], v[22:23]
	v_xor_b32_e32 v23, 0x80000000, v12
	v_mov_b32_e32 v22, v11
	ds_write_b64 v14, v[22:23]
.LBB138_876:
	s_or_b64 exec, exec, s[0:1]
	s_waitcnt lgkmcnt(0)
	s_barrier
	s_barrier
	s_and_saveexec_b64 s[0:1], s[2:3]
; %bb.877:
	v_lshlrev_b32_e32 v22, 3, v1
	v_lshl_or_b32 v22, v13, 9, v22
	ds_write_b64 v22, v[11:12] offset:5184
; %bb.878:
	s_or_b64 exec, exec, s[0:1]
	s_waitcnt lgkmcnt(0)
	s_barrier
	s_barrier
	s_and_saveexec_b64 s[0:1], s[42:43]
	s_cbranch_execz .LBB138_880
; %bb.879:
	v_lshlrev_b32_e32 v22, 3, v0
	s_movk_i32 s10, 0x1f8
	v_mad_u32_u24 v23, v0, s10, v22
	ds_read_b64 v[11:12], v23 offset:5184
	s_waitcnt lgkmcnt(0)
	ds_write_b64 v22, v[11:12] offset:4176
	ds_read_b64 v[11:12], v23 offset:5192
	s_waitcnt lgkmcnt(0)
	ds_write_b64 v22, v[11:12] offset:4688
.LBB138_880:
	s_or_b64 exec, exec, s[0:1]
	s_waitcnt lgkmcnt(0)
	s_barrier
	s_and_saveexec_b64 s[0:1], vcc
	s_cbranch_execz .LBB138_882
; %bb.881:
	v_mov_b32_e32 v11, 0
	ds_read_b128 v[22:25], v11 offset:4672
	ds_read_b64 v[11:12], v11 offset:4160
	s_movk_i32 s10, 0x1000
	s_waitcnt lgkmcnt(0)
	v_mul_f64 v[11:12], v[11:12], v[24:25]
	v_mul_f64 v[11:12], v[22:23], v[11:12]
	v_add_u32_e64 v22, s10, 0
	ds_write2_b64 v22, v[11:12], v[11:12] offset0:9 offset1:72
.LBB138_882:
	s_or_b64 exec, exec, s[0:1]
	v_mov_b32_e32 v11, 0
	v_mov_b32_e32 v12, 0
	s_waitcnt lgkmcnt(0)
	s_barrier
	buffer_wbinvl1_vol
	s_and_saveexec_b64 s[0:1], s[8:9]
	s_cbranch_execz .LBB138_892
; %bb.883:
	v_lshlrev_b32_e32 v23, 3, v19
	v_lshlrev_b32_e32 v22, 9, v20
	ds_read_b64 v[11:12], v23 offset:4096
	ds_read_b64 v[24:25], v22 offset:4160
	v_cmp_gt_u32_e64 s[10:11], 56, v15
	s_waitcnt lgkmcnt(0)
	v_fma_f64 v[11:12], v[11:12], v[24:25], 0
	s_and_saveexec_b64 s[12:13], s[10:11]
	s_cbranch_execnz .LBB138_1140
; %bb.884:
	s_or_b64 exec, exec, s[12:13]
	v_cmp_gt_u32_e64 s[10:11], 48, v15
	s_and_saveexec_b64 s[12:13], s[10:11]
	s_cbranch_execnz .LBB138_1141
.LBB138_885:
	s_or_b64 exec, exec, s[12:13]
	v_cmp_gt_u32_e64 s[10:11], 40, v15
	s_and_saveexec_b64 s[12:13], s[10:11]
	s_cbranch_execnz .LBB138_1142
.LBB138_886:
	s_or_b64 exec, exec, s[12:13]
	v_cmp_gt_u32_e64 s[10:11], 32, v15
	s_and_saveexec_b64 s[12:13], s[10:11]
	s_cbranch_execnz .LBB138_1143
.LBB138_887:
	s_or_b64 exec, exec, s[12:13]
	v_cmp_gt_u32_e64 s[10:11], 24, v15
	s_and_saveexec_b64 s[12:13], s[10:11]
	s_cbranch_execnz .LBB138_1144
.LBB138_888:
	s_or_b64 exec, exec, s[12:13]
	s_and_saveexec_b64 s[10:11], s[18:19]
	s_cbranch_execnz .LBB138_1145
.LBB138_889:
	s_or_b64 exec, exec, s[10:11]
	v_cmp_gt_u32_e64 s[10:11], 8, v15
	s_and_saveexec_b64 s[12:13], s[10:11]
	s_cbranch_execz .LBB138_891
.LBB138_890:
	v_lshlrev_b32_e32 v22, 3, v0
	v_mov_b32_e32 v24, 0
	ds_read_b64 v[22:23], v22 offset:7680
	ds_read_b64 v[24:25], v24 offset:7800
	s_waitcnt lgkmcnt(0)
	v_fma_f64 v[11:12], v[22:23], v[24:25], v[11:12]
.LBB138_891:
	s_or_b64 exec, exec, s[12:13]
.LBB138_892:
	s_or_b64 exec, exec, s[0:1]
	s_and_saveexec_b64 s[0:1], s[58:59]
	s_cbranch_execz .LBB138_894
; %bb.893:
	v_mov_b32_e32 v22, 0
	ds_read_b64 v[22:23], v22 offset:3640
	s_waitcnt lgkmcnt(0)
	v_mul_f64 v[11:12], v[11:12], v[22:23]
	v_xor_b32_e32 v23, 0x80000000, v12
	v_mov_b32_e32 v22, v11
	ds_write_b64 v21, v[22:23]
.LBB138_894:
	s_or_b64 exec, exec, s[0:1]
	s_waitcnt lgkmcnt(0)
	s_barrier
	s_and_saveexec_b64 s[0:1], s[60:61]
	v_readlane_b32 s20, v36, 3
	v_readlane_b32 s58, v36, 1
	;; [unrolled: 1-line block ×4, first 2 shown]
	s_cbranch_execz .LBB138_896
; %bb.895:
	v_lshlrev_b32_e32 v22, 3, v19
	ds_read_b64 v[22:23], v22 offset:3584
	ds_read_b64 v[24:25], v21
	s_waitcnt lgkmcnt(0)
	v_fma_f64 v[11:12], -v[22:23], v[24:25], v[11:12]
.LBB138_896:
	s_or_b64 exec, exec, s[0:1]
	s_barrier
	s_and_saveexec_b64 s[0:1], s[62:63]
	s_cbranch_execz .LBB138_898
; %bb.897:
	v_mov_b32_e32 v22, 0
	ds_read_b64 v[22:23], v22 offset:3120
	s_waitcnt lgkmcnt(0)
	v_mul_f64 v[11:12], v[11:12], v[22:23]
	v_xor_b32_e32 v23, 0x80000000, v12
	v_mov_b32_e32 v22, v11
	ds_write_b64 v21, v[22:23]
.LBB138_898:
	s_or_b64 exec, exec, s[0:1]
	s_waitcnt lgkmcnt(0)
	s_barrier
	s_and_saveexec_b64 s[0:1], s[64:65]
	s_cbranch_execz .LBB138_900
; %bb.899:
	v_lshlrev_b32_e32 v22, 3, v19
	ds_read_b64 v[22:23], v22 offset:3072
	ds_read_b64 v[24:25], v21
	s_waitcnt lgkmcnt(0)
	v_fma_f64 v[11:12], -v[22:23], v[24:25], v[11:12]
.LBB138_900:
	s_or_b64 exec, exec, s[0:1]
	s_barrier
	s_and_saveexec_b64 s[0:1], s[66:67]
	s_cbranch_execz .LBB138_902
; %bb.901:
	v_mov_b32_e32 v22, 0
	ds_read_b64 v[22:23], v22 offset:2600
	s_waitcnt lgkmcnt(0)
	v_mul_f64 v[11:12], v[11:12], v[22:23]
	v_xor_b32_e32 v23, 0x80000000, v12
	v_mov_b32_e32 v22, v11
	ds_write_b64 v21, v[22:23]
.LBB138_902:
	s_or_b64 exec, exec, s[0:1]
	s_waitcnt lgkmcnt(0)
	s_barrier
	s_and_saveexec_b64 s[0:1], s[70:71]
	;; [unrolled: 25-line block ×6, first 2 shown]
	s_cbranch_execz .LBB138_920
; %bb.919:
	v_mov_b32_e32 v22, 0
	ds_read_b64 v[22:23], v22 offset:512
	ds_read_b64 v[24:25], v21
	s_waitcnt lgkmcnt(0)
	v_fma_f64 v[11:12], -v[22:23], v[24:25], v[11:12]
.LBB138_920:
	s_or_b64 exec, exec, s[0:1]
	s_barrier
	s_and_saveexec_b64 s[0:1], s[68:69]
	s_cbranch_execz .LBB138_922
; %bb.921:
	v_mov_b32_e32 v22, 0
	ds_read_b64 v[22:23], v22
	s_waitcnt lgkmcnt(0)
	v_mul_f64 v[11:12], v[11:12], v[22:23]
	v_xor_b32_e32 v23, 0x80000000, v12
	v_mov_b32_e32 v22, v11
	ds_write_b64 v21, v[22:23]
.LBB138_922:
	s_or_b64 exec, exec, s[0:1]
	s_waitcnt lgkmcnt(0)
	s_barrier
	s_barrier
	s_and_saveexec_b64 s[0:1], s[8:9]
; %bb.923:
	v_lshlrev_b32_e32 v19, 3, v19
	v_lshl_or_b32 v19, v20, 9, v19
	ds_write_b64 v19, v[11:12] offset:4096
; %bb.924:
	s_or_b64 exec, exec, s[0:1]
	s_waitcnt lgkmcnt(0)
	s_barrier
	s_barrier
	s_and_saveexec_b64 s[0:1], s[86:87]
	s_cbranch_execz .LBB138_926
; %bb.925:
	v_lshlrev_b32_e32 v19, 9, v0
	ds_read_b64 v[11:12], v19 offset:4096
	s_movk_i32 s8, 0xfe08
	v_mad_i32_i24 v20, v0, s8, v19
	s_waitcnt lgkmcnt(0)
	ds_write_b64 v20, v[11:12] offset:64
	ds_read_b64 v[11:12], v19 offset:4104
	s_waitcnt lgkmcnt(0)
	ds_write_b64 v20, v[11:12] offset:576
	ds_read_b64 v[11:12], v19 offset:4112
	;; [unrolled: 3-line block ×7, first 2 shown]
	s_waitcnt lgkmcnt(0)
	ds_write_b64 v20, v[11:12] offset:3648
.LBB138_926:
	s_or_b64 exec, exec, s[0:1]
	s_waitcnt lgkmcnt(0)
	s_barrier
	s_and_saveexec_b64 s[0:1], vcc
	s_cbranch_execz .LBB138_928
; %bb.927:
	v_mov_b32_e32 v11, 0
	ds_read_b128 v[19:22], v11 offset:3632
	ds_read_b64 v[11:12], v11 offset:3120
	s_movk_i32 s8, 0x800
	s_waitcnt lgkmcnt(0)
	v_mul_f64 v[11:12], v[11:12], v[21:22]
	v_mul_f64 v[11:12], v[19:20], v[11:12]
	v_add_u32_e64 v19, s8, 0
	ds_write2_b64 v19, v[11:12], v[11:12] offset0:135 offset1:198
.LBB138_928:
	s_or_b64 exec, exec, s[0:1]
	v_mov_b32_e32 v11, 0
	v_mov_b32_e32 v12, 0
	s_waitcnt lgkmcnt(0)
	s_barrier
	buffer_wbinvl1_vol
	s_and_saveexec_b64 s[0:1], s[2:3]
	s_cbranch_execz .LBB138_932
; %bb.929:
	v_lshlrev_b32_e32 v19, 9, v13
	v_lshlrev_b32_e32 v11, 3, v1
	ds_read_b64 v[11:12], v11 offset:3104
	ds_read_b64 v[19:20], v19 offset:3120
	v_cmp_gt_u32_e64 s[8:9], 2, v15
	s_waitcnt lgkmcnt(0)
	v_fma_f64 v[11:12], v[11:12], v[19:20], 0
	s_and_saveexec_b64 s[10:11], s[8:9]
	s_cbranch_execz .LBB138_931
; %bb.930:
	v_lshlrev_b32_e32 v19, 3, v0
	v_mov_b32_e32 v21, 0
	ds_read_b64 v[19:20], v19 offset:3616
	ds_read_b64 v[21:22], v21 offset:3640
	s_waitcnt lgkmcnt(0)
	v_fma_f64 v[11:12], v[19:20], v[21:22], v[11:12]
.LBB138_931:
	s_or_b64 exec, exec, s[10:11]
.LBB138_932:
	s_or_b64 exec, exec, s[0:1]
	s_and_saveexec_b64 s[0:1], s[40:41]
	s_cbranch_execz .LBB138_934
; %bb.933:
	v_mov_b32_e32 v19, 0
	ds_read_b64 v[19:20], v19 offset:2600
	s_waitcnt lgkmcnt(0)
	v_mul_f64 v[11:12], v[11:12], v[19:20]
	v_xor_b32_e32 v20, 0x80000000, v12
	v_mov_b32_e32 v19, v11
	ds_write_b64 v14, v[19:20]
.LBB138_934:
	s_or_b64 exec, exec, s[0:1]
	s_waitcnt lgkmcnt(0)
	s_barrier
	s_and_saveexec_b64 s[0:1], s[38:39]
	s_cbranch_execz .LBB138_936
; %bb.935:
	v_mov_b32_e32 v19, 0
	ds_read_b64 v[19:20], v19 offset:2592
	ds_read_b64 v[21:22], v14
	s_waitcnt lgkmcnt(0)
	v_fma_f64 v[11:12], -v[19:20], v[21:22], v[11:12]
.LBB138_936:
	s_or_b64 exec, exec, s[0:1]
	s_barrier
	s_and_saveexec_b64 s[0:1], s[38:39]
	s_cbranch_execz .LBB138_938
; %bb.937:
	v_mov_b32_e32 v19, 0
	ds_read_b64 v[19:20], v19 offset:2080
	s_waitcnt lgkmcnt(0)
	v_mul_f64 v[11:12], v[11:12], v[19:20]
	v_xor_b32_e32 v20, 0x80000000, v12
	v_mov_b32_e32 v19, v11
	ds_write_b64 v14, v[19:20]
.LBB138_938:
	s_or_b64 exec, exec, s[0:1]
	s_waitcnt lgkmcnt(0)
	s_barrier
	s_barrier
	s_and_saveexec_b64 s[0:1], s[2:3]
; %bb.939:
	v_lshlrev_b32_e32 v19, 3, v1
	v_lshl_or_b32 v19, v13, 9, v19
	ds_write_b64 v19, v[11:12] offset:3104
; %bb.940:
	s_or_b64 exec, exec, s[0:1]
	s_waitcnt lgkmcnt(0)
	s_barrier
	s_barrier
	s_and_saveexec_b64 s[0:1], s[42:43]
	s_cbranch_execz .LBB138_942
; %bb.941:
	v_lshlrev_b32_e32 v19, 3, v0
	s_movk_i32 s8, 0x1f8
	v_mad_u32_u24 v20, v0, s8, v19
	ds_read_b64 v[11:12], v20 offset:3104
	s_waitcnt lgkmcnt(0)
	ds_write_b64 v19, v[11:12] offset:2096
	ds_read_b64 v[11:12], v20 offset:3112
	s_waitcnt lgkmcnt(0)
	ds_write_b64 v19, v[11:12] offset:2608
.LBB138_942:
	s_or_b64 exec, exec, s[0:1]
	s_waitcnt lgkmcnt(0)
	s_barrier
	s_and_saveexec_b64 s[0:1], vcc
	s_cbranch_execz .LBB138_944
; %bb.943:
	v_mov_b32_e32 v11, 0
	ds_read_b128 v[19:22], v11 offset:2592
	ds_read_b64 v[11:12], v11 offset:2080
	s_movk_i32 s8, 0x800
	s_waitcnt lgkmcnt(0)
	v_mul_f64 v[11:12], v[11:12], v[21:22]
	v_mul_f64 v[11:12], v[19:20], v[11:12]
	v_add_u32_e64 v19, s8, 0
	ds_write2_b64 v19, v[11:12], v[11:12] offset0:5 offset1:68
.LBB138_944:
	s_or_b64 exec, exec, s[0:1]
	v_mov_b32_e32 v11, 0
	v_mov_b32_e32 v12, 0
	s_waitcnt lgkmcnt(0)
	s_barrier
	buffer_wbinvl1_vol
	s_and_saveexec_b64 s[0:1], s[18:19]
	s_cbranch_execz .LBB138_950
; %bb.945:
	v_lshlrev_b32_e32 v20, 3, v16
	v_lshlrev_b32_e32 v19, 9, v17
	ds_read_b64 v[11:12], v20 offset:2048
	ds_read_b64 v[21:22], v19 offset:2080
	v_cmp_gt_u32_e64 s[8:9], 12, v15
	s_waitcnt lgkmcnt(0)
	v_fma_f64 v[11:12], v[11:12], v[21:22], 0
	s_and_saveexec_b64 s[10:11], s[8:9]
	s_cbranch_execnz .LBB138_1146
; %bb.946:
	s_or_b64 exec, exec, s[10:11]
	v_cmp_gt_u32_e64 s[8:9], 8, v15
	s_and_saveexec_b64 s[10:11], s[8:9]
	s_cbranch_execnz .LBB138_1147
.LBB138_947:
	s_or_b64 exec, exec, s[10:11]
	v_cmp_gt_u32_e64 s[8:9], 4, v15
	s_and_saveexec_b64 s[10:11], s[8:9]
	s_cbranch_execz .LBB138_949
.LBB138_948:
	v_lshlrev_b32_e32 v19, 3, v0
	v_mov_b32_e32 v21, 0
	ds_read_b64 v[19:20], v19 offset:3584
	ds_read_b64 v[21:22], v21 offset:3640
	s_waitcnt lgkmcnt(0)
	v_fma_f64 v[11:12], v[19:20], v[21:22], v[11:12]
.LBB138_949:
	s_or_b64 exec, exec, s[10:11]
.LBB138_950:
	s_or_b64 exec, exec, s[0:1]
	s_and_saveexec_b64 s[0:1], s[46:47]
	s_cbranch_execz .LBB138_952
; %bb.951:
	v_mov_b32_e32 v19, 0
	ds_read_b64 v[19:20], v19 offset:1560
	s_waitcnt lgkmcnt(0)
	v_mul_f64 v[11:12], v[11:12], v[19:20]
	v_xor_b32_e32 v20, 0x80000000, v12
	v_mov_b32_e32 v19, v11
	ds_write_b64 v18, v[19:20]
.LBB138_952:
	s_or_b64 exec, exec, s[0:1]
	s_waitcnt lgkmcnt(0)
	s_barrier
	s_and_saveexec_b64 s[0:1], s[48:49]
	v_readlane_b32 s46, v36, 0
	s_cbranch_execz .LBB138_954
; %bb.953:
	v_lshlrev_b32_e32 v19, 3, v16
	ds_read_b64 v[19:20], v19 offset:1536
	ds_read_b64 v[21:22], v18
	s_waitcnt lgkmcnt(0)
	v_fma_f64 v[11:12], -v[19:20], v[21:22], v[11:12]
.LBB138_954:
	s_or_b64 exec, exec, s[0:1]
	s_barrier
	s_and_saveexec_b64 s[0:1], s[50:51]
	s_cbranch_execz .LBB138_956
; %bb.955:
	v_mov_b32_e32 v19, 0
	ds_read_b64 v[19:20], v19 offset:1040
	s_waitcnt lgkmcnt(0)
	v_mul_f64 v[11:12], v[11:12], v[19:20]
	v_xor_b32_e32 v20, 0x80000000, v12
	v_mov_b32_e32 v19, v11
	ds_write_b64 v18, v[19:20]
.LBB138_956:
	s_or_b64 exec, exec, s[0:1]
	s_waitcnt lgkmcnt(0)
	s_barrier
	s_and_saveexec_b64 s[0:1], s[52:53]
	s_cbranch_execz .LBB138_958
; %bb.957:
	v_lshlrev_b32_e32 v19, 3, v16
	ds_read_b64 v[19:20], v19 offset:1024
	ds_read_b64 v[21:22], v18
	s_waitcnt lgkmcnt(0)
	v_fma_f64 v[11:12], -v[19:20], v[21:22], v[11:12]
.LBB138_958:
	s_or_b64 exec, exec, s[0:1]
	s_barrier
	s_and_saveexec_b64 s[0:1], s[54:55]
	s_cbranch_execz .LBB138_960
; %bb.959:
	v_mov_b32_e32 v19, 0
	ds_read_b64 v[19:20], v19 offset:520
	s_waitcnt lgkmcnt(0)
	v_mul_f64 v[11:12], v[11:12], v[19:20]
	v_xor_b32_e32 v20, 0x80000000, v12
	v_mov_b32_e32 v19, v11
	ds_write_b64 v18, v[19:20]
.LBB138_960:
	s_or_b64 exec, exec, s[0:1]
	s_waitcnt lgkmcnt(0)
	s_barrier
	s_and_saveexec_b64 s[0:1], s[44:45]
	s_cbranch_execz .LBB138_962
; %bb.961:
	v_mov_b32_e32 v19, 0
	ds_read_b64 v[19:20], v19 offset:512
	ds_read_b64 v[21:22], v18
	s_waitcnt lgkmcnt(0)
	v_fma_f64 v[11:12], -v[19:20], v[21:22], v[11:12]
.LBB138_962:
	s_or_b64 exec, exec, s[0:1]
	s_barrier
	s_and_saveexec_b64 s[0:1], s[44:45]
	s_cbranch_execz .LBB138_964
; %bb.963:
	v_mov_b32_e32 v19, 0
	ds_read_b64 v[19:20], v19
	s_waitcnt lgkmcnt(0)
	v_mul_f64 v[11:12], v[11:12], v[19:20]
	v_xor_b32_e32 v20, 0x80000000, v12
	v_mov_b32_e32 v19, v11
	ds_write_b64 v18, v[19:20]
.LBB138_964:
	s_or_b64 exec, exec, s[0:1]
	s_waitcnt lgkmcnt(0)
	s_barrier
	s_barrier
	s_and_saveexec_b64 s[0:1], s[18:19]
; %bb.965:
	v_lshlrev_b32_e32 v16, 3, v16
	v_lshl_or_b32 v16, v17, 9, v16
	ds_write_b64 v16, v[11:12] offset:2048
; %bb.966:
	s_or_b64 exec, exec, s[0:1]
	s_waitcnt lgkmcnt(0)
	s_barrier
	s_barrier
	s_and_saveexec_b64 s[0:1], s[56:57]
	s_cbranch_execz .LBB138_968
; %bb.967:
	v_lshlrev_b32_e32 v16, 9, v0
	ds_read_b64 v[11:12], v16 offset:2048
	s_movk_i32 s8, 0xfe08
	v_mad_i32_i24 v17, v0, s8, v16
	s_waitcnt lgkmcnt(0)
	ds_write_b64 v17, v[11:12] offset:32
	ds_read_b64 v[11:12], v16 offset:2056
	s_waitcnt lgkmcnt(0)
	ds_write_b64 v17, v[11:12] offset:544
	ds_read_b64 v[11:12], v16 offset:2064
	;; [unrolled: 3-line block ×3, first 2 shown]
	s_waitcnt lgkmcnt(0)
	ds_write_b64 v17, v[11:12] offset:1568
.LBB138_968:
	s_or_b64 exec, exec, s[0:1]
	s_waitcnt lgkmcnt(0)
	s_barrier
	s_and_saveexec_b64 s[0:1], vcc
	s_cbranch_execz .LBB138_970
; %bb.969:
	v_mov_b32_e32 v20, 0
	ds_read_b128 v[16:19], v20 offset:1552
	ds_read_b64 v[11:12], v20 offset:1040
	s_waitcnt lgkmcnt(0)
	v_mul_f64 v[11:12], v[11:12], v[18:19]
	v_mul_f64 v[11:12], v[16:17], v[11:12]
	ds_write2_b64 v20, v[11:12], v[11:12] offset0:131 offset1:194
.LBB138_970:
	s_or_b64 exec, exec, s[0:1]
	v_mov_b32_e32 v11, 0
	v_mov_b32_e32 v12, 0
	s_waitcnt lgkmcnt(0)
	s_barrier
	buffer_wbinvl1_vol
	s_and_saveexec_b64 s[0:1], s[2:3]
	s_cbranch_execz .LBB138_974
; %bb.971:
	v_lshlrev_b32_e32 v16, 9, v13
	v_lshlrev_b32_e32 v11, 3, v1
	ds_read_b64 v[11:12], v11 offset:1024
	ds_read_b64 v[16:17], v16 offset:1040
	v_cmp_gt_u32_e64 s[8:9], 2, v15
	s_waitcnt lgkmcnt(0)
	v_fma_f64 v[11:12], v[11:12], v[16:17], 0
	s_and_saveexec_b64 s[10:11], s[8:9]
	s_cbranch_execz .LBB138_973
; %bb.972:
	v_lshlrev_b32_e32 v15, 3, v0
	v_mov_b32_e32 v17, 0
	ds_read_b64 v[15:16], v15 offset:1536
	ds_read_b64 v[17:18], v17 offset:1560
	s_waitcnt lgkmcnt(0)
	v_fma_f64 v[11:12], v[15:16], v[17:18], v[11:12]
.LBB138_973:
	s_or_b64 exec, exec, s[10:11]
.LBB138_974:
	s_or_b64 exec, exec, s[0:1]
	s_and_saveexec_b64 s[0:1], s[40:41]
	s_cbranch_execz .LBB138_976
; %bb.975:
	v_mov_b32_e32 v15, 0
	ds_read_b64 v[15:16], v15 offset:520
	s_waitcnt lgkmcnt(0)
	v_mul_f64 v[11:12], v[11:12], v[15:16]
	v_xor_b32_e32 v16, 0x80000000, v12
	v_mov_b32_e32 v15, v11
	ds_write_b64 v14, v[15:16]
.LBB138_976:
	s_or_b64 exec, exec, s[0:1]
	s_waitcnt lgkmcnt(0)
	s_barrier
	s_and_saveexec_b64 s[0:1], s[38:39]
	s_cbranch_execz .LBB138_978
; %bb.977:
	v_mov_b32_e32 v15, 0
	ds_read_b64 v[15:16], v15 offset:512
	ds_read_b64 v[17:18], v14
	s_waitcnt lgkmcnt(0)
	v_fma_f64 v[11:12], -v[15:16], v[17:18], v[11:12]
.LBB138_978:
	s_or_b64 exec, exec, s[0:1]
	s_barrier
	s_and_saveexec_b64 s[0:1], s[38:39]
	s_cbranch_execz .LBB138_980
; %bb.979:
	v_mov_b32_e32 v15, 0
	ds_read_b64 v[15:16], v15
	s_waitcnt lgkmcnt(0)
	v_mul_f64 v[11:12], v[11:12], v[15:16]
	v_xor_b32_e32 v16, 0x80000000, v12
	v_mov_b32_e32 v15, v11
	ds_write_b64 v14, v[15:16]
.LBB138_980:
	s_or_b64 exec, exec, s[0:1]
	s_waitcnt lgkmcnt(0)
	s_barrier
	s_barrier
	s_and_saveexec_b64 s[0:1], s[2:3]
; %bb.981:
	v_lshlrev_b32_e32 v1, 3, v1
	v_lshl_or_b32 v1, v13, 9, v1
	ds_write_b64 v1, v[11:12] offset:1024
; %bb.982:
	s_or_b64 exec, exec, s[0:1]
	s_waitcnt lgkmcnt(0)
	s_barrier
	s_barrier
	s_and_saveexec_b64 s[0:1], s[42:43]
	s_cbranch_execz .LBB138_984
; %bb.983:
	v_lshlrev_b32_e32 v1, 3, v0
	s_movk_i32 s2, 0x1f8
	v_mad_u32_u24 v13, v0, s2, v1
	ds_read_b64 v[11:12], v13 offset:1024
	s_waitcnt lgkmcnt(0)
	ds_write_b64 v1, v[11:12] offset:16
	ds_read_b64 v[11:12], v13 offset:1032
	s_waitcnt lgkmcnt(0)
	ds_write_b64 v1, v[11:12] offset:528
.LBB138_984:
	s_or_b64 exec, exec, s[0:1]
	s_waitcnt lgkmcnt(0)
	s_barrier
	s_and_saveexec_b64 s[0:1], vcc
	s_cbranch_execz .LBB138_986
; %bb.985:
	v_mov_b32_e32 v1, 0
	ds_read_b128 v[11:14], v1 offset:512
	ds_read_b64 v[15:16], v1
	s_waitcnt lgkmcnt(0)
	v_mul_f64 v[13:14], v[15:16], v[13:14]
	v_mul_f64 v[11:12], v[11:12], v[13:14]
	ds_write2_b64 v1, v[11:12], v[11:12] offset0:1 offset1:64
.LBB138_986:
	s_or_b64 exec, exec, s[0:1]
.LBB138_987:
	s_lshl_b64 s[0:1], s[28:29], 3
	s_add_u32 s20, s20, s0
	v_cmp_le_i32_e32 vcc, s36, v0
	s_addc_u32 s21, s21, s1
	s_and_b64 s[14:15], vcc, s[26:27]
	v_cmp_eq_u32_e64 s[2:3], 0, v2
	s_xor_b64 s[0:1], s[14:15], -1
	v_mov_b32_e32 v11, 0
	s_and_b64 s[8:9], s[2:3], s[0:1]
	v_mov_b32_e32 v12, 0
	v_add_u32_e32 v13, s33, v0
	s_waitcnt lgkmcnt(0)
	s_barrier
	s_and_saveexec_b64 s[0:1], s[8:9]
	s_cbranch_execz .LBB138_989
; %bb.988:
	v_ashrrev_i32_e32 v1, 31, v13
	v_mul_lo_u32 v14, s31, v13
	v_mad_u64_u32 v[11:12], s[8:9], s30, v13, 0
	v_mul_lo_u32 v1, s30, v1
	v_add3_u32 v12, v12, v1, v14
	v_lshlrev_b64 v[11:12], 3, v[11:12]
	v_mov_b32_e32 v1, s21
	v_add_co_u32_e32 v11, vcc, s20, v11
	v_addc_co_u32_e32 v12, vcc, v1, v12, vcc
	flat_load_dwordx2 v[11:12], v[11:12]
	s_waitcnt vmcnt(0) lgkmcnt(0)
	v_mul_f64 v[11:12], v[11:12], -s[24:25]
.LBB138_989:
	s_or_b64 exec, exec, s[0:1]
	s_load_dwordx2 s[0:1], s[4:5], 0x50
	s_and_b32 s4, 0xffff, s89
	v_mad_u32_u24 v19, v2, s4, v0
	v_mov_b32_e32 v14, 0
	s_cmp_lt_i32 s6, 1
	v_cmp_eq_u32_e64 s[4:5], 0, v19
	s_cbranch_scc1 .LBB138_1015
; %bb.990:
	v_mad_u64_u32 v[15:16], s[8:9], s34, v13, 0
	s_mov_b32 s24, 0
	v_cmp_gt_u32_e64 s[12:13], 64, v19
	v_mov_b32_e32 v1, v16
	v_mad_u64_u32 v[16:17], s[8:9], s35, v13, v[1:2]
	s_lshl_b64 s[8:9], s[22:23], 2
	s_waitcnt lgkmcnt(0)
	s_add_u32 s16, s0, s8
	v_lshlrev_b64 v[15:16], 3, v[15:16]
	s_addc_u32 s17, s1, s9
	v_mov_b32_e32 v17, 0xa000
	v_cmp_gt_i32_e64 s[8:9], s7, v13
	v_mov_b32_e32 v13, s88
	v_add_co_u32_e32 v21, vcc, s37, v15
	v_lshl_add_u32 v1, v19, 3, v17
	v_lshl_or_b32 v20, v2, 3, v17
	s_add_i32 s25, s6, -1
	v_addc_co_u32_e32 v22, vcc, v13, v16, vcc
	v_mov_b32_e32 v23, -1
	s_branch .LBB138_993
.LBB138_991:                            ;   in Loop: Header=BB138_993 Depth=1
	ds_read_b64 v[15:16], v20 offset:384
	s_waitcnt vmcnt(0) lgkmcnt(0)
	v_fma_f64 v[11:12], v[17:18], v[15:16], v[11:12]
.LBB138_992:                            ;   in Loop: Header=BB138_993 Depth=1
	s_or_b64 exec, exec, s[18:19]
	s_add_i32 s24, s24, 1
	s_cmp_eq_u32 s24, s6
	s_cbranch_scc1 .LBB138_1015
.LBB138_993:                            ; =>This Loop Header: Depth=1
                                        ;     Child Loop BB138_995 Depth 2
	v_cmp_gt_i32_e32 vcc, s24, v23
	s_and_b64 s[18:19], s[4:5], vcc
	s_and_saveexec_b64 s[10:11], s[18:19]
	s_cbranch_execz .LBB138_996
; %bb.994:                              ;   in Loop: Header=BB138_993 Depth=1
	global_load_dword v23, v14, s[16:17]
	s_waitcnt vmcnt(0)
	v_cmp_le_i32_e32 vcc, s24, v23
	s_cbranch_vccnz .LBB138_996
.LBB138_995:                            ;   Parent Loop BB138_993 Depth=1
                                        ; =>  This Inner Loop Header: Depth=2
	buffer_wbinvl1_vol
	global_load_dword v23, v14, s[16:17]
	s_waitcnt vmcnt(0)
	v_cmp_gt_i32_e32 vcc, s24, v23
	s_cbranch_vccnz .LBB138_995
.LBB138_996:                            ;   in Loop: Header=BB138_993 Depth=1
	s_or_b64 exec, exec, s[10:11]
	s_lshl_b32 s28, s24, 6
	buffer_wbinvl1_vol
	s_barrier
	s_and_saveexec_b64 s[10:11], s[12:13]
	s_cbranch_execz .LBB138_1000
; %bb.997:                              ;   in Loop: Header=BB138_993 Depth=1
	v_or_b32_e32 v13, s28, v19
	v_mov_b32_e32 v15, 0
	v_mov_b32_e32 v16, 0
	v_cmp_gt_i32_e32 vcc, s7, v13
	s_and_saveexec_b64 s[18:19], vcc
	s_cbranch_execz .LBB138_999
; %bb.998:                              ;   in Loop: Header=BB138_993 Depth=1
	v_mad_u64_u32 v[15:16], s[34:35], s30, v13, 0
	v_mad_u64_u32 v[16:17], s[34:35], s31, v13, v[16:17]
	v_mov_b32_e32 v13, s21
	v_lshlrev_b64 v[15:16], 3, v[15:16]
	v_add_co_u32_e32 v15, vcc, s20, v15
	v_addc_co_u32_e32 v16, vcc, v13, v16, vcc
	flat_load_dwordx2 v[15:16], v[15:16]
.LBB138_999:                            ;   in Loop: Header=BB138_993 Depth=1
	s_or_b64 exec, exec, s[18:19]
	s_waitcnt vmcnt(0) lgkmcnt(0)
	ds_write_b64 v1, v[15:16]
.LBB138_1000:                           ;   in Loop: Header=BB138_993 Depth=1
	s_or_b64 exec, exec, s[10:11]
	v_add_u32_e32 v13, s28, v2
	v_lshlrev_b64 v[15:16], 3, v[13:14]
	s_cmp_lg_u32 s24, s25
	v_add_co_u32_e32 v15, vcc, v21, v15
	s_cselect_b64 s[10:11], -1, 0
	v_addc_co_u32_e32 v16, vcc, v22, v16, vcc
	v_cmp_gt_i32_e32 vcc, s7, v13
	v_cndmask_b32_e64 v17, 0, 1, s[10:11]
	s_and_b64 s[28:29], vcc, s[8:9]
	v_cmp_ne_u32_e64 s[10:11], 1, v17
	s_waitcnt lgkmcnt(0)
	s_barrier
	s_and_saveexec_b64 s[18:19], s[28:29]
	s_cbranch_execz .LBB138_1004
; %bb.1001:                             ;   in Loop: Header=BB138_993 Depth=1
	v_mov_b32_e32 v18, v6
	s_and_b64 vcc, exec, s[10:11]
	v_mov_b32_e32 v17, v5
	s_cbranch_vccnz .LBB138_1003
; %bb.1002:                             ;   in Loop: Header=BB138_993 Depth=1
	flat_load_dwordx2 v[17:18], v[15:16]
.LBB138_1003:                           ;   in Loop: Header=BB138_993 Depth=1
	ds_read_b64 v[24:25], v20
	s_waitcnt vmcnt(0) lgkmcnt(0)
	v_fma_f64 v[11:12], v[17:18], v[24:25], v[11:12]
.LBB138_1004:                           ;   in Loop: Header=BB138_993 Depth=1
	s_or_b64 exec, exec, s[18:19]
	v_add_u32_e32 v17, 16, v13
	v_cmp_gt_i32_e32 vcc, s7, v17
	s_and_b64 s[28:29], vcc, s[8:9]
	s_and_saveexec_b64 s[18:19], s[28:29]
	s_cbranch_execz .LBB138_1008
; %bb.1005:                             ;   in Loop: Header=BB138_993 Depth=1
	v_mov_b32_e32 v18, v4
	s_and_b64 vcc, exec, s[10:11]
	v_mov_b32_e32 v17, v3
	s_cbranch_vccnz .LBB138_1007
; %bb.1006:                             ;   in Loop: Header=BB138_993 Depth=1
	flat_load_dwordx2 v[17:18], v[15:16] offset:128
.LBB138_1007:                           ;   in Loop: Header=BB138_993 Depth=1
	ds_read_b64 v[24:25], v20 offset:128
	s_waitcnt vmcnt(0) lgkmcnt(0)
	v_fma_f64 v[11:12], v[17:18], v[24:25], v[11:12]
.LBB138_1008:                           ;   in Loop: Header=BB138_993 Depth=1
	s_or_b64 exec, exec, s[18:19]
	v_add_u32_e32 v17, 32, v13
	v_cmp_gt_i32_e32 vcc, s7, v17
	s_and_b64 s[28:29], vcc, s[8:9]
	s_and_saveexec_b64 s[18:19], s[28:29]
	s_cbranch_execz .LBB138_1012
; %bb.1009:                             ;   in Loop: Header=BB138_993 Depth=1
	v_mov_b32_e32 v18, v10
	s_and_b64 vcc, exec, s[10:11]
	v_mov_b32_e32 v17, v9
	s_cbranch_vccnz .LBB138_1011
; %bb.1010:                             ;   in Loop: Header=BB138_993 Depth=1
	flat_load_dwordx2 v[17:18], v[15:16] offset:256
.LBB138_1011:                           ;   in Loop: Header=BB138_993 Depth=1
	ds_read_b64 v[24:25], v20 offset:256
	s_waitcnt vmcnt(0) lgkmcnt(0)
	v_fma_f64 v[11:12], v[17:18], v[24:25], v[11:12]
.LBB138_1012:                           ;   in Loop: Header=BB138_993 Depth=1
	s_or_b64 exec, exec, s[18:19]
	v_add_u32_e32 v13, 48, v13
	v_cmp_gt_i32_e32 vcc, s7, v13
	s_and_b64 s[28:29], vcc, s[8:9]
	s_and_saveexec_b64 s[18:19], s[28:29]
	s_cbranch_execz .LBB138_992
; %bb.1013:                             ;   in Loop: Header=BB138_993 Depth=1
	v_mov_b32_e32 v18, v8
	s_and_b64 vcc, exec, s[10:11]
	v_mov_b32_e32 v17, v7
	s_cbranch_vccnz .LBB138_991
; %bb.1014:                             ;   in Loop: Header=BB138_993 Depth=1
	flat_load_dwordx2 v[17:18], v[15:16] offset:384
	s_branch .LBB138_991
.LBB138_1015:
	v_lshl_add_u32 v1, v2, 6, v0
	s_xor_b64 s[4:5], s[26:27], -1
	v_lshlrev_b32_e32 v1, 3, v1
	ds_write_b64 v1, v[11:12] offset:32768
	s_waitcnt lgkmcnt(0)
	s_barrier
	s_and_saveexec_b64 s[6:7], s[2:3]
	s_cbranch_execz .LBB138_1017
; %bb.1016:
	v_lshlrev_b32_e32 v15, 3, v0
	ds_read2st64_b64 v[3:6], v15 offset0:65 offset1:66
	ds_read_b64 v[13:14], v15 offset:40448
	s_waitcnt lgkmcnt(1)
	v_add_f64 v[3:4], v[11:12], v[3:4]
	v_add_f64 v[11:12], v[3:4], v[5:6]
	ds_read2st64_b64 v[3:6], v15 offset0:67 offset1:68
	ds_read2st64_b64 v[7:10], v15 offset0:69 offset1:70
	s_waitcnt lgkmcnt(1)
	v_add_f64 v[3:4], v[11:12], v[3:4]
	v_add_f64 v[3:4], v[3:4], v[5:6]
	s_waitcnt lgkmcnt(0)
	v_add_f64 v[3:4], v[3:4], v[7:8]
	v_add_f64 v[11:12], v[3:4], v[9:10]
	ds_read2st64_b64 v[3:6], v15 offset0:71 offset1:72
	ds_read2st64_b64 v[7:10], v15 offset0:73 offset1:74
	s_waitcnt lgkmcnt(1)
	v_add_f64 v[3:4], v[11:12], v[3:4]
	v_add_f64 v[3:4], v[3:4], v[5:6]
	;; [unrolled: 8-line block ×3, first 2 shown]
	s_waitcnt lgkmcnt(0)
	v_add_f64 v[3:4], v[3:4], v[7:8]
	v_add_f64 v[3:4], v[3:4], v[9:10]
	;; [unrolled: 1-line block ×3, first 2 shown]
	v_xor_b32_e32 v4, 0x80000000, v4
	v_cndmask_b32_e64 v12, v4, 0, s[14:15]
	v_cndmask_b32_e64 v11, v3, 0, s[14:15]
.LBB138_1017:
	s_or_b64 exec, exec, s[6:7]
	s_and_b64 vcc, exec, s[58:59]
	s_cbranch_vccnz .LBB138_1030
; %bb.1018:
	v_mov_b32_e32 v3, 0xa000
	v_lshl_or_b32 v5, v2, 3, v3
	s_and_saveexec_b64 s[6:7], s[2:3]
; %bb.1019:
	v_lshl_add_u32 v3, v0, 3, v5
	ds_write_b64 v3, v[11:12]
; %bb.1020:
	s_or_b64 exec, exec, s[6:7]
	v_mov_b32_e32 v3, 0
	v_mov_b32_e32 v4, 0
	v_cmp_le_u32_e32 vcc, v2, v0
	s_waitcnt lgkmcnt(0)
	s_barrier
	s_and_saveexec_b64 s[6:7], vcc
	s_cbranch_execz .LBB138_1022
; %bb.1021:
	ds_read_b64 v[3:4], v1
	ds_read_b64 v[6:7], v5
	s_waitcnt lgkmcnt(0)
	v_fma_f64 v[3:4], v[3:4], v[6:7], 0
.LBB138_1022:
	s_or_b64 exec, exec, s[6:7]
	v_add_u32_e32 v6, 16, v2
	v_cmp_ge_u32_e32 vcc, v0, v6
	s_and_saveexec_b64 s[6:7], vcc
	s_cbranch_execz .LBB138_1024
; %bb.1023:
	ds_read_b64 v[6:7], v1 offset:8192
	ds_read_b64 v[8:9], v5 offset:128
	s_waitcnt lgkmcnt(0)
	v_fma_f64 v[3:4], v[6:7], v[8:9], v[3:4]
.LBB138_1024:
	s_or_b64 exec, exec, s[6:7]
	v_add_u32_e32 v6, 32, v2
	v_cmp_ge_u32_e32 vcc, v0, v6
	s_and_saveexec_b64 s[6:7], vcc
	s_cbranch_execz .LBB138_1026
; %bb.1025:
	ds_read_b64 v[6:7], v1 offset:16384
	ds_read_b64 v[8:9], v5 offset:256
	s_waitcnt lgkmcnt(0)
	v_fma_f64 v[3:4], v[6:7], v[8:9], v[3:4]
.LBB138_1026:
	s_or_b64 exec, exec, s[6:7]
	v_add_u32_e32 v2, 48, v2
	v_add_u32_e32 v6, 0x8000, v1
	v_cmp_ge_u32_e32 vcc, v0, v2
	s_and_saveexec_b64 s[6:7], vcc
	s_cbranch_execz .LBB138_1028
; %bb.1027:
	ds_read_b64 v[1:2], v1 offset:24576
	ds_read_b64 v[7:8], v5 offset:384
	s_waitcnt lgkmcnt(0)
	v_fma_f64 v[3:4], v[1:2], v[7:8], v[3:4]
.LBB138_1028:
	s_or_b64 exec, exec, s[6:7]
	s_mov_b64 s[8:9], 0
	s_mov_b64 s[6:7], 0
	ds_write_b64 v6, v[3:4]
	s_waitcnt lgkmcnt(0)
	s_barrier
                                        ; implicit-def: $vgpr5_vgpr6
                                        ; implicit-def: $vgpr1_vgpr2
	s_and_saveexec_b64 s[10:11], s[2:3]
	s_cbranch_execz .LBB138_1087
; %bb.1029:
	v_lshlrev_b32_e32 v15, 3, v0
	ds_read2st64_b64 v[5:8], v15 offset0:65 offset1:66
	ds_read_b64 v[9:10], v15 offset:40448
	s_mov_b64 s[6:7], exec
	s_waitcnt lgkmcnt(1)
	v_add_f64 v[1:2], v[3:4], v[5:6]
	v_add_f64 v[13:14], v[7:8], v[1:2]
	ds_read2st64_b64 v[1:4], v15 offset0:67 offset1:68
	ds_read2st64_b64 v[5:8], v15 offset0:69 offset1:70
	s_waitcnt lgkmcnt(1)
	v_add_f64 v[1:2], v[1:2], v[13:14]
	v_add_f64 v[1:2], v[3:4], v[1:2]
	s_waitcnt lgkmcnt(0)
	v_add_f64 v[1:2], v[5:6], v[1:2]
	v_add_f64 v[13:14], v[7:8], v[1:2]
	ds_read2st64_b64 v[1:4], v15 offset0:71 offset1:72
	ds_read2st64_b64 v[5:8], v15 offset0:73 offset1:74
	s_waitcnt lgkmcnt(1)
	v_add_f64 v[1:2], v[1:2], v[13:14]
	v_add_f64 v[1:2], v[3:4], v[1:2]
	;; [unrolled: 8-line block ×3, first 2 shown]
	s_waitcnt lgkmcnt(0)
	v_add_f64 v[1:2], v[5:6], v[1:2]
	v_add_f64 v[3:4], v[7:8], v[1:2]
	v_add_u32_e32 v7, s33, v19
	v_mad_u64_u32 v[1:2], s[12:13], s30, v7, 0
	v_add_f64 v[5:6], v[9:10], v[3:4]
	v_mad_u64_u32 v[2:3], s[12:13], s31, v7, v[2:3]
	s_or_b64 exec, exec, s[10:11]
	s_and_b64 vcc, exec, s[8:9]
	s_cbranch_vccnz .LBB138_1031
	s_branch .LBB138_1088
.LBB138_1030:
	s_mov_b64 s[6:7], 0
                                        ; implicit-def: $vgpr5_vgpr6
                                        ; implicit-def: $vgpr1_vgpr2
	s_cbranch_execz .LBB138_1088
.LBB138_1031:
	v_mul_u32_u24_e32 v1, 0x208, v0
	v_lshlrev_b32_e32 v2, 9, v0
	v_sub_u32_e32 v2, v1, v2
	s_mov_b32 s10, 0
	v_mov_b32_e32 v3, 0
	v_mov_b32_e32 v4, v0
	s_branch .LBB138_1033
.LBB138_1032:                           ;   in Loop: Header=BB138_1033 Depth=1
	s_or_b64 exec, exec, s[8:9]
	s_add_i32 s10, s10, 4
	v_add_u32_e32 v2, 0x800, v2
	s_cmp_lg_u32 s10, 64
	v_add_u32_e32 v4, -4, v4
	s_barrier
	s_cbranch_scc0 .LBB138_1049
.LBB138_1033:                           ; =>This Inner Loop Header: Depth=1
	v_cmp_eq_u32_e32 vcc, 0, v4
	s_and_b64 s[12:13], s[2:3], vcc
	s_and_saveexec_b64 s[8:9], s[12:13]
	s_cbranch_execz .LBB138_1035
; %bb.1034:                             ;   in Loop: Header=BB138_1033 Depth=1
	ds_read_b64 v[5:6], v1
	s_waitcnt lgkmcnt(0)
	v_mul_f64 v[11:12], v[11:12], v[5:6]
	ds_write_b64 v3, v[11:12] offset:41472
.LBB138_1035:                           ;   in Loop: Header=BB138_1033 Depth=1
	s_or_b64 exec, exec, s[8:9]
	v_cmp_lt_u32_e32 vcc, s10, v0
	s_and_b64 s[12:13], s[2:3], vcc
	s_waitcnt lgkmcnt(0)
	s_barrier
	s_and_saveexec_b64 s[8:9], s[12:13]
	s_cbranch_execz .LBB138_1037
; %bb.1036:                             ;   in Loop: Header=BB138_1033 Depth=1
	ds_read_b64 v[5:6], v2
	ds_read_b64 v[7:8], v3 offset:41472
	s_waitcnt lgkmcnt(0)
	v_fma_f64 v[11:12], v[5:6], v[7:8], v[11:12]
.LBB138_1037:                           ;   in Loop: Header=BB138_1033 Depth=1
	s_or_b64 exec, exec, s[8:9]
	s_or_b32 s11, s10, 1
	v_cmp_eq_u32_e32 vcc, s11, v0
	s_and_b64 s[12:13], s[2:3], vcc
	s_barrier
	s_and_saveexec_b64 s[8:9], s[12:13]
	s_cbranch_execz .LBB138_1039
; %bb.1038:                             ;   in Loop: Header=BB138_1033 Depth=1
	ds_read_b64 v[5:6], v1
	s_waitcnt lgkmcnt(0)
	v_mul_f64 v[11:12], v[11:12], v[5:6]
	ds_write_b64 v3, v[11:12] offset:41472
.LBB138_1039:                           ;   in Loop: Header=BB138_1033 Depth=1
	s_or_b64 exec, exec, s[8:9]
	v_cmp_lt_u32_e32 vcc, s11, v0
	s_and_b64 s[12:13], s[2:3], vcc
	s_waitcnt lgkmcnt(0)
	s_barrier
	s_and_saveexec_b64 s[8:9], s[12:13]
	s_cbranch_execz .LBB138_1041
; %bb.1040:                             ;   in Loop: Header=BB138_1033 Depth=1
	ds_read_b64 v[5:6], v2 offset:512
	ds_read_b64 v[7:8], v3 offset:41472
	s_waitcnt lgkmcnt(0)
	v_fma_f64 v[11:12], v[5:6], v[7:8], v[11:12]
.LBB138_1041:                           ;   in Loop: Header=BB138_1033 Depth=1
	s_or_b64 exec, exec, s[8:9]
	s_or_b32 s11, s10, 2
	v_cmp_eq_u32_e32 vcc, s11, v0
	s_and_b64 s[12:13], s[2:3], vcc
	s_barrier
	s_and_saveexec_b64 s[8:9], s[12:13]
	s_cbranch_execz .LBB138_1043
; %bb.1042:                             ;   in Loop: Header=BB138_1033 Depth=1
	ds_read_b64 v[5:6], v1
	s_waitcnt lgkmcnt(0)
	v_mul_f64 v[11:12], v[11:12], v[5:6]
	ds_write_b64 v3, v[11:12] offset:41472
.LBB138_1043:                           ;   in Loop: Header=BB138_1033 Depth=1
	s_or_b64 exec, exec, s[8:9]
	v_cmp_lt_u32_e32 vcc, s11, v0
	s_and_b64 s[12:13], s[2:3], vcc
	s_waitcnt lgkmcnt(0)
	s_barrier
	s_and_saveexec_b64 s[8:9], s[12:13]
	s_cbranch_execz .LBB138_1045
; %bb.1044:                             ;   in Loop: Header=BB138_1033 Depth=1
	ds_read_b64 v[5:6], v2 offset:1024
	ds_read_b64 v[7:8], v3 offset:41472
	s_waitcnt lgkmcnt(0)
	v_fma_f64 v[11:12], v[5:6], v[7:8], v[11:12]
.LBB138_1045:                           ;   in Loop: Header=BB138_1033 Depth=1
	s_or_b64 exec, exec, s[8:9]
	s_or_b32 s11, s10, 3
	v_cmp_eq_u32_e32 vcc, s11, v0
	s_and_b64 s[12:13], s[2:3], vcc
	s_barrier
	s_and_saveexec_b64 s[8:9], s[12:13]
	s_cbranch_execz .LBB138_1047
; %bb.1046:                             ;   in Loop: Header=BB138_1033 Depth=1
	ds_read_b64 v[5:6], v1
	s_waitcnt lgkmcnt(0)
	v_mul_f64 v[11:12], v[11:12], v[5:6]
	ds_write_b64 v3, v[11:12] offset:41472
.LBB138_1047:                           ;   in Loop: Header=BB138_1033 Depth=1
	s_or_b64 exec, exec, s[8:9]
	v_cmp_lt_u32_e32 vcc, s11, v0
	s_and_b64 s[12:13], s[2:3], vcc
	s_waitcnt lgkmcnt(0)
	s_barrier
	s_and_saveexec_b64 s[8:9], s[12:13]
	s_cbranch_execz .LBB138_1032
; %bb.1048:                             ;   in Loop: Header=BB138_1033 Depth=1
	ds_read_b64 v[5:6], v2 offset:1536
	ds_read_b64 v[7:8], v3 offset:41472
	s_waitcnt lgkmcnt(0)
	v_fma_f64 v[11:12], v[5:6], v[7:8], v[11:12]
	s_branch .LBB138_1032
.LBB138_1049:
	s_and_b64 vcc, exec, s[4:5]
	s_cbranch_vccz .LBB138_1089
; %bb.1050:
	s_and_b64 s[4:5], s[2:3], exec
	s_cbranch_execz .LBB138_1090
	s_branch .LBB138_1091
.LBB138_1051:
	v_cmp_ne_u32_e32 vcc, v0, v2
	s_and_saveexec_b64 s[12:13], vcc
	s_xor_b64 s[12:13], exec, s[12:13]
; %bb.1052:
	v_or_b32_e32 v1, v2, v0
	v_cmp_gt_u32_e32 vcc, 64, v1
	s_and_b64 s[10:11], vcc, exec
                                        ; implicit-def: $vgpr15_vgpr16
; %bb.1053:
	s_or_saveexec_b64 s[12:13], s[12:13]
	v_mov_b32_e32 v13, 0
	v_mov_b32_e32 v14, 0
	s_xor_b64 exec, exec, s[12:13]
	s_cbranch_execz .LBB138_1055
; %bb.1054:
	v_lshlrev_b64 v[13:14], 3, v[15:16]
	v_mov_b32_e32 v1, s88
	v_add_co_u32_e32 v13, vcc, s37, v13
	v_addc_co_u32_e32 v14, vcc, v1, v14, vcc
	flat_load_dwordx2 v[13:14], v[13:14]
	s_or_b64 s[10:11], s[10:11], exec
	s_waitcnt vmcnt(0) lgkmcnt(0)
	v_div_scale_f64 v[15:16], s[14:15], v[13:14], v[13:14], 1.0
	v_div_scale_f64 v[22:23], vcc, 1.0, v[13:14], 1.0
	v_rcp_f64_e32 v[18:19], v[15:16]
	v_fma_f64 v[20:21], -v[15:16], v[18:19], 1.0
	v_fma_f64 v[18:19], v[18:19], v[20:21], v[18:19]
	v_fma_f64 v[20:21], -v[15:16], v[18:19], 1.0
	v_fma_f64 v[18:19], v[18:19], v[20:21], v[18:19]
	v_mul_f64 v[20:21], v[22:23], v[18:19]
	v_fma_f64 v[15:16], -v[15:16], v[20:21], v[22:23]
	v_div_fmas_f64 v[15:16], v[15:16], v[18:19], v[20:21]
	v_div_fixup_f64 v[13:14], v[15:16], v[13:14], 1.0
.LBB138_1055:
	s_or_b64 exec, exec, s[12:13]
	s_and_b64 s[10:11], s[10:11], exec
                                        ; implicit-def: $vgpr15_vgpr16
	s_andn2_saveexec_b64 s[8:9], s[8:9]
	s_cbranch_execz .LBB138_14
.LBB138_1056:
	v_lshlrev_b64 v[13:14], 3, v[15:16]
	v_mov_b32_e32 v1, s88
	v_add_co_u32_e32 v13, vcc, s37, v13
	v_addc_co_u32_e32 v14, vcc, v1, v14, vcc
	flat_load_dwordx2 v[13:14], v[13:14]
	s_or_b64 s[10:11], s[10:11], exec
	s_waitcnt vmcnt(0) lgkmcnt(0)
	v_xor_b32_e32 v14, 0x80000000, v14
	s_or_b64 exec, exec, s[8:9]
	s_and_saveexec_b64 s[8:9], s[10:11]
	s_cbranch_execnz .LBB138_15
	s_branch .LBB138_16
.LBB138_1057:
	v_cmp_ne_u32_e32 vcc, v0, v1
	s_and_saveexec_b64 s[10:11], vcc
	s_xor_b64 s[10:11], exec, s[10:11]
; %bb.1058:
	v_or_b32_e32 v13, v1, v0
	v_cmp_gt_u32_e32 vcc, 64, v13
	s_and_b64 s[8:9], vcc, exec
                                        ; implicit-def: $vgpr15_vgpr16
; %bb.1059:
	s_or_saveexec_b64 s[10:11], s[10:11]
	v_mov_b32_e32 v13, 0
	v_mov_b32_e32 v14, 0
	s_xor_b64 exec, exec, s[10:11]
	s_cbranch_execz .LBB138_1061
; %bb.1060:
	v_lshlrev_b64 v[13:14], 3, v[15:16]
	v_mov_b32_e32 v15, s88
	v_add_co_u32_e32 v13, vcc, s37, v13
	v_addc_co_u32_e32 v14, vcc, v15, v14, vcc
	flat_load_dwordx2 v[13:14], v[13:14]
	s_or_b64 s[8:9], s[8:9], exec
	s_waitcnt vmcnt(0) lgkmcnt(0)
	v_div_scale_f64 v[15:16], s[12:13], v[13:14], v[13:14], 1.0
	v_div_scale_f64 v[22:23], vcc, 1.0, v[13:14], 1.0
	v_rcp_f64_e32 v[18:19], v[15:16]
	v_fma_f64 v[20:21], -v[15:16], v[18:19], 1.0
	v_fma_f64 v[18:19], v[18:19], v[20:21], v[18:19]
	v_fma_f64 v[20:21], -v[15:16], v[18:19], 1.0
	v_fma_f64 v[18:19], v[18:19], v[20:21], v[18:19]
	v_mul_f64 v[20:21], v[22:23], v[18:19]
	v_fma_f64 v[15:16], -v[15:16], v[20:21], v[22:23]
	v_div_fmas_f64 v[15:16], v[15:16], v[18:19], v[20:21]
	v_div_fixup_f64 v[13:14], v[15:16], v[13:14], 1.0
.LBB138_1061:
	s_or_b64 exec, exec, s[10:11]
	s_and_b64 s[8:9], s[8:9], exec
                                        ; implicit-def: $vgpr15_vgpr16
	s_andn2_saveexec_b64 s[2:3], s[2:3]
	s_cbranch_execz .LBB138_18
.LBB138_1062:
	v_lshlrev_b64 v[13:14], 3, v[15:16]
	v_mov_b32_e32 v15, s88
	v_add_co_u32_e32 v13, vcc, s37, v13
	v_addc_co_u32_e32 v14, vcc, v15, v14, vcc
	flat_load_dwordx2 v[13:14], v[13:14]
	s_or_b64 s[8:9], s[8:9], exec
	s_waitcnt vmcnt(0) lgkmcnt(0)
	v_xor_b32_e32 v14, 0x80000000, v14
	s_or_b64 exec, exec, s[2:3]
	s_and_saveexec_b64 s[2:3], s[8:9]
	s_cbranch_execnz .LBB138_19
	s_branch .LBB138_20
.LBB138_1063:
	v_cmp_ne_u32_e32 vcc, v0, v1
	s_and_saveexec_b64 s[10:11], vcc
	s_xor_b64 s[10:11], exec, s[10:11]
; %bb.1064:
	v_or_b32_e32 v13, v1, v0
	v_cmp_gt_u32_e32 vcc, 64, v13
	s_and_b64 s[8:9], vcc, exec
                                        ; implicit-def: $vgpr15_vgpr16
; %bb.1065:
	s_or_saveexec_b64 s[10:11], s[10:11]
	v_mov_b32_e32 v13, 0
	v_mov_b32_e32 v14, 0
	s_xor_b64 exec, exec, s[10:11]
	s_cbranch_execz .LBB138_1067
; %bb.1066:
	v_lshlrev_b64 v[13:14], 3, v[15:16]
	v_mov_b32_e32 v15, s88
	v_add_co_u32_e32 v13, vcc, s37, v13
	v_addc_co_u32_e32 v14, vcc, v15, v14, vcc
	flat_load_dwordx2 v[13:14], v[13:14]
	s_or_b64 s[8:9], s[8:9], exec
	s_waitcnt vmcnt(0) lgkmcnt(0)
	v_div_scale_f64 v[15:16], s[12:13], v[13:14], v[13:14], 1.0
	v_div_scale_f64 v[22:23], vcc, 1.0, v[13:14], 1.0
	v_rcp_f64_e32 v[18:19], v[15:16]
	v_fma_f64 v[20:21], -v[15:16], v[18:19], 1.0
	v_fma_f64 v[18:19], v[18:19], v[20:21], v[18:19]
	v_fma_f64 v[20:21], -v[15:16], v[18:19], 1.0
	v_fma_f64 v[18:19], v[18:19], v[20:21], v[18:19]
	v_mul_f64 v[20:21], v[22:23], v[18:19]
	v_fma_f64 v[15:16], -v[15:16], v[20:21], v[22:23]
	v_div_fmas_f64 v[15:16], v[15:16], v[18:19], v[20:21]
	v_div_fixup_f64 v[13:14], v[15:16], v[13:14], 1.0
.LBB138_1067:
	s_or_b64 exec, exec, s[10:11]
	s_and_b64 s[8:9], s[8:9], exec
                                        ; implicit-def: $vgpr15_vgpr16
	s_andn2_saveexec_b64 s[2:3], s[2:3]
	s_cbranch_execz .LBB138_22
.LBB138_1068:
	v_lshlrev_b64 v[13:14], 3, v[15:16]
	v_mov_b32_e32 v15, s88
	v_add_co_u32_e32 v13, vcc, s37, v13
	v_addc_co_u32_e32 v14, vcc, v15, v14, vcc
	flat_load_dwordx2 v[13:14], v[13:14]
	s_or_b64 s[8:9], s[8:9], exec
	s_waitcnt vmcnt(0) lgkmcnt(0)
	v_xor_b32_e32 v14, 0x80000000, v14
	s_or_b64 exec, exec, s[2:3]
	s_and_saveexec_b64 s[2:3], s[8:9]
	s_cbranch_execnz .LBB138_23
	s_branch .LBB138_24
.LBB138_1069:
	v_cmp_ne_u32_e32 vcc, v0, v2
	s_xor_b64 s[12:13], s[2:3], -1
	s_or_b64 s[14:15], s[12:13], vcc
	s_mov_b64 s[12:13], 0
	s_and_saveexec_b64 s[16:17], s[14:15]
	s_xor_b64 s[14:15], exec, s[16:17]
; %bb.1070:
	v_or_b32_e32 v1, v2, v0
	v_cmp_gt_u32_e32 vcc, 64, v1
	s_and_b64 s[12:13], vcc, exec
                                        ; implicit-def: $vgpr13_vgpr14
; %bb.1071:
	s_or_saveexec_b64 s[14:15], s[14:15]
	v_mov_b32_e32 v15, 0
	v_mov_b32_e32 v16, 0
	s_xor_b64 exec, exec, s[14:15]
	s_cbranch_execz .LBB138_1073
; %bb.1072:
	v_lshlrev_b64 v[13:14], 3, v[13:14]
	v_mov_b32_e32 v1, s88
	v_add_co_u32_e32 v13, vcc, s37, v13
	v_addc_co_u32_e32 v14, vcc, v1, v14, vcc
	flat_load_dwordx2 v[13:14], v[13:14]
	s_or_b64 s[12:13], s[12:13], exec
	s_waitcnt vmcnt(0) lgkmcnt(0)
	v_div_scale_f64 v[15:16], s[16:17], v[13:14], v[13:14], 1.0
	v_div_scale_f64 v[22:23], vcc, 1.0, v[13:14], 1.0
	v_rcp_f64_e32 v[18:19], v[15:16]
	v_fma_f64 v[20:21], -v[15:16], v[18:19], 1.0
	v_fma_f64 v[18:19], v[18:19], v[20:21], v[18:19]
	v_fma_f64 v[20:21], -v[15:16], v[18:19], 1.0
	v_fma_f64 v[18:19], v[18:19], v[20:21], v[18:19]
	v_mul_f64 v[20:21], v[22:23], v[18:19]
	v_fma_f64 v[15:16], -v[15:16], v[20:21], v[22:23]
	v_div_fmas_f64 v[15:16], v[15:16], v[18:19], v[20:21]
	v_div_fixup_f64 v[15:16], v[15:16], v[13:14], 1.0
.LBB138_1073:
	s_or_b64 exec, exec, s[14:15]
	s_and_b64 s[12:13], s[12:13], exec
                                        ; implicit-def: $vgpr13_vgpr14
	s_andn2_saveexec_b64 s[8:9], s[8:9]
	s_cbranch_execz .LBB138_36
.LBB138_1074:
	v_lshlrev_b64 v[13:14], 3, v[13:14]
	v_mov_b32_e32 v1, s88
	v_add_co_u32_e32 v13, vcc, s37, v13
	v_addc_co_u32_e32 v14, vcc, v1, v14, vcc
	flat_load_dwordx2 v[15:16], v[13:14]
	s_or_b64 s[12:13], s[12:13], exec
	s_waitcnt vmcnt(0) lgkmcnt(0)
	v_xor_b32_e32 v16, 0x80000000, v16
	s_or_b64 exec, exec, s[8:9]
	s_and_saveexec_b64 s[8:9], s[12:13]
	s_cbranch_execnz .LBB138_37
	s_branch .LBB138_38
.LBB138_1075:
	v_cmp_ne_u32_e32 vcc, v0, v1
	s_xor_b64 s[12:13], s[2:3], -1
	s_or_b64 s[14:15], s[12:13], vcc
	s_mov_b64 s[12:13], 0
	s_and_saveexec_b64 s[16:17], s[14:15]
	s_xor_b64 s[14:15], exec, s[16:17]
; %bb.1076:
	v_or_b32_e32 v13, v1, v0
	v_cmp_gt_u32_e32 vcc, 64, v13
	s_and_b64 s[12:13], vcc, exec
                                        ; implicit-def: $vgpr13_vgpr14
; %bb.1077:
	s_or_saveexec_b64 s[14:15], s[14:15]
	v_mov_b32_e32 v15, 0
	v_mov_b32_e32 v16, 0
	s_xor_b64 exec, exec, s[14:15]
	s_cbranch_execz .LBB138_1079
; %bb.1078:
	v_lshlrev_b64 v[13:14], 3, v[13:14]
	v_mov_b32_e32 v15, s88
	v_add_co_u32_e32 v13, vcc, s37, v13
	v_addc_co_u32_e32 v14, vcc, v15, v14, vcc
	flat_load_dwordx2 v[13:14], v[13:14]
	s_or_b64 s[12:13], s[12:13], exec
	s_waitcnt vmcnt(0) lgkmcnt(0)
	v_div_scale_f64 v[15:16], s[16:17], v[13:14], v[13:14], 1.0
	v_div_scale_f64 v[22:23], vcc, 1.0, v[13:14], 1.0
	v_rcp_f64_e32 v[18:19], v[15:16]
	v_fma_f64 v[20:21], -v[15:16], v[18:19], 1.0
	v_fma_f64 v[18:19], v[18:19], v[20:21], v[18:19]
	v_fma_f64 v[20:21], -v[15:16], v[18:19], 1.0
	v_fma_f64 v[18:19], v[18:19], v[20:21], v[18:19]
	v_mul_f64 v[20:21], v[22:23], v[18:19]
	v_fma_f64 v[15:16], -v[15:16], v[20:21], v[22:23]
	v_div_fmas_f64 v[15:16], v[15:16], v[18:19], v[20:21]
	v_div_fixup_f64 v[15:16], v[15:16], v[13:14], 1.0
.LBB138_1079:
	s_or_b64 exec, exec, s[14:15]
	s_and_b64 s[12:13], s[12:13], exec
                                        ; implicit-def: $vgpr13_vgpr14
	s_andn2_saveexec_b64 s[8:9], s[8:9]
	s_cbranch_execz .LBB138_40
.LBB138_1080:
	v_lshlrev_b64 v[13:14], 3, v[13:14]
	v_mov_b32_e32 v15, s88
	v_add_co_u32_e32 v13, vcc, s37, v13
	v_addc_co_u32_e32 v14, vcc, v15, v14, vcc
	flat_load_dwordx2 v[15:16], v[13:14]
	s_or_b64 s[12:13], s[12:13], exec
	s_waitcnt vmcnt(0) lgkmcnt(0)
	v_xor_b32_e32 v16, 0x80000000, v16
	s_or_b64 exec, exec, s[8:9]
	s_and_saveexec_b64 s[8:9], s[12:13]
	s_cbranch_execnz .LBB138_41
	s_branch .LBB138_42
.LBB138_1081:
	v_cmp_ne_u32_e32 vcc, v0, v1
	s_xor_b64 s[12:13], s[2:3], -1
	s_or_b64 s[14:15], s[12:13], vcc
	s_mov_b64 s[12:13], 0
	s_and_saveexec_b64 s[16:17], s[14:15]
	s_xor_b64 s[14:15], exec, s[16:17]
; %bb.1082:
	v_or_b32_e32 v13, v1, v0
	v_cmp_gt_u32_e32 vcc, 64, v13
	s_and_b64 s[12:13], vcc, exec
                                        ; implicit-def: $vgpr13_vgpr14
; %bb.1083:
	s_or_saveexec_b64 s[14:15], s[14:15]
	v_mov_b32_e32 v15, 0
	v_mov_b32_e32 v16, 0
	s_xor_b64 exec, exec, s[14:15]
	s_cbranch_execz .LBB138_1085
; %bb.1084:
	v_lshlrev_b64 v[13:14], 3, v[13:14]
	v_mov_b32_e32 v15, s88
	v_add_co_u32_e32 v13, vcc, s37, v13
	v_addc_co_u32_e32 v14, vcc, v15, v14, vcc
	flat_load_dwordx2 v[13:14], v[13:14]
	s_or_b64 s[12:13], s[12:13], exec
	s_waitcnt vmcnt(0) lgkmcnt(0)
	v_div_scale_f64 v[15:16], s[16:17], v[13:14], v[13:14], 1.0
	v_div_scale_f64 v[22:23], vcc, 1.0, v[13:14], 1.0
	v_rcp_f64_e32 v[18:19], v[15:16]
	v_fma_f64 v[20:21], -v[15:16], v[18:19], 1.0
	v_fma_f64 v[18:19], v[18:19], v[20:21], v[18:19]
	v_fma_f64 v[20:21], -v[15:16], v[18:19], 1.0
	v_fma_f64 v[18:19], v[18:19], v[20:21], v[18:19]
	v_mul_f64 v[20:21], v[22:23], v[18:19]
	v_fma_f64 v[15:16], -v[15:16], v[20:21], v[22:23]
	v_div_fmas_f64 v[15:16], v[15:16], v[18:19], v[20:21]
	v_div_fixup_f64 v[15:16], v[15:16], v[13:14], 1.0
.LBB138_1085:
	s_or_b64 exec, exec, s[14:15]
	s_and_b64 s[12:13], s[12:13], exec
                                        ; implicit-def: $vgpr13_vgpr14
	s_andn2_saveexec_b64 s[8:9], s[8:9]
	s_cbranch_execz .LBB138_44
.LBB138_1086:
	v_lshlrev_b64 v[13:14], 3, v[13:14]
	v_mov_b32_e32 v15, s88
	v_add_co_u32_e32 v13, vcc, s37, v13
	v_addc_co_u32_e32 v14, vcc, v15, v14, vcc
	flat_load_dwordx2 v[15:16], v[13:14]
	s_or_b64 s[12:13], s[12:13], exec
	s_waitcnt vmcnt(0) lgkmcnt(0)
	v_xor_b32_e32 v16, 0x80000000, v16
	s_or_b64 exec, exec, s[8:9]
	s_and_saveexec_b64 s[8:9], s[12:13]
	s_cbranch_execnz .LBB138_45
	s_branch .LBB138_46
.LBB138_1087:
	s_or_b64 exec, exec, s[10:11]
	s_and_b64 vcc, exec, s[8:9]
	s_cbranch_vccnz .LBB138_1031
.LBB138_1088:
	v_mov_b32_e32 v12, v6
	v_mov_b32_e32 v11, v5
	s_and_saveexec_b64 s[2:3], s[6:7]
	s_cbranch_execnz .LBB138_1094
	s_branch .LBB138_1095
.LBB138_1089:
	s_mov_b64 s[4:5], 0
.LBB138_1090:
	v_cmp_gt_i32_e32 vcc, s36, v0
	s_and_b64 s[2:3], s[2:3], vcc
	s_andn2_b64 s[4:5], s[4:5], exec
	s_and_b64 s[2:3], s[2:3], exec
	s_or_b64 s[4:5], s[4:5], s[2:3]
.LBB138_1091:
                                        ; implicit-def: $vgpr1_vgpr2
	s_and_saveexec_b64 s[2:3], s[4:5]
	s_cbranch_execz .LBB138_1093
; %bb.1092:
	v_mov_b32_e32 v0, s46
	v_add_co_u32_e32 v1, vcc, s33, v19
	v_addc_co_u32_e32 v0, vcc, 0, v0, vcc
	v_mul_lo_u32 v0, v0, s30
	v_mul_lo_u32 v3, v1, s31
	v_mad_u64_u32 v[1:2], s[4:5], v1, s30, 0
	s_or_b64 s[6:7], s[6:7], exec
	v_add3_u32 v2, v2, v3, v0
.LBB138_1093:
	s_or_b64 exec, exec, s[2:3]
	s_and_saveexec_b64 s[2:3], s[6:7]
	s_cbranch_execz .LBB138_1095
.LBB138_1094:
	v_lshlrev_b64 v[0:1], 3, v[1:2]
	v_mov_b32_e32 v2, s21
	v_add_co_u32_e32 v0, vcc, s20, v0
	v_addc_co_u32_e32 v1, vcc, v2, v1, vcc
	flat_store_dwordx2 v[0:1], v[11:12]
.LBB138_1095:
	s_or_b64 exec, exec, s[2:3]
	v_cmp_eq_u32_e32 vcc, 0, v19
	s_waitcnt vmcnt(0) lgkmcnt(0)
	buffer_wbinvl1_vol
	s_barrier
	s_and_saveexec_b64 s[2:3], vcc
	s_cbranch_execz .LBB138_1097
; %bb.1096:
	s_lshl_b64 s[4:5], s[22:23], 2
	s_add_u32 s0, s0, s4
	s_addc_u32 s1, s1, s5
	v_mov_b32_e32 v0, 0
	global_load_dword v1, v0, s[0:1]
	s_waitcnt vmcnt(0)
	v_add_u32_e32 v1, 1, v1
	global_store_dword v0, v1, s[0:1]
.LBB138_1097:
	s_or_b64 exec, exec, s[2:3]
	s_waitcnt vmcnt(0)
	buffer_wbinvl1_vol
	s_endpgm
.LBB138_1098:
	ds_read_b64 v[21:22], v20 offset:31680
	ds_read_b64 v[23:24], v19 offset:31208
	s_waitcnt lgkmcnt(0)
	v_fma_f64 v[11:12], v[21:22], v[23:24], v[11:12]
	s_or_b64 exec, exec, s[14:15]
	v_cmp_gt_u32_e64 s[10:11], 8, v15
	s_and_saveexec_b64 s[14:15], s[10:11]
	s_cbranch_execz .LBB138_79
.LBB138_1099:
	ds_read_b64 v[20:21], v20 offset:32192
	ds_read_b64 v[22:23], v19 offset:31216
	s_waitcnt lgkmcnt(0)
	v_fma_f64 v[11:12], v[20:21], v[22:23], v[11:12]
	s_or_b64 exec, exec, s[14:15]
	v_cmp_gt_u32_e64 s[10:11], 4, v15
	s_and_saveexec_b64 s[14:15], s[10:11]
	s_cbranch_execnz .LBB138_80
	s_branch .LBB138_81
.LBB138_1100:
	ds_read_b64 v[24:25], v23 offset:29568
	ds_read_b64 v[26:27], v22 offset:29128
	s_waitcnt lgkmcnt(0)
	v_fma_f64 v[11:12], v[24:25], v[26:27], v[11:12]
	s_or_b64 exec, exec, s[16:17]
	v_cmp_gt_u32_e64 s[14:15], 48, v15
	s_and_saveexec_b64 s[16:17], s[14:15]
	s_cbranch_execz .LBB138_121
.LBB138_1101:
	ds_read_b64 v[24:25], v23 offset:30080
	ds_read_b64 v[26:27], v22 offset:29136
	s_waitcnt lgkmcnt(0)
	v_fma_f64 v[11:12], v[24:25], v[26:27], v[11:12]
	s_or_b64 exec, exec, s[16:17]
	v_cmp_gt_u32_e64 s[14:15], 40, v15
	s_and_saveexec_b64 s[16:17], s[14:15]
	s_cbranch_execz .LBB138_122
.LBB138_1102:
	ds_read_b64 v[24:25], v23 offset:30592
	ds_read_b64 v[26:27], v22 offset:29144
	s_waitcnt lgkmcnt(0)
	v_fma_f64 v[11:12], v[24:25], v[26:27], v[11:12]
	s_or_b64 exec, exec, s[16:17]
	v_cmp_gt_u32_e64 s[14:15], 32, v15
	s_and_saveexec_b64 s[16:17], s[14:15]
	s_cbranch_execz .LBB138_123
.LBB138_1103:
	ds_read_b64 v[24:25], v23 offset:31104
	ds_read_b64 v[26:27], v22 offset:29152
	s_waitcnt lgkmcnt(0)
	v_fma_f64 v[11:12], v[24:25], v[26:27], v[11:12]
	s_or_b64 exec, exec, s[16:17]
	v_cmp_gt_u32_e64 s[14:15], 24, v15
	s_and_saveexec_b64 s[16:17], s[14:15]
	s_cbranch_execz .LBB138_124
.LBB138_1104:
	ds_read_b64 v[24:25], v23 offset:31616
	ds_read_b64 v[26:27], v22 offset:29160
	s_waitcnt lgkmcnt(0)
	v_fma_f64 v[11:12], v[24:25], v[26:27], v[11:12]
	s_or_b64 exec, exec, s[16:17]
	s_and_saveexec_b64 s[14:15], s[18:19]
	s_cbranch_execz .LBB138_125
.LBB138_1105:
	ds_read_b64 v[23:24], v23 offset:32128
	ds_read_b64 v[25:26], v22 offset:29168
	s_waitcnt lgkmcnt(0)
	v_fma_f64 v[11:12], v[23:24], v[25:26], v[11:12]
	s_or_b64 exec, exec, s[14:15]
	v_cmp_gt_u32_e64 s[14:15], 8, v15
	s_and_saveexec_b64 s[16:17], s[14:15]
	s_cbranch_execnz .LBB138_126
	s_branch .LBB138_127
.LBB138_1106:
	ds_read_b64 v[24:25], v23 offset:27520
	ds_read_b64 v[26:27], v22 offset:27048
	s_waitcnt lgkmcnt(0)
	v_fma_f64 v[11:12], v[24:25], v[26:27], v[11:12]
	s_or_b64 exec, exec, s[14:15]
	v_cmp_gt_u32_e64 s[10:11], 8, v15
	s_and_saveexec_b64 s[14:15], s[10:11]
	s_cbranch_execz .LBB138_183
.LBB138_1107:
	ds_read_b64 v[23:24], v23 offset:28032
	ds_read_b64 v[25:26], v22 offset:27056
	s_waitcnt lgkmcnt(0)
	v_fma_f64 v[11:12], v[23:24], v[25:26], v[11:12]
	s_or_b64 exec, exec, s[14:15]
	v_cmp_gt_u32_e64 s[10:11], 4, v15
	s_and_saveexec_b64 s[14:15], s[10:11]
	s_cbranch_execnz .LBB138_184
	s_branch .LBB138_185
.LBB138_1108:
	ds_read_b64 v[27:28], v26 offset:30464
	ds_read_b64 v[29:30], v25 offset:25048
	s_waitcnt lgkmcnt(0)
	v_fma_f64 v[11:12], v[27:28], v[29:30], v[11:12]
	s_or_b64 exec, exec, s[20:21]
	s_and_saveexec_b64 s[16:17], s[8:9]
	s_cbranch_execz .LBB138_245
.LBB138_1109:
	ds_read_b64 v[27:28], v26 offset:30976
	ds_read_b64 v[29:30], v25 offset:25056
	s_waitcnt lgkmcnt(0)
	v_fma_f64 v[11:12], v[27:28], v[29:30], v[11:12]
	s_or_b64 exec, exec, s[16:17]
	v_cmp_gt_u32_e64 s[16:17], 48, v15
	s_and_saveexec_b64 s[20:21], s[16:17]
	s_cbranch_execz .LBB138_246
.LBB138_1110:
	ds_read_b64 v[27:28], v26 offset:31488
	ds_read_b64 v[29:30], v25 offset:25064
	s_waitcnt lgkmcnt(0)
	v_fma_f64 v[11:12], v[27:28], v[29:30], v[11:12]
	s_or_b64 exec, exec, s[20:21]
	v_cmp_gt_u32_e64 s[16:17], 32, v15
	s_and_saveexec_b64 s[20:21], s[16:17]
	s_cbranch_execz .LBB138_247
.LBB138_1111:
	ds_read_b64 v[26:27], v26 offset:32000
	ds_read_b64 v[28:29], v25 offset:25072
	s_waitcnt lgkmcnt(0)
	v_fma_f64 v[11:12], v[26:27], v[28:29], v[11:12]
	s_or_b64 exec, exec, s[20:21]
	v_cmp_gt_u32_e64 s[16:17], 16, v15
	s_and_saveexec_b64 s[20:21], s[16:17]
	s_cbranch_execnz .LBB138_248
	s_branch .LBB138_249
.LBB138_1112:
	ds_read_b64 v[27:28], v26 offset:23360
	ds_read_b64 v[29:30], v25 offset:22888
	s_waitcnt lgkmcnt(0)
	v_fma_f64 v[11:12], v[27:28], v[29:30], v[11:12]
	s_or_b64 exec, exec, s[0:1]
	v_cmp_gt_u32_e64 s[14:15], 8, v15
	s_and_saveexec_b64 s[0:1], s[14:15]
	s_cbranch_execz .LBB138_337
.LBB138_1113:
	ds_read_b64 v[26:27], v26 offset:23872
	ds_read_b64 v[28:29], v25 offset:22896
	s_waitcnt lgkmcnt(0)
	v_fma_f64 v[11:12], v[26:27], v[28:29], v[11:12]
	s_or_b64 exec, exec, s[0:1]
	v_cmp_gt_u32_e64 s[14:15], 4, v15
	s_and_saveexec_b64 s[20:21], s[14:15]
	s_cbranch_execnz .LBB138_338
	s_branch .LBB138_339
.LBB138_1114:
	ds_read_b64 v[27:28], v26 offset:21248
	ds_read_b64 v[29:30], v25 offset:20808
	s_waitcnt lgkmcnt(0)
	v_fma_f64 v[11:12], v[27:28], v[29:30], v[11:12]
	s_or_b64 exec, exec, s[0:1]
	v_cmp_gt_u32_e64 s[14:15], 48, v15
	s_and_saveexec_b64 s[0:1], s[14:15]
	s_cbranch_execz .LBB138_379
.LBB138_1115:
	ds_read_b64 v[27:28], v26 offset:21760
	ds_read_b64 v[29:30], v25 offset:20816
	s_waitcnt lgkmcnt(0)
	v_fma_f64 v[11:12], v[27:28], v[29:30], v[11:12]
	s_or_b64 exec, exec, s[0:1]
	v_cmp_gt_u32_e64 s[14:15], 40, v15
	s_and_saveexec_b64 s[0:1], s[14:15]
	s_cbranch_execz .LBB138_380
.LBB138_1116:
	ds_read_b64 v[27:28], v26 offset:22272
	ds_read_b64 v[29:30], v25 offset:20824
	s_waitcnt lgkmcnt(0)
	v_fma_f64 v[11:12], v[27:28], v[29:30], v[11:12]
	s_or_b64 exec, exec, s[0:1]
	v_cmp_gt_u32_e64 s[14:15], 32, v15
	s_and_saveexec_b64 s[0:1], s[14:15]
	s_cbranch_execz .LBB138_381
.LBB138_1117:
	ds_read_b64 v[27:28], v26 offset:22784
	ds_read_b64 v[29:30], v25 offset:20832
	s_waitcnt lgkmcnt(0)
	v_fma_f64 v[11:12], v[27:28], v[29:30], v[11:12]
	s_or_b64 exec, exec, s[0:1]
	v_cmp_gt_u32_e64 s[14:15], 24, v15
	s_and_saveexec_b64 s[0:1], s[14:15]
	s_cbranch_execz .LBB138_382
.LBB138_1118:
	ds_read_b64 v[27:28], v26 offset:23296
	ds_read_b64 v[29:30], v25 offset:20840
	s_waitcnt lgkmcnt(0)
	v_fma_f64 v[11:12], v[27:28], v[29:30], v[11:12]
	s_or_b64 exec, exec, s[0:1]
	s_and_saveexec_b64 s[0:1], s[18:19]
	s_cbranch_execz .LBB138_383
.LBB138_1119:
	ds_read_b64 v[26:27], v26 offset:23808
	ds_read_b64 v[28:29], v25 offset:20848
	s_waitcnt lgkmcnt(0)
	v_fma_f64 v[11:12], v[26:27], v[28:29], v[11:12]
	s_or_b64 exec, exec, s[0:1]
	v_cmp_gt_u32_e64 s[14:15], 8, v15
	s_and_saveexec_b64 s[20:21], s[14:15]
	s_cbranch_execnz .LBB138_384
	s_branch .LBB138_385
.LBB138_1120:
	ds_read_b64 v[27:28], v26 offset:19200
	ds_read_b64 v[29:30], v25 offset:18728
	s_waitcnt lgkmcnt(0)
	v_fma_f64 v[11:12], v[27:28], v[29:30], v[11:12]
	s_or_b64 exec, exec, s[0:1]
	v_cmp_gt_u32_e64 s[14:15], 8, v15
	s_and_saveexec_b64 s[0:1], s[14:15]
	s_cbranch_execz .LBB138_441
.LBB138_1121:
	ds_read_b64 v[26:27], v26 offset:19712
	ds_read_b64 v[28:29], v25 offset:18736
	s_waitcnt lgkmcnt(0)
	v_fma_f64 v[11:12], v[26:27], v[28:29], v[11:12]
	s_or_b64 exec, exec, s[0:1]
	v_cmp_gt_u32_e64 s[14:15], 4, v15
	s_and_saveexec_b64 s[20:21], s[14:15]
	s_cbranch_execnz .LBB138_442
	s_branch .LBB138_443
.LBB138_1122:
	ds_read_b64 v[30:31], v29 offset:31232
	ds_read_b64 v[32:33], v28 offset:16872
	s_waitcnt lgkmcnt(0)
	v_fma_f64 v[11:12], v[30:31], v[32:33], v[11:12]
	s_or_b64 exec, exec, s[0:1]
	s_and_saveexec_b64 s[0:1], s[8:9]
	s_cbranch_execz .LBB138_539
.LBB138_1123:
	ds_read_b64 v[29:30], v29 offset:31744
	ds_read_b64 v[31:32], v28 offset:16880
	s_waitcnt lgkmcnt(0)
	v_fma_f64 v[11:12], v[29:30], v[31:32], v[11:12]
	s_or_b64 exec, exec, s[0:1]
	v_cmp_gt_u32_e64 s[20:21], 32, v15
	s_and_saveexec_b64 s[0:1], s[20:21]
	s_cbranch_execnz .LBB138_540
	s_branch .LBB138_541
.LBB138_1124:
	ds_read_b64 v[27:28], v26 offset:15040
	ds_read_b64 v[29:30], v25 offset:14568
	s_waitcnt lgkmcnt(0)
	v_fma_f64 v[11:12], v[27:28], v[29:30], v[11:12]
	s_or_b64 exec, exec, s[0:1]
	v_cmp_gt_u32_e64 s[12:13], 8, v15
	s_and_saveexec_b64 s[0:1], s[12:13]
	s_cbranch_execz .LBB138_585
.LBB138_1125:
	ds_read_b64 v[26:27], v26 offset:15552
	ds_read_b64 v[28:29], v25 offset:14576
	s_waitcnt lgkmcnt(0)
	v_fma_f64 v[11:12], v[26:27], v[28:29], v[11:12]
	s_or_b64 exec, exec, s[0:1]
	v_cmp_gt_u32_e64 s[12:13], 4, v15
	s_and_saveexec_b64 s[0:1], s[12:13]
	s_cbranch_execnz .LBB138_586
	s_branch .LBB138_587
.LBB138_1126:
	ds_read_b64 v[27:28], v26 offset:12928
	ds_read_b64 v[29:30], v25 offset:12488
	s_waitcnt lgkmcnt(0)
	v_fma_f64 v[11:12], v[27:28], v[29:30], v[11:12]
	s_or_b64 exec, exec, s[0:1]
	v_cmp_gt_u32_e64 s[12:13], 48, v15
	s_and_saveexec_b64 s[0:1], s[12:13]
	s_cbranch_execz .LBB138_627
.LBB138_1127:
	ds_read_b64 v[27:28], v26 offset:13440
	ds_read_b64 v[29:30], v25 offset:12496
	s_waitcnt lgkmcnt(0)
	v_fma_f64 v[11:12], v[27:28], v[29:30], v[11:12]
	s_or_b64 exec, exec, s[0:1]
	v_cmp_gt_u32_e64 s[12:13], 40, v15
	s_and_saveexec_b64 s[0:1], s[12:13]
	s_cbranch_execz .LBB138_628
.LBB138_1128:
	ds_read_b64 v[27:28], v26 offset:13952
	ds_read_b64 v[29:30], v25 offset:12504
	s_waitcnt lgkmcnt(0)
	v_fma_f64 v[11:12], v[27:28], v[29:30], v[11:12]
	s_or_b64 exec, exec, s[0:1]
	v_cmp_gt_u32_e64 s[12:13], 32, v15
	s_and_saveexec_b64 s[0:1], s[12:13]
	s_cbranch_execz .LBB138_629
.LBB138_1129:
	ds_read_b64 v[27:28], v26 offset:14464
	ds_read_b64 v[29:30], v25 offset:12512
	s_waitcnt lgkmcnt(0)
	v_fma_f64 v[11:12], v[27:28], v[29:30], v[11:12]
	s_or_b64 exec, exec, s[0:1]
	v_cmp_gt_u32_e64 s[12:13], 24, v15
	s_and_saveexec_b64 s[0:1], s[12:13]
	s_cbranch_execz .LBB138_630
.LBB138_1130:
	ds_read_b64 v[27:28], v26 offset:14976
	ds_read_b64 v[29:30], v25 offset:12520
	s_waitcnt lgkmcnt(0)
	v_fma_f64 v[11:12], v[27:28], v[29:30], v[11:12]
	s_or_b64 exec, exec, s[0:1]
	s_and_saveexec_b64 s[0:1], s[18:19]
	s_cbranch_execz .LBB138_631
.LBB138_1131:
	ds_read_b64 v[26:27], v26 offset:15488
	ds_read_b64 v[28:29], v25 offset:12528
	s_waitcnt lgkmcnt(0)
	v_fma_f64 v[11:12], v[26:27], v[28:29], v[11:12]
	s_or_b64 exec, exec, s[0:1]
	v_cmp_gt_u32_e64 s[12:13], 8, v15
	s_and_saveexec_b64 s[0:1], s[12:13]
	s_cbranch_execnz .LBB138_632
	s_branch .LBB138_633
.LBB138_1132:
	ds_read_b64 v[27:28], v26 offset:10880
	ds_read_b64 v[29:30], v25 offset:10408
	s_waitcnt lgkmcnt(0)
	v_fma_f64 v[11:12], v[27:28], v[29:30], v[11:12]
	s_or_b64 exec, exec, s[0:1]
	v_cmp_gt_u32_e64 s[12:13], 8, v15
	s_and_saveexec_b64 s[0:1], s[12:13]
	s_cbranch_execz .LBB138_689
.LBB138_1133:
	ds_read_b64 v[26:27], v26 offset:11392
	ds_read_b64 v[28:29], v25 offset:10416
	s_waitcnt lgkmcnt(0)
	v_fma_f64 v[11:12], v[26:27], v[28:29], v[11:12]
	s_or_b64 exec, exec, s[0:1]
	v_cmp_gt_u32_e64 s[12:13], 4, v15
	s_and_saveexec_b64 s[0:1], s[12:13]
	s_cbranch_execnz .LBB138_690
	s_branch .LBB138_691
.LBB138_1134:
	ds_read_b64 v[27:28], v26 offset:13824
	ds_read_b64 v[29:30], v25 offset:8408
	s_waitcnt lgkmcnt(0)
	v_fma_f64 v[11:12], v[27:28], v[29:30], v[11:12]
	s_or_b64 exec, exec, s[0:1]
	s_and_saveexec_b64 s[0:1], s[8:9]
	s_cbranch_execz .LBB138_751
.LBB138_1135:
	ds_read_b64 v[27:28], v26 offset:14336
	ds_read_b64 v[29:30], v25 offset:8416
	s_waitcnt lgkmcnt(0)
	v_fma_f64 v[11:12], v[27:28], v[29:30], v[11:12]
	s_or_b64 exec, exec, s[0:1]
	v_cmp_gt_u32_e64 s[12:13], 48, v15
	s_and_saveexec_b64 s[0:1], s[12:13]
	s_cbranch_execz .LBB138_752
.LBB138_1136:
	ds_read_b64 v[27:28], v26 offset:14848
	ds_read_b64 v[29:30], v25 offset:8424
	s_waitcnt lgkmcnt(0)
	v_fma_f64 v[11:12], v[27:28], v[29:30], v[11:12]
	s_or_b64 exec, exec, s[0:1]
	v_cmp_gt_u32_e64 s[12:13], 32, v15
	s_and_saveexec_b64 s[0:1], s[12:13]
	s_cbranch_execz .LBB138_753
.LBB138_1137:
	ds_read_b64 v[26:27], v26 offset:15360
	ds_read_b64 v[28:29], v25 offset:8432
	s_waitcnt lgkmcnt(0)
	v_fma_f64 v[11:12], v[26:27], v[28:29], v[11:12]
	s_or_b64 exec, exec, s[0:1]
	v_cmp_gt_u32_e64 s[12:13], 16, v15
	s_and_saveexec_b64 s[0:1], s[12:13]
	s_cbranch_execnz .LBB138_754
	s_branch .LBB138_755
.LBB138_1138:
	ds_read_b64 v[24:25], v23 offset:6720
	ds_read_b64 v[26:27], v22 offset:6248
	s_waitcnt lgkmcnt(0)
	v_fma_f64 v[11:12], v[24:25], v[26:27], v[11:12]
	s_or_b64 exec, exec, s[12:13]
	v_cmp_gt_u32_e64 s[10:11], 8, v15
	s_and_saveexec_b64 s[12:13], s[10:11]
	s_cbranch_execz .LBB138_843
.LBB138_1139:
	ds_read_b64 v[23:24], v23 offset:7232
	ds_read_b64 v[25:26], v22 offset:6256
	s_waitcnt lgkmcnt(0)
	v_fma_f64 v[11:12], v[23:24], v[25:26], v[11:12]
	s_or_b64 exec, exec, s[12:13]
	v_cmp_gt_u32_e64 s[10:11], 4, v15
	s_and_saveexec_b64 s[12:13], s[10:11]
	s_cbranch_execnz .LBB138_844
	s_branch .LBB138_845
.LBB138_1140:
	ds_read_b64 v[24:25], v23 offset:4608
	ds_read_b64 v[26:27], v22 offset:4168
	s_waitcnt lgkmcnt(0)
	v_fma_f64 v[11:12], v[24:25], v[26:27], v[11:12]
	s_or_b64 exec, exec, s[12:13]
	v_cmp_gt_u32_e64 s[10:11], 48, v15
	s_and_saveexec_b64 s[12:13], s[10:11]
	s_cbranch_execz .LBB138_885
.LBB138_1141:
	ds_read_b64 v[24:25], v23 offset:5120
	ds_read_b64 v[26:27], v22 offset:4176
	s_waitcnt lgkmcnt(0)
	v_fma_f64 v[11:12], v[24:25], v[26:27], v[11:12]
	s_or_b64 exec, exec, s[12:13]
	v_cmp_gt_u32_e64 s[10:11], 40, v15
	s_and_saveexec_b64 s[12:13], s[10:11]
	s_cbranch_execz .LBB138_886
.LBB138_1142:
	ds_read_b64 v[24:25], v23 offset:5632
	ds_read_b64 v[26:27], v22 offset:4184
	s_waitcnt lgkmcnt(0)
	v_fma_f64 v[11:12], v[24:25], v[26:27], v[11:12]
	s_or_b64 exec, exec, s[12:13]
	v_cmp_gt_u32_e64 s[10:11], 32, v15
	s_and_saveexec_b64 s[12:13], s[10:11]
	s_cbranch_execz .LBB138_887
.LBB138_1143:
	ds_read_b64 v[24:25], v23 offset:6144
	ds_read_b64 v[26:27], v22 offset:4192
	s_waitcnt lgkmcnt(0)
	v_fma_f64 v[11:12], v[24:25], v[26:27], v[11:12]
	s_or_b64 exec, exec, s[12:13]
	v_cmp_gt_u32_e64 s[10:11], 24, v15
	s_and_saveexec_b64 s[12:13], s[10:11]
	s_cbranch_execz .LBB138_888
.LBB138_1144:
	ds_read_b64 v[24:25], v23 offset:6656
	ds_read_b64 v[26:27], v22 offset:4200
	s_waitcnt lgkmcnt(0)
	v_fma_f64 v[11:12], v[24:25], v[26:27], v[11:12]
	s_or_b64 exec, exec, s[12:13]
	s_and_saveexec_b64 s[10:11], s[18:19]
	s_cbranch_execz .LBB138_889
.LBB138_1145:
	ds_read_b64 v[23:24], v23 offset:7168
	ds_read_b64 v[25:26], v22 offset:4208
	s_waitcnt lgkmcnt(0)
	v_fma_f64 v[11:12], v[23:24], v[25:26], v[11:12]
	s_or_b64 exec, exec, s[10:11]
	v_cmp_gt_u32_e64 s[10:11], 8, v15
	s_and_saveexec_b64 s[12:13], s[10:11]
	s_cbranch_execnz .LBB138_890
	s_branch .LBB138_891
.LBB138_1146:
	ds_read_b64 v[21:22], v20 offset:2560
	ds_read_b64 v[23:24], v19 offset:2088
	s_waitcnt lgkmcnt(0)
	v_fma_f64 v[11:12], v[21:22], v[23:24], v[11:12]
	s_or_b64 exec, exec, s[10:11]
	v_cmp_gt_u32_e64 s[8:9], 8, v15
	s_and_saveexec_b64 s[10:11], s[8:9]
	s_cbranch_execz .LBB138_947
.LBB138_1147:
	ds_read_b64 v[20:21], v20 offset:3072
	ds_read_b64 v[22:23], v19 offset:2096
	s_waitcnt lgkmcnt(0)
	v_fma_f64 v[11:12], v[20:21], v[22:23], v[11:12]
	s_or_b64 exec, exec, s[10:11]
	v_cmp_gt_u32_e64 s[8:9], 4, v15
	s_and_saveexec_b64 s[10:11], s[8:9]
	s_cbranch_execnz .LBB138_948
	s_branch .LBB138_949
	.section	.rodata,"a",@progbits
	.p2align	6, 0x0
	.amdhsa_kernel _ZL19rocblas_trsv_deviceILi64ELi16ELb0ELb1ELb1ELb0EddPKPKdPKPdEviT7_lllT6_T8_lllPii
		.amdhsa_group_segment_fixed_size 41480
		.amdhsa_private_segment_fixed_size 0
		.amdhsa_kernarg_size 352
		.amdhsa_user_sgpr_count 6
		.amdhsa_user_sgpr_private_segment_buffer 1
		.amdhsa_user_sgpr_dispatch_ptr 0
		.amdhsa_user_sgpr_queue_ptr 0
		.amdhsa_user_sgpr_kernarg_segment_ptr 1
		.amdhsa_user_sgpr_dispatch_id 0
		.amdhsa_user_sgpr_flat_scratch_init 0
		.amdhsa_user_sgpr_private_segment_size 0
		.amdhsa_uses_dynamic_stack 0
		.amdhsa_system_sgpr_private_segment_wavefront_offset 0
		.amdhsa_system_sgpr_workgroup_id_x 1
		.amdhsa_system_sgpr_workgroup_id_y 0
		.amdhsa_system_sgpr_workgroup_id_z 1
		.amdhsa_system_sgpr_workgroup_info 0
		.amdhsa_system_vgpr_workitem_id 1
		.amdhsa_next_free_vgpr 49
		.amdhsa_next_free_sgpr 98
		.amdhsa_reserve_vcc 1
		.amdhsa_reserve_flat_scratch 0
		.amdhsa_float_round_mode_32 0
		.amdhsa_float_round_mode_16_64 0
		.amdhsa_float_denorm_mode_32 3
		.amdhsa_float_denorm_mode_16_64 3
		.amdhsa_dx10_clamp 1
		.amdhsa_ieee_mode 1
		.amdhsa_fp16_overflow 0
		.amdhsa_exception_fp_ieee_invalid_op 0
		.amdhsa_exception_fp_denorm_src 0
		.amdhsa_exception_fp_ieee_div_zero 0
		.amdhsa_exception_fp_ieee_overflow 0
		.amdhsa_exception_fp_ieee_underflow 0
		.amdhsa_exception_fp_ieee_inexact 0
		.amdhsa_exception_int_div_zero 0
	.end_amdhsa_kernel
	.section	.text._ZL19rocblas_trsv_deviceILi64ELi16ELb0ELb1ELb1ELb0EddPKPKdPKPdEviT7_lllT6_T8_lllPii,"axG",@progbits,_ZL19rocblas_trsv_deviceILi64ELi16ELb0ELb1ELb1ELb0EddPKPKdPKPdEviT7_lllT6_T8_lllPii,comdat
.Lfunc_end138:
	.size	_ZL19rocblas_trsv_deviceILi64ELi16ELb0ELb1ELb1ELb0EddPKPKdPKPdEviT7_lllT6_T8_lllPii, .Lfunc_end138-_ZL19rocblas_trsv_deviceILi64ELi16ELb0ELb1ELb1ELb0EddPKPKdPKPdEviT7_lllT6_T8_lllPii
                                        ; -- End function
	.set _ZL19rocblas_trsv_deviceILi64ELi16ELb0ELb1ELb1ELb0EddPKPKdPKPdEviT7_lllT6_T8_lllPii.num_vgpr, 37
	.set _ZL19rocblas_trsv_deviceILi64ELi16ELb0ELb1ELb1ELb0EddPKPKdPKPdEviT7_lllT6_T8_lllPii.num_agpr, 0
	.set _ZL19rocblas_trsv_deviceILi64ELi16ELb0ELb1ELb1ELb0EddPKPKdPKPdEviT7_lllT6_T8_lllPii.numbered_sgpr, 96
	.set _ZL19rocblas_trsv_deviceILi64ELi16ELb0ELb1ELb1ELb0EddPKPKdPKPdEviT7_lllT6_T8_lllPii.num_named_barrier, 0
	.set _ZL19rocblas_trsv_deviceILi64ELi16ELb0ELb1ELb1ELb0EddPKPKdPKPdEviT7_lllT6_T8_lllPii.private_seg_size, 0
	.set _ZL19rocblas_trsv_deviceILi64ELi16ELb0ELb1ELb1ELb0EddPKPKdPKPdEviT7_lllT6_T8_lllPii.uses_vcc, 1
	.set _ZL19rocblas_trsv_deviceILi64ELi16ELb0ELb1ELb1ELb0EddPKPKdPKPdEviT7_lllT6_T8_lllPii.uses_flat_scratch, 0
	.set _ZL19rocblas_trsv_deviceILi64ELi16ELb0ELb1ELb1ELb0EddPKPKdPKPdEviT7_lllT6_T8_lllPii.has_dyn_sized_stack, 0
	.set _ZL19rocblas_trsv_deviceILi64ELi16ELb0ELb1ELb1ELb0EddPKPKdPKPdEviT7_lllT6_T8_lllPii.has_recursion, 0
	.set _ZL19rocblas_trsv_deviceILi64ELi16ELb0ELb1ELb1ELb0EddPKPKdPKPdEviT7_lllT6_T8_lllPii.has_indirect_call, 0
	.section	.AMDGPU.csdata,"",@progbits
; Kernel info:
; codeLenInByte = 39524
; TotalNumSgprs: 100
; NumVgprs: 37
; ScratchSize: 0
; MemoryBound: 0
; FloatMode: 240
; IeeeMode: 1
; LDSByteSize: 41480 bytes/workgroup (compile time only)
; SGPRBlocks: 12
; VGPRBlocks: 12
; NumSGPRsForWavesPerEU: 102
; NumVGPRsForWavesPerEU: 49
; Occupancy: 4
; WaveLimiterHint : 1
; COMPUTE_PGM_RSRC2:SCRATCH_EN: 0
; COMPUTE_PGM_RSRC2:USER_SGPR: 6
; COMPUTE_PGM_RSRC2:TRAP_HANDLER: 0
; COMPUTE_PGM_RSRC2:TGID_X_EN: 1
; COMPUTE_PGM_RSRC2:TGID_Y_EN: 0
; COMPUTE_PGM_RSRC2:TGID_Z_EN: 1
; COMPUTE_PGM_RSRC2:TIDIG_COMP_CNT: 1
	.section	.text._ZL19rocblas_trsv_deviceILi64ELi16ELb1ELb0ELb0ELb1EddPKPKdPKPdEviT7_lllT6_T8_lllPii,"axG",@progbits,_ZL19rocblas_trsv_deviceILi64ELi16ELb1ELb0ELb0ELb1EddPKPKdPKPdEviT7_lllT6_T8_lllPii,comdat
	.globl	_ZL19rocblas_trsv_deviceILi64ELi16ELb1ELb0ELb0ELb1EddPKPKdPKPdEviT7_lllT6_T8_lllPii ; -- Begin function _ZL19rocblas_trsv_deviceILi64ELi16ELb1ELb0ELb0ELb1EddPKPKdPKPdEviT7_lllT6_T8_lllPii
	.p2align	8
	.type	_ZL19rocblas_trsv_deviceILi64ELi16ELb1ELb0ELb0ELb1EddPKPKdPKPdEviT7_lllT6_T8_lllPii,@function
_ZL19rocblas_trsv_deviceILi64ELi16ELb1ELb0ELb0ELb1EddPKPKdPKPdEviT7_lllT6_T8_lllPii: ; @_ZL19rocblas_trsv_deviceILi64ELi16ELb1ELb0ELb0ELb1EddPKPKdPKPdEviT7_lllT6_T8_lllPii
; %bb.0:
	s_load_dwordx4 s[0:3], s[4:5], 0x8
	s_mov_b32 s18, s7
	s_mov_b32 s19, 0
	s_lshl_b64 s[8:9], s[18:19], 3
	s_waitcnt lgkmcnt(0)
	s_add_u32 s0, s0, s8
	s_addc_u32 s1, s1, s9
	s_load_dwordx2 s[10:11], s[0:1], 0x0
	s_load_dword s33, s[4:5], 0x0
	s_load_dwordx8 s[20:27], s[4:5], 0x28
	s_load_dwordx2 s[28:29], s[4:5], 0x18
	s_lshl_b64 s[0:1], s[2:3], 3
	s_waitcnt lgkmcnt(0)
	s_add_u32 s82, s10, s0
	s_addc_u32 s83, s11, s1
	s_add_u32 s0, s22, s8
	s_addc_u32 s1, s23, s9
	s_load_dwordx2 s[30:31], s[0:1], 0x0
	s_load_dword s16, s[4:5], 0x6c
	s_cmp_eq_u32 s6, 0
	s_cbranch_scc1 .LBB139_10
; %bb.1:
	s_lshl_b32 s2, s6, 6
	v_add_u32_e32 v2, s2, v1
	v_subrev_u32_e32 v12, 64, v2
	v_ashrrev_i32_e32 v2, 31, v12
	v_mul_lo_u32 v6, s28, v2
	v_mul_lo_u32 v7, s29, v12
	v_mad_u64_u32 v[2:3], s[0:1], s28, v12, 0
	v_add_u32_e32 v4, s2, v0
	v_ashrrev_i32_e32 v5, 31, v4
	v_add3_u32 v3, v3, v6, v7
	v_lshlrev_b64 v[2:3], 3, v[2:3]
	v_mov_b32_e32 v6, s83
	v_add_co_u32_e64 v7, s[0:1], s82, v2
	v_addc_co_u32_e64 v6, s[0:1], v6, v3, s[0:1]
	v_lshlrev_b64 v[2:3], 3, v[4:5]
	v_cmp_gt_i32_e32 vcc, s33, v4
	v_add_co_u32_e64 v10, s[0:1], v7, v2
	v_addc_co_u32_e64 v11, s[0:1], v6, v3, s[0:1]
	v_cmp_gt_i32_e64 s[0:1], s33, v12
	v_mov_b32_e32 v4, 0
	v_mov_b32_e32 v2, 0
	;; [unrolled: 1-line block ×4, first 2 shown]
	s_and_b64 s[2:3], vcc, s[0:1]
	s_waitcnt lgkmcnt(0)
	s_barrier
	s_and_saveexec_b64 s[0:1], s[2:3]
	s_cbranch_execz .LBB139_3
; %bb.2:
	flat_load_dwordx2 v[2:3], v[10:11]
.LBB139_3:
	s_or_b64 exec, exec, s[0:1]
	v_add_u32_e32 v6, 16, v12
	v_cmp_gt_i32_e64 s[0:1], s33, v6
	s_and_b64 s[0:1], vcc, s[0:1]
	s_waitcnt vmcnt(0) lgkmcnt(0)
	s_barrier
	s_and_saveexec_b64 s[2:3], s[0:1]
	s_cbranch_execz .LBB139_5
; %bb.4:
	s_lshl_b64 s[0:1], s[28:29], 7
	v_mov_b32_e32 v5, s1
	v_add_co_u32_e64 v4, s[0:1], s0, v10
	v_addc_co_u32_e64 v5, s[0:1], v11, v5, s[0:1]
	flat_load_dwordx2 v[4:5], v[4:5]
.LBB139_5:
	s_or_b64 exec, exec, s[2:3]
	v_add_u32_e32 v6, 32, v12
	v_cmp_gt_i32_e64 s[0:1], s33, v6
	v_mov_b32_e32 v6, 0
	v_mov_b32_e32 v8, 0
	;; [unrolled: 1-line block ×4, first 2 shown]
	s_and_b64 s[0:1], vcc, s[0:1]
	s_waitcnt vmcnt(0) lgkmcnt(0)
	s_barrier
	s_and_saveexec_b64 s[2:3], s[0:1]
	s_cbranch_execz .LBB139_7
; %bb.6:
	s_lshl_b64 s[0:1], s[28:29], 8
	v_mov_b32_e32 v9, s1
	v_add_co_u32_e64 v8, s[0:1], s0, v10
	v_addc_co_u32_e64 v9, s[0:1], v11, v9, s[0:1]
	flat_load_dwordx2 v[8:9], v[8:9]
.LBB139_7:
	s_or_b64 exec, exec, s[2:3]
	v_add_u32_e32 v12, 48, v12
	v_cmp_gt_i32_e64 s[0:1], s33, v12
	s_and_b64 s[2:3], vcc, s[0:1]
	s_waitcnt vmcnt(0) lgkmcnt(0)
	s_barrier
	s_and_saveexec_b64 s[0:1], s[2:3]
	s_cbranch_execz .LBB139_9
; %bb.8:
	v_mov_b32_e32 v6, 0x180
	v_mad_u64_u32 v[6:7], s[2:3], s28, v6, v[10:11]
	s_mul_i32 s2, s29, 0x180
	v_add_u32_e32 v7, s2, v7
	flat_load_dwordx2 v[6:7], v[6:7]
.LBB139_9:
	s_or_b64 exec, exec, s[0:1]
	s_branch .LBB139_11
.LBB139_10:
                                        ; implicit-def: $vgpr6_vgpr7
                                        ; implicit-def: $vgpr8_vgpr9
                                        ; implicit-def: $vgpr4_vgpr5
                                        ; implicit-def: $vgpr2_vgpr3
.LBB139_11:
	s_ashr_i32 s0, s33, 31
	s_lshr_b32 s0, s0, 26
	s_add_i32 s0, s33, s0
	s_andn2_b32 s0, s0, 63
	s_sub_i32 s7, s33, s0
	s_add_i32 s0, s33, -1
	s_ashr_i32 s1, s0, 31
	s_lshr_b32 s1, s1, 26
	s_add_i32 s0, s0, s1
	s_ashr_i32 s0, s0, 6
	s_cmp_eq_u32 s0, s6
	s_cselect_b64 s[0:1], -1, 0
	s_cmp_lg_u32 s7, 0
	s_cselect_b64 s[2:3], -1, 0
	s_and_b64 s[22:23], s[2:3], s[0:1]
	s_mov_b64 s[2:3], -1
	s_and_b64 vcc, exec, s[22:23]
	v_cmp_le_u32_e64 s[0:1], v0, v1
	v_lshlrev_b32_e32 v18, 3, v0
	s_cbranch_vccnz .LBB139_33
; %bb.12:
	s_add_u32 s2, s28, 1
	s_addc_u32 s3, s29, 0
	s_lshl_b32 s8, s6, 6
	s_ashr_i32 s9, s8, 31
	s_mul_hi_u32 s10, s2, s8
	s_mul_i32 s9, s2, s9
	s_add_i32 s9, s10, s9
	s_mul_i32 s3, s3, s8
	s_add_i32 s3, s9, s3
	s_mul_i32 s2, s2, s8
	s_lshl_b64 s[2:3], s[2:3], 3
	s_add_u32 s2, s82, s2
	s_addc_u32 s3, s83, s3
	v_lshlrev_b32_e32 v14, 3, v0
	v_mov_b32_e32 v11, s3
	v_add_co_u32_e32 v10, vcc, s2, v14
	v_addc_co_u32_e32 v11, vcc, 0, v11, vcc
	s_mov_b64 s[2:3], 0
	s_and_saveexec_b64 s[8:9], s[0:1]
	s_xor_b64 s[0:1], exec, s[8:9]
; %bb.13:
	v_or_b32_e32 v12, v1, v0
	v_cmp_gt_u32_e32 vcc, 64, v12
	s_and_b64 s[2:3], vcc, exec
; %bb.14:
	s_or_saveexec_b64 s[0:1], s[0:1]
	v_mov_b32_e32 v12, 0
	v_mov_b32_e32 v13, 0
	s_xor_b64 exec, exec, s[0:1]
	s_cbranch_execz .LBB139_16
; %bb.15:
	v_mad_u64_u32 v[12:13], s[8:9], s28, v1, 0
	s_or_b64 s[2:3], s[2:3], exec
	v_mad_u64_u32 v[15:16], s[8:9], s29, v1, v[13:14]
	v_mov_b32_e32 v13, v15
	v_lshlrev_b64 v[12:13], 3, v[12:13]
	v_add_co_u32_e32 v12, vcc, v10, v12
	v_addc_co_u32_e32 v13, vcc, v11, v13, vcc
	flat_load_dwordx2 v[12:13], v[12:13]
	s_waitcnt vmcnt(0) lgkmcnt(0)
	v_xor_b32_e32 v13, 0x80000000, v13
.LBB139_16:
	s_or_b64 exec, exec, s[0:1]
	s_and_saveexec_b64 s[0:1], s[2:3]
; %bb.17:
	v_lshl_add_u32 v15, v1, 9, v14
	ds_write_b64 v15, v[12:13]
; %bb.18:
	s_or_b64 exec, exec, s[0:1]
	v_add_u32_e32 v15, 16, v1
	v_cmp_le_u32_e32 vcc, v0, v15
	s_mov_b64 s[0:1], 0
	s_and_saveexec_b64 s[2:3], vcc
	s_xor_b64 s[2:3], exec, s[2:3]
; %bb.19:
	v_or_b32_e32 v12, v15, v0
	v_cmp_gt_u32_e32 vcc, 64, v12
	s_and_b64 s[0:1], vcc, exec
; %bb.20:
	s_or_saveexec_b64 s[2:3], s[2:3]
	v_mov_b32_e32 v12, 0
	v_mov_b32_e32 v13, 0
	s_xor_b64 exec, exec, s[2:3]
	s_cbranch_execz .LBB139_22
; %bb.21:
	v_mad_u64_u32 v[12:13], s[8:9], s28, v15, 0
	s_or_b64 s[0:1], s[0:1], exec
	v_mad_u64_u32 v[16:17], s[8:9], s29, v15, v[13:14]
	v_mov_b32_e32 v13, v16
	v_lshlrev_b64 v[12:13], 3, v[12:13]
	v_add_co_u32_e32 v12, vcc, v10, v12
	v_addc_co_u32_e32 v13, vcc, v11, v13, vcc
	flat_load_dwordx2 v[12:13], v[12:13]
	s_waitcnt vmcnt(0) lgkmcnt(0)
	v_xor_b32_e32 v13, 0x80000000, v13
.LBB139_22:
	s_or_b64 exec, exec, s[2:3]
	s_and_saveexec_b64 s[2:3], s[0:1]
; %bb.23:
	v_lshl_add_u32 v15, v15, 9, v14
	ds_write_b64 v15, v[12:13]
; %bb.24:
	s_or_b64 exec, exec, s[2:3]
	v_add_u32_e32 v15, 32, v1
	v_cmp_le_u32_e32 vcc, v0, v15
	s_mov_b64 s[0:1], 0
	s_and_saveexec_b64 s[2:3], vcc
	s_xor_b64 s[2:3], exec, s[2:3]
; %bb.25:
	v_or_b32_e32 v12, v15, v0
	v_cmp_gt_u32_e32 vcc, 64, v12
	s_and_b64 s[0:1], vcc, exec
; %bb.26:
	s_or_saveexec_b64 s[2:3], s[2:3]
	v_mov_b32_e32 v12, 0
	v_mov_b32_e32 v13, 0
	s_xor_b64 exec, exec, s[2:3]
	s_cbranch_execz .LBB139_28
; %bb.27:
	v_mad_u64_u32 v[12:13], s[8:9], s28, v15, 0
	s_or_b64 s[0:1], s[0:1], exec
	v_mad_u64_u32 v[16:17], s[8:9], s29, v15, v[13:14]
	v_mov_b32_e32 v13, v16
	v_lshlrev_b64 v[12:13], 3, v[12:13]
	v_add_co_u32_e32 v12, vcc, v10, v12
	v_addc_co_u32_e32 v13, vcc, v11, v13, vcc
	flat_load_dwordx2 v[12:13], v[12:13]
	s_waitcnt vmcnt(0) lgkmcnt(0)
	v_xor_b32_e32 v13, 0x80000000, v13
.LBB139_28:
	s_or_b64 exec, exec, s[2:3]
	s_and_saveexec_b64 s[2:3], s[0:1]
; %bb.29:
	v_lshl_add_u32 v14, v15, 9, v14
	ds_write_b64 v14, v[12:13]
; %bb.30:
	s_or_b64 exec, exec, s[2:3]
	v_add_u32_e32 v14, 48, v1
	v_cmp_le_u32_e32 vcc, v0, v14
	s_mov_b64 s[0:1], -1
	s_mov_b64 s[2:3], 0
	s_mov_b64 s[8:9], 0
	s_and_saveexec_b64 s[10:11], vcc
	s_xor_b64 s[10:11], exec, s[10:11]
; %bb.31:
	v_or_b32_e32 v12, v14, v0
	v_cmp_gt_u32_e32 vcc, 64, v12
	s_and_b64 s[8:9], vcc, exec
	s_xor_b64 s[0:1], exec, -1
; %bb.32:
	s_or_b64 exec, exec, s[10:11]
	v_lshl_add_u32 v15, v14, 6, v0
	s_and_b64 vcc, exec, s[2:3]
	s_cbranch_vccnz .LBB139_34
	s_branch .LBB139_55
.LBB139_33:
	s_mov_b64 s[0:1], 0
	s_mov_b64 s[8:9], 0
                                        ; implicit-def: $vgpr15
                                        ; implicit-def: $vgpr10_vgpr11
                                        ; implicit-def: $vgpr14
	s_and_b64 vcc, exec, s[2:3]
	s_cbranch_vccz .LBB139_55
.LBB139_34:
	s_add_u32 s0, s28, 1
	s_addc_u32 s1, s29, 0
	s_lshl_b32 s2, s6, 6
	s_ashr_i32 s3, s2, 31
	s_mul_hi_u32 s10, s0, s2
	s_mul_i32 s3, s0, s3
	s_add_i32 s3, s10, s3
	s_mul_i32 s1, s1, s2
	s_add_i32 s1, s3, s1
	s_mul_i32 s0, s0, s2
	s_lshl_b64 s[0:1], s[0:1], 3
	s_add_u32 s0, s82, s0
	s_addc_u32 s1, s83, s1
	v_lshlrev_b32_e32 v14, 3, v0
	v_mov_b32_e32 v11, s1
	v_add_co_u32_e64 v10, s[0:1], s0, v14
	v_addc_co_u32_e64 v11, s[0:1], 0, v11, s[0:1]
	v_max_i32_e32 v12, v1, v0
	v_cmp_le_u32_e64 s[0:1], v0, v1
	v_cmp_le_i32_e64 s[2:3], s7, v12
	v_cmp_gt_i32_e32 vcc, s7, v0
	s_or_b64 s[0:1], s[2:3], s[0:1]
	s_mov_b64 s[2:3], 0
	s_and_saveexec_b64 s[10:11], s[0:1]
	s_xor_b64 s[10:11], exec, s[10:11]
; %bb.35:
	v_or_b32_e32 v12, v1, v0
	v_cmp_gt_u32_e64 s[0:1], 64, v12
	s_and_b64 s[2:3], s[0:1], exec
; %bb.36:
	s_or_saveexec_b64 s[10:11], s[10:11]
	v_mov_b32_e32 v12, 0
	v_mov_b32_e32 v13, 0
	s_xor_b64 exec, exec, s[10:11]
	s_cbranch_execz .LBB139_38
; %bb.37:
	v_mad_u64_u32 v[12:13], s[0:1], s28, v1, 0
	s_or_b64 s[2:3], s[2:3], exec
	v_mad_u64_u32 v[15:16], s[0:1], s29, v1, v[13:14]
	v_mov_b32_e32 v13, v15
	v_lshlrev_b64 v[12:13], 3, v[12:13]
	v_add_co_u32_e64 v12, s[0:1], v10, v12
	v_addc_co_u32_e64 v13, s[0:1], v11, v13, s[0:1]
	flat_load_dwordx2 v[12:13], v[12:13]
	s_waitcnt vmcnt(0) lgkmcnt(0)
	v_xor_b32_e32 v13, 0x80000000, v13
.LBB139_38:
	s_or_b64 exec, exec, s[10:11]
	s_and_saveexec_b64 s[0:1], s[2:3]
; %bb.39:
	v_lshl_add_u32 v15, v1, 9, v14
	ds_write_b64 v15, v[12:13]
; %bb.40:
	s_or_b64 exec, exec, s[0:1]
	v_add_u32_e32 v15, 16, v1
	v_cmp_gt_u32_e64 s[0:1], v0, v15
	v_cmp_gt_i32_e64 s[2:3], s7, v15
	s_and_b64 s[0:1], s[0:1], s[2:3]
	s_and_b64 s[0:1], s[0:1], vcc
	s_xor_b64 s[0:1], s[0:1], -1
	s_mov_b64 s[2:3], 0
	s_and_saveexec_b64 s[10:11], s[0:1]
	s_xor_b64 s[10:11], exec, s[10:11]
; %bb.41:
	v_or_b32_e32 v12, v15, v0
	v_cmp_gt_u32_e64 s[0:1], 64, v12
	s_and_b64 s[2:3], s[0:1], exec
; %bb.42:
	s_or_saveexec_b64 s[10:11], s[10:11]
	v_mov_b32_e32 v12, 0
	v_mov_b32_e32 v13, 0
	s_xor_b64 exec, exec, s[10:11]
	s_cbranch_execz .LBB139_44
; %bb.43:
	v_mad_u64_u32 v[12:13], s[0:1], s28, v15, 0
	s_or_b64 s[2:3], s[2:3], exec
	v_mad_u64_u32 v[16:17], s[0:1], s29, v15, v[13:14]
	v_mov_b32_e32 v13, v16
	v_lshlrev_b64 v[12:13], 3, v[12:13]
	v_add_co_u32_e64 v12, s[0:1], v10, v12
	v_addc_co_u32_e64 v13, s[0:1], v11, v13, s[0:1]
	flat_load_dwordx2 v[12:13], v[12:13]
	s_waitcnt vmcnt(0) lgkmcnt(0)
	v_xor_b32_e32 v13, 0x80000000, v13
.LBB139_44:
	s_or_b64 exec, exec, s[10:11]
	s_and_saveexec_b64 s[0:1], s[2:3]
; %bb.45:
	v_lshl_add_u32 v15, v15, 9, v14
	ds_write_b64 v15, v[12:13]
; %bb.46:
	s_or_b64 exec, exec, s[0:1]
	v_add_u32_e32 v15, 32, v1
	v_cmp_gt_u32_e64 s[0:1], v0, v15
	v_cmp_gt_i32_e64 s[2:3], s7, v15
	s_and_b64 s[0:1], s[0:1], s[2:3]
	s_and_b64 s[0:1], s[0:1], vcc
	s_xor_b64 s[0:1], s[0:1], -1
	s_mov_b64 s[2:3], 0
	s_and_saveexec_b64 s[10:11], s[0:1]
	s_xor_b64 s[10:11], exec, s[10:11]
; %bb.47:
	v_or_b32_e32 v12, v15, v0
	v_cmp_gt_u32_e64 s[0:1], 64, v12
	s_and_b64 s[2:3], s[0:1], exec
; %bb.48:
	s_or_saveexec_b64 s[10:11], s[10:11]
	v_mov_b32_e32 v12, 0
	v_mov_b32_e32 v13, 0
	s_xor_b64 exec, exec, s[10:11]
	s_cbranch_execz .LBB139_50
; %bb.49:
	v_mad_u64_u32 v[12:13], s[0:1], s28, v15, 0
	s_or_b64 s[2:3], s[2:3], exec
	v_mad_u64_u32 v[16:17], s[0:1], s29, v15, v[13:14]
	v_mov_b32_e32 v13, v16
	v_lshlrev_b64 v[12:13], 3, v[12:13]
	v_add_co_u32_e64 v12, s[0:1], v10, v12
	v_addc_co_u32_e64 v13, s[0:1], v11, v13, s[0:1]
	flat_load_dwordx2 v[12:13], v[12:13]
	s_waitcnt vmcnt(0) lgkmcnt(0)
	v_xor_b32_e32 v13, 0x80000000, v13
.LBB139_50:
	s_or_b64 exec, exec, s[10:11]
	s_and_saveexec_b64 s[0:1], s[2:3]
; %bb.51:
	v_lshl_add_u32 v14, v15, 9, v14
	ds_write_b64 v14, v[12:13]
; %bb.52:
	s_or_b64 exec, exec, s[0:1]
	v_add_u32_e32 v14, 48, v1
	v_cmp_gt_u32_e64 s[0:1], v0, v14
	v_cmp_gt_i32_e64 s[2:3], s7, v14
	s_and_b64 s[0:1], s[0:1], s[2:3]
	s_and_b64 s[2:3], s[0:1], vcc
	s_mov_b64 s[0:1], -1
	s_xor_b64 s[10:11], s[2:3], -1
	s_and_saveexec_b64 s[2:3], s[10:11]
; %bb.53:
	v_or_b32_e32 v12, v14, v0
	v_cmp_gt_u32_e32 vcc, 64, v12
	s_andn2_b64 s[0:1], s[8:9], exec
	s_and_b64 s[8:9], vcc, exec
	s_or_b64 s[8:9], s[0:1], s[8:9]
	s_xor_b64 s[0:1], exec, -1
; %bb.54:
	s_or_b64 exec, exec, s[2:3]
	v_lshl_add_u32 v15, v14, 6, v0
.LBB139_55:
	v_mov_b32_e32 v12, 0
	v_mov_b32_e32 v13, 0
	s_and_saveexec_b64 s[2:3], s[0:1]
	s_cbranch_execnz .LBB139_1077
; %bb.56:
	s_or_b64 exec, exec, s[2:3]
	s_and_saveexec_b64 s[0:1], s[8:9]
.LBB139_57:
	v_lshlrev_b32_e32 v10, 3, v15
	ds_write_b64 v10, v[12:13]
.LBB139_58:
	s_or_b64 exec, exec, s[0:1]
	s_cmp_lt_i32 s6, 5
	s_cselect_b64 s[0:1], -1, 0
	s_or_b64 s[34:35], s[0:1], s[22:23]
	s_and_b64 vcc, exec, s[34:35]
	s_waitcnt vmcnt(0) lgkmcnt(0)
	s_barrier
	s_cbranch_vccnz .LBB139_1034
; %bb.59:
	v_or_b32_e32 v10, v0, v1
	s_mov_b32 s2, 0
	v_cmp_eq_u32_e32 vcc, 0, v10
	s_and_saveexec_b64 s[0:1], vcc
; %bb.60:
	s_mov_b32 s3, 0x3ff00000
	v_mov_b32_e32 v11, s3
	v_mov_b32_e32 v12, 0
	;; [unrolled: 1-line block ×3, first 2 shown]
	ds_write2_b64 v12, v[10:11], v[10:11] offset1:65
; %bb.61:
	s_or_b64 exec, exec, s[0:1]
	v_lshl_add_u32 v14, v1, 6, v0
	v_and_b32_e32 v16, 1, v0
	v_lshrrev_b32_e32 v15, 1, v14
	v_lshlrev_b32_e32 v12, 3, v16
	v_mov_b32_e32 v10, 0
	v_cmp_lt_u32_e64 s[2:3], 3, v14
	v_cmp_gt_u32_e64 s[0:1], 4, v14
	v_mov_b32_e32 v11, 0
	v_lshl_or_b32 v12, v15, 9, v12
	s_waitcnt lgkmcnt(0)
	s_barrier
	s_and_saveexec_b64 s[10:11], s[0:1]
	s_cbranch_execz .LBB139_65
; %bb.62:
	v_mul_u32_u24_e32 v13, 0x208, v15
	ds_read_b64 v[10:11], v12 offset:16
	ds_read_b64 v[19:20], v13
	v_cmp_gt_u32_e64 s[8:9], 2, v14
	s_waitcnt lgkmcnt(0)
	v_fma_f64 v[10:11], v[10:11], v[19:20], 0
	s_and_saveexec_b64 s[12:13], s[8:9]
	s_cbranch_execz .LBB139_64
; %bb.63:
	v_lshlrev_b32_e32 v13, 3, v0
	v_mov_b32_e32 v17, 0
	ds_read_b64 v[19:20], v13 offset:528
	ds_read_b64 v[21:22], v17 offset:8
	s_waitcnt lgkmcnt(0)
	v_fma_f64 v[10:11], v[19:20], v[21:22], v[10:11]
.LBB139_64:
	s_or_b64 exec, exec, s[12:13]
	v_xor_b32_e32 v11, 0x80000000, v11
.LBB139_65:
	s_or_b64 exec, exec, s[10:11]
	v_mov_b32_e32 v13, 0x8000
	v_cmp_eq_u32_e64 s[8:9], 0, v16
	s_xor_b64 s[10:11], s[2:3], -1
	v_lshl_add_u32 v13, v15, 3, v13
	s_and_b64 s[38:39], s[8:9], s[10:11]
	s_and_saveexec_b64 s[2:3], s[38:39]
; %bb.66:
	ds_write_b64 v13, v[10:11]
; %bb.67:
	s_or_b64 exec, exec, s[2:3]
	v_cmp_ne_u32_e64 s[2:3], 0, v16
	s_and_b64 s[36:37], s[2:3], s[10:11]
	s_waitcnt lgkmcnt(0)
	s_barrier
	s_and_saveexec_b64 s[2:3], s[36:37]
	s_cbranch_execz .LBB139_69
; %bb.68:
	v_mov_b32_e32 v16, 0
	ds_read_b64 v[16:17], v16 offset:1048
	ds_read_b64 v[19:20], v13
	s_waitcnt lgkmcnt(0)
	v_fma_f64 v[10:11], v[16:17], v[19:20], v[10:11]
.LBB139_69:
	s_or_b64 exec, exec, s[2:3]
	s_barrier
	s_and_saveexec_b64 s[2:3], s[36:37]
; %bb.70:
	ds_write_b64 v13, v[10:11]
; %bb.71:
	s_or_b64 exec, exec, s[2:3]
	s_waitcnt lgkmcnt(0)
	s_barrier
	s_barrier
	s_and_saveexec_b64 s[2:3], s[0:1]
; %bb.72:
	v_xor_b32_e32 v11, 0x80000000, v11
	ds_write_b64 v12, v[10:11] offset:16
; %bb.73:
	s_or_b64 exec, exec, s[2:3]
	s_waitcnt lgkmcnt(0)
	s_barrier
	s_barrier
	s_and_saveexec_b64 s[2:3], vcc
; %bb.74:
	s_mov_b64 s[8:9], 1.0
	v_mov_b32_e32 v11, s9
	v_mov_b32_e32 v16, 0
	;; [unrolled: 1-line block ×3, first 2 shown]
	ds_write2_b64 v16, v[10:11], v[10:11] offset0:130 offset1:195
; %bb.75:
	s_or_b64 exec, exec, s[2:3]
	v_and_b32_e32 v20, 3, v0
	v_lshrrev_b32_e32 v21, 2, v14
	v_lshlrev_b32_e32 v17, 3, v20
	v_mov_b32_e32 v10, 0
	v_cmp_lt_u32_e64 s[8:9], 15, v14
	v_cmp_gt_u32_e64 s[2:3], 16, v14
	v_mov_b32_e32 v11, 0
	v_lshl_or_b32 v16, v21, 9, v17
	s_waitcnt lgkmcnt(0)
	s_barrier
	s_and_saveexec_b64 s[12:13], s[2:3]
	s_cbranch_execz .LBB139_81
; %bb.76:
	v_mul_u32_u24_e32 v19, 0x208, v21
	ds_read_b64 v[10:11], v16 offset:32
	ds_read_b64 v[22:23], v19
	v_cmp_gt_u32_e64 s[10:11], 12, v14
	s_waitcnt lgkmcnt(0)
	v_fma_f64 v[10:11], v[10:11], v[22:23], 0
	s_and_saveexec_b64 s[14:15], s[10:11]
	s_cbranch_execnz .LBB139_1110
; %bb.77:
	s_or_b64 exec, exec, s[14:15]
	v_cmp_gt_u32_e64 s[10:11], 8, v14
	s_and_saveexec_b64 s[14:15], s[10:11]
	s_cbranch_execnz .LBB139_1111
.LBB139_78:
	s_or_b64 exec, exec, s[14:15]
	v_cmp_gt_u32_e64 s[10:11], 4, v14
	s_and_saveexec_b64 s[14:15], s[10:11]
	s_cbranch_execz .LBB139_80
.LBB139_79:
	v_lshlrev_b32_e32 v19, 3, v0
	v_mov_b32_e32 v24, 0
	ds_read_b64 v[22:23], v19 offset:1568
	ds_read_b64 v[24:25], v24 offset:24
	s_waitcnt lgkmcnt(0)
	v_fma_f64 v[10:11], v[22:23], v[24:25], v[10:11]
.LBB139_80:
	s_or_b64 exec, exec, s[14:15]
	v_xor_b32_e32 v11, 0x80000000, v11
.LBB139_81:
	s_or_b64 exec, exec, s[12:13]
	v_mov_b32_e32 v19, 0x8000
	v_cmp_eq_u32_e64 s[10:11], 0, v20
	s_xor_b64 s[12:13], s[8:9], -1
	v_lshl_add_u32 v19, v21, 3, v19
	s_and_b64 s[42:43], s[10:11], s[12:13]
	s_and_saveexec_b64 s[8:9], s[42:43]
; %bb.82:
	ds_write_b64 v19, v[10:11]
; %bb.83:
	s_or_b64 exec, exec, s[8:9]
	v_cmp_ne_u32_e64 s[8:9], 0, v20
	s_and_b64 s[44:45], s[8:9], s[12:13]
	s_waitcnt lgkmcnt(0)
	s_barrier
	s_and_saveexec_b64 s[8:9], s[44:45]
	s_cbranch_execz .LBB139_85
; %bb.84:
	ds_read_b64 v[22:23], v17 offset:2080
	ds_read_b64 v[24:25], v19
	s_waitcnt lgkmcnt(0)
	v_fma_f64 v[10:11], v[22:23], v[24:25], v[10:11]
.LBB139_85:
	s_or_b64 exec, exec, s[8:9]
	v_cmp_eq_u32_e64 s[8:9], 1, v20
	s_and_b64 s[46:47], s[8:9], s[12:13]
	s_barrier
	s_and_saveexec_b64 s[8:9], s[46:47]
; %bb.86:
	ds_write_b64 v19, v[10:11]
; %bb.87:
	s_or_b64 exec, exec, s[8:9]
	v_cmp_lt_u32_e64 s[8:9], 1, v20
	s_and_b64 s[48:49], s[8:9], s[12:13]
	s_waitcnt lgkmcnt(0)
	s_barrier
	s_and_saveexec_b64 s[8:9], s[48:49]
	s_cbranch_execz .LBB139_89
; %bb.88:
	ds_read_b64 v[22:23], v17 offset:2592
	ds_read_b64 v[24:25], v19
	s_waitcnt lgkmcnt(0)
	v_fma_f64 v[10:11], v[22:23], v[24:25], v[10:11]
.LBB139_89:
	s_or_b64 exec, exec, s[8:9]
	v_cmp_eq_u32_e64 s[8:9], 2, v20
	s_and_b64 s[50:51], s[8:9], s[12:13]
	s_barrier
	s_and_saveexec_b64 s[8:9], s[50:51]
; %bb.90:
	ds_write_b64 v19, v[10:11]
; %bb.91:
	s_or_b64 exec, exec, s[8:9]
	v_cmp_eq_u32_e64 s[8:9], 3, v20
	s_and_b64 s[40:41], s[8:9], s[12:13]
	s_waitcnt lgkmcnt(0)
	s_barrier
	s_and_saveexec_b64 s[8:9], s[40:41]
	s_cbranch_execz .LBB139_93
; %bb.92:
	v_mov_b32_e32 v22, 0
	ds_read_b64 v[22:23], v22 offset:3128
	ds_read_b64 v[24:25], v19
	s_waitcnt lgkmcnt(0)
	v_fma_f64 v[10:11], v[22:23], v[24:25], v[10:11]
.LBB139_93:
	s_or_b64 exec, exec, s[8:9]
	s_barrier
	s_and_saveexec_b64 s[8:9], s[40:41]
; %bb.94:
	ds_write_b64 v19, v[10:11]
; %bb.95:
	s_or_b64 exec, exec, s[8:9]
	s_waitcnt lgkmcnt(0)
	s_barrier
	s_barrier
	s_and_saveexec_b64 s[8:9], s[2:3]
; %bb.96:
	v_xor_b32_e32 v11, 0x80000000, v11
	ds_write_b64 v16, v[10:11] offset:32
; %bb.97:
	s_or_b64 exec, exec, s[8:9]
	s_waitcnt lgkmcnt(0)
	s_barrier
	s_barrier
	s_and_saveexec_b64 s[8:9], vcc
	s_cbranch_execz .LBB139_99
; %bb.98:
	s_mov_b64 s[10:11], 1.0
	v_mov_b32_e32 v10, s10
	v_mov_b32_e32 v11, s11
	s_movk_i32 s10, 0x800
	v_add_u32_e64 v22, s10, 0
	ds_write2_b64 v22, v[10:11], v[10:11] offset0:4 offset1:69
.LBB139_99:
	s_or_b64 exec, exec, s[8:9]
	v_mov_b32_e32 v10, 0
	v_mov_b32_e32 v11, 0
	s_waitcnt lgkmcnt(0)
	s_barrier
	s_and_saveexec_b64 s[10:11], s[0:1]
	s_cbranch_execz .LBB139_103
; %bb.100:
	v_mul_u32_u24_e32 v22, 0x208, v15
	ds_read_b64 v[10:11], v12 offset:2096
	ds_read_b64 v[22:23], v22 offset:2080
	v_cmp_gt_u32_e64 s[8:9], 2, v14
	s_waitcnt lgkmcnt(0)
	v_fma_f64 v[10:11], v[10:11], v[22:23], 0
	s_and_saveexec_b64 s[12:13], s[8:9]
	s_cbranch_execz .LBB139_102
; %bb.101:
	v_lshlrev_b32_e32 v22, 3, v0
	v_mov_b32_e32 v24, 0
	ds_read_b64 v[22:23], v22 offset:2608
	ds_read_b64 v[24:25], v24 offset:2088
	s_waitcnt lgkmcnt(0)
	v_fma_f64 v[10:11], v[22:23], v[24:25], v[10:11]
.LBB139_102:
	s_or_b64 exec, exec, s[12:13]
	v_xor_b32_e32 v11, 0x80000000, v11
.LBB139_103:
	s_or_b64 exec, exec, s[10:11]
	s_and_saveexec_b64 s[8:9], s[38:39]
; %bb.104:
	ds_write_b64 v13, v[10:11]
; %bb.105:
	s_or_b64 exec, exec, s[8:9]
	s_waitcnt lgkmcnt(0)
	s_barrier
	s_and_saveexec_b64 s[8:9], s[36:37]
	s_cbranch_execz .LBB139_107
; %bb.106:
	v_mov_b32_e32 v22, 0
	ds_read_b64 v[22:23], v22 offset:3128
	ds_read_b64 v[24:25], v13
	s_waitcnt lgkmcnt(0)
	v_fma_f64 v[10:11], v[22:23], v[24:25], v[10:11]
.LBB139_107:
	s_or_b64 exec, exec, s[8:9]
	s_barrier
	s_and_saveexec_b64 s[8:9], s[36:37]
; %bb.108:
	ds_write_b64 v13, v[10:11]
; %bb.109:
	s_or_b64 exec, exec, s[8:9]
	s_waitcnt lgkmcnt(0)
	s_barrier
	s_barrier
	s_and_saveexec_b64 s[8:9], s[0:1]
; %bb.110:
	v_xor_b32_e32 v11, 0x80000000, v11
	ds_write_b64 v12, v[10:11] offset:2096
; %bb.111:
	s_or_b64 exec, exec, s[8:9]
	s_waitcnt lgkmcnt(0)
	s_barrier
	s_barrier
	s_and_saveexec_b64 s[8:9], vcc
	s_cbranch_execz .LBB139_113
; %bb.112:
	s_mov_b64 s[10:11], 1.0
	v_mov_b32_e32 v10, s10
	v_mov_b32_e32 v11, s11
	s_movk_i32 s10, 0x800
	v_add_u32_e64 v22, s10, 0
	ds_write2_b64 v22, v[10:11], v[10:11] offset0:134 offset1:199
.LBB139_113:
	s_or_b64 exec, exec, s[8:9]
	v_and_b32_e32 v25, 7, v0
	v_lshrrev_b32_e32 v26, 3, v14
	v_lshlrev_b32_e32 v23, 3, v25
	v_mov_b32_e32 v10, 0
	v_cmp_lt_u32_e64 s[8:9], 63, v14
	v_cmp_gt_u32_e64 s[14:15], 64, v14
	v_mov_b32_e32 v11, 0
	v_lshl_or_b32 v22, v26, 9, v23
	s_waitcnt lgkmcnt(0)
	s_barrier
	s_and_saveexec_b64 s[12:13], s[14:15]
	s_cbranch_execz .LBB139_123
; %bb.114:
	v_mul_u32_u24_e32 v24, 0x208, v26
	ds_read_b64 v[10:11], v22 offset:64
	ds_read_b64 v[27:28], v24
	v_cmp_gt_u32_e64 s[10:11], 56, v14
	s_waitcnt lgkmcnt(0)
	v_fma_f64 v[10:11], v[10:11], v[27:28], 0
	s_and_saveexec_b64 s[16:17], s[10:11]
	s_cbranch_execnz .LBB139_1112
; %bb.115:
	s_or_b64 exec, exec, s[16:17]
	v_cmp_gt_u32_e64 s[10:11], 48, v14
	s_and_saveexec_b64 s[16:17], s[10:11]
	s_cbranch_execnz .LBB139_1113
.LBB139_116:
	s_or_b64 exec, exec, s[16:17]
	v_cmp_gt_u32_e64 s[10:11], 40, v14
	s_and_saveexec_b64 s[16:17], s[10:11]
	s_cbranch_execnz .LBB139_1114
.LBB139_117:
	s_or_b64 exec, exec, s[16:17]
	v_cmp_gt_u32_e64 s[10:11], 32, v14
	s_and_saveexec_b64 s[16:17], s[10:11]
	s_cbranch_execnz .LBB139_1115
.LBB139_118:
	s_or_b64 exec, exec, s[16:17]
	v_cmp_gt_u32_e64 s[10:11], 24, v14
	s_and_saveexec_b64 s[16:17], s[10:11]
	s_cbranch_execnz .LBB139_1116
.LBB139_119:
	s_or_b64 exec, exec, s[16:17]
	v_cmp_gt_u32_e64 s[10:11], 16, v14
	s_and_saveexec_b64 s[16:17], s[10:11]
	s_cbranch_execnz .LBB139_1117
.LBB139_120:
	s_or_b64 exec, exec, s[16:17]
	v_cmp_gt_u32_e64 s[10:11], 8, v14
	s_and_saveexec_b64 s[16:17], s[10:11]
	s_cbranch_execz .LBB139_122
.LBB139_121:
	v_lshlrev_b32_e32 v24, 3, v0
	v_mov_b32_e32 v29, 0
	ds_read_b64 v[27:28], v24 offset:3648
	ds_read_b64 v[29:30], v29 offset:56
	s_waitcnt lgkmcnt(0)
	v_fma_f64 v[10:11], v[27:28], v[29:30], v[10:11]
.LBB139_122:
	s_or_b64 exec, exec, s[16:17]
	v_xor_b32_e32 v11, 0x80000000, v11
.LBB139_123:
	s_or_b64 exec, exec, s[12:13]
	v_mov_b32_e32 v24, 0x8000
	v_cmp_eq_u32_e64 s[10:11], 0, v25
	s_xor_b64 s[12:13], s[8:9], -1
	v_lshl_add_u32 v24, v26, 3, v24
	s_and_b64 s[52:53], s[10:11], s[12:13]
	s_and_saveexec_b64 s[8:9], s[52:53]
; %bb.124:
	ds_write_b64 v24, v[10:11]
; %bb.125:
	s_or_b64 exec, exec, s[8:9]
	v_cmp_ne_u32_e64 s[8:9], 0, v25
	s_and_b64 s[54:55], s[8:9], s[12:13]
	s_waitcnt lgkmcnt(0)
	s_barrier
	s_and_saveexec_b64 s[8:9], s[54:55]
	s_cbranch_execz .LBB139_127
; %bb.126:
	ds_read_b64 v[27:28], v23 offset:4160
	ds_read_b64 v[29:30], v24
	s_waitcnt lgkmcnt(0)
	v_fma_f64 v[10:11], v[27:28], v[29:30], v[10:11]
.LBB139_127:
	s_or_b64 exec, exec, s[8:9]
	v_cmp_eq_u32_e64 s[8:9], 1, v25
	s_and_b64 s[56:57], s[8:9], s[12:13]
	s_barrier
	s_and_saveexec_b64 s[8:9], s[56:57]
; %bb.128:
	ds_write_b64 v24, v[10:11]
; %bb.129:
	s_or_b64 exec, exec, s[8:9]
	v_cmp_lt_u32_e64 s[8:9], 1, v25
	s_and_b64 s[58:59], s[8:9], s[12:13]
	s_waitcnt lgkmcnt(0)
	s_barrier
	s_and_saveexec_b64 s[8:9], s[58:59]
	s_cbranch_execz .LBB139_131
; %bb.130:
	ds_read_b64 v[27:28], v23 offset:4672
	ds_read_b64 v[29:30], v24
	s_waitcnt lgkmcnt(0)
	v_fma_f64 v[10:11], v[27:28], v[29:30], v[10:11]
.LBB139_131:
	s_or_b64 exec, exec, s[8:9]
	v_cmp_eq_u32_e64 s[8:9], 2, v25
	s_and_b64 s[60:61], s[8:9], s[12:13]
	s_barrier
	s_and_saveexec_b64 s[8:9], s[60:61]
; %bb.132:
	ds_write_b64 v24, v[10:11]
; %bb.133:
	s_or_b64 exec, exec, s[8:9]
	v_cmp_lt_u32_e64 s[8:9], 2, v25
	;; [unrolled: 21-line block ×5, first 2 shown]
	s_and_b64 s[76:77], s[8:9], s[12:13]
	s_waitcnt lgkmcnt(0)
	s_barrier
	s_and_saveexec_b64 s[8:9], s[76:77]
	s_cbranch_execz .LBB139_147
; %bb.146:
	ds_read_b64 v[27:28], v23 offset:6720
	ds_read_b64 v[29:30], v24
	s_waitcnt lgkmcnt(0)
	v_fma_f64 v[10:11], v[27:28], v[29:30], v[10:11]
.LBB139_147:
	s_or_b64 exec, exec, s[8:9]
	v_cmp_eq_u32_e64 s[8:9], 6, v25
	s_and_b64 s[78:79], s[8:9], s[12:13]
	s_barrier
	s_and_saveexec_b64 s[8:9], s[78:79]
; %bb.148:
	ds_write_b64 v24, v[10:11]
; %bb.149:
	s_or_b64 exec, exec, s[8:9]
	v_cmp_eq_u32_e64 s[8:9], 7, v25
	s_and_b64 s[62:63], s[8:9], s[12:13]
	s_waitcnt lgkmcnt(0)
	s_barrier
	s_and_saveexec_b64 s[8:9], s[62:63]
	s_cbranch_execz .LBB139_151
; %bb.150:
	v_mov_b32_e32 v27, 0
	ds_read_b64 v[27:28], v27 offset:7288
	ds_read_b64 v[29:30], v24
	s_waitcnt lgkmcnt(0)
	v_fma_f64 v[10:11], v[27:28], v[29:30], v[10:11]
.LBB139_151:
	s_or_b64 exec, exec, s[8:9]
	s_barrier
	s_and_saveexec_b64 s[8:9], s[62:63]
; %bb.152:
	ds_write_b64 v24, v[10:11]
; %bb.153:
	s_or_b64 exec, exec, s[8:9]
	s_waitcnt lgkmcnt(0)
	s_barrier
	s_barrier
	s_and_saveexec_b64 s[8:9], s[14:15]
; %bb.154:
	v_xor_b32_e32 v11, 0x80000000, v11
	ds_write_b64 v22, v[10:11] offset:64
; %bb.155:
	s_or_b64 exec, exec, s[8:9]
	s_waitcnt lgkmcnt(0)
	s_barrier
	s_barrier
	s_and_saveexec_b64 s[8:9], vcc
	s_cbranch_execz .LBB139_157
; %bb.156:
	s_mov_b64 s[10:11], 1.0
	v_mov_b32_e32 v10, s10
	v_mov_b32_e32 v11, s11
	s_movk_i32 s10, 0x1000
	v_add_u32_e64 v27, s10, 0
	ds_write2_b64 v27, v[10:11], v[10:11] offset0:8 offset1:73
.LBB139_157:
	s_or_b64 exec, exec, s[8:9]
	v_mov_b32_e32 v10, 0
	v_mov_b32_e32 v11, 0
	s_waitcnt lgkmcnt(0)
	s_barrier
	s_and_saveexec_b64 s[10:11], s[0:1]
	s_cbranch_execz .LBB139_161
; %bb.158:
	v_mul_u32_u24_e32 v27, 0x208, v15
	ds_read_b64 v[10:11], v12 offset:4176
	ds_read_b64 v[27:28], v27 offset:4160
	v_cmp_gt_u32_e64 s[8:9], 2, v14
	s_waitcnt lgkmcnt(0)
	v_fma_f64 v[10:11], v[10:11], v[27:28], 0
	s_and_saveexec_b64 s[12:13], s[8:9]
	s_cbranch_execz .LBB139_160
; %bb.159:
	v_lshlrev_b32_e32 v27, 3, v0
	v_mov_b32_e32 v29, 0
	ds_read_b64 v[27:28], v27 offset:4688
	ds_read_b64 v[29:30], v29 offset:4168
	s_waitcnt lgkmcnt(0)
	v_fma_f64 v[10:11], v[27:28], v[29:30], v[10:11]
.LBB139_160:
	s_or_b64 exec, exec, s[12:13]
	v_xor_b32_e32 v11, 0x80000000, v11
.LBB139_161:
	s_or_b64 exec, exec, s[10:11]
	s_and_saveexec_b64 s[8:9], s[38:39]
; %bb.162:
	ds_write_b64 v13, v[10:11]
; %bb.163:
	s_or_b64 exec, exec, s[8:9]
	s_waitcnt lgkmcnt(0)
	s_barrier
	s_and_saveexec_b64 s[8:9], s[36:37]
	s_cbranch_execz .LBB139_165
; %bb.164:
	v_mov_b32_e32 v27, 0
	ds_read_b64 v[27:28], v27 offset:5208
	ds_read_b64 v[29:30], v13
	s_waitcnt lgkmcnt(0)
	v_fma_f64 v[10:11], v[27:28], v[29:30], v[10:11]
.LBB139_165:
	s_or_b64 exec, exec, s[8:9]
	s_barrier
	s_and_saveexec_b64 s[8:9], s[36:37]
; %bb.166:
	ds_write_b64 v13, v[10:11]
; %bb.167:
	s_or_b64 exec, exec, s[8:9]
	s_waitcnt lgkmcnt(0)
	s_barrier
	s_barrier
	s_and_saveexec_b64 s[8:9], s[0:1]
; %bb.168:
	v_xor_b32_e32 v11, 0x80000000, v11
	ds_write_b64 v12, v[10:11] offset:4176
; %bb.169:
	s_or_b64 exec, exec, s[8:9]
	s_waitcnt lgkmcnt(0)
	s_barrier
	s_barrier
	s_and_saveexec_b64 s[8:9], vcc
	s_cbranch_execz .LBB139_171
; %bb.170:
	s_mov_b64 s[10:11], 1.0
	v_mov_b32_e32 v10, s10
	v_mov_b32_e32 v11, s11
	s_movk_i32 s10, 0x1000
	v_add_u32_e64 v27, s10, 0
	ds_write2_b64 v27, v[10:11], v[10:11] offset0:138 offset1:203
.LBB139_171:
	s_or_b64 exec, exec, s[8:9]
	v_mov_b32_e32 v10, 0
	v_mov_b32_e32 v11, 0
	s_waitcnt lgkmcnt(0)
	s_barrier
	s_and_saveexec_b64 s[10:11], s[2:3]
	s_cbranch_execz .LBB139_177
; %bb.172:
	v_mul_u32_u24_e32 v27, 0x208, v21
	ds_read_b64 v[10:11], v16 offset:4192
	ds_read_b64 v[28:29], v27 offset:4160
	v_cmp_gt_u32_e64 s[8:9], 12, v14
	s_waitcnt lgkmcnt(0)
	v_fma_f64 v[10:11], v[10:11], v[28:29], 0
	s_and_saveexec_b64 s[12:13], s[8:9]
	s_cbranch_execnz .LBB139_1118
; %bb.173:
	s_or_b64 exec, exec, s[12:13]
	v_cmp_gt_u32_e64 s[8:9], 8, v14
	s_and_saveexec_b64 s[12:13], s[8:9]
	s_cbranch_execnz .LBB139_1119
.LBB139_174:
	s_or_b64 exec, exec, s[12:13]
	v_cmp_gt_u32_e64 s[8:9], 4, v14
	s_and_saveexec_b64 s[12:13], s[8:9]
	s_cbranch_execz .LBB139_176
.LBB139_175:
	v_lshlrev_b32_e32 v27, 3, v0
	v_mov_b32_e32 v29, 0
	ds_read_b64 v[27:28], v27 offset:5728
	ds_read_b64 v[29:30], v29 offset:4184
	s_waitcnt lgkmcnt(0)
	v_fma_f64 v[10:11], v[27:28], v[29:30], v[10:11]
.LBB139_176:
	s_or_b64 exec, exec, s[12:13]
	v_xor_b32_e32 v11, 0x80000000, v11
.LBB139_177:
	s_or_b64 exec, exec, s[10:11]
	s_and_saveexec_b64 s[8:9], s[42:43]
; %bb.178:
	ds_write_b64 v19, v[10:11]
; %bb.179:
	s_or_b64 exec, exec, s[8:9]
	s_waitcnt lgkmcnt(0)
	s_barrier
	s_and_saveexec_b64 s[8:9], s[44:45]
	s_cbranch_execz .LBB139_181
; %bb.180:
	ds_read_b64 v[27:28], v17 offset:6240
	ds_read_b64 v[29:30], v19
	s_waitcnt lgkmcnt(0)
	v_fma_f64 v[10:11], v[27:28], v[29:30], v[10:11]
.LBB139_181:
	s_or_b64 exec, exec, s[8:9]
	s_barrier
	s_and_saveexec_b64 s[8:9], s[46:47]
; %bb.182:
	ds_write_b64 v19, v[10:11]
; %bb.183:
	s_or_b64 exec, exec, s[8:9]
	s_waitcnt lgkmcnt(0)
	s_barrier
	s_and_saveexec_b64 s[8:9], s[48:49]
	s_cbranch_execz .LBB139_185
; %bb.184:
	ds_read_b64 v[27:28], v17 offset:6752
	ds_read_b64 v[29:30], v19
	s_waitcnt lgkmcnt(0)
	v_fma_f64 v[10:11], v[27:28], v[29:30], v[10:11]
.LBB139_185:
	s_or_b64 exec, exec, s[8:9]
	s_barrier
	s_and_saveexec_b64 s[8:9], s[50:51]
; %bb.186:
	ds_write_b64 v19, v[10:11]
; %bb.187:
	s_or_b64 exec, exec, s[8:9]
	s_waitcnt lgkmcnt(0)
	s_barrier
	s_and_saveexec_b64 s[8:9], s[40:41]
	s_cbranch_execz .LBB139_189
; %bb.188:
	v_mov_b32_e32 v27, 0
	ds_read_b64 v[27:28], v27 offset:7288
	ds_read_b64 v[29:30], v19
	s_waitcnt lgkmcnt(0)
	v_fma_f64 v[10:11], v[27:28], v[29:30], v[10:11]
.LBB139_189:
	s_or_b64 exec, exec, s[8:9]
	s_barrier
	s_and_saveexec_b64 s[8:9], s[40:41]
; %bb.190:
	ds_write_b64 v19, v[10:11]
; %bb.191:
	s_or_b64 exec, exec, s[8:9]
	s_waitcnt lgkmcnt(0)
	s_barrier
	s_barrier
	s_and_saveexec_b64 s[8:9], s[2:3]
; %bb.192:
	v_xor_b32_e32 v11, 0x80000000, v11
	ds_write_b64 v16, v[10:11] offset:4192
; %bb.193:
	s_or_b64 exec, exec, s[8:9]
	s_waitcnt lgkmcnt(0)
	s_barrier
	s_barrier
	s_and_saveexec_b64 s[8:9], vcc
	s_cbranch_execz .LBB139_195
; %bb.194:
	s_mov_b64 s[10:11], 1.0
	v_mov_b32_e32 v10, s10
	v_mov_b32_e32 v11, s11
	s_movk_i32 s10, 0x1800
	v_add_u32_e64 v27, s10, 0
	ds_write2_b64 v27, v[10:11], v[10:11] offset0:12 offset1:77
.LBB139_195:
	s_or_b64 exec, exec, s[8:9]
	v_mov_b32_e32 v10, 0
	v_mov_b32_e32 v11, 0
	s_waitcnt lgkmcnt(0)
	s_barrier
	s_and_saveexec_b64 s[10:11], s[0:1]
	s_cbranch_execz .LBB139_199
; %bb.196:
	v_mul_u32_u24_e32 v27, 0x208, v15
	ds_read_b64 v[10:11], v12 offset:6256
	ds_read_b64 v[27:28], v27 offset:6240
	v_cmp_gt_u32_e64 s[8:9], 2, v14
	s_waitcnt lgkmcnt(0)
	v_fma_f64 v[10:11], v[10:11], v[27:28], 0
	s_and_saveexec_b64 s[12:13], s[8:9]
	s_cbranch_execz .LBB139_198
; %bb.197:
	v_lshlrev_b32_e32 v27, 3, v0
	v_mov_b32_e32 v29, 0
	ds_read_b64 v[27:28], v27 offset:6768
	ds_read_b64 v[29:30], v29 offset:6248
	s_waitcnt lgkmcnt(0)
	v_fma_f64 v[10:11], v[27:28], v[29:30], v[10:11]
.LBB139_198:
	s_or_b64 exec, exec, s[12:13]
	v_xor_b32_e32 v11, 0x80000000, v11
.LBB139_199:
	s_or_b64 exec, exec, s[10:11]
	s_and_saveexec_b64 s[8:9], s[38:39]
; %bb.200:
	ds_write_b64 v13, v[10:11]
; %bb.201:
	s_or_b64 exec, exec, s[8:9]
	s_waitcnt lgkmcnt(0)
	s_barrier
	s_and_saveexec_b64 s[8:9], s[36:37]
	s_cbranch_execz .LBB139_203
; %bb.202:
	v_mov_b32_e32 v27, 0
	ds_read_b64 v[27:28], v27 offset:7288
	ds_read_b64 v[29:30], v13
	s_waitcnt lgkmcnt(0)
	v_fma_f64 v[10:11], v[27:28], v[29:30], v[10:11]
.LBB139_203:
	s_or_b64 exec, exec, s[8:9]
	s_barrier
	s_and_saveexec_b64 s[8:9], s[36:37]
; %bb.204:
	ds_write_b64 v13, v[10:11]
; %bb.205:
	s_or_b64 exec, exec, s[8:9]
	s_waitcnt lgkmcnt(0)
	s_barrier
	s_barrier
	s_and_saveexec_b64 s[8:9], s[0:1]
; %bb.206:
	v_xor_b32_e32 v11, 0x80000000, v11
	ds_write_b64 v12, v[10:11] offset:6256
; %bb.207:
	s_or_b64 exec, exec, s[8:9]
	s_waitcnt lgkmcnt(0)
	s_barrier
	s_barrier
	s_and_saveexec_b64 s[8:9], vcc
	s_cbranch_execz .LBB139_209
; %bb.208:
	s_mov_b64 s[10:11], 1.0
	v_mov_b32_e32 v10, s10
	v_mov_b32_e32 v11, s11
	s_movk_i32 s10, 0x1800
	v_add_u32_e64 v27, s10, 0
	ds_write2_b64 v27, v[10:11], v[10:11] offset0:142 offset1:207
.LBB139_209:
	s_or_b64 exec, exec, s[8:9]
	v_lshrrev_b32_e32 v31, 4, v14
	v_and_b32_e32 v28, 15, v0
	s_movk_i32 s8, 0xff
	v_lshlrev_b32_e32 v30, 6, v31
	v_cmp_lt_u32_e64 s[10:11], s8, v14
	s_movk_i32 s8, 0x100
	v_or_b32_e32 v27, v30, v28
	v_mov_b32_e32 v10, 0
	v_cmp_gt_u32_e64 s[8:9], s8, v14
	v_mov_b32_e32 v11, 0
	v_lshlrev_b32_e32 v27, 3, v27
	s_waitcnt lgkmcnt(0)
	s_barrier
	s_and_saveexec_b64 s[16:17], s[8:9]
	s_cbranch_execz .LBB139_237
; %bb.210:
	v_mul_u32_u24_e32 v29, 0x208, v31
	ds_read_b64 v[10:11], v27 offset:128
	ds_read_b64 v[32:33], v29
	s_movk_i32 s12, 0xf0
	v_cmp_gt_u32_e64 s[12:13], s12, v14
	s_waitcnt lgkmcnt(0)
	v_fma_f64 v[10:11], v[10:11], v[32:33], 0
	s_and_saveexec_b64 s[80:81], s[12:13]
	s_cbranch_execz .LBB139_212
; %bb.211:
	v_lshlrev_b32_e32 v32, 3, v31
	v_sub_u32_e32 v32, v29, v32
	v_lshl_add_u32 v32, v28, 3, v32
	ds_read_b64 v[32:33], v32 offset:640
	ds_read_b64 v[34:35], v29 offset:8
	s_waitcnt lgkmcnt(0)
	v_fma_f64 v[10:11], v[32:33], v[34:35], v[10:11]
.LBB139_212:
	s_or_b64 exec, exec, s[80:81]
	s_movk_i32 s12, 0xe0
	v_cmp_gt_u32_e64 s[12:13], s12, v14
	s_and_saveexec_b64 s[80:81], s[12:13]
	s_cbranch_execz .LBB139_214
; %bb.213:
	v_lshlrev_b32_e32 v32, 3, v31
	v_sub_u32_e32 v32, v29, v32
	v_lshl_add_u32 v32, v28, 3, v32
	ds_read_b64 v[32:33], v32 offset:1152
	ds_read_b64 v[34:35], v29 offset:16
	s_waitcnt lgkmcnt(0)
	v_fma_f64 v[10:11], v[32:33], v[34:35], v[10:11]
.LBB139_214:
	s_or_b64 exec, exec, s[80:81]
	s_movk_i32 s12, 0xd0
	v_cmp_gt_u32_e64 s[12:13], s12, v14
	;; [unrolled: 14-line block ×7, first 2 shown]
	s_and_saveexec_b64 s[80:81], s[12:13]
	s_cbranch_execz .LBB139_226
; %bb.225:
	ds_read_b64 v[32:33], v27 offset:4224
	ds_read_b64 v[34:35], v29 offset:64
	s_waitcnt lgkmcnt(0)
	v_fma_f64 v[10:11], v[32:33], v[34:35], v[10:11]
.LBB139_226:
	s_or_b64 exec, exec, s[80:81]
	s_movk_i32 s12, 0x70
	v_cmp_gt_u32_e64 s[12:13], s12, v14
	s_and_saveexec_b64 s[80:81], s[12:13]
	s_cbranch_execz .LBB139_228
; %bb.227:
	v_lshlrev_b32_e32 v32, 3, v31
	v_sub_u32_e32 v32, v29, v32
	v_lshl_add_u32 v32, v28, 3, v32
	ds_read_b64 v[32:33], v32 offset:4736
	ds_read_b64 v[34:35], v29 offset:72
	s_waitcnt lgkmcnt(0)
	v_fma_f64 v[10:11], v[32:33], v[34:35], v[10:11]
.LBB139_228:
	s_or_b64 exec, exec, s[80:81]
	s_movk_i32 s12, 0x60
	v_cmp_gt_u32_e64 s[12:13], s12, v14
	s_and_saveexec_b64 s[80:81], s[12:13]
	s_cbranch_execz .LBB139_230
; %bb.229:
	v_lshlrev_b32_e32 v32, 3, v28
	v_lshl_add_u32 v32, v30, 3, v32
	ds_read_b64 v[32:33], v32 offset:5248
	ds_read_b64 v[34:35], v29 offset:80
	s_waitcnt lgkmcnt(0)
	v_fma_f64 v[10:11], v[32:33], v[34:35], v[10:11]
.LBB139_230:
	s_or_b64 exec, exec, s[80:81]
	s_movk_i32 s12, 0x50
	v_cmp_gt_u32_e64 s[12:13], s12, v14
	s_and_saveexec_b64 s[80:81], s[12:13]
	s_cbranch_execnz .LBB139_1120
; %bb.231:
	s_or_b64 exec, exec, s[80:81]
	v_cmp_gt_u32_e64 s[12:13], 64, v14
	s_and_saveexec_b64 s[80:81], s[12:13]
	s_cbranch_execnz .LBB139_1121
.LBB139_232:
	s_or_b64 exec, exec, s[80:81]
	v_cmp_gt_u32_e64 s[12:13], 48, v14
	s_and_saveexec_b64 s[80:81], s[12:13]
	s_cbranch_execnz .LBB139_1122
.LBB139_233:
	s_or_b64 exec, exec, s[80:81]
	v_cmp_gt_u32_e64 s[12:13], 32, v14
	s_and_saveexec_b64 s[80:81], s[12:13]
	s_cbranch_execnz .LBB139_1123
.LBB139_234:
	s_or_b64 exec, exec, s[80:81]
	v_cmp_gt_u32_e64 s[12:13], 16, v14
	s_and_saveexec_b64 s[80:81], s[12:13]
	s_cbranch_execz .LBB139_236
.LBB139_235:
	v_lshlrev_b32_e32 v29, 3, v0
	v_mov_b32_e32 v34, 0
	ds_read_b64 v[32:33], v29 offset:7808
	ds_read_b64 v[34:35], v34 offset:120
	s_waitcnt lgkmcnt(0)
	v_fma_f64 v[10:11], v[32:33], v[34:35], v[10:11]
.LBB139_236:
	s_or_b64 exec, exec, s[80:81]
	v_xor_b32_e32 v11, 0x80000000, v11
.LBB139_237:
	s_or_b64 exec, exec, s[16:17]
	v_mov_b32_e32 v29, 0x8000
	v_lshl_add_u32 v29, v31, 3, v29
	v_cmp_eq_u32_e64 s[12:13], 0, v28
	s_xor_b64 s[16:17], s[10:11], -1
	s_and_b64 s[12:13], s[12:13], s[16:17]
	s_mov_b64 s[10:11], exec
                                        ; implicit-def: $vgpr41 : SGPR spill to VGPR lane
	v_writelane_b32 v41, s12, 0
	v_writelane_b32 v41, s13, 1
	s_and_b64 s[12:13], s[10:11], s[12:13]
	s_mov_b64 exec, s[12:13]
; %bb.238:
	ds_write_b64 v29, v[10:11]
; %bb.239:
	s_or_b64 exec, exec, s[10:11]
	v_cmp_ne_u32_e64 s[10:11], 0, v28
	s_waitcnt lgkmcnt(0)
	s_barrier
	s_and_b64 s[12:13], s[10:11], s[16:17]
	s_mov_b64 s[10:11], exec
	v_writelane_b32 v41, s12, 2
	v_writelane_b32 v41, s13, 3
	s_and_b64 s[12:13], s[10:11], s[12:13]
	s_mov_b64 exec, s[12:13]
	s_cbranch_execz .LBB139_241
; %bb.240:
	v_lshlrev_b32_e32 v32, 3, v28
	ds_read_b64 v[32:33], v32 offset:8320
	ds_read_b64 v[34:35], v29
	s_waitcnt lgkmcnt(0)
	v_fma_f64 v[10:11], v[32:33], v[34:35], v[10:11]
.LBB139_241:
	s_or_b64 exec, exec, s[10:11]
	v_cmp_eq_u32_e64 s[10:11], 1, v28
	s_barrier
	s_and_b64 s[12:13], s[10:11], s[16:17]
	s_mov_b64 s[10:11], exec
	v_writelane_b32 v41, s12, 4
	v_writelane_b32 v41, s13, 5
	s_and_b64 s[12:13], s[10:11], s[12:13]
	s_mov_b64 exec, s[12:13]
; %bb.242:
	ds_write_b64 v29, v[10:11]
; %bb.243:
	s_or_b64 exec, exec, s[10:11]
	v_cmp_lt_u32_e64 s[10:11], 1, v28
	s_waitcnt lgkmcnt(0)
	s_barrier
	s_and_b64 s[12:13], s[10:11], s[16:17]
	s_mov_b64 s[10:11], exec
	v_writelane_b32 v41, s12, 6
	v_writelane_b32 v41, s13, 7
	s_and_b64 s[12:13], s[10:11], s[12:13]
	s_mov_b64 exec, s[12:13]
	s_cbranch_execz .LBB139_245
; %bb.244:
	v_lshlrev_b32_e32 v32, 3, v28
	ds_read_b64 v[32:33], v32 offset:8832
	ds_read_b64 v[34:35], v29
	s_waitcnt lgkmcnt(0)
	v_fma_f64 v[10:11], v[32:33], v[34:35], v[10:11]
.LBB139_245:
	s_or_b64 exec, exec, s[10:11]
	v_cmp_eq_u32_e64 s[10:11], 2, v28
	s_barrier
	s_and_b64 s[12:13], s[10:11], s[16:17]
	s_mov_b64 s[10:11], exec
	v_writelane_b32 v41, s12, 8
	v_writelane_b32 v41, s13, 9
	s_and_b64 s[12:13], s[10:11], s[12:13]
	s_mov_b64 exec, s[12:13]
; %bb.246:
	ds_write_b64 v29, v[10:11]
; %bb.247:
	s_or_b64 exec, exec, s[10:11]
	v_cmp_lt_u32_e64 s[10:11], 2, v28
	;; [unrolled: 30-line block ×12, first 2 shown]
	s_and_b64 s[84:85], s[10:11], s[16:17]
	s_waitcnt lgkmcnt(0)
	s_barrier
	s_and_saveexec_b64 s[10:11], s[84:85]
	s_cbranch_execz .LBB139_289
; %bb.288:
	v_lshlrev_b32_e32 v32, 3, v28
	ds_read_b64 v[32:33], v32 offset:14464
	ds_read_b64 v[34:35], v29
	s_waitcnt lgkmcnt(0)
	v_fma_f64 v[10:11], v[32:33], v[34:35], v[10:11]
.LBB139_289:
	s_or_b64 exec, exec, s[10:11]
	v_cmp_eq_u32_e64 s[10:11], 13, v28
	s_and_b64 s[86:87], s[10:11], s[16:17]
	s_barrier
	s_and_saveexec_b64 s[10:11], s[86:87]
; %bb.290:
	ds_write_b64 v29, v[10:11]
; %bb.291:
	s_or_b64 exec, exec, s[10:11]
	v_cmp_lt_u32_e64 s[10:11], 13, v28
	s_and_b64 s[88:89], s[10:11], s[16:17]
	s_waitcnt lgkmcnt(0)
	s_barrier
	s_and_saveexec_b64 s[10:11], s[88:89]
	s_cbranch_execz .LBB139_293
; %bb.292:
	v_lshlrev_b32_e32 v32, 3, v28
	ds_read_b64 v[32:33], v32 offset:14976
	ds_read_b64 v[34:35], v29
	s_waitcnt lgkmcnt(0)
	v_fma_f64 v[10:11], v[32:33], v[34:35], v[10:11]
.LBB139_293:
	s_or_b64 exec, exec, s[10:11]
	v_cmp_eq_u32_e64 s[10:11], 14, v28
	s_and_b64 s[92:93], s[10:11], s[16:17]
	s_barrier
	s_and_saveexec_b64 s[10:11], s[92:93]
; %bb.294:
	ds_write_b64 v29, v[10:11]
; %bb.295:
	s_or_b64 exec, exec, s[10:11]
	v_cmp_eq_u32_e64 s[10:11], 15, v28
	s_and_b64 s[90:91], s[10:11], s[16:17]
	s_waitcnt lgkmcnt(0)
	s_barrier
	s_and_saveexec_b64 s[10:11], s[90:91]
	s_cbranch_execz .LBB139_297
; %bb.296:
	v_mov_b32_e32 v32, 0
	ds_read_b64 v[32:33], v32 offset:15608
	ds_read_b64 v[34:35], v29
	s_waitcnt lgkmcnt(0)
	v_fma_f64 v[10:11], v[32:33], v[34:35], v[10:11]
.LBB139_297:
	s_or_b64 exec, exec, s[10:11]
	s_barrier
	s_and_saveexec_b64 s[10:11], s[90:91]
; %bb.298:
	ds_write_b64 v29, v[10:11]
; %bb.299:
	s_or_b64 exec, exec, s[10:11]
	s_waitcnt lgkmcnt(0)
	s_barrier
	s_barrier
	s_and_saveexec_b64 s[10:11], s[8:9]
; %bb.300:
	v_xor_b32_e32 v11, 0x80000000, v11
	ds_write_b64 v27, v[10:11] offset:128
; %bb.301:
	s_or_b64 exec, exec, s[10:11]
	s_waitcnt lgkmcnt(0)
	s_barrier
	s_barrier
	s_and_saveexec_b64 s[10:11], vcc
	s_cbranch_execz .LBB139_303
; %bb.302:
	s_mov_b64 s[12:13], 1.0
	v_mov_b32_e32 v10, s12
	v_mov_b32_e32 v11, s13
	s_movk_i32 s12, 0x2000
	v_add_u32_e64 v32, s12, 0
	ds_write2_b64 v32, v[10:11], v[10:11] offset0:16 offset1:81
.LBB139_303:
	s_or_b64 exec, exec, s[10:11]
	v_mov_b32_e32 v10, 0
	v_mov_b32_e32 v11, 0
	s_waitcnt lgkmcnt(0)
	s_barrier
	s_and_saveexec_b64 s[12:13], s[0:1]
	s_cbranch_execz .LBB139_307
; %bb.304:
	v_mul_u32_u24_e32 v32, 0x208, v15
	ds_read_b64 v[10:11], v12 offset:8336
	ds_read_b64 v[32:33], v32 offset:8320
	v_cmp_gt_u32_e64 s[10:11], 2, v14
	s_waitcnt lgkmcnt(0)
	v_fma_f64 v[10:11], v[10:11], v[32:33], 0
	s_and_saveexec_b64 s[16:17], s[10:11]
	s_cbranch_execz .LBB139_306
; %bb.305:
	v_lshlrev_b32_e32 v32, 3, v0
	v_mov_b32_e32 v34, 0
	ds_read_b64 v[32:33], v32 offset:8848
	ds_read_b64 v[34:35], v34 offset:8328
	s_waitcnt lgkmcnt(0)
	v_fma_f64 v[10:11], v[32:33], v[34:35], v[10:11]
.LBB139_306:
	s_or_b64 exec, exec, s[16:17]
	v_xor_b32_e32 v11, 0x80000000, v11
.LBB139_307:
	s_or_b64 exec, exec, s[12:13]
	s_and_saveexec_b64 s[10:11], s[38:39]
; %bb.308:
	ds_write_b64 v13, v[10:11]
; %bb.309:
	s_or_b64 exec, exec, s[10:11]
	s_waitcnt lgkmcnt(0)
	s_barrier
	s_and_saveexec_b64 s[10:11], s[36:37]
	s_cbranch_execz .LBB139_311
; %bb.310:
	v_mov_b32_e32 v32, 0
	ds_read_b64 v[32:33], v32 offset:9368
	ds_read_b64 v[34:35], v13
	s_waitcnt lgkmcnt(0)
	v_fma_f64 v[10:11], v[32:33], v[34:35], v[10:11]
.LBB139_311:
	s_or_b64 exec, exec, s[10:11]
	s_barrier
	s_and_saveexec_b64 s[10:11], s[36:37]
; %bb.312:
	ds_write_b64 v13, v[10:11]
; %bb.313:
	s_or_b64 exec, exec, s[10:11]
	s_waitcnt lgkmcnt(0)
	s_barrier
	s_barrier
	s_and_saveexec_b64 s[10:11], s[0:1]
; %bb.314:
	v_xor_b32_e32 v11, 0x80000000, v11
	ds_write_b64 v12, v[10:11] offset:8336
; %bb.315:
	s_or_b64 exec, exec, s[10:11]
	s_waitcnt lgkmcnt(0)
	s_barrier
	s_barrier
	s_and_saveexec_b64 s[10:11], vcc
	s_cbranch_execz .LBB139_317
; %bb.316:
	s_mov_b64 s[12:13], 1.0
	v_mov_b32_e32 v10, s12
	v_mov_b32_e32 v11, s13
	s_movk_i32 s12, 0x2000
	v_add_u32_e64 v32, s12, 0
	ds_write2_b64 v32, v[10:11], v[10:11] offset0:146 offset1:211
.LBB139_317:
	s_or_b64 exec, exec, s[10:11]
	v_mov_b32_e32 v10, 0
	v_mov_b32_e32 v11, 0
	s_waitcnt lgkmcnt(0)
	s_barrier
	s_and_saveexec_b64 s[12:13], s[2:3]
	s_cbranch_execz .LBB139_323
; %bb.318:
	v_mul_u32_u24_e32 v32, 0x208, v21
	ds_read_b64 v[10:11], v16 offset:8352
	ds_read_b64 v[33:34], v32 offset:8320
	v_cmp_gt_u32_e64 s[10:11], 12, v14
	s_waitcnt lgkmcnt(0)
	v_fma_f64 v[10:11], v[10:11], v[33:34], 0
	s_and_saveexec_b64 s[16:17], s[10:11]
	s_cbranch_execnz .LBB139_1124
; %bb.319:
	s_or_b64 exec, exec, s[16:17]
	v_cmp_gt_u32_e64 s[10:11], 8, v14
	s_and_saveexec_b64 s[16:17], s[10:11]
	s_cbranch_execnz .LBB139_1125
.LBB139_320:
	s_or_b64 exec, exec, s[16:17]
	v_cmp_gt_u32_e64 s[10:11], 4, v14
	s_and_saveexec_b64 s[16:17], s[10:11]
	s_cbranch_execz .LBB139_322
.LBB139_321:
	v_lshlrev_b32_e32 v32, 3, v0
	v_mov_b32_e32 v34, 0
	ds_read_b64 v[32:33], v32 offset:9888
	ds_read_b64 v[34:35], v34 offset:8344
	s_waitcnt lgkmcnt(0)
	v_fma_f64 v[10:11], v[32:33], v[34:35], v[10:11]
.LBB139_322:
	s_or_b64 exec, exec, s[16:17]
	v_xor_b32_e32 v11, 0x80000000, v11
.LBB139_323:
	s_or_b64 exec, exec, s[12:13]
	s_and_saveexec_b64 s[10:11], s[42:43]
; %bb.324:
	ds_write_b64 v19, v[10:11]
; %bb.325:
	s_or_b64 exec, exec, s[10:11]
	s_waitcnt lgkmcnt(0)
	s_barrier
	s_and_saveexec_b64 s[10:11], s[44:45]
	s_cbranch_execz .LBB139_327
; %bb.326:
	ds_read_b64 v[32:33], v17 offset:10400
	ds_read_b64 v[34:35], v19
	s_waitcnt lgkmcnt(0)
	v_fma_f64 v[10:11], v[32:33], v[34:35], v[10:11]
.LBB139_327:
	s_or_b64 exec, exec, s[10:11]
	s_barrier
	s_and_saveexec_b64 s[10:11], s[46:47]
; %bb.328:
	ds_write_b64 v19, v[10:11]
; %bb.329:
	s_or_b64 exec, exec, s[10:11]
	s_waitcnt lgkmcnt(0)
	s_barrier
	s_and_saveexec_b64 s[10:11], s[48:49]
	s_cbranch_execz .LBB139_331
; %bb.330:
	ds_read_b64 v[32:33], v17 offset:10912
	ds_read_b64 v[34:35], v19
	s_waitcnt lgkmcnt(0)
	v_fma_f64 v[10:11], v[32:33], v[34:35], v[10:11]
.LBB139_331:
	s_or_b64 exec, exec, s[10:11]
	s_barrier
	s_and_saveexec_b64 s[10:11], s[50:51]
; %bb.332:
	ds_write_b64 v19, v[10:11]
; %bb.333:
	s_or_b64 exec, exec, s[10:11]
	s_waitcnt lgkmcnt(0)
	s_barrier
	s_and_saveexec_b64 s[10:11], s[40:41]
	s_cbranch_execz .LBB139_335
; %bb.334:
	v_mov_b32_e32 v32, 0
	ds_read_b64 v[32:33], v32 offset:11448
	ds_read_b64 v[34:35], v19
	s_waitcnt lgkmcnt(0)
	v_fma_f64 v[10:11], v[32:33], v[34:35], v[10:11]
.LBB139_335:
	s_or_b64 exec, exec, s[10:11]
	s_barrier
	s_and_saveexec_b64 s[10:11], s[40:41]
; %bb.336:
	ds_write_b64 v19, v[10:11]
; %bb.337:
	s_or_b64 exec, exec, s[10:11]
	s_waitcnt lgkmcnt(0)
	s_barrier
	s_barrier
	s_and_saveexec_b64 s[10:11], s[2:3]
; %bb.338:
	v_xor_b32_e32 v11, 0x80000000, v11
	ds_write_b64 v16, v[10:11] offset:8352
; %bb.339:
	s_or_b64 exec, exec, s[10:11]
	s_waitcnt lgkmcnt(0)
	s_barrier
	s_barrier
	s_and_saveexec_b64 s[10:11], vcc
	s_cbranch_execz .LBB139_341
; %bb.340:
	s_mov_b64 s[12:13], 1.0
	v_mov_b32_e32 v10, s12
	v_mov_b32_e32 v11, s13
	s_movk_i32 s12, 0x2800
	v_add_u32_e64 v32, s12, 0
	ds_write2_b64 v32, v[10:11], v[10:11] offset0:20 offset1:85
.LBB139_341:
	s_or_b64 exec, exec, s[10:11]
	v_mov_b32_e32 v10, 0
	v_mov_b32_e32 v11, 0
	s_waitcnt lgkmcnt(0)
	s_barrier
	s_and_saveexec_b64 s[12:13], s[0:1]
	s_cbranch_execz .LBB139_345
; %bb.342:
	v_mul_u32_u24_e32 v32, 0x208, v15
	ds_read_b64 v[10:11], v12 offset:10416
	ds_read_b64 v[32:33], v32 offset:10400
	v_cmp_gt_u32_e64 s[10:11], 2, v14
	s_waitcnt lgkmcnt(0)
	v_fma_f64 v[10:11], v[10:11], v[32:33], 0
	s_and_saveexec_b64 s[16:17], s[10:11]
	s_cbranch_execz .LBB139_344
; %bb.343:
	v_lshlrev_b32_e32 v32, 3, v0
	v_mov_b32_e32 v34, 0
	ds_read_b64 v[32:33], v32 offset:10928
	ds_read_b64 v[34:35], v34 offset:10408
	s_waitcnt lgkmcnt(0)
	v_fma_f64 v[10:11], v[32:33], v[34:35], v[10:11]
.LBB139_344:
	s_or_b64 exec, exec, s[16:17]
	v_xor_b32_e32 v11, 0x80000000, v11
.LBB139_345:
	s_or_b64 exec, exec, s[12:13]
	s_and_saveexec_b64 s[10:11], s[38:39]
; %bb.346:
	ds_write_b64 v13, v[10:11]
; %bb.347:
	s_or_b64 exec, exec, s[10:11]
	s_waitcnt lgkmcnt(0)
	s_barrier
	s_and_saveexec_b64 s[10:11], s[36:37]
	s_cbranch_execz .LBB139_349
; %bb.348:
	v_mov_b32_e32 v32, 0
	ds_read_b64 v[32:33], v32 offset:11448
	ds_read_b64 v[34:35], v13
	s_waitcnt lgkmcnt(0)
	v_fma_f64 v[10:11], v[32:33], v[34:35], v[10:11]
.LBB139_349:
	s_or_b64 exec, exec, s[10:11]
	s_barrier
	s_and_saveexec_b64 s[10:11], s[36:37]
; %bb.350:
	ds_write_b64 v13, v[10:11]
; %bb.351:
	s_or_b64 exec, exec, s[10:11]
	s_waitcnt lgkmcnt(0)
	s_barrier
	s_barrier
	s_and_saveexec_b64 s[10:11], s[0:1]
; %bb.352:
	v_xor_b32_e32 v11, 0x80000000, v11
	ds_write_b64 v12, v[10:11] offset:10416
; %bb.353:
	s_or_b64 exec, exec, s[10:11]
	s_waitcnt lgkmcnt(0)
	s_barrier
	s_barrier
	s_and_saveexec_b64 s[10:11], vcc
	s_cbranch_execz .LBB139_355
; %bb.354:
	s_mov_b64 s[12:13], 1.0
	v_mov_b32_e32 v10, s12
	v_mov_b32_e32 v11, s13
	s_movk_i32 s12, 0x2800
	v_add_u32_e64 v32, s12, 0
	ds_write2_b64 v32, v[10:11], v[10:11] offset0:150 offset1:215
.LBB139_355:
	s_or_b64 exec, exec, s[10:11]
	v_mov_b32_e32 v10, 0
	v_mov_b32_e32 v11, 0
	s_waitcnt lgkmcnt(0)
	s_barrier
	s_and_saveexec_b64 s[12:13], s[14:15]
	s_cbranch_execz .LBB139_365
; %bb.356:
	v_mul_u32_u24_e32 v32, 0x208, v26
	ds_read_b64 v[10:11], v22 offset:8384
	ds_read_b64 v[33:34], v32 offset:8320
	v_cmp_gt_u32_e64 s[10:11], 56, v14
	s_waitcnt lgkmcnt(0)
	v_fma_f64 v[10:11], v[10:11], v[33:34], 0
	s_and_saveexec_b64 s[16:17], s[10:11]
	s_cbranch_execnz .LBB139_1126
; %bb.357:
	s_or_b64 exec, exec, s[16:17]
	v_cmp_gt_u32_e64 s[10:11], 48, v14
	s_and_saveexec_b64 s[16:17], s[10:11]
	s_cbranch_execnz .LBB139_1127
.LBB139_358:
	s_or_b64 exec, exec, s[16:17]
	v_cmp_gt_u32_e64 s[10:11], 40, v14
	s_and_saveexec_b64 s[16:17], s[10:11]
	s_cbranch_execnz .LBB139_1128
.LBB139_359:
	s_or_b64 exec, exec, s[16:17]
	v_cmp_gt_u32_e64 s[10:11], 32, v14
	s_and_saveexec_b64 s[16:17], s[10:11]
	s_cbranch_execnz .LBB139_1129
.LBB139_360:
	s_or_b64 exec, exec, s[16:17]
	v_cmp_gt_u32_e64 s[10:11], 24, v14
	s_and_saveexec_b64 s[16:17], s[10:11]
	s_cbranch_execnz .LBB139_1130
.LBB139_361:
	s_or_b64 exec, exec, s[16:17]
	v_cmp_gt_u32_e64 s[10:11], 16, v14
	s_and_saveexec_b64 s[16:17], s[10:11]
	s_cbranch_execnz .LBB139_1131
.LBB139_362:
	s_or_b64 exec, exec, s[16:17]
	v_cmp_gt_u32_e64 s[10:11], 8, v14
	s_and_saveexec_b64 s[16:17], s[10:11]
	s_cbranch_execz .LBB139_364
.LBB139_363:
	v_lshlrev_b32_e32 v32, 3, v0
	v_mov_b32_e32 v34, 0
	ds_read_b64 v[32:33], v32 offset:11968
	ds_read_b64 v[34:35], v34 offset:8376
	s_waitcnt lgkmcnt(0)
	v_fma_f64 v[10:11], v[32:33], v[34:35], v[10:11]
.LBB139_364:
	s_or_b64 exec, exec, s[16:17]
	v_xor_b32_e32 v11, 0x80000000, v11
.LBB139_365:
	s_or_b64 exec, exec, s[12:13]
	s_and_saveexec_b64 s[10:11], s[52:53]
; %bb.366:
	ds_write_b64 v24, v[10:11]
; %bb.367:
	s_or_b64 exec, exec, s[10:11]
	s_waitcnt lgkmcnt(0)
	s_barrier
	s_and_saveexec_b64 s[10:11], s[54:55]
	s_cbranch_execz .LBB139_369
; %bb.368:
	ds_read_b64 v[32:33], v23 offset:12480
	ds_read_b64 v[34:35], v24
	s_waitcnt lgkmcnt(0)
	v_fma_f64 v[10:11], v[32:33], v[34:35], v[10:11]
.LBB139_369:
	s_or_b64 exec, exec, s[10:11]
	s_barrier
	s_and_saveexec_b64 s[10:11], s[56:57]
; %bb.370:
	ds_write_b64 v24, v[10:11]
; %bb.371:
	s_or_b64 exec, exec, s[10:11]
	s_waitcnt lgkmcnt(0)
	s_barrier
	s_and_saveexec_b64 s[10:11], s[58:59]
	s_cbranch_execz .LBB139_373
; %bb.372:
	ds_read_b64 v[32:33], v23 offset:12992
	ds_read_b64 v[34:35], v24
	s_waitcnt lgkmcnt(0)
	v_fma_f64 v[10:11], v[32:33], v[34:35], v[10:11]
.LBB139_373:
	s_or_b64 exec, exec, s[10:11]
	s_barrier
	;; [unrolled: 17-line block ×6, first 2 shown]
	s_and_saveexec_b64 s[10:11], s[78:79]
; %bb.390:
	ds_write_b64 v24, v[10:11]
; %bb.391:
	s_or_b64 exec, exec, s[10:11]
	s_waitcnt lgkmcnt(0)
	s_barrier
	s_and_saveexec_b64 s[10:11], s[62:63]
	s_cbranch_execz .LBB139_393
; %bb.392:
	v_mov_b32_e32 v32, 0
	ds_read_b64 v[32:33], v32 offset:15608
	ds_read_b64 v[34:35], v24
	s_waitcnt lgkmcnt(0)
	v_fma_f64 v[10:11], v[32:33], v[34:35], v[10:11]
.LBB139_393:
	s_or_b64 exec, exec, s[10:11]
	s_barrier
	s_and_saveexec_b64 s[10:11], s[62:63]
; %bb.394:
	ds_write_b64 v24, v[10:11]
; %bb.395:
	s_or_b64 exec, exec, s[10:11]
	s_waitcnt lgkmcnt(0)
	s_barrier
	s_barrier
	s_and_saveexec_b64 s[10:11], s[14:15]
; %bb.396:
	v_xor_b32_e32 v11, 0x80000000, v11
	ds_write_b64 v22, v[10:11] offset:8384
; %bb.397:
	s_or_b64 exec, exec, s[10:11]
	s_waitcnt lgkmcnt(0)
	s_barrier
	s_barrier
	s_and_saveexec_b64 s[10:11], vcc
	s_cbranch_execz .LBB139_399
; %bb.398:
	s_mov_b64 s[12:13], 1.0
	v_mov_b32_e32 v10, s12
	v_mov_b32_e32 v11, s13
	s_movk_i32 s12, 0x3000
	v_add_u32_e64 v32, s12, 0
	ds_write2_b64 v32, v[10:11], v[10:11] offset0:24 offset1:89
.LBB139_399:
	s_or_b64 exec, exec, s[10:11]
	v_mov_b32_e32 v10, 0
	v_mov_b32_e32 v11, 0
	s_waitcnt lgkmcnt(0)
	s_barrier
	s_and_saveexec_b64 s[12:13], s[0:1]
	s_cbranch_execz .LBB139_403
; %bb.400:
	v_mul_u32_u24_e32 v32, 0x208, v15
	ds_read_b64 v[10:11], v12 offset:12496
	ds_read_b64 v[32:33], v32 offset:12480
	v_cmp_gt_u32_e64 s[10:11], 2, v14
	s_waitcnt lgkmcnt(0)
	v_fma_f64 v[10:11], v[10:11], v[32:33], 0
	s_and_saveexec_b64 s[16:17], s[10:11]
	s_cbranch_execz .LBB139_402
; %bb.401:
	v_lshlrev_b32_e32 v32, 3, v0
	v_mov_b32_e32 v34, 0
	ds_read_b64 v[32:33], v32 offset:13008
	ds_read_b64 v[34:35], v34 offset:12488
	s_waitcnt lgkmcnt(0)
	v_fma_f64 v[10:11], v[32:33], v[34:35], v[10:11]
.LBB139_402:
	s_or_b64 exec, exec, s[16:17]
	v_xor_b32_e32 v11, 0x80000000, v11
.LBB139_403:
	s_or_b64 exec, exec, s[12:13]
	s_and_saveexec_b64 s[10:11], s[38:39]
; %bb.404:
	ds_write_b64 v13, v[10:11]
; %bb.405:
	s_or_b64 exec, exec, s[10:11]
	s_waitcnt lgkmcnt(0)
	s_barrier
	s_and_saveexec_b64 s[10:11], s[36:37]
	s_cbranch_execz .LBB139_407
; %bb.406:
	v_mov_b32_e32 v32, 0
	ds_read_b64 v[32:33], v32 offset:13528
	ds_read_b64 v[34:35], v13
	s_waitcnt lgkmcnt(0)
	v_fma_f64 v[10:11], v[32:33], v[34:35], v[10:11]
.LBB139_407:
	s_or_b64 exec, exec, s[10:11]
	s_barrier
	s_and_saveexec_b64 s[10:11], s[36:37]
; %bb.408:
	ds_write_b64 v13, v[10:11]
; %bb.409:
	s_or_b64 exec, exec, s[10:11]
	s_waitcnt lgkmcnt(0)
	s_barrier
	s_barrier
	s_and_saveexec_b64 s[10:11], s[0:1]
; %bb.410:
	v_xor_b32_e32 v11, 0x80000000, v11
	ds_write_b64 v12, v[10:11] offset:12496
; %bb.411:
	s_or_b64 exec, exec, s[10:11]
	s_waitcnt lgkmcnt(0)
	s_barrier
	s_barrier
	s_and_saveexec_b64 s[10:11], vcc
	s_cbranch_execz .LBB139_413
; %bb.412:
	s_mov_b64 s[12:13], 1.0
	v_mov_b32_e32 v10, s12
	v_mov_b32_e32 v11, s13
	s_movk_i32 s12, 0x3000
	v_add_u32_e64 v32, s12, 0
	ds_write2_b64 v32, v[10:11], v[10:11] offset0:154 offset1:219
.LBB139_413:
	s_or_b64 exec, exec, s[10:11]
	v_mov_b32_e32 v10, 0
	v_mov_b32_e32 v11, 0
	s_waitcnt lgkmcnt(0)
	s_barrier
	s_and_saveexec_b64 s[12:13], s[2:3]
	s_cbranch_execz .LBB139_419
; %bb.414:
	v_mul_u32_u24_e32 v32, 0x208, v21
	ds_read_b64 v[10:11], v16 offset:12512
	ds_read_b64 v[33:34], v32 offset:12480
	v_cmp_gt_u32_e64 s[10:11], 12, v14
	s_waitcnt lgkmcnt(0)
	v_fma_f64 v[10:11], v[10:11], v[33:34], 0
	s_and_saveexec_b64 s[16:17], s[10:11]
	s_cbranch_execnz .LBB139_1132
; %bb.415:
	s_or_b64 exec, exec, s[16:17]
	v_cmp_gt_u32_e64 s[10:11], 8, v14
	s_and_saveexec_b64 s[16:17], s[10:11]
	s_cbranch_execnz .LBB139_1133
.LBB139_416:
	s_or_b64 exec, exec, s[16:17]
	v_cmp_gt_u32_e64 s[10:11], 4, v14
	s_and_saveexec_b64 s[16:17], s[10:11]
	s_cbranch_execz .LBB139_418
.LBB139_417:
	v_lshlrev_b32_e32 v32, 3, v0
	v_mov_b32_e32 v34, 0
	ds_read_b64 v[32:33], v32 offset:14048
	ds_read_b64 v[34:35], v34 offset:12504
	s_waitcnt lgkmcnt(0)
	v_fma_f64 v[10:11], v[32:33], v[34:35], v[10:11]
.LBB139_418:
	s_or_b64 exec, exec, s[16:17]
	v_xor_b32_e32 v11, 0x80000000, v11
.LBB139_419:
	s_or_b64 exec, exec, s[12:13]
	s_and_saveexec_b64 s[10:11], s[42:43]
; %bb.420:
	ds_write_b64 v19, v[10:11]
; %bb.421:
	s_or_b64 exec, exec, s[10:11]
	s_waitcnt lgkmcnt(0)
	s_barrier
	s_and_saveexec_b64 s[10:11], s[44:45]
	s_cbranch_execz .LBB139_423
; %bb.422:
	ds_read_b64 v[32:33], v17 offset:14560
	ds_read_b64 v[34:35], v19
	s_waitcnt lgkmcnt(0)
	v_fma_f64 v[10:11], v[32:33], v[34:35], v[10:11]
.LBB139_423:
	s_or_b64 exec, exec, s[10:11]
	s_barrier
	s_and_saveexec_b64 s[10:11], s[46:47]
; %bb.424:
	ds_write_b64 v19, v[10:11]
; %bb.425:
	s_or_b64 exec, exec, s[10:11]
	s_waitcnt lgkmcnt(0)
	s_barrier
	s_and_saveexec_b64 s[10:11], s[48:49]
	s_cbranch_execz .LBB139_427
; %bb.426:
	ds_read_b64 v[32:33], v17 offset:15072
	ds_read_b64 v[34:35], v19
	s_waitcnt lgkmcnt(0)
	v_fma_f64 v[10:11], v[32:33], v[34:35], v[10:11]
.LBB139_427:
	s_or_b64 exec, exec, s[10:11]
	s_barrier
	s_and_saveexec_b64 s[10:11], s[50:51]
; %bb.428:
	ds_write_b64 v19, v[10:11]
; %bb.429:
	s_or_b64 exec, exec, s[10:11]
	s_waitcnt lgkmcnt(0)
	s_barrier
	s_and_saveexec_b64 s[10:11], s[40:41]
	s_cbranch_execz .LBB139_431
; %bb.430:
	v_mov_b32_e32 v32, 0
	ds_read_b64 v[32:33], v32 offset:15608
	ds_read_b64 v[34:35], v19
	s_waitcnt lgkmcnt(0)
	v_fma_f64 v[10:11], v[32:33], v[34:35], v[10:11]
.LBB139_431:
	s_or_b64 exec, exec, s[10:11]
	s_barrier
	s_and_saveexec_b64 s[10:11], s[40:41]
; %bb.432:
	ds_write_b64 v19, v[10:11]
; %bb.433:
	s_or_b64 exec, exec, s[10:11]
	s_waitcnt lgkmcnt(0)
	s_barrier
	s_barrier
	s_and_saveexec_b64 s[10:11], s[2:3]
; %bb.434:
	v_xor_b32_e32 v11, 0x80000000, v11
	ds_write_b64 v16, v[10:11] offset:12512
; %bb.435:
	s_or_b64 exec, exec, s[10:11]
	s_waitcnt lgkmcnt(0)
	s_barrier
	s_barrier
	s_and_saveexec_b64 s[10:11], vcc
	s_cbranch_execz .LBB139_437
; %bb.436:
	s_mov_b64 s[12:13], 1.0
	v_mov_b32_e32 v10, s12
	v_mov_b32_e32 v11, s13
	s_movk_i32 s12, 0x3800
	v_add_u32_e64 v32, s12, 0
	ds_write2_b64 v32, v[10:11], v[10:11] offset0:28 offset1:93
.LBB139_437:
	s_or_b64 exec, exec, s[10:11]
	v_mov_b32_e32 v10, 0
	v_mov_b32_e32 v11, 0
	s_waitcnt lgkmcnt(0)
	s_barrier
	s_and_saveexec_b64 s[12:13], s[0:1]
	s_cbranch_execz .LBB139_441
; %bb.438:
	v_mul_u32_u24_e32 v32, 0x208, v15
	ds_read_b64 v[10:11], v12 offset:14576
	ds_read_b64 v[32:33], v32 offset:14560
	v_cmp_gt_u32_e64 s[10:11], 2, v14
	s_waitcnt lgkmcnt(0)
	v_fma_f64 v[10:11], v[10:11], v[32:33], 0
	s_and_saveexec_b64 s[16:17], s[10:11]
	s_cbranch_execz .LBB139_440
; %bb.439:
	v_lshlrev_b32_e32 v32, 3, v0
	v_mov_b32_e32 v34, 0
	ds_read_b64 v[32:33], v32 offset:15088
	ds_read_b64 v[34:35], v34 offset:14568
	s_waitcnt lgkmcnt(0)
	v_fma_f64 v[10:11], v[32:33], v[34:35], v[10:11]
.LBB139_440:
	s_or_b64 exec, exec, s[16:17]
	v_xor_b32_e32 v11, 0x80000000, v11
.LBB139_441:
	s_or_b64 exec, exec, s[12:13]
	s_and_saveexec_b64 s[10:11], s[38:39]
; %bb.442:
	ds_write_b64 v13, v[10:11]
; %bb.443:
	s_or_b64 exec, exec, s[10:11]
	s_waitcnt lgkmcnt(0)
	s_barrier
	s_and_saveexec_b64 s[10:11], s[36:37]
	s_cbranch_execz .LBB139_445
; %bb.444:
	v_mov_b32_e32 v32, 0
	ds_read_b64 v[32:33], v32 offset:15608
	ds_read_b64 v[34:35], v13
	s_waitcnt lgkmcnt(0)
	v_fma_f64 v[10:11], v[32:33], v[34:35], v[10:11]
.LBB139_445:
	s_or_b64 exec, exec, s[10:11]
	s_barrier
	s_and_saveexec_b64 s[10:11], s[36:37]
; %bb.446:
	ds_write_b64 v13, v[10:11]
; %bb.447:
	s_or_b64 exec, exec, s[10:11]
	s_waitcnt lgkmcnt(0)
	s_barrier
	s_barrier
	s_and_saveexec_b64 s[10:11], s[0:1]
; %bb.448:
	v_xor_b32_e32 v11, 0x80000000, v11
	ds_write_b64 v12, v[10:11] offset:14576
; %bb.449:
	s_or_b64 exec, exec, s[10:11]
	s_waitcnt lgkmcnt(0)
	s_barrier
	s_barrier
	s_and_saveexec_b64 s[10:11], vcc
	s_cbranch_execz .LBB139_451
; %bb.450:
	s_mov_b64 s[12:13], 1.0
	v_mov_b32_e32 v10, s12
	v_mov_b32_e32 v11, s13
	s_movk_i32 s12, 0x3800
	v_add_u32_e64 v32, s12, 0
	ds_write2_b64 v32, v[10:11], v[10:11] offset0:158 offset1:223
.LBB139_451:
	s_or_b64 exec, exec, s[10:11]
	v_and_b32_e32 v34, 31, v0
	s_movk_i32 s10, 0x3ff
	v_lshrrev_b32_e32 v35, 5, v14
	v_cmp_lt_u32_e64 s[12:13], s10, v14
	s_movk_i32 s10, 0x400
	v_lshlrev_b32_e32 v33, 3, v34
	v_mov_b32_e32 v10, 0
	v_cmp_gt_u32_e64 s[10:11], s10, v14
	v_mov_b32_e32 v11, 0
	v_lshl_or_b32 v32, v35, 9, v33
	s_waitcnt lgkmcnt(0)
	s_barrier
	s_and_saveexec_b64 s[94:95], s[10:11]
	s_cbranch_execz .LBB139_513
; %bb.452:
	v_mul_u32_u24_e32 v36, 0x208, v35
	ds_read_b64 v[10:11], v32 offset:256
	ds_read_b64 v[37:38], v36
	s_movk_i32 s16, 0x3e0
	v_cmp_gt_u32_e64 s[16:17], s16, v14
	s_waitcnt lgkmcnt(0)
	v_fma_f64 v[10:11], v[10:11], v[37:38], 0
	s_and_saveexec_b64 s[80:81], s[16:17]
	s_cbranch_execz .LBB139_454
; %bb.453:
	ds_read_b64 v[37:38], v32 offset:768
	ds_read_b64 v[39:40], v36 offset:8
	s_waitcnt lgkmcnt(0)
	v_fma_f64 v[10:11], v[37:38], v[39:40], v[10:11]
.LBB139_454:
	s_or_b64 exec, exec, s[80:81]
	s_movk_i32 s16, 0x3c0
	v_cmp_gt_u32_e64 s[16:17], s16, v14
	s_and_saveexec_b64 s[80:81], s[16:17]
	s_cbranch_execz .LBB139_456
; %bb.455:
	ds_read_b64 v[37:38], v32 offset:1280
	ds_read_b64 v[39:40], v36 offset:16
	s_waitcnt lgkmcnt(0)
	v_fma_f64 v[10:11], v[37:38], v[39:40], v[10:11]
.LBB139_456:
	s_or_b64 exec, exec, s[80:81]
	s_movk_i32 s16, 0x3a0
	v_cmp_gt_u32_e64 s[16:17], s16, v14
	;; [unrolled: 11-line block ×28, first 2 shown]
	s_and_saveexec_b64 s[80:81], s[16:17]
	s_cbranch_execnz .LBB139_1134
; %bb.509:
	s_or_b64 exec, exec, s[80:81]
	v_cmp_gt_u32_e64 s[16:17], 64, v14
	s_and_saveexec_b64 s[80:81], s[16:17]
	s_cbranch_execnz .LBB139_1135
.LBB139_510:
	s_or_b64 exec, exec, s[80:81]
	v_cmp_gt_u32_e64 s[16:17], 32, v14
	s_and_saveexec_b64 s[80:81], s[16:17]
	s_cbranch_execz .LBB139_512
.LBB139_511:
	v_lshlrev_b32_e32 v36, 3, v0
	v_mov_b32_e32 v38, 0
	ds_read_b64 v[36:37], v36 offset:16128
	ds_read_b64 v[38:39], v38 offset:248
	s_waitcnt lgkmcnt(0)
	v_fma_f64 v[10:11], v[36:37], v[38:39], v[10:11]
.LBB139_512:
	s_or_b64 exec, exec, s[80:81]
	v_xor_b32_e32 v11, 0x80000000, v11
.LBB139_513:
	s_or_b64 exec, exec, s[94:95]
	v_mov_b32_e32 v36, 0x8000
	v_cmp_eq_u32_e64 s[16:17], 0, v34
	s_xor_b64 s[94:95], s[12:13], -1
	v_lshl_or_b32 v35, v35, 3, v36
	s_and_b64 s[16:17], s[94:95], s[16:17]
	s_and_saveexec_b64 s[12:13], s[16:17]
; %bb.514:
	ds_write_b64 v35, v[10:11]
; %bb.515:
	s_or_b64 exec, exec, s[12:13]
	v_cmp_ne_u32_e64 s[12:13], 0, v34
	s_and_b64 s[16:17], s[94:95], s[12:13]
	s_waitcnt lgkmcnt(0)
	s_barrier
	s_and_saveexec_b64 s[12:13], s[16:17]
	s_cbranch_execz .LBB139_517
; %bb.516:
	ds_read_b64 v[36:37], v33 offset:16640
	ds_read_b64 v[38:39], v35
	s_waitcnt lgkmcnt(0)
	v_fma_f64 v[10:11], v[36:37], v[38:39], v[10:11]
.LBB139_517:
	s_or_b64 exec, exec, s[12:13]
	v_cmp_eq_u32_e64 s[12:13], 1, v34
	s_and_b64 s[16:17], s[94:95], s[12:13]
	s_barrier
	s_and_saveexec_b64 s[12:13], s[16:17]
; %bb.518:
	ds_write_b64 v35, v[10:11]
; %bb.519:
	s_or_b64 exec, exec, s[12:13]
	v_cmp_lt_u32_e64 s[12:13], 1, v34
	s_and_b64 s[16:17], s[94:95], s[12:13]
	s_waitcnt lgkmcnt(0)
	s_barrier
	s_and_saveexec_b64 s[12:13], s[16:17]
	s_cbranch_execz .LBB139_521
; %bb.520:
	ds_read_b64 v[36:37], v33 offset:17152
	ds_read_b64 v[38:39], v35
	s_waitcnt lgkmcnt(0)
	v_fma_f64 v[10:11], v[36:37], v[38:39], v[10:11]
.LBB139_521:
	s_or_b64 exec, exec, s[12:13]
	v_cmp_eq_u32_e64 s[12:13], 2, v34
	s_and_b64 s[16:17], s[94:95], s[12:13]
	s_barrier
	s_and_saveexec_b64 s[12:13], s[16:17]
; %bb.522:
	ds_write_b64 v35, v[10:11]
; %bb.523:
	s_or_b64 exec, exec, s[12:13]
	v_cmp_lt_u32_e64 s[12:13], 2, v34
	;; [unrolled: 21-line block ×29, first 2 shown]
	s_and_b64 s[16:17], s[94:95], s[12:13]
	s_waitcnt lgkmcnt(0)
	s_barrier
	s_and_saveexec_b64 s[12:13], s[16:17]
	s_cbranch_execz .LBB139_633
; %bb.632:
	ds_read_b64 v[36:37], v33 offset:31488
	ds_read_b64 v[38:39], v35
	s_waitcnt lgkmcnt(0)
	v_fma_f64 v[10:11], v[36:37], v[38:39], v[10:11]
.LBB139_633:
	s_or_b64 exec, exec, s[12:13]
	v_cmp_eq_u32_e64 s[12:13], 30, v34
	s_and_b64 s[16:17], s[94:95], s[12:13]
	s_barrier
	s_and_saveexec_b64 s[12:13], s[16:17]
; %bb.634:
	ds_write_b64 v35, v[10:11]
; %bb.635:
	s_or_b64 exec, exec, s[12:13]
	v_cmp_eq_u32_e64 s[12:13], 31, v34
	s_and_b64 s[12:13], s[94:95], s[12:13]
	s_waitcnt lgkmcnt(0)
	s_barrier
	s_and_saveexec_b64 s[16:17], s[12:13]
	s_cbranch_execz .LBB139_637
; %bb.636:
	ds_read_b64 v[33:34], v33 offset:32000
	ds_read_b64 v[36:37], v35
	s_waitcnt lgkmcnt(0)
	v_fma_f64 v[10:11], v[33:34], v[36:37], v[10:11]
.LBB139_637:
	s_or_b64 exec, exec, s[16:17]
	s_barrier
	s_and_saveexec_b64 s[16:17], s[12:13]
; %bb.638:
	ds_write_b64 v35, v[10:11]
; %bb.639:
	s_or_b64 exec, exec, s[16:17]
	s_waitcnt lgkmcnt(0)
	s_barrier
	s_barrier
	s_and_saveexec_b64 s[12:13], s[10:11]
; %bb.640:
	v_xor_b32_e32 v11, 0x80000000, v11
	ds_write_b64 v32, v[10:11] offset:256
; %bb.641:
	s_or_b64 exec, exec, s[12:13]
	s_waitcnt lgkmcnt(0)
	s_barrier
	s_barrier
	s_and_saveexec_b64 s[10:11], vcc
	s_cbranch_execz .LBB139_643
; %bb.642:
	s_mov_b64 s[12:13], 1.0
	v_mov_b32_e32 v10, s12
	v_mov_b32_e32 v11, s13
	s_movk_i32 s12, 0x4000
	v_add_u32_e64 v32, s12, 0
	ds_write2_b64 v32, v[10:11], v[10:11] offset0:32 offset1:97
.LBB139_643:
	s_or_b64 exec, exec, s[10:11]
	v_mov_b32_e32 v10, 0
	v_mov_b32_e32 v11, 0
	s_waitcnt lgkmcnt(0)
	s_barrier
	s_and_saveexec_b64 s[12:13], s[0:1]
	s_cbranch_execz .LBB139_647
; %bb.644:
	v_mul_u32_u24_e32 v32, 0x208, v15
	ds_read_b64 v[10:11], v12 offset:16656
	ds_read_b64 v[32:33], v32 offset:16640
	v_cmp_gt_u32_e64 s[10:11], 2, v14
	s_waitcnt lgkmcnt(0)
	v_fma_f64 v[10:11], v[10:11], v[32:33], 0
	s_and_saveexec_b64 s[16:17], s[10:11]
	s_cbranch_execz .LBB139_646
; %bb.645:
	v_lshlrev_b32_e32 v32, 3, v0
	v_mov_b32_e32 v34, 0
	ds_read_b64 v[32:33], v32 offset:17168
	ds_read_b64 v[34:35], v34 offset:16648
	s_waitcnt lgkmcnt(0)
	v_fma_f64 v[10:11], v[32:33], v[34:35], v[10:11]
.LBB139_646:
	s_or_b64 exec, exec, s[16:17]
	v_xor_b32_e32 v11, 0x80000000, v11
.LBB139_647:
	s_or_b64 exec, exec, s[12:13]
	s_and_saveexec_b64 s[10:11], s[38:39]
; %bb.648:
	ds_write_b64 v13, v[10:11]
; %bb.649:
	s_or_b64 exec, exec, s[10:11]
	s_waitcnt lgkmcnt(0)
	s_barrier
	s_and_saveexec_b64 s[10:11], s[36:37]
	s_cbranch_execz .LBB139_651
; %bb.650:
	v_mov_b32_e32 v32, 0
	ds_read_b64 v[32:33], v32 offset:17688
	ds_read_b64 v[34:35], v13
	s_waitcnt lgkmcnt(0)
	v_fma_f64 v[10:11], v[32:33], v[34:35], v[10:11]
.LBB139_651:
	s_or_b64 exec, exec, s[10:11]
	s_barrier
	s_and_saveexec_b64 s[10:11], s[36:37]
; %bb.652:
	ds_write_b64 v13, v[10:11]
; %bb.653:
	s_or_b64 exec, exec, s[10:11]
	s_waitcnt lgkmcnt(0)
	s_barrier
	s_barrier
	s_and_saveexec_b64 s[10:11], s[0:1]
; %bb.654:
	v_xor_b32_e32 v11, 0x80000000, v11
	ds_write_b64 v12, v[10:11] offset:16656
; %bb.655:
	s_or_b64 exec, exec, s[10:11]
	s_waitcnt lgkmcnt(0)
	s_barrier
	s_barrier
	s_and_saveexec_b64 s[10:11], vcc
	s_cbranch_execz .LBB139_657
; %bb.656:
	s_mov_b64 s[12:13], 1.0
	v_mov_b32_e32 v10, s12
	v_mov_b32_e32 v11, s13
	s_movk_i32 s12, 0x4000
	v_add_u32_e64 v32, s12, 0
	ds_write2_b64 v32, v[10:11], v[10:11] offset0:162 offset1:227
.LBB139_657:
	s_or_b64 exec, exec, s[10:11]
	v_mov_b32_e32 v10, 0
	v_mov_b32_e32 v11, 0
	s_waitcnt lgkmcnt(0)
	s_barrier
	s_and_saveexec_b64 s[12:13], s[2:3]
	s_cbranch_execz .LBB139_663
; %bb.658:
	v_mul_u32_u24_e32 v32, 0x208, v21
	ds_read_b64 v[10:11], v16 offset:16672
	ds_read_b64 v[33:34], v32 offset:16640
	v_cmp_gt_u32_e64 s[10:11], 12, v14
	s_waitcnt lgkmcnt(0)
	v_fma_f64 v[10:11], v[10:11], v[33:34], 0
	s_and_saveexec_b64 s[16:17], s[10:11]
	s_cbranch_execnz .LBB139_1136
; %bb.659:
	s_or_b64 exec, exec, s[16:17]
	v_cmp_gt_u32_e64 s[10:11], 8, v14
	s_and_saveexec_b64 s[16:17], s[10:11]
	s_cbranch_execnz .LBB139_1137
.LBB139_660:
	s_or_b64 exec, exec, s[16:17]
	v_cmp_gt_u32_e64 s[10:11], 4, v14
	s_and_saveexec_b64 s[16:17], s[10:11]
	s_cbranch_execz .LBB139_662
.LBB139_661:
	v_lshlrev_b32_e32 v32, 3, v0
	v_mov_b32_e32 v34, 0
	ds_read_b64 v[32:33], v32 offset:18208
	ds_read_b64 v[34:35], v34 offset:16664
	s_waitcnt lgkmcnt(0)
	v_fma_f64 v[10:11], v[32:33], v[34:35], v[10:11]
.LBB139_662:
	s_or_b64 exec, exec, s[16:17]
	v_xor_b32_e32 v11, 0x80000000, v11
.LBB139_663:
	s_or_b64 exec, exec, s[12:13]
	s_and_saveexec_b64 s[10:11], s[42:43]
; %bb.664:
	ds_write_b64 v19, v[10:11]
; %bb.665:
	s_or_b64 exec, exec, s[10:11]
	s_waitcnt lgkmcnt(0)
	s_barrier
	s_and_saveexec_b64 s[10:11], s[44:45]
	s_cbranch_execz .LBB139_667
; %bb.666:
	ds_read_b64 v[32:33], v17 offset:18720
	ds_read_b64 v[34:35], v19
	s_waitcnt lgkmcnt(0)
	v_fma_f64 v[10:11], v[32:33], v[34:35], v[10:11]
.LBB139_667:
	s_or_b64 exec, exec, s[10:11]
	s_barrier
	s_and_saveexec_b64 s[10:11], s[46:47]
; %bb.668:
	ds_write_b64 v19, v[10:11]
; %bb.669:
	s_or_b64 exec, exec, s[10:11]
	s_waitcnt lgkmcnt(0)
	s_barrier
	s_and_saveexec_b64 s[10:11], s[48:49]
	s_cbranch_execz .LBB139_671
; %bb.670:
	ds_read_b64 v[32:33], v17 offset:19232
	ds_read_b64 v[34:35], v19
	s_waitcnt lgkmcnt(0)
	v_fma_f64 v[10:11], v[32:33], v[34:35], v[10:11]
.LBB139_671:
	s_or_b64 exec, exec, s[10:11]
	s_barrier
	s_and_saveexec_b64 s[10:11], s[50:51]
; %bb.672:
	ds_write_b64 v19, v[10:11]
; %bb.673:
	s_or_b64 exec, exec, s[10:11]
	s_waitcnt lgkmcnt(0)
	s_barrier
	s_and_saveexec_b64 s[10:11], s[40:41]
	s_cbranch_execz .LBB139_675
; %bb.674:
	v_mov_b32_e32 v32, 0
	ds_read_b64 v[32:33], v32 offset:19768
	ds_read_b64 v[34:35], v19
	s_waitcnt lgkmcnt(0)
	v_fma_f64 v[10:11], v[32:33], v[34:35], v[10:11]
.LBB139_675:
	s_or_b64 exec, exec, s[10:11]
	s_barrier
	s_and_saveexec_b64 s[10:11], s[40:41]
; %bb.676:
	ds_write_b64 v19, v[10:11]
; %bb.677:
	s_or_b64 exec, exec, s[10:11]
	s_waitcnt lgkmcnt(0)
	s_barrier
	s_barrier
	s_and_saveexec_b64 s[10:11], s[2:3]
; %bb.678:
	v_xor_b32_e32 v11, 0x80000000, v11
	ds_write_b64 v16, v[10:11] offset:16672
; %bb.679:
	s_or_b64 exec, exec, s[10:11]
	s_waitcnt lgkmcnt(0)
	s_barrier
	s_barrier
	s_and_saveexec_b64 s[10:11], vcc
	s_cbranch_execz .LBB139_681
; %bb.680:
	s_mov_b64 s[12:13], 1.0
	v_mov_b32_e32 v10, s12
	v_mov_b32_e32 v11, s13
	s_movk_i32 s12, 0x4800
	v_add_u32_e64 v32, s12, 0
	ds_write2_b64 v32, v[10:11], v[10:11] offset0:36 offset1:101
.LBB139_681:
	s_or_b64 exec, exec, s[10:11]
	v_mov_b32_e32 v10, 0
	v_mov_b32_e32 v11, 0
	s_waitcnt lgkmcnt(0)
	s_barrier
	s_and_saveexec_b64 s[12:13], s[0:1]
	s_cbranch_execz .LBB139_685
; %bb.682:
	v_mul_u32_u24_e32 v32, 0x208, v15
	ds_read_b64 v[10:11], v12 offset:18736
	ds_read_b64 v[32:33], v32 offset:18720
	v_cmp_gt_u32_e64 s[10:11], 2, v14
	s_waitcnt lgkmcnt(0)
	v_fma_f64 v[10:11], v[10:11], v[32:33], 0
	s_and_saveexec_b64 s[16:17], s[10:11]
	s_cbranch_execz .LBB139_684
; %bb.683:
	v_lshlrev_b32_e32 v32, 3, v0
	v_mov_b32_e32 v34, 0
	ds_read_b64 v[32:33], v32 offset:19248
	ds_read_b64 v[34:35], v34 offset:18728
	s_waitcnt lgkmcnt(0)
	v_fma_f64 v[10:11], v[32:33], v[34:35], v[10:11]
.LBB139_684:
	s_or_b64 exec, exec, s[16:17]
	v_xor_b32_e32 v11, 0x80000000, v11
.LBB139_685:
	s_or_b64 exec, exec, s[12:13]
	s_and_saveexec_b64 s[10:11], s[38:39]
; %bb.686:
	ds_write_b64 v13, v[10:11]
; %bb.687:
	s_or_b64 exec, exec, s[10:11]
	s_waitcnt lgkmcnt(0)
	s_barrier
	s_and_saveexec_b64 s[10:11], s[36:37]
	s_cbranch_execz .LBB139_689
; %bb.688:
	v_mov_b32_e32 v32, 0
	ds_read_b64 v[32:33], v32 offset:19768
	ds_read_b64 v[34:35], v13
	s_waitcnt lgkmcnt(0)
	v_fma_f64 v[10:11], v[32:33], v[34:35], v[10:11]
.LBB139_689:
	s_or_b64 exec, exec, s[10:11]
	s_barrier
	s_and_saveexec_b64 s[10:11], s[36:37]
; %bb.690:
	ds_write_b64 v13, v[10:11]
; %bb.691:
	s_or_b64 exec, exec, s[10:11]
	s_waitcnt lgkmcnt(0)
	s_barrier
	s_barrier
	s_and_saveexec_b64 s[10:11], s[0:1]
; %bb.692:
	v_xor_b32_e32 v11, 0x80000000, v11
	ds_write_b64 v12, v[10:11] offset:18736
; %bb.693:
	s_or_b64 exec, exec, s[10:11]
	s_waitcnt lgkmcnt(0)
	s_barrier
	s_barrier
	s_and_saveexec_b64 s[10:11], vcc
	s_cbranch_execz .LBB139_695
; %bb.694:
	s_mov_b64 s[12:13], 1.0
	v_mov_b32_e32 v10, s12
	v_mov_b32_e32 v11, s13
	s_movk_i32 s12, 0x4800
	v_add_u32_e64 v32, s12, 0
	ds_write2_b64 v32, v[10:11], v[10:11] offset0:166 offset1:231
.LBB139_695:
	s_or_b64 exec, exec, s[10:11]
	v_mov_b32_e32 v10, 0
	v_mov_b32_e32 v11, 0
	s_waitcnt lgkmcnt(0)
	s_barrier
	s_and_saveexec_b64 s[12:13], s[14:15]
	s_cbranch_execz .LBB139_705
; %bb.696:
	v_mul_u32_u24_e32 v32, 0x208, v26
	ds_read_b64 v[10:11], v22 offset:16704
	ds_read_b64 v[33:34], v32 offset:16640
	v_cmp_gt_u32_e64 s[10:11], 56, v14
	s_waitcnt lgkmcnt(0)
	v_fma_f64 v[10:11], v[10:11], v[33:34], 0
	s_and_saveexec_b64 s[16:17], s[10:11]
	s_cbranch_execnz .LBB139_1138
; %bb.697:
	s_or_b64 exec, exec, s[16:17]
	v_cmp_gt_u32_e64 s[10:11], 48, v14
	s_and_saveexec_b64 s[16:17], s[10:11]
	s_cbranch_execnz .LBB139_1139
.LBB139_698:
	s_or_b64 exec, exec, s[16:17]
	v_cmp_gt_u32_e64 s[10:11], 40, v14
	s_and_saveexec_b64 s[16:17], s[10:11]
	s_cbranch_execnz .LBB139_1140
.LBB139_699:
	s_or_b64 exec, exec, s[16:17]
	v_cmp_gt_u32_e64 s[10:11], 32, v14
	s_and_saveexec_b64 s[16:17], s[10:11]
	s_cbranch_execnz .LBB139_1141
.LBB139_700:
	s_or_b64 exec, exec, s[16:17]
	v_cmp_gt_u32_e64 s[10:11], 24, v14
	s_and_saveexec_b64 s[16:17], s[10:11]
	s_cbranch_execnz .LBB139_1142
.LBB139_701:
	s_or_b64 exec, exec, s[16:17]
	v_cmp_gt_u32_e64 s[10:11], 16, v14
	s_and_saveexec_b64 s[16:17], s[10:11]
	s_cbranch_execnz .LBB139_1143
.LBB139_702:
	s_or_b64 exec, exec, s[16:17]
	v_cmp_gt_u32_e64 s[10:11], 8, v14
	s_and_saveexec_b64 s[16:17], s[10:11]
	s_cbranch_execz .LBB139_704
.LBB139_703:
	v_lshlrev_b32_e32 v32, 3, v0
	v_mov_b32_e32 v34, 0
	ds_read_b64 v[32:33], v32 offset:20288
	ds_read_b64 v[34:35], v34 offset:16696
	s_waitcnt lgkmcnt(0)
	v_fma_f64 v[10:11], v[32:33], v[34:35], v[10:11]
.LBB139_704:
	s_or_b64 exec, exec, s[16:17]
	v_xor_b32_e32 v11, 0x80000000, v11
.LBB139_705:
	s_or_b64 exec, exec, s[12:13]
	s_and_saveexec_b64 s[10:11], s[52:53]
; %bb.706:
	ds_write_b64 v24, v[10:11]
; %bb.707:
	s_or_b64 exec, exec, s[10:11]
	s_waitcnt lgkmcnt(0)
	s_barrier
	s_and_saveexec_b64 s[10:11], s[54:55]
	s_cbranch_execz .LBB139_709
; %bb.708:
	ds_read_b64 v[32:33], v23 offset:20800
	ds_read_b64 v[34:35], v24
	s_waitcnt lgkmcnt(0)
	v_fma_f64 v[10:11], v[32:33], v[34:35], v[10:11]
.LBB139_709:
	s_or_b64 exec, exec, s[10:11]
	s_barrier
	s_and_saveexec_b64 s[10:11], s[56:57]
; %bb.710:
	ds_write_b64 v24, v[10:11]
; %bb.711:
	s_or_b64 exec, exec, s[10:11]
	s_waitcnt lgkmcnt(0)
	s_barrier
	s_and_saveexec_b64 s[10:11], s[58:59]
	s_cbranch_execz .LBB139_713
; %bb.712:
	ds_read_b64 v[32:33], v23 offset:21312
	ds_read_b64 v[34:35], v24
	s_waitcnt lgkmcnt(0)
	v_fma_f64 v[10:11], v[32:33], v[34:35], v[10:11]
.LBB139_713:
	s_or_b64 exec, exec, s[10:11]
	s_barrier
	;; [unrolled: 17-line block ×6, first 2 shown]
	s_and_saveexec_b64 s[10:11], s[78:79]
; %bb.730:
	ds_write_b64 v24, v[10:11]
; %bb.731:
	s_or_b64 exec, exec, s[10:11]
	s_waitcnt lgkmcnt(0)
	s_barrier
	s_and_saveexec_b64 s[10:11], s[62:63]
	s_cbranch_execz .LBB139_733
; %bb.732:
	v_mov_b32_e32 v32, 0
	ds_read_b64 v[32:33], v32 offset:23928
	ds_read_b64 v[34:35], v24
	s_waitcnt lgkmcnt(0)
	v_fma_f64 v[10:11], v[32:33], v[34:35], v[10:11]
.LBB139_733:
	s_or_b64 exec, exec, s[10:11]
	s_barrier
	s_and_saveexec_b64 s[10:11], s[62:63]
; %bb.734:
	ds_write_b64 v24, v[10:11]
; %bb.735:
	s_or_b64 exec, exec, s[10:11]
	s_waitcnt lgkmcnt(0)
	s_barrier
	s_barrier
	s_and_saveexec_b64 s[10:11], s[14:15]
; %bb.736:
	v_xor_b32_e32 v11, 0x80000000, v11
	ds_write_b64 v22, v[10:11] offset:16704
; %bb.737:
	s_or_b64 exec, exec, s[10:11]
	s_waitcnt lgkmcnt(0)
	s_barrier
	s_barrier
	s_and_saveexec_b64 s[10:11], vcc
	s_cbranch_execz .LBB139_739
; %bb.738:
	s_mov_b64 s[12:13], 1.0
	v_mov_b32_e32 v10, s12
	v_mov_b32_e32 v11, s13
	s_movk_i32 s12, 0x5000
	v_add_u32_e64 v32, s12, 0
	ds_write2_b64 v32, v[10:11], v[10:11] offset0:40 offset1:105
.LBB139_739:
	s_or_b64 exec, exec, s[10:11]
	v_mov_b32_e32 v10, 0
	v_mov_b32_e32 v11, 0
	s_waitcnt lgkmcnt(0)
	s_barrier
	s_and_saveexec_b64 s[12:13], s[0:1]
	s_cbranch_execz .LBB139_743
; %bb.740:
	v_mul_u32_u24_e32 v32, 0x208, v15
	ds_read_b64 v[10:11], v12 offset:20816
	ds_read_b64 v[32:33], v32 offset:20800
	v_cmp_gt_u32_e64 s[10:11], 2, v14
	s_waitcnt lgkmcnt(0)
	v_fma_f64 v[10:11], v[10:11], v[32:33], 0
	s_and_saveexec_b64 s[16:17], s[10:11]
	s_cbranch_execz .LBB139_742
; %bb.741:
	v_lshlrev_b32_e32 v32, 3, v0
	v_mov_b32_e32 v34, 0
	ds_read_b64 v[32:33], v32 offset:21328
	ds_read_b64 v[34:35], v34 offset:20808
	s_waitcnt lgkmcnt(0)
	v_fma_f64 v[10:11], v[32:33], v[34:35], v[10:11]
.LBB139_742:
	s_or_b64 exec, exec, s[16:17]
	v_xor_b32_e32 v11, 0x80000000, v11
.LBB139_743:
	s_or_b64 exec, exec, s[12:13]
	s_and_saveexec_b64 s[10:11], s[38:39]
; %bb.744:
	ds_write_b64 v13, v[10:11]
; %bb.745:
	s_or_b64 exec, exec, s[10:11]
	s_waitcnt lgkmcnt(0)
	s_barrier
	s_and_saveexec_b64 s[10:11], s[36:37]
	s_cbranch_execz .LBB139_747
; %bb.746:
	v_mov_b32_e32 v32, 0
	ds_read_b64 v[32:33], v32 offset:21848
	ds_read_b64 v[34:35], v13
	s_waitcnt lgkmcnt(0)
	v_fma_f64 v[10:11], v[32:33], v[34:35], v[10:11]
.LBB139_747:
	s_or_b64 exec, exec, s[10:11]
	s_barrier
	s_and_saveexec_b64 s[10:11], s[36:37]
; %bb.748:
	ds_write_b64 v13, v[10:11]
; %bb.749:
	s_or_b64 exec, exec, s[10:11]
	s_waitcnt lgkmcnt(0)
	s_barrier
	s_barrier
	s_and_saveexec_b64 s[10:11], s[0:1]
; %bb.750:
	v_xor_b32_e32 v11, 0x80000000, v11
	ds_write_b64 v12, v[10:11] offset:20816
; %bb.751:
	s_or_b64 exec, exec, s[10:11]
	s_waitcnt lgkmcnt(0)
	s_barrier
	s_barrier
	s_and_saveexec_b64 s[10:11], vcc
	s_cbranch_execz .LBB139_753
; %bb.752:
	s_mov_b64 s[12:13], 1.0
	v_mov_b32_e32 v10, s12
	v_mov_b32_e32 v11, s13
	s_movk_i32 s12, 0x5000
	v_add_u32_e64 v32, s12, 0
	ds_write2_b64 v32, v[10:11], v[10:11] offset0:170 offset1:235
.LBB139_753:
	s_or_b64 exec, exec, s[10:11]
	v_mov_b32_e32 v10, 0
	v_mov_b32_e32 v11, 0
	s_waitcnt lgkmcnt(0)
	s_barrier
	s_and_saveexec_b64 s[12:13], s[2:3]
	s_cbranch_execz .LBB139_759
; %bb.754:
	v_mul_u32_u24_e32 v32, 0x208, v21
	ds_read_b64 v[10:11], v16 offset:20832
	ds_read_b64 v[33:34], v32 offset:20800
	v_cmp_gt_u32_e64 s[10:11], 12, v14
	s_waitcnt lgkmcnt(0)
	v_fma_f64 v[10:11], v[10:11], v[33:34], 0
	s_and_saveexec_b64 s[16:17], s[10:11]
	s_cbranch_execnz .LBB139_1144
; %bb.755:
	s_or_b64 exec, exec, s[16:17]
	v_cmp_gt_u32_e64 s[10:11], 8, v14
	s_and_saveexec_b64 s[16:17], s[10:11]
	s_cbranch_execnz .LBB139_1145
.LBB139_756:
	s_or_b64 exec, exec, s[16:17]
	v_cmp_gt_u32_e64 s[10:11], 4, v14
	s_and_saveexec_b64 s[16:17], s[10:11]
	s_cbranch_execz .LBB139_758
.LBB139_757:
	v_lshlrev_b32_e32 v32, 3, v0
	v_mov_b32_e32 v34, 0
	ds_read_b64 v[32:33], v32 offset:22368
	ds_read_b64 v[34:35], v34 offset:20824
	s_waitcnt lgkmcnt(0)
	v_fma_f64 v[10:11], v[32:33], v[34:35], v[10:11]
.LBB139_758:
	s_or_b64 exec, exec, s[16:17]
	v_xor_b32_e32 v11, 0x80000000, v11
.LBB139_759:
	s_or_b64 exec, exec, s[12:13]
	s_and_saveexec_b64 s[10:11], s[42:43]
; %bb.760:
	ds_write_b64 v19, v[10:11]
; %bb.761:
	s_or_b64 exec, exec, s[10:11]
	s_waitcnt lgkmcnt(0)
	s_barrier
	s_and_saveexec_b64 s[10:11], s[44:45]
	s_cbranch_execz .LBB139_763
; %bb.762:
	ds_read_b64 v[32:33], v17 offset:22880
	ds_read_b64 v[34:35], v19
	s_waitcnt lgkmcnt(0)
	v_fma_f64 v[10:11], v[32:33], v[34:35], v[10:11]
.LBB139_763:
	s_or_b64 exec, exec, s[10:11]
	s_barrier
	s_and_saveexec_b64 s[10:11], s[46:47]
; %bb.764:
	ds_write_b64 v19, v[10:11]
; %bb.765:
	s_or_b64 exec, exec, s[10:11]
	s_waitcnt lgkmcnt(0)
	s_barrier
	s_and_saveexec_b64 s[10:11], s[48:49]
	s_cbranch_execz .LBB139_767
; %bb.766:
	ds_read_b64 v[32:33], v17 offset:23392
	ds_read_b64 v[34:35], v19
	s_waitcnt lgkmcnt(0)
	v_fma_f64 v[10:11], v[32:33], v[34:35], v[10:11]
.LBB139_767:
	s_or_b64 exec, exec, s[10:11]
	s_barrier
	s_and_saveexec_b64 s[10:11], s[50:51]
; %bb.768:
	ds_write_b64 v19, v[10:11]
; %bb.769:
	s_or_b64 exec, exec, s[10:11]
	s_waitcnt lgkmcnt(0)
	s_barrier
	s_and_saveexec_b64 s[10:11], s[40:41]
	s_cbranch_execz .LBB139_771
; %bb.770:
	v_mov_b32_e32 v32, 0
	ds_read_b64 v[32:33], v32 offset:23928
	ds_read_b64 v[34:35], v19
	s_waitcnt lgkmcnt(0)
	v_fma_f64 v[10:11], v[32:33], v[34:35], v[10:11]
.LBB139_771:
	s_or_b64 exec, exec, s[10:11]
	s_barrier
	s_and_saveexec_b64 s[10:11], s[40:41]
; %bb.772:
	ds_write_b64 v19, v[10:11]
; %bb.773:
	s_or_b64 exec, exec, s[10:11]
	s_waitcnt lgkmcnt(0)
	s_barrier
	s_barrier
	s_and_saveexec_b64 s[10:11], s[2:3]
; %bb.774:
	v_xor_b32_e32 v11, 0x80000000, v11
	ds_write_b64 v16, v[10:11] offset:20832
; %bb.775:
	s_or_b64 exec, exec, s[10:11]
	s_waitcnt lgkmcnt(0)
	s_barrier
	s_barrier
	s_and_saveexec_b64 s[10:11], vcc
	s_cbranch_execz .LBB139_777
; %bb.776:
	s_mov_b64 s[12:13], 1.0
	v_mov_b32_e32 v10, s12
	v_mov_b32_e32 v11, s13
	s_movk_i32 s12, 0x5800
	v_add_u32_e64 v32, s12, 0
	ds_write2_b64 v32, v[10:11], v[10:11] offset0:44 offset1:109
.LBB139_777:
	s_or_b64 exec, exec, s[10:11]
	v_mov_b32_e32 v10, 0
	v_mov_b32_e32 v11, 0
	s_waitcnt lgkmcnt(0)
	s_barrier
	s_and_saveexec_b64 s[12:13], s[0:1]
	s_cbranch_execz .LBB139_781
; %bb.778:
	v_mul_u32_u24_e32 v32, 0x208, v15
	ds_read_b64 v[10:11], v12 offset:22896
	ds_read_b64 v[32:33], v32 offset:22880
	v_cmp_gt_u32_e64 s[10:11], 2, v14
	s_waitcnt lgkmcnt(0)
	v_fma_f64 v[10:11], v[10:11], v[32:33], 0
	s_and_saveexec_b64 s[16:17], s[10:11]
	s_cbranch_execz .LBB139_780
; %bb.779:
	v_lshlrev_b32_e32 v32, 3, v0
	v_mov_b32_e32 v34, 0
	ds_read_b64 v[32:33], v32 offset:23408
	ds_read_b64 v[34:35], v34 offset:22888
	s_waitcnt lgkmcnt(0)
	v_fma_f64 v[10:11], v[32:33], v[34:35], v[10:11]
.LBB139_780:
	s_or_b64 exec, exec, s[16:17]
	v_xor_b32_e32 v11, 0x80000000, v11
.LBB139_781:
	s_or_b64 exec, exec, s[12:13]
	s_and_saveexec_b64 s[10:11], s[38:39]
; %bb.782:
	ds_write_b64 v13, v[10:11]
; %bb.783:
	s_or_b64 exec, exec, s[10:11]
	s_waitcnt lgkmcnt(0)
	s_barrier
	s_and_saveexec_b64 s[10:11], s[36:37]
	s_cbranch_execz .LBB139_785
; %bb.784:
	v_mov_b32_e32 v32, 0
	ds_read_b64 v[32:33], v32 offset:23928
	ds_read_b64 v[34:35], v13
	s_waitcnt lgkmcnt(0)
	v_fma_f64 v[10:11], v[32:33], v[34:35], v[10:11]
.LBB139_785:
	s_or_b64 exec, exec, s[10:11]
	s_barrier
	s_and_saveexec_b64 s[10:11], s[36:37]
; %bb.786:
	ds_write_b64 v13, v[10:11]
; %bb.787:
	s_or_b64 exec, exec, s[10:11]
	s_waitcnt lgkmcnt(0)
	s_barrier
	s_barrier
	s_and_saveexec_b64 s[10:11], s[0:1]
; %bb.788:
	v_xor_b32_e32 v11, 0x80000000, v11
	ds_write_b64 v12, v[10:11] offset:22896
; %bb.789:
	s_or_b64 exec, exec, s[10:11]
	s_waitcnt lgkmcnt(0)
	s_barrier
	s_barrier
	s_and_saveexec_b64 s[10:11], vcc
	s_cbranch_execz .LBB139_791
; %bb.790:
	s_mov_b64 s[12:13], 1.0
	v_mov_b32_e32 v10, s12
	v_mov_b32_e32 v11, s13
	s_movk_i32 s12, 0x5800
	v_add_u32_e64 v32, s12, 0
	ds_write2_b64 v32, v[10:11], v[10:11] offset0:174 offset1:239
.LBB139_791:
	s_or_b64 exec, exec, s[10:11]
	v_mov_b32_e32 v10, 0
	v_mov_b32_e32 v11, 0
	s_waitcnt lgkmcnt(0)
	s_barrier
	s_and_saveexec_b64 s[12:13], s[8:9]
	s_cbranch_execz .LBB139_819
; %bb.792:
	v_mul_u32_u24_e32 v32, 0x208, v31
	ds_read_b64 v[10:11], v27 offset:16768
	ds_read_b64 v[33:34], v32 offset:16640
	s_movk_i32 s10, 0xf0
	v_cmp_gt_u32_e64 s[10:11], s10, v14
	s_waitcnt lgkmcnt(0)
	v_fma_f64 v[10:11], v[10:11], v[33:34], 0
	s_and_saveexec_b64 s[16:17], s[10:11]
	s_cbranch_execz .LBB139_794
; %bb.793:
	v_lshlrev_b32_e32 v33, 3, v31
	v_sub_u32_e32 v33, v32, v33
	v_lshl_add_u32 v33, v28, 3, v33
	ds_read_b64 v[33:34], v33 offset:17280
	ds_read_b64 v[35:36], v32 offset:16648
	s_waitcnt lgkmcnt(0)
	v_fma_f64 v[10:11], v[33:34], v[35:36], v[10:11]
.LBB139_794:
	s_or_b64 exec, exec, s[16:17]
	s_movk_i32 s10, 0xe0
	v_cmp_gt_u32_e64 s[10:11], s10, v14
	s_and_saveexec_b64 s[16:17], s[10:11]
	s_cbranch_execz .LBB139_796
; %bb.795:
	v_lshlrev_b32_e32 v33, 3, v31
	v_sub_u32_e32 v33, v32, v33
	v_lshl_add_u32 v33, v28, 3, v33
	ds_read_b64 v[33:34], v33 offset:17792
	ds_read_b64 v[35:36], v32 offset:16656
	s_waitcnt lgkmcnt(0)
	v_fma_f64 v[10:11], v[33:34], v[35:36], v[10:11]
.LBB139_796:
	s_or_b64 exec, exec, s[16:17]
	s_movk_i32 s10, 0xd0
	v_cmp_gt_u32_e64 s[10:11], s10, v14
	;; [unrolled: 14-line block ×7, first 2 shown]
	s_and_saveexec_b64 s[16:17], s[10:11]
	s_cbranch_execz .LBB139_808
; %bb.807:
	ds_read_b64 v[33:34], v27 offset:20864
	ds_read_b64 v[35:36], v32 offset:16704
	s_waitcnt lgkmcnt(0)
	v_fma_f64 v[10:11], v[33:34], v[35:36], v[10:11]
.LBB139_808:
	s_or_b64 exec, exec, s[16:17]
	s_movk_i32 s10, 0x70
	v_cmp_gt_u32_e64 s[10:11], s10, v14
	s_and_saveexec_b64 s[16:17], s[10:11]
	s_cbranch_execz .LBB139_810
; %bb.809:
	v_lshlrev_b32_e32 v31, 3, v28
	v_lshl_add_u32 v31, v30, 3, v31
	ds_read_b64 v[33:34], v31 offset:21376
	ds_read_b64 v[35:36], v32 offset:16712
	s_waitcnt lgkmcnt(0)
	v_fma_f64 v[10:11], v[33:34], v[35:36], v[10:11]
.LBB139_810:
	s_or_b64 exec, exec, s[16:17]
	s_movk_i32 s10, 0x60
	v_cmp_gt_u32_e64 s[10:11], s10, v14
	s_and_saveexec_b64 s[16:17], s[10:11]
	s_cbranch_execz .LBB139_812
; %bb.811:
	v_lshlrev_b32_e32 v31, 3, v28
	v_lshl_add_u32 v31, v30, 3, v31
	ds_read_b64 v[33:34], v31 offset:21888
	ds_read_b64 v[35:36], v32 offset:16720
	s_waitcnt lgkmcnt(0)
	v_fma_f64 v[10:11], v[33:34], v[35:36], v[10:11]
.LBB139_812:
	s_or_b64 exec, exec, s[16:17]
	s_movk_i32 s10, 0x50
	v_cmp_gt_u32_e64 s[10:11], s10, v14
	s_and_saveexec_b64 s[16:17], s[10:11]
	s_cbranch_execnz .LBB139_1146
; %bb.813:
	s_or_b64 exec, exec, s[16:17]
	v_cmp_gt_u32_e64 s[10:11], 64, v14
	s_and_saveexec_b64 s[16:17], s[10:11]
	s_cbranch_execnz .LBB139_1147
.LBB139_814:
	s_or_b64 exec, exec, s[16:17]
	v_cmp_gt_u32_e64 s[10:11], 48, v14
	s_and_saveexec_b64 s[16:17], s[10:11]
	s_cbranch_execnz .LBB139_1148
.LBB139_815:
	s_or_b64 exec, exec, s[16:17]
	v_cmp_gt_u32_e64 s[10:11], 32, v14
	s_and_saveexec_b64 s[16:17], s[10:11]
	s_cbranch_execnz .LBB139_1149
.LBB139_816:
	s_or_b64 exec, exec, s[16:17]
	v_cmp_gt_u32_e64 s[10:11], 16, v14
	s_and_saveexec_b64 s[16:17], s[10:11]
	s_cbranch_execz .LBB139_818
.LBB139_817:
	v_lshlrev_b32_e32 v30, 3, v0
	v_mov_b32_e32 v32, 0
	ds_read_b64 v[30:31], v30 offset:24448
	ds_read_b64 v[32:33], v32 offset:16760
	s_waitcnt lgkmcnt(0)
	v_fma_f64 v[10:11], v[30:31], v[32:33], v[10:11]
.LBB139_818:
	s_or_b64 exec, exec, s[16:17]
	v_xor_b32_e32 v11, 0x80000000, v11
.LBB139_819:
	s_or_b64 exec, exec, s[12:13]
	s_mov_b64 s[10:11], exec
	v_readlane_b32 s12, v41, 0
	v_readlane_b32 s13, v41, 1
	s_and_b64 s[12:13], s[10:11], s[12:13]
	s_mov_b64 exec, s[12:13]
; %bb.820:
	ds_write_b64 v29, v[10:11]
; %bb.821:
	s_or_b64 exec, exec, s[10:11]
	s_waitcnt lgkmcnt(0)
	s_barrier
	s_mov_b64 s[10:11], exec
	v_readlane_b32 s12, v41, 2
	v_readlane_b32 s13, v41, 3
	s_and_b64 s[12:13], s[10:11], s[12:13]
	s_mov_b64 exec, s[12:13]
	s_cbranch_execz .LBB139_823
; %bb.822:
	v_lshlrev_b32_e32 v30, 3, v28
	ds_read_b64 v[30:31], v30 offset:24960
	ds_read_b64 v[32:33], v29
	s_waitcnt lgkmcnt(0)
	v_fma_f64 v[10:11], v[30:31], v[32:33], v[10:11]
.LBB139_823:
	s_or_b64 exec, exec, s[10:11]
	s_barrier
	s_mov_b64 s[10:11], exec
	v_readlane_b32 s12, v41, 4
	v_readlane_b32 s13, v41, 5
	s_and_b64 s[12:13], s[10:11], s[12:13]
	s_mov_b64 exec, s[12:13]
; %bb.824:
	ds_write_b64 v29, v[10:11]
; %bb.825:
	s_or_b64 exec, exec, s[10:11]
	s_waitcnt lgkmcnt(0)
	s_barrier
	s_mov_b64 s[10:11], exec
	v_readlane_b32 s12, v41, 6
	v_readlane_b32 s13, v41, 7
	s_and_b64 s[12:13], s[10:11], s[12:13]
	s_mov_b64 exec, s[12:13]
	s_cbranch_execz .LBB139_827
; %bb.826:
	v_lshlrev_b32_e32 v30, 3, v28
	ds_read_b64 v[30:31], v30 offset:25472
	ds_read_b64 v[32:33], v29
	s_waitcnt lgkmcnt(0)
	v_fma_f64 v[10:11], v[30:31], v[32:33], v[10:11]
.LBB139_827:
	s_or_b64 exec, exec, s[10:11]
	s_barrier
	;; [unrolled: 26-line block ×12, first 2 shown]
	s_mov_b64 s[10:11], exec
	v_readlane_b32 s12, v41, 48
	v_readlane_b32 s13, v41, 49
	s_and_b64 s[12:13], s[10:11], s[12:13]
	s_mov_b64 exec, s[12:13]
; %bb.868:
	ds_write_b64 v29, v[10:11]
; %bb.869:
	s_or_b64 exec, exec, s[10:11]
	s_waitcnt lgkmcnt(0)
	s_barrier
	s_and_saveexec_b64 s[10:11], s[84:85]
	s_cbranch_execz .LBB139_871
; %bb.870:
	v_lshlrev_b32_e32 v30, 3, v28
	ds_read_b64 v[30:31], v30 offset:31104
	ds_read_b64 v[32:33], v29
	s_waitcnt lgkmcnt(0)
	v_fma_f64 v[10:11], v[30:31], v[32:33], v[10:11]
.LBB139_871:
	s_or_b64 exec, exec, s[10:11]
	s_barrier
	s_and_saveexec_b64 s[10:11], s[86:87]
; %bb.872:
	ds_write_b64 v29, v[10:11]
; %bb.873:
	s_or_b64 exec, exec, s[10:11]
	s_waitcnt lgkmcnt(0)
	s_barrier
	s_and_saveexec_b64 s[10:11], s[88:89]
	s_cbranch_execz .LBB139_875
; %bb.874:
	v_lshlrev_b32_e32 v28, 3, v28
	ds_read_b64 v[30:31], v28 offset:31616
	ds_read_b64 v[32:33], v29
	s_waitcnt lgkmcnt(0)
	v_fma_f64 v[10:11], v[30:31], v[32:33], v[10:11]
.LBB139_875:
	s_or_b64 exec, exec, s[10:11]
	s_barrier
	s_and_saveexec_b64 s[10:11], s[92:93]
; %bb.876:
	ds_write_b64 v29, v[10:11]
; %bb.877:
	s_or_b64 exec, exec, s[10:11]
	s_waitcnt lgkmcnt(0)
	s_barrier
	s_and_saveexec_b64 s[10:11], s[90:91]
	s_cbranch_execz .LBB139_879
; %bb.878:
	v_mov_b32_e32 v28, 0
	ds_read_b64 v[30:31], v28 offset:32248
	ds_read_b64 v[32:33], v29
	s_waitcnt lgkmcnt(0)
	v_fma_f64 v[10:11], v[30:31], v[32:33], v[10:11]
.LBB139_879:
	s_or_b64 exec, exec, s[10:11]
	s_barrier
	s_and_saveexec_b64 s[10:11], s[90:91]
; %bb.880:
	ds_write_b64 v29, v[10:11]
; %bb.881:
	s_or_b64 exec, exec, s[10:11]
	s_waitcnt lgkmcnt(0)
	s_barrier
	s_barrier
	s_and_saveexec_b64 s[10:11], s[8:9]
; %bb.882:
	v_xor_b32_e32 v11, 0x80000000, v11
	ds_write_b64 v27, v[10:11] offset:16768
; %bb.883:
	s_or_b64 exec, exec, s[10:11]
	s_waitcnt lgkmcnt(0)
	s_barrier
	s_barrier
	s_and_saveexec_b64 s[8:9], vcc
	s_cbranch_execz .LBB139_885
; %bb.884:
	s_mov_b64 s[10:11], 1.0
	v_mov_b32_e32 v10, s10
	v_mov_b32_e32 v11, s11
	s_movk_i32 s10, 0x6000
	v_add_u32_e64 v27, s10, 0
	ds_write2_b64 v27, v[10:11], v[10:11] offset0:48 offset1:113
.LBB139_885:
	s_or_b64 exec, exec, s[8:9]
	v_mov_b32_e32 v10, 0
	v_mov_b32_e32 v11, 0
	s_waitcnt lgkmcnt(0)
	s_barrier
	s_and_saveexec_b64 s[10:11], s[0:1]
	s_cbranch_execz .LBB139_889
; %bb.886:
	v_mul_u32_u24_e32 v27, 0x208, v15
	ds_read_b64 v[10:11], v12 offset:24976
	ds_read_b64 v[27:28], v27 offset:24960
	v_cmp_gt_u32_e64 s[8:9], 2, v14
	s_waitcnt lgkmcnt(0)
	v_fma_f64 v[10:11], v[10:11], v[27:28], 0
	s_and_saveexec_b64 s[12:13], s[8:9]
	s_cbranch_execz .LBB139_888
; %bb.887:
	v_lshlrev_b32_e32 v27, 3, v0
	v_mov_b32_e32 v29, 0
	ds_read_b64 v[27:28], v27 offset:25488
	ds_read_b64 v[29:30], v29 offset:24968
	s_waitcnt lgkmcnt(0)
	v_fma_f64 v[10:11], v[27:28], v[29:30], v[10:11]
.LBB139_888:
	s_or_b64 exec, exec, s[12:13]
	v_xor_b32_e32 v11, 0x80000000, v11
.LBB139_889:
	s_or_b64 exec, exec, s[10:11]
	s_and_saveexec_b64 s[8:9], s[38:39]
; %bb.890:
	ds_write_b64 v13, v[10:11]
; %bb.891:
	s_or_b64 exec, exec, s[8:9]
	s_waitcnt lgkmcnt(0)
	s_barrier
	s_and_saveexec_b64 s[8:9], s[36:37]
	s_cbranch_execz .LBB139_893
; %bb.892:
	v_mov_b32_e32 v27, 0
	ds_read_b64 v[27:28], v27 offset:26008
	ds_read_b64 v[29:30], v13
	s_waitcnt lgkmcnt(0)
	v_fma_f64 v[10:11], v[27:28], v[29:30], v[10:11]
.LBB139_893:
	s_or_b64 exec, exec, s[8:9]
	s_barrier
	s_and_saveexec_b64 s[8:9], s[36:37]
; %bb.894:
	ds_write_b64 v13, v[10:11]
; %bb.895:
	s_or_b64 exec, exec, s[8:9]
	s_waitcnt lgkmcnt(0)
	s_barrier
	s_barrier
	s_and_saveexec_b64 s[8:9], s[0:1]
; %bb.896:
	v_xor_b32_e32 v11, 0x80000000, v11
	ds_write_b64 v12, v[10:11] offset:24976
; %bb.897:
	s_or_b64 exec, exec, s[8:9]
	s_waitcnt lgkmcnt(0)
	s_barrier
	s_barrier
	s_and_saveexec_b64 s[8:9], vcc
	s_cbranch_execz .LBB139_899
; %bb.898:
	s_mov_b64 s[10:11], 1.0
	v_mov_b32_e32 v10, s10
	v_mov_b32_e32 v11, s11
	s_movk_i32 s10, 0x6000
	v_add_u32_e64 v27, s10, 0
	ds_write2_b64 v27, v[10:11], v[10:11] offset0:178 offset1:243
.LBB139_899:
	s_or_b64 exec, exec, s[8:9]
	v_mov_b32_e32 v10, 0
	v_mov_b32_e32 v11, 0
	s_waitcnt lgkmcnt(0)
	s_barrier
	s_and_saveexec_b64 s[10:11], s[2:3]
	s_cbranch_execz .LBB139_905
; %bb.900:
	v_mul_u32_u24_e32 v27, 0x208, v21
	ds_read_b64 v[10:11], v16 offset:24992
	ds_read_b64 v[28:29], v27 offset:24960
	v_cmp_gt_u32_e64 s[8:9], 12, v14
	s_waitcnt lgkmcnt(0)
	v_fma_f64 v[10:11], v[10:11], v[28:29], 0
	s_and_saveexec_b64 s[12:13], s[8:9]
	s_cbranch_execnz .LBB139_1150
; %bb.901:
	s_or_b64 exec, exec, s[12:13]
	v_cmp_gt_u32_e64 s[8:9], 8, v14
	s_and_saveexec_b64 s[12:13], s[8:9]
	s_cbranch_execnz .LBB139_1151
.LBB139_902:
	s_or_b64 exec, exec, s[12:13]
	v_cmp_gt_u32_e64 s[8:9], 4, v14
	s_and_saveexec_b64 s[12:13], s[8:9]
	s_cbranch_execz .LBB139_904
.LBB139_903:
	v_lshlrev_b32_e32 v27, 3, v0
	v_mov_b32_e32 v29, 0
	ds_read_b64 v[27:28], v27 offset:26528
	ds_read_b64 v[29:30], v29 offset:24984
	s_waitcnt lgkmcnt(0)
	v_fma_f64 v[10:11], v[27:28], v[29:30], v[10:11]
.LBB139_904:
	s_or_b64 exec, exec, s[12:13]
	v_xor_b32_e32 v11, 0x80000000, v11
.LBB139_905:
	s_or_b64 exec, exec, s[10:11]
	s_and_saveexec_b64 s[8:9], s[42:43]
; %bb.906:
	ds_write_b64 v19, v[10:11]
; %bb.907:
	s_or_b64 exec, exec, s[8:9]
	s_waitcnt lgkmcnt(0)
	s_barrier
	s_and_saveexec_b64 s[8:9], s[44:45]
	s_cbranch_execz .LBB139_909
; %bb.908:
	ds_read_b64 v[27:28], v17 offset:27040
	ds_read_b64 v[29:30], v19
	s_waitcnt lgkmcnt(0)
	v_fma_f64 v[10:11], v[27:28], v[29:30], v[10:11]
.LBB139_909:
	s_or_b64 exec, exec, s[8:9]
	s_barrier
	s_and_saveexec_b64 s[8:9], s[46:47]
; %bb.910:
	ds_write_b64 v19, v[10:11]
; %bb.911:
	s_or_b64 exec, exec, s[8:9]
	s_waitcnt lgkmcnt(0)
	s_barrier
	s_and_saveexec_b64 s[8:9], s[48:49]
	s_cbranch_execz .LBB139_913
; %bb.912:
	ds_read_b64 v[27:28], v17 offset:27552
	ds_read_b64 v[29:30], v19
	s_waitcnt lgkmcnt(0)
	v_fma_f64 v[10:11], v[27:28], v[29:30], v[10:11]
.LBB139_913:
	s_or_b64 exec, exec, s[8:9]
	s_barrier
	s_and_saveexec_b64 s[8:9], s[50:51]
; %bb.914:
	ds_write_b64 v19, v[10:11]
; %bb.915:
	s_or_b64 exec, exec, s[8:9]
	s_waitcnt lgkmcnt(0)
	s_barrier
	s_and_saveexec_b64 s[8:9], s[40:41]
	s_cbranch_execz .LBB139_917
; %bb.916:
	v_mov_b32_e32 v27, 0
	ds_read_b64 v[27:28], v27 offset:28088
	ds_read_b64 v[29:30], v19
	s_waitcnt lgkmcnt(0)
	v_fma_f64 v[10:11], v[27:28], v[29:30], v[10:11]
.LBB139_917:
	s_or_b64 exec, exec, s[8:9]
	s_barrier
	s_and_saveexec_b64 s[8:9], s[40:41]
; %bb.918:
	ds_write_b64 v19, v[10:11]
; %bb.919:
	s_or_b64 exec, exec, s[8:9]
	s_waitcnt lgkmcnt(0)
	s_barrier
	s_barrier
	s_and_saveexec_b64 s[8:9], s[2:3]
; %bb.920:
	v_xor_b32_e32 v11, 0x80000000, v11
	ds_write_b64 v16, v[10:11] offset:24992
; %bb.921:
	s_or_b64 exec, exec, s[8:9]
	s_waitcnt lgkmcnt(0)
	s_barrier
	s_barrier
	s_and_saveexec_b64 s[8:9], vcc
	s_cbranch_execz .LBB139_923
; %bb.922:
	s_mov_b64 s[10:11], 1.0
	v_mov_b32_e32 v10, s10
	v_mov_b32_e32 v11, s11
	s_movk_i32 s10, 0x6800
	v_add_u32_e64 v27, s10, 0
	ds_write2_b64 v27, v[10:11], v[10:11] offset0:52 offset1:117
.LBB139_923:
	s_or_b64 exec, exec, s[8:9]
	v_mov_b32_e32 v10, 0
	v_mov_b32_e32 v11, 0
	s_waitcnt lgkmcnt(0)
	s_barrier
	s_and_saveexec_b64 s[10:11], s[0:1]
	s_cbranch_execz .LBB139_927
; %bb.924:
	v_mul_u32_u24_e32 v27, 0x208, v15
	ds_read_b64 v[10:11], v12 offset:27056
	ds_read_b64 v[27:28], v27 offset:27040
	v_cmp_gt_u32_e64 s[8:9], 2, v14
	s_waitcnt lgkmcnt(0)
	v_fma_f64 v[10:11], v[10:11], v[27:28], 0
	s_and_saveexec_b64 s[12:13], s[8:9]
	s_cbranch_execz .LBB139_926
; %bb.925:
	v_lshlrev_b32_e32 v27, 3, v0
	v_mov_b32_e32 v29, 0
	ds_read_b64 v[27:28], v27 offset:27568
	ds_read_b64 v[29:30], v29 offset:27048
	s_waitcnt lgkmcnt(0)
	v_fma_f64 v[10:11], v[27:28], v[29:30], v[10:11]
.LBB139_926:
	s_or_b64 exec, exec, s[12:13]
	v_xor_b32_e32 v11, 0x80000000, v11
.LBB139_927:
	s_or_b64 exec, exec, s[10:11]
	s_and_saveexec_b64 s[8:9], s[38:39]
; %bb.928:
	ds_write_b64 v13, v[10:11]
; %bb.929:
	s_or_b64 exec, exec, s[8:9]
	s_waitcnt lgkmcnt(0)
	s_barrier
	s_and_saveexec_b64 s[8:9], s[36:37]
	s_cbranch_execz .LBB139_931
; %bb.930:
	v_mov_b32_e32 v27, 0
	ds_read_b64 v[27:28], v27 offset:28088
	ds_read_b64 v[29:30], v13
	s_waitcnt lgkmcnt(0)
	v_fma_f64 v[10:11], v[27:28], v[29:30], v[10:11]
.LBB139_931:
	s_or_b64 exec, exec, s[8:9]
	s_barrier
	s_and_saveexec_b64 s[8:9], s[36:37]
; %bb.932:
	ds_write_b64 v13, v[10:11]
; %bb.933:
	s_or_b64 exec, exec, s[8:9]
	s_waitcnt lgkmcnt(0)
	s_barrier
	s_barrier
	s_and_saveexec_b64 s[8:9], s[0:1]
; %bb.934:
	v_xor_b32_e32 v11, 0x80000000, v11
	ds_write_b64 v12, v[10:11] offset:27056
; %bb.935:
	s_or_b64 exec, exec, s[8:9]
	s_waitcnt lgkmcnt(0)
	s_barrier
	s_barrier
	s_and_saveexec_b64 s[8:9], vcc
	s_cbranch_execz .LBB139_937
; %bb.936:
	s_mov_b64 s[10:11], 1.0
	v_mov_b32_e32 v10, s10
	v_mov_b32_e32 v11, s11
	s_movk_i32 s10, 0x6800
	v_add_u32_e64 v27, s10, 0
	ds_write2_b64 v27, v[10:11], v[10:11] offset0:182 offset1:247
.LBB139_937:
	s_or_b64 exec, exec, s[8:9]
	v_mov_b32_e32 v10, 0
	v_mov_b32_e32 v11, 0
	s_waitcnt lgkmcnt(0)
	s_barrier
	s_and_saveexec_b64 s[10:11], s[14:15]
	s_cbranch_execz .LBB139_947
; %bb.938:
	v_mul_u32_u24_e32 v27, 0x208, v26
	ds_read_b64 v[10:11], v22 offset:25024
	ds_read_b64 v[28:29], v27 offset:24960
	v_cmp_gt_u32_e64 s[8:9], 56, v14
	s_waitcnt lgkmcnt(0)
	v_fma_f64 v[10:11], v[10:11], v[28:29], 0
	s_and_saveexec_b64 s[12:13], s[8:9]
	s_cbranch_execnz .LBB139_1152
; %bb.939:
	s_or_b64 exec, exec, s[12:13]
	v_cmp_gt_u32_e64 s[8:9], 48, v14
	s_and_saveexec_b64 s[12:13], s[8:9]
	s_cbranch_execnz .LBB139_1153
.LBB139_940:
	s_or_b64 exec, exec, s[12:13]
	v_cmp_gt_u32_e64 s[8:9], 40, v14
	s_and_saveexec_b64 s[12:13], s[8:9]
	s_cbranch_execnz .LBB139_1154
.LBB139_941:
	s_or_b64 exec, exec, s[12:13]
	v_cmp_gt_u32_e64 s[8:9], 32, v14
	s_and_saveexec_b64 s[12:13], s[8:9]
	s_cbranch_execnz .LBB139_1155
.LBB139_942:
	s_or_b64 exec, exec, s[12:13]
	v_cmp_gt_u32_e64 s[8:9], 24, v14
	s_and_saveexec_b64 s[12:13], s[8:9]
	s_cbranch_execnz .LBB139_1156
.LBB139_943:
	s_or_b64 exec, exec, s[12:13]
	v_cmp_gt_u32_e64 s[8:9], 16, v14
	s_and_saveexec_b64 s[12:13], s[8:9]
	s_cbranch_execnz .LBB139_1157
.LBB139_944:
	s_or_b64 exec, exec, s[12:13]
	v_cmp_gt_u32_e64 s[8:9], 8, v14
	s_and_saveexec_b64 s[12:13], s[8:9]
	s_cbranch_execz .LBB139_946
.LBB139_945:
	v_lshlrev_b32_e32 v25, 3, v0
	v_mov_b32_e32 v27, 0
	ds_read_b64 v[25:26], v25 offset:28608
	ds_read_b64 v[27:28], v27 offset:25016
	s_waitcnt lgkmcnt(0)
	v_fma_f64 v[10:11], v[25:26], v[27:28], v[10:11]
.LBB139_946:
	s_or_b64 exec, exec, s[12:13]
	v_xor_b32_e32 v11, 0x80000000, v11
.LBB139_947:
	s_or_b64 exec, exec, s[10:11]
	s_and_saveexec_b64 s[8:9], s[52:53]
; %bb.948:
	ds_write_b64 v24, v[10:11]
; %bb.949:
	s_or_b64 exec, exec, s[8:9]
	s_waitcnt lgkmcnt(0)
	s_barrier
	s_and_saveexec_b64 s[8:9], s[54:55]
	s_cbranch_execz .LBB139_951
; %bb.950:
	ds_read_b64 v[25:26], v23 offset:29120
	ds_read_b64 v[27:28], v24
	s_waitcnt lgkmcnt(0)
	v_fma_f64 v[10:11], v[25:26], v[27:28], v[10:11]
.LBB139_951:
	s_or_b64 exec, exec, s[8:9]
	s_barrier
	s_and_saveexec_b64 s[8:9], s[56:57]
; %bb.952:
	ds_write_b64 v24, v[10:11]
; %bb.953:
	s_or_b64 exec, exec, s[8:9]
	s_waitcnt lgkmcnt(0)
	s_barrier
	s_and_saveexec_b64 s[8:9], s[58:59]
	s_cbranch_execz .LBB139_955
; %bb.954:
	ds_read_b64 v[25:26], v23 offset:29632
	ds_read_b64 v[27:28], v24
	s_waitcnt lgkmcnt(0)
	v_fma_f64 v[10:11], v[25:26], v[27:28], v[10:11]
.LBB139_955:
	s_or_b64 exec, exec, s[8:9]
	s_barrier
	;; [unrolled: 17-line block ×6, first 2 shown]
	s_and_saveexec_b64 s[8:9], s[78:79]
; %bb.972:
	ds_write_b64 v24, v[10:11]
; %bb.973:
	s_or_b64 exec, exec, s[8:9]
	s_waitcnt lgkmcnt(0)
	s_barrier
	s_and_saveexec_b64 s[8:9], s[62:63]
	s_cbranch_execz .LBB139_975
; %bb.974:
	v_mov_b32_e32 v23, 0
	ds_read_b64 v[25:26], v23 offset:32248
	ds_read_b64 v[27:28], v24
	s_waitcnt lgkmcnt(0)
	v_fma_f64 v[10:11], v[25:26], v[27:28], v[10:11]
.LBB139_975:
	s_or_b64 exec, exec, s[8:9]
	s_barrier
	s_and_saveexec_b64 s[8:9], s[62:63]
; %bb.976:
	ds_write_b64 v24, v[10:11]
; %bb.977:
	s_or_b64 exec, exec, s[8:9]
	s_waitcnt lgkmcnt(0)
	s_barrier
	s_barrier
	s_and_saveexec_b64 s[8:9], s[14:15]
; %bb.978:
	v_xor_b32_e32 v11, 0x80000000, v11
	ds_write_b64 v22, v[10:11] offset:25024
; %bb.979:
	s_or_b64 exec, exec, s[8:9]
	s_waitcnt lgkmcnt(0)
	s_barrier
	s_barrier
	s_and_saveexec_b64 s[8:9], vcc
	s_cbranch_execz .LBB139_981
; %bb.980:
	s_mov_b64 s[10:11], 1.0
	v_mov_b32_e32 v10, s10
	v_mov_b32_e32 v11, s11
	s_movk_i32 s10, 0x7000
	v_add_u32_e64 v22, s10, 0
	ds_write2_b64 v22, v[10:11], v[10:11] offset0:56 offset1:121
.LBB139_981:
	s_or_b64 exec, exec, s[8:9]
	v_mov_b32_e32 v10, 0
	v_mov_b32_e32 v11, 0
	s_waitcnt lgkmcnt(0)
	s_barrier
	s_and_saveexec_b64 s[10:11], s[0:1]
	s_cbranch_execz .LBB139_985
; %bb.982:
	v_mul_u32_u24_e32 v22, 0x208, v15
	ds_read_b64 v[10:11], v12 offset:29136
	ds_read_b64 v[22:23], v22 offset:29120
	v_cmp_gt_u32_e64 s[8:9], 2, v14
	s_waitcnt lgkmcnt(0)
	v_fma_f64 v[10:11], v[10:11], v[22:23], 0
	s_and_saveexec_b64 s[12:13], s[8:9]
	s_cbranch_execz .LBB139_984
; %bb.983:
	v_lshlrev_b32_e32 v22, 3, v0
	v_mov_b32_e32 v24, 0
	ds_read_b64 v[22:23], v22 offset:29648
	ds_read_b64 v[24:25], v24 offset:29128
	s_waitcnt lgkmcnt(0)
	v_fma_f64 v[10:11], v[22:23], v[24:25], v[10:11]
.LBB139_984:
	s_or_b64 exec, exec, s[12:13]
	v_xor_b32_e32 v11, 0x80000000, v11
.LBB139_985:
	s_or_b64 exec, exec, s[10:11]
	s_and_saveexec_b64 s[8:9], s[38:39]
; %bb.986:
	ds_write_b64 v13, v[10:11]
; %bb.987:
	s_or_b64 exec, exec, s[8:9]
	s_waitcnt lgkmcnt(0)
	s_barrier
	s_and_saveexec_b64 s[8:9], s[36:37]
	s_cbranch_execz .LBB139_989
; %bb.988:
	v_mov_b32_e32 v22, 0
	ds_read_b64 v[22:23], v22 offset:30168
	ds_read_b64 v[24:25], v13
	s_waitcnt lgkmcnt(0)
	v_fma_f64 v[10:11], v[22:23], v[24:25], v[10:11]
.LBB139_989:
	s_or_b64 exec, exec, s[8:9]
	s_barrier
	s_and_saveexec_b64 s[8:9], s[36:37]
; %bb.990:
	ds_write_b64 v13, v[10:11]
; %bb.991:
	s_or_b64 exec, exec, s[8:9]
	s_waitcnt lgkmcnt(0)
	s_barrier
	s_barrier
	s_and_saveexec_b64 s[8:9], s[0:1]
; %bb.992:
	v_xor_b32_e32 v11, 0x80000000, v11
	ds_write_b64 v12, v[10:11] offset:29136
; %bb.993:
	s_or_b64 exec, exec, s[8:9]
	s_waitcnt lgkmcnt(0)
	s_barrier
	s_barrier
	s_and_saveexec_b64 s[8:9], vcc
	s_cbranch_execz .LBB139_995
; %bb.994:
	s_mov_b64 s[10:11], 1.0
	v_mov_b32_e32 v10, s10
	v_mov_b32_e32 v11, s11
	s_movk_i32 s10, 0x7000
	v_add_u32_e64 v22, s10, 0
	ds_write2_b64 v22, v[10:11], v[10:11] offset0:186 offset1:251
.LBB139_995:
	s_or_b64 exec, exec, s[8:9]
	v_mov_b32_e32 v10, 0
	v_mov_b32_e32 v11, 0
	s_waitcnt lgkmcnt(0)
	s_barrier
	s_and_saveexec_b64 s[10:11], s[2:3]
	s_cbranch_execz .LBB139_1001
; %bb.996:
	v_mul_u32_u24_e32 v22, 0x208, v21
	ds_read_b64 v[10:11], v16 offset:29152
	ds_read_b64 v[23:24], v22 offset:29120
	v_cmp_gt_u32_e64 s[8:9], 12, v14
	s_waitcnt lgkmcnt(0)
	v_fma_f64 v[10:11], v[10:11], v[23:24], 0
	s_and_saveexec_b64 s[12:13], s[8:9]
	s_cbranch_execnz .LBB139_1158
; %bb.997:
	s_or_b64 exec, exec, s[12:13]
	v_cmp_gt_u32_e64 s[8:9], 8, v14
	s_and_saveexec_b64 s[12:13], s[8:9]
	s_cbranch_execnz .LBB139_1159
.LBB139_998:
	s_or_b64 exec, exec, s[12:13]
	v_cmp_gt_u32_e64 s[8:9], 4, v14
	s_and_saveexec_b64 s[12:13], s[8:9]
	s_cbranch_execz .LBB139_1000
.LBB139_999:
	v_lshlrev_b32_e32 v20, 3, v0
	v_mov_b32_e32 v22, 0
	ds_read_b64 v[20:21], v20 offset:30688
	ds_read_b64 v[22:23], v22 offset:29144
	s_waitcnt lgkmcnt(0)
	v_fma_f64 v[10:11], v[20:21], v[22:23], v[10:11]
.LBB139_1000:
	s_or_b64 exec, exec, s[12:13]
	v_xor_b32_e32 v11, 0x80000000, v11
.LBB139_1001:
	s_or_b64 exec, exec, s[10:11]
	s_and_saveexec_b64 s[8:9], s[42:43]
; %bb.1002:
	ds_write_b64 v19, v[10:11]
; %bb.1003:
	s_or_b64 exec, exec, s[8:9]
	s_waitcnt lgkmcnt(0)
	s_barrier
	s_and_saveexec_b64 s[8:9], s[44:45]
	s_cbranch_execz .LBB139_1005
; %bb.1004:
	ds_read_b64 v[20:21], v17 offset:31200
	ds_read_b64 v[22:23], v19
	s_waitcnt lgkmcnt(0)
	v_fma_f64 v[10:11], v[20:21], v[22:23], v[10:11]
.LBB139_1005:
	s_or_b64 exec, exec, s[8:9]
	s_barrier
	s_and_saveexec_b64 s[8:9], s[46:47]
; %bb.1006:
	ds_write_b64 v19, v[10:11]
; %bb.1007:
	s_or_b64 exec, exec, s[8:9]
	s_waitcnt lgkmcnt(0)
	s_barrier
	s_and_saveexec_b64 s[8:9], s[48:49]
	s_cbranch_execz .LBB139_1009
; %bb.1008:
	ds_read_b64 v[20:21], v17 offset:31712
	ds_read_b64 v[22:23], v19
	s_waitcnt lgkmcnt(0)
	v_fma_f64 v[10:11], v[20:21], v[22:23], v[10:11]
.LBB139_1009:
	s_or_b64 exec, exec, s[8:9]
	s_barrier
	s_and_saveexec_b64 s[8:9], s[50:51]
; %bb.1010:
	ds_write_b64 v19, v[10:11]
; %bb.1011:
	s_or_b64 exec, exec, s[8:9]
	s_waitcnt lgkmcnt(0)
	s_barrier
	s_and_saveexec_b64 s[8:9], s[40:41]
	s_cbranch_execz .LBB139_1013
; %bb.1012:
	v_mov_b32_e32 v17, 0
	ds_read_b64 v[20:21], v17 offset:32248
	ds_read_b64 v[22:23], v19
	s_waitcnt lgkmcnt(0)
	v_fma_f64 v[10:11], v[20:21], v[22:23], v[10:11]
.LBB139_1013:
	s_or_b64 exec, exec, s[8:9]
	s_barrier
	s_and_saveexec_b64 s[8:9], s[40:41]
; %bb.1014:
	ds_write_b64 v19, v[10:11]
; %bb.1015:
	s_or_b64 exec, exec, s[8:9]
	s_waitcnt lgkmcnt(0)
	s_barrier
	s_barrier
	s_and_saveexec_b64 s[8:9], s[2:3]
; %bb.1016:
	v_xor_b32_e32 v11, 0x80000000, v11
	ds_write_b64 v16, v[10:11] offset:29152
; %bb.1017:
	s_or_b64 exec, exec, s[8:9]
	s_waitcnt lgkmcnt(0)
	s_barrier
	s_barrier
	s_and_saveexec_b64 s[2:3], vcc
	s_cbranch_execz .LBB139_1019
; %bb.1018:
	s_mov_b64 s[8:9], 1.0
	v_mov_b32_e32 v11, s9
	v_mov_b32_e32 v10, s8
	s_movk_i32 s8, 0x7800
	v_add_u32_e64 v16, s8, 0
	ds_write2_b64 v16, v[10:11], v[10:11] offset0:60 offset1:125
.LBB139_1019:
	s_or_b64 exec, exec, s[2:3]
	v_mov_b32_e32 v10, 0
	v_mov_b32_e32 v11, 0
	s_waitcnt lgkmcnt(0)
	s_barrier
	s_and_saveexec_b64 s[8:9], s[0:1]
	s_cbranch_execz .LBB139_1023
; %bb.1020:
	v_mul_u32_u24_e32 v15, 0x208, v15
	ds_read_b64 v[10:11], v12 offset:31216
	ds_read_b64 v[15:16], v15 offset:31200
	v_cmp_gt_u32_e64 s[2:3], 2, v14
	s_waitcnt lgkmcnt(0)
	v_fma_f64 v[10:11], v[10:11], v[15:16], 0
	s_and_saveexec_b64 s[10:11], s[2:3]
	s_cbranch_execz .LBB139_1022
; %bb.1021:
	v_lshlrev_b32_e32 v14, 3, v0
	v_mov_b32_e32 v16, 0
	ds_read_b64 v[14:15], v14 offset:31728
	ds_read_b64 v[16:17], v16 offset:31208
	s_waitcnt lgkmcnt(0)
	v_fma_f64 v[10:11], v[14:15], v[16:17], v[10:11]
.LBB139_1022:
	s_or_b64 exec, exec, s[10:11]
	v_xor_b32_e32 v11, 0x80000000, v11
.LBB139_1023:
	s_or_b64 exec, exec, s[8:9]
	s_and_saveexec_b64 s[2:3], s[38:39]
; %bb.1024:
	ds_write_b64 v13, v[10:11]
; %bb.1025:
	s_or_b64 exec, exec, s[2:3]
	s_waitcnt lgkmcnt(0)
	s_barrier
	s_and_saveexec_b64 s[2:3], s[36:37]
	s_load_dword s16, s[4:5], 0x6c
	s_cbranch_execz .LBB139_1027
; %bb.1026:
	v_mov_b32_e32 v14, 0
	ds_read_b64 v[14:15], v14 offset:32248
	ds_read_b64 v[16:17], v13
	s_waitcnt lgkmcnt(0)
	v_fma_f64 v[10:11], v[14:15], v[16:17], v[10:11]
.LBB139_1027:
	s_or_b64 exec, exec, s[2:3]
	s_waitcnt lgkmcnt(0)
	s_barrier
	s_and_saveexec_b64 s[2:3], s[36:37]
; %bb.1028:
	ds_write_b64 v13, v[10:11]
; %bb.1029:
	s_or_b64 exec, exec, s[2:3]
	s_waitcnt lgkmcnt(0)
	s_barrier
	s_barrier
	s_and_saveexec_b64 s[2:3], s[0:1]
; %bb.1030:
	v_xor_b32_e32 v11, 0x80000000, v11
	ds_write_b64 v12, v[10:11] offset:31216
; %bb.1031:
	s_or_b64 exec, exec, s[2:3]
	s_waitcnt lgkmcnt(0)
	s_barrier
	s_barrier
	s_and_saveexec_b64 s[0:1], vcc
	s_cbranch_execz .LBB139_1033
; %bb.1032:
	s_mov_b64 s[2:3], 1.0
	v_mov_b32_e32 v11, s3
	v_mov_b32_e32 v10, s2
	s_movk_i32 s2, 0x7800
	v_add_u32_e64 v12, s2, 0
	ds_write2_b64 v12, v[10:11], v[10:11] offset0:190 offset1:255
.LBB139_1033:
	s_or_b64 exec, exec, s[0:1]
.LBB139_1034:
	s_lshl_b64 s[0:1], s[24:25], 3
	s_add_u32 s36, s30, s0
	v_cmp_le_i32_e32 vcc, s7, v0
	s_addc_u32 s37, s31, s1
	s_and_b64 s[14:15], vcc, s[22:23]
	v_cmp_eq_u32_e64 s[0:1], 0, v1
	s_xor_b64 s[2:3], s[14:15], -1
	v_mov_b32_e32 v10, 0
	s_and_b64 s[8:9], s[0:1], s[2:3]
	v_mov_b32_e32 v11, 0
	v_lshl_add_u32 v12, s6, 6, v0
	s_waitcnt lgkmcnt(0)
	s_barrier
	s_and_saveexec_b64 s[2:3], s[8:9]
	s_cbranch_execz .LBB139_1036
; %bb.1035:
	v_ashrrev_i32_e32 v13, 31, v12
	v_mul_lo_u32 v14, s27, v12
	v_mad_u64_u32 v[10:11], s[8:9], s26, v12, 0
	v_mul_lo_u32 v13, s26, v13
	v_add3_u32 v11, v11, v13, v14
	v_lshlrev_b64 v[10:11], 3, v[10:11]
	v_mov_b32_e32 v13, s37
	v_add_co_u32_e32 v10, vcc, s36, v10
	v_addc_co_u32_e32 v11, vcc, v13, v11, vcc
	flat_load_dwordx2 v[10:11], v[10:11]
	s_waitcnt vmcnt(0) lgkmcnt(0)
	v_mul_f64 v[10:11], v[10:11], -s[20:21]
.LBB139_1036:
	s_or_b64 exec, exec, s[2:3]
	s_load_dwordx2 s[12:13], s[4:5], 0x50
	s_and_b32 s2, 0xffff, s16
	v_mad_u32_u24 v19, v1, s2, v0
	v_mov_b32_e32 v13, 0
	s_cmp_lt_i32 s6, 1
	v_cmp_eq_u32_e64 s[2:3], 0, v19
	s_cbranch_scc1 .LBB139_1062
; %bb.1037:
	v_mov_b32_e32 v14, 0xa000
	v_lshl_add_u32 v20, v19, 3, v14
	v_lshl_or_b32 v21, v1, 3, v14
	v_lshlrev_b64 v[14:15], 3, v[12:13]
	s_lshl_b64 s[4:5], s[18:19], 2
	s_waitcnt lgkmcnt(0)
	s_add_u32 s16, s12, s4
	v_cmp_gt_i32_e64 s[10:11], s33, v12
	v_mov_b32_e32 v16, s83
	v_add_co_u32_e32 v12, vcc, s82, v14
	s_mul_i32 s8, s29, 0x180
	s_mul_hi_u32 s9, s28, 0x180
	s_mov_b32 s38, 0
	s_addc_u32 s17, s13, s5
	v_cmp_gt_u32_e64 s[4:5], 64, v19
	s_add_i32 s39, s6, -1
	v_addc_co_u32_e32 v22, vcc, v16, v15, vcc
	s_lshl_b64 s[20:21], s[28:29], 7
	s_lshl_b64 s[24:25], s[28:29], 8
	s_add_i32 s40, s9, s8
	s_mul_i32 s41, s28, 0x180
	v_mov_b32_e32 v23, -1
	s_branch .LBB139_1040
.LBB139_1038:                           ;   in Loop: Header=BB139_1040 Depth=1
	ds_read_b64 v[14:15], v21 offset:384
	s_waitcnt vmcnt(0) lgkmcnt(0)
	v_fma_f64 v[10:11], v[16:17], v[14:15], v[10:11]
.LBB139_1039:                           ;   in Loop: Header=BB139_1040 Depth=1
	s_or_b64 exec, exec, s[30:31]
	s_add_i32 s38, s38, 1
	s_cmp_eq_u32 s38, s6
	s_cbranch_scc1 .LBB139_1062
.LBB139_1040:                           ; =>This Loop Header: Depth=1
                                        ;     Child Loop BB139_1042 Depth 2
	v_cmp_gt_i32_e32 vcc, s38, v23
	s_and_b64 s[30:31], s[2:3], vcc
	s_and_saveexec_b64 s[8:9], s[30:31]
	s_cbranch_execz .LBB139_1043
; %bb.1041:                             ;   in Loop: Header=BB139_1040 Depth=1
	global_load_dword v23, v13, s[16:17]
	s_waitcnt vmcnt(0)
	v_cmp_le_i32_e32 vcc, s38, v23
	s_cbranch_vccnz .LBB139_1043
.LBB139_1042:                           ;   Parent Loop BB139_1040 Depth=1
                                        ; =>  This Inner Loop Header: Depth=2
	buffer_wbinvl1_vol
	global_load_dword v23, v13, s[16:17]
	s_waitcnt vmcnt(0)
	v_cmp_gt_i32_e32 vcc, s38, v23
	s_cbranch_vccnz .LBB139_1042
.LBB139_1043:                           ;   in Loop: Header=BB139_1040 Depth=1
	s_or_b64 exec, exec, s[8:9]
	s_lshl_b32 s42, s38, 6
	buffer_wbinvl1_vol
	s_barrier
	s_and_saveexec_b64 s[8:9], s[4:5]
	s_cbranch_execz .LBB139_1047
; %bb.1044:                             ;   in Loop: Header=BB139_1040 Depth=1
	v_or_b32_e32 v16, s42, v19
	v_mov_b32_e32 v14, 0
	v_mov_b32_e32 v15, 0
	v_cmp_gt_i32_e32 vcc, s33, v16
	s_and_saveexec_b64 s[30:31], vcc
	s_cbranch_execz .LBB139_1046
; %bb.1045:                             ;   in Loop: Header=BB139_1040 Depth=1
	v_mad_u64_u32 v[14:15], s[44:45], s26, v16, 0
	v_mad_u64_u32 v[15:16], s[44:45], s27, v16, v[15:16]
	v_mov_b32_e32 v16, s37
	v_lshlrev_b64 v[14:15], 3, v[14:15]
	v_add_co_u32_e32 v14, vcc, s36, v14
	v_addc_co_u32_e32 v15, vcc, v16, v15, vcc
	flat_load_dwordx2 v[14:15], v[14:15]
.LBB139_1046:                           ;   in Loop: Header=BB139_1040 Depth=1
	s_or_b64 exec, exec, s[30:31]
	s_waitcnt vmcnt(0) lgkmcnt(0)
	ds_write_b64 v20, v[14:15]
.LBB139_1047:                           ;   in Loop: Header=BB139_1040 Depth=1
	s_or_b64 exec, exec, s[8:9]
	v_add_u32_e32 v24, s42, v1
	v_mad_u64_u32 v[14:15], s[8:9], s28, v24, 0
	s_cmp_lg_u32 s38, s39
	s_waitcnt lgkmcnt(0)
	v_mad_u64_u32 v[15:16], s[8:9], s29, v24, v[15:16]
	s_cselect_b64 s[8:9], -1, 0
	v_cndmask_b32_e64 v16, 0, 1, s[8:9]
	v_lshlrev_b64 v[14:15], 3, v[14:15]
	v_cmp_ne_u32_e64 s[8:9], 1, v16
	v_add_co_u32_e32 v14, vcc, v12, v14
	v_addc_co_u32_e32 v15, vcc, v22, v15, vcc
	v_cmp_gt_i32_e32 vcc, s33, v24
	s_and_b64 s[42:43], s[10:11], vcc
	s_barrier
	s_and_saveexec_b64 s[30:31], s[42:43]
	s_cbranch_execz .LBB139_1051
; %bb.1048:                             ;   in Loop: Header=BB139_1040 Depth=1
	v_mov_b32_e32 v17, v3
	s_and_b64 vcc, exec, s[8:9]
	v_mov_b32_e32 v16, v2
	s_cbranch_vccnz .LBB139_1050
; %bb.1049:                             ;   in Loop: Header=BB139_1040 Depth=1
	flat_load_dwordx2 v[16:17], v[14:15]
.LBB139_1050:                           ;   in Loop: Header=BB139_1040 Depth=1
	ds_read_b64 v[25:26], v21
	s_waitcnt vmcnt(0) lgkmcnt(0)
	v_fma_f64 v[10:11], v[16:17], v[25:26], v[10:11]
.LBB139_1051:                           ;   in Loop: Header=BB139_1040 Depth=1
	s_or_b64 exec, exec, s[30:31]
	v_add_u32_e32 v16, 16, v24
	v_cmp_gt_i32_e32 vcc, s33, v16
	s_and_b64 s[42:43], s[10:11], vcc
	s_and_saveexec_b64 s[30:31], s[42:43]
	s_cbranch_execz .LBB139_1055
; %bb.1052:                             ;   in Loop: Header=BB139_1040 Depth=1
	v_mov_b32_e32 v17, v5
	s_and_b64 vcc, exec, s[8:9]
	v_mov_b32_e32 v16, v4
	s_cbranch_vccnz .LBB139_1054
; %bb.1053:                             ;   in Loop: Header=BB139_1040 Depth=1
	v_mov_b32_e32 v17, s21
	v_add_co_u32_e32 v16, vcc, s20, v14
	v_addc_co_u32_e32 v17, vcc, v15, v17, vcc
	flat_load_dwordx2 v[16:17], v[16:17]
.LBB139_1054:                           ;   in Loop: Header=BB139_1040 Depth=1
	ds_read_b64 v[25:26], v21 offset:128
	s_waitcnt vmcnt(0) lgkmcnt(0)
	v_fma_f64 v[10:11], v[16:17], v[25:26], v[10:11]
.LBB139_1055:                           ;   in Loop: Header=BB139_1040 Depth=1
	s_or_b64 exec, exec, s[30:31]
	v_add_u32_e32 v16, 32, v24
	v_cmp_gt_i32_e32 vcc, s33, v16
	s_and_b64 s[42:43], s[10:11], vcc
	s_and_saveexec_b64 s[30:31], s[42:43]
	s_cbranch_execz .LBB139_1059
; %bb.1056:                             ;   in Loop: Header=BB139_1040 Depth=1
	v_mov_b32_e32 v17, v9
	s_and_b64 vcc, exec, s[8:9]
	v_mov_b32_e32 v16, v8
	s_cbranch_vccnz .LBB139_1058
; %bb.1057:                             ;   in Loop: Header=BB139_1040 Depth=1
	v_mov_b32_e32 v17, s25
	v_add_co_u32_e32 v16, vcc, s24, v14
	v_addc_co_u32_e32 v17, vcc, v15, v17, vcc
	flat_load_dwordx2 v[16:17], v[16:17]
.LBB139_1058:                           ;   in Loop: Header=BB139_1040 Depth=1
	ds_read_b64 v[25:26], v21 offset:256
	s_waitcnt vmcnt(0) lgkmcnt(0)
	v_fma_f64 v[10:11], v[16:17], v[25:26], v[10:11]
.LBB139_1059:                           ;   in Loop: Header=BB139_1040 Depth=1
	s_or_b64 exec, exec, s[30:31]
	v_add_u32_e32 v16, 48, v24
	v_cmp_gt_i32_e32 vcc, s33, v16
	s_and_b64 s[42:43], s[10:11], vcc
	s_and_saveexec_b64 s[30:31], s[42:43]
	s_cbranch_execz .LBB139_1039
; %bb.1060:                             ;   in Loop: Header=BB139_1040 Depth=1
	v_mov_b32_e32 v17, v7
	s_and_b64 vcc, exec, s[8:9]
	v_mov_b32_e32 v16, v6
	s_cbranch_vccnz .LBB139_1038
; %bb.1061:                             ;   in Loop: Header=BB139_1040 Depth=1
	v_mov_b32_e32 v16, s40
	v_add_co_u32_e32 v14, vcc, s41, v14
	v_addc_co_u32_e32 v15, vcc, v15, v16, vcc
	flat_load_dwordx2 v[16:17], v[14:15]
	s_branch .LBB139_1038
.LBB139_1062:
	v_lshl_add_u32 v2, v1, 6, v0
	s_xor_b64 s[2:3], s[22:23], -1
	s_xor_b64 s[4:5], s[34:35], -1
	v_lshlrev_b32_e32 v4, 3, v2
	ds_write_b64 v4, v[10:11] offset:32768
	s_waitcnt lgkmcnt(0)
	s_barrier
	s_and_saveexec_b64 s[8:9], s[0:1]
	s_cbranch_execz .LBB139_1064
; %bb.1063:
	v_lshlrev_b32_e32 v15, 3, v0
	ds_read2st64_b64 v[5:8], v15 offset0:65 offset1:66
	ds_read_b64 v[2:3], v15 offset:40448
	s_waitcnt lgkmcnt(1)
	v_add_f64 v[5:6], v[10:11], v[5:6]
	v_add_f64 v[13:14], v[5:6], v[7:8]
	ds_read2st64_b64 v[5:8], v15 offset0:67 offset1:68
	ds_read2st64_b64 v[9:12], v15 offset0:69 offset1:70
	s_waitcnt lgkmcnt(1)
	v_add_f64 v[5:6], v[13:14], v[5:6]
	v_add_f64 v[5:6], v[5:6], v[7:8]
	s_waitcnt lgkmcnt(0)
	v_add_f64 v[5:6], v[5:6], v[9:10]
	v_add_f64 v[13:14], v[5:6], v[11:12]
	ds_read2st64_b64 v[5:8], v15 offset0:71 offset1:72
	ds_read2st64_b64 v[9:12], v15 offset0:73 offset1:74
	s_waitcnt lgkmcnt(1)
	v_add_f64 v[5:6], v[13:14], v[5:6]
	v_add_f64 v[5:6], v[5:6], v[7:8]
	s_waitcnt lgkmcnt(0)
	v_add_f64 v[5:6], v[5:6], v[9:10]
	v_add_f64 v[13:14], v[5:6], v[11:12]
	ds_read2st64_b64 v[5:8], v15 offset0:75 offset1:76
	ds_read2st64_b64 v[9:12], v15 offset0:77 offset1:78
	s_waitcnt lgkmcnt(1)
	v_add_f64 v[5:6], v[13:14], v[5:6]
	v_add_f64 v[5:6], v[5:6], v[7:8]
	s_waitcnt lgkmcnt(0)
	v_add_f64 v[5:6], v[5:6], v[9:10]
	v_add_f64 v[5:6], v[5:6], v[11:12]
	v_add_f64 v[2:3], v[5:6], v[2:3]
	v_xor_b32_e32 v3, 0x80000000, v3
	v_cndmask_b32_e64 v11, v3, 0, s[14:15]
	v_cndmask_b32_e64 v10, v2, 0, s[14:15]
.LBB139_1064:
	s_or_b64 exec, exec, s[8:9]
	s_andn2_b64 vcc, exec, s[4:5]
	s_cbranch_vccnz .LBB139_1078
; %bb.1065:
	v_mov_b32_e32 v2, 0xa000
	v_lshl_or_b32 v5, v1, 3, v2
	s_and_saveexec_b64 s[4:5], s[0:1]
; %bb.1066:
	v_lshl_add_u32 v2, v0, 3, v5
	ds_write_b64 v2, v[10:11]
; %bb.1067:
	s_or_b64 exec, exec, s[4:5]
	v_mov_b32_e32 v2, 0
	v_mov_b32_e32 v3, 0
	v_cmp_ge_u32_e32 vcc, v0, v1
	s_waitcnt lgkmcnt(0)
	s_barrier
	s_and_saveexec_b64 s[4:5], vcc
	s_cbranch_execz .LBB139_1069
; %bb.1068:
	ds_read_b64 v[2:3], v4
	ds_read_b64 v[6:7], v5
	s_waitcnt lgkmcnt(0)
	v_fma_f64 v[2:3], v[2:3], v[6:7], 0
.LBB139_1069:
	s_or_b64 exec, exec, s[4:5]
	v_add_u32_e32 v6, 16, v1
	v_cmp_ge_u32_e32 vcc, v0, v6
	s_and_saveexec_b64 s[4:5], vcc
	s_cbranch_execz .LBB139_1071
; %bb.1070:
	ds_read_b64 v[6:7], v4 offset:8192
	ds_read_b64 v[8:9], v5 offset:128
	s_waitcnt lgkmcnt(0)
	v_fma_f64 v[2:3], v[6:7], v[8:9], v[2:3]
.LBB139_1071:
	s_or_b64 exec, exec, s[4:5]
	v_add_u32_e32 v6, 32, v1
	v_cmp_ge_u32_e32 vcc, v0, v6
	s_and_saveexec_b64 s[4:5], vcc
	s_cbranch_execz .LBB139_1073
; %bb.1072:
	ds_read_b64 v[6:7], v4 offset:16384
	ds_read_b64 v[8:9], v5 offset:256
	s_waitcnt lgkmcnt(0)
	v_fma_f64 v[2:3], v[6:7], v[8:9], v[2:3]
.LBB139_1073:
	s_or_b64 exec, exec, s[4:5]
	v_add_u32_e32 v1, 48, v1
	v_add_u32_e32 v6, 0x8000, v4
	v_cmp_ge_u32_e32 vcc, v0, v1
	s_and_saveexec_b64 s[4:5], vcc
	s_cbranch_execz .LBB139_1075
; %bb.1074:
	ds_read_b64 v[7:8], v4 offset:24576
	ds_read_b64 v[4:5], v5 offset:384
	s_waitcnt lgkmcnt(0)
	v_fma_f64 v[2:3], v[7:8], v[4:5], v[2:3]
.LBB139_1075:
	s_or_b64 exec, exec, s[4:5]
	s_mov_b64 s[8:9], 0
	s_mov_b64 s[4:5], 0
	ds_write_b64 v6, v[2:3]
	s_waitcnt lgkmcnt(0)
	s_barrier
                                        ; implicit-def: $vgpr6_vgpr7
                                        ; implicit-def: $vgpr4_vgpr5
	s_and_saveexec_b64 s[10:11], s[0:1]
	s_cbranch_execz .LBB139_1099
; %bb.1076:
	v_lshlrev_b32_e32 v9, 3, v0
	ds_read2st64_b64 v[4:7], v9 offset0:65 offset1:66
	ds_read_b64 v[12:13], v9 offset:40448
	s_mov_b64 s[4:5], exec
	s_waitcnt lgkmcnt(1)
	v_add_f64 v[1:2], v[2:3], v[4:5]
	v_add_f64 v[14:15], v[6:7], v[1:2]
	ds_read2st64_b64 v[1:4], v9 offset0:67 offset1:68
	ds_read2st64_b64 v[5:8], v9 offset0:69 offset1:70
	s_waitcnt lgkmcnt(1)
	v_add_f64 v[1:2], v[1:2], v[14:15]
	v_add_f64 v[1:2], v[3:4], v[1:2]
	s_waitcnt lgkmcnt(0)
	v_add_f64 v[1:2], v[5:6], v[1:2]
	v_add_f64 v[14:15], v[7:8], v[1:2]
	ds_read2st64_b64 v[1:4], v9 offset0:71 offset1:72
	ds_read2st64_b64 v[5:8], v9 offset0:73 offset1:74
	s_waitcnt lgkmcnt(1)
	v_add_f64 v[1:2], v[1:2], v[14:15]
	v_add_f64 v[1:2], v[3:4], v[1:2]
	;; [unrolled: 8-line block ×3, first 2 shown]
	v_lshl_add_u32 v3, s6, 6, v19
	s_waitcnt lgkmcnt(0)
	v_add_f64 v[1:2], v[5:6], v[1:2]
	v_mad_u64_u32 v[4:5], s[14:15], s26, v3, 0
	v_add_f64 v[1:2], v[7:8], v[1:2]
	v_add_f64 v[6:7], v[12:13], v[1:2]
	v_mov_b32_e32 v1, v5
	v_mad_u64_u32 v[1:2], s[14:15], s27, v3, v[1:2]
	v_mov_b32_e32 v5, v1
	s_or_b64 exec, exec, s[10:11]
	s_and_b64 vcc, exec, s[8:9]
	s_cbranch_vccnz .LBB139_1079
	s_branch .LBB139_1100
.LBB139_1077:
	v_mad_u64_u32 v[12:13], s[0:1], s28, v14, 0
	s_or_b64 s[8:9], s[8:9], exec
	v_mad_u64_u32 v[13:14], s[0:1], s29, v14, v[13:14]
	v_lshlrev_b64 v[12:13], 3, v[12:13]
	v_add_co_u32_e32 v10, vcc, v10, v12
	v_addc_co_u32_e32 v11, vcc, v11, v13, vcc
	flat_load_dwordx2 v[12:13], v[10:11]
	s_waitcnt vmcnt(0) lgkmcnt(0)
	v_xor_b32_e32 v13, 0x80000000, v13
	s_or_b64 exec, exec, s[2:3]
	s_and_saveexec_b64 s[0:1], s[8:9]
	s_cbranch_execnz .LBB139_57
	s_branch .LBB139_58
.LBB139_1078:
	s_mov_b64 s[4:5], 0
                                        ; implicit-def: $vgpr6_vgpr7
                                        ; implicit-def: $vgpr4_vgpr5
	s_cbranch_execz .LBB139_1100
.LBB139_1079:
	s_mov_b32 s10, 0
	v_mov_b32_e32 v1, 0
	v_mov_b32_e32 v2, v0
	s_branch .LBB139_1081
.LBB139_1080:                           ;   in Loop: Header=BB139_1081 Depth=1
	s_or_b64 exec, exec, s[8:9]
	s_add_i32 s10, s10, 4
	v_add_u32_e32 v18, 0x800, v18
	s_cmp_lg_u32 s10, 64
	v_add_u32_e32 v2, -4, v2
	s_barrier
	s_cbranch_scc0 .LBB139_1097
.LBB139_1081:                           ; =>This Inner Loop Header: Depth=1
	v_cmp_eq_u32_e32 vcc, 0, v2
	s_and_b64 s[14:15], s[0:1], vcc
	s_and_saveexec_b64 s[8:9], s[14:15]
; %bb.1082:                             ;   in Loop: Header=BB139_1081 Depth=1
	ds_write_b64 v1, v[10:11] offset:41472
; %bb.1083:                             ;   in Loop: Header=BB139_1081 Depth=1
	s_or_b64 exec, exec, s[8:9]
	v_cmp_lt_u32_e32 vcc, s10, v0
	s_and_b64 s[14:15], s[0:1], vcc
	s_waitcnt lgkmcnt(0)
	s_barrier
	s_and_saveexec_b64 s[8:9], s[14:15]
	s_cbranch_execz .LBB139_1085
; %bb.1084:                             ;   in Loop: Header=BB139_1081 Depth=1
	ds_read_b64 v[3:4], v18
	ds_read_b64 v[5:6], v1 offset:41472
	s_waitcnt lgkmcnt(0)
	v_fma_f64 v[10:11], v[3:4], v[5:6], v[10:11]
.LBB139_1085:                           ;   in Loop: Header=BB139_1081 Depth=1
	s_or_b64 exec, exec, s[8:9]
	s_or_b32 s11, s10, 1
	v_cmp_eq_u32_e32 vcc, s11, v0
	s_and_b64 s[14:15], s[0:1], vcc
	s_barrier
	s_and_saveexec_b64 s[8:9], s[14:15]
; %bb.1086:                             ;   in Loop: Header=BB139_1081 Depth=1
	ds_write_b64 v1, v[10:11] offset:41472
; %bb.1087:                             ;   in Loop: Header=BB139_1081 Depth=1
	s_or_b64 exec, exec, s[8:9]
	v_cmp_lt_u32_e32 vcc, s11, v0
	s_and_b64 s[14:15], s[0:1], vcc
	s_waitcnt lgkmcnt(0)
	s_barrier
	s_and_saveexec_b64 s[8:9], s[14:15]
	s_cbranch_execz .LBB139_1089
; %bb.1088:                             ;   in Loop: Header=BB139_1081 Depth=1
	ds_read_b64 v[3:4], v18 offset:512
	ds_read_b64 v[5:6], v1 offset:41472
	s_waitcnt lgkmcnt(0)
	v_fma_f64 v[10:11], v[3:4], v[5:6], v[10:11]
.LBB139_1089:                           ;   in Loop: Header=BB139_1081 Depth=1
	s_or_b64 exec, exec, s[8:9]
	s_or_b32 s11, s10, 2
	v_cmp_eq_u32_e32 vcc, s11, v0
	s_and_b64 s[14:15], s[0:1], vcc
	s_barrier
	s_and_saveexec_b64 s[8:9], s[14:15]
; %bb.1090:                             ;   in Loop: Header=BB139_1081 Depth=1
	ds_write_b64 v1, v[10:11] offset:41472
; %bb.1091:                             ;   in Loop: Header=BB139_1081 Depth=1
	s_or_b64 exec, exec, s[8:9]
	v_cmp_lt_u32_e32 vcc, s11, v0
	s_and_b64 s[14:15], s[0:1], vcc
	s_waitcnt lgkmcnt(0)
	s_barrier
	s_and_saveexec_b64 s[8:9], s[14:15]
	s_cbranch_execz .LBB139_1093
; %bb.1092:                             ;   in Loop: Header=BB139_1081 Depth=1
	ds_read_b64 v[3:4], v18 offset:1024
	ds_read_b64 v[5:6], v1 offset:41472
	s_waitcnt lgkmcnt(0)
	v_fma_f64 v[10:11], v[3:4], v[5:6], v[10:11]
.LBB139_1093:                           ;   in Loop: Header=BB139_1081 Depth=1
	s_or_b64 exec, exec, s[8:9]
	s_or_b32 s11, s10, 3
	v_cmp_eq_u32_e32 vcc, s11, v0
	s_and_b64 s[14:15], s[0:1], vcc
	s_barrier
	s_and_saveexec_b64 s[8:9], s[14:15]
; %bb.1094:                             ;   in Loop: Header=BB139_1081 Depth=1
	ds_write_b64 v1, v[10:11] offset:41472
; %bb.1095:                             ;   in Loop: Header=BB139_1081 Depth=1
	s_or_b64 exec, exec, s[8:9]
	v_cmp_lt_u32_e32 vcc, s11, v0
	s_and_b64 s[14:15], s[0:1], vcc
	s_waitcnt lgkmcnt(0)
	s_barrier
	s_and_saveexec_b64 s[8:9], s[14:15]
	s_cbranch_execz .LBB139_1080
; %bb.1096:                             ;   in Loop: Header=BB139_1081 Depth=1
	ds_read_b64 v[3:4], v18 offset:1536
	ds_read_b64 v[5:6], v1 offset:41472
	s_waitcnt lgkmcnt(0)
	v_fma_f64 v[10:11], v[3:4], v[5:6], v[10:11]
	s_branch .LBB139_1080
.LBB139_1097:
	s_and_b64 vcc, exec, s[2:3]
	s_cbranch_vccz .LBB139_1101
; %bb.1098:
	s_and_b64 s[2:3], s[0:1], exec
	s_cbranch_execz .LBB139_1102
	s_branch .LBB139_1103
.LBB139_1099:
	s_or_b64 exec, exec, s[10:11]
	s_and_b64 vcc, exec, s[8:9]
	s_cbranch_vccnz .LBB139_1079
.LBB139_1100:
	v_mov_b32_e32 v11, v7
	v_mov_b32_e32 v10, v6
	s_and_saveexec_b64 s[0:1], s[4:5]
	s_cbranch_execnz .LBB139_1106
	s_branch .LBB139_1107
.LBB139_1101:
	s_mov_b64 s[2:3], 0
.LBB139_1102:
	v_cmp_gt_i32_e32 vcc, s7, v0
	s_and_b64 s[0:1], s[0:1], vcc
	s_andn2_b64 s[2:3], s[2:3], exec
	s_and_b64 s[0:1], s[0:1], exec
	s_or_b64 s[2:3], s[2:3], s[0:1]
.LBB139_1103:
                                        ; implicit-def: $vgpr4_vgpr5
	s_and_saveexec_b64 s[0:1], s[2:3]
	s_cbranch_execz .LBB139_1105
; %bb.1104:
	s_lshl_b32 s2, s6, 6
	s_ashr_i32 s3, s2, 31
	v_mov_b32_e32 v0, s3
	v_add_co_u32_e32 v1, vcc, s2, v19
	v_addc_co_u32_e32 v0, vcc, 0, v0, vcc
	v_mul_lo_u32 v0, v0, s26
	v_mul_lo_u32 v2, v1, s27
	v_mad_u64_u32 v[4:5], s[2:3], v1, s26, 0
	s_or_b64 s[4:5], s[4:5], exec
	v_add3_u32 v5, v5, v2, v0
.LBB139_1105:
	s_or_b64 exec, exec, s[0:1]
	s_and_saveexec_b64 s[0:1], s[4:5]
	s_cbranch_execz .LBB139_1107
.LBB139_1106:
	v_lshlrev_b64 v[0:1], 3, v[4:5]
	v_mov_b32_e32 v2, s37
	v_add_co_u32_e32 v0, vcc, s36, v0
	v_addc_co_u32_e32 v1, vcc, v2, v1, vcc
	flat_store_dwordx2 v[0:1], v[10:11]
.LBB139_1107:
	s_or_b64 exec, exec, s[0:1]
	v_cmp_eq_u32_e32 vcc, 0, v19
	s_waitcnt vmcnt(0) lgkmcnt(0)
	buffer_wbinvl1_vol
	s_barrier
	s_and_saveexec_b64 s[0:1], vcc
	s_cbranch_execz .LBB139_1109
; %bb.1108:
	s_lshl_b64 s[2:3], s[18:19], 2
	s_add_u32 s2, s12, s2
	s_addc_u32 s3, s13, s3
	v_mov_b32_e32 v0, 0
	global_load_dword v1, v0, s[2:3]
	s_waitcnt vmcnt(0)
	v_add_u32_e32 v1, 1, v1
	global_store_dword v0, v1, s[2:3]
.LBB139_1109:
	s_or_b64 exec, exec, s[0:1]
	s_waitcnt vmcnt(0)
	buffer_wbinvl1_vol
	s_endpgm
.LBB139_1110:
	v_lshlrev_b32_e32 v22, 3, v21
	v_sub_u32_e32 v22, v19, v22
	v_lshl_add_u32 v22, v20, 3, v22
	ds_read_b64 v[22:23], v22 offset:544
	ds_read_b64 v[24:25], v19 offset:8
	s_waitcnt lgkmcnt(0)
	v_fma_f64 v[10:11], v[22:23], v[24:25], v[10:11]
	s_or_b64 exec, exec, s[14:15]
	v_cmp_gt_u32_e64 s[10:11], 8, v14
	s_and_saveexec_b64 s[14:15], s[10:11]
	s_cbranch_execz .LBB139_78
.LBB139_1111:
	ds_read_b64 v[22:23], v16 offset:1056
	ds_read_b64 v[24:25], v19 offset:16
	s_waitcnt lgkmcnt(0)
	v_fma_f64 v[10:11], v[22:23], v[24:25], v[10:11]
	s_or_b64 exec, exec, s[14:15]
	v_cmp_gt_u32_e64 s[10:11], 4, v14
	s_and_saveexec_b64 s[14:15], s[10:11]
	s_cbranch_execnz .LBB139_79
	s_branch .LBB139_80
.LBB139_1112:
	v_lshlrev_b32_e32 v27, 3, v26
	v_sub_u32_e32 v27, v24, v27
	v_lshl_add_u32 v27, v25, 3, v27
	ds_read_b64 v[27:28], v27 offset:576
	ds_read_b64 v[29:30], v24 offset:8
	s_waitcnt lgkmcnt(0)
	v_fma_f64 v[10:11], v[27:28], v[29:30], v[10:11]
	s_or_b64 exec, exec, s[16:17]
	v_cmp_gt_u32_e64 s[10:11], 48, v14
	s_and_saveexec_b64 s[16:17], s[10:11]
	s_cbranch_execz .LBB139_116
.LBB139_1113:
	v_lshlrev_b32_e32 v27, 3, v26
	v_sub_u32_e32 v27, v24, v27
	v_lshl_add_u32 v27, v25, 3, v27
	ds_read_b64 v[27:28], v27 offset:1088
	ds_read_b64 v[29:30], v24 offset:16
	s_waitcnt lgkmcnt(0)
	v_fma_f64 v[10:11], v[27:28], v[29:30], v[10:11]
	s_or_b64 exec, exec, s[16:17]
	v_cmp_gt_u32_e64 s[10:11], 40, v14
	s_and_saveexec_b64 s[16:17], s[10:11]
	s_cbranch_execz .LBB139_117
.LBB139_1114:
	v_lshlrev_b32_e32 v27, 3, v26
	v_sub_u32_e32 v27, v24, v27
	v_lshl_add_u32 v27, v25, 3, v27
	ds_read_b64 v[27:28], v27 offset:1600
	ds_read_b64 v[29:30], v24 offset:24
	s_waitcnt lgkmcnt(0)
	v_fma_f64 v[10:11], v[27:28], v[29:30], v[10:11]
	s_or_b64 exec, exec, s[16:17]
	v_cmp_gt_u32_e64 s[10:11], 32, v14
	s_and_saveexec_b64 s[16:17], s[10:11]
	s_cbranch_execz .LBB139_118
.LBB139_1115:
	ds_read_b64 v[27:28], v22 offset:2112
	ds_read_b64 v[29:30], v24 offset:32
	s_waitcnt lgkmcnt(0)
	v_fma_f64 v[10:11], v[27:28], v[29:30], v[10:11]
	s_or_b64 exec, exec, s[16:17]
	v_cmp_gt_u32_e64 s[10:11], 24, v14
	s_and_saveexec_b64 s[16:17], s[10:11]
	s_cbranch_execz .LBB139_119
.LBB139_1116:
	v_lshlrev_b32_e32 v27, 3, v26
	v_sub_u32_e32 v27, v24, v27
	v_lshl_add_u32 v27, v25, 3, v27
	ds_read_b64 v[27:28], v27 offset:2624
	ds_read_b64 v[29:30], v24 offset:40
	s_waitcnt lgkmcnt(0)
	v_fma_f64 v[10:11], v[27:28], v[29:30], v[10:11]
	s_or_b64 exec, exec, s[16:17]
	v_cmp_gt_u32_e64 s[10:11], 16, v14
	s_and_saveexec_b64 s[16:17], s[10:11]
	s_cbranch_execz .LBB139_120
.LBB139_1117:
	ds_read_b64 v[27:28], v22 offset:3136
	ds_read_b64 v[29:30], v24 offset:48
	s_waitcnt lgkmcnt(0)
	v_fma_f64 v[10:11], v[27:28], v[29:30], v[10:11]
	s_or_b64 exec, exec, s[16:17]
	v_cmp_gt_u32_e64 s[10:11], 8, v14
	s_and_saveexec_b64 s[16:17], s[10:11]
	s_cbranch_execnz .LBB139_121
	s_branch .LBB139_122
.LBB139_1118:
	v_lshlrev_b32_e32 v28, 3, v21
	v_sub_u32_e32 v28, v27, v28
	v_lshl_add_u32 v28, v20, 3, v28
	ds_read_b64 v[28:29], v28 offset:4704
	ds_read_b64 v[30:31], v27 offset:4168
	s_waitcnt lgkmcnt(0)
	v_fma_f64 v[10:11], v[28:29], v[30:31], v[10:11]
	s_or_b64 exec, exec, s[12:13]
	v_cmp_gt_u32_e64 s[8:9], 8, v14
	s_and_saveexec_b64 s[12:13], s[8:9]
	s_cbranch_execz .LBB139_174
.LBB139_1119:
	ds_read_b64 v[28:29], v16 offset:5216
	ds_read_b64 v[30:31], v27 offset:4176
	s_waitcnt lgkmcnt(0)
	v_fma_f64 v[10:11], v[28:29], v[30:31], v[10:11]
	s_or_b64 exec, exec, s[12:13]
	v_cmp_gt_u32_e64 s[8:9], 4, v14
	s_and_saveexec_b64 s[12:13], s[8:9]
	s_cbranch_execnz .LBB139_175
	s_branch .LBB139_176
.LBB139_1120:
	v_lshlrev_b32_e32 v32, 3, v28
	v_lshl_add_u32 v32, v30, 3, v32
	ds_read_b64 v[32:33], v32 offset:5760
	ds_read_b64 v[34:35], v29 offset:88
	s_waitcnt lgkmcnt(0)
	v_fma_f64 v[10:11], v[32:33], v[34:35], v[10:11]
	s_or_b64 exec, exec, s[80:81]
	v_cmp_gt_u32_e64 s[12:13], 64, v14
	s_and_saveexec_b64 s[80:81], s[12:13]
	s_cbranch_execz .LBB139_232
.LBB139_1121:
	ds_read_b64 v[32:33], v27 offset:6272
	ds_read_b64 v[34:35], v29 offset:96
	s_waitcnt lgkmcnt(0)
	v_fma_f64 v[10:11], v[32:33], v[34:35], v[10:11]
	s_or_b64 exec, exec, s[80:81]
	v_cmp_gt_u32_e64 s[12:13], 48, v14
	s_and_saveexec_b64 s[80:81], s[12:13]
	s_cbranch_execz .LBB139_233
.LBB139_1122:
	v_lshlrev_b32_e32 v32, 3, v28
	v_lshl_add_u32 v32, v30, 3, v32
	ds_read_b64 v[32:33], v32 offset:6784
	ds_read_b64 v[34:35], v29 offset:104
	s_waitcnt lgkmcnt(0)
	v_fma_f64 v[10:11], v[32:33], v[34:35], v[10:11]
	s_or_b64 exec, exec, s[80:81]
	v_cmp_gt_u32_e64 s[12:13], 32, v14
	s_and_saveexec_b64 s[80:81], s[12:13]
	s_cbranch_execz .LBB139_234
.LBB139_1123:
	ds_read_b64 v[32:33], v27 offset:7296
	ds_read_b64 v[34:35], v29 offset:112
	s_waitcnt lgkmcnt(0)
	v_fma_f64 v[10:11], v[32:33], v[34:35], v[10:11]
	s_or_b64 exec, exec, s[80:81]
	v_cmp_gt_u32_e64 s[12:13], 16, v14
	s_and_saveexec_b64 s[80:81], s[12:13]
	s_cbranch_execnz .LBB139_235
	s_branch .LBB139_236
.LBB139_1124:
	v_lshlrev_b32_e32 v33, 3, v21
	v_sub_u32_e32 v33, v32, v33
	v_lshl_add_u32 v33, v20, 3, v33
	ds_read_b64 v[33:34], v33 offset:8864
	ds_read_b64 v[35:36], v32 offset:8328
	s_waitcnt lgkmcnt(0)
	v_fma_f64 v[10:11], v[33:34], v[35:36], v[10:11]
	s_or_b64 exec, exec, s[16:17]
	v_cmp_gt_u32_e64 s[10:11], 8, v14
	s_and_saveexec_b64 s[16:17], s[10:11]
	s_cbranch_execz .LBB139_320
.LBB139_1125:
	ds_read_b64 v[33:34], v16 offset:9376
	ds_read_b64 v[35:36], v32 offset:8336
	s_waitcnt lgkmcnt(0)
	v_fma_f64 v[10:11], v[33:34], v[35:36], v[10:11]
	s_or_b64 exec, exec, s[16:17]
	v_cmp_gt_u32_e64 s[10:11], 4, v14
	s_and_saveexec_b64 s[16:17], s[10:11]
	s_cbranch_execnz .LBB139_321
	s_branch .LBB139_322
.LBB139_1126:
	v_lshlrev_b32_e32 v33, 3, v26
	v_sub_u32_e32 v33, v32, v33
	v_lshl_add_u32 v33, v25, 3, v33
	ds_read_b64 v[33:34], v33 offset:8896
	ds_read_b64 v[35:36], v32 offset:8328
	s_waitcnt lgkmcnt(0)
	v_fma_f64 v[10:11], v[33:34], v[35:36], v[10:11]
	s_or_b64 exec, exec, s[16:17]
	v_cmp_gt_u32_e64 s[10:11], 48, v14
	s_and_saveexec_b64 s[16:17], s[10:11]
	s_cbranch_execz .LBB139_358
.LBB139_1127:
	v_lshlrev_b32_e32 v33, 3, v26
	v_sub_u32_e32 v33, v32, v33
	v_lshl_add_u32 v33, v25, 3, v33
	ds_read_b64 v[33:34], v33 offset:9408
	ds_read_b64 v[35:36], v32 offset:8336
	s_waitcnt lgkmcnt(0)
	v_fma_f64 v[10:11], v[33:34], v[35:36], v[10:11]
	s_or_b64 exec, exec, s[16:17]
	v_cmp_gt_u32_e64 s[10:11], 40, v14
	s_and_saveexec_b64 s[16:17], s[10:11]
	s_cbranch_execz .LBB139_359
.LBB139_1128:
	v_lshlrev_b32_e32 v33, 3, v26
	v_sub_u32_e32 v33, v32, v33
	v_lshl_add_u32 v33, v25, 3, v33
	ds_read_b64 v[33:34], v33 offset:9920
	ds_read_b64 v[35:36], v32 offset:8344
	s_waitcnt lgkmcnt(0)
	v_fma_f64 v[10:11], v[33:34], v[35:36], v[10:11]
	s_or_b64 exec, exec, s[16:17]
	v_cmp_gt_u32_e64 s[10:11], 32, v14
	s_and_saveexec_b64 s[16:17], s[10:11]
	s_cbranch_execz .LBB139_360
.LBB139_1129:
	ds_read_b64 v[33:34], v22 offset:10432
	ds_read_b64 v[35:36], v32 offset:8352
	s_waitcnt lgkmcnt(0)
	v_fma_f64 v[10:11], v[33:34], v[35:36], v[10:11]
	s_or_b64 exec, exec, s[16:17]
	v_cmp_gt_u32_e64 s[10:11], 24, v14
	s_and_saveexec_b64 s[16:17], s[10:11]
	s_cbranch_execz .LBB139_361
.LBB139_1130:
	v_lshlrev_b32_e32 v33, 3, v26
	v_sub_u32_e32 v33, v32, v33
	v_lshl_add_u32 v33, v25, 3, v33
	ds_read_b64 v[33:34], v33 offset:10944
	ds_read_b64 v[35:36], v32 offset:8360
	s_waitcnt lgkmcnt(0)
	v_fma_f64 v[10:11], v[33:34], v[35:36], v[10:11]
	s_or_b64 exec, exec, s[16:17]
	v_cmp_gt_u32_e64 s[10:11], 16, v14
	s_and_saveexec_b64 s[16:17], s[10:11]
	s_cbranch_execz .LBB139_362
.LBB139_1131:
	ds_read_b64 v[33:34], v22 offset:11456
	ds_read_b64 v[35:36], v32 offset:8368
	s_waitcnt lgkmcnt(0)
	v_fma_f64 v[10:11], v[33:34], v[35:36], v[10:11]
	s_or_b64 exec, exec, s[16:17]
	v_cmp_gt_u32_e64 s[10:11], 8, v14
	s_and_saveexec_b64 s[16:17], s[10:11]
	s_cbranch_execnz .LBB139_363
	s_branch .LBB139_364
.LBB139_1132:
	v_lshlrev_b32_e32 v33, 3, v21
	v_sub_u32_e32 v33, v32, v33
	v_lshl_add_u32 v33, v20, 3, v33
	ds_read_b64 v[33:34], v33 offset:13024
	ds_read_b64 v[35:36], v32 offset:12488
	s_waitcnt lgkmcnt(0)
	v_fma_f64 v[10:11], v[33:34], v[35:36], v[10:11]
	s_or_b64 exec, exec, s[16:17]
	v_cmp_gt_u32_e64 s[10:11], 8, v14
	s_and_saveexec_b64 s[16:17], s[10:11]
	s_cbranch_execz .LBB139_416
.LBB139_1133:
	ds_read_b64 v[33:34], v16 offset:13536
	ds_read_b64 v[35:36], v32 offset:12496
	s_waitcnt lgkmcnt(0)
	v_fma_f64 v[10:11], v[33:34], v[35:36], v[10:11]
	s_or_b64 exec, exec, s[16:17]
	v_cmp_gt_u32_e64 s[10:11], 4, v14
	s_and_saveexec_b64 s[16:17], s[10:11]
	s_cbranch_execnz .LBB139_417
	s_branch .LBB139_418
.LBB139_1134:
	ds_read_b64 v[37:38], v32 offset:15104
	ds_read_b64 v[39:40], v36 offset:232
	s_waitcnt lgkmcnt(0)
	v_fma_f64 v[10:11], v[37:38], v[39:40], v[10:11]
	s_or_b64 exec, exec, s[80:81]
	v_cmp_gt_u32_e64 s[16:17], 64, v14
	s_and_saveexec_b64 s[80:81], s[16:17]
	s_cbranch_execz .LBB139_510
.LBB139_1135:
	ds_read_b64 v[37:38], v32 offset:15616
	ds_read_b64 v[39:40], v36 offset:240
	s_waitcnt lgkmcnt(0)
	v_fma_f64 v[10:11], v[37:38], v[39:40], v[10:11]
	s_or_b64 exec, exec, s[80:81]
	v_cmp_gt_u32_e64 s[16:17], 32, v14
	s_and_saveexec_b64 s[80:81], s[16:17]
	s_cbranch_execnz .LBB139_511
	s_branch .LBB139_512
.LBB139_1136:
	v_lshlrev_b32_e32 v33, 3, v21
	v_sub_u32_e32 v33, v32, v33
	v_lshl_add_u32 v33, v20, 3, v33
	ds_read_b64 v[33:34], v33 offset:17184
	ds_read_b64 v[35:36], v32 offset:16648
	s_waitcnt lgkmcnt(0)
	v_fma_f64 v[10:11], v[33:34], v[35:36], v[10:11]
	s_or_b64 exec, exec, s[16:17]
	v_cmp_gt_u32_e64 s[10:11], 8, v14
	s_and_saveexec_b64 s[16:17], s[10:11]
	s_cbranch_execz .LBB139_660
.LBB139_1137:
	ds_read_b64 v[33:34], v16 offset:17696
	ds_read_b64 v[35:36], v32 offset:16656
	s_waitcnt lgkmcnt(0)
	v_fma_f64 v[10:11], v[33:34], v[35:36], v[10:11]
	s_or_b64 exec, exec, s[16:17]
	v_cmp_gt_u32_e64 s[10:11], 4, v14
	s_and_saveexec_b64 s[16:17], s[10:11]
	s_cbranch_execnz .LBB139_661
	s_branch .LBB139_662
.LBB139_1138:
	v_lshlrev_b32_e32 v33, 3, v26
	v_sub_u32_e32 v33, v32, v33
	v_lshl_add_u32 v33, v25, 3, v33
	ds_read_b64 v[33:34], v33 offset:17216
	ds_read_b64 v[35:36], v32 offset:16648
	s_waitcnt lgkmcnt(0)
	v_fma_f64 v[10:11], v[33:34], v[35:36], v[10:11]
	s_or_b64 exec, exec, s[16:17]
	v_cmp_gt_u32_e64 s[10:11], 48, v14
	s_and_saveexec_b64 s[16:17], s[10:11]
	s_cbranch_execz .LBB139_698
.LBB139_1139:
	v_lshlrev_b32_e32 v33, 3, v26
	v_sub_u32_e32 v33, v32, v33
	v_lshl_add_u32 v33, v25, 3, v33
	ds_read_b64 v[33:34], v33 offset:17728
	ds_read_b64 v[35:36], v32 offset:16656
	s_waitcnt lgkmcnt(0)
	v_fma_f64 v[10:11], v[33:34], v[35:36], v[10:11]
	s_or_b64 exec, exec, s[16:17]
	v_cmp_gt_u32_e64 s[10:11], 40, v14
	s_and_saveexec_b64 s[16:17], s[10:11]
	s_cbranch_execz .LBB139_699
.LBB139_1140:
	v_lshlrev_b32_e32 v33, 3, v26
	v_sub_u32_e32 v33, v32, v33
	v_lshl_add_u32 v33, v25, 3, v33
	ds_read_b64 v[33:34], v33 offset:18240
	ds_read_b64 v[35:36], v32 offset:16664
	s_waitcnt lgkmcnt(0)
	v_fma_f64 v[10:11], v[33:34], v[35:36], v[10:11]
	s_or_b64 exec, exec, s[16:17]
	v_cmp_gt_u32_e64 s[10:11], 32, v14
	s_and_saveexec_b64 s[16:17], s[10:11]
	s_cbranch_execz .LBB139_700
.LBB139_1141:
	ds_read_b64 v[33:34], v22 offset:18752
	ds_read_b64 v[35:36], v32 offset:16672
	s_waitcnt lgkmcnt(0)
	v_fma_f64 v[10:11], v[33:34], v[35:36], v[10:11]
	s_or_b64 exec, exec, s[16:17]
	v_cmp_gt_u32_e64 s[10:11], 24, v14
	s_and_saveexec_b64 s[16:17], s[10:11]
	s_cbranch_execz .LBB139_701
.LBB139_1142:
	v_lshlrev_b32_e32 v33, 3, v26
	v_sub_u32_e32 v33, v32, v33
	v_lshl_add_u32 v33, v25, 3, v33
	ds_read_b64 v[33:34], v33 offset:19264
	ds_read_b64 v[35:36], v32 offset:16680
	s_waitcnt lgkmcnt(0)
	v_fma_f64 v[10:11], v[33:34], v[35:36], v[10:11]
	s_or_b64 exec, exec, s[16:17]
	v_cmp_gt_u32_e64 s[10:11], 16, v14
	s_and_saveexec_b64 s[16:17], s[10:11]
	s_cbranch_execz .LBB139_702
.LBB139_1143:
	ds_read_b64 v[33:34], v22 offset:19776
	ds_read_b64 v[35:36], v32 offset:16688
	s_waitcnt lgkmcnt(0)
	v_fma_f64 v[10:11], v[33:34], v[35:36], v[10:11]
	s_or_b64 exec, exec, s[16:17]
	v_cmp_gt_u32_e64 s[10:11], 8, v14
	s_and_saveexec_b64 s[16:17], s[10:11]
	s_cbranch_execnz .LBB139_703
	s_branch .LBB139_704
.LBB139_1144:
	v_lshlrev_b32_e32 v33, 3, v21
	v_sub_u32_e32 v33, v32, v33
	v_lshl_add_u32 v33, v20, 3, v33
	ds_read_b64 v[33:34], v33 offset:21344
	ds_read_b64 v[35:36], v32 offset:20808
	s_waitcnt lgkmcnt(0)
	v_fma_f64 v[10:11], v[33:34], v[35:36], v[10:11]
	s_or_b64 exec, exec, s[16:17]
	v_cmp_gt_u32_e64 s[10:11], 8, v14
	s_and_saveexec_b64 s[16:17], s[10:11]
	s_cbranch_execz .LBB139_756
.LBB139_1145:
	ds_read_b64 v[33:34], v16 offset:21856
	ds_read_b64 v[35:36], v32 offset:20816
	s_waitcnt lgkmcnt(0)
	v_fma_f64 v[10:11], v[33:34], v[35:36], v[10:11]
	s_or_b64 exec, exec, s[16:17]
	v_cmp_gt_u32_e64 s[10:11], 4, v14
	s_and_saveexec_b64 s[16:17], s[10:11]
	s_cbranch_execnz .LBB139_757
	s_branch .LBB139_758
.LBB139_1146:
	v_lshlrev_b32_e32 v31, 3, v28
	v_lshl_add_u32 v31, v30, 3, v31
	ds_read_b64 v[33:34], v31 offset:22400
	ds_read_b64 v[35:36], v32 offset:16728
	s_waitcnt lgkmcnt(0)
	v_fma_f64 v[10:11], v[33:34], v[35:36], v[10:11]
	s_or_b64 exec, exec, s[16:17]
	v_cmp_gt_u32_e64 s[10:11], 64, v14
	s_and_saveexec_b64 s[16:17], s[10:11]
	s_cbranch_execz .LBB139_814
.LBB139_1147:
	ds_read_b64 v[33:34], v27 offset:22912
	ds_read_b64 v[35:36], v32 offset:16736
	s_waitcnt lgkmcnt(0)
	v_fma_f64 v[10:11], v[33:34], v[35:36], v[10:11]
	s_or_b64 exec, exec, s[16:17]
	v_cmp_gt_u32_e64 s[10:11], 48, v14
	s_and_saveexec_b64 s[16:17], s[10:11]
	s_cbranch_execz .LBB139_815
.LBB139_1148:
	v_lshlrev_b32_e32 v31, 3, v28
	v_lshl_add_u32 v30, v30, 3, v31
	ds_read_b64 v[30:31], v30 offset:23424
	ds_read_b64 v[33:34], v32 offset:16744
	s_waitcnt lgkmcnt(0)
	v_fma_f64 v[10:11], v[30:31], v[33:34], v[10:11]
	s_or_b64 exec, exec, s[16:17]
	v_cmp_gt_u32_e64 s[10:11], 32, v14
	s_and_saveexec_b64 s[16:17], s[10:11]
	s_cbranch_execz .LBB139_816
.LBB139_1149:
	ds_read_b64 v[30:31], v27 offset:23936
	ds_read_b64 v[32:33], v32 offset:16752
	s_waitcnt lgkmcnt(0)
	v_fma_f64 v[10:11], v[30:31], v[32:33], v[10:11]
	s_or_b64 exec, exec, s[16:17]
	v_cmp_gt_u32_e64 s[10:11], 16, v14
	s_and_saveexec_b64 s[16:17], s[10:11]
	s_cbranch_execnz .LBB139_817
	s_branch .LBB139_818
.LBB139_1150:
	v_lshlrev_b32_e32 v28, 3, v21
	v_sub_u32_e32 v28, v27, v28
	v_lshl_add_u32 v28, v20, 3, v28
	ds_read_b64 v[28:29], v28 offset:25504
	ds_read_b64 v[30:31], v27 offset:24968
	s_waitcnt lgkmcnt(0)
	v_fma_f64 v[10:11], v[28:29], v[30:31], v[10:11]
	s_or_b64 exec, exec, s[12:13]
	v_cmp_gt_u32_e64 s[8:9], 8, v14
	s_and_saveexec_b64 s[12:13], s[8:9]
	s_cbranch_execz .LBB139_902
.LBB139_1151:
	ds_read_b64 v[28:29], v16 offset:26016
	ds_read_b64 v[30:31], v27 offset:24976
	s_waitcnt lgkmcnt(0)
	v_fma_f64 v[10:11], v[28:29], v[30:31], v[10:11]
	s_or_b64 exec, exec, s[12:13]
	v_cmp_gt_u32_e64 s[8:9], 4, v14
	s_and_saveexec_b64 s[12:13], s[8:9]
	s_cbranch_execnz .LBB139_903
	s_branch .LBB139_904
.LBB139_1152:
	v_lshlrev_b32_e32 v28, 3, v26
	v_sub_u32_e32 v28, v27, v28
	v_lshl_add_u32 v28, v25, 3, v28
	ds_read_b64 v[28:29], v28 offset:25536
	ds_read_b64 v[30:31], v27 offset:24968
	s_waitcnt lgkmcnt(0)
	v_fma_f64 v[10:11], v[28:29], v[30:31], v[10:11]
	s_or_b64 exec, exec, s[12:13]
	v_cmp_gt_u32_e64 s[8:9], 48, v14
	s_and_saveexec_b64 s[12:13], s[8:9]
	s_cbranch_execz .LBB139_940
.LBB139_1153:
	v_lshlrev_b32_e32 v28, 3, v26
	v_sub_u32_e32 v28, v27, v28
	v_lshl_add_u32 v28, v25, 3, v28
	ds_read_b64 v[28:29], v28 offset:26048
	ds_read_b64 v[30:31], v27 offset:24976
	s_waitcnt lgkmcnt(0)
	v_fma_f64 v[10:11], v[28:29], v[30:31], v[10:11]
	s_or_b64 exec, exec, s[12:13]
	v_cmp_gt_u32_e64 s[8:9], 40, v14
	s_and_saveexec_b64 s[12:13], s[8:9]
	s_cbranch_execz .LBB139_941
.LBB139_1154:
	v_lshlrev_b32_e32 v28, 3, v26
	v_sub_u32_e32 v28, v27, v28
	v_lshl_add_u32 v28, v25, 3, v28
	ds_read_b64 v[28:29], v28 offset:26560
	ds_read_b64 v[30:31], v27 offset:24984
	s_waitcnt lgkmcnt(0)
	v_fma_f64 v[10:11], v[28:29], v[30:31], v[10:11]
	s_or_b64 exec, exec, s[12:13]
	v_cmp_gt_u32_e64 s[8:9], 32, v14
	s_and_saveexec_b64 s[12:13], s[8:9]
	s_cbranch_execz .LBB139_942
.LBB139_1155:
	ds_read_b64 v[28:29], v22 offset:27072
	ds_read_b64 v[30:31], v27 offset:24992
	s_waitcnt lgkmcnt(0)
	v_fma_f64 v[10:11], v[28:29], v[30:31], v[10:11]
	s_or_b64 exec, exec, s[12:13]
	v_cmp_gt_u32_e64 s[8:9], 24, v14
	s_and_saveexec_b64 s[12:13], s[8:9]
	s_cbranch_execz .LBB139_943
.LBB139_1156:
	v_lshlrev_b32_e32 v26, 3, v26
	v_sub_u32_e32 v26, v27, v26
	v_lshl_add_u32 v25, v25, 3, v26
	ds_read_b64 v[25:26], v25 offset:27584
	ds_read_b64 v[28:29], v27 offset:25000
	s_waitcnt lgkmcnt(0)
	v_fma_f64 v[10:11], v[25:26], v[28:29], v[10:11]
	s_or_b64 exec, exec, s[12:13]
	v_cmp_gt_u32_e64 s[8:9], 16, v14
	s_and_saveexec_b64 s[12:13], s[8:9]
	s_cbranch_execz .LBB139_944
.LBB139_1157:
	ds_read_b64 v[25:26], v22 offset:28096
	ds_read_b64 v[27:28], v27 offset:25008
	s_waitcnt lgkmcnt(0)
	v_fma_f64 v[10:11], v[25:26], v[27:28], v[10:11]
	s_or_b64 exec, exec, s[12:13]
	v_cmp_gt_u32_e64 s[8:9], 8, v14
	s_and_saveexec_b64 s[12:13], s[8:9]
	s_cbranch_execnz .LBB139_945
	s_branch .LBB139_946
.LBB139_1158:
	v_lshlrev_b32_e32 v21, 3, v21
	v_sub_u32_e32 v21, v22, v21
	v_lshl_add_u32 v20, v20, 3, v21
	ds_read_b64 v[20:21], v20 offset:29664
	ds_read_b64 v[23:24], v22 offset:29128
	s_waitcnt lgkmcnt(0)
	v_fma_f64 v[10:11], v[20:21], v[23:24], v[10:11]
	s_or_b64 exec, exec, s[12:13]
	v_cmp_gt_u32_e64 s[8:9], 8, v14
	s_and_saveexec_b64 s[12:13], s[8:9]
	s_cbranch_execz .LBB139_998
.LBB139_1159:
	ds_read_b64 v[20:21], v16 offset:30176
	ds_read_b64 v[22:23], v22 offset:29136
	s_waitcnt lgkmcnt(0)
	v_fma_f64 v[10:11], v[20:21], v[22:23], v[10:11]
	s_or_b64 exec, exec, s[12:13]
	v_cmp_gt_u32_e64 s[8:9], 4, v14
	s_and_saveexec_b64 s[12:13], s[8:9]
	s_cbranch_execnz .LBB139_999
	s_branch .LBB139_1000
	.section	.rodata,"a",@progbits
	.p2align	6, 0x0
	.amdhsa_kernel _ZL19rocblas_trsv_deviceILi64ELi16ELb1ELb0ELb0ELb1EddPKPKdPKPdEviT7_lllT6_T8_lllPii
		.amdhsa_group_segment_fixed_size 41480
		.amdhsa_private_segment_fixed_size 0
		.amdhsa_kernarg_size 352
		.amdhsa_user_sgpr_count 6
		.amdhsa_user_sgpr_private_segment_buffer 1
		.amdhsa_user_sgpr_dispatch_ptr 0
		.amdhsa_user_sgpr_queue_ptr 0
		.amdhsa_user_sgpr_kernarg_segment_ptr 1
		.amdhsa_user_sgpr_dispatch_id 0
		.amdhsa_user_sgpr_flat_scratch_init 0
		.amdhsa_user_sgpr_private_segment_size 0
		.amdhsa_uses_dynamic_stack 0
		.amdhsa_system_sgpr_private_segment_wavefront_offset 0
		.amdhsa_system_sgpr_workgroup_id_x 1
		.amdhsa_system_sgpr_workgroup_id_y 0
		.amdhsa_system_sgpr_workgroup_id_z 1
		.amdhsa_system_sgpr_workgroup_info 0
		.amdhsa_system_vgpr_workitem_id 1
		.amdhsa_next_free_vgpr 49
		.amdhsa_next_free_sgpr 98
		.amdhsa_reserve_vcc 1
		.amdhsa_reserve_flat_scratch 0
		.amdhsa_float_round_mode_32 0
		.amdhsa_float_round_mode_16_64 0
		.amdhsa_float_denorm_mode_32 3
		.amdhsa_float_denorm_mode_16_64 3
		.amdhsa_dx10_clamp 1
		.amdhsa_ieee_mode 1
		.amdhsa_fp16_overflow 0
		.amdhsa_exception_fp_ieee_invalid_op 0
		.amdhsa_exception_fp_denorm_src 0
		.amdhsa_exception_fp_ieee_div_zero 0
		.amdhsa_exception_fp_ieee_overflow 0
		.amdhsa_exception_fp_ieee_underflow 0
		.amdhsa_exception_fp_ieee_inexact 0
		.amdhsa_exception_int_div_zero 0
	.end_amdhsa_kernel
	.section	.text._ZL19rocblas_trsv_deviceILi64ELi16ELb1ELb0ELb0ELb1EddPKPKdPKPdEviT7_lllT6_T8_lllPii,"axG",@progbits,_ZL19rocblas_trsv_deviceILi64ELi16ELb1ELb0ELb0ELb1EddPKPKdPKPdEviT7_lllT6_T8_lllPii,comdat
.Lfunc_end139:
	.size	_ZL19rocblas_trsv_deviceILi64ELi16ELb1ELb0ELb0ELb1EddPKPKdPKPdEviT7_lllT6_T8_lllPii, .Lfunc_end139-_ZL19rocblas_trsv_deviceILi64ELi16ELb1ELb0ELb0ELb1EddPKPKdPKPdEviT7_lllT6_T8_lllPii
                                        ; -- End function
	.set _ZL19rocblas_trsv_deviceILi64ELi16ELb1ELb0ELb0ELb1EddPKPKdPKPdEviT7_lllT6_T8_lllPii.num_vgpr, 42
	.set _ZL19rocblas_trsv_deviceILi64ELi16ELb1ELb0ELb0ELb1EddPKPKdPKPdEviT7_lllT6_T8_lllPii.num_agpr, 0
	.set _ZL19rocblas_trsv_deviceILi64ELi16ELb1ELb0ELb0ELb1EddPKPKdPKPdEviT7_lllT6_T8_lllPii.numbered_sgpr, 96
	.set _ZL19rocblas_trsv_deviceILi64ELi16ELb1ELb0ELb0ELb1EddPKPKdPKPdEviT7_lllT6_T8_lllPii.num_named_barrier, 0
	.set _ZL19rocblas_trsv_deviceILi64ELi16ELb1ELb0ELb0ELb1EddPKPKdPKPdEviT7_lllT6_T8_lllPii.private_seg_size, 0
	.set _ZL19rocblas_trsv_deviceILi64ELi16ELb1ELb0ELb0ELb1EddPKPKdPKPdEviT7_lllT6_T8_lllPii.uses_vcc, 1
	.set _ZL19rocblas_trsv_deviceILi64ELi16ELb1ELb0ELb0ELb1EddPKPKdPKPdEviT7_lllT6_T8_lllPii.uses_flat_scratch, 0
	.set _ZL19rocblas_trsv_deviceILi64ELi16ELb1ELb0ELb0ELb1EddPKPKdPKPdEviT7_lllT6_T8_lllPii.has_dyn_sized_stack, 0
	.set _ZL19rocblas_trsv_deviceILi64ELi16ELb1ELb0ELb0ELb1EddPKPKdPKPdEviT7_lllT6_T8_lllPii.has_recursion, 0
	.set _ZL19rocblas_trsv_deviceILi64ELi16ELb1ELb0ELb0ELb1EddPKPKdPKPdEviT7_lllT6_T8_lllPii.has_indirect_call, 0
	.section	.AMDGPU.csdata,"",@progbits
; Kernel info:
; codeLenInByte = 30296
; TotalNumSgprs: 100
; NumVgprs: 42
; ScratchSize: 0
; MemoryBound: 0
; FloatMode: 240
; IeeeMode: 1
; LDSByteSize: 41480 bytes/workgroup (compile time only)
; SGPRBlocks: 12
; VGPRBlocks: 12
; NumSGPRsForWavesPerEU: 102
; NumVGPRsForWavesPerEU: 49
; Occupancy: 4
; WaveLimiterHint : 1
; COMPUTE_PGM_RSRC2:SCRATCH_EN: 0
; COMPUTE_PGM_RSRC2:USER_SGPR: 6
; COMPUTE_PGM_RSRC2:TRAP_HANDLER: 0
; COMPUTE_PGM_RSRC2:TGID_X_EN: 1
; COMPUTE_PGM_RSRC2:TGID_Y_EN: 0
; COMPUTE_PGM_RSRC2:TGID_Z_EN: 1
; COMPUTE_PGM_RSRC2:TIDIG_COMP_CNT: 1
	.section	.text._ZL19rocblas_trsv_deviceILi64ELi16ELb1ELb1ELb0ELb1EddPKPKdPKPdEviT7_lllT6_T8_lllPii,"axG",@progbits,_ZL19rocblas_trsv_deviceILi64ELi16ELb1ELb1ELb0ELb1EddPKPKdPKPdEviT7_lllT6_T8_lllPii,comdat
	.globl	_ZL19rocblas_trsv_deviceILi64ELi16ELb1ELb1ELb0ELb1EddPKPKdPKPdEviT7_lllT6_T8_lllPii ; -- Begin function _ZL19rocblas_trsv_deviceILi64ELi16ELb1ELb1ELb0ELb1EddPKPKdPKPdEviT7_lllT6_T8_lllPii
	.p2align	8
	.type	_ZL19rocblas_trsv_deviceILi64ELi16ELb1ELb1ELb0ELb1EddPKPKdPKPdEviT7_lllT6_T8_lllPii,@function
_ZL19rocblas_trsv_deviceILi64ELi16ELb1ELb1ELb0ELb1EddPKPKdPKPdEviT7_lllT6_T8_lllPii: ; @_ZL19rocblas_trsv_deviceILi64ELi16ELb1ELb1ELb0ELb1EddPKPKdPKPdEviT7_lllT6_T8_lllPii
; %bb.0:
	s_load_dwordx4 s[0:3], s[4:5], 0x8
	s_mov_b32 s22, s7
	s_mov_b32 s23, 0
	s_lshl_b64 s[8:9], s[22:23], 3
	s_waitcnt lgkmcnt(0)
	s_add_u32 s0, s0, s8
	s_addc_u32 s1, s1, s9
	s_load_dwordx2 s[10:11], s[0:1], 0x0
	s_load_dword s34, s[4:5], 0x0
	s_load_dwordx2 s[36:37], s[4:5], 0x18
	s_load_dwordx8 s[24:31], s[4:5], 0x28
	s_lshl_b64 s[0:1], s[2:3], 3
	s_waitcnt lgkmcnt(0)
	s_add_u32 s91, s10, s0
	s_addc_u32 s38, s11, s1
	s_load_dword s7, s[4:5], 0x60
	s_add_u32 s0, s26, s8
	s_addc_u32 s1, s27, s9
	s_load_dwordx2 s[16:17], s[0:1], 0x0
	s_load_dword s39, s[4:5], 0x6c
	s_waitcnt lgkmcnt(0)
	s_add_i32 s7, s7, -1
	s_sub_i32 s33, s7, s6
	s_cmp_eq_u32 s6, 0
	s_cbranch_scc1 .LBB140_10
; %bb.1:
	s_lshl_b32 s2, s33, 6
	v_add_u32_e32 v4, s2, v0
	v_ashrrev_i32_e32 v2, 31, v4
	v_mul_lo_u32 v5, s36, v2
	v_mul_lo_u32 v6, s37, v4
	v_mad_u64_u32 v[2:3], s[0:1], s36, v4, 0
	v_add3_u32 v10, v1, s2, 64
	v_ashrrev_i32_e32 v11, 31, v10
	v_add3_u32 v3, v3, v5, v6
	v_lshlrev_b64 v[2:3], 3, v[2:3]
	v_cmp_gt_i32_e32 vcc, s34, v4
	v_mov_b32_e32 v4, s38
	v_add_co_u32_e64 v5, s[0:1], s91, v2
	v_addc_co_u32_e64 v4, s[0:1], v4, v3, s[0:1]
	v_lshlrev_b64 v[2:3], 3, v[10:11]
	v_add_co_u32_e64 v11, s[0:1], v5, v2
	v_addc_co_u32_e64 v12, s[0:1], v4, v3, s[0:1]
	v_cmp_gt_i32_e64 s[0:1], s34, v10
	v_mov_b32_e32 v2, 0
	v_mov_b32_e32 v4, 0
	;; [unrolled: 1-line block ×4, first 2 shown]
	s_and_b64 s[2:3], s[0:1], vcc
	s_barrier
	s_and_saveexec_b64 s[0:1], s[2:3]
	s_cbranch_execz .LBB140_3
; %bb.2:
	flat_load_dwordx2 v[4:5], v[11:12]
.LBB140_3:
	s_or_b64 exec, exec, s[0:1]
	v_add_u32_e32 v6, 16, v10
	v_cmp_gt_i32_e64 s[0:1], s34, v6
	s_and_b64 s[2:3], s[0:1], vcc
	s_waitcnt vmcnt(0) lgkmcnt(0)
	s_barrier
	s_and_saveexec_b64 s[0:1], s[2:3]
	s_cbranch_execz .LBB140_5
; %bb.4:
	flat_load_dwordx2 v[2:3], v[11:12] offset:128
.LBB140_5:
	s_or_b64 exec, exec, s[0:1]
	v_add_u32_e32 v6, 32, v10
	v_cmp_gt_i32_e64 s[0:1], s34, v6
	v_mov_b32_e32 v6, 0
	v_mov_b32_e32 v8, 0
	;; [unrolled: 1-line block ×4, first 2 shown]
	s_and_b64 s[2:3], s[0:1], vcc
	s_waitcnt vmcnt(0) lgkmcnt(0)
	s_barrier
	s_and_saveexec_b64 s[0:1], s[2:3]
	s_cbranch_execz .LBB140_7
; %bb.6:
	flat_load_dwordx2 v[8:9], v[11:12] offset:256
.LBB140_7:
	s_or_b64 exec, exec, s[0:1]
	v_add_u32_e32 v10, 48, v10
	v_cmp_gt_i32_e64 s[0:1], s34, v10
	s_and_b64 s[2:3], s[0:1], vcc
	s_waitcnt vmcnt(0) lgkmcnt(0)
	s_barrier
	s_and_saveexec_b64 s[0:1], s[2:3]
	s_cbranch_execz .LBB140_9
; %bb.8:
	flat_load_dwordx2 v[6:7], v[11:12] offset:384
.LBB140_9:
	s_or_b64 exec, exec, s[0:1]
	s_branch .LBB140_11
.LBB140_10:
                                        ; implicit-def: $vgpr6_vgpr7
                                        ; implicit-def: $vgpr8_vgpr9
                                        ; implicit-def: $vgpr2_vgpr3
                                        ; implicit-def: $vgpr4_vgpr5
.LBB140_11:
	s_ashr_i32 s35, s34, 31
	s_lshr_b32 s0, s35, 26
	s_add_i32 s0, s34, s0
	s_andn2_b32 s0, s0, 63
	s_sub_i32 s90, s34, s0
	s_add_i32 s0, s34, -1
	s_ashr_i32 s1, s0, 31
	s_lshr_b32 s1, s1, 26
	s_add_i32 s0, s0, s1
	s_ashr_i32 s0, s0, 6
	s_cmp_eq_u32 s0, s33
	s_cselect_b64 s[0:1], -1, 0
	s_cmp_lg_u32 s90, 0
	s_cselect_b64 s[2:3], -1, 0
	s_and_b64 s[26:27], s[2:3], s[0:1]
	s_cmp_lt_i32 s6, 5
	s_cselect_b64 s[2:3], -1, 0
	s_mov_b64 s[12:13], -1
	s_or_b64 s[0:1], s[2:3], s[26:27]
	v_lshlrev_b32_e32 v14, 6, v0
	s_and_b64 vcc, exec, s[26:27]
	v_cmp_le_u32_e64 s[8:9], v0, v1
	s_cbranch_vccnz .LBB140_33
; %bb.12:
	s_add_u32 s10, s36, 1
	s_addc_u32 s11, s37, 0
	s_lshl_b32 s12, s33, 6
	s_ashr_i32 s13, s12, 31
	s_mul_hi_u32 s14, s10, s12
	s_mul_i32 s13, s10, s13
	s_add_i32 s13, s14, s13
	s_mul_i32 s11, s11, s12
	s_add_i32 s11, s13, s11
	s_mul_i32 s10, s10, s12
	s_lshl_b64 s[10:11], s[10:11], 3
	s_add_u32 s10, s91, s10
	s_addc_u32 s11, s38, s11
	v_lshlrev_b32_e32 v10, 3, v0
	v_mov_b32_e32 v11, s11
	v_add_co_u32_e32 v10, vcc, s10, v10
	v_addc_co_u32_e32 v11, vcc, 0, v11, vcc
	s_mov_b64 s[10:11], 0
	s_and_saveexec_b64 s[12:13], s[8:9]
	s_xor_b64 s[8:9], exec, s[12:13]
; %bb.13:
	v_or_b32_e32 v12, v1, v0
	v_cmp_gt_u32_e32 vcc, 64, v12
	s_and_b64 s[10:11], vcc, exec
; %bb.14:
	s_or_saveexec_b64 s[8:9], s[8:9]
	v_mov_b32_e32 v12, 0
	v_mov_b32_e32 v13, 0
	s_xor_b64 exec, exec, s[8:9]
	s_cbranch_execz .LBB140_16
; %bb.15:
	v_mad_u64_u32 v[12:13], s[12:13], s36, v1, 0
	s_or_b64 s[10:11], s[10:11], exec
	v_mad_u64_u32 v[15:16], s[12:13], s37, v1, v[13:14]
	v_mov_b32_e32 v13, v15
	v_lshlrev_b64 v[12:13], 3, v[12:13]
	v_add_co_u32_e32 v12, vcc, v10, v12
	v_addc_co_u32_e32 v13, vcc, v11, v13, vcc
	flat_load_dwordx2 v[12:13], v[12:13]
	s_waitcnt vmcnt(0) lgkmcnt(0)
	v_xor_b32_e32 v13, 0x80000000, v13
.LBB140_16:
	s_or_b64 exec, exec, s[8:9]
	s_and_saveexec_b64 s[8:9], s[10:11]
; %bb.17:
	v_add_u32_e32 v15, v1, v14
	v_lshl_add_u32 v16, v1, 6, v0
	v_cndmask_b32_e64 v15, v16, v15, s[2:3]
	v_lshlrev_b32_e32 v15, 3, v15
	ds_write_b64 v15, v[12:13]
; %bb.18:
	s_or_b64 exec, exec, s[8:9]
	v_add_u32_e32 v15, 16, v1
	v_cmp_le_u32_e32 vcc, v0, v15
	s_mov_b64 s[2:3], 0
	s_and_saveexec_b64 s[8:9], vcc
	s_xor_b64 s[8:9], exec, s[8:9]
; %bb.19:
	v_or_b32_e32 v12, v15, v0
	v_cmp_gt_u32_e32 vcc, 64, v12
	s_and_b64 s[2:3], vcc, exec
; %bb.20:
	s_or_saveexec_b64 s[8:9], s[8:9]
	v_mov_b32_e32 v12, 0
	v_mov_b32_e32 v13, 0
	s_xor_b64 exec, exec, s[8:9]
	s_cbranch_execz .LBB140_22
; %bb.21:
	v_mad_u64_u32 v[12:13], s[10:11], s36, v15, 0
	s_or_b64 s[2:3], s[2:3], exec
	v_mad_u64_u32 v[16:17], s[10:11], s37, v15, v[13:14]
	v_mov_b32_e32 v13, v16
	v_lshlrev_b64 v[12:13], 3, v[12:13]
	v_add_co_u32_e32 v12, vcc, v10, v12
	v_addc_co_u32_e32 v13, vcc, v11, v13, vcc
	flat_load_dwordx2 v[12:13], v[12:13]
	s_waitcnt vmcnt(0) lgkmcnt(0)
	v_xor_b32_e32 v13, 0x80000000, v13
.LBB140_22:
	s_or_b64 exec, exec, s[8:9]
	s_and_saveexec_b64 s[8:9], s[2:3]
; %bb.23:
	v_add_u32_e32 v16, v15, v14
	v_lshl_add_u32 v15, v15, 6, v0
	v_cndmask_b32_e64 v15, v15, v16, s[0:1]
	v_lshlrev_b32_e32 v15, 3, v15
	ds_write_b64 v15, v[12:13]
; %bb.24:
	s_or_b64 exec, exec, s[8:9]
	v_add_u32_e32 v15, 32, v1
	v_cmp_le_u32_e32 vcc, v0, v15
	s_mov_b64 s[2:3], 0
	s_and_saveexec_b64 s[8:9], vcc
	s_xor_b64 s[8:9], exec, s[8:9]
; %bb.25:
	v_or_b32_e32 v12, v15, v0
	v_cmp_gt_u32_e32 vcc, 64, v12
	s_and_b64 s[2:3], vcc, exec
; %bb.26:
	s_or_saveexec_b64 s[8:9], s[8:9]
	v_mov_b32_e32 v12, 0
	v_mov_b32_e32 v13, 0
	s_xor_b64 exec, exec, s[8:9]
	s_cbranch_execz .LBB140_28
; %bb.27:
	v_mad_u64_u32 v[12:13], s[10:11], s36, v15, 0
	s_or_b64 s[2:3], s[2:3], exec
	v_mad_u64_u32 v[16:17], s[10:11], s37, v15, v[13:14]
	v_mov_b32_e32 v13, v16
	v_lshlrev_b64 v[12:13], 3, v[12:13]
	v_add_co_u32_e32 v12, vcc, v10, v12
	v_addc_co_u32_e32 v13, vcc, v11, v13, vcc
	flat_load_dwordx2 v[12:13], v[12:13]
	s_waitcnt vmcnt(0) lgkmcnt(0)
	v_xor_b32_e32 v13, 0x80000000, v13
.LBB140_28:
	s_or_b64 exec, exec, s[8:9]
	s_and_saveexec_b64 s[8:9], s[2:3]
; %bb.29:
	v_add_u32_e32 v16, v15, v14
	v_lshl_add_u32 v15, v15, 6, v0
	v_cndmask_b32_e64 v15, v15, v16, s[0:1]
	v_lshlrev_b32_e32 v15, 3, v15
	ds_write_b64 v15, v[12:13]
; %bb.30:
	s_or_b64 exec, exec, s[8:9]
	v_add_u32_e32 v15, 48, v1
	v_add_u32_e32 v12, v15, v14
	v_lshl_add_u32 v13, v15, 6, v0
	v_cmp_le_u32_e32 vcc, v0, v15
	s_mov_b64 s[2:3], -1
	s_mov_b64 s[12:13], 0
	s_mov_b64 s[10:11], 0
	s_and_saveexec_b64 s[8:9], vcc
	s_xor_b64 s[8:9], exec, s[8:9]
; %bb.31:
	v_or_b32_e32 v16, v15, v0
	v_cmp_gt_u32_e32 vcc, 64, v16
	s_and_b64 s[10:11], vcc, exec
	s_xor_b64 s[2:3], exec, -1
; %bb.32:
	s_or_b64 exec, exec, s[8:9]
	v_cndmask_b32_e64 v16, v13, v12, s[0:1]
	s_and_b64 vcc, exec, s[12:13]
	s_cbranch_vccnz .LBB140_34
	s_branch .LBB140_55
.LBB140_33:
	s_mov_b64 s[2:3], 0
	s_mov_b64 s[10:11], 0
                                        ; implicit-def: $vgpr16
                                        ; implicit-def: $vgpr10_vgpr11
                                        ; implicit-def: $vgpr15
	s_and_b64 vcc, exec, s[12:13]
	s_cbranch_vccz .LBB140_55
.LBB140_34:
	s_add_u32 s2, s36, 1
	s_addc_u32 s3, s37, 0
	s_lshl_b32 s8, s33, 6
	s_ashr_i32 s9, s8, 31
	s_mul_hi_u32 s12, s2, s8
	s_mul_i32 s9, s2, s9
	s_add_i32 s9, s12, s9
	s_mul_i32 s3, s3, s8
	s_add_i32 s3, s9, s3
	s_mul_i32 s2, s2, s8
	s_lshl_b64 s[2:3], s[2:3], 3
	s_add_u32 s2, s91, s2
	s_addc_u32 s3, s38, s3
	v_lshlrev_b32_e32 v10, 3, v0
	v_mov_b32_e32 v11, s3
	v_add_co_u32_e64 v10, s[2:3], s2, v10
	v_addc_co_u32_e64 v11, s[2:3], 0, v11, s[2:3]
	v_max_i32_e32 v12, v1, v0
	v_cmp_le_u32_e64 s[2:3], v0, v1
	v_cmp_le_i32_e64 s[8:9], s90, v12
	v_cmp_gt_i32_e32 vcc, s90, v0
	s_or_b64 s[2:3], s[8:9], s[2:3]
	s_mov_b64 s[8:9], 0
	s_and_saveexec_b64 s[12:13], s[2:3]
	s_xor_b64 s[12:13], exec, s[12:13]
; %bb.35:
	v_or_b32_e32 v12, v1, v0
	v_cmp_gt_u32_e64 s[2:3], 64, v12
	s_and_b64 s[8:9], s[2:3], exec
; %bb.36:
	s_or_saveexec_b64 s[12:13], s[12:13]
	v_mov_b32_e32 v12, 0
	v_mov_b32_e32 v13, 0
	s_xor_b64 exec, exec, s[12:13]
	s_cbranch_execz .LBB140_38
; %bb.37:
	v_mad_u64_u32 v[12:13], s[2:3], s36, v1, 0
	s_or_b64 s[8:9], s[8:9], exec
	v_mad_u64_u32 v[15:16], s[2:3], s37, v1, v[13:14]
	v_mov_b32_e32 v13, v15
	v_lshlrev_b64 v[12:13], 3, v[12:13]
	v_add_co_u32_e64 v12, s[2:3], v10, v12
	v_addc_co_u32_e64 v13, s[2:3], v11, v13, s[2:3]
	flat_load_dwordx2 v[12:13], v[12:13]
	s_waitcnt vmcnt(0) lgkmcnt(0)
	v_xor_b32_e32 v13, 0x80000000, v13
.LBB140_38:
	s_or_b64 exec, exec, s[12:13]
	s_and_saveexec_b64 s[2:3], s[8:9]
; %bb.39:
	v_lshlrev_b32_e32 v15, 3, v14
	v_lshl_add_u32 v15, v1, 3, v15
	ds_write_b64 v15, v[12:13]
; %bb.40:
	s_or_b64 exec, exec, s[2:3]
	v_add_u32_e32 v15, 16, v1
	v_cmp_gt_u32_e64 s[2:3], v0, v15
	v_cmp_gt_i32_e64 s[8:9], s90, v15
	s_and_b64 s[2:3], s[2:3], s[8:9]
	s_and_b64 s[2:3], s[2:3], vcc
	s_xor_b64 s[2:3], s[2:3], -1
	s_mov_b64 s[8:9], 0
	s_and_saveexec_b64 s[12:13], s[2:3]
	s_xor_b64 s[12:13], exec, s[12:13]
; %bb.41:
	v_or_b32_e32 v12, v15, v0
	v_cmp_gt_u32_e64 s[2:3], 64, v12
	s_and_b64 s[8:9], s[2:3], exec
; %bb.42:
	s_or_saveexec_b64 s[12:13], s[12:13]
	v_mov_b32_e32 v12, 0
	v_mov_b32_e32 v13, 0
	s_xor_b64 exec, exec, s[12:13]
	s_cbranch_execz .LBB140_44
; %bb.43:
	v_mad_u64_u32 v[12:13], s[2:3], s36, v15, 0
	s_or_b64 s[8:9], s[8:9], exec
	v_mad_u64_u32 v[16:17], s[2:3], s37, v15, v[13:14]
	v_mov_b32_e32 v13, v16
	v_lshlrev_b64 v[12:13], 3, v[12:13]
	v_add_co_u32_e64 v12, s[2:3], v10, v12
	v_addc_co_u32_e64 v13, s[2:3], v11, v13, s[2:3]
	flat_load_dwordx2 v[12:13], v[12:13]
	s_waitcnt vmcnt(0) lgkmcnt(0)
	v_xor_b32_e32 v13, 0x80000000, v13
.LBB140_44:
	s_or_b64 exec, exec, s[12:13]
	s_and_saveexec_b64 s[2:3], s[8:9]
; %bb.45:
	v_add_u32_e32 v16, v15, v14
	v_lshl_add_u32 v15, v15, 6, v0
	v_cndmask_b32_e64 v15, v15, v16, s[0:1]
	v_lshlrev_b32_e32 v15, 3, v15
	ds_write_b64 v15, v[12:13]
; %bb.46:
	s_or_b64 exec, exec, s[2:3]
	v_add_u32_e32 v15, 32, v1
	v_cmp_gt_u32_e64 s[2:3], v0, v15
	v_cmp_gt_i32_e64 s[8:9], s90, v15
	s_and_b64 s[2:3], s[2:3], s[8:9]
	s_and_b64 s[2:3], s[2:3], vcc
	s_xor_b64 s[2:3], s[2:3], -1
	s_mov_b64 s[8:9], 0
	s_and_saveexec_b64 s[12:13], s[2:3]
	s_xor_b64 s[12:13], exec, s[12:13]
; %bb.47:
	v_or_b32_e32 v12, v15, v0
	v_cmp_gt_u32_e64 s[2:3], 64, v12
	s_and_b64 s[8:9], s[2:3], exec
; %bb.48:
	s_or_saveexec_b64 s[12:13], s[12:13]
	v_mov_b32_e32 v12, 0
	v_mov_b32_e32 v13, 0
	s_xor_b64 exec, exec, s[12:13]
	s_cbranch_execz .LBB140_50
; %bb.49:
	v_mad_u64_u32 v[12:13], s[2:3], s36, v15, 0
	s_or_b64 s[8:9], s[8:9], exec
	v_mad_u64_u32 v[16:17], s[2:3], s37, v15, v[13:14]
	v_mov_b32_e32 v13, v16
	v_lshlrev_b64 v[12:13], 3, v[12:13]
	v_add_co_u32_e64 v12, s[2:3], v10, v12
	v_addc_co_u32_e64 v13, s[2:3], v11, v13, s[2:3]
	flat_load_dwordx2 v[12:13], v[12:13]
	s_waitcnt vmcnt(0) lgkmcnt(0)
	v_xor_b32_e32 v13, 0x80000000, v13
.LBB140_50:
	s_or_b64 exec, exec, s[12:13]
	s_and_saveexec_b64 s[2:3], s[8:9]
; %bb.51:
	v_add_u32_e32 v16, v15, v14
	v_lshl_add_u32 v15, v15, 6, v0
	v_cndmask_b32_e64 v15, v15, v16, s[0:1]
	v_lshlrev_b32_e32 v15, 3, v15
	ds_write_b64 v15, v[12:13]
; %bb.52:
	s_or_b64 exec, exec, s[2:3]
	v_add_u32_e32 v15, 48, v1
	v_cmp_gt_u32_e64 s[2:3], v0, v15
	v_cmp_gt_i32_e64 s[8:9], s90, v15
	s_and_b64 s[2:3], s[2:3], s[8:9]
	s_and_b64 s[8:9], s[2:3], vcc
	v_add_u32_e32 v12, v15, v14
	v_lshl_add_u32 v13, v15, 6, v0
	s_mov_b64 s[2:3], -1
	s_xor_b64 s[12:13], s[8:9], -1
	s_and_saveexec_b64 s[8:9], s[12:13]
; %bb.53:
	v_or_b32_e32 v14, v15, v0
	v_cmp_gt_u32_e32 vcc, 64, v14
	s_andn2_b64 s[2:3], s[10:11], exec
	s_and_b64 s[10:11], vcc, exec
	s_or_b64 s[10:11], s[2:3], s[10:11]
	s_xor_b64 s[2:3], exec, -1
; %bb.54:
	s_or_b64 exec, exec, s[8:9]
	v_cndmask_b32_e64 v16, v13, v12, s[0:1]
.LBB140_55:
	v_mov_b32_e32 v12, 0
	v_mov_b32_e32 v13, 0
	s_and_saveexec_b64 s[8:9], s[2:3]
	s_cbranch_execnz .LBB140_1139
; %bb.56:
	s_or_b64 exec, exec, s[8:9]
	s_xor_b64 s[0:1], s[0:1], -1
	s_and_saveexec_b64 s[2:3], s[10:11]
.LBB140_57:
	v_lshlrev_b32_e32 v10, 3, v16
	ds_write_b64 v10, v[12:13]
.LBB140_58:
	s_or_b64 exec, exec, s[2:3]
	v_cndmask_b32_e64 v10, 0, 1, s[0:1]
	v_cmp_ne_u32_e64 s[42:43], 1, v10
	s_andn2_b64 vcc, exec, s[0:1]
	s_waitcnt vmcnt(0) lgkmcnt(0)
	s_barrier
	s_cbranch_vccnz .LBB140_1096
; %bb.59:
	v_or_b32_e32 v10, v0, v1
	v_cmp_eq_u32_e32 vcc, 0, v10
	s_and_saveexec_b64 s[0:1], vcc
	s_cbranch_execz .LBB140_61
; %bb.60:
	v_mov_b32_e32 v12, 0
	ds_read_b64 v[10:11], v12 offset:8
	v_mov_b32_e32 v13, 0x3ff00000
	ds_write_b64 v12, v[12:13]
	s_waitcnt lgkmcnt(1)
	ds_write_b128 v12, v[10:13] offset:512
.LBB140_61:
	s_or_b64 exec, exec, s[0:1]
	v_lshl_add_u32 v14, v1, 6, v0
	v_and_b32_e32 v16, 1, v0
	v_lshrrev_b32_e32 v15, 1, v14
	v_lshlrev_b32_e32 v12, 3, v16
	v_mov_b32_e32 v10, 0
	v_cmp_lt_u32_e64 s[8:9], 3, v14
	v_cmp_gt_u32_e64 s[2:3], 4, v14
	v_mov_b32_e32 v11, 0
	v_lshl_or_b32 v12, v15, 9, v12
	s_waitcnt lgkmcnt(0)
	s_barrier
	s_and_saveexec_b64 s[0:1], s[2:3]
	s_cbranch_execz .LBB140_65
; %bb.62:
	v_mul_u32_u24_e32 v13, 0x208, v15
	ds_read_b64 v[10:11], v12 offset:16
	ds_read_b64 v[17:18], v13
	v_cmp_gt_u32_e64 s[10:11], 2, v14
	s_waitcnt lgkmcnt(0)
	v_fma_f64 v[10:11], v[10:11], v[17:18], 0
	s_and_saveexec_b64 s[12:13], s[10:11]
	s_cbranch_execz .LBB140_64
; %bb.63:
	v_lshlrev_b32_e32 v13, 3, v0
	v_mov_b32_e32 v19, 0
	ds_read_b64 v[17:18], v13 offset:528
	ds_read_b64 v[19:20], v19 offset:8
	s_waitcnt lgkmcnt(0)
	v_fma_f64 v[10:11], v[17:18], v[19:20], v[10:11]
.LBB140_64:
	s_or_b64 exec, exec, s[12:13]
	v_xor_b32_e32 v11, 0x80000000, v11
.LBB140_65:
                                        ; implicit-def: $vgpr40 : SGPR spill to VGPR lane
	v_writelane_b32 v40, s42, 0
	v_writelane_b32 v40, s43, 1
	;; [unrolled: 1-line block ×4, first 2 shown]
	s_or_b64 exec, exec, s[0:1]
	v_mov_b32_e32 v13, 0x8000
	v_cmp_eq_u32_e64 s[10:11], 0, v16
	s_xor_b64 s[0:1], s[8:9], -1
	v_lshl_add_u32 v13, v15, 3, v13
	s_and_b64 s[42:43], s[10:11], s[0:1]
	s_and_saveexec_b64 s[8:9], s[42:43]
; %bb.66:
	ds_write_b64 v13, v[10:11]
; %bb.67:
	s_or_b64 exec, exec, s[8:9]
	v_cmp_ne_u32_e64 s[8:9], 0, v16
	s_and_b64 s[40:41], s[8:9], s[0:1]
	s_waitcnt lgkmcnt(0)
	s_barrier
	s_and_saveexec_b64 s[0:1], s[40:41]
	s_cbranch_execz .LBB140_69
; %bb.68:
	v_mov_b32_e32 v16, 0
	ds_read_b64 v[16:17], v16 offset:1048
	ds_read_b64 v[18:19], v13
	s_waitcnt lgkmcnt(0)
	v_fma_f64 v[10:11], v[16:17], v[18:19], v[10:11]
.LBB140_69:
	s_or_b64 exec, exec, s[0:1]
	s_barrier
	s_and_saveexec_b64 s[0:1], s[40:41]
; %bb.70:
	ds_write_b64 v13, v[10:11]
; %bb.71:
	s_or_b64 exec, exec, s[0:1]
	s_waitcnt lgkmcnt(0)
	s_barrier
	s_barrier
	s_and_saveexec_b64 s[0:1], s[2:3]
; %bb.72:
	v_xor_b32_e32 v11, 0x80000000, v11
	ds_write_b64 v12, v[10:11] offset:16
; %bb.73:
	s_or_b64 exec, exec, s[0:1]
	v_cmp_eq_u32_e64 s[12:13], 0, v1
	v_cmp_gt_u32_e64 s[8:9], 2, v0
	s_and_b64 s[44:45], s[12:13], s[8:9]
	s_waitcnt lgkmcnt(0)
	s_barrier
	s_barrier
	s_and_saveexec_b64 s[0:1], s[44:45]
	s_cbranch_execz .LBB140_75
; %bb.74:
	v_lshlrev_b32_e32 v16, 3, v0
	s_movk_i32 s8, 0x1f8
	v_mad_u32_u24 v17, v0, s8, v16
	ds_read_b64 v[10:11], v17 offset:16
	s_waitcnt lgkmcnt(0)
	ds_write_b64 v16, v[10:11] offset:1024
	ds_read_b64 v[10:11], v17 offset:24
	s_waitcnt lgkmcnt(0)
	ds_write_b64 v16, v[10:11] offset:1536
.LBB140_75:
	s_or_b64 exec, exec, s[0:1]
	s_waitcnt lgkmcnt(0)
	s_barrier
	s_and_saveexec_b64 s[0:1], vcc
	s_cbranch_execz .LBB140_77
; %bb.76:
	v_mov_b32_e32 v18, 0
	ds_read_b64 v[16:17], v18 offset:1048
	v_mov_b32_e32 v19, 0x3ff00000
	ds_write_b64 v18, v[18:19] offset:1040
	s_waitcnt lgkmcnt(1)
	ds_write_b128 v18, v[16:19] offset:1552
.LBB140_77:
	s_or_b64 exec, exec, s[0:1]
	v_and_b32_e32 v19, 3, v0
	v_lshrrev_b32_e32 v20, 2, v14
	v_lshlrev_b32_e32 v17, 3, v19
	v_mov_b32_e32 v10, 0
	v_cmp_lt_u32_e64 s[8:9], 15, v14
	v_cmp_gt_u32_e64 s[18:19], 16, v14
	v_mov_b32_e32 v11, 0
	v_lshl_or_b32 v16, v20, 9, v17
	s_waitcnt lgkmcnt(0)
	s_barrier
	s_and_saveexec_b64 s[0:1], s[18:19]
	s_cbranch_execz .LBB140_83
; %bb.78:
	v_mul_u32_u24_e32 v18, 0x208, v20
	ds_read_b64 v[10:11], v16 offset:32
	ds_read_b64 v[21:22], v18
	v_cmp_gt_u32_e64 s[10:11], 12, v14
	s_waitcnt lgkmcnt(0)
	v_fma_f64 v[10:11], v[10:11], v[21:22], 0
	s_and_saveexec_b64 s[14:15], s[10:11]
	s_cbranch_execnz .LBB140_1170
; %bb.79:
	s_or_b64 exec, exec, s[14:15]
	v_cmp_gt_u32_e64 s[10:11], 8, v14
	s_and_saveexec_b64 s[14:15], s[10:11]
	s_cbranch_execnz .LBB140_1171
.LBB140_80:
	s_or_b64 exec, exec, s[14:15]
	v_cmp_gt_u32_e64 s[10:11], 4, v14
	s_and_saveexec_b64 s[14:15], s[10:11]
	s_cbranch_execz .LBB140_82
.LBB140_81:
	v_lshlrev_b32_e32 v18, 3, v0
	v_mov_b32_e32 v23, 0
	ds_read_b64 v[21:22], v18 offset:1568
	ds_read_b64 v[23:24], v23 offset:24
	s_waitcnt lgkmcnt(0)
	v_fma_f64 v[10:11], v[21:22], v[23:24], v[10:11]
.LBB140_82:
	s_or_b64 exec, exec, s[14:15]
	v_xor_b32_e32 v11, 0x80000000, v11
.LBB140_83:
	s_or_b64 exec, exec, s[0:1]
	v_mov_b32_e32 v18, 0x8000
	v_cmp_eq_u32_e64 s[10:11], 0, v19
	s_xor_b64 s[0:1], s[8:9], -1
	v_lshl_add_u32 v18, v20, 3, v18
	s_and_b64 s[48:49], s[10:11], s[0:1]
	s_and_saveexec_b64 s[8:9], s[48:49]
; %bb.84:
	ds_write_b64 v18, v[10:11]
; %bb.85:
	s_or_b64 exec, exec, s[8:9]
	v_cmp_ne_u32_e64 s[8:9], 0, v19
	s_and_b64 s[50:51], s[8:9], s[0:1]
	s_waitcnt lgkmcnt(0)
	s_barrier
	s_and_saveexec_b64 s[8:9], s[50:51]
	s_cbranch_execz .LBB140_87
; %bb.86:
	ds_read_b64 v[21:22], v17 offset:2080
	ds_read_b64 v[23:24], v18
	s_waitcnt lgkmcnt(0)
	v_fma_f64 v[10:11], v[21:22], v[23:24], v[10:11]
.LBB140_87:
	s_or_b64 exec, exec, s[8:9]
	v_cmp_eq_u32_e64 s[8:9], 1, v19
	s_and_b64 s[52:53], s[8:9], s[0:1]
	s_barrier
	s_and_saveexec_b64 s[8:9], s[52:53]
; %bb.88:
	ds_write_b64 v18, v[10:11]
; %bb.89:
	s_or_b64 exec, exec, s[8:9]
	v_cmp_lt_u32_e64 s[8:9], 1, v19
	s_and_b64 s[54:55], s[8:9], s[0:1]
	s_waitcnt lgkmcnt(0)
	s_barrier
	s_and_saveexec_b64 s[8:9], s[54:55]
	s_cbranch_execz .LBB140_91
; %bb.90:
	ds_read_b64 v[21:22], v17 offset:2592
	ds_read_b64 v[23:24], v18
	s_waitcnt lgkmcnt(0)
	v_fma_f64 v[10:11], v[21:22], v[23:24], v[10:11]
.LBB140_91:
	s_or_b64 exec, exec, s[8:9]
	v_cmp_eq_u32_e64 s[8:9], 2, v19
	s_and_b64 s[56:57], s[8:9], s[0:1]
	s_barrier
	s_and_saveexec_b64 s[8:9], s[56:57]
; %bb.92:
	ds_write_b64 v18, v[10:11]
; %bb.93:
	s_or_b64 exec, exec, s[8:9]
	v_cmp_eq_u32_e64 s[8:9], 3, v19
	s_and_b64 s[46:47], s[8:9], s[0:1]
	s_waitcnt lgkmcnt(0)
	s_barrier
	s_and_saveexec_b64 s[0:1], s[46:47]
	s_cbranch_execz .LBB140_95
; %bb.94:
	v_mov_b32_e32 v21, 0
	ds_read_b64 v[21:22], v21 offset:3128
	ds_read_b64 v[23:24], v18
	s_waitcnt lgkmcnt(0)
	v_fma_f64 v[10:11], v[21:22], v[23:24], v[10:11]
.LBB140_95:
	s_or_b64 exec, exec, s[0:1]
	s_barrier
	s_and_saveexec_b64 s[0:1], s[46:47]
; %bb.96:
	ds_write_b64 v18, v[10:11]
; %bb.97:
	s_or_b64 exec, exec, s[0:1]
	s_waitcnt lgkmcnt(0)
	s_barrier
	s_barrier
	s_and_saveexec_b64 s[0:1], s[18:19]
; %bb.98:
	v_xor_b32_e32 v11, 0x80000000, v11
	ds_write_b64 v16, v[10:11] offset:32
; %bb.99:
	s_or_b64 exec, exec, s[0:1]
	v_cmp_gt_u32_e64 s[8:9], 4, v0
	s_and_b64 s[58:59], s[12:13], s[8:9]
	s_waitcnt lgkmcnt(0)
	s_barrier
	s_barrier
	s_and_saveexec_b64 s[0:1], s[58:59]
	s_cbranch_execz .LBB140_101
; %bb.100:
	v_lshlrev_b32_e32 v21, 9, v0
	ds_read_b64 v[10:11], v21 offset:32
	s_movk_i32 s8, 0xfe08
	v_mad_i32_i24 v22, v0, s8, v21
	s_waitcnt lgkmcnt(0)
	ds_write_b64 v22, v[10:11] offset:2048
	ds_read_b64 v[10:11], v21 offset:40
	s_waitcnt lgkmcnt(0)
	ds_write_b64 v22, v[10:11] offset:2560
	ds_read_b64 v[10:11], v21 offset:48
	;; [unrolled: 3-line block ×3, first 2 shown]
	s_waitcnt lgkmcnt(0)
	ds_write_b64 v22, v[10:11] offset:3584
.LBB140_101:
	s_or_b64 exec, exec, s[0:1]
	s_waitcnt lgkmcnt(0)
	s_barrier
	s_and_saveexec_b64 s[0:1], vcc
	s_cbranch_execz .LBB140_103
; %bb.102:
	v_mov_b32_e32 v23, 0
	ds_read_b64 v[21:22], v23 offset:2088
	v_mov_b32_e32 v24, 0x3ff00000
	ds_write_b64 v23, v[23:24] offset:2080
	s_waitcnt lgkmcnt(1)
	ds_write_b128 v23, v[21:24] offset:2592
.LBB140_103:
	s_or_b64 exec, exec, s[0:1]
	v_mov_b32_e32 v10, 0
	v_mov_b32_e32 v11, 0
	s_waitcnt lgkmcnt(0)
	s_barrier
	s_and_saveexec_b64 s[0:1], s[2:3]
	s_cbranch_execz .LBB140_107
; %bb.104:
	v_mul_u32_u24_e32 v21, 0x208, v15
	ds_read_b64 v[10:11], v12 offset:2096
	ds_read_b64 v[21:22], v21 offset:2080
	v_cmp_gt_u32_e64 s[8:9], 2, v14
	s_waitcnt lgkmcnt(0)
	v_fma_f64 v[10:11], v[10:11], v[21:22], 0
	s_and_saveexec_b64 s[10:11], s[8:9]
	s_cbranch_execz .LBB140_106
; %bb.105:
	v_lshlrev_b32_e32 v21, 3, v0
	v_mov_b32_e32 v23, 0
	ds_read_b64 v[21:22], v21 offset:2608
	ds_read_b64 v[23:24], v23 offset:2088
	s_waitcnt lgkmcnt(0)
	v_fma_f64 v[10:11], v[21:22], v[23:24], v[10:11]
.LBB140_106:
	s_or_b64 exec, exec, s[10:11]
	v_xor_b32_e32 v11, 0x80000000, v11
.LBB140_107:
	s_or_b64 exec, exec, s[0:1]
	s_and_saveexec_b64 s[0:1], s[42:43]
; %bb.108:
	ds_write_b64 v13, v[10:11]
; %bb.109:
	s_or_b64 exec, exec, s[0:1]
	s_waitcnt lgkmcnt(0)
	s_barrier
	s_and_saveexec_b64 s[0:1], s[40:41]
	s_cbranch_execz .LBB140_111
; %bb.110:
	v_mov_b32_e32 v21, 0
	ds_read_b64 v[21:22], v21 offset:3128
	ds_read_b64 v[23:24], v13
	s_waitcnt lgkmcnt(0)
	v_fma_f64 v[10:11], v[21:22], v[23:24], v[10:11]
.LBB140_111:
	s_or_b64 exec, exec, s[0:1]
	s_barrier
	s_and_saveexec_b64 s[0:1], s[40:41]
; %bb.112:
	ds_write_b64 v13, v[10:11]
; %bb.113:
	s_or_b64 exec, exec, s[0:1]
	s_waitcnt lgkmcnt(0)
	s_barrier
	s_barrier
	s_and_saveexec_b64 s[0:1], s[2:3]
; %bb.114:
	v_xor_b32_e32 v11, 0x80000000, v11
	ds_write_b64 v12, v[10:11] offset:2096
; %bb.115:
	s_or_b64 exec, exec, s[0:1]
	s_waitcnt lgkmcnt(0)
	s_barrier
	s_barrier
	s_and_saveexec_b64 s[0:1], s[44:45]
	s_cbranch_execz .LBB140_117
; %bb.116:
	v_lshlrev_b32_e32 v21, 3, v0
	s_movk_i32 s8, 0x1f8
	v_mad_u32_u24 v22, v0, s8, v21
	ds_read_b64 v[10:11], v22 offset:2096
	s_waitcnt lgkmcnt(0)
	ds_write_b64 v21, v[10:11] offset:3104
	ds_read_b64 v[10:11], v22 offset:2104
	s_waitcnt lgkmcnt(0)
	ds_write_b64 v21, v[10:11] offset:3616
.LBB140_117:
	s_or_b64 exec, exec, s[0:1]
	s_waitcnt lgkmcnt(0)
	s_barrier
	s_and_saveexec_b64 s[0:1], vcc
	s_cbranch_execz .LBB140_119
; %bb.118:
	v_mov_b32_e32 v23, 0
	ds_read_b64 v[21:22], v23 offset:3128
	v_mov_b32_e32 v24, 0x3ff00000
	ds_write_b64 v23, v[23:24] offset:3120
	s_waitcnt lgkmcnt(1)
	ds_write_b128 v23, v[21:24] offset:3632
.LBB140_119:
	s_or_b64 exec, exec, s[0:1]
	v_and_b32_e32 v24, 7, v0
	v_lshrrev_b32_e32 v25, 3, v14
	v_lshlrev_b32_e32 v22, 3, v24
	v_mov_b32_e32 v10, 0
	v_cmp_lt_u32_e64 s[10:11], 63, v14
	v_cmp_gt_u32_e64 s[8:9], 64, v14
	v_mov_b32_e32 v11, 0
	v_lshl_or_b32 v21, v25, 9, v22
	s_waitcnt lgkmcnt(0)
	s_barrier
	s_and_saveexec_b64 s[0:1], s[8:9]
	s_cbranch_execz .LBB140_129
; %bb.120:
	v_mul_u32_u24_e32 v23, 0x208, v25
	ds_read_b64 v[10:11], v21 offset:64
	ds_read_b64 v[26:27], v23
	v_cmp_gt_u32_e64 s[14:15], 56, v14
	s_waitcnt lgkmcnt(0)
	v_fma_f64 v[10:11], v[10:11], v[26:27], 0
	s_and_saveexec_b64 s[16:17], s[14:15]
	s_cbranch_execnz .LBB140_1172
; %bb.121:
	s_or_b64 exec, exec, s[16:17]
	v_cmp_gt_u32_e64 s[14:15], 48, v14
	s_and_saveexec_b64 s[16:17], s[14:15]
	s_cbranch_execnz .LBB140_1173
.LBB140_122:
	s_or_b64 exec, exec, s[16:17]
	v_cmp_gt_u32_e64 s[14:15], 40, v14
	s_and_saveexec_b64 s[16:17], s[14:15]
	s_cbranch_execnz .LBB140_1174
.LBB140_123:
	s_or_b64 exec, exec, s[16:17]
	v_cmp_gt_u32_e64 s[14:15], 32, v14
	s_and_saveexec_b64 s[16:17], s[14:15]
	s_cbranch_execnz .LBB140_1175
.LBB140_124:
	s_or_b64 exec, exec, s[16:17]
	v_cmp_gt_u32_e64 s[14:15], 24, v14
	s_and_saveexec_b64 s[16:17], s[14:15]
	s_cbranch_execnz .LBB140_1176
.LBB140_125:
	s_or_b64 exec, exec, s[16:17]
	v_cmp_gt_u32_e64 s[14:15], 16, v14
	s_and_saveexec_b64 s[16:17], s[14:15]
	s_cbranch_execnz .LBB140_1177
.LBB140_126:
	s_or_b64 exec, exec, s[16:17]
	v_cmp_gt_u32_e64 s[14:15], 8, v14
	s_and_saveexec_b64 s[16:17], s[14:15]
	s_cbranch_execz .LBB140_128
.LBB140_127:
	v_lshlrev_b32_e32 v23, 3, v0
	v_mov_b32_e32 v28, 0
	ds_read_b64 v[26:27], v23 offset:3648
	ds_read_b64 v[28:29], v28 offset:56
	s_waitcnt lgkmcnt(0)
	v_fma_f64 v[10:11], v[26:27], v[28:29], v[10:11]
.LBB140_128:
	s_or_b64 exec, exec, s[16:17]
	v_xor_b32_e32 v11, 0x80000000, v11
.LBB140_129:
	s_or_b64 exec, exec, s[0:1]
	v_mov_b32_e32 v23, 0x8000
	v_cmp_eq_u32_e64 s[14:15], 0, v24
	s_xor_b64 s[0:1], s[10:11], -1
	v_lshl_add_u32 v23, v25, 3, v23
	s_and_b64 s[60:61], s[14:15], s[0:1]
	s_and_saveexec_b64 s[10:11], s[60:61]
; %bb.130:
	ds_write_b64 v23, v[10:11]
; %bb.131:
	s_or_b64 exec, exec, s[10:11]
	v_cmp_ne_u32_e64 s[10:11], 0, v24
	s_and_b64 s[62:63], s[10:11], s[0:1]
	s_waitcnt lgkmcnt(0)
	s_barrier
	s_and_saveexec_b64 s[10:11], s[62:63]
	s_cbranch_execz .LBB140_133
; %bb.132:
	ds_read_b64 v[26:27], v22 offset:4160
	ds_read_b64 v[28:29], v23
	s_waitcnt lgkmcnt(0)
	v_fma_f64 v[10:11], v[26:27], v[28:29], v[10:11]
.LBB140_133:
	s_or_b64 exec, exec, s[10:11]
	v_cmp_eq_u32_e64 s[10:11], 1, v24
	s_and_b64 s[64:65], s[10:11], s[0:1]
	s_barrier
	s_and_saveexec_b64 s[10:11], s[64:65]
; %bb.134:
	ds_write_b64 v23, v[10:11]
; %bb.135:
	s_or_b64 exec, exec, s[10:11]
	v_cmp_lt_u32_e64 s[10:11], 1, v24
	s_and_b64 s[66:67], s[10:11], s[0:1]
	s_waitcnt lgkmcnt(0)
	s_barrier
	s_and_saveexec_b64 s[10:11], s[66:67]
	s_cbranch_execz .LBB140_137
; %bb.136:
	ds_read_b64 v[26:27], v22 offset:4672
	ds_read_b64 v[28:29], v23
	s_waitcnt lgkmcnt(0)
	v_fma_f64 v[10:11], v[26:27], v[28:29], v[10:11]
.LBB140_137:
	s_or_b64 exec, exec, s[10:11]
	v_cmp_eq_u32_e64 s[10:11], 2, v24
	s_and_b64 s[68:69], s[10:11], s[0:1]
	s_barrier
	s_and_saveexec_b64 s[10:11], s[68:69]
; %bb.138:
	ds_write_b64 v23, v[10:11]
; %bb.139:
	s_or_b64 exec, exec, s[10:11]
	v_cmp_lt_u32_e64 s[10:11], 2, v24
	;; [unrolled: 21-line block ×5, first 2 shown]
	s_and_b64 s[84:85], s[10:11], s[0:1]
	s_waitcnt lgkmcnt(0)
	s_barrier
	s_and_saveexec_b64 s[10:11], s[84:85]
	s_cbranch_execz .LBB140_153
; %bb.152:
	ds_read_b64 v[26:27], v22 offset:6720
	ds_read_b64 v[28:29], v23
	s_waitcnt lgkmcnt(0)
	v_fma_f64 v[10:11], v[26:27], v[28:29], v[10:11]
.LBB140_153:
	s_or_b64 exec, exec, s[10:11]
	v_cmp_eq_u32_e64 s[10:11], 6, v24
	s_and_b64 s[86:87], s[10:11], s[0:1]
	s_barrier
	s_and_saveexec_b64 s[10:11], s[86:87]
; %bb.154:
	ds_write_b64 v23, v[10:11]
; %bb.155:
	s_or_b64 exec, exec, s[10:11]
	v_cmp_eq_u32_e64 s[10:11], 7, v24
	s_and_b64 s[70:71], s[10:11], s[0:1]
	s_waitcnt lgkmcnt(0)
	s_barrier
	s_and_saveexec_b64 s[0:1], s[70:71]
	s_cbranch_execz .LBB140_157
; %bb.156:
	v_mov_b32_e32 v26, 0
	ds_read_b64 v[26:27], v26 offset:7288
	ds_read_b64 v[28:29], v23
	s_waitcnt lgkmcnt(0)
	v_fma_f64 v[10:11], v[26:27], v[28:29], v[10:11]
.LBB140_157:
	s_or_b64 exec, exec, s[0:1]
	s_barrier
	s_and_saveexec_b64 s[0:1], s[70:71]
; %bb.158:
	ds_write_b64 v23, v[10:11]
; %bb.159:
	s_or_b64 exec, exec, s[0:1]
	s_waitcnt lgkmcnt(0)
	s_barrier
	s_barrier
	s_and_saveexec_b64 s[0:1], s[8:9]
; %bb.160:
	v_xor_b32_e32 v11, 0x80000000, v11
	ds_write_b64 v21, v[10:11] offset:64
; %bb.161:
	s_or_b64 exec, exec, s[0:1]
	v_cmp_gt_u32_e64 s[10:11], 8, v0
	s_and_b64 s[88:89], s[12:13], s[10:11]
	s_waitcnt lgkmcnt(0)
	s_barrier
	s_barrier
	s_and_saveexec_b64 s[0:1], s[88:89]
	s_cbranch_execz .LBB140_163
; %bb.162:
	v_lshlrev_b32_e32 v26, 9, v0
	ds_read_b64 v[10:11], v26 offset:64
	s_movk_i32 s10, 0xfe08
	v_mad_i32_i24 v27, v0, s10, v26
	s_waitcnt lgkmcnt(0)
	ds_write_b64 v27, v[10:11] offset:4096
	ds_read_b64 v[10:11], v26 offset:72
	s_waitcnt lgkmcnt(0)
	ds_write_b64 v27, v[10:11] offset:4608
	ds_read_b64 v[10:11], v26 offset:80
	;; [unrolled: 3-line block ×7, first 2 shown]
	s_waitcnt lgkmcnt(0)
	ds_write_b64 v27, v[10:11] offset:7680
.LBB140_163:
	s_or_b64 exec, exec, s[0:1]
	s_waitcnt lgkmcnt(0)
	s_barrier
	s_and_saveexec_b64 s[0:1], vcc
	s_cbranch_execz .LBB140_165
; %bb.164:
	v_mov_b32_e32 v28, 0
	ds_read_b64 v[26:27], v28 offset:4168
	v_mov_b32_e32 v29, 0x3ff00000
	ds_write_b64 v28, v[28:29] offset:4160
	s_waitcnt lgkmcnt(1)
	ds_write_b128 v28, v[26:29] offset:4672
.LBB140_165:
	s_or_b64 exec, exec, s[0:1]
	v_mov_b32_e32 v10, 0
	v_mov_b32_e32 v11, 0
	s_waitcnt lgkmcnt(0)
	s_barrier
	s_and_saveexec_b64 s[0:1], s[2:3]
	s_cbranch_execz .LBB140_169
; %bb.166:
	v_mul_u32_u24_e32 v26, 0x208, v15
	ds_read_b64 v[10:11], v12 offset:4176
	ds_read_b64 v[26:27], v26 offset:4160
	v_cmp_gt_u32_e64 s[10:11], 2, v14
	s_waitcnt lgkmcnt(0)
	v_fma_f64 v[10:11], v[10:11], v[26:27], 0
	s_and_saveexec_b64 s[14:15], s[10:11]
	s_cbranch_execz .LBB140_168
; %bb.167:
	v_lshlrev_b32_e32 v26, 3, v0
	v_mov_b32_e32 v28, 0
	ds_read_b64 v[26:27], v26 offset:4688
	ds_read_b64 v[28:29], v28 offset:4168
	s_waitcnt lgkmcnt(0)
	v_fma_f64 v[10:11], v[26:27], v[28:29], v[10:11]
.LBB140_168:
	s_or_b64 exec, exec, s[14:15]
	v_xor_b32_e32 v11, 0x80000000, v11
.LBB140_169:
	s_or_b64 exec, exec, s[0:1]
	s_and_saveexec_b64 s[0:1], s[42:43]
; %bb.170:
	ds_write_b64 v13, v[10:11]
; %bb.171:
	s_or_b64 exec, exec, s[0:1]
	s_waitcnt lgkmcnt(0)
	s_barrier
	s_and_saveexec_b64 s[0:1], s[40:41]
	s_cbranch_execz .LBB140_173
; %bb.172:
	v_mov_b32_e32 v26, 0
	ds_read_b64 v[26:27], v26 offset:5208
	ds_read_b64 v[28:29], v13
	s_waitcnt lgkmcnt(0)
	v_fma_f64 v[10:11], v[26:27], v[28:29], v[10:11]
.LBB140_173:
	s_or_b64 exec, exec, s[0:1]
	s_barrier
	s_and_saveexec_b64 s[0:1], s[40:41]
; %bb.174:
	ds_write_b64 v13, v[10:11]
; %bb.175:
	s_or_b64 exec, exec, s[0:1]
	s_waitcnt lgkmcnt(0)
	s_barrier
	s_barrier
	s_and_saveexec_b64 s[0:1], s[2:3]
; %bb.176:
	v_xor_b32_e32 v11, 0x80000000, v11
	ds_write_b64 v12, v[10:11] offset:4176
; %bb.177:
	s_or_b64 exec, exec, s[0:1]
	s_waitcnt lgkmcnt(0)
	s_barrier
	s_barrier
	s_and_saveexec_b64 s[0:1], s[44:45]
	s_cbranch_execz .LBB140_179
; %bb.178:
	v_lshlrev_b32_e32 v26, 3, v0
	s_movk_i32 s10, 0x1f8
	v_mad_u32_u24 v27, v0, s10, v26
	ds_read_b64 v[10:11], v27 offset:4176
	s_waitcnt lgkmcnt(0)
	ds_write_b64 v26, v[10:11] offset:5184
	ds_read_b64 v[10:11], v27 offset:4184
	s_waitcnt lgkmcnt(0)
	ds_write_b64 v26, v[10:11] offset:5696
.LBB140_179:
	s_or_b64 exec, exec, s[0:1]
	s_waitcnt lgkmcnt(0)
	s_barrier
	s_and_saveexec_b64 s[0:1], vcc
	s_cbranch_execz .LBB140_181
; %bb.180:
	v_mov_b32_e32 v28, 0
	ds_read_b64 v[26:27], v28 offset:5208
	v_mov_b32_e32 v29, 0x3ff00000
	ds_write_b64 v28, v[28:29] offset:5200
	s_waitcnt lgkmcnt(1)
	ds_write_b128 v28, v[26:29] offset:5712
.LBB140_181:
	s_or_b64 exec, exec, s[0:1]
	v_mov_b32_e32 v10, 0
	v_mov_b32_e32 v11, 0
	s_waitcnt lgkmcnt(0)
	s_barrier
	s_and_saveexec_b64 s[0:1], s[18:19]
	s_cbranch_execz .LBB140_187
; %bb.182:
	v_mul_u32_u24_e32 v26, 0x208, v20
	ds_read_b64 v[10:11], v16 offset:4192
	ds_read_b64 v[27:28], v26 offset:4160
	v_cmp_gt_u32_e64 s[10:11], 12, v14
	s_waitcnt lgkmcnt(0)
	v_fma_f64 v[10:11], v[10:11], v[27:28], 0
	s_and_saveexec_b64 s[14:15], s[10:11]
	s_cbranch_execnz .LBB140_1178
; %bb.183:
	s_or_b64 exec, exec, s[14:15]
	v_cmp_gt_u32_e64 s[10:11], 8, v14
	s_and_saveexec_b64 s[14:15], s[10:11]
	s_cbranch_execnz .LBB140_1179
.LBB140_184:
	s_or_b64 exec, exec, s[14:15]
	v_cmp_gt_u32_e64 s[10:11], 4, v14
	s_and_saveexec_b64 s[14:15], s[10:11]
	s_cbranch_execz .LBB140_186
.LBB140_185:
	v_lshlrev_b32_e32 v26, 3, v0
	v_mov_b32_e32 v28, 0
	ds_read_b64 v[26:27], v26 offset:5728
	ds_read_b64 v[28:29], v28 offset:4184
	s_waitcnt lgkmcnt(0)
	v_fma_f64 v[10:11], v[26:27], v[28:29], v[10:11]
.LBB140_186:
	s_or_b64 exec, exec, s[14:15]
	v_xor_b32_e32 v11, 0x80000000, v11
.LBB140_187:
	s_or_b64 exec, exec, s[0:1]
	s_and_saveexec_b64 s[0:1], s[48:49]
; %bb.188:
	ds_write_b64 v18, v[10:11]
; %bb.189:
	s_or_b64 exec, exec, s[0:1]
	s_waitcnt lgkmcnt(0)
	s_barrier
	s_and_saveexec_b64 s[0:1], s[50:51]
	s_cbranch_execz .LBB140_191
; %bb.190:
	ds_read_b64 v[26:27], v17 offset:6240
	ds_read_b64 v[28:29], v18
	s_waitcnt lgkmcnt(0)
	v_fma_f64 v[10:11], v[26:27], v[28:29], v[10:11]
.LBB140_191:
	s_or_b64 exec, exec, s[0:1]
	s_barrier
	s_and_saveexec_b64 s[0:1], s[52:53]
; %bb.192:
	ds_write_b64 v18, v[10:11]
; %bb.193:
	s_or_b64 exec, exec, s[0:1]
	s_waitcnt lgkmcnt(0)
	s_barrier
	s_and_saveexec_b64 s[0:1], s[54:55]
	s_cbranch_execz .LBB140_195
; %bb.194:
	ds_read_b64 v[26:27], v17 offset:6752
	ds_read_b64 v[28:29], v18
	s_waitcnt lgkmcnt(0)
	v_fma_f64 v[10:11], v[26:27], v[28:29], v[10:11]
.LBB140_195:
	s_or_b64 exec, exec, s[0:1]
	s_barrier
	s_and_saveexec_b64 s[0:1], s[56:57]
; %bb.196:
	ds_write_b64 v18, v[10:11]
; %bb.197:
	s_or_b64 exec, exec, s[0:1]
	s_waitcnt lgkmcnt(0)
	s_barrier
	s_and_saveexec_b64 s[0:1], s[46:47]
	s_cbranch_execz .LBB140_199
; %bb.198:
	v_mov_b32_e32 v26, 0
	ds_read_b64 v[26:27], v26 offset:7288
	ds_read_b64 v[28:29], v18
	s_waitcnt lgkmcnt(0)
	v_fma_f64 v[10:11], v[26:27], v[28:29], v[10:11]
.LBB140_199:
	s_or_b64 exec, exec, s[0:1]
	s_barrier
	s_and_saveexec_b64 s[0:1], s[46:47]
; %bb.200:
	ds_write_b64 v18, v[10:11]
; %bb.201:
	s_or_b64 exec, exec, s[0:1]
	s_waitcnt lgkmcnt(0)
	s_barrier
	s_barrier
	s_and_saveexec_b64 s[0:1], s[18:19]
; %bb.202:
	v_xor_b32_e32 v11, 0x80000000, v11
	ds_write_b64 v16, v[10:11] offset:4192
; %bb.203:
	s_or_b64 exec, exec, s[0:1]
	s_waitcnt lgkmcnt(0)
	s_barrier
	s_barrier
	s_and_saveexec_b64 s[0:1], s[58:59]
	s_cbranch_execz .LBB140_205
; %bb.204:
	v_lshlrev_b32_e32 v26, 9, v0
	ds_read_b64 v[10:11], v26 offset:4192
	s_movk_i32 s10, 0xfe08
	v_mad_i32_i24 v27, v0, s10, v26
	s_waitcnt lgkmcnt(0)
	ds_write_b64 v27, v[10:11] offset:6208
	ds_read_b64 v[10:11], v26 offset:4200
	s_waitcnt lgkmcnt(0)
	ds_write_b64 v27, v[10:11] offset:6720
	ds_read_b64 v[10:11], v26 offset:4208
	;; [unrolled: 3-line block ×3, first 2 shown]
	s_waitcnt lgkmcnt(0)
	ds_write_b64 v27, v[10:11] offset:7744
.LBB140_205:
	s_or_b64 exec, exec, s[0:1]
	s_waitcnt lgkmcnt(0)
	s_barrier
	s_and_saveexec_b64 s[0:1], vcc
	s_cbranch_execz .LBB140_207
; %bb.206:
	v_mov_b32_e32 v28, 0
	ds_read_b64 v[26:27], v28 offset:6248
	v_mov_b32_e32 v29, 0x3ff00000
	ds_write_b64 v28, v[28:29] offset:6240
	s_waitcnt lgkmcnt(1)
	ds_write_b128 v28, v[26:29] offset:6752
.LBB140_207:
	s_or_b64 exec, exec, s[0:1]
	v_mov_b32_e32 v10, 0
	v_mov_b32_e32 v11, 0
	s_waitcnt lgkmcnt(0)
	s_barrier
	s_and_saveexec_b64 s[0:1], s[2:3]
	s_cbranch_execz .LBB140_211
; %bb.208:
	v_mul_u32_u24_e32 v26, 0x208, v15
	ds_read_b64 v[10:11], v12 offset:6256
	ds_read_b64 v[26:27], v26 offset:6240
	v_cmp_gt_u32_e64 s[10:11], 2, v14
	s_waitcnt lgkmcnt(0)
	v_fma_f64 v[10:11], v[10:11], v[26:27], 0
	s_and_saveexec_b64 s[14:15], s[10:11]
	s_cbranch_execz .LBB140_210
; %bb.209:
	v_lshlrev_b32_e32 v26, 3, v0
	v_mov_b32_e32 v28, 0
	ds_read_b64 v[26:27], v26 offset:6768
	ds_read_b64 v[28:29], v28 offset:6248
	s_waitcnt lgkmcnt(0)
	v_fma_f64 v[10:11], v[26:27], v[28:29], v[10:11]
.LBB140_210:
	s_or_b64 exec, exec, s[14:15]
	v_xor_b32_e32 v11, 0x80000000, v11
.LBB140_211:
	s_or_b64 exec, exec, s[0:1]
	s_and_saveexec_b64 s[0:1], s[42:43]
; %bb.212:
	ds_write_b64 v13, v[10:11]
; %bb.213:
	s_or_b64 exec, exec, s[0:1]
	s_waitcnt lgkmcnt(0)
	s_barrier
	s_and_saveexec_b64 s[0:1], s[40:41]
	s_cbranch_execz .LBB140_215
; %bb.214:
	v_mov_b32_e32 v26, 0
	ds_read_b64 v[26:27], v26 offset:7288
	ds_read_b64 v[28:29], v13
	s_waitcnt lgkmcnt(0)
	v_fma_f64 v[10:11], v[26:27], v[28:29], v[10:11]
.LBB140_215:
	s_or_b64 exec, exec, s[0:1]
	s_barrier
	s_and_saveexec_b64 s[0:1], s[40:41]
; %bb.216:
	ds_write_b64 v13, v[10:11]
; %bb.217:
	s_or_b64 exec, exec, s[0:1]
	s_waitcnt lgkmcnt(0)
	s_barrier
	s_barrier
	s_and_saveexec_b64 s[0:1], s[2:3]
; %bb.218:
	v_xor_b32_e32 v11, 0x80000000, v11
	ds_write_b64 v12, v[10:11] offset:6256
; %bb.219:
	s_or_b64 exec, exec, s[0:1]
	s_waitcnt lgkmcnt(0)
	s_barrier
	s_barrier
	s_and_saveexec_b64 s[0:1], s[44:45]
	s_cbranch_execz .LBB140_221
; %bb.220:
	v_lshlrev_b32_e32 v26, 3, v0
	s_movk_i32 s10, 0x1f8
	v_mad_u32_u24 v27, v0, s10, v26
	ds_read_b64 v[10:11], v27 offset:6256
	s_waitcnt lgkmcnt(0)
	ds_write_b64 v26, v[10:11] offset:7264
	ds_read_b64 v[10:11], v27 offset:6264
	s_waitcnt lgkmcnt(0)
	ds_write_b64 v26, v[10:11] offset:7776
.LBB140_221:
	s_or_b64 exec, exec, s[0:1]
	s_waitcnt lgkmcnt(0)
	s_barrier
	s_and_saveexec_b64 s[0:1], vcc
	s_cbranch_execz .LBB140_223
; %bb.222:
	v_mov_b32_e32 v28, 0
	ds_read_b64 v[26:27], v28 offset:7288
	v_mov_b32_e32 v29, 0x3ff00000
	ds_write_b64 v28, v[28:29] offset:7280
	s_waitcnt lgkmcnt(1)
	ds_write_b128 v28, v[26:29] offset:7792
.LBB140_223:
	s_or_b64 exec, exec, s[0:1]
	v_lshrrev_b32_e32 v30, 4, v14
	v_and_b32_e32 v27, 15, v0
	s_movk_i32 s0, 0xff
	v_lshlrev_b32_e32 v29, 6, v30
	v_cmp_lt_u32_e64 s[14:15], s0, v14
	s_movk_i32 s0, 0x100
	v_or_b32_e32 v26, v29, v27
	v_mov_b32_e32 v10, 0
	v_cmp_gt_u32_e64 s[10:11], s0, v14
	v_mov_b32_e32 v11, 0
	v_lshlrev_b32_e32 v26, 3, v26
	s_waitcnt lgkmcnt(0)
	s_barrier
	s_and_saveexec_b64 s[0:1], s[10:11]
	s_cbranch_execz .LBB140_251
; %bb.224:
	v_mul_u32_u24_e32 v28, 0x208, v30
	ds_read_b64 v[10:11], v26 offset:128
	ds_read_b64 v[31:32], v28
	s_movk_i32 s16, 0xf0
	v_cmp_gt_u32_e64 s[16:17], s16, v14
	s_waitcnt lgkmcnt(0)
	v_fma_f64 v[10:11], v[10:11], v[31:32], 0
	s_and_saveexec_b64 s[20:21], s[16:17]
	s_cbranch_execz .LBB140_226
; %bb.225:
	v_lshlrev_b32_e32 v31, 3, v30
	v_sub_u32_e32 v31, v28, v31
	v_lshl_add_u32 v31, v27, 3, v31
	ds_read_b64 v[31:32], v31 offset:640
	ds_read_b64 v[33:34], v28 offset:8
	s_waitcnt lgkmcnt(0)
	v_fma_f64 v[10:11], v[31:32], v[33:34], v[10:11]
.LBB140_226:
	s_or_b64 exec, exec, s[20:21]
	s_movk_i32 s16, 0xe0
	v_cmp_gt_u32_e64 s[16:17], s16, v14
	s_and_saveexec_b64 s[20:21], s[16:17]
	s_cbranch_execz .LBB140_228
; %bb.227:
	v_lshlrev_b32_e32 v31, 3, v30
	v_sub_u32_e32 v31, v28, v31
	v_lshl_add_u32 v31, v27, 3, v31
	ds_read_b64 v[31:32], v31 offset:1152
	ds_read_b64 v[33:34], v28 offset:16
	s_waitcnt lgkmcnt(0)
	v_fma_f64 v[10:11], v[31:32], v[33:34], v[10:11]
.LBB140_228:
	s_or_b64 exec, exec, s[20:21]
	s_movk_i32 s16, 0xd0
	v_cmp_gt_u32_e64 s[16:17], s16, v14
	;; [unrolled: 14-line block ×7, first 2 shown]
	s_and_saveexec_b64 s[20:21], s[16:17]
	s_cbranch_execz .LBB140_240
; %bb.239:
	ds_read_b64 v[31:32], v26 offset:4224
	ds_read_b64 v[33:34], v28 offset:64
	s_waitcnt lgkmcnt(0)
	v_fma_f64 v[10:11], v[31:32], v[33:34], v[10:11]
.LBB140_240:
	s_or_b64 exec, exec, s[20:21]
	s_movk_i32 s16, 0x70
	v_cmp_gt_u32_e64 s[16:17], s16, v14
	s_and_saveexec_b64 s[20:21], s[16:17]
	s_cbranch_execz .LBB140_242
; %bb.241:
	v_lshlrev_b32_e32 v31, 3, v30
	v_sub_u32_e32 v31, v28, v31
	v_lshl_add_u32 v31, v27, 3, v31
	ds_read_b64 v[31:32], v31 offset:4736
	ds_read_b64 v[33:34], v28 offset:72
	s_waitcnt lgkmcnt(0)
	v_fma_f64 v[10:11], v[31:32], v[33:34], v[10:11]
.LBB140_242:
	s_or_b64 exec, exec, s[20:21]
	s_movk_i32 s16, 0x60
	v_cmp_gt_u32_e64 s[16:17], s16, v14
	s_and_saveexec_b64 s[20:21], s[16:17]
	s_cbranch_execz .LBB140_244
; %bb.243:
	v_lshlrev_b32_e32 v31, 3, v27
	v_lshl_add_u32 v31, v29, 3, v31
	ds_read_b64 v[31:32], v31 offset:5248
	ds_read_b64 v[33:34], v28 offset:80
	s_waitcnt lgkmcnt(0)
	v_fma_f64 v[10:11], v[31:32], v[33:34], v[10:11]
.LBB140_244:
	s_or_b64 exec, exec, s[20:21]
	s_movk_i32 s16, 0x50
	v_cmp_gt_u32_e64 s[16:17], s16, v14
	s_and_saveexec_b64 s[20:21], s[16:17]
	s_cbranch_execnz .LBB140_1180
; %bb.245:
	s_or_b64 exec, exec, s[20:21]
	v_cmp_gt_u32_e64 s[16:17], 64, v14
	s_and_saveexec_b64 s[20:21], s[16:17]
	s_cbranch_execnz .LBB140_1181
.LBB140_246:
	s_or_b64 exec, exec, s[20:21]
	v_cmp_gt_u32_e64 s[16:17], 48, v14
	s_and_saveexec_b64 s[20:21], s[16:17]
	s_cbranch_execnz .LBB140_1182
.LBB140_247:
	s_or_b64 exec, exec, s[20:21]
	v_cmp_gt_u32_e64 s[16:17], 32, v14
	s_and_saveexec_b64 s[20:21], s[16:17]
	s_cbranch_execnz .LBB140_1183
.LBB140_248:
	s_or_b64 exec, exec, s[20:21]
	v_cmp_gt_u32_e64 s[16:17], 16, v14
	s_and_saveexec_b64 s[20:21], s[16:17]
	s_cbranch_execz .LBB140_250
.LBB140_249:
	v_lshlrev_b32_e32 v28, 3, v0
	v_mov_b32_e32 v33, 0
	ds_read_b64 v[31:32], v28 offset:7808
	ds_read_b64 v[33:34], v33 offset:120
	s_waitcnt lgkmcnt(0)
	v_fma_f64 v[10:11], v[31:32], v[33:34], v[10:11]
.LBB140_250:
	s_or_b64 exec, exec, s[20:21]
	v_xor_b32_e32 v11, 0x80000000, v11
.LBB140_251:
	s_or_b64 exec, exec, s[0:1]
	v_mov_b32_e32 v28, 0x8000
	v_lshl_add_u32 v28, v30, 3, v28
	v_cmp_eq_u32_e64 s[16:17], 0, v27
	s_xor_b64 s[20:21], s[14:15], -1
	s_and_b64 s[14:15], s[16:17], s[20:21]
	s_mov_b64 s[0:1], exec
	v_writelane_b32 v40, s14, 4
	v_writelane_b32 v40, s15, 5
	s_and_b64 s[14:15], s[0:1], s[14:15]
	s_mov_b64 exec, s[14:15]
; %bb.252:
	ds_write_b64 v28, v[10:11]
; %bb.253:
	s_or_b64 exec, exec, s[0:1]
	v_cmp_ne_u32_e64 s[14:15], 0, v27
	s_waitcnt lgkmcnt(0)
	s_barrier
	s_and_b64 s[14:15], s[14:15], s[20:21]
	s_mov_b64 s[0:1], exec
	v_writelane_b32 v40, s14, 6
	v_writelane_b32 v40, s15, 7
	s_and_b64 s[14:15], s[0:1], s[14:15]
	s_mov_b64 exec, s[14:15]
	s_cbranch_execz .LBB140_255
; %bb.254:
	v_lshlrev_b32_e32 v31, 3, v27
	ds_read_b64 v[31:32], v31 offset:8320
	ds_read_b64 v[33:34], v28
	s_waitcnt lgkmcnt(0)
	v_fma_f64 v[10:11], v[31:32], v[33:34], v[10:11]
.LBB140_255:
	s_or_b64 exec, exec, s[0:1]
	v_cmp_eq_u32_e64 s[14:15], 1, v27
	s_barrier
	s_and_b64 s[14:15], s[14:15], s[20:21]
	s_mov_b64 s[0:1], exec
	v_writelane_b32 v40, s14, 8
	v_writelane_b32 v40, s15, 9
	s_and_b64 s[14:15], s[0:1], s[14:15]
	s_mov_b64 exec, s[14:15]
; %bb.256:
	ds_write_b64 v28, v[10:11]
; %bb.257:
	s_or_b64 exec, exec, s[0:1]
	v_cmp_lt_u32_e64 s[14:15], 1, v27
	s_waitcnt lgkmcnt(0)
	s_barrier
	s_and_b64 s[14:15], s[14:15], s[20:21]
	s_mov_b64 s[0:1], exec
	v_writelane_b32 v40, s14, 10
	v_writelane_b32 v40, s15, 11
	s_and_b64 s[14:15], s[0:1], s[14:15]
	s_mov_b64 exec, s[14:15]
	s_cbranch_execz .LBB140_259
; %bb.258:
	v_lshlrev_b32_e32 v31, 3, v27
	ds_read_b64 v[31:32], v31 offset:8832
	ds_read_b64 v[33:34], v28
	s_waitcnt lgkmcnt(0)
	v_fma_f64 v[10:11], v[31:32], v[33:34], v[10:11]
.LBB140_259:
	s_or_b64 exec, exec, s[0:1]
	v_cmp_eq_u32_e64 s[14:15], 2, v27
	s_barrier
	s_and_b64 s[14:15], s[14:15], s[20:21]
	s_mov_b64 s[0:1], exec
	v_writelane_b32 v40, s14, 12
	v_writelane_b32 v40, s15, 13
	s_and_b64 s[14:15], s[0:1], s[14:15]
	s_mov_b64 exec, s[14:15]
; %bb.260:
	ds_write_b64 v28, v[10:11]
; %bb.261:
	s_or_b64 exec, exec, s[0:1]
	v_cmp_lt_u32_e64 s[14:15], 2, v27
	;; [unrolled: 30-line block ×13, first 2 shown]
	s_waitcnt lgkmcnt(0)
	s_barrier
	s_and_b64 s[14:15], s[14:15], s[20:21]
	s_mov_b64 s[0:1], exec
	v_writelane_b32 v40, s14, 58
	v_writelane_b32 v40, s15, 59
	s_and_b64 s[14:15], s[0:1], s[14:15]
	s_mov_b64 exec, s[14:15]
	s_cbranch_execz .LBB140_307
; %bb.306:
	v_lshlrev_b32_e32 v31, 3, v27
	ds_read_b64 v[31:32], v31 offset:14976
	ds_read_b64 v[33:34], v28
	s_waitcnt lgkmcnt(0)
	v_fma_f64 v[10:11], v[31:32], v[33:34], v[10:11]
.LBB140_307:
	s_or_b64 exec, exec, s[0:1]
	v_cmp_eq_u32_e64 s[14:15], 14, v27
	s_barrier
	s_and_b64 s[14:15], s[14:15], s[20:21]
	s_mov_b64 s[0:1], exec
	v_writelane_b32 v40, s14, 60
	v_writelane_b32 v40, s15, 61
	s_and_b64 s[14:15], s[0:1], s[14:15]
	s_mov_b64 exec, s[14:15]
; %bb.308:
	ds_write_b64 v28, v[10:11]
; %bb.309:
	s_or_b64 exec, exec, s[0:1]
	v_cmp_eq_u32_e64 s[14:15], 15, v27
	s_and_b64 s[92:93], s[14:15], s[20:21]
	s_waitcnt lgkmcnt(0)
	s_barrier
	s_and_saveexec_b64 s[0:1], s[92:93]
	s_cbranch_execz .LBB140_311
; %bb.310:
	v_mov_b32_e32 v31, 0
	ds_read_b64 v[31:32], v31 offset:15608
	ds_read_b64 v[33:34], v28
	s_waitcnt lgkmcnt(0)
	v_fma_f64 v[10:11], v[31:32], v[33:34], v[10:11]
.LBB140_311:
	s_or_b64 exec, exec, s[0:1]
	s_barrier
	s_and_saveexec_b64 s[0:1], s[92:93]
; %bb.312:
	ds_write_b64 v28, v[10:11]
; %bb.313:
	s_or_b64 exec, exec, s[0:1]
	s_waitcnt lgkmcnt(0)
	s_barrier
	s_barrier
	s_and_saveexec_b64 s[0:1], s[10:11]
; %bb.314:
	v_xor_b32_e32 v11, 0x80000000, v11
	ds_write_b64 v26, v[10:11] offset:128
; %bb.315:
	s_or_b64 exec, exec, s[0:1]
	v_cmp_gt_u32_e64 s[14:15], 16, v0
	s_waitcnt lgkmcnt(0)
	s_barrier
	s_barrier
	s_and_b64 s[0:1], s[12:13], s[14:15]
	s_mov_b64 s[14:15], exec
	v_writelane_b32 v40, s0, 62
	v_writelane_b32 v40, s1, 63
	s_and_b64 s[0:1], s[14:15], s[0:1]
	s_mov_b64 exec, s[0:1]
	s_cbranch_execz .LBB140_317
; %bb.316:
	v_lshlrev_b32_e32 v31, 9, v0
	ds_read_b64 v[10:11], v31 offset:128
	s_movk_i32 s0, 0xfe08
	v_mad_i32_i24 v32, v0, s0, v31
	s_waitcnt lgkmcnt(0)
	ds_write_b64 v32, v[10:11] offset:8192
	ds_read_b64 v[10:11], v31 offset:136
	s_waitcnt lgkmcnt(0)
	ds_write_b64 v32, v[10:11] offset:8704
	ds_read_b64 v[10:11], v31 offset:144
	;; [unrolled: 3-line block ×15, first 2 shown]
	s_waitcnt lgkmcnt(0)
	ds_write_b64 v32, v[10:11] offset:15872
.LBB140_317:
	s_or_b64 exec, exec, s[14:15]
	s_waitcnt lgkmcnt(0)
	s_barrier
	s_and_saveexec_b64 s[14:15], vcc
	s_cbranch_execz .LBB140_319
; %bb.318:
	v_mov_b32_e32 v33, 0
	ds_read_b64 v[31:32], v33 offset:8328
	v_mov_b32_e32 v34, 0x3ff00000
	ds_write_b64 v33, v[33:34] offset:8320
	s_waitcnt lgkmcnt(1)
	ds_write_b128 v33, v[31:34] offset:8832
.LBB140_319:
	s_or_b64 exec, exec, s[14:15]
	v_mov_b32_e32 v10, 0
	v_mov_b32_e32 v11, 0
	s_waitcnt lgkmcnt(0)
	s_barrier
	s_and_saveexec_b64 s[16:17], s[2:3]
	s_cbranch_execz .LBB140_323
; %bb.320:
	v_mul_u32_u24_e32 v31, 0x208, v15
	ds_read_b64 v[10:11], v12 offset:8336
	ds_read_b64 v[31:32], v31 offset:8320
	v_cmp_gt_u32_e64 s[14:15], 2, v14
	s_waitcnt lgkmcnt(0)
	v_fma_f64 v[10:11], v[10:11], v[31:32], 0
	s_and_saveexec_b64 s[20:21], s[14:15]
	s_cbranch_execz .LBB140_322
; %bb.321:
	v_lshlrev_b32_e32 v31, 3, v0
	v_mov_b32_e32 v33, 0
	ds_read_b64 v[31:32], v31 offset:8848
	ds_read_b64 v[33:34], v33 offset:8328
	s_waitcnt lgkmcnt(0)
	v_fma_f64 v[10:11], v[31:32], v[33:34], v[10:11]
.LBB140_322:
	s_or_b64 exec, exec, s[20:21]
	v_xor_b32_e32 v11, 0x80000000, v11
.LBB140_323:
	s_or_b64 exec, exec, s[16:17]
	s_and_saveexec_b64 s[0:1], s[42:43]
; %bb.324:
	ds_write_b64 v13, v[10:11]
; %bb.325:
	s_or_b64 exec, exec, s[0:1]
	s_waitcnt lgkmcnt(0)
	s_barrier
	s_and_saveexec_b64 s[0:1], s[40:41]
	s_cbranch_execz .LBB140_327
; %bb.326:
	v_mov_b32_e32 v31, 0
	ds_read_b64 v[31:32], v31 offset:9368
	ds_read_b64 v[33:34], v13
	s_waitcnt lgkmcnt(0)
	v_fma_f64 v[10:11], v[31:32], v[33:34], v[10:11]
.LBB140_327:
	s_or_b64 exec, exec, s[0:1]
	s_barrier
	s_and_saveexec_b64 s[0:1], s[40:41]
; %bb.328:
	ds_write_b64 v13, v[10:11]
; %bb.329:
	s_or_b64 exec, exec, s[0:1]
	s_waitcnt lgkmcnt(0)
	s_barrier
	s_barrier
	s_and_saveexec_b64 s[0:1], s[2:3]
; %bb.330:
	v_xor_b32_e32 v11, 0x80000000, v11
	ds_write_b64 v12, v[10:11] offset:8336
; %bb.331:
	s_or_b64 exec, exec, s[0:1]
	s_waitcnt lgkmcnt(0)
	s_barrier
	s_barrier
	s_and_saveexec_b64 s[14:15], s[44:45]
	s_cbranch_execz .LBB140_333
; %bb.332:
	v_lshlrev_b32_e32 v31, 3, v0
	s_movk_i32 s0, 0x1f8
	v_mad_u32_u24 v32, v0, s0, v31
	ds_read_b64 v[10:11], v32 offset:8336
	s_waitcnt lgkmcnt(0)
	ds_write_b64 v31, v[10:11] offset:9344
	ds_read_b64 v[10:11], v32 offset:8344
	s_waitcnt lgkmcnt(0)
	ds_write_b64 v31, v[10:11] offset:9856
.LBB140_333:
	s_or_b64 exec, exec, s[14:15]
	s_waitcnt lgkmcnt(0)
	s_barrier
	s_and_saveexec_b64 s[14:15], vcc
	s_cbranch_execz .LBB140_335
; %bb.334:
	v_mov_b32_e32 v33, 0
	ds_read_b64 v[31:32], v33 offset:9368
	v_mov_b32_e32 v34, 0x3ff00000
	ds_write_b64 v33, v[33:34] offset:9360
	s_waitcnt lgkmcnt(1)
	ds_write_b128 v33, v[31:34] offset:9872
.LBB140_335:
	s_or_b64 exec, exec, s[14:15]
	v_mov_b32_e32 v10, 0
	v_mov_b32_e32 v11, 0
	s_waitcnt lgkmcnt(0)
	s_barrier
	s_and_saveexec_b64 s[16:17], s[18:19]
	s_cbranch_execz .LBB140_341
; %bb.336:
	v_mul_u32_u24_e32 v31, 0x208, v20
	ds_read_b64 v[10:11], v16 offset:8352
	ds_read_b64 v[32:33], v31 offset:8320
	v_cmp_gt_u32_e64 s[14:15], 12, v14
	s_waitcnt lgkmcnt(0)
	v_fma_f64 v[10:11], v[10:11], v[32:33], 0
	s_and_saveexec_b64 s[20:21], s[14:15]
	s_cbranch_execnz .LBB140_1184
; %bb.337:
	s_or_b64 exec, exec, s[20:21]
	v_cmp_gt_u32_e64 s[14:15], 8, v14
	s_and_saveexec_b64 s[0:1], s[14:15]
	s_cbranch_execnz .LBB140_1185
.LBB140_338:
	s_or_b64 exec, exec, s[0:1]
	v_cmp_gt_u32_e64 s[14:15], 4, v14
	s_and_saveexec_b64 s[20:21], s[14:15]
	s_cbranch_execz .LBB140_340
.LBB140_339:
	v_lshlrev_b32_e32 v31, 3, v0
	v_mov_b32_e32 v33, 0
	ds_read_b64 v[31:32], v31 offset:9888
	ds_read_b64 v[33:34], v33 offset:8344
	s_waitcnt lgkmcnt(0)
	v_fma_f64 v[10:11], v[31:32], v[33:34], v[10:11]
.LBB140_340:
	s_or_b64 exec, exec, s[20:21]
	v_xor_b32_e32 v11, 0x80000000, v11
.LBB140_341:
	s_or_b64 exec, exec, s[16:17]
	s_and_saveexec_b64 s[0:1], s[48:49]
; %bb.342:
	ds_write_b64 v18, v[10:11]
; %bb.343:
	s_or_b64 exec, exec, s[0:1]
	s_waitcnt lgkmcnt(0)
	s_barrier
	s_and_saveexec_b64 s[0:1], s[50:51]
	s_cbranch_execz .LBB140_345
; %bb.344:
	ds_read_b64 v[31:32], v17 offset:10400
	ds_read_b64 v[33:34], v18
	s_waitcnt lgkmcnt(0)
	v_fma_f64 v[10:11], v[31:32], v[33:34], v[10:11]
.LBB140_345:
	s_or_b64 exec, exec, s[0:1]
	s_barrier
	s_and_saveexec_b64 s[0:1], s[52:53]
; %bb.346:
	ds_write_b64 v18, v[10:11]
; %bb.347:
	s_or_b64 exec, exec, s[0:1]
	s_waitcnt lgkmcnt(0)
	s_barrier
	s_and_saveexec_b64 s[0:1], s[54:55]
	s_cbranch_execz .LBB140_349
; %bb.348:
	ds_read_b64 v[31:32], v17 offset:10912
	ds_read_b64 v[33:34], v18
	s_waitcnt lgkmcnt(0)
	v_fma_f64 v[10:11], v[31:32], v[33:34], v[10:11]
.LBB140_349:
	s_or_b64 exec, exec, s[0:1]
	s_barrier
	s_and_saveexec_b64 s[0:1], s[56:57]
; %bb.350:
	ds_write_b64 v18, v[10:11]
; %bb.351:
	s_or_b64 exec, exec, s[0:1]
	s_waitcnt lgkmcnt(0)
	s_barrier
	s_and_saveexec_b64 s[0:1], s[46:47]
	s_cbranch_execz .LBB140_353
; %bb.352:
	v_mov_b32_e32 v31, 0
	ds_read_b64 v[31:32], v31 offset:11448
	ds_read_b64 v[33:34], v18
	s_waitcnt lgkmcnt(0)
	v_fma_f64 v[10:11], v[31:32], v[33:34], v[10:11]
.LBB140_353:
	s_or_b64 exec, exec, s[0:1]
	s_barrier
	s_and_saveexec_b64 s[0:1], s[46:47]
; %bb.354:
	ds_write_b64 v18, v[10:11]
; %bb.355:
	s_or_b64 exec, exec, s[0:1]
	s_waitcnt lgkmcnt(0)
	s_barrier
	s_barrier
	s_and_saveexec_b64 s[0:1], s[18:19]
; %bb.356:
	v_xor_b32_e32 v11, 0x80000000, v11
	ds_write_b64 v16, v[10:11] offset:8352
; %bb.357:
	s_or_b64 exec, exec, s[0:1]
	s_waitcnt lgkmcnt(0)
	s_barrier
	s_barrier
	s_and_saveexec_b64 s[14:15], s[58:59]
	s_cbranch_execz .LBB140_359
; %bb.358:
	v_lshlrev_b32_e32 v31, 9, v0
	ds_read_b64 v[10:11], v31 offset:8352
	s_movk_i32 s0, 0xfe08
	v_mad_i32_i24 v32, v0, s0, v31
	s_waitcnt lgkmcnt(0)
	ds_write_b64 v32, v[10:11] offset:10368
	ds_read_b64 v[10:11], v31 offset:8360
	s_waitcnt lgkmcnt(0)
	ds_write_b64 v32, v[10:11] offset:10880
	ds_read_b64 v[10:11], v31 offset:8368
	;; [unrolled: 3-line block ×3, first 2 shown]
	s_waitcnt lgkmcnt(0)
	ds_write_b64 v32, v[10:11] offset:11904
.LBB140_359:
	s_or_b64 exec, exec, s[14:15]
	s_waitcnt lgkmcnt(0)
	s_barrier
	s_and_saveexec_b64 s[14:15], vcc
	s_cbranch_execz .LBB140_361
; %bb.360:
	v_mov_b32_e32 v33, 0
	ds_read_b64 v[31:32], v33 offset:10408
	v_mov_b32_e32 v34, 0x3ff00000
	ds_write_b64 v33, v[33:34] offset:10400
	s_waitcnt lgkmcnt(1)
	ds_write_b128 v33, v[31:34] offset:10912
.LBB140_361:
	s_or_b64 exec, exec, s[14:15]
	v_mov_b32_e32 v10, 0
	v_mov_b32_e32 v11, 0
	s_waitcnt lgkmcnt(0)
	s_barrier
	s_and_saveexec_b64 s[16:17], s[2:3]
	s_cbranch_execz .LBB140_365
; %bb.362:
	v_mul_u32_u24_e32 v31, 0x208, v15
	ds_read_b64 v[10:11], v12 offset:10416
	ds_read_b64 v[31:32], v31 offset:10400
	v_cmp_gt_u32_e64 s[14:15], 2, v14
	s_waitcnt lgkmcnt(0)
	v_fma_f64 v[10:11], v[10:11], v[31:32], 0
	s_and_saveexec_b64 s[20:21], s[14:15]
	s_cbranch_execz .LBB140_364
; %bb.363:
	v_lshlrev_b32_e32 v31, 3, v0
	v_mov_b32_e32 v33, 0
	ds_read_b64 v[31:32], v31 offset:10928
	ds_read_b64 v[33:34], v33 offset:10408
	s_waitcnt lgkmcnt(0)
	v_fma_f64 v[10:11], v[31:32], v[33:34], v[10:11]
.LBB140_364:
	s_or_b64 exec, exec, s[20:21]
	v_xor_b32_e32 v11, 0x80000000, v11
.LBB140_365:
	s_or_b64 exec, exec, s[16:17]
	s_and_saveexec_b64 s[0:1], s[42:43]
; %bb.366:
	ds_write_b64 v13, v[10:11]
; %bb.367:
	s_or_b64 exec, exec, s[0:1]
	s_waitcnt lgkmcnt(0)
	s_barrier
	s_and_saveexec_b64 s[0:1], s[40:41]
	s_cbranch_execz .LBB140_369
; %bb.368:
	v_mov_b32_e32 v31, 0
	ds_read_b64 v[31:32], v31 offset:11448
	ds_read_b64 v[33:34], v13
	s_waitcnt lgkmcnt(0)
	v_fma_f64 v[10:11], v[31:32], v[33:34], v[10:11]
.LBB140_369:
	s_or_b64 exec, exec, s[0:1]
	s_barrier
	s_and_saveexec_b64 s[0:1], s[40:41]
; %bb.370:
	ds_write_b64 v13, v[10:11]
; %bb.371:
	s_or_b64 exec, exec, s[0:1]
	s_waitcnt lgkmcnt(0)
	s_barrier
	s_barrier
	s_and_saveexec_b64 s[0:1], s[2:3]
; %bb.372:
	v_xor_b32_e32 v11, 0x80000000, v11
	ds_write_b64 v12, v[10:11] offset:10416
; %bb.373:
	s_or_b64 exec, exec, s[0:1]
	s_waitcnt lgkmcnt(0)
	s_barrier
	s_barrier
	s_and_saveexec_b64 s[14:15], s[44:45]
	s_cbranch_execz .LBB140_375
; %bb.374:
	v_lshlrev_b32_e32 v31, 3, v0
	s_movk_i32 s0, 0x1f8
	v_mad_u32_u24 v32, v0, s0, v31
	ds_read_b64 v[10:11], v32 offset:10416
	s_waitcnt lgkmcnt(0)
	ds_write_b64 v31, v[10:11] offset:11424
	ds_read_b64 v[10:11], v32 offset:10424
	s_waitcnt lgkmcnt(0)
	ds_write_b64 v31, v[10:11] offset:11936
.LBB140_375:
	s_or_b64 exec, exec, s[14:15]
	s_waitcnt lgkmcnt(0)
	s_barrier
	s_and_saveexec_b64 s[14:15], vcc
	s_cbranch_execz .LBB140_377
; %bb.376:
	v_mov_b32_e32 v33, 0
	ds_read_b64 v[31:32], v33 offset:11448
	v_mov_b32_e32 v34, 0x3ff00000
	ds_write_b64 v33, v[33:34] offset:11440
	s_waitcnt lgkmcnt(1)
	ds_write_b128 v33, v[31:34] offset:11952
.LBB140_377:
	s_or_b64 exec, exec, s[14:15]
	v_mov_b32_e32 v10, 0
	v_mov_b32_e32 v11, 0
	s_waitcnt lgkmcnt(0)
	s_barrier
	s_and_saveexec_b64 s[16:17], s[8:9]
	s_cbranch_execz .LBB140_387
; %bb.378:
	v_mul_u32_u24_e32 v31, 0x208, v25
	ds_read_b64 v[10:11], v21 offset:8384
	ds_read_b64 v[32:33], v31 offset:8320
	v_cmp_gt_u32_e64 s[14:15], 56, v14
	s_waitcnt lgkmcnt(0)
	v_fma_f64 v[10:11], v[10:11], v[32:33], 0
	s_and_saveexec_b64 s[20:21], s[14:15]
	s_cbranch_execnz .LBB140_1186
; %bb.379:
	s_or_b64 exec, exec, s[20:21]
	v_cmp_gt_u32_e64 s[14:15], 48, v14
	s_and_saveexec_b64 s[20:21], s[14:15]
	s_cbranch_execnz .LBB140_1187
.LBB140_380:
	s_or_b64 exec, exec, s[20:21]
	v_cmp_gt_u32_e64 s[14:15], 40, v14
	s_and_saveexec_b64 s[20:21], s[14:15]
	s_cbranch_execnz .LBB140_1188
.LBB140_381:
	s_or_b64 exec, exec, s[20:21]
	v_cmp_gt_u32_e64 s[14:15], 32, v14
	s_and_saveexec_b64 s[0:1], s[14:15]
	s_cbranch_execnz .LBB140_1189
.LBB140_382:
	s_or_b64 exec, exec, s[0:1]
	v_cmp_gt_u32_e64 s[14:15], 24, v14
	s_and_saveexec_b64 s[20:21], s[14:15]
	s_cbranch_execnz .LBB140_1190
.LBB140_383:
	s_or_b64 exec, exec, s[20:21]
	v_cmp_gt_u32_e64 s[14:15], 16, v14
	s_and_saveexec_b64 s[0:1], s[14:15]
	s_cbranch_execnz .LBB140_1191
.LBB140_384:
	s_or_b64 exec, exec, s[0:1]
	v_cmp_gt_u32_e64 s[14:15], 8, v14
	s_and_saveexec_b64 s[20:21], s[14:15]
	s_cbranch_execz .LBB140_386
.LBB140_385:
	v_lshlrev_b32_e32 v31, 3, v0
	v_mov_b32_e32 v33, 0
	ds_read_b64 v[31:32], v31 offset:11968
	ds_read_b64 v[33:34], v33 offset:8376
	s_waitcnt lgkmcnt(0)
	v_fma_f64 v[10:11], v[31:32], v[33:34], v[10:11]
.LBB140_386:
	s_or_b64 exec, exec, s[20:21]
	v_xor_b32_e32 v11, 0x80000000, v11
.LBB140_387:
	s_or_b64 exec, exec, s[16:17]
	s_and_saveexec_b64 s[0:1], s[60:61]
; %bb.388:
	ds_write_b64 v23, v[10:11]
; %bb.389:
	s_or_b64 exec, exec, s[0:1]
	s_waitcnt lgkmcnt(0)
	s_barrier
	s_and_saveexec_b64 s[0:1], s[62:63]
	s_cbranch_execz .LBB140_391
; %bb.390:
	ds_read_b64 v[31:32], v22 offset:12480
	ds_read_b64 v[33:34], v23
	s_waitcnt lgkmcnt(0)
	v_fma_f64 v[10:11], v[31:32], v[33:34], v[10:11]
.LBB140_391:
	s_or_b64 exec, exec, s[0:1]
	s_barrier
	s_and_saveexec_b64 s[0:1], s[64:65]
; %bb.392:
	ds_write_b64 v23, v[10:11]
; %bb.393:
	s_or_b64 exec, exec, s[0:1]
	s_waitcnt lgkmcnt(0)
	s_barrier
	s_and_saveexec_b64 s[0:1], s[66:67]
	s_cbranch_execz .LBB140_395
; %bb.394:
	ds_read_b64 v[31:32], v22 offset:12992
	ds_read_b64 v[33:34], v23
	s_waitcnt lgkmcnt(0)
	v_fma_f64 v[10:11], v[31:32], v[33:34], v[10:11]
.LBB140_395:
	s_or_b64 exec, exec, s[0:1]
	s_barrier
	;; [unrolled: 17-line block ×6, first 2 shown]
	s_and_saveexec_b64 s[0:1], s[86:87]
; %bb.412:
	ds_write_b64 v23, v[10:11]
; %bb.413:
	s_or_b64 exec, exec, s[0:1]
	s_waitcnt lgkmcnt(0)
	s_barrier
	s_and_saveexec_b64 s[0:1], s[70:71]
	s_cbranch_execz .LBB140_415
; %bb.414:
	v_mov_b32_e32 v31, 0
	ds_read_b64 v[31:32], v31 offset:15608
	ds_read_b64 v[33:34], v23
	s_waitcnt lgkmcnt(0)
	v_fma_f64 v[10:11], v[31:32], v[33:34], v[10:11]
.LBB140_415:
	s_or_b64 exec, exec, s[0:1]
	s_barrier
	s_and_saveexec_b64 s[0:1], s[70:71]
; %bb.416:
	ds_write_b64 v23, v[10:11]
; %bb.417:
	s_or_b64 exec, exec, s[0:1]
	s_waitcnt lgkmcnt(0)
	s_barrier
	s_barrier
	s_and_saveexec_b64 s[0:1], s[8:9]
; %bb.418:
	v_xor_b32_e32 v11, 0x80000000, v11
	ds_write_b64 v21, v[10:11] offset:8384
; %bb.419:
	s_or_b64 exec, exec, s[0:1]
	s_waitcnt lgkmcnt(0)
	s_barrier
	s_barrier
	s_and_saveexec_b64 s[14:15], s[88:89]
	s_cbranch_execz .LBB140_421
; %bb.420:
	v_lshlrev_b32_e32 v31, 9, v0
	ds_read_b64 v[10:11], v31 offset:8384
	s_movk_i32 s0, 0xfe08
	v_mad_i32_i24 v32, v0, s0, v31
	s_waitcnt lgkmcnt(0)
	ds_write_b64 v32, v[10:11] offset:12416
	ds_read_b64 v[10:11], v31 offset:8392
	s_waitcnt lgkmcnt(0)
	ds_write_b64 v32, v[10:11] offset:12928
	ds_read_b64 v[10:11], v31 offset:8400
	;; [unrolled: 3-line block ×7, first 2 shown]
	s_waitcnt lgkmcnt(0)
	ds_write_b64 v32, v[10:11] offset:16000
.LBB140_421:
	s_or_b64 exec, exec, s[14:15]
	s_waitcnt lgkmcnt(0)
	s_barrier
	s_and_saveexec_b64 s[14:15], vcc
	s_cbranch_execz .LBB140_423
; %bb.422:
	v_mov_b32_e32 v33, 0
	ds_read_b64 v[31:32], v33 offset:12488
	v_mov_b32_e32 v34, 0x3ff00000
	ds_write_b64 v33, v[33:34] offset:12480
	s_waitcnt lgkmcnt(1)
	ds_write_b128 v33, v[31:34] offset:12992
.LBB140_423:
	s_or_b64 exec, exec, s[14:15]
	v_mov_b32_e32 v10, 0
	v_mov_b32_e32 v11, 0
	s_waitcnt lgkmcnt(0)
	s_barrier
	s_and_saveexec_b64 s[16:17], s[2:3]
	s_cbranch_execz .LBB140_427
; %bb.424:
	v_mul_u32_u24_e32 v31, 0x208, v15
	ds_read_b64 v[10:11], v12 offset:12496
	ds_read_b64 v[31:32], v31 offset:12480
	v_cmp_gt_u32_e64 s[14:15], 2, v14
	s_waitcnt lgkmcnt(0)
	v_fma_f64 v[10:11], v[10:11], v[31:32], 0
	s_and_saveexec_b64 s[20:21], s[14:15]
	s_cbranch_execz .LBB140_426
; %bb.425:
	v_lshlrev_b32_e32 v31, 3, v0
	v_mov_b32_e32 v33, 0
	ds_read_b64 v[31:32], v31 offset:13008
	ds_read_b64 v[33:34], v33 offset:12488
	s_waitcnt lgkmcnt(0)
	v_fma_f64 v[10:11], v[31:32], v[33:34], v[10:11]
.LBB140_426:
	s_or_b64 exec, exec, s[20:21]
	v_xor_b32_e32 v11, 0x80000000, v11
.LBB140_427:
	s_or_b64 exec, exec, s[16:17]
	s_and_saveexec_b64 s[0:1], s[42:43]
; %bb.428:
	ds_write_b64 v13, v[10:11]
; %bb.429:
	s_or_b64 exec, exec, s[0:1]
	s_waitcnt lgkmcnt(0)
	s_barrier
	s_and_saveexec_b64 s[0:1], s[40:41]
	s_cbranch_execz .LBB140_431
; %bb.430:
	v_mov_b32_e32 v31, 0
	ds_read_b64 v[31:32], v31 offset:13528
	ds_read_b64 v[33:34], v13
	s_waitcnt lgkmcnt(0)
	v_fma_f64 v[10:11], v[31:32], v[33:34], v[10:11]
.LBB140_431:
	s_or_b64 exec, exec, s[0:1]
	s_barrier
	s_and_saveexec_b64 s[0:1], s[40:41]
; %bb.432:
	ds_write_b64 v13, v[10:11]
; %bb.433:
	s_or_b64 exec, exec, s[0:1]
	s_waitcnt lgkmcnt(0)
	s_barrier
	s_barrier
	s_and_saveexec_b64 s[0:1], s[2:3]
; %bb.434:
	v_xor_b32_e32 v11, 0x80000000, v11
	ds_write_b64 v12, v[10:11] offset:12496
; %bb.435:
	s_or_b64 exec, exec, s[0:1]
	s_waitcnt lgkmcnt(0)
	s_barrier
	s_barrier
	s_and_saveexec_b64 s[14:15], s[44:45]
	s_cbranch_execz .LBB140_437
; %bb.436:
	v_lshlrev_b32_e32 v31, 3, v0
	s_movk_i32 s0, 0x1f8
	v_mad_u32_u24 v32, v0, s0, v31
	ds_read_b64 v[10:11], v32 offset:12496
	s_waitcnt lgkmcnt(0)
	ds_write_b64 v31, v[10:11] offset:13504
	ds_read_b64 v[10:11], v32 offset:12504
	s_waitcnt lgkmcnt(0)
	ds_write_b64 v31, v[10:11] offset:14016
.LBB140_437:
	s_or_b64 exec, exec, s[14:15]
	s_waitcnt lgkmcnt(0)
	s_barrier
	s_and_saveexec_b64 s[14:15], vcc
	s_cbranch_execz .LBB140_439
; %bb.438:
	v_mov_b32_e32 v33, 0
	ds_read_b64 v[31:32], v33 offset:13528
	v_mov_b32_e32 v34, 0x3ff00000
	ds_write_b64 v33, v[33:34] offset:13520
	s_waitcnt lgkmcnt(1)
	ds_write_b128 v33, v[31:34] offset:14032
.LBB140_439:
	s_or_b64 exec, exec, s[14:15]
	v_mov_b32_e32 v10, 0
	v_mov_b32_e32 v11, 0
	s_waitcnt lgkmcnt(0)
	s_barrier
	s_and_saveexec_b64 s[16:17], s[18:19]
	s_cbranch_execz .LBB140_445
; %bb.440:
	v_mul_u32_u24_e32 v31, 0x208, v20
	ds_read_b64 v[10:11], v16 offset:12512
	ds_read_b64 v[32:33], v31 offset:12480
	v_cmp_gt_u32_e64 s[14:15], 12, v14
	s_waitcnt lgkmcnt(0)
	v_fma_f64 v[10:11], v[10:11], v[32:33], 0
	s_and_saveexec_b64 s[20:21], s[14:15]
	s_cbranch_execnz .LBB140_1192
; %bb.441:
	s_or_b64 exec, exec, s[20:21]
	v_cmp_gt_u32_e64 s[14:15], 8, v14
	s_and_saveexec_b64 s[0:1], s[14:15]
	s_cbranch_execnz .LBB140_1193
.LBB140_442:
	s_or_b64 exec, exec, s[0:1]
	v_cmp_gt_u32_e64 s[14:15], 4, v14
	s_and_saveexec_b64 s[20:21], s[14:15]
	s_cbranch_execz .LBB140_444
.LBB140_443:
	v_lshlrev_b32_e32 v31, 3, v0
	v_mov_b32_e32 v33, 0
	ds_read_b64 v[31:32], v31 offset:14048
	ds_read_b64 v[33:34], v33 offset:12504
	s_waitcnt lgkmcnt(0)
	v_fma_f64 v[10:11], v[31:32], v[33:34], v[10:11]
.LBB140_444:
	s_or_b64 exec, exec, s[20:21]
	v_xor_b32_e32 v11, 0x80000000, v11
.LBB140_445:
	s_or_b64 exec, exec, s[16:17]
	s_and_saveexec_b64 s[0:1], s[48:49]
; %bb.446:
	ds_write_b64 v18, v[10:11]
; %bb.447:
	s_or_b64 exec, exec, s[0:1]
	s_waitcnt lgkmcnt(0)
	s_barrier
	s_and_saveexec_b64 s[0:1], s[50:51]
	s_cbranch_execz .LBB140_449
; %bb.448:
	ds_read_b64 v[31:32], v17 offset:14560
	ds_read_b64 v[33:34], v18
	s_waitcnt lgkmcnt(0)
	v_fma_f64 v[10:11], v[31:32], v[33:34], v[10:11]
.LBB140_449:
	s_or_b64 exec, exec, s[0:1]
	s_barrier
	s_and_saveexec_b64 s[0:1], s[52:53]
; %bb.450:
	ds_write_b64 v18, v[10:11]
; %bb.451:
	s_or_b64 exec, exec, s[0:1]
	s_waitcnt lgkmcnt(0)
	s_barrier
	s_and_saveexec_b64 s[0:1], s[54:55]
	s_cbranch_execz .LBB140_453
; %bb.452:
	ds_read_b64 v[31:32], v17 offset:15072
	ds_read_b64 v[33:34], v18
	s_waitcnt lgkmcnt(0)
	v_fma_f64 v[10:11], v[31:32], v[33:34], v[10:11]
.LBB140_453:
	s_or_b64 exec, exec, s[0:1]
	s_barrier
	s_and_saveexec_b64 s[0:1], s[56:57]
; %bb.454:
	ds_write_b64 v18, v[10:11]
; %bb.455:
	s_or_b64 exec, exec, s[0:1]
	s_waitcnt lgkmcnt(0)
	s_barrier
	s_and_saveexec_b64 s[0:1], s[46:47]
	s_cbranch_execz .LBB140_457
; %bb.456:
	v_mov_b32_e32 v31, 0
	ds_read_b64 v[31:32], v31 offset:15608
	ds_read_b64 v[33:34], v18
	s_waitcnt lgkmcnt(0)
	v_fma_f64 v[10:11], v[31:32], v[33:34], v[10:11]
.LBB140_457:
	s_or_b64 exec, exec, s[0:1]
	s_barrier
	s_and_saveexec_b64 s[0:1], s[46:47]
; %bb.458:
	ds_write_b64 v18, v[10:11]
; %bb.459:
	s_or_b64 exec, exec, s[0:1]
	s_waitcnt lgkmcnt(0)
	s_barrier
	s_barrier
	s_and_saveexec_b64 s[0:1], s[18:19]
; %bb.460:
	v_xor_b32_e32 v11, 0x80000000, v11
	ds_write_b64 v16, v[10:11] offset:12512
; %bb.461:
	s_or_b64 exec, exec, s[0:1]
	s_waitcnt lgkmcnt(0)
	s_barrier
	s_barrier
	s_and_saveexec_b64 s[14:15], s[58:59]
	s_cbranch_execz .LBB140_463
; %bb.462:
	v_lshlrev_b32_e32 v31, 9, v0
	ds_read_b64 v[10:11], v31 offset:12512
	s_movk_i32 s0, 0xfe08
	v_mad_i32_i24 v32, v0, s0, v31
	s_waitcnt lgkmcnt(0)
	ds_write_b64 v32, v[10:11] offset:14528
	ds_read_b64 v[10:11], v31 offset:12520
	s_waitcnt lgkmcnt(0)
	ds_write_b64 v32, v[10:11] offset:15040
	ds_read_b64 v[10:11], v31 offset:12528
	;; [unrolled: 3-line block ×3, first 2 shown]
	s_waitcnt lgkmcnt(0)
	ds_write_b64 v32, v[10:11] offset:16064
.LBB140_463:
	s_or_b64 exec, exec, s[14:15]
	s_waitcnt lgkmcnt(0)
	s_barrier
	s_and_saveexec_b64 s[14:15], vcc
	s_cbranch_execz .LBB140_465
; %bb.464:
	v_mov_b32_e32 v33, 0
	ds_read_b64 v[31:32], v33 offset:14568
	v_mov_b32_e32 v34, 0x3ff00000
	ds_write_b64 v33, v[33:34] offset:14560
	s_waitcnt lgkmcnt(1)
	ds_write_b128 v33, v[31:34] offset:15072
.LBB140_465:
	s_or_b64 exec, exec, s[14:15]
	v_mov_b32_e32 v10, 0
	v_mov_b32_e32 v11, 0
	s_waitcnt lgkmcnt(0)
	s_barrier
	s_and_saveexec_b64 s[16:17], s[2:3]
	s_cbranch_execz .LBB140_469
; %bb.466:
	v_mul_u32_u24_e32 v31, 0x208, v15
	ds_read_b64 v[10:11], v12 offset:14576
	ds_read_b64 v[31:32], v31 offset:14560
	v_cmp_gt_u32_e64 s[14:15], 2, v14
	s_waitcnt lgkmcnt(0)
	v_fma_f64 v[10:11], v[10:11], v[31:32], 0
	s_and_saveexec_b64 s[20:21], s[14:15]
	s_cbranch_execz .LBB140_468
; %bb.467:
	v_lshlrev_b32_e32 v31, 3, v0
	v_mov_b32_e32 v33, 0
	ds_read_b64 v[31:32], v31 offset:15088
	ds_read_b64 v[33:34], v33 offset:14568
	s_waitcnt lgkmcnt(0)
	v_fma_f64 v[10:11], v[31:32], v[33:34], v[10:11]
.LBB140_468:
	s_or_b64 exec, exec, s[20:21]
	v_xor_b32_e32 v11, 0x80000000, v11
.LBB140_469:
	s_or_b64 exec, exec, s[16:17]
	s_and_saveexec_b64 s[0:1], s[42:43]
; %bb.470:
	ds_write_b64 v13, v[10:11]
; %bb.471:
	s_or_b64 exec, exec, s[0:1]
	s_waitcnt lgkmcnt(0)
	s_barrier
	s_and_saveexec_b64 s[0:1], s[40:41]
	s_cbranch_execz .LBB140_473
; %bb.472:
	v_mov_b32_e32 v31, 0
	ds_read_b64 v[31:32], v31 offset:15608
	ds_read_b64 v[33:34], v13
	s_waitcnt lgkmcnt(0)
	v_fma_f64 v[10:11], v[31:32], v[33:34], v[10:11]
.LBB140_473:
	s_or_b64 exec, exec, s[0:1]
	s_barrier
	s_and_saveexec_b64 s[0:1], s[40:41]
; %bb.474:
	ds_write_b64 v13, v[10:11]
; %bb.475:
	s_or_b64 exec, exec, s[0:1]
	s_waitcnt lgkmcnt(0)
	s_barrier
	s_barrier
	s_and_saveexec_b64 s[0:1], s[2:3]
; %bb.476:
	v_xor_b32_e32 v11, 0x80000000, v11
	ds_write_b64 v12, v[10:11] offset:14576
; %bb.477:
	s_or_b64 exec, exec, s[0:1]
	s_waitcnt lgkmcnt(0)
	s_barrier
	s_barrier
	s_and_saveexec_b64 s[14:15], s[44:45]
	s_cbranch_execz .LBB140_479
; %bb.478:
	v_lshlrev_b32_e32 v31, 3, v0
	s_movk_i32 s0, 0x1f8
	v_mad_u32_u24 v32, v0, s0, v31
	ds_read_b64 v[10:11], v32 offset:14576
	s_waitcnt lgkmcnt(0)
	ds_write_b64 v31, v[10:11] offset:15584
	ds_read_b64 v[10:11], v32 offset:14584
	s_waitcnt lgkmcnt(0)
	ds_write_b64 v31, v[10:11] offset:16096
.LBB140_479:
	s_or_b64 exec, exec, s[14:15]
	s_waitcnt lgkmcnt(0)
	s_barrier
	s_and_saveexec_b64 s[14:15], vcc
	s_cbranch_execz .LBB140_481
; %bb.480:
	v_mov_b32_e32 v33, 0
	ds_read_b64 v[31:32], v33 offset:15608
	v_mov_b32_e32 v34, 0x3ff00000
	ds_write_b64 v33, v[33:34] offset:15600
	s_waitcnt lgkmcnt(1)
	ds_write_b128 v33, v[31:34] offset:16112
.LBB140_481:
	s_or_b64 exec, exec, s[14:15]
	v_and_b32_e32 v33, 31, v0
	s_movk_i32 s0, 0x3ff
	v_lshrrev_b32_e32 v34, 5, v14
	v_cmp_lt_u32_e64 s[16:17], s0, v14
	s_movk_i32 s0, 0x400
	v_lshlrev_b32_e32 v32, 3, v33
	v_mov_b32_e32 v10, 0
	v_cmp_gt_u32_e64 s[14:15], s0, v14
	v_mov_b32_e32 v11, 0
	v_lshl_or_b32 v31, v34, 9, v32
	s_waitcnt lgkmcnt(0)
	s_barrier
	s_and_saveexec_b64 s[94:95], s[14:15]
	s_cbranch_execz .LBB140_543
; %bb.482:
	v_mul_u32_u24_e32 v35, 0x208, v34
	ds_read_b64 v[10:11], v31 offset:256
	ds_read_b64 v[36:37], v35
	s_movk_i32 s0, 0x3e0
	v_cmp_gt_u32_e64 s[20:21], s0, v14
	s_waitcnt lgkmcnt(0)
	v_fma_f64 v[10:11], v[10:11], v[36:37], 0
	s_and_saveexec_b64 s[0:1], s[20:21]
	s_cbranch_execz .LBB140_484
; %bb.483:
	ds_read_b64 v[36:37], v31 offset:768
	ds_read_b64 v[38:39], v35 offset:8
	s_waitcnt lgkmcnt(0)
	v_fma_f64 v[10:11], v[36:37], v[38:39], v[10:11]
.LBB140_484:
	s_or_b64 exec, exec, s[0:1]
	s_movk_i32 s0, 0x3c0
	v_cmp_gt_u32_e64 s[20:21], s0, v14
	s_and_saveexec_b64 s[0:1], s[20:21]
	s_cbranch_execz .LBB140_486
; %bb.485:
	ds_read_b64 v[36:37], v31 offset:1280
	ds_read_b64 v[38:39], v35 offset:16
	s_waitcnt lgkmcnt(0)
	v_fma_f64 v[10:11], v[36:37], v[38:39], v[10:11]
.LBB140_486:
	s_or_b64 exec, exec, s[0:1]
	s_movk_i32 s0, 0x3a0
	v_cmp_gt_u32_e64 s[20:21], s0, v14
	;; [unrolled: 11-line block ×28, first 2 shown]
	s_and_saveexec_b64 s[0:1], s[20:21]
	s_cbranch_execnz .LBB140_1194
; %bb.539:
	s_or_b64 exec, exec, s[0:1]
	v_cmp_gt_u32_e64 s[20:21], 64, v14
	s_and_saveexec_b64 s[0:1], s[20:21]
	s_cbranch_execnz .LBB140_1195
.LBB140_540:
	s_or_b64 exec, exec, s[0:1]
	v_cmp_gt_u32_e64 s[20:21], 32, v14
	s_and_saveexec_b64 s[0:1], s[20:21]
	s_cbranch_execz .LBB140_542
.LBB140_541:
	v_lshlrev_b32_e32 v35, 3, v0
	v_mov_b32_e32 v37, 0
	ds_read_b64 v[35:36], v35 offset:16128
	ds_read_b64 v[37:38], v37 offset:248
	s_waitcnt lgkmcnt(0)
	v_fma_f64 v[10:11], v[35:36], v[37:38], v[10:11]
.LBB140_542:
	s_or_b64 exec, exec, s[0:1]
	v_xor_b32_e32 v11, 0x80000000, v11
.LBB140_543:
	s_or_b64 exec, exec, s[94:95]
	v_mov_b32_e32 v35, 0x8000
	v_cmp_eq_u32_e64 s[20:21], 0, v33
	s_xor_b64 s[94:95], s[16:17], -1
	v_lshl_or_b32 v34, v34, 3, v35
	s_and_b64 s[16:17], s[94:95], s[20:21]
	s_and_saveexec_b64 s[0:1], s[16:17]
; %bb.544:
	ds_write_b64 v34, v[10:11]
; %bb.545:
	s_or_b64 exec, exec, s[0:1]
	v_cmp_ne_u32_e64 s[16:17], 0, v33
	s_and_b64 s[16:17], s[94:95], s[16:17]
	s_waitcnt lgkmcnt(0)
	s_barrier
	s_and_saveexec_b64 s[0:1], s[16:17]
	s_cbranch_execz .LBB140_547
; %bb.546:
	ds_read_b64 v[35:36], v32 offset:16640
	ds_read_b64 v[37:38], v34
	s_waitcnt lgkmcnt(0)
	v_fma_f64 v[10:11], v[35:36], v[37:38], v[10:11]
.LBB140_547:
	s_or_b64 exec, exec, s[0:1]
	v_cmp_eq_u32_e64 s[16:17], 1, v33
	s_and_b64 s[16:17], s[94:95], s[16:17]
	s_barrier
	s_and_saveexec_b64 s[0:1], s[16:17]
; %bb.548:
	ds_write_b64 v34, v[10:11]
; %bb.549:
	s_or_b64 exec, exec, s[0:1]
	v_cmp_lt_u32_e64 s[16:17], 1, v33
	s_and_b64 s[16:17], s[94:95], s[16:17]
	s_waitcnt lgkmcnt(0)
	s_barrier
	s_and_saveexec_b64 s[0:1], s[16:17]
	s_cbranch_execz .LBB140_551
; %bb.550:
	ds_read_b64 v[35:36], v32 offset:17152
	ds_read_b64 v[37:38], v34
	s_waitcnt lgkmcnt(0)
	v_fma_f64 v[10:11], v[35:36], v[37:38], v[10:11]
.LBB140_551:
	s_or_b64 exec, exec, s[0:1]
	v_cmp_eq_u32_e64 s[16:17], 2, v33
	s_and_b64 s[16:17], s[94:95], s[16:17]
	s_barrier
	s_and_saveexec_b64 s[0:1], s[16:17]
; %bb.552:
	ds_write_b64 v34, v[10:11]
; %bb.553:
	s_or_b64 exec, exec, s[0:1]
	v_cmp_lt_u32_e64 s[16:17], 2, v33
	;; [unrolled: 21-line block ×29, first 2 shown]
	s_and_b64 s[16:17], s[94:95], s[16:17]
	s_waitcnt lgkmcnt(0)
	s_barrier
	s_and_saveexec_b64 s[0:1], s[16:17]
	s_cbranch_execz .LBB140_663
; %bb.662:
	ds_read_b64 v[35:36], v32 offset:31488
	ds_read_b64 v[37:38], v34
	s_waitcnt lgkmcnt(0)
	v_fma_f64 v[10:11], v[35:36], v[37:38], v[10:11]
.LBB140_663:
	s_or_b64 exec, exec, s[0:1]
	v_cmp_eq_u32_e64 s[16:17], 30, v33
	s_and_b64 s[16:17], s[94:95], s[16:17]
	s_barrier
	s_and_saveexec_b64 s[0:1], s[16:17]
; %bb.664:
	ds_write_b64 v34, v[10:11]
; %bb.665:
	s_or_b64 exec, exec, s[0:1]
	v_cmp_eq_u32_e64 s[16:17], 31, v33
	s_and_b64 s[16:17], s[94:95], s[16:17]
	s_waitcnt lgkmcnt(0)
	s_barrier
	s_and_saveexec_b64 s[0:1], s[16:17]
	s_cbranch_execz .LBB140_667
; %bb.666:
	ds_read_b64 v[32:33], v32 offset:32000
	ds_read_b64 v[35:36], v34
	s_waitcnt lgkmcnt(0)
	v_fma_f64 v[10:11], v[32:33], v[35:36], v[10:11]
.LBB140_667:
	s_or_b64 exec, exec, s[0:1]
	s_barrier
	s_and_saveexec_b64 s[0:1], s[16:17]
; %bb.668:
	ds_write_b64 v34, v[10:11]
; %bb.669:
	s_or_b64 exec, exec, s[0:1]
	s_waitcnt lgkmcnt(0)
	s_barrier
	s_barrier
	s_and_saveexec_b64 s[0:1], s[14:15]
; %bb.670:
	v_xor_b32_e32 v11, 0x80000000, v11
	ds_write_b64 v31, v[10:11] offset:256
; %bb.671:
	s_or_b64 exec, exec, s[0:1]
	v_cmp_gt_u32_e64 s[14:15], 32, v0
	s_and_b64 s[0:1], s[12:13], s[14:15]
	s_waitcnt lgkmcnt(0)
	s_barrier
	s_barrier
	s_and_saveexec_b64 s[12:13], s[0:1]
	s_cbranch_execz .LBB140_673
; %bb.672:
	v_lshlrev_b32_e32 v31, 9, v0
	ds_read_b64 v[10:11], v31 offset:256
	s_movk_i32 s0, 0xfe08
	v_mad_i32_i24 v32, v0, s0, v31
	s_waitcnt lgkmcnt(0)
	ds_write_b64 v32, v[10:11] offset:16384
	ds_read_b64 v[10:11], v31 offset:264
	s_waitcnt lgkmcnt(0)
	ds_write_b64 v32, v[10:11] offset:16896
	ds_read_b64 v[10:11], v31 offset:272
	;; [unrolled: 3-line block ×31, first 2 shown]
	s_waitcnt lgkmcnt(0)
	ds_write_b64 v32, v[10:11] offset:32256
.LBB140_673:
	s_or_b64 exec, exec, s[12:13]
	s_waitcnt lgkmcnt(0)
	s_barrier
	s_and_saveexec_b64 s[12:13], vcc
	s_cbranch_execz .LBB140_675
; %bb.674:
	v_mov_b32_e32 v33, 0
	ds_read_b64 v[31:32], v33 offset:16648
	v_mov_b32_e32 v34, 0x3ff00000
	ds_write_b64 v33, v[33:34] offset:16640
	s_waitcnt lgkmcnt(1)
	ds_write_b128 v33, v[31:34] offset:17152
.LBB140_675:
	s_or_b64 exec, exec, s[12:13]
	v_mov_b32_e32 v10, 0
	v_mov_b32_e32 v11, 0
	s_waitcnt lgkmcnt(0)
	s_barrier
	s_and_saveexec_b64 s[14:15], s[2:3]
	s_cbranch_execz .LBB140_679
; %bb.676:
	v_mul_u32_u24_e32 v31, 0x208, v15
	ds_read_b64 v[10:11], v12 offset:16656
	ds_read_b64 v[31:32], v31 offset:16640
	v_cmp_gt_u32_e64 s[12:13], 2, v14
	s_waitcnt lgkmcnt(0)
	v_fma_f64 v[10:11], v[10:11], v[31:32], 0
	s_and_saveexec_b64 s[16:17], s[12:13]
	s_cbranch_execz .LBB140_678
; %bb.677:
	v_lshlrev_b32_e32 v31, 3, v0
	v_mov_b32_e32 v33, 0
	ds_read_b64 v[31:32], v31 offset:17168
	ds_read_b64 v[33:34], v33 offset:16648
	s_waitcnt lgkmcnt(0)
	v_fma_f64 v[10:11], v[31:32], v[33:34], v[10:11]
.LBB140_678:
	s_or_b64 exec, exec, s[16:17]
	v_xor_b32_e32 v11, 0x80000000, v11
.LBB140_679:
	s_or_b64 exec, exec, s[14:15]
	s_and_saveexec_b64 s[0:1], s[42:43]
; %bb.680:
	ds_write_b64 v13, v[10:11]
; %bb.681:
	s_or_b64 exec, exec, s[0:1]
	s_waitcnt lgkmcnt(0)
	s_barrier
	s_and_saveexec_b64 s[0:1], s[40:41]
	s_cbranch_execz .LBB140_683
; %bb.682:
	v_mov_b32_e32 v31, 0
	ds_read_b64 v[31:32], v31 offset:17688
	ds_read_b64 v[33:34], v13
	s_waitcnt lgkmcnt(0)
	v_fma_f64 v[10:11], v[31:32], v[33:34], v[10:11]
.LBB140_683:
	s_or_b64 exec, exec, s[0:1]
	s_barrier
	s_and_saveexec_b64 s[0:1], s[40:41]
; %bb.684:
	ds_write_b64 v13, v[10:11]
; %bb.685:
	s_or_b64 exec, exec, s[0:1]
	s_waitcnt lgkmcnt(0)
	s_barrier
	s_barrier
	s_and_saveexec_b64 s[0:1], s[2:3]
; %bb.686:
	v_xor_b32_e32 v11, 0x80000000, v11
	ds_write_b64 v12, v[10:11] offset:16656
; %bb.687:
	s_or_b64 exec, exec, s[0:1]
	s_waitcnt lgkmcnt(0)
	s_barrier
	s_barrier
	s_and_saveexec_b64 s[0:1], s[44:45]
	s_cbranch_execz .LBB140_689
; %bb.688:
	v_lshlrev_b32_e32 v31, 3, v0
	s_movk_i32 s12, 0x1f8
	v_mad_u32_u24 v32, v0, s12, v31
	ds_read_b64 v[10:11], v32 offset:16656
	s_waitcnt lgkmcnt(0)
	ds_write_b64 v31, v[10:11] offset:17664
	ds_read_b64 v[10:11], v32 offset:16664
	s_waitcnt lgkmcnt(0)
	ds_write_b64 v31, v[10:11] offset:18176
.LBB140_689:
	s_or_b64 exec, exec, s[0:1]
	s_waitcnt lgkmcnt(0)
	s_barrier
	s_and_saveexec_b64 s[12:13], vcc
	s_cbranch_execz .LBB140_691
; %bb.690:
	v_mov_b32_e32 v33, 0
	ds_read_b64 v[31:32], v33 offset:17688
	v_mov_b32_e32 v34, 0x3ff00000
	ds_write_b64 v33, v[33:34] offset:17680
	s_waitcnt lgkmcnt(1)
	ds_write_b128 v33, v[31:34] offset:18192
.LBB140_691:
	s_or_b64 exec, exec, s[12:13]
	v_mov_b32_e32 v10, 0
	v_mov_b32_e32 v11, 0
	s_waitcnt lgkmcnt(0)
	s_barrier
	s_and_saveexec_b64 s[14:15], s[18:19]
	s_cbranch_execz .LBB140_697
; %bb.692:
	v_mul_u32_u24_e32 v31, 0x208, v20
	ds_read_b64 v[10:11], v16 offset:16672
	ds_read_b64 v[32:33], v31 offset:16640
	v_cmp_gt_u32_e64 s[12:13], 12, v14
	s_waitcnt lgkmcnt(0)
	v_fma_f64 v[10:11], v[10:11], v[32:33], 0
	s_and_saveexec_b64 s[16:17], s[12:13]
	s_cbranch_execnz .LBB140_1196
; %bb.693:
	s_or_b64 exec, exec, s[16:17]
	v_cmp_gt_u32_e64 s[12:13], 8, v14
	s_and_saveexec_b64 s[0:1], s[12:13]
	s_cbranch_execnz .LBB140_1197
.LBB140_694:
	s_or_b64 exec, exec, s[0:1]
	v_cmp_gt_u32_e64 s[12:13], 4, v14
	s_and_saveexec_b64 s[0:1], s[12:13]
	s_cbranch_execz .LBB140_696
.LBB140_695:
	v_lshlrev_b32_e32 v31, 3, v0
	v_mov_b32_e32 v33, 0
	ds_read_b64 v[31:32], v31 offset:18208
	ds_read_b64 v[33:34], v33 offset:16664
	s_waitcnt lgkmcnt(0)
	v_fma_f64 v[10:11], v[31:32], v[33:34], v[10:11]
.LBB140_696:
	s_or_b64 exec, exec, s[0:1]
	v_xor_b32_e32 v11, 0x80000000, v11
.LBB140_697:
	s_or_b64 exec, exec, s[14:15]
	s_and_saveexec_b64 s[0:1], s[48:49]
; %bb.698:
	ds_write_b64 v18, v[10:11]
; %bb.699:
	s_or_b64 exec, exec, s[0:1]
	s_waitcnt lgkmcnt(0)
	s_barrier
	s_and_saveexec_b64 s[0:1], s[50:51]
	s_cbranch_execz .LBB140_701
; %bb.700:
	ds_read_b64 v[31:32], v17 offset:18720
	ds_read_b64 v[33:34], v18
	s_waitcnt lgkmcnt(0)
	v_fma_f64 v[10:11], v[31:32], v[33:34], v[10:11]
.LBB140_701:
	s_or_b64 exec, exec, s[0:1]
	s_barrier
	s_and_saveexec_b64 s[0:1], s[52:53]
; %bb.702:
	ds_write_b64 v18, v[10:11]
; %bb.703:
	s_or_b64 exec, exec, s[0:1]
	s_waitcnt lgkmcnt(0)
	s_barrier
	s_and_saveexec_b64 s[0:1], s[54:55]
	s_cbranch_execz .LBB140_705
; %bb.704:
	ds_read_b64 v[31:32], v17 offset:19232
	ds_read_b64 v[33:34], v18
	s_waitcnt lgkmcnt(0)
	v_fma_f64 v[10:11], v[31:32], v[33:34], v[10:11]
.LBB140_705:
	s_or_b64 exec, exec, s[0:1]
	s_barrier
	s_and_saveexec_b64 s[0:1], s[56:57]
; %bb.706:
	ds_write_b64 v18, v[10:11]
; %bb.707:
	s_or_b64 exec, exec, s[0:1]
	s_waitcnt lgkmcnt(0)
	s_barrier
	s_and_saveexec_b64 s[0:1], s[46:47]
	s_cbranch_execz .LBB140_709
; %bb.708:
	v_mov_b32_e32 v31, 0
	ds_read_b64 v[31:32], v31 offset:19768
	ds_read_b64 v[33:34], v18
	s_waitcnt lgkmcnt(0)
	v_fma_f64 v[10:11], v[31:32], v[33:34], v[10:11]
.LBB140_709:
	s_or_b64 exec, exec, s[0:1]
	s_barrier
	s_and_saveexec_b64 s[0:1], s[46:47]
; %bb.710:
	ds_write_b64 v18, v[10:11]
; %bb.711:
	s_or_b64 exec, exec, s[0:1]
	s_waitcnt lgkmcnt(0)
	s_barrier
	s_barrier
	s_and_saveexec_b64 s[0:1], s[18:19]
; %bb.712:
	v_xor_b32_e32 v11, 0x80000000, v11
	ds_write_b64 v16, v[10:11] offset:16672
; %bb.713:
	s_or_b64 exec, exec, s[0:1]
	s_waitcnt lgkmcnt(0)
	s_barrier
	s_barrier
	s_and_saveexec_b64 s[12:13], s[58:59]
	s_cbranch_execz .LBB140_715
; %bb.714:
	v_lshlrev_b32_e32 v31, 9, v0
	ds_read_b64 v[10:11], v31 offset:16672
	s_movk_i32 s0, 0xfe08
	v_mad_i32_i24 v32, v0, s0, v31
	s_waitcnt lgkmcnt(0)
	ds_write_b64 v32, v[10:11] offset:18688
	ds_read_b64 v[10:11], v31 offset:16680
	s_waitcnt lgkmcnt(0)
	ds_write_b64 v32, v[10:11] offset:19200
	ds_read_b64 v[10:11], v31 offset:16688
	;; [unrolled: 3-line block ×3, first 2 shown]
	s_waitcnt lgkmcnt(0)
	ds_write_b64 v32, v[10:11] offset:20224
.LBB140_715:
	s_or_b64 exec, exec, s[12:13]
	s_waitcnt lgkmcnt(0)
	s_barrier
	s_and_saveexec_b64 s[12:13], vcc
	s_cbranch_execz .LBB140_717
; %bb.716:
	v_mov_b32_e32 v33, 0
	ds_read_b64 v[31:32], v33 offset:18728
	v_mov_b32_e32 v34, 0x3ff00000
	ds_write_b64 v33, v[33:34] offset:18720
	s_waitcnt lgkmcnt(1)
	ds_write_b128 v33, v[31:34] offset:19232
.LBB140_717:
	s_or_b64 exec, exec, s[12:13]
	v_mov_b32_e32 v10, 0
	v_mov_b32_e32 v11, 0
	s_waitcnt lgkmcnt(0)
	s_barrier
	s_and_saveexec_b64 s[14:15], s[2:3]
	s_cbranch_execz .LBB140_721
; %bb.718:
	v_mul_u32_u24_e32 v31, 0x208, v15
	ds_read_b64 v[10:11], v12 offset:18736
	ds_read_b64 v[31:32], v31 offset:18720
	v_cmp_gt_u32_e64 s[12:13], 2, v14
	s_waitcnt lgkmcnt(0)
	v_fma_f64 v[10:11], v[10:11], v[31:32], 0
	s_and_saveexec_b64 s[16:17], s[12:13]
	s_cbranch_execz .LBB140_720
; %bb.719:
	v_lshlrev_b32_e32 v31, 3, v0
	v_mov_b32_e32 v33, 0
	ds_read_b64 v[31:32], v31 offset:19248
	ds_read_b64 v[33:34], v33 offset:18728
	s_waitcnt lgkmcnt(0)
	v_fma_f64 v[10:11], v[31:32], v[33:34], v[10:11]
.LBB140_720:
	s_or_b64 exec, exec, s[16:17]
	v_xor_b32_e32 v11, 0x80000000, v11
.LBB140_721:
	s_or_b64 exec, exec, s[14:15]
	s_and_saveexec_b64 s[0:1], s[42:43]
; %bb.722:
	ds_write_b64 v13, v[10:11]
; %bb.723:
	s_or_b64 exec, exec, s[0:1]
	s_waitcnt lgkmcnt(0)
	s_barrier
	s_and_saveexec_b64 s[0:1], s[40:41]
	s_cbranch_execz .LBB140_725
; %bb.724:
	v_mov_b32_e32 v31, 0
	ds_read_b64 v[31:32], v31 offset:19768
	ds_read_b64 v[33:34], v13
	s_waitcnt lgkmcnt(0)
	v_fma_f64 v[10:11], v[31:32], v[33:34], v[10:11]
.LBB140_725:
	s_or_b64 exec, exec, s[0:1]
	s_barrier
	s_and_saveexec_b64 s[0:1], s[40:41]
; %bb.726:
	ds_write_b64 v13, v[10:11]
; %bb.727:
	s_or_b64 exec, exec, s[0:1]
	s_waitcnt lgkmcnt(0)
	s_barrier
	s_barrier
	s_and_saveexec_b64 s[0:1], s[2:3]
; %bb.728:
	v_xor_b32_e32 v11, 0x80000000, v11
	ds_write_b64 v12, v[10:11] offset:18736
; %bb.729:
	s_or_b64 exec, exec, s[0:1]
	s_waitcnt lgkmcnt(0)
	s_barrier
	s_barrier
	s_and_saveexec_b64 s[0:1], s[44:45]
	s_cbranch_execz .LBB140_731
; %bb.730:
	v_lshlrev_b32_e32 v31, 3, v0
	s_movk_i32 s12, 0x1f8
	v_mad_u32_u24 v32, v0, s12, v31
	ds_read_b64 v[10:11], v32 offset:18736
	s_waitcnt lgkmcnt(0)
	ds_write_b64 v31, v[10:11] offset:19744
	ds_read_b64 v[10:11], v32 offset:18744
	s_waitcnt lgkmcnt(0)
	ds_write_b64 v31, v[10:11] offset:20256
.LBB140_731:
	s_or_b64 exec, exec, s[0:1]
	s_waitcnt lgkmcnt(0)
	s_barrier
	s_and_saveexec_b64 s[12:13], vcc
	s_cbranch_execz .LBB140_733
; %bb.732:
	v_mov_b32_e32 v33, 0
	ds_read_b64 v[31:32], v33 offset:19768
	v_mov_b32_e32 v34, 0x3ff00000
	ds_write_b64 v33, v[33:34] offset:19760
	s_waitcnt lgkmcnt(1)
	ds_write_b128 v33, v[31:34] offset:20272
.LBB140_733:
	s_or_b64 exec, exec, s[12:13]
	v_mov_b32_e32 v10, 0
	v_mov_b32_e32 v11, 0
	s_waitcnt lgkmcnt(0)
	s_barrier
	s_and_saveexec_b64 s[14:15], s[8:9]
	s_cbranch_execz .LBB140_743
; %bb.734:
	v_mul_u32_u24_e32 v31, 0x208, v25
	ds_read_b64 v[10:11], v21 offset:16704
	ds_read_b64 v[32:33], v31 offset:16640
	v_cmp_gt_u32_e64 s[12:13], 56, v14
	s_waitcnt lgkmcnt(0)
	v_fma_f64 v[10:11], v[10:11], v[32:33], 0
	s_and_saveexec_b64 s[16:17], s[12:13]
	s_cbranch_execnz .LBB140_1198
; %bb.735:
	s_or_b64 exec, exec, s[16:17]
	v_cmp_gt_u32_e64 s[12:13], 48, v14
	s_and_saveexec_b64 s[0:1], s[12:13]
	s_cbranch_execnz .LBB140_1199
.LBB140_736:
	s_or_b64 exec, exec, s[0:1]
	v_cmp_gt_u32_e64 s[12:13], 40, v14
	s_and_saveexec_b64 s[0:1], s[12:13]
	s_cbranch_execnz .LBB140_1200
.LBB140_737:
	s_or_b64 exec, exec, s[0:1]
	v_cmp_gt_u32_e64 s[12:13], 32, v14
	s_and_saveexec_b64 s[0:1], s[12:13]
	s_cbranch_execnz .LBB140_1201
.LBB140_738:
	s_or_b64 exec, exec, s[0:1]
	v_cmp_gt_u32_e64 s[12:13], 24, v14
	s_and_saveexec_b64 s[0:1], s[12:13]
	s_cbranch_execnz .LBB140_1202
.LBB140_739:
	s_or_b64 exec, exec, s[0:1]
	v_cmp_gt_u32_e64 s[12:13], 16, v14
	s_and_saveexec_b64 s[0:1], s[12:13]
	s_cbranch_execnz .LBB140_1203
.LBB140_740:
	s_or_b64 exec, exec, s[0:1]
	v_cmp_gt_u32_e64 s[12:13], 8, v14
	s_and_saveexec_b64 s[0:1], s[12:13]
	s_cbranch_execz .LBB140_742
.LBB140_741:
	v_lshlrev_b32_e32 v31, 3, v0
	v_mov_b32_e32 v33, 0
	ds_read_b64 v[31:32], v31 offset:20288
	ds_read_b64 v[33:34], v33 offset:16696
	s_waitcnt lgkmcnt(0)
	v_fma_f64 v[10:11], v[31:32], v[33:34], v[10:11]
.LBB140_742:
	s_or_b64 exec, exec, s[0:1]
	v_xor_b32_e32 v11, 0x80000000, v11
.LBB140_743:
	s_or_b64 exec, exec, s[14:15]
	s_and_saveexec_b64 s[0:1], s[60:61]
; %bb.744:
	ds_write_b64 v23, v[10:11]
; %bb.745:
	s_or_b64 exec, exec, s[0:1]
	s_waitcnt lgkmcnt(0)
	s_barrier
	s_and_saveexec_b64 s[0:1], s[62:63]
	s_cbranch_execz .LBB140_747
; %bb.746:
	ds_read_b64 v[31:32], v22 offset:20800
	ds_read_b64 v[33:34], v23
	s_waitcnt lgkmcnt(0)
	v_fma_f64 v[10:11], v[31:32], v[33:34], v[10:11]
.LBB140_747:
	s_or_b64 exec, exec, s[0:1]
	s_barrier
	s_and_saveexec_b64 s[0:1], s[64:65]
; %bb.748:
	ds_write_b64 v23, v[10:11]
; %bb.749:
	s_or_b64 exec, exec, s[0:1]
	s_waitcnt lgkmcnt(0)
	s_barrier
	s_and_saveexec_b64 s[0:1], s[66:67]
	s_cbranch_execz .LBB140_751
; %bb.750:
	ds_read_b64 v[31:32], v22 offset:21312
	ds_read_b64 v[33:34], v23
	s_waitcnt lgkmcnt(0)
	v_fma_f64 v[10:11], v[31:32], v[33:34], v[10:11]
.LBB140_751:
	s_or_b64 exec, exec, s[0:1]
	s_barrier
	;; [unrolled: 17-line block ×6, first 2 shown]
	s_and_saveexec_b64 s[0:1], s[86:87]
; %bb.768:
	ds_write_b64 v23, v[10:11]
; %bb.769:
	s_or_b64 exec, exec, s[0:1]
	s_waitcnt lgkmcnt(0)
	s_barrier
	s_and_saveexec_b64 s[0:1], s[70:71]
	s_cbranch_execz .LBB140_771
; %bb.770:
	v_mov_b32_e32 v31, 0
	ds_read_b64 v[31:32], v31 offset:23928
	ds_read_b64 v[33:34], v23
	s_waitcnt lgkmcnt(0)
	v_fma_f64 v[10:11], v[31:32], v[33:34], v[10:11]
.LBB140_771:
	s_or_b64 exec, exec, s[0:1]
	s_barrier
	s_and_saveexec_b64 s[0:1], s[70:71]
; %bb.772:
	ds_write_b64 v23, v[10:11]
; %bb.773:
	s_or_b64 exec, exec, s[0:1]
	s_waitcnt lgkmcnt(0)
	s_barrier
	s_barrier
	s_and_saveexec_b64 s[0:1], s[8:9]
; %bb.774:
	v_xor_b32_e32 v11, 0x80000000, v11
	ds_write_b64 v21, v[10:11] offset:16704
; %bb.775:
	s_or_b64 exec, exec, s[0:1]
	s_waitcnt lgkmcnt(0)
	s_barrier
	s_barrier
	s_and_saveexec_b64 s[12:13], s[88:89]
	s_cbranch_execz .LBB140_777
; %bb.776:
	v_lshlrev_b32_e32 v31, 9, v0
	ds_read_b64 v[10:11], v31 offset:16704
	s_movk_i32 s0, 0xfe08
	v_mad_i32_i24 v32, v0, s0, v31
	s_waitcnt lgkmcnt(0)
	ds_write_b64 v32, v[10:11] offset:20736
	ds_read_b64 v[10:11], v31 offset:16712
	s_waitcnt lgkmcnt(0)
	ds_write_b64 v32, v[10:11] offset:21248
	ds_read_b64 v[10:11], v31 offset:16720
	;; [unrolled: 3-line block ×7, first 2 shown]
	s_waitcnt lgkmcnt(0)
	ds_write_b64 v32, v[10:11] offset:24320
.LBB140_777:
	s_or_b64 exec, exec, s[12:13]
	s_waitcnt lgkmcnt(0)
	s_barrier
	s_and_saveexec_b64 s[12:13], vcc
	s_cbranch_execz .LBB140_779
; %bb.778:
	v_mov_b32_e32 v33, 0
	ds_read_b64 v[31:32], v33 offset:20808
	v_mov_b32_e32 v34, 0x3ff00000
	ds_write_b64 v33, v[33:34] offset:20800
	s_waitcnt lgkmcnt(1)
	ds_write_b128 v33, v[31:34] offset:21312
.LBB140_779:
	s_or_b64 exec, exec, s[12:13]
	v_mov_b32_e32 v10, 0
	v_mov_b32_e32 v11, 0
	s_waitcnt lgkmcnt(0)
	s_barrier
	s_and_saveexec_b64 s[14:15], s[2:3]
	s_cbranch_execz .LBB140_783
; %bb.780:
	v_mul_u32_u24_e32 v31, 0x208, v15
	ds_read_b64 v[10:11], v12 offset:20816
	ds_read_b64 v[31:32], v31 offset:20800
	v_cmp_gt_u32_e64 s[12:13], 2, v14
	s_waitcnt lgkmcnt(0)
	v_fma_f64 v[10:11], v[10:11], v[31:32], 0
	s_and_saveexec_b64 s[16:17], s[12:13]
	s_cbranch_execz .LBB140_782
; %bb.781:
	v_lshlrev_b32_e32 v31, 3, v0
	v_mov_b32_e32 v33, 0
	ds_read_b64 v[31:32], v31 offset:21328
	ds_read_b64 v[33:34], v33 offset:20808
	s_waitcnt lgkmcnt(0)
	v_fma_f64 v[10:11], v[31:32], v[33:34], v[10:11]
.LBB140_782:
	s_or_b64 exec, exec, s[16:17]
	v_xor_b32_e32 v11, 0x80000000, v11
.LBB140_783:
	s_or_b64 exec, exec, s[14:15]
	s_and_saveexec_b64 s[0:1], s[42:43]
; %bb.784:
	ds_write_b64 v13, v[10:11]
; %bb.785:
	s_or_b64 exec, exec, s[0:1]
	s_waitcnt lgkmcnt(0)
	s_barrier
	s_and_saveexec_b64 s[0:1], s[40:41]
	s_cbranch_execz .LBB140_787
; %bb.786:
	v_mov_b32_e32 v31, 0
	ds_read_b64 v[31:32], v31 offset:21848
	ds_read_b64 v[33:34], v13
	s_waitcnt lgkmcnt(0)
	v_fma_f64 v[10:11], v[31:32], v[33:34], v[10:11]
.LBB140_787:
	s_or_b64 exec, exec, s[0:1]
	s_barrier
	s_and_saveexec_b64 s[0:1], s[40:41]
; %bb.788:
	ds_write_b64 v13, v[10:11]
; %bb.789:
	s_or_b64 exec, exec, s[0:1]
	s_waitcnt lgkmcnt(0)
	s_barrier
	s_barrier
	s_and_saveexec_b64 s[0:1], s[2:3]
; %bb.790:
	v_xor_b32_e32 v11, 0x80000000, v11
	ds_write_b64 v12, v[10:11] offset:20816
; %bb.791:
	s_or_b64 exec, exec, s[0:1]
	s_waitcnt lgkmcnt(0)
	s_barrier
	s_barrier
	s_and_saveexec_b64 s[0:1], s[44:45]
	s_cbranch_execz .LBB140_793
; %bb.792:
	v_lshlrev_b32_e32 v31, 3, v0
	s_movk_i32 s12, 0x1f8
	v_mad_u32_u24 v32, v0, s12, v31
	ds_read_b64 v[10:11], v32 offset:20816
	s_waitcnt lgkmcnt(0)
	ds_write_b64 v31, v[10:11] offset:21824
	ds_read_b64 v[10:11], v32 offset:20824
	s_waitcnt lgkmcnt(0)
	ds_write_b64 v31, v[10:11] offset:22336
.LBB140_793:
	s_or_b64 exec, exec, s[0:1]
	s_waitcnt lgkmcnt(0)
	s_barrier
	s_and_saveexec_b64 s[12:13], vcc
	s_cbranch_execz .LBB140_795
; %bb.794:
	v_mov_b32_e32 v33, 0
	ds_read_b64 v[31:32], v33 offset:21848
	v_mov_b32_e32 v34, 0x3ff00000
	ds_write_b64 v33, v[33:34] offset:21840
	s_waitcnt lgkmcnt(1)
	ds_write_b128 v33, v[31:34] offset:22352
.LBB140_795:
	s_or_b64 exec, exec, s[12:13]
	v_mov_b32_e32 v10, 0
	v_mov_b32_e32 v11, 0
	s_waitcnt lgkmcnt(0)
	s_barrier
	s_and_saveexec_b64 s[14:15], s[18:19]
	s_cbranch_execz .LBB140_801
; %bb.796:
	v_mul_u32_u24_e32 v31, 0x208, v20
	ds_read_b64 v[10:11], v16 offset:20832
	ds_read_b64 v[32:33], v31 offset:20800
	v_cmp_gt_u32_e64 s[12:13], 12, v14
	s_waitcnt lgkmcnt(0)
	v_fma_f64 v[10:11], v[10:11], v[32:33], 0
	s_and_saveexec_b64 s[16:17], s[12:13]
	s_cbranch_execnz .LBB140_1204
; %bb.797:
	s_or_b64 exec, exec, s[16:17]
	v_cmp_gt_u32_e64 s[12:13], 8, v14
	s_and_saveexec_b64 s[0:1], s[12:13]
	s_cbranch_execnz .LBB140_1205
.LBB140_798:
	s_or_b64 exec, exec, s[0:1]
	v_cmp_gt_u32_e64 s[12:13], 4, v14
	s_and_saveexec_b64 s[0:1], s[12:13]
	s_cbranch_execz .LBB140_800
.LBB140_799:
	v_lshlrev_b32_e32 v31, 3, v0
	v_mov_b32_e32 v33, 0
	ds_read_b64 v[31:32], v31 offset:22368
	ds_read_b64 v[33:34], v33 offset:20824
	s_waitcnt lgkmcnt(0)
	v_fma_f64 v[10:11], v[31:32], v[33:34], v[10:11]
.LBB140_800:
	s_or_b64 exec, exec, s[0:1]
	v_xor_b32_e32 v11, 0x80000000, v11
.LBB140_801:
	s_or_b64 exec, exec, s[14:15]
	s_and_saveexec_b64 s[0:1], s[48:49]
; %bb.802:
	ds_write_b64 v18, v[10:11]
; %bb.803:
	s_or_b64 exec, exec, s[0:1]
	s_waitcnt lgkmcnt(0)
	s_barrier
	s_and_saveexec_b64 s[0:1], s[50:51]
	s_cbranch_execz .LBB140_805
; %bb.804:
	ds_read_b64 v[31:32], v17 offset:22880
	ds_read_b64 v[33:34], v18
	s_waitcnt lgkmcnt(0)
	v_fma_f64 v[10:11], v[31:32], v[33:34], v[10:11]
.LBB140_805:
	s_or_b64 exec, exec, s[0:1]
	s_barrier
	s_and_saveexec_b64 s[0:1], s[52:53]
; %bb.806:
	ds_write_b64 v18, v[10:11]
; %bb.807:
	s_or_b64 exec, exec, s[0:1]
	s_waitcnt lgkmcnt(0)
	s_barrier
	s_and_saveexec_b64 s[0:1], s[54:55]
	s_cbranch_execz .LBB140_809
; %bb.808:
	ds_read_b64 v[31:32], v17 offset:23392
	ds_read_b64 v[33:34], v18
	s_waitcnt lgkmcnt(0)
	v_fma_f64 v[10:11], v[31:32], v[33:34], v[10:11]
.LBB140_809:
	s_or_b64 exec, exec, s[0:1]
	s_barrier
	s_and_saveexec_b64 s[0:1], s[56:57]
; %bb.810:
	ds_write_b64 v18, v[10:11]
; %bb.811:
	s_or_b64 exec, exec, s[0:1]
	s_waitcnt lgkmcnt(0)
	s_barrier
	s_and_saveexec_b64 s[0:1], s[46:47]
	s_cbranch_execz .LBB140_813
; %bb.812:
	v_mov_b32_e32 v31, 0
	ds_read_b64 v[31:32], v31 offset:23928
	ds_read_b64 v[33:34], v18
	s_waitcnt lgkmcnt(0)
	v_fma_f64 v[10:11], v[31:32], v[33:34], v[10:11]
.LBB140_813:
	s_or_b64 exec, exec, s[0:1]
	s_barrier
	s_and_saveexec_b64 s[0:1], s[46:47]
; %bb.814:
	ds_write_b64 v18, v[10:11]
; %bb.815:
	s_or_b64 exec, exec, s[0:1]
	s_waitcnt lgkmcnt(0)
	s_barrier
	s_barrier
	s_and_saveexec_b64 s[0:1], s[18:19]
; %bb.816:
	v_xor_b32_e32 v11, 0x80000000, v11
	ds_write_b64 v16, v[10:11] offset:20832
; %bb.817:
	s_or_b64 exec, exec, s[0:1]
	s_waitcnt lgkmcnt(0)
	s_barrier
	s_barrier
	s_and_saveexec_b64 s[12:13], s[58:59]
	s_cbranch_execz .LBB140_819
; %bb.818:
	v_lshlrev_b32_e32 v31, 9, v0
	ds_read_b64 v[10:11], v31 offset:20832
	s_movk_i32 s0, 0xfe08
	v_mad_i32_i24 v32, v0, s0, v31
	s_waitcnt lgkmcnt(0)
	ds_write_b64 v32, v[10:11] offset:22848
	ds_read_b64 v[10:11], v31 offset:20840
	s_waitcnt lgkmcnt(0)
	ds_write_b64 v32, v[10:11] offset:23360
	ds_read_b64 v[10:11], v31 offset:20848
	;; [unrolled: 3-line block ×3, first 2 shown]
	s_waitcnt lgkmcnt(0)
	ds_write_b64 v32, v[10:11] offset:24384
.LBB140_819:
	s_or_b64 exec, exec, s[12:13]
	s_waitcnt lgkmcnt(0)
	s_barrier
	s_and_saveexec_b64 s[12:13], vcc
	s_cbranch_execz .LBB140_821
; %bb.820:
	v_mov_b32_e32 v33, 0
	ds_read_b64 v[31:32], v33 offset:22888
	v_mov_b32_e32 v34, 0x3ff00000
	ds_write_b64 v33, v[33:34] offset:22880
	s_waitcnt lgkmcnt(1)
	ds_write_b128 v33, v[31:34] offset:23392
.LBB140_821:
	s_or_b64 exec, exec, s[12:13]
	v_mov_b32_e32 v10, 0
	v_mov_b32_e32 v11, 0
	s_waitcnt lgkmcnt(0)
	s_barrier
	s_and_saveexec_b64 s[14:15], s[2:3]
	s_cbranch_execz .LBB140_825
; %bb.822:
	v_mul_u32_u24_e32 v31, 0x208, v15
	ds_read_b64 v[10:11], v12 offset:22896
	ds_read_b64 v[31:32], v31 offset:22880
	v_cmp_gt_u32_e64 s[12:13], 2, v14
	s_waitcnt lgkmcnt(0)
	v_fma_f64 v[10:11], v[10:11], v[31:32], 0
	s_and_saveexec_b64 s[16:17], s[12:13]
	s_cbranch_execz .LBB140_824
; %bb.823:
	v_lshlrev_b32_e32 v31, 3, v0
	v_mov_b32_e32 v33, 0
	ds_read_b64 v[31:32], v31 offset:23408
	ds_read_b64 v[33:34], v33 offset:22888
	s_waitcnt lgkmcnt(0)
	v_fma_f64 v[10:11], v[31:32], v[33:34], v[10:11]
.LBB140_824:
	s_or_b64 exec, exec, s[16:17]
	v_xor_b32_e32 v11, 0x80000000, v11
.LBB140_825:
	s_or_b64 exec, exec, s[14:15]
	s_and_saveexec_b64 s[0:1], s[42:43]
; %bb.826:
	ds_write_b64 v13, v[10:11]
; %bb.827:
	s_or_b64 exec, exec, s[0:1]
	s_waitcnt lgkmcnt(0)
	s_barrier
	s_and_saveexec_b64 s[0:1], s[40:41]
	s_cbranch_execz .LBB140_829
; %bb.828:
	v_mov_b32_e32 v31, 0
	ds_read_b64 v[31:32], v31 offset:23928
	ds_read_b64 v[33:34], v13
	s_waitcnt lgkmcnt(0)
	v_fma_f64 v[10:11], v[31:32], v[33:34], v[10:11]
.LBB140_829:
	s_or_b64 exec, exec, s[0:1]
	s_barrier
	s_and_saveexec_b64 s[0:1], s[40:41]
; %bb.830:
	ds_write_b64 v13, v[10:11]
; %bb.831:
	s_or_b64 exec, exec, s[0:1]
	s_waitcnt lgkmcnt(0)
	s_barrier
	s_barrier
	s_and_saveexec_b64 s[0:1], s[2:3]
; %bb.832:
	v_xor_b32_e32 v11, 0x80000000, v11
	ds_write_b64 v12, v[10:11] offset:22896
; %bb.833:
	s_or_b64 exec, exec, s[0:1]
	s_waitcnt lgkmcnt(0)
	s_barrier
	s_barrier
	s_and_saveexec_b64 s[0:1], s[44:45]
	s_cbranch_execz .LBB140_835
; %bb.834:
	v_lshlrev_b32_e32 v31, 3, v0
	s_movk_i32 s12, 0x1f8
	v_mad_u32_u24 v32, v0, s12, v31
	ds_read_b64 v[10:11], v32 offset:22896
	s_waitcnt lgkmcnt(0)
	ds_write_b64 v31, v[10:11] offset:23904
	ds_read_b64 v[10:11], v32 offset:22904
	s_waitcnt lgkmcnt(0)
	ds_write_b64 v31, v[10:11] offset:24416
.LBB140_835:
	s_or_b64 exec, exec, s[0:1]
	s_waitcnt lgkmcnt(0)
	s_barrier
	s_and_saveexec_b64 s[12:13], vcc
	s_cbranch_execz .LBB140_837
; %bb.836:
	v_mov_b32_e32 v33, 0
	ds_read_b64 v[31:32], v33 offset:23928
	v_mov_b32_e32 v34, 0x3ff00000
	ds_write_b64 v33, v[33:34] offset:23920
	s_waitcnt lgkmcnt(1)
	ds_write_b128 v33, v[31:34] offset:24432
.LBB140_837:
	s_or_b64 exec, exec, s[12:13]
	v_mov_b32_e32 v10, 0
	v_mov_b32_e32 v11, 0
	s_waitcnt lgkmcnt(0)
	s_barrier
	s_and_saveexec_b64 s[14:15], s[10:11]
	s_cbranch_execz .LBB140_865
; %bb.838:
	v_mul_u32_u24_e32 v31, 0x208, v30
	ds_read_b64 v[10:11], v26 offset:16768
	ds_read_b64 v[32:33], v31 offset:16640
	s_movk_i32 s0, 0xf0
	v_cmp_gt_u32_e64 s[12:13], s0, v14
	s_waitcnt lgkmcnt(0)
	v_fma_f64 v[10:11], v[10:11], v[32:33], 0
	s_and_saveexec_b64 s[16:17], s[12:13]
	s_cbranch_execz .LBB140_840
; %bb.839:
	v_lshlrev_b32_e32 v32, 3, v30
	v_sub_u32_e32 v32, v31, v32
	v_lshl_add_u32 v32, v27, 3, v32
	ds_read_b64 v[32:33], v32 offset:17280
	ds_read_b64 v[34:35], v31 offset:16648
	s_waitcnt lgkmcnt(0)
	v_fma_f64 v[10:11], v[32:33], v[34:35], v[10:11]
.LBB140_840:
	s_or_b64 exec, exec, s[16:17]
	s_movk_i32 s0, 0xe0
	v_cmp_gt_u32_e64 s[12:13], s0, v14
	s_and_saveexec_b64 s[0:1], s[12:13]
	s_cbranch_execz .LBB140_842
; %bb.841:
	v_lshlrev_b32_e32 v32, 3, v30
	v_sub_u32_e32 v32, v31, v32
	v_lshl_add_u32 v32, v27, 3, v32
	ds_read_b64 v[32:33], v32 offset:17792
	ds_read_b64 v[34:35], v31 offset:16656
	s_waitcnt lgkmcnt(0)
	v_fma_f64 v[10:11], v[32:33], v[34:35], v[10:11]
.LBB140_842:
	s_or_b64 exec, exec, s[0:1]
	s_movk_i32 s0, 0xd0
	v_cmp_gt_u32_e64 s[12:13], s0, v14
	;; [unrolled: 14-line block ×7, first 2 shown]
	s_and_saveexec_b64 s[0:1], s[12:13]
	s_cbranch_execz .LBB140_854
; %bb.853:
	ds_read_b64 v[32:33], v26 offset:20864
	ds_read_b64 v[34:35], v31 offset:16704
	s_waitcnt lgkmcnt(0)
	v_fma_f64 v[10:11], v[32:33], v[34:35], v[10:11]
.LBB140_854:
	s_or_b64 exec, exec, s[0:1]
	s_movk_i32 s0, 0x70
	v_cmp_gt_u32_e64 s[12:13], s0, v14
	s_and_saveexec_b64 s[0:1], s[12:13]
	s_cbranch_execz .LBB140_856
; %bb.855:
	v_lshlrev_b32_e32 v30, 3, v27
	v_lshl_add_u32 v30, v29, 3, v30
	ds_read_b64 v[32:33], v30 offset:21376
	ds_read_b64 v[34:35], v31 offset:16712
	s_waitcnt lgkmcnt(0)
	v_fma_f64 v[10:11], v[32:33], v[34:35], v[10:11]
.LBB140_856:
	s_or_b64 exec, exec, s[0:1]
	s_movk_i32 s0, 0x60
	v_cmp_gt_u32_e64 s[12:13], s0, v14
	s_and_saveexec_b64 s[0:1], s[12:13]
	s_cbranch_execz .LBB140_858
; %bb.857:
	v_lshlrev_b32_e32 v30, 3, v27
	v_lshl_add_u32 v30, v29, 3, v30
	ds_read_b64 v[32:33], v30 offset:21888
	ds_read_b64 v[34:35], v31 offset:16720
	s_waitcnt lgkmcnt(0)
	v_fma_f64 v[10:11], v[32:33], v[34:35], v[10:11]
.LBB140_858:
	s_or_b64 exec, exec, s[0:1]
	s_movk_i32 s0, 0x50
	v_cmp_gt_u32_e64 s[12:13], s0, v14
	s_and_saveexec_b64 s[0:1], s[12:13]
	s_cbranch_execnz .LBB140_1206
; %bb.859:
	s_or_b64 exec, exec, s[0:1]
	v_cmp_gt_u32_e64 s[12:13], 64, v14
	s_and_saveexec_b64 s[0:1], s[12:13]
	s_cbranch_execnz .LBB140_1207
.LBB140_860:
	s_or_b64 exec, exec, s[0:1]
	v_cmp_gt_u32_e64 s[12:13], 48, v14
	s_and_saveexec_b64 s[0:1], s[12:13]
	s_cbranch_execnz .LBB140_1208
.LBB140_861:
	s_or_b64 exec, exec, s[0:1]
	v_cmp_gt_u32_e64 s[12:13], 32, v14
	s_and_saveexec_b64 s[0:1], s[12:13]
	s_cbranch_execnz .LBB140_1209
.LBB140_862:
	s_or_b64 exec, exec, s[0:1]
	v_cmp_gt_u32_e64 s[12:13], 16, v14
	s_and_saveexec_b64 s[0:1], s[12:13]
	s_cbranch_execz .LBB140_864
.LBB140_863:
	v_lshlrev_b32_e32 v29, 3, v0
	v_mov_b32_e32 v31, 0
	ds_read_b64 v[29:30], v29 offset:24448
	ds_read_b64 v[31:32], v31 offset:16760
	s_waitcnt lgkmcnt(0)
	v_fma_f64 v[10:11], v[29:30], v[31:32], v[10:11]
.LBB140_864:
	s_or_b64 exec, exec, s[0:1]
	v_xor_b32_e32 v11, 0x80000000, v11
.LBB140_865:
	s_or_b64 exec, exec, s[14:15]
	s_mov_b64 s[0:1], exec
	v_readlane_b32 s12, v40, 4
	v_readlane_b32 s13, v40, 5
	s_and_b64 s[12:13], s[0:1], s[12:13]
	s_mov_b64 exec, s[12:13]
; %bb.866:
	ds_write_b64 v28, v[10:11]
; %bb.867:
	s_or_b64 exec, exec, s[0:1]
	s_waitcnt lgkmcnt(0)
	s_barrier
	s_mov_b64 s[0:1], exec
	v_readlane_b32 s12, v40, 6
	v_readlane_b32 s13, v40, 7
	s_and_b64 s[12:13], s[0:1], s[12:13]
	s_mov_b64 exec, s[12:13]
	s_cbranch_execz .LBB140_869
; %bb.868:
	v_lshlrev_b32_e32 v29, 3, v27
	ds_read_b64 v[29:30], v29 offset:24960
	ds_read_b64 v[31:32], v28
	s_waitcnt lgkmcnt(0)
	v_fma_f64 v[10:11], v[29:30], v[31:32], v[10:11]
.LBB140_869:
	s_or_b64 exec, exec, s[0:1]
	s_barrier
	s_mov_b64 s[0:1], exec
	v_readlane_b32 s12, v40, 8
	v_readlane_b32 s13, v40, 9
	s_and_b64 s[12:13], s[0:1], s[12:13]
	s_mov_b64 exec, s[12:13]
; %bb.870:
	ds_write_b64 v28, v[10:11]
; %bb.871:
	s_or_b64 exec, exec, s[0:1]
	s_waitcnt lgkmcnt(0)
	s_barrier
	s_mov_b64 s[0:1], exec
	v_readlane_b32 s12, v40, 10
	v_readlane_b32 s13, v40, 11
	s_and_b64 s[12:13], s[0:1], s[12:13]
	s_mov_b64 exec, s[12:13]
	s_cbranch_execz .LBB140_873
; %bb.872:
	v_lshlrev_b32_e32 v29, 3, v27
	ds_read_b64 v[29:30], v29 offset:25472
	ds_read_b64 v[31:32], v28
	s_waitcnt lgkmcnt(0)
	v_fma_f64 v[10:11], v[29:30], v[31:32], v[10:11]
.LBB140_873:
	s_or_b64 exec, exec, s[0:1]
	s_barrier
	;; [unrolled: 26-line block ×14, first 2 shown]
	s_mov_b64 s[0:1], exec
	v_readlane_b32 s12, v40, 60
	v_readlane_b32 s13, v40, 61
	s_and_b64 s[12:13], s[0:1], s[12:13]
	s_mov_b64 exec, s[12:13]
; %bb.922:
	ds_write_b64 v28, v[10:11]
; %bb.923:
	s_or_b64 exec, exec, s[0:1]
	s_waitcnt lgkmcnt(0)
	s_barrier
	s_and_saveexec_b64 s[0:1], s[92:93]
	s_cbranch_execz .LBB140_925
; %bb.924:
	v_mov_b32_e32 v27, 0
	ds_read_b64 v[29:30], v27 offset:32248
	ds_read_b64 v[31:32], v28
	s_waitcnt lgkmcnt(0)
	v_fma_f64 v[10:11], v[29:30], v[31:32], v[10:11]
.LBB140_925:
	s_or_b64 exec, exec, s[0:1]
	s_barrier
	s_and_saveexec_b64 s[0:1], s[92:93]
; %bb.926:
	ds_write_b64 v28, v[10:11]
; %bb.927:
	s_or_b64 exec, exec, s[0:1]
	s_waitcnt lgkmcnt(0)
	s_barrier
	s_barrier
	s_and_saveexec_b64 s[0:1], s[10:11]
; %bb.928:
	v_xor_b32_e32 v11, 0x80000000, v11
	ds_write_b64 v26, v[10:11] offset:16768
; %bb.929:
	s_or_b64 exec, exec, s[0:1]
	s_waitcnt lgkmcnt(0)
	s_barrier
	s_barrier
	s_mov_b64 s[0:1], exec
	v_readlane_b32 s10, v40, 62
	v_readlane_b32 s11, v40, 63
	s_and_b64 s[10:11], s[0:1], s[10:11]
	s_mov_b64 exec, s[10:11]
	s_cbranch_execz .LBB140_931
; %bb.930:
	v_lshlrev_b32_e32 v26, 9, v0
	ds_read_b64 v[10:11], v26 offset:16768
	s_movk_i32 s10, 0xfe08
	v_mad_i32_i24 v27, v0, s10, v26
	s_waitcnt lgkmcnt(0)
	ds_write_b64 v27, v[10:11] offset:24832
	ds_read_b64 v[10:11], v26 offset:16776
	s_waitcnt lgkmcnt(0)
	ds_write_b64 v27, v[10:11] offset:25344
	ds_read_b64 v[10:11], v26 offset:16784
	;; [unrolled: 3-line block ×15, first 2 shown]
	s_waitcnt lgkmcnt(0)
	ds_write_b64 v27, v[10:11] offset:32512
.LBB140_931:
	s_or_b64 exec, exec, s[0:1]
	s_waitcnt lgkmcnt(0)
	s_barrier
	s_and_saveexec_b64 s[0:1], vcc
	s_cbranch_execz .LBB140_933
; %bb.932:
	v_mov_b32_e32 v28, 0
	ds_read_b64 v[26:27], v28 offset:24968
	v_mov_b32_e32 v29, 0x3ff00000
	ds_write_b64 v28, v[28:29] offset:24960
	s_waitcnt lgkmcnt(1)
	ds_write_b128 v28, v[26:29] offset:25472
.LBB140_933:
	s_or_b64 exec, exec, s[0:1]
	v_mov_b32_e32 v10, 0
	v_mov_b32_e32 v11, 0
	s_waitcnt lgkmcnt(0)
	s_barrier
	s_and_saveexec_b64 s[0:1], s[2:3]
	s_cbranch_execz .LBB140_937
; %bb.934:
	v_mul_u32_u24_e32 v26, 0x208, v15
	ds_read_b64 v[10:11], v12 offset:24976
	ds_read_b64 v[26:27], v26 offset:24960
	v_cmp_gt_u32_e64 s[10:11], 2, v14
	s_waitcnt lgkmcnt(0)
	v_fma_f64 v[10:11], v[10:11], v[26:27], 0
	s_and_saveexec_b64 s[12:13], s[10:11]
	s_cbranch_execz .LBB140_936
; %bb.935:
	v_lshlrev_b32_e32 v26, 3, v0
	v_mov_b32_e32 v28, 0
	ds_read_b64 v[26:27], v26 offset:25488
	ds_read_b64 v[28:29], v28 offset:24968
	s_waitcnt lgkmcnt(0)
	v_fma_f64 v[10:11], v[26:27], v[28:29], v[10:11]
.LBB140_936:
	s_or_b64 exec, exec, s[12:13]
	v_xor_b32_e32 v11, 0x80000000, v11
.LBB140_937:
	s_or_b64 exec, exec, s[0:1]
	s_and_saveexec_b64 s[0:1], s[42:43]
; %bb.938:
	ds_write_b64 v13, v[10:11]
; %bb.939:
	s_or_b64 exec, exec, s[0:1]
	s_waitcnt lgkmcnt(0)
	s_barrier
	s_and_saveexec_b64 s[0:1], s[40:41]
	s_cbranch_execz .LBB140_941
; %bb.940:
	v_mov_b32_e32 v26, 0
	ds_read_b64 v[26:27], v26 offset:26008
	ds_read_b64 v[28:29], v13
	s_waitcnt lgkmcnt(0)
	v_fma_f64 v[10:11], v[26:27], v[28:29], v[10:11]
.LBB140_941:
	s_or_b64 exec, exec, s[0:1]
	s_barrier
	s_and_saveexec_b64 s[0:1], s[40:41]
; %bb.942:
	ds_write_b64 v13, v[10:11]
; %bb.943:
	s_or_b64 exec, exec, s[0:1]
	s_waitcnt lgkmcnt(0)
	s_barrier
	s_barrier
	s_and_saveexec_b64 s[0:1], s[2:3]
; %bb.944:
	v_xor_b32_e32 v11, 0x80000000, v11
	ds_write_b64 v12, v[10:11] offset:24976
; %bb.945:
	s_or_b64 exec, exec, s[0:1]
	s_waitcnt lgkmcnt(0)
	s_barrier
	s_barrier
	s_and_saveexec_b64 s[0:1], s[44:45]
	s_cbranch_execz .LBB140_947
; %bb.946:
	v_lshlrev_b32_e32 v26, 3, v0
	s_movk_i32 s10, 0x1f8
	v_mad_u32_u24 v27, v0, s10, v26
	ds_read_b64 v[10:11], v27 offset:24976
	s_waitcnt lgkmcnt(0)
	ds_write_b64 v26, v[10:11] offset:25984
	ds_read_b64 v[10:11], v27 offset:24984
	s_waitcnt lgkmcnt(0)
	ds_write_b64 v26, v[10:11] offset:26496
.LBB140_947:
	s_or_b64 exec, exec, s[0:1]
	s_waitcnt lgkmcnt(0)
	s_barrier
	s_and_saveexec_b64 s[0:1], vcc
	s_cbranch_execz .LBB140_949
; %bb.948:
	v_mov_b32_e32 v28, 0
	ds_read_b64 v[26:27], v28 offset:26008
	v_mov_b32_e32 v29, 0x3ff00000
	ds_write_b64 v28, v[28:29] offset:26000
	s_waitcnt lgkmcnt(1)
	ds_write_b128 v28, v[26:29] offset:26512
.LBB140_949:
	s_or_b64 exec, exec, s[0:1]
	v_mov_b32_e32 v10, 0
	v_mov_b32_e32 v11, 0
	s_waitcnt lgkmcnt(0)
	s_barrier
	s_and_saveexec_b64 s[0:1], s[18:19]
	s_cbranch_execz .LBB140_955
; %bb.950:
	v_mul_u32_u24_e32 v26, 0x208, v20
	ds_read_b64 v[10:11], v16 offset:24992
	ds_read_b64 v[27:28], v26 offset:24960
	v_cmp_gt_u32_e64 s[10:11], 12, v14
	s_waitcnt lgkmcnt(0)
	v_fma_f64 v[10:11], v[10:11], v[27:28], 0
	s_and_saveexec_b64 s[12:13], s[10:11]
	s_cbranch_execnz .LBB140_1210
; %bb.951:
	s_or_b64 exec, exec, s[12:13]
	v_cmp_gt_u32_e64 s[10:11], 8, v14
	s_and_saveexec_b64 s[12:13], s[10:11]
	s_cbranch_execnz .LBB140_1211
.LBB140_952:
	s_or_b64 exec, exec, s[12:13]
	v_cmp_gt_u32_e64 s[10:11], 4, v14
	s_and_saveexec_b64 s[12:13], s[10:11]
	s_cbranch_execz .LBB140_954
.LBB140_953:
	v_lshlrev_b32_e32 v26, 3, v0
	v_mov_b32_e32 v28, 0
	ds_read_b64 v[26:27], v26 offset:26528
	ds_read_b64 v[28:29], v28 offset:24984
	s_waitcnt lgkmcnt(0)
	v_fma_f64 v[10:11], v[26:27], v[28:29], v[10:11]
.LBB140_954:
	s_or_b64 exec, exec, s[12:13]
	v_xor_b32_e32 v11, 0x80000000, v11
.LBB140_955:
	s_or_b64 exec, exec, s[0:1]
	s_and_saveexec_b64 s[0:1], s[48:49]
; %bb.956:
	ds_write_b64 v18, v[10:11]
; %bb.957:
	s_or_b64 exec, exec, s[0:1]
	s_waitcnt lgkmcnt(0)
	s_barrier
	s_and_saveexec_b64 s[0:1], s[50:51]
	s_cbranch_execz .LBB140_959
; %bb.958:
	ds_read_b64 v[26:27], v17 offset:27040
	ds_read_b64 v[28:29], v18
	s_waitcnt lgkmcnt(0)
	v_fma_f64 v[10:11], v[26:27], v[28:29], v[10:11]
.LBB140_959:
	s_or_b64 exec, exec, s[0:1]
	s_barrier
	s_and_saveexec_b64 s[0:1], s[52:53]
; %bb.960:
	ds_write_b64 v18, v[10:11]
; %bb.961:
	s_or_b64 exec, exec, s[0:1]
	s_waitcnt lgkmcnt(0)
	s_barrier
	s_and_saveexec_b64 s[0:1], s[54:55]
	s_cbranch_execz .LBB140_963
; %bb.962:
	ds_read_b64 v[26:27], v17 offset:27552
	ds_read_b64 v[28:29], v18
	s_waitcnt lgkmcnt(0)
	v_fma_f64 v[10:11], v[26:27], v[28:29], v[10:11]
.LBB140_963:
	s_or_b64 exec, exec, s[0:1]
	s_barrier
	s_and_saveexec_b64 s[0:1], s[56:57]
; %bb.964:
	ds_write_b64 v18, v[10:11]
; %bb.965:
	s_or_b64 exec, exec, s[0:1]
	s_waitcnt lgkmcnt(0)
	s_barrier
	s_and_saveexec_b64 s[0:1], s[46:47]
	s_cbranch_execz .LBB140_967
; %bb.966:
	v_mov_b32_e32 v26, 0
	ds_read_b64 v[26:27], v26 offset:28088
	ds_read_b64 v[28:29], v18
	s_waitcnt lgkmcnt(0)
	v_fma_f64 v[10:11], v[26:27], v[28:29], v[10:11]
.LBB140_967:
	s_or_b64 exec, exec, s[0:1]
	s_barrier
	s_and_saveexec_b64 s[0:1], s[46:47]
; %bb.968:
	ds_write_b64 v18, v[10:11]
; %bb.969:
	s_or_b64 exec, exec, s[0:1]
	s_waitcnt lgkmcnt(0)
	s_barrier
	s_barrier
	s_and_saveexec_b64 s[0:1], s[18:19]
; %bb.970:
	v_xor_b32_e32 v11, 0x80000000, v11
	ds_write_b64 v16, v[10:11] offset:24992
; %bb.971:
	s_or_b64 exec, exec, s[0:1]
	s_waitcnt lgkmcnt(0)
	s_barrier
	s_barrier
	s_and_saveexec_b64 s[0:1], s[58:59]
	s_cbranch_execz .LBB140_973
; %bb.972:
	v_lshlrev_b32_e32 v26, 9, v0
	ds_read_b64 v[10:11], v26 offset:24992
	s_movk_i32 s10, 0xfe08
	v_mad_i32_i24 v27, v0, s10, v26
	s_waitcnt lgkmcnt(0)
	ds_write_b64 v27, v[10:11] offset:27008
	ds_read_b64 v[10:11], v26 offset:25000
	s_waitcnt lgkmcnt(0)
	ds_write_b64 v27, v[10:11] offset:27520
	ds_read_b64 v[10:11], v26 offset:25008
	;; [unrolled: 3-line block ×3, first 2 shown]
	s_waitcnt lgkmcnt(0)
	ds_write_b64 v27, v[10:11] offset:28544
.LBB140_973:
	s_or_b64 exec, exec, s[0:1]
	s_waitcnt lgkmcnt(0)
	s_barrier
	s_and_saveexec_b64 s[0:1], vcc
	s_cbranch_execz .LBB140_975
; %bb.974:
	v_mov_b32_e32 v28, 0
	ds_read_b64 v[26:27], v28 offset:27048
	v_mov_b32_e32 v29, 0x3ff00000
	ds_write_b64 v28, v[28:29] offset:27040
	s_waitcnt lgkmcnt(1)
	ds_write_b128 v28, v[26:29] offset:27552
.LBB140_975:
	s_or_b64 exec, exec, s[0:1]
	v_mov_b32_e32 v10, 0
	v_mov_b32_e32 v11, 0
	s_waitcnt lgkmcnt(0)
	s_barrier
	s_and_saveexec_b64 s[0:1], s[2:3]
	s_cbranch_execz .LBB140_979
; %bb.976:
	v_mul_u32_u24_e32 v26, 0x208, v15
	ds_read_b64 v[10:11], v12 offset:27056
	ds_read_b64 v[26:27], v26 offset:27040
	v_cmp_gt_u32_e64 s[10:11], 2, v14
	s_waitcnt lgkmcnt(0)
	v_fma_f64 v[10:11], v[10:11], v[26:27], 0
	s_and_saveexec_b64 s[12:13], s[10:11]
	s_cbranch_execz .LBB140_978
; %bb.977:
	v_lshlrev_b32_e32 v26, 3, v0
	v_mov_b32_e32 v28, 0
	ds_read_b64 v[26:27], v26 offset:27568
	ds_read_b64 v[28:29], v28 offset:27048
	s_waitcnt lgkmcnt(0)
	v_fma_f64 v[10:11], v[26:27], v[28:29], v[10:11]
.LBB140_978:
	s_or_b64 exec, exec, s[12:13]
	v_xor_b32_e32 v11, 0x80000000, v11
.LBB140_979:
	s_or_b64 exec, exec, s[0:1]
	s_and_saveexec_b64 s[0:1], s[42:43]
; %bb.980:
	ds_write_b64 v13, v[10:11]
; %bb.981:
	s_or_b64 exec, exec, s[0:1]
	s_waitcnt lgkmcnt(0)
	s_barrier
	s_and_saveexec_b64 s[0:1], s[40:41]
	s_cbranch_execz .LBB140_983
; %bb.982:
	v_mov_b32_e32 v26, 0
	ds_read_b64 v[26:27], v26 offset:28088
	ds_read_b64 v[28:29], v13
	s_waitcnt lgkmcnt(0)
	v_fma_f64 v[10:11], v[26:27], v[28:29], v[10:11]
.LBB140_983:
	s_or_b64 exec, exec, s[0:1]
	s_barrier
	s_and_saveexec_b64 s[0:1], s[40:41]
; %bb.984:
	ds_write_b64 v13, v[10:11]
; %bb.985:
	s_or_b64 exec, exec, s[0:1]
	s_waitcnt lgkmcnt(0)
	s_barrier
	s_barrier
	s_and_saveexec_b64 s[0:1], s[2:3]
; %bb.986:
	v_xor_b32_e32 v11, 0x80000000, v11
	ds_write_b64 v12, v[10:11] offset:27056
; %bb.987:
	s_or_b64 exec, exec, s[0:1]
	s_waitcnt lgkmcnt(0)
	s_barrier
	s_barrier
	s_and_saveexec_b64 s[0:1], s[44:45]
	s_cbranch_execz .LBB140_989
; %bb.988:
	v_lshlrev_b32_e32 v26, 3, v0
	s_movk_i32 s10, 0x1f8
	v_mad_u32_u24 v27, v0, s10, v26
	ds_read_b64 v[10:11], v27 offset:27056
	s_waitcnt lgkmcnt(0)
	ds_write_b64 v26, v[10:11] offset:28064
	ds_read_b64 v[10:11], v27 offset:27064
	s_waitcnt lgkmcnt(0)
	ds_write_b64 v26, v[10:11] offset:28576
.LBB140_989:
	s_or_b64 exec, exec, s[0:1]
	s_waitcnt lgkmcnt(0)
	s_barrier
	s_and_saveexec_b64 s[0:1], vcc
	s_cbranch_execz .LBB140_991
; %bb.990:
	v_mov_b32_e32 v28, 0
	ds_read_b64 v[26:27], v28 offset:28088
	v_mov_b32_e32 v29, 0x3ff00000
	ds_write_b64 v28, v[28:29] offset:28080
	s_waitcnt lgkmcnt(1)
	ds_write_b128 v28, v[26:29] offset:28592
.LBB140_991:
	s_or_b64 exec, exec, s[0:1]
	v_mov_b32_e32 v10, 0
	v_mov_b32_e32 v11, 0
	s_waitcnt lgkmcnt(0)
	s_barrier
	s_and_saveexec_b64 s[0:1], s[8:9]
	s_cbranch_execz .LBB140_1001
; %bb.992:
	v_mul_u32_u24_e32 v26, 0x208, v25
	ds_read_b64 v[10:11], v21 offset:25024
	ds_read_b64 v[27:28], v26 offset:24960
	v_cmp_gt_u32_e64 s[10:11], 56, v14
	s_waitcnt lgkmcnt(0)
	v_fma_f64 v[10:11], v[10:11], v[27:28], 0
	s_and_saveexec_b64 s[12:13], s[10:11]
	s_cbranch_execnz .LBB140_1212
; %bb.993:
	s_or_b64 exec, exec, s[12:13]
	v_cmp_gt_u32_e64 s[10:11], 48, v14
	s_and_saveexec_b64 s[12:13], s[10:11]
	s_cbranch_execnz .LBB140_1213
.LBB140_994:
	s_or_b64 exec, exec, s[12:13]
	v_cmp_gt_u32_e64 s[10:11], 40, v14
	s_and_saveexec_b64 s[12:13], s[10:11]
	s_cbranch_execnz .LBB140_1214
.LBB140_995:
	s_or_b64 exec, exec, s[12:13]
	v_cmp_gt_u32_e64 s[10:11], 32, v14
	s_and_saveexec_b64 s[12:13], s[10:11]
	s_cbranch_execnz .LBB140_1215
.LBB140_996:
	s_or_b64 exec, exec, s[12:13]
	v_cmp_gt_u32_e64 s[10:11], 24, v14
	s_and_saveexec_b64 s[12:13], s[10:11]
	s_cbranch_execnz .LBB140_1216
.LBB140_997:
	s_or_b64 exec, exec, s[12:13]
	v_cmp_gt_u32_e64 s[10:11], 16, v14
	s_and_saveexec_b64 s[12:13], s[10:11]
	s_cbranch_execnz .LBB140_1217
.LBB140_998:
	s_or_b64 exec, exec, s[12:13]
	v_cmp_gt_u32_e64 s[10:11], 8, v14
	s_and_saveexec_b64 s[12:13], s[10:11]
	s_cbranch_execz .LBB140_1000
.LBB140_999:
	v_lshlrev_b32_e32 v24, 3, v0
	v_mov_b32_e32 v26, 0
	ds_read_b64 v[24:25], v24 offset:28608
	ds_read_b64 v[26:27], v26 offset:25016
	s_waitcnt lgkmcnt(0)
	v_fma_f64 v[10:11], v[24:25], v[26:27], v[10:11]
.LBB140_1000:
	s_or_b64 exec, exec, s[12:13]
	v_xor_b32_e32 v11, 0x80000000, v11
.LBB140_1001:
	s_or_b64 exec, exec, s[0:1]
	s_and_saveexec_b64 s[0:1], s[60:61]
; %bb.1002:
	ds_write_b64 v23, v[10:11]
; %bb.1003:
	s_or_b64 exec, exec, s[0:1]
	s_waitcnt lgkmcnt(0)
	s_barrier
	s_and_saveexec_b64 s[0:1], s[62:63]
	s_cbranch_execz .LBB140_1005
; %bb.1004:
	ds_read_b64 v[24:25], v22 offset:29120
	ds_read_b64 v[26:27], v23
	s_waitcnt lgkmcnt(0)
	v_fma_f64 v[10:11], v[24:25], v[26:27], v[10:11]
.LBB140_1005:
	s_or_b64 exec, exec, s[0:1]
	s_barrier
	s_and_saveexec_b64 s[0:1], s[64:65]
; %bb.1006:
	ds_write_b64 v23, v[10:11]
; %bb.1007:
	s_or_b64 exec, exec, s[0:1]
	s_waitcnt lgkmcnt(0)
	s_barrier
	s_and_saveexec_b64 s[0:1], s[66:67]
	s_cbranch_execz .LBB140_1009
; %bb.1008:
	ds_read_b64 v[24:25], v22 offset:29632
	ds_read_b64 v[26:27], v23
	s_waitcnt lgkmcnt(0)
	v_fma_f64 v[10:11], v[24:25], v[26:27], v[10:11]
.LBB140_1009:
	s_or_b64 exec, exec, s[0:1]
	s_barrier
	;; [unrolled: 17-line block ×6, first 2 shown]
	s_and_saveexec_b64 s[0:1], s[86:87]
; %bb.1026:
	ds_write_b64 v23, v[10:11]
; %bb.1027:
	s_or_b64 exec, exec, s[0:1]
	s_waitcnt lgkmcnt(0)
	s_barrier
	s_and_saveexec_b64 s[0:1], s[70:71]
	s_cbranch_execz .LBB140_1029
; %bb.1028:
	v_mov_b32_e32 v22, 0
	ds_read_b64 v[24:25], v22 offset:32248
	ds_read_b64 v[26:27], v23
	s_waitcnt lgkmcnt(0)
	v_fma_f64 v[10:11], v[24:25], v[26:27], v[10:11]
.LBB140_1029:
	s_or_b64 exec, exec, s[0:1]
	s_barrier
	s_and_saveexec_b64 s[0:1], s[70:71]
; %bb.1030:
	ds_write_b64 v23, v[10:11]
; %bb.1031:
	s_or_b64 exec, exec, s[0:1]
	s_waitcnt lgkmcnt(0)
	s_barrier
	s_barrier
	s_and_saveexec_b64 s[0:1], s[8:9]
; %bb.1032:
	v_xor_b32_e32 v11, 0x80000000, v11
	ds_write_b64 v21, v[10:11] offset:25024
; %bb.1033:
	s_or_b64 exec, exec, s[0:1]
	s_waitcnt lgkmcnt(0)
	s_barrier
	s_barrier
	s_and_saveexec_b64 s[0:1], s[88:89]
	s_cbranch_execz .LBB140_1035
; %bb.1034:
	v_lshlrev_b32_e32 v21, 9, v0
	ds_read_b64 v[10:11], v21 offset:25024
	s_movk_i32 s8, 0xfe08
	v_mad_i32_i24 v22, v0, s8, v21
	s_waitcnt lgkmcnt(0)
	ds_write_b64 v22, v[10:11] offset:29056
	ds_read_b64 v[10:11], v21 offset:25032
	s_waitcnt lgkmcnt(0)
	ds_write_b64 v22, v[10:11] offset:29568
	ds_read_b64 v[10:11], v21 offset:25040
	;; [unrolled: 3-line block ×7, first 2 shown]
	s_waitcnt lgkmcnt(0)
	ds_write_b64 v22, v[10:11] offset:32640
.LBB140_1035:
	s_or_b64 exec, exec, s[0:1]
	s_waitcnt lgkmcnt(0)
	s_barrier
	s_and_saveexec_b64 s[0:1], vcc
	s_cbranch_execz .LBB140_1037
; %bb.1036:
	v_mov_b32_e32 v23, 0
	ds_read_b64 v[21:22], v23 offset:29128
	v_mov_b32_e32 v24, 0x3ff00000
	ds_write_b64 v23, v[23:24] offset:29120
	s_waitcnt lgkmcnt(1)
	ds_write_b128 v23, v[21:24] offset:29632
.LBB140_1037:
	s_or_b64 exec, exec, s[0:1]
	v_mov_b32_e32 v10, 0
	v_mov_b32_e32 v11, 0
	s_waitcnt lgkmcnt(0)
	s_barrier
	s_and_saveexec_b64 s[0:1], s[2:3]
	s_cbranch_execz .LBB140_1041
; %bb.1038:
	v_mul_u32_u24_e32 v21, 0x208, v15
	ds_read_b64 v[10:11], v12 offset:29136
	ds_read_b64 v[21:22], v21 offset:29120
	v_cmp_gt_u32_e64 s[8:9], 2, v14
	s_waitcnt lgkmcnt(0)
	v_fma_f64 v[10:11], v[10:11], v[21:22], 0
	s_and_saveexec_b64 s[10:11], s[8:9]
	s_cbranch_execz .LBB140_1040
; %bb.1039:
	v_lshlrev_b32_e32 v21, 3, v0
	v_mov_b32_e32 v23, 0
	ds_read_b64 v[21:22], v21 offset:29648
	ds_read_b64 v[23:24], v23 offset:29128
	s_waitcnt lgkmcnt(0)
	v_fma_f64 v[10:11], v[21:22], v[23:24], v[10:11]
.LBB140_1040:
	s_or_b64 exec, exec, s[10:11]
	v_xor_b32_e32 v11, 0x80000000, v11
.LBB140_1041:
	s_or_b64 exec, exec, s[0:1]
	s_and_saveexec_b64 s[0:1], s[42:43]
; %bb.1042:
	ds_write_b64 v13, v[10:11]
; %bb.1043:
	s_or_b64 exec, exec, s[0:1]
	s_waitcnt lgkmcnt(0)
	s_barrier
	s_and_saveexec_b64 s[0:1], s[40:41]
	s_cbranch_execz .LBB140_1045
; %bb.1044:
	v_mov_b32_e32 v21, 0
	ds_read_b64 v[21:22], v21 offset:30168
	ds_read_b64 v[23:24], v13
	s_waitcnt lgkmcnt(0)
	v_fma_f64 v[10:11], v[21:22], v[23:24], v[10:11]
.LBB140_1045:
	s_or_b64 exec, exec, s[0:1]
	s_barrier
	s_and_saveexec_b64 s[0:1], s[40:41]
; %bb.1046:
	ds_write_b64 v13, v[10:11]
; %bb.1047:
	s_or_b64 exec, exec, s[0:1]
	s_waitcnt lgkmcnt(0)
	s_barrier
	s_barrier
	s_and_saveexec_b64 s[0:1], s[2:3]
; %bb.1048:
	v_xor_b32_e32 v11, 0x80000000, v11
	ds_write_b64 v12, v[10:11] offset:29136
; %bb.1049:
	s_or_b64 exec, exec, s[0:1]
	s_waitcnt lgkmcnt(0)
	s_barrier
	s_barrier
	s_and_saveexec_b64 s[0:1], s[44:45]
	s_cbranch_execz .LBB140_1051
; %bb.1050:
	v_lshlrev_b32_e32 v21, 3, v0
	s_movk_i32 s8, 0x1f8
	v_mad_u32_u24 v22, v0, s8, v21
	ds_read_b64 v[10:11], v22 offset:29136
	s_waitcnt lgkmcnt(0)
	ds_write_b64 v21, v[10:11] offset:30144
	ds_read_b64 v[10:11], v22 offset:29144
	s_waitcnt lgkmcnt(0)
	ds_write_b64 v21, v[10:11] offset:30656
.LBB140_1051:
	s_or_b64 exec, exec, s[0:1]
	s_waitcnt lgkmcnt(0)
	s_barrier
	s_and_saveexec_b64 s[0:1], vcc
	s_cbranch_execz .LBB140_1053
; %bb.1052:
	v_mov_b32_e32 v23, 0
	ds_read_b64 v[21:22], v23 offset:30168
	v_mov_b32_e32 v24, 0x3ff00000
	ds_write_b64 v23, v[23:24] offset:30160
	s_waitcnt lgkmcnt(1)
	ds_write_b128 v23, v[21:24] offset:30672
.LBB140_1053:
	s_or_b64 exec, exec, s[0:1]
	v_mov_b32_e32 v10, 0
	v_mov_b32_e32 v11, 0
	s_waitcnt lgkmcnt(0)
	s_barrier
	s_and_saveexec_b64 s[0:1], s[18:19]
	s_cbranch_execz .LBB140_1059
; %bb.1054:
	v_mul_u32_u24_e32 v21, 0x208, v20
	ds_read_b64 v[10:11], v16 offset:29152
	ds_read_b64 v[22:23], v21 offset:29120
	v_cmp_gt_u32_e64 s[8:9], 12, v14
	s_waitcnt lgkmcnt(0)
	v_fma_f64 v[10:11], v[10:11], v[22:23], 0
	s_and_saveexec_b64 s[10:11], s[8:9]
	s_cbranch_execnz .LBB140_1218
; %bb.1055:
	s_or_b64 exec, exec, s[10:11]
	v_cmp_gt_u32_e64 s[8:9], 8, v14
	s_and_saveexec_b64 s[10:11], s[8:9]
	s_cbranch_execnz .LBB140_1219
.LBB140_1056:
	s_or_b64 exec, exec, s[10:11]
	v_cmp_gt_u32_e64 s[8:9], 4, v14
	s_and_saveexec_b64 s[10:11], s[8:9]
	s_cbranch_execz .LBB140_1058
.LBB140_1057:
	v_lshlrev_b32_e32 v19, 3, v0
	v_mov_b32_e32 v21, 0
	ds_read_b64 v[19:20], v19 offset:30688
	ds_read_b64 v[21:22], v21 offset:29144
	s_waitcnt lgkmcnt(0)
	v_fma_f64 v[10:11], v[19:20], v[21:22], v[10:11]
.LBB140_1058:
	s_or_b64 exec, exec, s[10:11]
	v_xor_b32_e32 v11, 0x80000000, v11
.LBB140_1059:
	s_or_b64 exec, exec, s[0:1]
	s_and_saveexec_b64 s[0:1], s[48:49]
; %bb.1060:
	ds_write_b64 v18, v[10:11]
; %bb.1061:
	s_or_b64 exec, exec, s[0:1]
	s_waitcnt lgkmcnt(0)
	s_barrier
	s_and_saveexec_b64 s[0:1], s[50:51]
	s_cbranch_execz .LBB140_1063
; %bb.1062:
	ds_read_b64 v[19:20], v17 offset:31200
	ds_read_b64 v[21:22], v18
	s_waitcnt lgkmcnt(0)
	v_fma_f64 v[10:11], v[19:20], v[21:22], v[10:11]
.LBB140_1063:
	s_or_b64 exec, exec, s[0:1]
	s_barrier
	s_and_saveexec_b64 s[0:1], s[52:53]
; %bb.1064:
	ds_write_b64 v18, v[10:11]
; %bb.1065:
	s_or_b64 exec, exec, s[0:1]
	s_waitcnt lgkmcnt(0)
	s_barrier
	s_and_saveexec_b64 s[0:1], s[54:55]
	s_cbranch_execz .LBB140_1067
; %bb.1066:
	ds_read_b64 v[19:20], v17 offset:31712
	ds_read_b64 v[21:22], v18
	s_waitcnt lgkmcnt(0)
	v_fma_f64 v[10:11], v[19:20], v[21:22], v[10:11]
.LBB140_1067:
	s_or_b64 exec, exec, s[0:1]
	s_barrier
	s_and_saveexec_b64 s[0:1], s[56:57]
; %bb.1068:
	ds_write_b64 v18, v[10:11]
; %bb.1069:
	s_or_b64 exec, exec, s[0:1]
	s_waitcnt lgkmcnt(0)
	s_barrier
	s_and_saveexec_b64 s[0:1], s[46:47]
	s_cbranch_execz .LBB140_1071
; %bb.1070:
	v_mov_b32_e32 v17, 0
	ds_read_b64 v[19:20], v17 offset:32248
	ds_read_b64 v[21:22], v18
	s_waitcnt lgkmcnt(0)
	v_fma_f64 v[10:11], v[19:20], v[21:22], v[10:11]
.LBB140_1071:
	s_or_b64 exec, exec, s[0:1]
	s_barrier
	s_and_saveexec_b64 s[0:1], s[46:47]
; %bb.1072:
	ds_write_b64 v18, v[10:11]
; %bb.1073:
	s_or_b64 exec, exec, s[0:1]
	s_waitcnt lgkmcnt(0)
	s_barrier
	s_barrier
	s_and_saveexec_b64 s[0:1], s[18:19]
; %bb.1074:
	v_xor_b32_e32 v11, 0x80000000, v11
	ds_write_b64 v16, v[10:11] offset:29152
; %bb.1075:
	s_or_b64 exec, exec, s[0:1]
	s_waitcnt lgkmcnt(0)
	s_barrier
	s_barrier
	s_and_saveexec_b64 s[0:1], s[58:59]
	s_cbranch_execz .LBB140_1077
; %bb.1076:
	v_lshlrev_b32_e32 v16, 9, v0
	ds_read_b64 v[10:11], v16 offset:29152
	s_movk_i32 s8, 0xfe08
	v_mad_i32_i24 v17, v0, s8, v16
	s_waitcnt lgkmcnt(0)
	ds_write_b64 v17, v[10:11] offset:31168
	ds_read_b64 v[10:11], v16 offset:29160
	s_waitcnt lgkmcnt(0)
	ds_write_b64 v17, v[10:11] offset:31680
	ds_read_b64 v[10:11], v16 offset:29168
	;; [unrolled: 3-line block ×3, first 2 shown]
	s_waitcnt lgkmcnt(0)
	ds_write_b64 v17, v[10:11] offset:32704
.LBB140_1077:
	s_or_b64 exec, exec, s[0:1]
	s_waitcnt lgkmcnt(0)
	s_barrier
	s_and_saveexec_b64 s[0:1], vcc
	s_cbranch_execz .LBB140_1079
; %bb.1078:
	v_mov_b32_e32 v18, 0
	ds_read_b64 v[16:17], v18 offset:31208
	v_mov_b32_e32 v19, 0x3ff00000
	ds_write_b64 v18, v[18:19] offset:31200
	s_waitcnt lgkmcnt(1)
	ds_write_b128 v18, v[16:19] offset:31712
.LBB140_1079:
	s_or_b64 exec, exec, s[0:1]
	v_mov_b32_e32 v10, 0
	v_mov_b32_e32 v11, 0
	s_waitcnt lgkmcnt(0)
	s_barrier
	s_and_saveexec_b64 s[0:1], s[2:3]
	s_cbranch_execz .LBB140_1083
; %bb.1080:
	v_mul_u32_u24_e32 v15, 0x208, v15
	ds_read_b64 v[10:11], v12 offset:31216
	ds_read_b64 v[15:16], v15 offset:31200
	v_cmp_gt_u32_e64 s[8:9], 2, v14
	s_waitcnt lgkmcnt(0)
	v_fma_f64 v[10:11], v[10:11], v[15:16], 0
	s_and_saveexec_b64 s[10:11], s[8:9]
	s_cbranch_execz .LBB140_1082
; %bb.1081:
	v_lshlrev_b32_e32 v14, 3, v0
	v_mov_b32_e32 v16, 0
	ds_read_b64 v[14:15], v14 offset:31728
	ds_read_b64 v[16:17], v16 offset:31208
	s_waitcnt lgkmcnt(0)
	v_fma_f64 v[10:11], v[14:15], v[16:17], v[10:11]
.LBB140_1082:
	s_or_b64 exec, exec, s[10:11]
	v_xor_b32_e32 v11, 0x80000000, v11
.LBB140_1083:
	s_or_b64 exec, exec, s[0:1]
	s_and_saveexec_b64 s[0:1], s[42:43]
; %bb.1084:
	ds_write_b64 v13, v[10:11]
; %bb.1085:
	s_or_b64 exec, exec, s[0:1]
	s_waitcnt lgkmcnt(0)
	s_barrier
	s_and_saveexec_b64 s[0:1], s[40:41]
	v_readlane_b32 s16, v40, 2
	v_readlane_b32 s42, v40, 0
	;; [unrolled: 1-line block ×4, first 2 shown]
	s_cbranch_execz .LBB140_1087
; %bb.1086:
	v_mov_b32_e32 v14, 0
	ds_read_b64 v[14:15], v14 offset:32248
	ds_read_b64 v[16:17], v13
	s_waitcnt lgkmcnt(0)
	v_fma_f64 v[10:11], v[14:15], v[16:17], v[10:11]
.LBB140_1087:
	s_or_b64 exec, exec, s[0:1]
	s_barrier
	s_and_saveexec_b64 s[0:1], s[40:41]
; %bb.1088:
	ds_write_b64 v13, v[10:11]
; %bb.1089:
	s_or_b64 exec, exec, s[0:1]
	s_waitcnt lgkmcnt(0)
	s_barrier
	s_barrier
	s_and_saveexec_b64 s[0:1], s[2:3]
; %bb.1090:
	v_xor_b32_e32 v11, 0x80000000, v11
	ds_write_b64 v12, v[10:11] offset:31216
; %bb.1091:
	s_or_b64 exec, exec, s[0:1]
	s_waitcnt lgkmcnt(0)
	s_barrier
	s_barrier
	s_and_saveexec_b64 s[0:1], s[44:45]
	s_cbranch_execz .LBB140_1093
; %bb.1092:
	v_lshlrev_b32_e32 v12, 3, v0
	s_movk_i32 s2, 0x1f8
	v_mad_u32_u24 v13, v0, s2, v12
	ds_read_b64 v[10:11], v13 offset:31216
	s_waitcnt lgkmcnt(0)
	ds_write_b64 v12, v[10:11] offset:32224
	ds_read_b64 v[10:11], v13 offset:31224
	s_waitcnt lgkmcnt(0)
	ds_write_b64 v12, v[10:11] offset:32736
.LBB140_1093:
	s_or_b64 exec, exec, s[0:1]
	s_waitcnt lgkmcnt(0)
	s_barrier
	s_and_saveexec_b64 s[0:1], vcc
	s_cbranch_execz .LBB140_1095
; %bb.1094:
	v_mov_b32_e32 v12, 0
	ds_read_b64 v[10:11], v12 offset:32248
	v_mov_b32_e32 v13, 0x3ff00000
	ds_write_b64 v12, v[12:13] offset:32240
	s_waitcnt lgkmcnt(1)
	ds_write_b128 v12, v[10:13] offset:32752
.LBB140_1095:
	s_or_b64 exec, exec, s[0:1]
.LBB140_1096:
	s_lshl_b64 s[0:1], s[28:29], 3
	s_add_u32 s20, s16, s0
	v_cmp_le_i32_e32 vcc, s90, v0
	s_addc_u32 s21, s17, s1
	s_and_b64 s[14:15], vcc, s[26:27]
	v_cmp_eq_u32_e64 s[2:3], 0, v1
	s_xor_b64 s[0:1], s[14:15], -1
	v_mov_b32_e32 v10, 0
	s_and_b64 s[8:9], s[2:3], s[0:1]
	v_mov_b32_e32 v11, 0
	v_lshl_add_u32 v12, s33, 6, v0
	s_waitcnt lgkmcnt(0)
	s_barrier
	s_and_saveexec_b64 s[0:1], s[8:9]
	s_cbranch_execz .LBB140_1098
; %bb.1097:
	v_ashrrev_i32_e32 v13, 31, v12
	v_mul_lo_u32 v14, s31, v12
	v_mad_u64_u32 v[10:11], s[8:9], s30, v12, 0
	v_mul_lo_u32 v13, s30, v13
	v_add3_u32 v11, v11, v13, v14
	v_lshlrev_b64 v[10:11], 3, v[10:11]
	v_mov_b32_e32 v13, s21
	v_add_co_u32_e32 v10, vcc, s20, v10
	v_addc_co_u32_e32 v11, vcc, v13, v11, vcc
	flat_load_dwordx2 v[10:11], v[10:11]
	s_waitcnt vmcnt(0) lgkmcnt(0)
	v_mul_f64 v[10:11], v[10:11], -s[24:25]
.LBB140_1098:
	s_or_b64 exec, exec, s[0:1]
	s_load_dwordx2 s[0:1], s[4:5], 0x50
	s_and_b32 s4, 0xffff, s39
	v_mad_u32_u24 v17, v1, s4, v0
	v_mov_b32_e32 v18, 0
	s_cmp_lt_i32 s6, 1
	v_cmp_eq_u32_e64 s[4:5], 0, v17
	s_cbranch_scc1 .LBB140_1124
; %bb.1099:
	v_ashrrev_i32_e32 v15, 31, v12
	v_mul_lo_u32 v16, s37, v12
	v_mad_u64_u32 v[13:14], s[8:9], s36, v12, 0
	v_mul_lo_u32 v15, s36, v15
	s_lshl_b64 s[8:9], s[22:23], 2
	s_waitcnt lgkmcnt(0)
	s_add_u32 s16, s0, s8
	s_addc_u32 s17, s1, s9
	v_add3_u32 v14, v14, v15, v16
	v_cmp_gt_i32_e64 s[8:9], s34, v12
	v_lshlrev_b64 v[12:13], 3, v[13:14]
	v_mov_b32_e32 v15, 0xa000
	v_mov_b32_e32 v14, s38
	v_add_co_u32_e32 v21, vcc, s91, v12
	s_mov_b32 s24, 0
	v_cmp_gt_u32_e64 s[12:13], 64, v17
	v_lshl_add_u32 v19, v17, 3, v15
	v_lshl_or_b32 v20, v1, 3, v15
	s_add_i32 s25, s33, 1
	v_addc_co_u32_e32 v22, vcc, v14, v13, vcc
	v_mov_b32_e32 v23, -1
	s_branch .LBB140_1102
.LBB140_1100:                           ;   in Loop: Header=BB140_1102 Depth=1
	ds_read_b64 v[12:13], v20 offset:384
	s_waitcnt vmcnt(0) lgkmcnt(0)
	v_fma_f64 v[10:11], v[14:15], v[12:13], v[10:11]
.LBB140_1101:                           ;   in Loop: Header=BB140_1102 Depth=1
	s_or_b64 exec, exec, s[18:19]
	s_add_i32 s24, s24, 1
	s_cmp_eq_u32 s24, s6
	s_cbranch_scc1 .LBB140_1124
.LBB140_1102:                           ; =>This Loop Header: Depth=1
                                        ;     Child Loop BB140_1104 Depth 2
	v_cmp_gt_i32_e32 vcc, s24, v23
	s_and_b64 s[18:19], s[4:5], vcc
	s_and_saveexec_b64 s[10:11], s[18:19]
	s_cbranch_execz .LBB140_1105
; %bb.1103:                             ;   in Loop: Header=BB140_1102 Depth=1
	global_load_dword v23, v18, s[16:17]
	s_waitcnt vmcnt(0)
	v_cmp_le_i32_e32 vcc, s24, v23
	s_cbranch_vccnz .LBB140_1105
.LBB140_1104:                           ;   Parent Loop BB140_1102 Depth=1
                                        ; =>  This Inner Loop Header: Depth=2
	buffer_wbinvl1_vol
	global_load_dword v23, v18, s[16:17]
	s_waitcnt vmcnt(0)
	v_cmp_gt_i32_e32 vcc, s24, v23
	s_cbranch_vccnz .LBB140_1104
.LBB140_1105:                           ;   in Loop: Header=BB140_1102 Depth=1
	s_or_b64 exec, exec, s[10:11]
	s_sub_i32 s28, s7, s24
	s_lshl_b32 s29, s28, 6
	buffer_wbinvl1_vol
	s_barrier
	s_and_saveexec_b64 s[10:11], s[12:13]
	s_cbranch_execz .LBB140_1109
; %bb.1106:                             ;   in Loop: Header=BB140_1102 Depth=1
	s_ashr_i32 s18, s29, 31
	v_mov_b32_e32 v13, s18
	v_or_b32_e32 v12, s29, v17
	v_cmp_gt_i64_e32 vcc, s[34:35], v[12:13]
	v_mov_b32_e32 v14, 0
	v_mov_b32_e32 v15, 0
	s_and_saveexec_b64 s[18:19], vcc
	s_cbranch_execz .LBB140_1108
; %bb.1107:                             ;   in Loop: Header=BB140_1102 Depth=1
	v_mul_lo_u32 v14, v13, s30
	v_mul_lo_u32 v15, v12, s31
	v_mad_u64_u32 v[12:13], s[36:37], v12, s30, 0
	v_add3_u32 v13, v13, v15, v14
	v_lshlrev_b64 v[12:13], 3, v[12:13]
	v_mov_b32_e32 v14, s21
	v_add_co_u32_e32 v12, vcc, s20, v12
	v_addc_co_u32_e32 v13, vcc, v14, v13, vcc
	flat_load_dwordx2 v[14:15], v[12:13]
.LBB140_1108:                           ;   in Loop: Header=BB140_1102 Depth=1
	s_or_b64 exec, exec, s[18:19]
	s_waitcnt vmcnt(0) lgkmcnt(0)
	ds_write_b64 v19, v[14:15]
.LBB140_1109:                           ;   in Loop: Header=BB140_1102 Depth=1
	s_or_b64 exec, exec, s[10:11]
	v_add_u32_e32 v14, s29, v1
	v_ashrrev_i32_e32 v15, 31, v14
	v_lshlrev_b64 v[12:13], 3, v[14:15]
	s_cmp_lg_u32 s28, s25
	v_add_co_u32_e32 v12, vcc, v21, v12
	s_cselect_b64 s[10:11], -1, 0
	v_addc_co_u32_e32 v13, vcc, v22, v13, vcc
	v_cmp_gt_i32_e32 vcc, s34, v14
	v_cndmask_b32_e64 v15, 0, 1, s[10:11]
	s_and_b64 s[28:29], vcc, s[8:9]
	v_cmp_ne_u32_e64 s[10:11], 1, v15
	s_waitcnt lgkmcnt(0)
	s_barrier
	s_and_saveexec_b64 s[18:19], s[28:29]
	s_cbranch_execz .LBB140_1113
; %bb.1110:                             ;   in Loop: Header=BB140_1102 Depth=1
	v_mov_b32_e32 v16, v5
	s_and_b64 vcc, exec, s[10:11]
	v_mov_b32_e32 v15, v4
	s_cbranch_vccnz .LBB140_1112
; %bb.1111:                             ;   in Loop: Header=BB140_1102 Depth=1
	flat_load_dwordx2 v[15:16], v[12:13]
.LBB140_1112:                           ;   in Loop: Header=BB140_1102 Depth=1
	ds_read_b64 v[24:25], v20
	s_waitcnt vmcnt(0) lgkmcnt(0)
	v_fma_f64 v[10:11], v[15:16], v[24:25], v[10:11]
.LBB140_1113:                           ;   in Loop: Header=BB140_1102 Depth=1
	s_or_b64 exec, exec, s[18:19]
	v_add_u32_e32 v15, 16, v14
	v_cmp_gt_i32_e32 vcc, s34, v15
	s_and_b64 s[28:29], vcc, s[8:9]
	s_and_saveexec_b64 s[18:19], s[28:29]
	s_cbranch_execz .LBB140_1117
; %bb.1114:                             ;   in Loop: Header=BB140_1102 Depth=1
	v_mov_b32_e32 v16, v3
	s_and_b64 vcc, exec, s[10:11]
	v_mov_b32_e32 v15, v2
	s_cbranch_vccnz .LBB140_1116
; %bb.1115:                             ;   in Loop: Header=BB140_1102 Depth=1
	flat_load_dwordx2 v[15:16], v[12:13] offset:128
.LBB140_1116:                           ;   in Loop: Header=BB140_1102 Depth=1
	ds_read_b64 v[24:25], v20 offset:128
	s_waitcnt vmcnt(0) lgkmcnt(0)
	v_fma_f64 v[10:11], v[15:16], v[24:25], v[10:11]
.LBB140_1117:                           ;   in Loop: Header=BB140_1102 Depth=1
	s_or_b64 exec, exec, s[18:19]
	v_add_u32_e32 v15, 32, v14
	v_cmp_gt_i32_e32 vcc, s34, v15
	s_and_b64 s[28:29], vcc, s[8:9]
	s_and_saveexec_b64 s[18:19], s[28:29]
	s_cbranch_execz .LBB140_1121
; %bb.1118:                             ;   in Loop: Header=BB140_1102 Depth=1
	v_mov_b32_e32 v16, v9
	s_and_b64 vcc, exec, s[10:11]
	v_mov_b32_e32 v15, v8
	s_cbranch_vccnz .LBB140_1120
; %bb.1119:                             ;   in Loop: Header=BB140_1102 Depth=1
	flat_load_dwordx2 v[15:16], v[12:13] offset:256
.LBB140_1120:                           ;   in Loop: Header=BB140_1102 Depth=1
	ds_read_b64 v[24:25], v20 offset:256
	s_waitcnt vmcnt(0) lgkmcnt(0)
	v_fma_f64 v[10:11], v[15:16], v[24:25], v[10:11]
.LBB140_1121:                           ;   in Loop: Header=BB140_1102 Depth=1
	s_or_b64 exec, exec, s[18:19]
	v_add_u32_e32 v14, 48, v14
	v_cmp_gt_i32_e32 vcc, s34, v14
	s_and_b64 s[28:29], vcc, s[8:9]
	s_and_saveexec_b64 s[18:19], s[28:29]
	s_cbranch_execz .LBB140_1101
; %bb.1122:                             ;   in Loop: Header=BB140_1102 Depth=1
	v_mov_b32_e32 v15, v7
	s_and_b64 vcc, exec, s[10:11]
	v_mov_b32_e32 v14, v6
	s_cbranch_vccnz .LBB140_1100
; %bb.1123:                             ;   in Loop: Header=BB140_1102 Depth=1
	flat_load_dwordx2 v[14:15], v[12:13] offset:384
	s_branch .LBB140_1100
.LBB140_1124:
	v_lshl_add_u32 v2, v1, 6, v0
	s_xor_b64 s[4:5], s[26:27], -1
	v_lshlrev_b32_e32 v4, 3, v2
	ds_write_b64 v4, v[10:11] offset:32768
	s_waitcnt lgkmcnt(0)
	s_barrier
	s_and_saveexec_b64 s[6:7], s[2:3]
	s_cbranch_execz .LBB140_1126
; %bb.1125:
	v_lshlrev_b32_e32 v15, 3, v0
	ds_read2st64_b64 v[5:8], v15 offset0:65 offset1:66
	ds_read_b64 v[2:3], v15 offset:40448
	s_waitcnt lgkmcnt(1)
	v_add_f64 v[5:6], v[10:11], v[5:6]
	v_add_f64 v[13:14], v[5:6], v[7:8]
	ds_read2st64_b64 v[5:8], v15 offset0:67 offset1:68
	ds_read2st64_b64 v[9:12], v15 offset0:69 offset1:70
	s_waitcnt lgkmcnt(1)
	v_add_f64 v[5:6], v[13:14], v[5:6]
	v_add_f64 v[5:6], v[5:6], v[7:8]
	s_waitcnt lgkmcnt(0)
	v_add_f64 v[5:6], v[5:6], v[9:10]
	v_add_f64 v[13:14], v[5:6], v[11:12]
	ds_read2st64_b64 v[5:8], v15 offset0:71 offset1:72
	ds_read2st64_b64 v[9:12], v15 offset0:73 offset1:74
	s_waitcnt lgkmcnt(1)
	v_add_f64 v[5:6], v[13:14], v[5:6]
	v_add_f64 v[5:6], v[5:6], v[7:8]
	;; [unrolled: 8-line block ×3, first 2 shown]
	s_waitcnt lgkmcnt(0)
	v_add_f64 v[5:6], v[5:6], v[9:10]
	v_add_f64 v[5:6], v[5:6], v[11:12]
	;; [unrolled: 1-line block ×3, first 2 shown]
	v_xor_b32_e32 v3, 0x80000000, v3
	v_cndmask_b32_e64 v11, v3, 0, s[14:15]
	v_cndmask_b32_e64 v10, v2, 0, s[14:15]
.LBB140_1126:
	s_or_b64 exec, exec, s[6:7]
	s_and_b64 vcc, exec, s[42:43]
	s_cbranch_vccnz .LBB140_1140
; %bb.1127:
	v_mov_b32_e32 v2, 0xa000
	v_lshl_or_b32 v5, v1, 3, v2
	s_and_saveexec_b64 s[6:7], s[2:3]
; %bb.1128:
	v_lshl_add_u32 v2, v0, 3, v5
	ds_write_b64 v2, v[10:11]
; %bb.1129:
	s_or_b64 exec, exec, s[6:7]
	v_mov_b32_e32 v2, 0
	v_mov_b32_e32 v3, 0
	v_cmp_le_u32_e32 vcc, v0, v1
	s_waitcnt lgkmcnt(0)
	s_barrier
	s_and_saveexec_b64 s[6:7], vcc
	s_cbranch_execz .LBB140_1131
; %bb.1130:
	ds_read_b64 v[2:3], v4
	ds_read_b64 v[6:7], v5
	s_waitcnt lgkmcnt(0)
	v_fma_f64 v[2:3], v[2:3], v[6:7], 0
.LBB140_1131:
	s_or_b64 exec, exec, s[6:7]
	v_add_u32_e32 v6, 16, v1
	v_cmp_le_u32_e32 vcc, v0, v6
	s_and_saveexec_b64 s[6:7], vcc
	s_cbranch_execz .LBB140_1133
; %bb.1132:
	ds_read_b64 v[6:7], v4 offset:8192
	ds_read_b64 v[8:9], v5 offset:128
	s_waitcnt lgkmcnt(0)
	v_fma_f64 v[2:3], v[6:7], v[8:9], v[2:3]
.LBB140_1133:
	s_or_b64 exec, exec, s[6:7]
	v_add_u32_e32 v6, 32, v1
	v_cmp_le_u32_e32 vcc, v0, v6
	s_and_saveexec_b64 s[6:7], vcc
	s_cbranch_execz .LBB140_1135
; %bb.1134:
	ds_read_b64 v[6:7], v4 offset:16384
	ds_read_b64 v[8:9], v5 offset:256
	s_waitcnt lgkmcnt(0)
	v_fma_f64 v[2:3], v[6:7], v[8:9], v[2:3]
.LBB140_1135:
	s_or_b64 exec, exec, s[6:7]
	v_add_u32_e32 v1, 48, v1
	v_add_u32_e32 v6, 0x8000, v4
	v_cmp_le_u32_e32 vcc, v0, v1
	s_and_saveexec_b64 s[6:7], vcc
	s_cbranch_execz .LBB140_1137
; %bb.1136:
	ds_read_b64 v[7:8], v4 offset:24576
	ds_read_b64 v[4:5], v5 offset:384
	s_waitcnt lgkmcnt(0)
	v_fma_f64 v[2:3], v[7:8], v[4:5], v[2:3]
.LBB140_1137:
	s_or_b64 exec, exec, s[6:7]
	s_mov_b64 s[8:9], 0
	s_mov_b64 s[6:7], 0
	ds_write_b64 v6, v[2:3]
	s_waitcnt lgkmcnt(0)
	s_barrier
                                        ; implicit-def: $vgpr4_vgpr5
	s_and_saveexec_b64 s[10:11], s[2:3]
	s_cbranch_execz .LBB140_1166
; %bb.1138:
	v_lshlrev_b32_e32 v9, 3, v0
	ds_read2st64_b64 v[4:7], v9 offset0:65 offset1:66
	ds_read_b64 v[12:13], v9 offset:40448
	s_mov_b64 s[6:7], exec
	s_waitcnt lgkmcnt(1)
	v_add_f64 v[1:2], v[2:3], v[4:5]
	v_add_f64 v[14:15], v[6:7], v[1:2]
	ds_read2st64_b64 v[1:4], v9 offset0:67 offset1:68
	ds_read2st64_b64 v[5:8], v9 offset0:69 offset1:70
	s_waitcnt lgkmcnt(1)
	v_add_f64 v[1:2], v[1:2], v[14:15]
	v_add_f64 v[1:2], v[3:4], v[1:2]
	s_waitcnt lgkmcnt(0)
	v_add_f64 v[1:2], v[5:6], v[1:2]
	v_add_f64 v[14:15], v[7:8], v[1:2]
	ds_read2st64_b64 v[1:4], v9 offset0:71 offset1:72
	ds_read2st64_b64 v[5:8], v9 offset0:73 offset1:74
	s_waitcnt lgkmcnt(1)
	v_add_f64 v[1:2], v[1:2], v[14:15]
	v_add_f64 v[1:2], v[3:4], v[1:2]
	;; [unrolled: 8-line block ×3, first 2 shown]
	s_waitcnt lgkmcnt(0)
	v_add_f64 v[1:2], v[5:6], v[1:2]
	v_add_f64 v[1:2], v[7:8], v[1:2]
	;; [unrolled: 1-line block ×3, first 2 shown]
	s_or_b64 exec, exec, s[10:11]
	s_and_b64 vcc, exec, s[8:9]
	s_cbranch_vccnz .LBB140_1141
	s_branch .LBB140_1167
.LBB140_1139:
	v_mad_u64_u32 v[12:13], s[2:3], s36, v15, 0
	s_or_b64 s[10:11], s[10:11], exec
	v_mad_u64_u32 v[13:14], s[2:3], s37, v15, v[13:14]
	v_lshlrev_b64 v[12:13], 3, v[12:13]
	v_add_co_u32_e32 v10, vcc, v10, v12
	v_addc_co_u32_e32 v11, vcc, v11, v13, vcc
	flat_load_dwordx2 v[12:13], v[10:11]
	s_waitcnt vmcnt(0) lgkmcnt(0)
	v_xor_b32_e32 v13, 0x80000000, v13
	s_or_b64 exec, exec, s[8:9]
	s_xor_b64 s[0:1], s[0:1], -1
	s_and_saveexec_b64 s[2:3], s[10:11]
	s_cbranch_execnz .LBB140_57
	s_branch .LBB140_58
.LBB140_1140:
	s_mov_b64 s[6:7], 0
                                        ; implicit-def: $vgpr4_vgpr5
	s_cbranch_execz .LBB140_1167
.LBB140_1141:
	v_mov_b32_e32 v1, 0x7800
	v_lshl_add_u32 v1, v0, 3, v1
	v_mov_b32_e32 v3, 63
	v_mov_b32_e32 v2, 0
	s_branch .LBB140_1143
.LBB140_1142:                           ;   in Loop: Header=BB140_1143 Depth=1
	s_or_b64 exec, exec, s[8:9]
	v_subrev_co_u32_e32 v3, vcc, 1, v3
	s_andn2_b64 vcc, exec, vcc
	v_add_u32_e32 v1, 0xfffff800, v1
	s_barrier
	s_cbranch_vccz .LBB140_1159
.LBB140_1143:                           ; =>This Inner Loop Header: Depth=1
	v_cmp_eq_u32_e32 vcc, v0, v3
	s_and_b64 s[10:11], s[2:3], vcc
	s_and_saveexec_b64 s[8:9], s[10:11]
; %bb.1144:                             ;   in Loop: Header=BB140_1143 Depth=1
	ds_write_b64 v2, v[10:11] offset:41472
; %bb.1145:                             ;   in Loop: Header=BB140_1143 Depth=1
	s_or_b64 exec, exec, s[8:9]
	v_cmp_lt_u32_e32 vcc, v0, v3
	s_and_b64 s[10:11], s[2:3], vcc
	s_waitcnt lgkmcnt(0)
	s_barrier
	s_and_saveexec_b64 s[8:9], s[10:11]
	s_cbranch_execz .LBB140_1147
; %bb.1146:                             ;   in Loop: Header=BB140_1143 Depth=1
	ds_read_b64 v[4:5], v1 offset:1536
	ds_read_b64 v[6:7], v2 offset:41472
	s_waitcnt lgkmcnt(0)
	v_fma_f64 v[10:11], v[4:5], v[6:7], v[10:11]
.LBB140_1147:                           ;   in Loop: Header=BB140_1143 Depth=1
	s_or_b64 exec, exec, s[8:9]
	v_add_u32_e32 v3, -1, v3
	v_cmp_eq_u32_e32 vcc, v0, v3
	s_and_b64 s[10:11], s[2:3], vcc
	s_barrier
	s_and_saveexec_b64 s[8:9], s[10:11]
; %bb.1148:                             ;   in Loop: Header=BB140_1143 Depth=1
	ds_write_b64 v2, v[10:11] offset:41472
; %bb.1149:                             ;   in Loop: Header=BB140_1143 Depth=1
	s_or_b64 exec, exec, s[8:9]
	v_cmp_lt_u32_e32 vcc, v0, v3
	s_and_b64 s[10:11], s[2:3], vcc
	s_waitcnt lgkmcnt(0)
	s_barrier
	s_and_saveexec_b64 s[8:9], s[10:11]
	s_cbranch_execz .LBB140_1151
; %bb.1150:                             ;   in Loop: Header=BB140_1143 Depth=1
	ds_read_b64 v[4:5], v1 offset:1024
	ds_read_b64 v[6:7], v2 offset:41472
	s_waitcnt lgkmcnt(0)
	v_fma_f64 v[10:11], v[4:5], v[6:7], v[10:11]
.LBB140_1151:                           ;   in Loop: Header=BB140_1143 Depth=1
	s_or_b64 exec, exec, s[8:9]
	v_add_u32_e32 v3, -1, v3
	v_cmp_eq_u32_e32 vcc, v0, v3
	s_and_b64 s[10:11], s[2:3], vcc
	s_barrier
	s_and_saveexec_b64 s[8:9], s[10:11]
; %bb.1152:                             ;   in Loop: Header=BB140_1143 Depth=1
	ds_write_b64 v2, v[10:11] offset:41472
; %bb.1153:                             ;   in Loop: Header=BB140_1143 Depth=1
	s_or_b64 exec, exec, s[8:9]
	v_cmp_lt_u32_e32 vcc, v0, v3
	s_and_b64 s[10:11], s[2:3], vcc
	s_waitcnt lgkmcnt(0)
	s_barrier
	s_and_saveexec_b64 s[8:9], s[10:11]
	s_cbranch_execz .LBB140_1155
; %bb.1154:                             ;   in Loop: Header=BB140_1143 Depth=1
	ds_read_b64 v[4:5], v1 offset:512
	ds_read_b64 v[6:7], v2 offset:41472
	s_waitcnt lgkmcnt(0)
	v_fma_f64 v[10:11], v[4:5], v[6:7], v[10:11]
.LBB140_1155:                           ;   in Loop: Header=BB140_1143 Depth=1
	s_or_b64 exec, exec, s[8:9]
	v_add_u32_e32 v3, -1, v3
	v_cmp_eq_u32_e32 vcc, v0, v3
	s_and_b64 s[10:11], s[2:3], vcc
	s_barrier
	s_and_saveexec_b64 s[8:9], s[10:11]
; %bb.1156:                             ;   in Loop: Header=BB140_1143 Depth=1
	ds_write_b64 v2, v[10:11] offset:41472
; %bb.1157:                             ;   in Loop: Header=BB140_1143 Depth=1
	s_or_b64 exec, exec, s[8:9]
	v_cmp_lt_u32_e32 vcc, v0, v3
	s_and_b64 s[10:11], s[2:3], vcc
	s_waitcnt lgkmcnt(0)
	s_barrier
	s_and_saveexec_b64 s[8:9], s[10:11]
	s_cbranch_execz .LBB140_1142
; %bb.1158:                             ;   in Loop: Header=BB140_1143 Depth=1
	ds_read_b64 v[4:5], v1
	ds_read_b64 v[6:7], v2 offset:41472
	s_waitcnt lgkmcnt(0)
	v_fma_f64 v[10:11], v[4:5], v[6:7], v[10:11]
	s_branch .LBB140_1142
.LBB140_1159:
	s_mov_b64 s[8:9], -1
	s_and_b64 vcc, exec, s[4:5]
	s_cbranch_vccnz .LBB140_1168
; %bb.1160:
	s_andn2_b64 vcc, exec, s[8:9]
	s_cbranch_vccz .LBB140_1169
.LBB140_1161:
	s_and_saveexec_b64 s[2:3], s[6:7]
	s_cbranch_execz .LBB140_1163
.LBB140_1162:
	s_lshl_b32 s4, s33, 6
	s_ashr_i32 s5, s4, 31
	v_mov_b32_e32 v0, s5
	v_add_co_u32_e32 v1, vcc, s4, v17
	v_addc_co_u32_e32 v0, vcc, 0, v0, vcc
	v_mul_lo_u32 v2, v0, s30
	v_mul_lo_u32 v3, v1, s31
	v_mad_u64_u32 v[0:1], s[4:5], v1, s30, 0
	v_add3_u32 v1, v1, v3, v2
	v_lshlrev_b64 v[0:1], 3, v[0:1]
	v_mov_b32_e32 v2, s21
	v_add_co_u32_e32 v0, vcc, s20, v0
	v_addc_co_u32_e32 v1, vcc, v2, v1, vcc
	flat_store_dwordx2 v[0:1], v[10:11]
.LBB140_1163:
	s_or_b64 exec, exec, s[2:3]
	v_cmp_eq_u32_e32 vcc, 0, v17
	s_waitcnt vmcnt(0) lgkmcnt(0)
	buffer_wbinvl1_vol
	s_barrier
	s_and_saveexec_b64 s[2:3], vcc
	s_cbranch_execz .LBB140_1165
; %bb.1164:
	s_lshl_b64 s[4:5], s[22:23], 2
	s_add_u32 s0, s0, s4
	s_addc_u32 s1, s1, s5
	v_mov_b32_e32 v0, 0
	global_load_dword v1, v0, s[0:1]
	s_waitcnt vmcnt(0)
	v_add_u32_e32 v1, 1, v1
	global_store_dword v0, v1, s[0:1]
.LBB140_1165:
	s_or_b64 exec, exec, s[2:3]
	s_waitcnt vmcnt(0)
	buffer_wbinvl1_vol
	s_endpgm
.LBB140_1166:
	s_or_b64 exec, exec, s[10:11]
	s_and_b64 vcc, exec, s[8:9]
	s_cbranch_vccnz .LBB140_1141
.LBB140_1167:
	v_mov_b32_e32 v11, v5
	v_mov_b32_e32 v10, v4
	s_and_saveexec_b64 s[2:3], s[6:7]
	s_cbranch_execnz .LBB140_1162
	s_branch .LBB140_1163
.LBB140_1168:
	s_andn2_b64 s[4:5], s[6:7], exec
	s_and_b64 s[6:7], s[2:3], exec
	s_or_b64 s[6:7], s[4:5], s[6:7]
	s_cbranch_execnz .LBB140_1161
.LBB140_1169:
	v_cmp_gt_i32_e32 vcc, s90, v0
	s_and_b64 s[2:3], s[2:3], vcc
	s_andn2_b64 s[4:5], s[6:7], exec
	s_and_b64 s[2:3], s[2:3], exec
	s_or_b64 s[6:7], s[4:5], s[2:3]
	s_and_saveexec_b64 s[2:3], s[6:7]
	s_cbranch_execnz .LBB140_1162
	s_branch .LBB140_1163
.LBB140_1170:
	v_lshlrev_b32_e32 v21, 3, v20
	v_sub_u32_e32 v21, v18, v21
	v_lshl_add_u32 v21, v19, 3, v21
	ds_read_b64 v[21:22], v21 offset:544
	ds_read_b64 v[23:24], v18 offset:8
	s_waitcnt lgkmcnt(0)
	v_fma_f64 v[10:11], v[21:22], v[23:24], v[10:11]
	s_or_b64 exec, exec, s[14:15]
	v_cmp_gt_u32_e64 s[10:11], 8, v14
	s_and_saveexec_b64 s[14:15], s[10:11]
	s_cbranch_execz .LBB140_80
.LBB140_1171:
	ds_read_b64 v[21:22], v16 offset:1056
	ds_read_b64 v[23:24], v18 offset:16
	s_waitcnt lgkmcnt(0)
	v_fma_f64 v[10:11], v[21:22], v[23:24], v[10:11]
	s_or_b64 exec, exec, s[14:15]
	v_cmp_gt_u32_e64 s[10:11], 4, v14
	s_and_saveexec_b64 s[14:15], s[10:11]
	s_cbranch_execnz .LBB140_81
	s_branch .LBB140_82
.LBB140_1172:
	v_lshlrev_b32_e32 v26, 3, v25
	v_sub_u32_e32 v26, v23, v26
	v_lshl_add_u32 v26, v24, 3, v26
	ds_read_b64 v[26:27], v26 offset:576
	ds_read_b64 v[28:29], v23 offset:8
	s_waitcnt lgkmcnt(0)
	v_fma_f64 v[10:11], v[26:27], v[28:29], v[10:11]
	s_or_b64 exec, exec, s[16:17]
	v_cmp_gt_u32_e64 s[14:15], 48, v14
	s_and_saveexec_b64 s[16:17], s[14:15]
	s_cbranch_execz .LBB140_122
.LBB140_1173:
	v_lshlrev_b32_e32 v26, 3, v25
	v_sub_u32_e32 v26, v23, v26
	v_lshl_add_u32 v26, v24, 3, v26
	ds_read_b64 v[26:27], v26 offset:1088
	ds_read_b64 v[28:29], v23 offset:16
	s_waitcnt lgkmcnt(0)
	v_fma_f64 v[10:11], v[26:27], v[28:29], v[10:11]
	s_or_b64 exec, exec, s[16:17]
	v_cmp_gt_u32_e64 s[14:15], 40, v14
	s_and_saveexec_b64 s[16:17], s[14:15]
	s_cbranch_execz .LBB140_123
.LBB140_1174:
	v_lshlrev_b32_e32 v26, 3, v25
	v_sub_u32_e32 v26, v23, v26
	v_lshl_add_u32 v26, v24, 3, v26
	ds_read_b64 v[26:27], v26 offset:1600
	ds_read_b64 v[28:29], v23 offset:24
	s_waitcnt lgkmcnt(0)
	v_fma_f64 v[10:11], v[26:27], v[28:29], v[10:11]
	s_or_b64 exec, exec, s[16:17]
	v_cmp_gt_u32_e64 s[14:15], 32, v14
	s_and_saveexec_b64 s[16:17], s[14:15]
	s_cbranch_execz .LBB140_124
.LBB140_1175:
	ds_read_b64 v[26:27], v21 offset:2112
	ds_read_b64 v[28:29], v23 offset:32
	s_waitcnt lgkmcnt(0)
	v_fma_f64 v[10:11], v[26:27], v[28:29], v[10:11]
	s_or_b64 exec, exec, s[16:17]
	v_cmp_gt_u32_e64 s[14:15], 24, v14
	s_and_saveexec_b64 s[16:17], s[14:15]
	s_cbranch_execz .LBB140_125
.LBB140_1176:
	v_lshlrev_b32_e32 v26, 3, v25
	v_sub_u32_e32 v26, v23, v26
	v_lshl_add_u32 v26, v24, 3, v26
	ds_read_b64 v[26:27], v26 offset:2624
	ds_read_b64 v[28:29], v23 offset:40
	s_waitcnt lgkmcnt(0)
	v_fma_f64 v[10:11], v[26:27], v[28:29], v[10:11]
	s_or_b64 exec, exec, s[16:17]
	v_cmp_gt_u32_e64 s[14:15], 16, v14
	s_and_saveexec_b64 s[16:17], s[14:15]
	s_cbranch_execz .LBB140_126
.LBB140_1177:
	ds_read_b64 v[26:27], v21 offset:3136
	ds_read_b64 v[28:29], v23 offset:48
	s_waitcnt lgkmcnt(0)
	v_fma_f64 v[10:11], v[26:27], v[28:29], v[10:11]
	s_or_b64 exec, exec, s[16:17]
	v_cmp_gt_u32_e64 s[14:15], 8, v14
	s_and_saveexec_b64 s[16:17], s[14:15]
	s_cbranch_execnz .LBB140_127
	s_branch .LBB140_128
.LBB140_1178:
	v_lshlrev_b32_e32 v27, 3, v20
	v_sub_u32_e32 v27, v26, v27
	v_lshl_add_u32 v27, v19, 3, v27
	ds_read_b64 v[27:28], v27 offset:4704
	ds_read_b64 v[29:30], v26 offset:4168
	s_waitcnt lgkmcnt(0)
	v_fma_f64 v[10:11], v[27:28], v[29:30], v[10:11]
	s_or_b64 exec, exec, s[14:15]
	v_cmp_gt_u32_e64 s[10:11], 8, v14
	s_and_saveexec_b64 s[14:15], s[10:11]
	s_cbranch_execz .LBB140_184
.LBB140_1179:
	ds_read_b64 v[27:28], v16 offset:5216
	ds_read_b64 v[29:30], v26 offset:4176
	s_waitcnt lgkmcnt(0)
	v_fma_f64 v[10:11], v[27:28], v[29:30], v[10:11]
	s_or_b64 exec, exec, s[14:15]
	v_cmp_gt_u32_e64 s[10:11], 4, v14
	s_and_saveexec_b64 s[14:15], s[10:11]
	s_cbranch_execnz .LBB140_185
	s_branch .LBB140_186
.LBB140_1180:
	v_lshlrev_b32_e32 v31, 3, v27
	v_lshl_add_u32 v31, v29, 3, v31
	ds_read_b64 v[31:32], v31 offset:5760
	ds_read_b64 v[33:34], v28 offset:88
	s_waitcnt lgkmcnt(0)
	v_fma_f64 v[10:11], v[31:32], v[33:34], v[10:11]
	s_or_b64 exec, exec, s[20:21]
	v_cmp_gt_u32_e64 s[16:17], 64, v14
	s_and_saveexec_b64 s[20:21], s[16:17]
	s_cbranch_execz .LBB140_246
.LBB140_1181:
	ds_read_b64 v[31:32], v26 offset:6272
	ds_read_b64 v[33:34], v28 offset:96
	s_waitcnt lgkmcnt(0)
	v_fma_f64 v[10:11], v[31:32], v[33:34], v[10:11]
	s_or_b64 exec, exec, s[20:21]
	v_cmp_gt_u32_e64 s[16:17], 48, v14
	s_and_saveexec_b64 s[20:21], s[16:17]
	s_cbranch_execz .LBB140_247
.LBB140_1182:
	v_lshlrev_b32_e32 v31, 3, v27
	v_lshl_add_u32 v31, v29, 3, v31
	ds_read_b64 v[31:32], v31 offset:6784
	ds_read_b64 v[33:34], v28 offset:104
	s_waitcnt lgkmcnt(0)
	v_fma_f64 v[10:11], v[31:32], v[33:34], v[10:11]
	s_or_b64 exec, exec, s[20:21]
	v_cmp_gt_u32_e64 s[16:17], 32, v14
	s_and_saveexec_b64 s[20:21], s[16:17]
	s_cbranch_execz .LBB140_248
.LBB140_1183:
	ds_read_b64 v[31:32], v26 offset:7296
	ds_read_b64 v[33:34], v28 offset:112
	s_waitcnt lgkmcnt(0)
	v_fma_f64 v[10:11], v[31:32], v[33:34], v[10:11]
	s_or_b64 exec, exec, s[20:21]
	v_cmp_gt_u32_e64 s[16:17], 16, v14
	s_and_saveexec_b64 s[20:21], s[16:17]
	s_cbranch_execnz .LBB140_249
	s_branch .LBB140_250
.LBB140_1184:
	v_lshlrev_b32_e32 v32, 3, v20
	v_sub_u32_e32 v32, v31, v32
	v_lshl_add_u32 v32, v19, 3, v32
	ds_read_b64 v[32:33], v32 offset:8864
	ds_read_b64 v[34:35], v31 offset:8328
	s_waitcnt lgkmcnt(0)
	v_fma_f64 v[10:11], v[32:33], v[34:35], v[10:11]
	s_or_b64 exec, exec, s[20:21]
	v_cmp_gt_u32_e64 s[14:15], 8, v14
	s_and_saveexec_b64 s[0:1], s[14:15]
	s_cbranch_execz .LBB140_338
.LBB140_1185:
	ds_read_b64 v[32:33], v16 offset:9376
	ds_read_b64 v[34:35], v31 offset:8336
	s_waitcnt lgkmcnt(0)
	v_fma_f64 v[10:11], v[32:33], v[34:35], v[10:11]
	s_or_b64 exec, exec, s[0:1]
	v_cmp_gt_u32_e64 s[14:15], 4, v14
	s_and_saveexec_b64 s[20:21], s[14:15]
	s_cbranch_execnz .LBB140_339
	s_branch .LBB140_340
.LBB140_1186:
	v_lshlrev_b32_e32 v32, 3, v25
	v_sub_u32_e32 v32, v31, v32
	v_lshl_add_u32 v32, v24, 3, v32
	ds_read_b64 v[32:33], v32 offset:8896
	ds_read_b64 v[34:35], v31 offset:8328
	s_waitcnt lgkmcnt(0)
	v_fma_f64 v[10:11], v[32:33], v[34:35], v[10:11]
	s_or_b64 exec, exec, s[20:21]
	v_cmp_gt_u32_e64 s[14:15], 48, v14
	s_and_saveexec_b64 s[20:21], s[14:15]
	s_cbranch_execz .LBB140_380
.LBB140_1187:
	v_lshlrev_b32_e32 v32, 3, v25
	v_sub_u32_e32 v32, v31, v32
	v_lshl_add_u32 v32, v24, 3, v32
	ds_read_b64 v[32:33], v32 offset:9408
	ds_read_b64 v[34:35], v31 offset:8336
	s_waitcnt lgkmcnt(0)
	v_fma_f64 v[10:11], v[32:33], v[34:35], v[10:11]
	s_or_b64 exec, exec, s[20:21]
	v_cmp_gt_u32_e64 s[14:15], 40, v14
	s_and_saveexec_b64 s[20:21], s[14:15]
	s_cbranch_execz .LBB140_381
.LBB140_1188:
	v_lshlrev_b32_e32 v32, 3, v25
	v_sub_u32_e32 v32, v31, v32
	v_lshl_add_u32 v32, v24, 3, v32
	ds_read_b64 v[32:33], v32 offset:9920
	ds_read_b64 v[34:35], v31 offset:8344
	s_waitcnt lgkmcnt(0)
	v_fma_f64 v[10:11], v[32:33], v[34:35], v[10:11]
	s_or_b64 exec, exec, s[20:21]
	v_cmp_gt_u32_e64 s[14:15], 32, v14
	s_and_saveexec_b64 s[0:1], s[14:15]
	s_cbranch_execz .LBB140_382
.LBB140_1189:
	ds_read_b64 v[32:33], v21 offset:10432
	ds_read_b64 v[34:35], v31 offset:8352
	s_waitcnt lgkmcnt(0)
	v_fma_f64 v[10:11], v[32:33], v[34:35], v[10:11]
	s_or_b64 exec, exec, s[0:1]
	v_cmp_gt_u32_e64 s[14:15], 24, v14
	s_and_saveexec_b64 s[20:21], s[14:15]
	s_cbranch_execz .LBB140_383
.LBB140_1190:
	v_lshlrev_b32_e32 v32, 3, v25
	v_sub_u32_e32 v32, v31, v32
	v_lshl_add_u32 v32, v24, 3, v32
	ds_read_b64 v[32:33], v32 offset:10944
	ds_read_b64 v[34:35], v31 offset:8360
	s_waitcnt lgkmcnt(0)
	v_fma_f64 v[10:11], v[32:33], v[34:35], v[10:11]
	s_or_b64 exec, exec, s[20:21]
	v_cmp_gt_u32_e64 s[14:15], 16, v14
	s_and_saveexec_b64 s[0:1], s[14:15]
	s_cbranch_execz .LBB140_384
.LBB140_1191:
	ds_read_b64 v[32:33], v21 offset:11456
	ds_read_b64 v[34:35], v31 offset:8368
	s_waitcnt lgkmcnt(0)
	v_fma_f64 v[10:11], v[32:33], v[34:35], v[10:11]
	s_or_b64 exec, exec, s[0:1]
	v_cmp_gt_u32_e64 s[14:15], 8, v14
	s_and_saveexec_b64 s[20:21], s[14:15]
	s_cbranch_execnz .LBB140_385
	s_branch .LBB140_386
.LBB140_1192:
	v_lshlrev_b32_e32 v32, 3, v20
	v_sub_u32_e32 v32, v31, v32
	v_lshl_add_u32 v32, v19, 3, v32
	ds_read_b64 v[32:33], v32 offset:13024
	ds_read_b64 v[34:35], v31 offset:12488
	s_waitcnt lgkmcnt(0)
	v_fma_f64 v[10:11], v[32:33], v[34:35], v[10:11]
	s_or_b64 exec, exec, s[20:21]
	v_cmp_gt_u32_e64 s[14:15], 8, v14
	s_and_saveexec_b64 s[0:1], s[14:15]
	s_cbranch_execz .LBB140_442
.LBB140_1193:
	ds_read_b64 v[32:33], v16 offset:13536
	ds_read_b64 v[34:35], v31 offset:12496
	s_waitcnt lgkmcnt(0)
	v_fma_f64 v[10:11], v[32:33], v[34:35], v[10:11]
	s_or_b64 exec, exec, s[0:1]
	v_cmp_gt_u32_e64 s[14:15], 4, v14
	s_and_saveexec_b64 s[20:21], s[14:15]
	s_cbranch_execnz .LBB140_443
	s_branch .LBB140_444
.LBB140_1194:
	ds_read_b64 v[36:37], v31 offset:15104
	ds_read_b64 v[38:39], v35 offset:232
	s_waitcnt lgkmcnt(0)
	v_fma_f64 v[10:11], v[36:37], v[38:39], v[10:11]
	s_or_b64 exec, exec, s[0:1]
	v_cmp_gt_u32_e64 s[20:21], 64, v14
	s_and_saveexec_b64 s[0:1], s[20:21]
	s_cbranch_execz .LBB140_540
.LBB140_1195:
	ds_read_b64 v[36:37], v31 offset:15616
	ds_read_b64 v[38:39], v35 offset:240
	s_waitcnt lgkmcnt(0)
	v_fma_f64 v[10:11], v[36:37], v[38:39], v[10:11]
	s_or_b64 exec, exec, s[0:1]
	v_cmp_gt_u32_e64 s[20:21], 32, v14
	s_and_saveexec_b64 s[0:1], s[20:21]
	s_cbranch_execnz .LBB140_541
	s_branch .LBB140_542
.LBB140_1196:
	v_lshlrev_b32_e32 v32, 3, v20
	v_sub_u32_e32 v32, v31, v32
	v_lshl_add_u32 v32, v19, 3, v32
	ds_read_b64 v[32:33], v32 offset:17184
	ds_read_b64 v[34:35], v31 offset:16648
	s_waitcnt lgkmcnt(0)
	v_fma_f64 v[10:11], v[32:33], v[34:35], v[10:11]
	s_or_b64 exec, exec, s[16:17]
	v_cmp_gt_u32_e64 s[12:13], 8, v14
	s_and_saveexec_b64 s[0:1], s[12:13]
	s_cbranch_execz .LBB140_694
.LBB140_1197:
	ds_read_b64 v[32:33], v16 offset:17696
	ds_read_b64 v[34:35], v31 offset:16656
	s_waitcnt lgkmcnt(0)
	v_fma_f64 v[10:11], v[32:33], v[34:35], v[10:11]
	s_or_b64 exec, exec, s[0:1]
	v_cmp_gt_u32_e64 s[12:13], 4, v14
	s_and_saveexec_b64 s[0:1], s[12:13]
	s_cbranch_execnz .LBB140_695
	s_branch .LBB140_696
.LBB140_1198:
	v_lshlrev_b32_e32 v32, 3, v25
	v_sub_u32_e32 v32, v31, v32
	v_lshl_add_u32 v32, v24, 3, v32
	ds_read_b64 v[32:33], v32 offset:17216
	ds_read_b64 v[34:35], v31 offset:16648
	s_waitcnt lgkmcnt(0)
	v_fma_f64 v[10:11], v[32:33], v[34:35], v[10:11]
	s_or_b64 exec, exec, s[16:17]
	v_cmp_gt_u32_e64 s[12:13], 48, v14
	s_and_saveexec_b64 s[0:1], s[12:13]
	s_cbranch_execz .LBB140_736
.LBB140_1199:
	v_lshlrev_b32_e32 v32, 3, v25
	v_sub_u32_e32 v32, v31, v32
	v_lshl_add_u32 v32, v24, 3, v32
	ds_read_b64 v[32:33], v32 offset:17728
	ds_read_b64 v[34:35], v31 offset:16656
	s_waitcnt lgkmcnt(0)
	v_fma_f64 v[10:11], v[32:33], v[34:35], v[10:11]
	s_or_b64 exec, exec, s[0:1]
	v_cmp_gt_u32_e64 s[12:13], 40, v14
	s_and_saveexec_b64 s[0:1], s[12:13]
	s_cbranch_execz .LBB140_737
.LBB140_1200:
	v_lshlrev_b32_e32 v32, 3, v25
	v_sub_u32_e32 v32, v31, v32
	v_lshl_add_u32 v32, v24, 3, v32
	ds_read_b64 v[32:33], v32 offset:18240
	ds_read_b64 v[34:35], v31 offset:16664
	s_waitcnt lgkmcnt(0)
	v_fma_f64 v[10:11], v[32:33], v[34:35], v[10:11]
	s_or_b64 exec, exec, s[0:1]
	v_cmp_gt_u32_e64 s[12:13], 32, v14
	s_and_saveexec_b64 s[0:1], s[12:13]
	s_cbranch_execz .LBB140_738
.LBB140_1201:
	ds_read_b64 v[32:33], v21 offset:18752
	ds_read_b64 v[34:35], v31 offset:16672
	s_waitcnt lgkmcnt(0)
	v_fma_f64 v[10:11], v[32:33], v[34:35], v[10:11]
	s_or_b64 exec, exec, s[0:1]
	v_cmp_gt_u32_e64 s[12:13], 24, v14
	s_and_saveexec_b64 s[0:1], s[12:13]
	s_cbranch_execz .LBB140_739
.LBB140_1202:
	v_lshlrev_b32_e32 v32, 3, v25
	v_sub_u32_e32 v32, v31, v32
	v_lshl_add_u32 v32, v24, 3, v32
	ds_read_b64 v[32:33], v32 offset:19264
	ds_read_b64 v[34:35], v31 offset:16680
	s_waitcnt lgkmcnt(0)
	v_fma_f64 v[10:11], v[32:33], v[34:35], v[10:11]
	s_or_b64 exec, exec, s[0:1]
	v_cmp_gt_u32_e64 s[12:13], 16, v14
	s_and_saveexec_b64 s[0:1], s[12:13]
	s_cbranch_execz .LBB140_740
.LBB140_1203:
	ds_read_b64 v[32:33], v21 offset:19776
	ds_read_b64 v[34:35], v31 offset:16688
	s_waitcnt lgkmcnt(0)
	v_fma_f64 v[10:11], v[32:33], v[34:35], v[10:11]
	s_or_b64 exec, exec, s[0:1]
	v_cmp_gt_u32_e64 s[12:13], 8, v14
	s_and_saveexec_b64 s[0:1], s[12:13]
	s_cbranch_execnz .LBB140_741
	s_branch .LBB140_742
.LBB140_1204:
	v_lshlrev_b32_e32 v32, 3, v20
	v_sub_u32_e32 v32, v31, v32
	v_lshl_add_u32 v32, v19, 3, v32
	ds_read_b64 v[32:33], v32 offset:21344
	ds_read_b64 v[34:35], v31 offset:20808
	s_waitcnt lgkmcnt(0)
	v_fma_f64 v[10:11], v[32:33], v[34:35], v[10:11]
	s_or_b64 exec, exec, s[16:17]
	v_cmp_gt_u32_e64 s[12:13], 8, v14
	s_and_saveexec_b64 s[0:1], s[12:13]
	s_cbranch_execz .LBB140_798
.LBB140_1205:
	ds_read_b64 v[32:33], v16 offset:21856
	ds_read_b64 v[34:35], v31 offset:20816
	s_waitcnt lgkmcnt(0)
	v_fma_f64 v[10:11], v[32:33], v[34:35], v[10:11]
	s_or_b64 exec, exec, s[0:1]
	v_cmp_gt_u32_e64 s[12:13], 4, v14
	s_and_saveexec_b64 s[0:1], s[12:13]
	s_cbranch_execnz .LBB140_799
	s_branch .LBB140_800
.LBB140_1206:
	v_lshlrev_b32_e32 v30, 3, v27
	v_lshl_add_u32 v30, v29, 3, v30
	ds_read_b64 v[32:33], v30 offset:22400
	ds_read_b64 v[34:35], v31 offset:16728
	s_waitcnt lgkmcnt(0)
	v_fma_f64 v[10:11], v[32:33], v[34:35], v[10:11]
	s_or_b64 exec, exec, s[0:1]
	v_cmp_gt_u32_e64 s[12:13], 64, v14
	s_and_saveexec_b64 s[0:1], s[12:13]
	s_cbranch_execz .LBB140_860
.LBB140_1207:
	ds_read_b64 v[32:33], v26 offset:22912
	ds_read_b64 v[34:35], v31 offset:16736
	s_waitcnt lgkmcnt(0)
	v_fma_f64 v[10:11], v[32:33], v[34:35], v[10:11]
	s_or_b64 exec, exec, s[0:1]
	v_cmp_gt_u32_e64 s[12:13], 48, v14
	s_and_saveexec_b64 s[0:1], s[12:13]
	s_cbranch_execz .LBB140_861
.LBB140_1208:
	v_lshlrev_b32_e32 v30, 3, v27
	v_lshl_add_u32 v29, v29, 3, v30
	ds_read_b64 v[29:30], v29 offset:23424
	ds_read_b64 v[32:33], v31 offset:16744
	s_waitcnt lgkmcnt(0)
	v_fma_f64 v[10:11], v[29:30], v[32:33], v[10:11]
	s_or_b64 exec, exec, s[0:1]
	v_cmp_gt_u32_e64 s[12:13], 32, v14
	s_and_saveexec_b64 s[0:1], s[12:13]
	s_cbranch_execz .LBB140_862
.LBB140_1209:
	ds_read_b64 v[29:30], v26 offset:23936
	ds_read_b64 v[31:32], v31 offset:16752
	s_waitcnt lgkmcnt(0)
	v_fma_f64 v[10:11], v[29:30], v[31:32], v[10:11]
	s_or_b64 exec, exec, s[0:1]
	v_cmp_gt_u32_e64 s[12:13], 16, v14
	s_and_saveexec_b64 s[0:1], s[12:13]
	s_cbranch_execnz .LBB140_863
	s_branch .LBB140_864
.LBB140_1210:
	v_lshlrev_b32_e32 v27, 3, v20
	v_sub_u32_e32 v27, v26, v27
	v_lshl_add_u32 v27, v19, 3, v27
	ds_read_b64 v[27:28], v27 offset:25504
	ds_read_b64 v[29:30], v26 offset:24968
	s_waitcnt lgkmcnt(0)
	v_fma_f64 v[10:11], v[27:28], v[29:30], v[10:11]
	s_or_b64 exec, exec, s[12:13]
	v_cmp_gt_u32_e64 s[10:11], 8, v14
	s_and_saveexec_b64 s[12:13], s[10:11]
	s_cbranch_execz .LBB140_952
.LBB140_1211:
	ds_read_b64 v[27:28], v16 offset:26016
	ds_read_b64 v[29:30], v26 offset:24976
	s_waitcnt lgkmcnt(0)
	v_fma_f64 v[10:11], v[27:28], v[29:30], v[10:11]
	s_or_b64 exec, exec, s[12:13]
	v_cmp_gt_u32_e64 s[10:11], 4, v14
	s_and_saveexec_b64 s[12:13], s[10:11]
	s_cbranch_execnz .LBB140_953
	s_branch .LBB140_954
.LBB140_1212:
	v_lshlrev_b32_e32 v27, 3, v25
	v_sub_u32_e32 v27, v26, v27
	v_lshl_add_u32 v27, v24, 3, v27
	ds_read_b64 v[27:28], v27 offset:25536
	ds_read_b64 v[29:30], v26 offset:24968
	s_waitcnt lgkmcnt(0)
	v_fma_f64 v[10:11], v[27:28], v[29:30], v[10:11]
	s_or_b64 exec, exec, s[12:13]
	v_cmp_gt_u32_e64 s[10:11], 48, v14
	s_and_saveexec_b64 s[12:13], s[10:11]
	s_cbranch_execz .LBB140_994
.LBB140_1213:
	v_lshlrev_b32_e32 v27, 3, v25
	v_sub_u32_e32 v27, v26, v27
	v_lshl_add_u32 v27, v24, 3, v27
	ds_read_b64 v[27:28], v27 offset:26048
	ds_read_b64 v[29:30], v26 offset:24976
	s_waitcnt lgkmcnt(0)
	v_fma_f64 v[10:11], v[27:28], v[29:30], v[10:11]
	s_or_b64 exec, exec, s[12:13]
	v_cmp_gt_u32_e64 s[10:11], 40, v14
	s_and_saveexec_b64 s[12:13], s[10:11]
	s_cbranch_execz .LBB140_995
.LBB140_1214:
	v_lshlrev_b32_e32 v27, 3, v25
	v_sub_u32_e32 v27, v26, v27
	v_lshl_add_u32 v27, v24, 3, v27
	ds_read_b64 v[27:28], v27 offset:26560
	ds_read_b64 v[29:30], v26 offset:24984
	s_waitcnt lgkmcnt(0)
	v_fma_f64 v[10:11], v[27:28], v[29:30], v[10:11]
	s_or_b64 exec, exec, s[12:13]
	v_cmp_gt_u32_e64 s[10:11], 32, v14
	s_and_saveexec_b64 s[12:13], s[10:11]
	s_cbranch_execz .LBB140_996
.LBB140_1215:
	ds_read_b64 v[27:28], v21 offset:27072
	ds_read_b64 v[29:30], v26 offset:24992
	s_waitcnt lgkmcnt(0)
	v_fma_f64 v[10:11], v[27:28], v[29:30], v[10:11]
	s_or_b64 exec, exec, s[12:13]
	v_cmp_gt_u32_e64 s[10:11], 24, v14
	s_and_saveexec_b64 s[12:13], s[10:11]
	s_cbranch_execz .LBB140_997
.LBB140_1216:
	v_lshlrev_b32_e32 v25, 3, v25
	v_sub_u32_e32 v25, v26, v25
	v_lshl_add_u32 v24, v24, 3, v25
	ds_read_b64 v[24:25], v24 offset:27584
	ds_read_b64 v[27:28], v26 offset:25000
	s_waitcnt lgkmcnt(0)
	v_fma_f64 v[10:11], v[24:25], v[27:28], v[10:11]
	s_or_b64 exec, exec, s[12:13]
	v_cmp_gt_u32_e64 s[10:11], 16, v14
	s_and_saveexec_b64 s[12:13], s[10:11]
	s_cbranch_execz .LBB140_998
.LBB140_1217:
	ds_read_b64 v[24:25], v21 offset:28096
	ds_read_b64 v[26:27], v26 offset:25008
	s_waitcnt lgkmcnt(0)
	v_fma_f64 v[10:11], v[24:25], v[26:27], v[10:11]
	s_or_b64 exec, exec, s[12:13]
	v_cmp_gt_u32_e64 s[10:11], 8, v14
	s_and_saveexec_b64 s[12:13], s[10:11]
	s_cbranch_execnz .LBB140_999
	s_branch .LBB140_1000
.LBB140_1218:
	v_lshlrev_b32_e32 v20, 3, v20
	v_sub_u32_e32 v20, v21, v20
	v_lshl_add_u32 v19, v19, 3, v20
	ds_read_b64 v[19:20], v19 offset:29664
	ds_read_b64 v[22:23], v21 offset:29128
	s_waitcnt lgkmcnt(0)
	v_fma_f64 v[10:11], v[19:20], v[22:23], v[10:11]
	s_or_b64 exec, exec, s[10:11]
	v_cmp_gt_u32_e64 s[8:9], 8, v14
	s_and_saveexec_b64 s[10:11], s[8:9]
	s_cbranch_execz .LBB140_1056
.LBB140_1219:
	ds_read_b64 v[19:20], v16 offset:30176
	ds_read_b64 v[21:22], v21 offset:29136
	s_waitcnt lgkmcnt(0)
	v_fma_f64 v[10:11], v[19:20], v[21:22], v[10:11]
	s_or_b64 exec, exec, s[10:11]
	v_cmp_gt_u32_e64 s[8:9], 4, v14
	s_and_saveexec_b64 s[10:11], s[8:9]
	s_cbranch_execnz .LBB140_1057
	s_branch .LBB140_1058
	.section	.rodata,"a",@progbits
	.p2align	6, 0x0
	.amdhsa_kernel _ZL19rocblas_trsv_deviceILi64ELi16ELb1ELb1ELb0ELb1EddPKPKdPKPdEviT7_lllT6_T8_lllPii
		.amdhsa_group_segment_fixed_size 41480
		.amdhsa_private_segment_fixed_size 0
		.amdhsa_kernarg_size 352
		.amdhsa_user_sgpr_count 6
		.amdhsa_user_sgpr_private_segment_buffer 1
		.amdhsa_user_sgpr_dispatch_ptr 0
		.amdhsa_user_sgpr_queue_ptr 0
		.amdhsa_user_sgpr_kernarg_segment_ptr 1
		.amdhsa_user_sgpr_dispatch_id 0
		.amdhsa_user_sgpr_flat_scratch_init 0
		.amdhsa_user_sgpr_private_segment_size 0
		.amdhsa_uses_dynamic_stack 0
		.amdhsa_system_sgpr_private_segment_wavefront_offset 0
		.amdhsa_system_sgpr_workgroup_id_x 1
		.amdhsa_system_sgpr_workgroup_id_y 0
		.amdhsa_system_sgpr_workgroup_id_z 1
		.amdhsa_system_sgpr_workgroup_info 0
		.amdhsa_system_vgpr_workitem_id 1
		.amdhsa_next_free_vgpr 49
		.amdhsa_next_free_sgpr 98
		.amdhsa_reserve_vcc 1
		.amdhsa_reserve_flat_scratch 0
		.amdhsa_float_round_mode_32 0
		.amdhsa_float_round_mode_16_64 0
		.amdhsa_float_denorm_mode_32 3
		.amdhsa_float_denorm_mode_16_64 3
		.amdhsa_dx10_clamp 1
		.amdhsa_ieee_mode 1
		.amdhsa_fp16_overflow 0
		.amdhsa_exception_fp_ieee_invalid_op 0
		.amdhsa_exception_fp_denorm_src 0
		.amdhsa_exception_fp_ieee_div_zero 0
		.amdhsa_exception_fp_ieee_overflow 0
		.amdhsa_exception_fp_ieee_underflow 0
		.amdhsa_exception_fp_ieee_inexact 0
		.amdhsa_exception_int_div_zero 0
	.end_amdhsa_kernel
	.section	.text._ZL19rocblas_trsv_deviceILi64ELi16ELb1ELb1ELb0ELb1EddPKPKdPKPdEviT7_lllT6_T8_lllPii,"axG",@progbits,_ZL19rocblas_trsv_deviceILi64ELi16ELb1ELb1ELb0ELb1EddPKPKdPKPdEviT7_lllT6_T8_lllPii,comdat
.Lfunc_end140:
	.size	_ZL19rocblas_trsv_deviceILi64ELi16ELb1ELb1ELb0ELb1EddPKPKdPKPdEviT7_lllT6_T8_lllPii, .Lfunc_end140-_ZL19rocblas_trsv_deviceILi64ELi16ELb1ELb1ELb0ELb1EddPKPKdPKPdEviT7_lllT6_T8_lllPii
                                        ; -- End function
	.set _ZL19rocblas_trsv_deviceILi64ELi16ELb1ELb1ELb0ELb1EddPKPKdPKPdEviT7_lllT6_T8_lllPii.num_vgpr, 41
	.set _ZL19rocblas_trsv_deviceILi64ELi16ELb1ELb1ELb0ELb1EddPKPKdPKPdEviT7_lllT6_T8_lllPii.num_agpr, 0
	.set _ZL19rocblas_trsv_deviceILi64ELi16ELb1ELb1ELb0ELb1EddPKPKdPKPdEviT7_lllT6_T8_lllPii.numbered_sgpr, 96
	.set _ZL19rocblas_trsv_deviceILi64ELi16ELb1ELb1ELb0ELb1EddPKPKdPKPdEviT7_lllT6_T8_lllPii.num_named_barrier, 0
	.set _ZL19rocblas_trsv_deviceILi64ELi16ELb1ELb1ELb0ELb1EddPKPKdPKPdEviT7_lllT6_T8_lllPii.private_seg_size, 0
	.set _ZL19rocblas_trsv_deviceILi64ELi16ELb1ELb1ELb0ELb1EddPKPKdPKPdEviT7_lllT6_T8_lllPii.uses_vcc, 1
	.set _ZL19rocblas_trsv_deviceILi64ELi16ELb1ELb1ELb0ELb1EddPKPKdPKPdEviT7_lllT6_T8_lllPii.uses_flat_scratch, 0
	.set _ZL19rocblas_trsv_deviceILi64ELi16ELb1ELb1ELb0ELb1EddPKPKdPKPdEviT7_lllT6_T8_lllPii.has_dyn_sized_stack, 0
	.set _ZL19rocblas_trsv_deviceILi64ELi16ELb1ELb1ELb0ELb1EddPKPKdPKPdEviT7_lllT6_T8_lllPii.has_recursion, 0
	.set _ZL19rocblas_trsv_deviceILi64ELi16ELb1ELb1ELb0ELb1EddPKPKdPKPdEviT7_lllT6_T8_lllPii.has_indirect_call, 0
	.section	.AMDGPU.csdata,"",@progbits
; Kernel info:
; codeLenInByte = 35276
; TotalNumSgprs: 100
; NumVgprs: 41
; ScratchSize: 0
; MemoryBound: 0
; FloatMode: 240
; IeeeMode: 1
; LDSByteSize: 41480 bytes/workgroup (compile time only)
; SGPRBlocks: 12
; VGPRBlocks: 12
; NumSGPRsForWavesPerEU: 102
; NumVGPRsForWavesPerEU: 49
; Occupancy: 4
; WaveLimiterHint : 1
; COMPUTE_PGM_RSRC2:SCRATCH_EN: 0
; COMPUTE_PGM_RSRC2:USER_SGPR: 6
; COMPUTE_PGM_RSRC2:TRAP_HANDLER: 0
; COMPUTE_PGM_RSRC2:TGID_X_EN: 1
; COMPUTE_PGM_RSRC2:TGID_Y_EN: 0
; COMPUTE_PGM_RSRC2:TGID_Z_EN: 1
; COMPUTE_PGM_RSRC2:TIDIG_COMP_CNT: 1
	.section	.text._ZL19rocblas_trsv_deviceILi64ELi16ELb1ELb1ELb1ELb1EddPKPKdPKPdEviT7_lllT6_T8_lllPii,"axG",@progbits,_ZL19rocblas_trsv_deviceILi64ELi16ELb1ELb1ELb1ELb1EddPKPKdPKPdEviT7_lllT6_T8_lllPii,comdat
	.globl	_ZL19rocblas_trsv_deviceILi64ELi16ELb1ELb1ELb1ELb1EddPKPKdPKPdEviT7_lllT6_T8_lllPii ; -- Begin function _ZL19rocblas_trsv_deviceILi64ELi16ELb1ELb1ELb1ELb1EddPKPKdPKPdEviT7_lllT6_T8_lllPii
	.p2align	8
	.type	_ZL19rocblas_trsv_deviceILi64ELi16ELb1ELb1ELb1ELb1EddPKPKdPKPdEviT7_lllT6_T8_lllPii,@function
_ZL19rocblas_trsv_deviceILi64ELi16ELb1ELb1ELb1ELb1EddPKPKdPKPdEviT7_lllT6_T8_lllPii: ; @_ZL19rocblas_trsv_deviceILi64ELi16ELb1ELb1ELb1ELb1EddPKPKdPKPdEviT7_lllT6_T8_lllPii
; %bb.0:
	s_load_dwordx4 s[0:3], s[4:5], 0x8
	s_mov_b32 s22, s7
	s_mov_b32 s23, 0
	s_lshl_b64 s[8:9], s[22:23], 3
	s_waitcnt lgkmcnt(0)
	s_add_u32 s0, s0, s8
	s_addc_u32 s1, s1, s9
	s_load_dwordx2 s[10:11], s[0:1], 0x0
	s_load_dword s34, s[4:5], 0x0
	s_load_dwordx2 s[36:37], s[4:5], 0x18
	s_load_dwordx8 s[24:31], s[4:5], 0x28
	s_lshl_b64 s[0:1], s[2:3], 3
	s_waitcnt lgkmcnt(0)
	s_add_u32 s91, s10, s0
	s_addc_u32 s38, s11, s1
	s_load_dword s7, s[4:5], 0x60
	s_add_u32 s0, s26, s8
	s_addc_u32 s1, s27, s9
	s_load_dwordx2 s[16:17], s[0:1], 0x0
	s_load_dword s39, s[4:5], 0x6c
	s_waitcnt lgkmcnt(0)
	s_add_i32 s7, s7, -1
	s_sub_i32 s33, s7, s6
	s_cmp_eq_u32 s6, 0
	s_cbranch_scc1 .LBB141_10
; %bb.1:
	s_lshl_b32 s2, s33, 6
	v_add_u32_e32 v4, s2, v0
	v_ashrrev_i32_e32 v2, 31, v4
	v_mul_lo_u32 v5, s36, v2
	v_mul_lo_u32 v6, s37, v4
	v_mad_u64_u32 v[2:3], s[0:1], s36, v4, 0
	v_add3_u32 v10, v1, s2, 64
	v_ashrrev_i32_e32 v11, 31, v10
	v_add3_u32 v3, v3, v5, v6
	v_lshlrev_b64 v[2:3], 3, v[2:3]
	v_cmp_gt_i32_e32 vcc, s34, v4
	v_mov_b32_e32 v4, s38
	v_add_co_u32_e64 v5, s[0:1], s91, v2
	v_addc_co_u32_e64 v4, s[0:1], v4, v3, s[0:1]
	v_lshlrev_b64 v[2:3], 3, v[10:11]
	v_add_co_u32_e64 v11, s[0:1], v5, v2
	v_addc_co_u32_e64 v12, s[0:1], v4, v3, s[0:1]
	v_cmp_gt_i32_e64 s[0:1], s34, v10
	v_mov_b32_e32 v2, 0
	v_mov_b32_e32 v4, 0
	v_mov_b32_e32 v3, 0
	v_mov_b32_e32 v5, 0
	s_and_b64 s[2:3], s[0:1], vcc
	s_barrier
	s_and_saveexec_b64 s[0:1], s[2:3]
	s_cbranch_execz .LBB141_3
; %bb.2:
	flat_load_dwordx2 v[4:5], v[11:12]
.LBB141_3:
	s_or_b64 exec, exec, s[0:1]
	v_add_u32_e32 v6, 16, v10
	v_cmp_gt_i32_e64 s[0:1], s34, v6
	s_and_b64 s[2:3], s[0:1], vcc
	s_waitcnt vmcnt(0) lgkmcnt(0)
	s_barrier
	s_and_saveexec_b64 s[0:1], s[2:3]
	s_cbranch_execz .LBB141_5
; %bb.4:
	flat_load_dwordx2 v[2:3], v[11:12] offset:128
.LBB141_5:
	s_or_b64 exec, exec, s[0:1]
	v_add_u32_e32 v6, 32, v10
	v_cmp_gt_i32_e64 s[0:1], s34, v6
	v_mov_b32_e32 v6, 0
	v_mov_b32_e32 v8, 0
	;; [unrolled: 1-line block ×4, first 2 shown]
	s_and_b64 s[2:3], s[0:1], vcc
	s_waitcnt vmcnt(0) lgkmcnt(0)
	s_barrier
	s_and_saveexec_b64 s[0:1], s[2:3]
	s_cbranch_execz .LBB141_7
; %bb.6:
	flat_load_dwordx2 v[8:9], v[11:12] offset:256
.LBB141_7:
	s_or_b64 exec, exec, s[0:1]
	v_add_u32_e32 v10, 48, v10
	v_cmp_gt_i32_e64 s[0:1], s34, v10
	s_and_b64 s[2:3], s[0:1], vcc
	s_waitcnt vmcnt(0) lgkmcnt(0)
	s_barrier
	s_and_saveexec_b64 s[0:1], s[2:3]
	s_cbranch_execz .LBB141_9
; %bb.8:
	flat_load_dwordx2 v[6:7], v[11:12] offset:384
.LBB141_9:
	s_or_b64 exec, exec, s[0:1]
	s_branch .LBB141_11
.LBB141_10:
                                        ; implicit-def: $vgpr6_vgpr7
                                        ; implicit-def: $vgpr8_vgpr9
                                        ; implicit-def: $vgpr2_vgpr3
                                        ; implicit-def: $vgpr4_vgpr5
.LBB141_11:
	s_ashr_i32 s35, s34, 31
	s_lshr_b32 s0, s35, 26
	s_add_i32 s0, s34, s0
	s_andn2_b32 s0, s0, 63
	s_sub_i32 s90, s34, s0
	s_add_i32 s0, s34, -1
	s_ashr_i32 s1, s0, 31
	s_lshr_b32 s1, s1, 26
	s_add_i32 s0, s0, s1
	s_ashr_i32 s0, s0, 6
	s_cmp_eq_u32 s0, s33
	s_cselect_b64 s[0:1], -1, 0
	s_cmp_lg_u32 s90, 0
	s_cselect_b64 s[2:3], -1, 0
	s_and_b64 s[26:27], s[2:3], s[0:1]
	s_cmp_lt_i32 s6, 5
	s_cselect_b64 s[2:3], -1, 0
	s_mov_b64 s[12:13], -1
	s_or_b64 s[0:1], s[2:3], s[26:27]
	v_lshlrev_b32_e32 v14, 6, v0
	s_and_b64 vcc, exec, s[26:27]
	v_cmp_le_u32_e64 s[8:9], v0, v1
	s_cbranch_vccnz .LBB141_33
; %bb.12:
	s_add_u32 s10, s36, 1
	s_addc_u32 s11, s37, 0
	s_lshl_b32 s12, s33, 6
	s_ashr_i32 s13, s12, 31
	s_mul_hi_u32 s14, s10, s12
	s_mul_i32 s13, s10, s13
	s_add_i32 s13, s14, s13
	s_mul_i32 s11, s11, s12
	s_add_i32 s11, s13, s11
	s_mul_i32 s10, s10, s12
	s_lshl_b64 s[10:11], s[10:11], 3
	s_add_u32 s10, s91, s10
	s_addc_u32 s11, s38, s11
	v_lshlrev_b32_e32 v10, 3, v0
	v_mov_b32_e32 v11, s11
	v_add_co_u32_e32 v10, vcc, s10, v10
	v_addc_co_u32_e32 v11, vcc, 0, v11, vcc
	s_mov_b64 s[10:11], 0
	s_and_saveexec_b64 s[12:13], s[8:9]
	s_xor_b64 s[8:9], exec, s[12:13]
; %bb.13:
	v_or_b32_e32 v12, v1, v0
	v_cmp_gt_u32_e32 vcc, 64, v12
	s_and_b64 s[10:11], vcc, exec
; %bb.14:
	s_or_saveexec_b64 s[8:9], s[8:9]
	v_mov_b32_e32 v12, 0
	v_mov_b32_e32 v13, 0
	s_xor_b64 exec, exec, s[8:9]
	s_cbranch_execz .LBB141_16
; %bb.15:
	v_mad_u64_u32 v[12:13], s[12:13], s36, v1, 0
	s_or_b64 s[10:11], s[10:11], exec
	v_mad_u64_u32 v[15:16], s[12:13], s37, v1, v[13:14]
	v_mov_b32_e32 v13, v15
	v_lshlrev_b64 v[12:13], 3, v[12:13]
	v_add_co_u32_e32 v12, vcc, v10, v12
	v_addc_co_u32_e32 v13, vcc, v11, v13, vcc
	flat_load_dwordx2 v[12:13], v[12:13]
	s_waitcnt vmcnt(0) lgkmcnt(0)
	v_xor_b32_e32 v13, 0x80000000, v13
.LBB141_16:
	s_or_b64 exec, exec, s[8:9]
	s_and_saveexec_b64 s[8:9], s[10:11]
; %bb.17:
	v_add_u32_e32 v15, v1, v14
	v_lshl_add_u32 v16, v1, 6, v0
	v_cndmask_b32_e64 v15, v16, v15, s[2:3]
	v_lshlrev_b32_e32 v15, 3, v15
	ds_write_b64 v15, v[12:13]
; %bb.18:
	s_or_b64 exec, exec, s[8:9]
	v_add_u32_e32 v15, 16, v1
	v_cmp_le_u32_e32 vcc, v0, v15
	s_mov_b64 s[2:3], 0
	s_and_saveexec_b64 s[8:9], vcc
	s_xor_b64 s[8:9], exec, s[8:9]
; %bb.19:
	v_or_b32_e32 v12, v15, v0
	v_cmp_gt_u32_e32 vcc, 64, v12
	s_and_b64 s[2:3], vcc, exec
; %bb.20:
	s_or_saveexec_b64 s[8:9], s[8:9]
	v_mov_b32_e32 v12, 0
	v_mov_b32_e32 v13, 0
	s_xor_b64 exec, exec, s[8:9]
	s_cbranch_execz .LBB141_22
; %bb.21:
	v_mad_u64_u32 v[12:13], s[10:11], s36, v15, 0
	s_or_b64 s[2:3], s[2:3], exec
	v_mad_u64_u32 v[16:17], s[10:11], s37, v15, v[13:14]
	v_mov_b32_e32 v13, v16
	v_lshlrev_b64 v[12:13], 3, v[12:13]
	v_add_co_u32_e32 v12, vcc, v10, v12
	v_addc_co_u32_e32 v13, vcc, v11, v13, vcc
	flat_load_dwordx2 v[12:13], v[12:13]
	s_waitcnt vmcnt(0) lgkmcnt(0)
	v_xor_b32_e32 v13, 0x80000000, v13
.LBB141_22:
	s_or_b64 exec, exec, s[8:9]
	s_and_saveexec_b64 s[8:9], s[2:3]
; %bb.23:
	v_add_u32_e32 v16, v15, v14
	v_lshl_add_u32 v15, v15, 6, v0
	v_cndmask_b32_e64 v15, v15, v16, s[0:1]
	v_lshlrev_b32_e32 v15, 3, v15
	ds_write_b64 v15, v[12:13]
; %bb.24:
	s_or_b64 exec, exec, s[8:9]
	v_add_u32_e32 v15, 32, v1
	v_cmp_le_u32_e32 vcc, v0, v15
	s_mov_b64 s[2:3], 0
	s_and_saveexec_b64 s[8:9], vcc
	s_xor_b64 s[8:9], exec, s[8:9]
; %bb.25:
	v_or_b32_e32 v12, v15, v0
	v_cmp_gt_u32_e32 vcc, 64, v12
	s_and_b64 s[2:3], vcc, exec
; %bb.26:
	s_or_saveexec_b64 s[8:9], s[8:9]
	v_mov_b32_e32 v12, 0
	v_mov_b32_e32 v13, 0
	s_xor_b64 exec, exec, s[8:9]
	s_cbranch_execz .LBB141_28
; %bb.27:
	v_mad_u64_u32 v[12:13], s[10:11], s36, v15, 0
	s_or_b64 s[2:3], s[2:3], exec
	v_mad_u64_u32 v[16:17], s[10:11], s37, v15, v[13:14]
	v_mov_b32_e32 v13, v16
	v_lshlrev_b64 v[12:13], 3, v[12:13]
	v_add_co_u32_e32 v12, vcc, v10, v12
	v_addc_co_u32_e32 v13, vcc, v11, v13, vcc
	flat_load_dwordx2 v[12:13], v[12:13]
	s_waitcnt vmcnt(0) lgkmcnt(0)
	v_xor_b32_e32 v13, 0x80000000, v13
.LBB141_28:
	s_or_b64 exec, exec, s[8:9]
	s_and_saveexec_b64 s[8:9], s[2:3]
; %bb.29:
	v_add_u32_e32 v16, v15, v14
	v_lshl_add_u32 v15, v15, 6, v0
	v_cndmask_b32_e64 v15, v15, v16, s[0:1]
	v_lshlrev_b32_e32 v15, 3, v15
	ds_write_b64 v15, v[12:13]
; %bb.30:
	s_or_b64 exec, exec, s[8:9]
	v_add_u32_e32 v15, 48, v1
	v_add_u32_e32 v12, v15, v14
	v_lshl_add_u32 v13, v15, 6, v0
	v_cmp_le_u32_e32 vcc, v0, v15
	s_mov_b64 s[2:3], -1
	s_mov_b64 s[12:13], 0
	s_mov_b64 s[10:11], 0
	s_and_saveexec_b64 s[8:9], vcc
	s_xor_b64 s[8:9], exec, s[8:9]
; %bb.31:
	v_or_b32_e32 v16, v15, v0
	v_cmp_gt_u32_e32 vcc, 64, v16
	s_and_b64 s[10:11], vcc, exec
	s_xor_b64 s[2:3], exec, -1
; %bb.32:
	s_or_b64 exec, exec, s[8:9]
	v_cndmask_b32_e64 v16, v13, v12, s[0:1]
	s_and_b64 vcc, exec, s[12:13]
	s_cbranch_vccnz .LBB141_34
	s_branch .LBB141_55
.LBB141_33:
	s_mov_b64 s[2:3], 0
	s_mov_b64 s[10:11], 0
                                        ; implicit-def: $vgpr16
                                        ; implicit-def: $vgpr10_vgpr11
                                        ; implicit-def: $vgpr15
	s_and_b64 vcc, exec, s[12:13]
	s_cbranch_vccz .LBB141_55
.LBB141_34:
	s_add_u32 s2, s36, 1
	s_addc_u32 s3, s37, 0
	s_lshl_b32 s8, s33, 6
	s_ashr_i32 s9, s8, 31
	s_mul_hi_u32 s12, s2, s8
	s_mul_i32 s9, s2, s9
	s_add_i32 s9, s12, s9
	s_mul_i32 s3, s3, s8
	s_add_i32 s3, s9, s3
	s_mul_i32 s2, s2, s8
	s_lshl_b64 s[2:3], s[2:3], 3
	s_add_u32 s2, s91, s2
	s_addc_u32 s3, s38, s3
	v_lshlrev_b32_e32 v10, 3, v0
	v_mov_b32_e32 v11, s3
	v_add_co_u32_e64 v10, s[2:3], s2, v10
	v_addc_co_u32_e64 v11, s[2:3], 0, v11, s[2:3]
	v_max_i32_e32 v12, v1, v0
	v_cmp_le_u32_e64 s[2:3], v0, v1
	v_cmp_le_i32_e64 s[8:9], s90, v12
	v_cmp_gt_i32_e32 vcc, s90, v0
	s_or_b64 s[2:3], s[8:9], s[2:3]
	s_mov_b64 s[8:9], 0
	s_and_saveexec_b64 s[12:13], s[2:3]
	s_xor_b64 s[12:13], exec, s[12:13]
; %bb.35:
	v_or_b32_e32 v12, v1, v0
	v_cmp_gt_u32_e64 s[2:3], 64, v12
	s_and_b64 s[8:9], s[2:3], exec
; %bb.36:
	s_or_saveexec_b64 s[12:13], s[12:13]
	v_mov_b32_e32 v12, 0
	v_mov_b32_e32 v13, 0
	s_xor_b64 exec, exec, s[12:13]
	s_cbranch_execz .LBB141_38
; %bb.37:
	v_mad_u64_u32 v[12:13], s[2:3], s36, v1, 0
	s_or_b64 s[8:9], s[8:9], exec
	v_mad_u64_u32 v[15:16], s[2:3], s37, v1, v[13:14]
	v_mov_b32_e32 v13, v15
	v_lshlrev_b64 v[12:13], 3, v[12:13]
	v_add_co_u32_e64 v12, s[2:3], v10, v12
	v_addc_co_u32_e64 v13, s[2:3], v11, v13, s[2:3]
	flat_load_dwordx2 v[12:13], v[12:13]
	s_waitcnt vmcnt(0) lgkmcnt(0)
	v_xor_b32_e32 v13, 0x80000000, v13
.LBB141_38:
	s_or_b64 exec, exec, s[12:13]
	s_and_saveexec_b64 s[2:3], s[8:9]
; %bb.39:
	v_lshlrev_b32_e32 v15, 3, v14
	v_lshl_add_u32 v15, v1, 3, v15
	ds_write_b64 v15, v[12:13]
; %bb.40:
	s_or_b64 exec, exec, s[2:3]
	v_add_u32_e32 v15, 16, v1
	v_cmp_gt_u32_e64 s[2:3], v0, v15
	v_cmp_gt_i32_e64 s[8:9], s90, v15
	s_and_b64 s[2:3], s[2:3], s[8:9]
	s_and_b64 s[2:3], s[2:3], vcc
	s_xor_b64 s[2:3], s[2:3], -1
	s_mov_b64 s[8:9], 0
	s_and_saveexec_b64 s[12:13], s[2:3]
	s_xor_b64 s[12:13], exec, s[12:13]
; %bb.41:
	v_or_b32_e32 v12, v15, v0
	v_cmp_gt_u32_e64 s[2:3], 64, v12
	s_and_b64 s[8:9], s[2:3], exec
; %bb.42:
	s_or_saveexec_b64 s[12:13], s[12:13]
	v_mov_b32_e32 v12, 0
	v_mov_b32_e32 v13, 0
	s_xor_b64 exec, exec, s[12:13]
	s_cbranch_execz .LBB141_44
; %bb.43:
	v_mad_u64_u32 v[12:13], s[2:3], s36, v15, 0
	s_or_b64 s[8:9], s[8:9], exec
	v_mad_u64_u32 v[16:17], s[2:3], s37, v15, v[13:14]
	v_mov_b32_e32 v13, v16
	v_lshlrev_b64 v[12:13], 3, v[12:13]
	v_add_co_u32_e64 v12, s[2:3], v10, v12
	v_addc_co_u32_e64 v13, s[2:3], v11, v13, s[2:3]
	flat_load_dwordx2 v[12:13], v[12:13]
	s_waitcnt vmcnt(0) lgkmcnt(0)
	v_xor_b32_e32 v13, 0x80000000, v13
.LBB141_44:
	s_or_b64 exec, exec, s[12:13]
	s_and_saveexec_b64 s[2:3], s[8:9]
; %bb.45:
	v_add_u32_e32 v16, v15, v14
	v_lshl_add_u32 v15, v15, 6, v0
	v_cndmask_b32_e64 v15, v15, v16, s[0:1]
	v_lshlrev_b32_e32 v15, 3, v15
	ds_write_b64 v15, v[12:13]
; %bb.46:
	s_or_b64 exec, exec, s[2:3]
	v_add_u32_e32 v15, 32, v1
	v_cmp_gt_u32_e64 s[2:3], v0, v15
	v_cmp_gt_i32_e64 s[8:9], s90, v15
	s_and_b64 s[2:3], s[2:3], s[8:9]
	s_and_b64 s[2:3], s[2:3], vcc
	s_xor_b64 s[2:3], s[2:3], -1
	s_mov_b64 s[8:9], 0
	s_and_saveexec_b64 s[12:13], s[2:3]
	s_xor_b64 s[12:13], exec, s[12:13]
; %bb.47:
	v_or_b32_e32 v12, v15, v0
	v_cmp_gt_u32_e64 s[2:3], 64, v12
	s_and_b64 s[8:9], s[2:3], exec
; %bb.48:
	s_or_saveexec_b64 s[12:13], s[12:13]
	v_mov_b32_e32 v12, 0
	v_mov_b32_e32 v13, 0
	s_xor_b64 exec, exec, s[12:13]
	s_cbranch_execz .LBB141_50
; %bb.49:
	v_mad_u64_u32 v[12:13], s[2:3], s36, v15, 0
	s_or_b64 s[8:9], s[8:9], exec
	v_mad_u64_u32 v[16:17], s[2:3], s37, v15, v[13:14]
	v_mov_b32_e32 v13, v16
	v_lshlrev_b64 v[12:13], 3, v[12:13]
	v_add_co_u32_e64 v12, s[2:3], v10, v12
	v_addc_co_u32_e64 v13, s[2:3], v11, v13, s[2:3]
	flat_load_dwordx2 v[12:13], v[12:13]
	s_waitcnt vmcnt(0) lgkmcnt(0)
	v_xor_b32_e32 v13, 0x80000000, v13
.LBB141_50:
	s_or_b64 exec, exec, s[12:13]
	s_and_saveexec_b64 s[2:3], s[8:9]
; %bb.51:
	v_add_u32_e32 v16, v15, v14
	v_lshl_add_u32 v15, v15, 6, v0
	v_cndmask_b32_e64 v15, v15, v16, s[0:1]
	v_lshlrev_b32_e32 v15, 3, v15
	ds_write_b64 v15, v[12:13]
; %bb.52:
	s_or_b64 exec, exec, s[2:3]
	v_add_u32_e32 v15, 48, v1
	v_cmp_gt_u32_e64 s[2:3], v0, v15
	v_cmp_gt_i32_e64 s[8:9], s90, v15
	s_and_b64 s[2:3], s[2:3], s[8:9]
	s_and_b64 s[8:9], s[2:3], vcc
	v_add_u32_e32 v12, v15, v14
	v_lshl_add_u32 v13, v15, 6, v0
	s_mov_b64 s[2:3], -1
	s_xor_b64 s[12:13], s[8:9], -1
	s_and_saveexec_b64 s[8:9], s[12:13]
; %bb.53:
	v_or_b32_e32 v14, v15, v0
	v_cmp_gt_u32_e32 vcc, 64, v14
	s_andn2_b64 s[2:3], s[10:11], exec
	s_and_b64 s[10:11], vcc, exec
	s_or_b64 s[10:11], s[2:3], s[10:11]
	s_xor_b64 s[2:3], exec, -1
; %bb.54:
	s_or_b64 exec, exec, s[8:9]
	v_cndmask_b32_e64 v16, v13, v12, s[0:1]
.LBB141_55:
	v_mov_b32_e32 v12, 0
	v_mov_b32_e32 v13, 0
	s_and_saveexec_b64 s[8:9], s[2:3]
	s_cbranch_execnz .LBB141_1139
; %bb.56:
	s_or_b64 exec, exec, s[8:9]
	s_xor_b64 s[0:1], s[0:1], -1
	s_and_saveexec_b64 s[2:3], s[10:11]
.LBB141_57:
	v_lshlrev_b32_e32 v10, 3, v16
	ds_write_b64 v10, v[12:13]
.LBB141_58:
	s_or_b64 exec, exec, s[2:3]
	v_cndmask_b32_e64 v10, 0, 1, s[0:1]
	v_cmp_ne_u32_e64 s[42:43], 1, v10
	s_andn2_b64 vcc, exec, s[0:1]
	s_waitcnt vmcnt(0) lgkmcnt(0)
	s_barrier
	s_cbranch_vccnz .LBB141_1096
; %bb.59:
	v_or_b32_e32 v10, v0, v1
	v_cmp_eq_u32_e32 vcc, 0, v10
	s_and_saveexec_b64 s[0:1], vcc
	s_cbranch_execz .LBB141_61
; %bb.60:
	v_mov_b32_e32 v12, 0
	ds_read_b64 v[10:11], v12 offset:8
	v_mov_b32_e32 v13, 0x3ff00000
	ds_write_b64 v12, v[12:13]
	s_waitcnt lgkmcnt(1)
	ds_write_b128 v12, v[10:13] offset:512
.LBB141_61:
	s_or_b64 exec, exec, s[0:1]
	v_lshl_add_u32 v14, v1, 6, v0
	v_and_b32_e32 v16, 1, v0
	v_lshrrev_b32_e32 v15, 1, v14
	v_lshlrev_b32_e32 v12, 3, v16
	v_mov_b32_e32 v10, 0
	v_cmp_lt_u32_e64 s[8:9], 3, v14
	v_cmp_gt_u32_e64 s[2:3], 4, v14
	v_mov_b32_e32 v11, 0
	v_lshl_or_b32 v12, v15, 9, v12
	s_waitcnt lgkmcnt(0)
	s_barrier
	s_and_saveexec_b64 s[0:1], s[2:3]
	s_cbranch_execz .LBB141_65
; %bb.62:
	v_mul_u32_u24_e32 v13, 0x208, v15
	ds_read_b64 v[10:11], v12 offset:16
	ds_read_b64 v[17:18], v13
	v_cmp_gt_u32_e64 s[10:11], 2, v14
	s_waitcnt lgkmcnt(0)
	v_fma_f64 v[10:11], v[10:11], v[17:18], 0
	s_and_saveexec_b64 s[12:13], s[10:11]
	s_cbranch_execz .LBB141_64
; %bb.63:
	v_lshlrev_b32_e32 v13, 3, v0
	v_mov_b32_e32 v19, 0
	ds_read_b64 v[17:18], v13 offset:528
	ds_read_b64 v[19:20], v19 offset:8
	s_waitcnt lgkmcnt(0)
	v_fma_f64 v[10:11], v[17:18], v[19:20], v[10:11]
.LBB141_64:
	s_or_b64 exec, exec, s[12:13]
	v_xor_b32_e32 v11, 0x80000000, v11
.LBB141_65:
                                        ; implicit-def: $vgpr40 : SGPR spill to VGPR lane
	v_writelane_b32 v40, s42, 0
	v_writelane_b32 v40, s43, 1
	;; [unrolled: 1-line block ×4, first 2 shown]
	s_or_b64 exec, exec, s[0:1]
	v_mov_b32_e32 v13, 0x8000
	v_cmp_eq_u32_e64 s[10:11], 0, v16
	s_xor_b64 s[0:1], s[8:9], -1
	v_lshl_add_u32 v13, v15, 3, v13
	s_and_b64 s[42:43], s[10:11], s[0:1]
	s_and_saveexec_b64 s[8:9], s[42:43]
; %bb.66:
	ds_write_b64 v13, v[10:11]
; %bb.67:
	s_or_b64 exec, exec, s[8:9]
	v_cmp_ne_u32_e64 s[8:9], 0, v16
	s_and_b64 s[40:41], s[8:9], s[0:1]
	s_waitcnt lgkmcnt(0)
	s_barrier
	s_and_saveexec_b64 s[0:1], s[40:41]
	s_cbranch_execz .LBB141_69
; %bb.68:
	v_mov_b32_e32 v16, 0
	ds_read_b64 v[16:17], v16 offset:1048
	ds_read_b64 v[18:19], v13
	s_waitcnt lgkmcnt(0)
	v_fma_f64 v[10:11], v[16:17], v[18:19], v[10:11]
.LBB141_69:
	s_or_b64 exec, exec, s[0:1]
	s_barrier
	s_and_saveexec_b64 s[0:1], s[40:41]
; %bb.70:
	ds_write_b64 v13, v[10:11]
; %bb.71:
	s_or_b64 exec, exec, s[0:1]
	s_waitcnt lgkmcnt(0)
	s_barrier
	s_barrier
	s_and_saveexec_b64 s[0:1], s[2:3]
; %bb.72:
	v_xor_b32_e32 v11, 0x80000000, v11
	ds_write_b64 v12, v[10:11] offset:16
; %bb.73:
	s_or_b64 exec, exec, s[0:1]
	v_cmp_eq_u32_e64 s[12:13], 0, v1
	v_cmp_gt_u32_e64 s[8:9], 2, v0
	s_and_b64 s[44:45], s[12:13], s[8:9]
	s_waitcnt lgkmcnt(0)
	s_barrier
	s_barrier
	s_and_saveexec_b64 s[0:1], s[44:45]
	s_cbranch_execz .LBB141_75
; %bb.74:
	v_lshlrev_b32_e32 v16, 3, v0
	s_movk_i32 s8, 0x1f8
	v_mad_u32_u24 v17, v0, s8, v16
	ds_read_b64 v[10:11], v17 offset:16
	s_waitcnt lgkmcnt(0)
	ds_write_b64 v16, v[10:11] offset:1024
	ds_read_b64 v[10:11], v17 offset:24
	s_waitcnt lgkmcnt(0)
	ds_write_b64 v16, v[10:11] offset:1536
.LBB141_75:
	s_or_b64 exec, exec, s[0:1]
	s_waitcnt lgkmcnt(0)
	s_barrier
	s_and_saveexec_b64 s[0:1], vcc
	s_cbranch_execz .LBB141_77
; %bb.76:
	v_mov_b32_e32 v18, 0
	ds_read_b64 v[16:17], v18 offset:1048
	v_mov_b32_e32 v19, 0x3ff00000
	ds_write_b64 v18, v[18:19] offset:1040
	s_waitcnt lgkmcnt(1)
	ds_write_b128 v18, v[16:19] offset:1552
.LBB141_77:
	s_or_b64 exec, exec, s[0:1]
	v_and_b32_e32 v19, 3, v0
	v_lshrrev_b32_e32 v20, 2, v14
	v_lshlrev_b32_e32 v17, 3, v19
	v_mov_b32_e32 v10, 0
	v_cmp_lt_u32_e64 s[8:9], 15, v14
	v_cmp_gt_u32_e64 s[18:19], 16, v14
	v_mov_b32_e32 v11, 0
	v_lshl_or_b32 v16, v20, 9, v17
	s_waitcnt lgkmcnt(0)
	s_barrier
	s_and_saveexec_b64 s[0:1], s[18:19]
	s_cbranch_execz .LBB141_83
; %bb.78:
	v_mul_u32_u24_e32 v18, 0x208, v20
	ds_read_b64 v[10:11], v16 offset:32
	ds_read_b64 v[21:22], v18
	v_cmp_gt_u32_e64 s[10:11], 12, v14
	s_waitcnt lgkmcnt(0)
	v_fma_f64 v[10:11], v[10:11], v[21:22], 0
	s_and_saveexec_b64 s[14:15], s[10:11]
	s_cbranch_execnz .LBB141_1170
; %bb.79:
	s_or_b64 exec, exec, s[14:15]
	v_cmp_gt_u32_e64 s[10:11], 8, v14
	s_and_saveexec_b64 s[14:15], s[10:11]
	s_cbranch_execnz .LBB141_1171
.LBB141_80:
	s_or_b64 exec, exec, s[14:15]
	v_cmp_gt_u32_e64 s[10:11], 4, v14
	s_and_saveexec_b64 s[14:15], s[10:11]
	s_cbranch_execz .LBB141_82
.LBB141_81:
	v_lshlrev_b32_e32 v18, 3, v0
	v_mov_b32_e32 v23, 0
	ds_read_b64 v[21:22], v18 offset:1568
	ds_read_b64 v[23:24], v23 offset:24
	s_waitcnt lgkmcnt(0)
	v_fma_f64 v[10:11], v[21:22], v[23:24], v[10:11]
.LBB141_82:
	s_or_b64 exec, exec, s[14:15]
	v_xor_b32_e32 v11, 0x80000000, v11
.LBB141_83:
	s_or_b64 exec, exec, s[0:1]
	v_mov_b32_e32 v18, 0x8000
	v_cmp_eq_u32_e64 s[10:11], 0, v19
	s_xor_b64 s[0:1], s[8:9], -1
	v_lshl_add_u32 v18, v20, 3, v18
	s_and_b64 s[48:49], s[10:11], s[0:1]
	s_and_saveexec_b64 s[8:9], s[48:49]
; %bb.84:
	ds_write_b64 v18, v[10:11]
; %bb.85:
	s_or_b64 exec, exec, s[8:9]
	v_cmp_ne_u32_e64 s[8:9], 0, v19
	s_and_b64 s[50:51], s[8:9], s[0:1]
	s_waitcnt lgkmcnt(0)
	s_barrier
	s_and_saveexec_b64 s[8:9], s[50:51]
	s_cbranch_execz .LBB141_87
; %bb.86:
	ds_read_b64 v[21:22], v17 offset:2080
	ds_read_b64 v[23:24], v18
	s_waitcnt lgkmcnt(0)
	v_fma_f64 v[10:11], v[21:22], v[23:24], v[10:11]
.LBB141_87:
	s_or_b64 exec, exec, s[8:9]
	v_cmp_eq_u32_e64 s[8:9], 1, v19
	s_and_b64 s[52:53], s[8:9], s[0:1]
	s_barrier
	s_and_saveexec_b64 s[8:9], s[52:53]
; %bb.88:
	ds_write_b64 v18, v[10:11]
; %bb.89:
	s_or_b64 exec, exec, s[8:9]
	v_cmp_lt_u32_e64 s[8:9], 1, v19
	s_and_b64 s[54:55], s[8:9], s[0:1]
	s_waitcnt lgkmcnt(0)
	s_barrier
	s_and_saveexec_b64 s[8:9], s[54:55]
	s_cbranch_execz .LBB141_91
; %bb.90:
	ds_read_b64 v[21:22], v17 offset:2592
	ds_read_b64 v[23:24], v18
	s_waitcnt lgkmcnt(0)
	v_fma_f64 v[10:11], v[21:22], v[23:24], v[10:11]
.LBB141_91:
	s_or_b64 exec, exec, s[8:9]
	v_cmp_eq_u32_e64 s[8:9], 2, v19
	s_and_b64 s[56:57], s[8:9], s[0:1]
	s_barrier
	s_and_saveexec_b64 s[8:9], s[56:57]
; %bb.92:
	ds_write_b64 v18, v[10:11]
; %bb.93:
	s_or_b64 exec, exec, s[8:9]
	v_cmp_eq_u32_e64 s[8:9], 3, v19
	s_and_b64 s[46:47], s[8:9], s[0:1]
	s_waitcnt lgkmcnt(0)
	s_barrier
	s_and_saveexec_b64 s[0:1], s[46:47]
	s_cbranch_execz .LBB141_95
; %bb.94:
	v_mov_b32_e32 v21, 0
	ds_read_b64 v[21:22], v21 offset:3128
	ds_read_b64 v[23:24], v18
	s_waitcnt lgkmcnt(0)
	v_fma_f64 v[10:11], v[21:22], v[23:24], v[10:11]
.LBB141_95:
	s_or_b64 exec, exec, s[0:1]
	s_barrier
	s_and_saveexec_b64 s[0:1], s[46:47]
; %bb.96:
	ds_write_b64 v18, v[10:11]
; %bb.97:
	s_or_b64 exec, exec, s[0:1]
	s_waitcnt lgkmcnt(0)
	s_barrier
	s_barrier
	s_and_saveexec_b64 s[0:1], s[18:19]
; %bb.98:
	v_xor_b32_e32 v11, 0x80000000, v11
	ds_write_b64 v16, v[10:11] offset:32
; %bb.99:
	s_or_b64 exec, exec, s[0:1]
	v_cmp_gt_u32_e64 s[8:9], 4, v0
	s_and_b64 s[58:59], s[12:13], s[8:9]
	s_waitcnt lgkmcnt(0)
	s_barrier
	s_barrier
	s_and_saveexec_b64 s[0:1], s[58:59]
	s_cbranch_execz .LBB141_101
; %bb.100:
	v_lshlrev_b32_e32 v21, 9, v0
	ds_read_b64 v[10:11], v21 offset:32
	s_movk_i32 s8, 0xfe08
	v_mad_i32_i24 v22, v0, s8, v21
	s_waitcnt lgkmcnt(0)
	ds_write_b64 v22, v[10:11] offset:2048
	ds_read_b64 v[10:11], v21 offset:40
	s_waitcnt lgkmcnt(0)
	ds_write_b64 v22, v[10:11] offset:2560
	ds_read_b64 v[10:11], v21 offset:48
	;; [unrolled: 3-line block ×3, first 2 shown]
	s_waitcnt lgkmcnt(0)
	ds_write_b64 v22, v[10:11] offset:3584
.LBB141_101:
	s_or_b64 exec, exec, s[0:1]
	s_waitcnt lgkmcnt(0)
	s_barrier
	s_and_saveexec_b64 s[0:1], vcc
	s_cbranch_execz .LBB141_103
; %bb.102:
	v_mov_b32_e32 v23, 0
	ds_read_b64 v[21:22], v23 offset:2088
	v_mov_b32_e32 v24, 0x3ff00000
	ds_write_b64 v23, v[23:24] offset:2080
	s_waitcnt lgkmcnt(1)
	ds_write_b128 v23, v[21:24] offset:2592
.LBB141_103:
	s_or_b64 exec, exec, s[0:1]
	v_mov_b32_e32 v10, 0
	v_mov_b32_e32 v11, 0
	s_waitcnt lgkmcnt(0)
	s_barrier
	s_and_saveexec_b64 s[0:1], s[2:3]
	s_cbranch_execz .LBB141_107
; %bb.104:
	v_mul_u32_u24_e32 v21, 0x208, v15
	ds_read_b64 v[10:11], v12 offset:2096
	ds_read_b64 v[21:22], v21 offset:2080
	v_cmp_gt_u32_e64 s[8:9], 2, v14
	s_waitcnt lgkmcnt(0)
	v_fma_f64 v[10:11], v[10:11], v[21:22], 0
	s_and_saveexec_b64 s[10:11], s[8:9]
	s_cbranch_execz .LBB141_106
; %bb.105:
	v_lshlrev_b32_e32 v21, 3, v0
	v_mov_b32_e32 v23, 0
	ds_read_b64 v[21:22], v21 offset:2608
	ds_read_b64 v[23:24], v23 offset:2088
	s_waitcnt lgkmcnt(0)
	v_fma_f64 v[10:11], v[21:22], v[23:24], v[10:11]
.LBB141_106:
	s_or_b64 exec, exec, s[10:11]
	v_xor_b32_e32 v11, 0x80000000, v11
.LBB141_107:
	s_or_b64 exec, exec, s[0:1]
	s_and_saveexec_b64 s[0:1], s[42:43]
; %bb.108:
	ds_write_b64 v13, v[10:11]
; %bb.109:
	s_or_b64 exec, exec, s[0:1]
	s_waitcnt lgkmcnt(0)
	s_barrier
	s_and_saveexec_b64 s[0:1], s[40:41]
	s_cbranch_execz .LBB141_111
; %bb.110:
	v_mov_b32_e32 v21, 0
	ds_read_b64 v[21:22], v21 offset:3128
	ds_read_b64 v[23:24], v13
	s_waitcnt lgkmcnt(0)
	v_fma_f64 v[10:11], v[21:22], v[23:24], v[10:11]
.LBB141_111:
	s_or_b64 exec, exec, s[0:1]
	s_barrier
	s_and_saveexec_b64 s[0:1], s[40:41]
; %bb.112:
	ds_write_b64 v13, v[10:11]
; %bb.113:
	s_or_b64 exec, exec, s[0:1]
	s_waitcnt lgkmcnt(0)
	s_barrier
	s_barrier
	s_and_saveexec_b64 s[0:1], s[2:3]
; %bb.114:
	v_xor_b32_e32 v11, 0x80000000, v11
	ds_write_b64 v12, v[10:11] offset:2096
; %bb.115:
	s_or_b64 exec, exec, s[0:1]
	s_waitcnt lgkmcnt(0)
	s_barrier
	s_barrier
	s_and_saveexec_b64 s[0:1], s[44:45]
	s_cbranch_execz .LBB141_117
; %bb.116:
	v_lshlrev_b32_e32 v21, 3, v0
	s_movk_i32 s8, 0x1f8
	v_mad_u32_u24 v22, v0, s8, v21
	ds_read_b64 v[10:11], v22 offset:2096
	s_waitcnt lgkmcnt(0)
	ds_write_b64 v21, v[10:11] offset:3104
	ds_read_b64 v[10:11], v22 offset:2104
	s_waitcnt lgkmcnt(0)
	ds_write_b64 v21, v[10:11] offset:3616
.LBB141_117:
	s_or_b64 exec, exec, s[0:1]
	s_waitcnt lgkmcnt(0)
	s_barrier
	s_and_saveexec_b64 s[0:1], vcc
	s_cbranch_execz .LBB141_119
; %bb.118:
	v_mov_b32_e32 v23, 0
	ds_read_b64 v[21:22], v23 offset:3128
	v_mov_b32_e32 v24, 0x3ff00000
	ds_write_b64 v23, v[23:24] offset:3120
	s_waitcnt lgkmcnt(1)
	ds_write_b128 v23, v[21:24] offset:3632
.LBB141_119:
	s_or_b64 exec, exec, s[0:1]
	v_and_b32_e32 v24, 7, v0
	v_lshrrev_b32_e32 v25, 3, v14
	v_lshlrev_b32_e32 v22, 3, v24
	v_mov_b32_e32 v10, 0
	v_cmp_lt_u32_e64 s[10:11], 63, v14
	v_cmp_gt_u32_e64 s[8:9], 64, v14
	v_mov_b32_e32 v11, 0
	v_lshl_or_b32 v21, v25, 9, v22
	s_waitcnt lgkmcnt(0)
	s_barrier
	s_and_saveexec_b64 s[0:1], s[8:9]
	s_cbranch_execz .LBB141_129
; %bb.120:
	v_mul_u32_u24_e32 v23, 0x208, v25
	ds_read_b64 v[10:11], v21 offset:64
	ds_read_b64 v[26:27], v23
	v_cmp_gt_u32_e64 s[14:15], 56, v14
	s_waitcnt lgkmcnt(0)
	v_fma_f64 v[10:11], v[10:11], v[26:27], 0
	s_and_saveexec_b64 s[16:17], s[14:15]
	s_cbranch_execnz .LBB141_1172
; %bb.121:
	s_or_b64 exec, exec, s[16:17]
	v_cmp_gt_u32_e64 s[14:15], 48, v14
	s_and_saveexec_b64 s[16:17], s[14:15]
	s_cbranch_execnz .LBB141_1173
.LBB141_122:
	s_or_b64 exec, exec, s[16:17]
	v_cmp_gt_u32_e64 s[14:15], 40, v14
	s_and_saveexec_b64 s[16:17], s[14:15]
	s_cbranch_execnz .LBB141_1174
.LBB141_123:
	s_or_b64 exec, exec, s[16:17]
	v_cmp_gt_u32_e64 s[14:15], 32, v14
	s_and_saveexec_b64 s[16:17], s[14:15]
	s_cbranch_execnz .LBB141_1175
.LBB141_124:
	s_or_b64 exec, exec, s[16:17]
	v_cmp_gt_u32_e64 s[14:15], 24, v14
	s_and_saveexec_b64 s[16:17], s[14:15]
	s_cbranch_execnz .LBB141_1176
.LBB141_125:
	s_or_b64 exec, exec, s[16:17]
	v_cmp_gt_u32_e64 s[14:15], 16, v14
	s_and_saveexec_b64 s[16:17], s[14:15]
	s_cbranch_execnz .LBB141_1177
.LBB141_126:
	s_or_b64 exec, exec, s[16:17]
	v_cmp_gt_u32_e64 s[14:15], 8, v14
	s_and_saveexec_b64 s[16:17], s[14:15]
	s_cbranch_execz .LBB141_128
.LBB141_127:
	v_lshlrev_b32_e32 v23, 3, v0
	v_mov_b32_e32 v28, 0
	ds_read_b64 v[26:27], v23 offset:3648
	ds_read_b64 v[28:29], v28 offset:56
	s_waitcnt lgkmcnt(0)
	v_fma_f64 v[10:11], v[26:27], v[28:29], v[10:11]
.LBB141_128:
	s_or_b64 exec, exec, s[16:17]
	v_xor_b32_e32 v11, 0x80000000, v11
.LBB141_129:
	s_or_b64 exec, exec, s[0:1]
	v_mov_b32_e32 v23, 0x8000
	v_cmp_eq_u32_e64 s[14:15], 0, v24
	s_xor_b64 s[0:1], s[10:11], -1
	v_lshl_add_u32 v23, v25, 3, v23
	s_and_b64 s[60:61], s[14:15], s[0:1]
	s_and_saveexec_b64 s[10:11], s[60:61]
; %bb.130:
	ds_write_b64 v23, v[10:11]
; %bb.131:
	s_or_b64 exec, exec, s[10:11]
	v_cmp_ne_u32_e64 s[10:11], 0, v24
	s_and_b64 s[62:63], s[10:11], s[0:1]
	s_waitcnt lgkmcnt(0)
	s_barrier
	s_and_saveexec_b64 s[10:11], s[62:63]
	s_cbranch_execz .LBB141_133
; %bb.132:
	ds_read_b64 v[26:27], v22 offset:4160
	ds_read_b64 v[28:29], v23
	s_waitcnt lgkmcnt(0)
	v_fma_f64 v[10:11], v[26:27], v[28:29], v[10:11]
.LBB141_133:
	s_or_b64 exec, exec, s[10:11]
	v_cmp_eq_u32_e64 s[10:11], 1, v24
	s_and_b64 s[64:65], s[10:11], s[0:1]
	s_barrier
	s_and_saveexec_b64 s[10:11], s[64:65]
; %bb.134:
	ds_write_b64 v23, v[10:11]
; %bb.135:
	s_or_b64 exec, exec, s[10:11]
	v_cmp_lt_u32_e64 s[10:11], 1, v24
	s_and_b64 s[66:67], s[10:11], s[0:1]
	s_waitcnt lgkmcnt(0)
	s_barrier
	s_and_saveexec_b64 s[10:11], s[66:67]
	s_cbranch_execz .LBB141_137
; %bb.136:
	ds_read_b64 v[26:27], v22 offset:4672
	ds_read_b64 v[28:29], v23
	s_waitcnt lgkmcnt(0)
	v_fma_f64 v[10:11], v[26:27], v[28:29], v[10:11]
.LBB141_137:
	s_or_b64 exec, exec, s[10:11]
	v_cmp_eq_u32_e64 s[10:11], 2, v24
	s_and_b64 s[68:69], s[10:11], s[0:1]
	s_barrier
	s_and_saveexec_b64 s[10:11], s[68:69]
; %bb.138:
	ds_write_b64 v23, v[10:11]
; %bb.139:
	s_or_b64 exec, exec, s[10:11]
	v_cmp_lt_u32_e64 s[10:11], 2, v24
	;; [unrolled: 21-line block ×5, first 2 shown]
	s_and_b64 s[84:85], s[10:11], s[0:1]
	s_waitcnt lgkmcnt(0)
	s_barrier
	s_and_saveexec_b64 s[10:11], s[84:85]
	s_cbranch_execz .LBB141_153
; %bb.152:
	ds_read_b64 v[26:27], v22 offset:6720
	ds_read_b64 v[28:29], v23
	s_waitcnt lgkmcnt(0)
	v_fma_f64 v[10:11], v[26:27], v[28:29], v[10:11]
.LBB141_153:
	s_or_b64 exec, exec, s[10:11]
	v_cmp_eq_u32_e64 s[10:11], 6, v24
	s_and_b64 s[86:87], s[10:11], s[0:1]
	s_barrier
	s_and_saveexec_b64 s[10:11], s[86:87]
; %bb.154:
	ds_write_b64 v23, v[10:11]
; %bb.155:
	s_or_b64 exec, exec, s[10:11]
	v_cmp_eq_u32_e64 s[10:11], 7, v24
	s_and_b64 s[70:71], s[10:11], s[0:1]
	s_waitcnt lgkmcnt(0)
	s_barrier
	s_and_saveexec_b64 s[0:1], s[70:71]
	s_cbranch_execz .LBB141_157
; %bb.156:
	v_mov_b32_e32 v26, 0
	ds_read_b64 v[26:27], v26 offset:7288
	ds_read_b64 v[28:29], v23
	s_waitcnt lgkmcnt(0)
	v_fma_f64 v[10:11], v[26:27], v[28:29], v[10:11]
.LBB141_157:
	s_or_b64 exec, exec, s[0:1]
	s_barrier
	s_and_saveexec_b64 s[0:1], s[70:71]
; %bb.158:
	ds_write_b64 v23, v[10:11]
; %bb.159:
	s_or_b64 exec, exec, s[0:1]
	s_waitcnt lgkmcnt(0)
	s_barrier
	s_barrier
	s_and_saveexec_b64 s[0:1], s[8:9]
; %bb.160:
	v_xor_b32_e32 v11, 0x80000000, v11
	ds_write_b64 v21, v[10:11] offset:64
; %bb.161:
	s_or_b64 exec, exec, s[0:1]
	v_cmp_gt_u32_e64 s[10:11], 8, v0
	s_and_b64 s[88:89], s[12:13], s[10:11]
	s_waitcnt lgkmcnt(0)
	s_barrier
	s_barrier
	s_and_saveexec_b64 s[0:1], s[88:89]
	s_cbranch_execz .LBB141_163
; %bb.162:
	v_lshlrev_b32_e32 v26, 9, v0
	ds_read_b64 v[10:11], v26 offset:64
	s_movk_i32 s10, 0xfe08
	v_mad_i32_i24 v27, v0, s10, v26
	s_waitcnt lgkmcnt(0)
	ds_write_b64 v27, v[10:11] offset:4096
	ds_read_b64 v[10:11], v26 offset:72
	s_waitcnt lgkmcnt(0)
	ds_write_b64 v27, v[10:11] offset:4608
	ds_read_b64 v[10:11], v26 offset:80
	s_waitcnt lgkmcnt(0)
	ds_write_b64 v27, v[10:11] offset:5120
	ds_read_b64 v[10:11], v26 offset:88
	s_waitcnt lgkmcnt(0)
	ds_write_b64 v27, v[10:11] offset:5632
	ds_read_b64 v[10:11], v26 offset:96
	s_waitcnt lgkmcnt(0)
	ds_write_b64 v27, v[10:11] offset:6144
	ds_read_b64 v[10:11], v26 offset:104
	s_waitcnt lgkmcnt(0)
	ds_write_b64 v27, v[10:11] offset:6656
	ds_read_b64 v[10:11], v26 offset:112
	s_waitcnt lgkmcnt(0)
	ds_write_b64 v27, v[10:11] offset:7168
	ds_read_b64 v[10:11], v26 offset:120
	s_waitcnt lgkmcnt(0)
	ds_write_b64 v27, v[10:11] offset:7680
.LBB141_163:
	s_or_b64 exec, exec, s[0:1]
	s_waitcnt lgkmcnt(0)
	s_barrier
	s_and_saveexec_b64 s[0:1], vcc
	s_cbranch_execz .LBB141_165
; %bb.164:
	v_mov_b32_e32 v28, 0
	ds_read_b64 v[26:27], v28 offset:4168
	v_mov_b32_e32 v29, 0x3ff00000
	ds_write_b64 v28, v[28:29] offset:4160
	s_waitcnt lgkmcnt(1)
	ds_write_b128 v28, v[26:29] offset:4672
.LBB141_165:
	s_or_b64 exec, exec, s[0:1]
	v_mov_b32_e32 v10, 0
	v_mov_b32_e32 v11, 0
	s_waitcnt lgkmcnt(0)
	s_barrier
	s_and_saveexec_b64 s[0:1], s[2:3]
	s_cbranch_execz .LBB141_169
; %bb.166:
	v_mul_u32_u24_e32 v26, 0x208, v15
	ds_read_b64 v[10:11], v12 offset:4176
	ds_read_b64 v[26:27], v26 offset:4160
	v_cmp_gt_u32_e64 s[10:11], 2, v14
	s_waitcnt lgkmcnt(0)
	v_fma_f64 v[10:11], v[10:11], v[26:27], 0
	s_and_saveexec_b64 s[14:15], s[10:11]
	s_cbranch_execz .LBB141_168
; %bb.167:
	v_lshlrev_b32_e32 v26, 3, v0
	v_mov_b32_e32 v28, 0
	ds_read_b64 v[26:27], v26 offset:4688
	ds_read_b64 v[28:29], v28 offset:4168
	s_waitcnt lgkmcnt(0)
	v_fma_f64 v[10:11], v[26:27], v[28:29], v[10:11]
.LBB141_168:
	s_or_b64 exec, exec, s[14:15]
	v_xor_b32_e32 v11, 0x80000000, v11
.LBB141_169:
	s_or_b64 exec, exec, s[0:1]
	s_and_saveexec_b64 s[0:1], s[42:43]
; %bb.170:
	ds_write_b64 v13, v[10:11]
; %bb.171:
	s_or_b64 exec, exec, s[0:1]
	s_waitcnt lgkmcnt(0)
	s_barrier
	s_and_saveexec_b64 s[0:1], s[40:41]
	s_cbranch_execz .LBB141_173
; %bb.172:
	v_mov_b32_e32 v26, 0
	ds_read_b64 v[26:27], v26 offset:5208
	ds_read_b64 v[28:29], v13
	s_waitcnt lgkmcnt(0)
	v_fma_f64 v[10:11], v[26:27], v[28:29], v[10:11]
.LBB141_173:
	s_or_b64 exec, exec, s[0:1]
	s_barrier
	s_and_saveexec_b64 s[0:1], s[40:41]
; %bb.174:
	ds_write_b64 v13, v[10:11]
; %bb.175:
	s_or_b64 exec, exec, s[0:1]
	s_waitcnt lgkmcnt(0)
	s_barrier
	s_barrier
	s_and_saveexec_b64 s[0:1], s[2:3]
; %bb.176:
	v_xor_b32_e32 v11, 0x80000000, v11
	ds_write_b64 v12, v[10:11] offset:4176
; %bb.177:
	s_or_b64 exec, exec, s[0:1]
	s_waitcnt lgkmcnt(0)
	s_barrier
	s_barrier
	s_and_saveexec_b64 s[0:1], s[44:45]
	s_cbranch_execz .LBB141_179
; %bb.178:
	v_lshlrev_b32_e32 v26, 3, v0
	s_movk_i32 s10, 0x1f8
	v_mad_u32_u24 v27, v0, s10, v26
	ds_read_b64 v[10:11], v27 offset:4176
	s_waitcnt lgkmcnt(0)
	ds_write_b64 v26, v[10:11] offset:5184
	ds_read_b64 v[10:11], v27 offset:4184
	s_waitcnt lgkmcnt(0)
	ds_write_b64 v26, v[10:11] offset:5696
.LBB141_179:
	s_or_b64 exec, exec, s[0:1]
	s_waitcnt lgkmcnt(0)
	s_barrier
	s_and_saveexec_b64 s[0:1], vcc
	s_cbranch_execz .LBB141_181
; %bb.180:
	v_mov_b32_e32 v28, 0
	ds_read_b64 v[26:27], v28 offset:5208
	v_mov_b32_e32 v29, 0x3ff00000
	ds_write_b64 v28, v[28:29] offset:5200
	s_waitcnt lgkmcnt(1)
	ds_write_b128 v28, v[26:29] offset:5712
.LBB141_181:
	s_or_b64 exec, exec, s[0:1]
	v_mov_b32_e32 v10, 0
	v_mov_b32_e32 v11, 0
	s_waitcnt lgkmcnt(0)
	s_barrier
	s_and_saveexec_b64 s[0:1], s[18:19]
	s_cbranch_execz .LBB141_187
; %bb.182:
	v_mul_u32_u24_e32 v26, 0x208, v20
	ds_read_b64 v[10:11], v16 offset:4192
	ds_read_b64 v[27:28], v26 offset:4160
	v_cmp_gt_u32_e64 s[10:11], 12, v14
	s_waitcnt lgkmcnt(0)
	v_fma_f64 v[10:11], v[10:11], v[27:28], 0
	s_and_saveexec_b64 s[14:15], s[10:11]
	s_cbranch_execnz .LBB141_1178
; %bb.183:
	s_or_b64 exec, exec, s[14:15]
	v_cmp_gt_u32_e64 s[10:11], 8, v14
	s_and_saveexec_b64 s[14:15], s[10:11]
	s_cbranch_execnz .LBB141_1179
.LBB141_184:
	s_or_b64 exec, exec, s[14:15]
	v_cmp_gt_u32_e64 s[10:11], 4, v14
	s_and_saveexec_b64 s[14:15], s[10:11]
	s_cbranch_execz .LBB141_186
.LBB141_185:
	v_lshlrev_b32_e32 v26, 3, v0
	v_mov_b32_e32 v28, 0
	ds_read_b64 v[26:27], v26 offset:5728
	ds_read_b64 v[28:29], v28 offset:4184
	s_waitcnt lgkmcnt(0)
	v_fma_f64 v[10:11], v[26:27], v[28:29], v[10:11]
.LBB141_186:
	s_or_b64 exec, exec, s[14:15]
	v_xor_b32_e32 v11, 0x80000000, v11
.LBB141_187:
	s_or_b64 exec, exec, s[0:1]
	s_and_saveexec_b64 s[0:1], s[48:49]
; %bb.188:
	ds_write_b64 v18, v[10:11]
; %bb.189:
	s_or_b64 exec, exec, s[0:1]
	s_waitcnt lgkmcnt(0)
	s_barrier
	s_and_saveexec_b64 s[0:1], s[50:51]
	s_cbranch_execz .LBB141_191
; %bb.190:
	ds_read_b64 v[26:27], v17 offset:6240
	ds_read_b64 v[28:29], v18
	s_waitcnt lgkmcnt(0)
	v_fma_f64 v[10:11], v[26:27], v[28:29], v[10:11]
.LBB141_191:
	s_or_b64 exec, exec, s[0:1]
	s_barrier
	s_and_saveexec_b64 s[0:1], s[52:53]
; %bb.192:
	ds_write_b64 v18, v[10:11]
; %bb.193:
	s_or_b64 exec, exec, s[0:1]
	s_waitcnt lgkmcnt(0)
	s_barrier
	s_and_saveexec_b64 s[0:1], s[54:55]
	s_cbranch_execz .LBB141_195
; %bb.194:
	ds_read_b64 v[26:27], v17 offset:6752
	ds_read_b64 v[28:29], v18
	s_waitcnt lgkmcnt(0)
	v_fma_f64 v[10:11], v[26:27], v[28:29], v[10:11]
.LBB141_195:
	s_or_b64 exec, exec, s[0:1]
	s_barrier
	s_and_saveexec_b64 s[0:1], s[56:57]
; %bb.196:
	ds_write_b64 v18, v[10:11]
; %bb.197:
	s_or_b64 exec, exec, s[0:1]
	s_waitcnt lgkmcnt(0)
	s_barrier
	s_and_saveexec_b64 s[0:1], s[46:47]
	s_cbranch_execz .LBB141_199
; %bb.198:
	v_mov_b32_e32 v26, 0
	ds_read_b64 v[26:27], v26 offset:7288
	ds_read_b64 v[28:29], v18
	s_waitcnt lgkmcnt(0)
	v_fma_f64 v[10:11], v[26:27], v[28:29], v[10:11]
.LBB141_199:
	s_or_b64 exec, exec, s[0:1]
	s_barrier
	s_and_saveexec_b64 s[0:1], s[46:47]
; %bb.200:
	ds_write_b64 v18, v[10:11]
; %bb.201:
	s_or_b64 exec, exec, s[0:1]
	s_waitcnt lgkmcnt(0)
	s_barrier
	s_barrier
	s_and_saveexec_b64 s[0:1], s[18:19]
; %bb.202:
	v_xor_b32_e32 v11, 0x80000000, v11
	ds_write_b64 v16, v[10:11] offset:4192
; %bb.203:
	s_or_b64 exec, exec, s[0:1]
	s_waitcnt lgkmcnt(0)
	s_barrier
	s_barrier
	s_and_saveexec_b64 s[0:1], s[58:59]
	s_cbranch_execz .LBB141_205
; %bb.204:
	v_lshlrev_b32_e32 v26, 9, v0
	ds_read_b64 v[10:11], v26 offset:4192
	s_movk_i32 s10, 0xfe08
	v_mad_i32_i24 v27, v0, s10, v26
	s_waitcnt lgkmcnt(0)
	ds_write_b64 v27, v[10:11] offset:6208
	ds_read_b64 v[10:11], v26 offset:4200
	s_waitcnt lgkmcnt(0)
	ds_write_b64 v27, v[10:11] offset:6720
	ds_read_b64 v[10:11], v26 offset:4208
	;; [unrolled: 3-line block ×3, first 2 shown]
	s_waitcnt lgkmcnt(0)
	ds_write_b64 v27, v[10:11] offset:7744
.LBB141_205:
	s_or_b64 exec, exec, s[0:1]
	s_waitcnt lgkmcnt(0)
	s_barrier
	s_and_saveexec_b64 s[0:1], vcc
	s_cbranch_execz .LBB141_207
; %bb.206:
	v_mov_b32_e32 v28, 0
	ds_read_b64 v[26:27], v28 offset:6248
	v_mov_b32_e32 v29, 0x3ff00000
	ds_write_b64 v28, v[28:29] offset:6240
	s_waitcnt lgkmcnt(1)
	ds_write_b128 v28, v[26:29] offset:6752
.LBB141_207:
	s_or_b64 exec, exec, s[0:1]
	v_mov_b32_e32 v10, 0
	v_mov_b32_e32 v11, 0
	s_waitcnt lgkmcnt(0)
	s_barrier
	s_and_saveexec_b64 s[0:1], s[2:3]
	s_cbranch_execz .LBB141_211
; %bb.208:
	v_mul_u32_u24_e32 v26, 0x208, v15
	ds_read_b64 v[10:11], v12 offset:6256
	ds_read_b64 v[26:27], v26 offset:6240
	v_cmp_gt_u32_e64 s[10:11], 2, v14
	s_waitcnt lgkmcnt(0)
	v_fma_f64 v[10:11], v[10:11], v[26:27], 0
	s_and_saveexec_b64 s[14:15], s[10:11]
	s_cbranch_execz .LBB141_210
; %bb.209:
	v_lshlrev_b32_e32 v26, 3, v0
	v_mov_b32_e32 v28, 0
	ds_read_b64 v[26:27], v26 offset:6768
	ds_read_b64 v[28:29], v28 offset:6248
	s_waitcnt lgkmcnt(0)
	v_fma_f64 v[10:11], v[26:27], v[28:29], v[10:11]
.LBB141_210:
	s_or_b64 exec, exec, s[14:15]
	v_xor_b32_e32 v11, 0x80000000, v11
.LBB141_211:
	s_or_b64 exec, exec, s[0:1]
	s_and_saveexec_b64 s[0:1], s[42:43]
; %bb.212:
	ds_write_b64 v13, v[10:11]
; %bb.213:
	s_or_b64 exec, exec, s[0:1]
	s_waitcnt lgkmcnt(0)
	s_barrier
	s_and_saveexec_b64 s[0:1], s[40:41]
	s_cbranch_execz .LBB141_215
; %bb.214:
	v_mov_b32_e32 v26, 0
	ds_read_b64 v[26:27], v26 offset:7288
	ds_read_b64 v[28:29], v13
	s_waitcnt lgkmcnt(0)
	v_fma_f64 v[10:11], v[26:27], v[28:29], v[10:11]
.LBB141_215:
	s_or_b64 exec, exec, s[0:1]
	s_barrier
	s_and_saveexec_b64 s[0:1], s[40:41]
; %bb.216:
	ds_write_b64 v13, v[10:11]
; %bb.217:
	s_or_b64 exec, exec, s[0:1]
	s_waitcnt lgkmcnt(0)
	s_barrier
	s_barrier
	s_and_saveexec_b64 s[0:1], s[2:3]
; %bb.218:
	v_xor_b32_e32 v11, 0x80000000, v11
	ds_write_b64 v12, v[10:11] offset:6256
; %bb.219:
	s_or_b64 exec, exec, s[0:1]
	s_waitcnt lgkmcnt(0)
	s_barrier
	s_barrier
	s_and_saveexec_b64 s[0:1], s[44:45]
	s_cbranch_execz .LBB141_221
; %bb.220:
	v_lshlrev_b32_e32 v26, 3, v0
	s_movk_i32 s10, 0x1f8
	v_mad_u32_u24 v27, v0, s10, v26
	ds_read_b64 v[10:11], v27 offset:6256
	s_waitcnt lgkmcnt(0)
	ds_write_b64 v26, v[10:11] offset:7264
	ds_read_b64 v[10:11], v27 offset:6264
	s_waitcnt lgkmcnt(0)
	ds_write_b64 v26, v[10:11] offset:7776
.LBB141_221:
	s_or_b64 exec, exec, s[0:1]
	s_waitcnt lgkmcnt(0)
	s_barrier
	s_and_saveexec_b64 s[0:1], vcc
	s_cbranch_execz .LBB141_223
; %bb.222:
	v_mov_b32_e32 v28, 0
	ds_read_b64 v[26:27], v28 offset:7288
	v_mov_b32_e32 v29, 0x3ff00000
	ds_write_b64 v28, v[28:29] offset:7280
	s_waitcnt lgkmcnt(1)
	ds_write_b128 v28, v[26:29] offset:7792
.LBB141_223:
	s_or_b64 exec, exec, s[0:1]
	v_lshrrev_b32_e32 v30, 4, v14
	v_and_b32_e32 v27, 15, v0
	s_movk_i32 s0, 0xff
	v_lshlrev_b32_e32 v29, 6, v30
	v_cmp_lt_u32_e64 s[14:15], s0, v14
	s_movk_i32 s0, 0x100
	v_or_b32_e32 v26, v29, v27
	v_mov_b32_e32 v10, 0
	v_cmp_gt_u32_e64 s[10:11], s0, v14
	v_mov_b32_e32 v11, 0
	v_lshlrev_b32_e32 v26, 3, v26
	s_waitcnt lgkmcnt(0)
	s_barrier
	s_and_saveexec_b64 s[0:1], s[10:11]
	s_cbranch_execz .LBB141_251
; %bb.224:
	v_mul_u32_u24_e32 v28, 0x208, v30
	ds_read_b64 v[10:11], v26 offset:128
	ds_read_b64 v[31:32], v28
	s_movk_i32 s16, 0xf0
	v_cmp_gt_u32_e64 s[16:17], s16, v14
	s_waitcnt lgkmcnt(0)
	v_fma_f64 v[10:11], v[10:11], v[31:32], 0
	s_and_saveexec_b64 s[20:21], s[16:17]
	s_cbranch_execz .LBB141_226
; %bb.225:
	v_lshlrev_b32_e32 v31, 3, v30
	v_sub_u32_e32 v31, v28, v31
	v_lshl_add_u32 v31, v27, 3, v31
	ds_read_b64 v[31:32], v31 offset:640
	ds_read_b64 v[33:34], v28 offset:8
	s_waitcnt lgkmcnt(0)
	v_fma_f64 v[10:11], v[31:32], v[33:34], v[10:11]
.LBB141_226:
	s_or_b64 exec, exec, s[20:21]
	s_movk_i32 s16, 0xe0
	v_cmp_gt_u32_e64 s[16:17], s16, v14
	s_and_saveexec_b64 s[20:21], s[16:17]
	s_cbranch_execz .LBB141_228
; %bb.227:
	v_lshlrev_b32_e32 v31, 3, v30
	v_sub_u32_e32 v31, v28, v31
	v_lshl_add_u32 v31, v27, 3, v31
	ds_read_b64 v[31:32], v31 offset:1152
	ds_read_b64 v[33:34], v28 offset:16
	s_waitcnt lgkmcnt(0)
	v_fma_f64 v[10:11], v[31:32], v[33:34], v[10:11]
.LBB141_228:
	s_or_b64 exec, exec, s[20:21]
	s_movk_i32 s16, 0xd0
	v_cmp_gt_u32_e64 s[16:17], s16, v14
	;; [unrolled: 14-line block ×7, first 2 shown]
	s_and_saveexec_b64 s[20:21], s[16:17]
	s_cbranch_execz .LBB141_240
; %bb.239:
	ds_read_b64 v[31:32], v26 offset:4224
	ds_read_b64 v[33:34], v28 offset:64
	s_waitcnt lgkmcnt(0)
	v_fma_f64 v[10:11], v[31:32], v[33:34], v[10:11]
.LBB141_240:
	s_or_b64 exec, exec, s[20:21]
	s_movk_i32 s16, 0x70
	v_cmp_gt_u32_e64 s[16:17], s16, v14
	s_and_saveexec_b64 s[20:21], s[16:17]
	s_cbranch_execz .LBB141_242
; %bb.241:
	v_lshlrev_b32_e32 v31, 3, v30
	v_sub_u32_e32 v31, v28, v31
	v_lshl_add_u32 v31, v27, 3, v31
	ds_read_b64 v[31:32], v31 offset:4736
	ds_read_b64 v[33:34], v28 offset:72
	s_waitcnt lgkmcnt(0)
	v_fma_f64 v[10:11], v[31:32], v[33:34], v[10:11]
.LBB141_242:
	s_or_b64 exec, exec, s[20:21]
	s_movk_i32 s16, 0x60
	v_cmp_gt_u32_e64 s[16:17], s16, v14
	s_and_saveexec_b64 s[20:21], s[16:17]
	s_cbranch_execz .LBB141_244
; %bb.243:
	v_lshlrev_b32_e32 v31, 3, v27
	v_lshl_add_u32 v31, v29, 3, v31
	ds_read_b64 v[31:32], v31 offset:5248
	ds_read_b64 v[33:34], v28 offset:80
	s_waitcnt lgkmcnt(0)
	v_fma_f64 v[10:11], v[31:32], v[33:34], v[10:11]
.LBB141_244:
	s_or_b64 exec, exec, s[20:21]
	s_movk_i32 s16, 0x50
	v_cmp_gt_u32_e64 s[16:17], s16, v14
	s_and_saveexec_b64 s[20:21], s[16:17]
	s_cbranch_execnz .LBB141_1180
; %bb.245:
	s_or_b64 exec, exec, s[20:21]
	v_cmp_gt_u32_e64 s[16:17], 64, v14
	s_and_saveexec_b64 s[20:21], s[16:17]
	s_cbranch_execnz .LBB141_1181
.LBB141_246:
	s_or_b64 exec, exec, s[20:21]
	v_cmp_gt_u32_e64 s[16:17], 48, v14
	s_and_saveexec_b64 s[20:21], s[16:17]
	s_cbranch_execnz .LBB141_1182
.LBB141_247:
	s_or_b64 exec, exec, s[20:21]
	v_cmp_gt_u32_e64 s[16:17], 32, v14
	s_and_saveexec_b64 s[20:21], s[16:17]
	s_cbranch_execnz .LBB141_1183
.LBB141_248:
	s_or_b64 exec, exec, s[20:21]
	v_cmp_gt_u32_e64 s[16:17], 16, v14
	s_and_saveexec_b64 s[20:21], s[16:17]
	s_cbranch_execz .LBB141_250
.LBB141_249:
	v_lshlrev_b32_e32 v28, 3, v0
	v_mov_b32_e32 v33, 0
	ds_read_b64 v[31:32], v28 offset:7808
	ds_read_b64 v[33:34], v33 offset:120
	s_waitcnt lgkmcnt(0)
	v_fma_f64 v[10:11], v[31:32], v[33:34], v[10:11]
.LBB141_250:
	s_or_b64 exec, exec, s[20:21]
	v_xor_b32_e32 v11, 0x80000000, v11
.LBB141_251:
	s_or_b64 exec, exec, s[0:1]
	v_mov_b32_e32 v28, 0x8000
	v_lshl_add_u32 v28, v30, 3, v28
	v_cmp_eq_u32_e64 s[16:17], 0, v27
	s_xor_b64 s[20:21], s[14:15], -1
	s_and_b64 s[14:15], s[16:17], s[20:21]
	s_mov_b64 s[0:1], exec
	v_writelane_b32 v40, s14, 4
	v_writelane_b32 v40, s15, 5
	s_and_b64 s[14:15], s[0:1], s[14:15]
	s_mov_b64 exec, s[14:15]
; %bb.252:
	ds_write_b64 v28, v[10:11]
; %bb.253:
	s_or_b64 exec, exec, s[0:1]
	v_cmp_ne_u32_e64 s[14:15], 0, v27
	s_waitcnt lgkmcnt(0)
	s_barrier
	s_and_b64 s[14:15], s[14:15], s[20:21]
	s_mov_b64 s[0:1], exec
	v_writelane_b32 v40, s14, 6
	v_writelane_b32 v40, s15, 7
	s_and_b64 s[14:15], s[0:1], s[14:15]
	s_mov_b64 exec, s[14:15]
	s_cbranch_execz .LBB141_255
; %bb.254:
	v_lshlrev_b32_e32 v31, 3, v27
	ds_read_b64 v[31:32], v31 offset:8320
	ds_read_b64 v[33:34], v28
	s_waitcnt lgkmcnt(0)
	v_fma_f64 v[10:11], v[31:32], v[33:34], v[10:11]
.LBB141_255:
	s_or_b64 exec, exec, s[0:1]
	v_cmp_eq_u32_e64 s[14:15], 1, v27
	s_barrier
	s_and_b64 s[14:15], s[14:15], s[20:21]
	s_mov_b64 s[0:1], exec
	v_writelane_b32 v40, s14, 8
	v_writelane_b32 v40, s15, 9
	s_and_b64 s[14:15], s[0:1], s[14:15]
	s_mov_b64 exec, s[14:15]
; %bb.256:
	ds_write_b64 v28, v[10:11]
; %bb.257:
	s_or_b64 exec, exec, s[0:1]
	v_cmp_lt_u32_e64 s[14:15], 1, v27
	s_waitcnt lgkmcnt(0)
	s_barrier
	s_and_b64 s[14:15], s[14:15], s[20:21]
	s_mov_b64 s[0:1], exec
	v_writelane_b32 v40, s14, 10
	v_writelane_b32 v40, s15, 11
	s_and_b64 s[14:15], s[0:1], s[14:15]
	s_mov_b64 exec, s[14:15]
	s_cbranch_execz .LBB141_259
; %bb.258:
	v_lshlrev_b32_e32 v31, 3, v27
	ds_read_b64 v[31:32], v31 offset:8832
	ds_read_b64 v[33:34], v28
	s_waitcnt lgkmcnt(0)
	v_fma_f64 v[10:11], v[31:32], v[33:34], v[10:11]
.LBB141_259:
	s_or_b64 exec, exec, s[0:1]
	v_cmp_eq_u32_e64 s[14:15], 2, v27
	s_barrier
	s_and_b64 s[14:15], s[14:15], s[20:21]
	s_mov_b64 s[0:1], exec
	v_writelane_b32 v40, s14, 12
	v_writelane_b32 v40, s15, 13
	s_and_b64 s[14:15], s[0:1], s[14:15]
	s_mov_b64 exec, s[14:15]
; %bb.260:
	ds_write_b64 v28, v[10:11]
; %bb.261:
	s_or_b64 exec, exec, s[0:1]
	v_cmp_lt_u32_e64 s[14:15], 2, v27
	;; [unrolled: 30-line block ×13, first 2 shown]
	s_waitcnt lgkmcnt(0)
	s_barrier
	s_and_b64 s[14:15], s[14:15], s[20:21]
	s_mov_b64 s[0:1], exec
	v_writelane_b32 v40, s14, 58
	v_writelane_b32 v40, s15, 59
	s_and_b64 s[14:15], s[0:1], s[14:15]
	s_mov_b64 exec, s[14:15]
	s_cbranch_execz .LBB141_307
; %bb.306:
	v_lshlrev_b32_e32 v31, 3, v27
	ds_read_b64 v[31:32], v31 offset:14976
	ds_read_b64 v[33:34], v28
	s_waitcnt lgkmcnt(0)
	v_fma_f64 v[10:11], v[31:32], v[33:34], v[10:11]
.LBB141_307:
	s_or_b64 exec, exec, s[0:1]
	v_cmp_eq_u32_e64 s[14:15], 14, v27
	s_barrier
	s_and_b64 s[14:15], s[14:15], s[20:21]
	s_mov_b64 s[0:1], exec
	v_writelane_b32 v40, s14, 60
	v_writelane_b32 v40, s15, 61
	s_and_b64 s[14:15], s[0:1], s[14:15]
	s_mov_b64 exec, s[14:15]
; %bb.308:
	ds_write_b64 v28, v[10:11]
; %bb.309:
	s_or_b64 exec, exec, s[0:1]
	v_cmp_eq_u32_e64 s[14:15], 15, v27
	s_and_b64 s[92:93], s[14:15], s[20:21]
	s_waitcnt lgkmcnt(0)
	s_barrier
	s_and_saveexec_b64 s[0:1], s[92:93]
	s_cbranch_execz .LBB141_311
; %bb.310:
	v_mov_b32_e32 v31, 0
	ds_read_b64 v[31:32], v31 offset:15608
	ds_read_b64 v[33:34], v28
	s_waitcnt lgkmcnt(0)
	v_fma_f64 v[10:11], v[31:32], v[33:34], v[10:11]
.LBB141_311:
	s_or_b64 exec, exec, s[0:1]
	s_barrier
	s_and_saveexec_b64 s[0:1], s[92:93]
; %bb.312:
	ds_write_b64 v28, v[10:11]
; %bb.313:
	s_or_b64 exec, exec, s[0:1]
	s_waitcnt lgkmcnt(0)
	s_barrier
	s_barrier
	s_and_saveexec_b64 s[0:1], s[10:11]
; %bb.314:
	v_xor_b32_e32 v11, 0x80000000, v11
	ds_write_b64 v26, v[10:11] offset:128
; %bb.315:
	s_or_b64 exec, exec, s[0:1]
	v_cmp_gt_u32_e64 s[14:15], 16, v0
	s_waitcnt lgkmcnt(0)
	s_barrier
	s_barrier
	s_and_b64 s[0:1], s[12:13], s[14:15]
	s_mov_b64 s[14:15], exec
	v_writelane_b32 v40, s0, 62
	v_writelane_b32 v40, s1, 63
	s_and_b64 s[0:1], s[14:15], s[0:1]
	s_mov_b64 exec, s[0:1]
	s_cbranch_execz .LBB141_317
; %bb.316:
	v_lshlrev_b32_e32 v31, 9, v0
	ds_read_b64 v[10:11], v31 offset:128
	s_movk_i32 s0, 0xfe08
	v_mad_i32_i24 v32, v0, s0, v31
	s_waitcnt lgkmcnt(0)
	ds_write_b64 v32, v[10:11] offset:8192
	ds_read_b64 v[10:11], v31 offset:136
	s_waitcnt lgkmcnt(0)
	ds_write_b64 v32, v[10:11] offset:8704
	ds_read_b64 v[10:11], v31 offset:144
	;; [unrolled: 3-line block ×15, first 2 shown]
	s_waitcnt lgkmcnt(0)
	ds_write_b64 v32, v[10:11] offset:15872
.LBB141_317:
	s_or_b64 exec, exec, s[14:15]
	s_waitcnt lgkmcnt(0)
	s_barrier
	s_and_saveexec_b64 s[14:15], vcc
	s_cbranch_execz .LBB141_319
; %bb.318:
	v_mov_b32_e32 v33, 0
	ds_read_b64 v[31:32], v33 offset:8328
	v_mov_b32_e32 v34, 0x3ff00000
	ds_write_b64 v33, v[33:34] offset:8320
	s_waitcnt lgkmcnt(1)
	ds_write_b128 v33, v[31:34] offset:8832
.LBB141_319:
	s_or_b64 exec, exec, s[14:15]
	v_mov_b32_e32 v10, 0
	v_mov_b32_e32 v11, 0
	s_waitcnt lgkmcnt(0)
	s_barrier
	s_and_saveexec_b64 s[16:17], s[2:3]
	s_cbranch_execz .LBB141_323
; %bb.320:
	v_mul_u32_u24_e32 v31, 0x208, v15
	ds_read_b64 v[10:11], v12 offset:8336
	ds_read_b64 v[31:32], v31 offset:8320
	v_cmp_gt_u32_e64 s[14:15], 2, v14
	s_waitcnt lgkmcnt(0)
	v_fma_f64 v[10:11], v[10:11], v[31:32], 0
	s_and_saveexec_b64 s[20:21], s[14:15]
	s_cbranch_execz .LBB141_322
; %bb.321:
	v_lshlrev_b32_e32 v31, 3, v0
	v_mov_b32_e32 v33, 0
	ds_read_b64 v[31:32], v31 offset:8848
	ds_read_b64 v[33:34], v33 offset:8328
	s_waitcnt lgkmcnt(0)
	v_fma_f64 v[10:11], v[31:32], v[33:34], v[10:11]
.LBB141_322:
	s_or_b64 exec, exec, s[20:21]
	v_xor_b32_e32 v11, 0x80000000, v11
.LBB141_323:
	s_or_b64 exec, exec, s[16:17]
	s_and_saveexec_b64 s[0:1], s[42:43]
; %bb.324:
	ds_write_b64 v13, v[10:11]
; %bb.325:
	s_or_b64 exec, exec, s[0:1]
	s_waitcnt lgkmcnt(0)
	s_barrier
	s_and_saveexec_b64 s[0:1], s[40:41]
	s_cbranch_execz .LBB141_327
; %bb.326:
	v_mov_b32_e32 v31, 0
	ds_read_b64 v[31:32], v31 offset:9368
	ds_read_b64 v[33:34], v13
	s_waitcnt lgkmcnt(0)
	v_fma_f64 v[10:11], v[31:32], v[33:34], v[10:11]
.LBB141_327:
	s_or_b64 exec, exec, s[0:1]
	s_barrier
	s_and_saveexec_b64 s[0:1], s[40:41]
; %bb.328:
	ds_write_b64 v13, v[10:11]
; %bb.329:
	s_or_b64 exec, exec, s[0:1]
	s_waitcnt lgkmcnt(0)
	s_barrier
	s_barrier
	s_and_saveexec_b64 s[0:1], s[2:3]
; %bb.330:
	v_xor_b32_e32 v11, 0x80000000, v11
	ds_write_b64 v12, v[10:11] offset:8336
; %bb.331:
	s_or_b64 exec, exec, s[0:1]
	s_waitcnt lgkmcnt(0)
	s_barrier
	s_barrier
	s_and_saveexec_b64 s[14:15], s[44:45]
	s_cbranch_execz .LBB141_333
; %bb.332:
	v_lshlrev_b32_e32 v31, 3, v0
	s_movk_i32 s0, 0x1f8
	v_mad_u32_u24 v32, v0, s0, v31
	ds_read_b64 v[10:11], v32 offset:8336
	s_waitcnt lgkmcnt(0)
	ds_write_b64 v31, v[10:11] offset:9344
	ds_read_b64 v[10:11], v32 offset:8344
	s_waitcnt lgkmcnt(0)
	ds_write_b64 v31, v[10:11] offset:9856
.LBB141_333:
	s_or_b64 exec, exec, s[14:15]
	s_waitcnt lgkmcnt(0)
	s_barrier
	s_and_saveexec_b64 s[14:15], vcc
	s_cbranch_execz .LBB141_335
; %bb.334:
	v_mov_b32_e32 v33, 0
	ds_read_b64 v[31:32], v33 offset:9368
	v_mov_b32_e32 v34, 0x3ff00000
	ds_write_b64 v33, v[33:34] offset:9360
	s_waitcnt lgkmcnt(1)
	ds_write_b128 v33, v[31:34] offset:9872
.LBB141_335:
	s_or_b64 exec, exec, s[14:15]
	v_mov_b32_e32 v10, 0
	v_mov_b32_e32 v11, 0
	s_waitcnt lgkmcnt(0)
	s_barrier
	s_and_saveexec_b64 s[16:17], s[18:19]
	s_cbranch_execz .LBB141_341
; %bb.336:
	v_mul_u32_u24_e32 v31, 0x208, v20
	ds_read_b64 v[10:11], v16 offset:8352
	ds_read_b64 v[32:33], v31 offset:8320
	v_cmp_gt_u32_e64 s[14:15], 12, v14
	s_waitcnt lgkmcnt(0)
	v_fma_f64 v[10:11], v[10:11], v[32:33], 0
	s_and_saveexec_b64 s[20:21], s[14:15]
	s_cbranch_execnz .LBB141_1184
; %bb.337:
	s_or_b64 exec, exec, s[20:21]
	v_cmp_gt_u32_e64 s[14:15], 8, v14
	s_and_saveexec_b64 s[0:1], s[14:15]
	s_cbranch_execnz .LBB141_1185
.LBB141_338:
	s_or_b64 exec, exec, s[0:1]
	v_cmp_gt_u32_e64 s[14:15], 4, v14
	s_and_saveexec_b64 s[20:21], s[14:15]
	s_cbranch_execz .LBB141_340
.LBB141_339:
	v_lshlrev_b32_e32 v31, 3, v0
	v_mov_b32_e32 v33, 0
	ds_read_b64 v[31:32], v31 offset:9888
	ds_read_b64 v[33:34], v33 offset:8344
	s_waitcnt lgkmcnt(0)
	v_fma_f64 v[10:11], v[31:32], v[33:34], v[10:11]
.LBB141_340:
	s_or_b64 exec, exec, s[20:21]
	v_xor_b32_e32 v11, 0x80000000, v11
.LBB141_341:
	s_or_b64 exec, exec, s[16:17]
	s_and_saveexec_b64 s[0:1], s[48:49]
; %bb.342:
	ds_write_b64 v18, v[10:11]
; %bb.343:
	s_or_b64 exec, exec, s[0:1]
	s_waitcnt lgkmcnt(0)
	s_barrier
	s_and_saveexec_b64 s[0:1], s[50:51]
	s_cbranch_execz .LBB141_345
; %bb.344:
	ds_read_b64 v[31:32], v17 offset:10400
	ds_read_b64 v[33:34], v18
	s_waitcnt lgkmcnt(0)
	v_fma_f64 v[10:11], v[31:32], v[33:34], v[10:11]
.LBB141_345:
	s_or_b64 exec, exec, s[0:1]
	s_barrier
	s_and_saveexec_b64 s[0:1], s[52:53]
; %bb.346:
	ds_write_b64 v18, v[10:11]
; %bb.347:
	s_or_b64 exec, exec, s[0:1]
	s_waitcnt lgkmcnt(0)
	s_barrier
	s_and_saveexec_b64 s[0:1], s[54:55]
	s_cbranch_execz .LBB141_349
; %bb.348:
	ds_read_b64 v[31:32], v17 offset:10912
	ds_read_b64 v[33:34], v18
	s_waitcnt lgkmcnt(0)
	v_fma_f64 v[10:11], v[31:32], v[33:34], v[10:11]
.LBB141_349:
	s_or_b64 exec, exec, s[0:1]
	s_barrier
	s_and_saveexec_b64 s[0:1], s[56:57]
; %bb.350:
	ds_write_b64 v18, v[10:11]
; %bb.351:
	s_or_b64 exec, exec, s[0:1]
	s_waitcnt lgkmcnt(0)
	s_barrier
	s_and_saveexec_b64 s[0:1], s[46:47]
	s_cbranch_execz .LBB141_353
; %bb.352:
	v_mov_b32_e32 v31, 0
	ds_read_b64 v[31:32], v31 offset:11448
	ds_read_b64 v[33:34], v18
	s_waitcnt lgkmcnt(0)
	v_fma_f64 v[10:11], v[31:32], v[33:34], v[10:11]
.LBB141_353:
	s_or_b64 exec, exec, s[0:1]
	s_barrier
	s_and_saveexec_b64 s[0:1], s[46:47]
; %bb.354:
	ds_write_b64 v18, v[10:11]
; %bb.355:
	s_or_b64 exec, exec, s[0:1]
	s_waitcnt lgkmcnt(0)
	s_barrier
	s_barrier
	s_and_saveexec_b64 s[0:1], s[18:19]
; %bb.356:
	v_xor_b32_e32 v11, 0x80000000, v11
	ds_write_b64 v16, v[10:11] offset:8352
; %bb.357:
	s_or_b64 exec, exec, s[0:1]
	s_waitcnt lgkmcnt(0)
	s_barrier
	s_barrier
	s_and_saveexec_b64 s[14:15], s[58:59]
	s_cbranch_execz .LBB141_359
; %bb.358:
	v_lshlrev_b32_e32 v31, 9, v0
	ds_read_b64 v[10:11], v31 offset:8352
	s_movk_i32 s0, 0xfe08
	v_mad_i32_i24 v32, v0, s0, v31
	s_waitcnt lgkmcnt(0)
	ds_write_b64 v32, v[10:11] offset:10368
	ds_read_b64 v[10:11], v31 offset:8360
	s_waitcnt lgkmcnt(0)
	ds_write_b64 v32, v[10:11] offset:10880
	ds_read_b64 v[10:11], v31 offset:8368
	;; [unrolled: 3-line block ×3, first 2 shown]
	s_waitcnt lgkmcnt(0)
	ds_write_b64 v32, v[10:11] offset:11904
.LBB141_359:
	s_or_b64 exec, exec, s[14:15]
	s_waitcnt lgkmcnt(0)
	s_barrier
	s_and_saveexec_b64 s[14:15], vcc
	s_cbranch_execz .LBB141_361
; %bb.360:
	v_mov_b32_e32 v33, 0
	ds_read_b64 v[31:32], v33 offset:10408
	v_mov_b32_e32 v34, 0x3ff00000
	ds_write_b64 v33, v[33:34] offset:10400
	s_waitcnt lgkmcnt(1)
	ds_write_b128 v33, v[31:34] offset:10912
.LBB141_361:
	s_or_b64 exec, exec, s[14:15]
	v_mov_b32_e32 v10, 0
	v_mov_b32_e32 v11, 0
	s_waitcnt lgkmcnt(0)
	s_barrier
	s_and_saveexec_b64 s[16:17], s[2:3]
	s_cbranch_execz .LBB141_365
; %bb.362:
	v_mul_u32_u24_e32 v31, 0x208, v15
	ds_read_b64 v[10:11], v12 offset:10416
	ds_read_b64 v[31:32], v31 offset:10400
	v_cmp_gt_u32_e64 s[14:15], 2, v14
	s_waitcnt lgkmcnt(0)
	v_fma_f64 v[10:11], v[10:11], v[31:32], 0
	s_and_saveexec_b64 s[20:21], s[14:15]
	s_cbranch_execz .LBB141_364
; %bb.363:
	v_lshlrev_b32_e32 v31, 3, v0
	v_mov_b32_e32 v33, 0
	ds_read_b64 v[31:32], v31 offset:10928
	ds_read_b64 v[33:34], v33 offset:10408
	s_waitcnt lgkmcnt(0)
	v_fma_f64 v[10:11], v[31:32], v[33:34], v[10:11]
.LBB141_364:
	s_or_b64 exec, exec, s[20:21]
	v_xor_b32_e32 v11, 0x80000000, v11
.LBB141_365:
	s_or_b64 exec, exec, s[16:17]
	s_and_saveexec_b64 s[0:1], s[42:43]
; %bb.366:
	ds_write_b64 v13, v[10:11]
; %bb.367:
	s_or_b64 exec, exec, s[0:1]
	s_waitcnt lgkmcnt(0)
	s_barrier
	s_and_saveexec_b64 s[0:1], s[40:41]
	s_cbranch_execz .LBB141_369
; %bb.368:
	v_mov_b32_e32 v31, 0
	ds_read_b64 v[31:32], v31 offset:11448
	ds_read_b64 v[33:34], v13
	s_waitcnt lgkmcnt(0)
	v_fma_f64 v[10:11], v[31:32], v[33:34], v[10:11]
.LBB141_369:
	s_or_b64 exec, exec, s[0:1]
	s_barrier
	s_and_saveexec_b64 s[0:1], s[40:41]
; %bb.370:
	ds_write_b64 v13, v[10:11]
; %bb.371:
	s_or_b64 exec, exec, s[0:1]
	s_waitcnt lgkmcnt(0)
	s_barrier
	s_barrier
	s_and_saveexec_b64 s[0:1], s[2:3]
; %bb.372:
	v_xor_b32_e32 v11, 0x80000000, v11
	ds_write_b64 v12, v[10:11] offset:10416
; %bb.373:
	s_or_b64 exec, exec, s[0:1]
	s_waitcnt lgkmcnt(0)
	s_barrier
	s_barrier
	s_and_saveexec_b64 s[14:15], s[44:45]
	s_cbranch_execz .LBB141_375
; %bb.374:
	v_lshlrev_b32_e32 v31, 3, v0
	s_movk_i32 s0, 0x1f8
	v_mad_u32_u24 v32, v0, s0, v31
	ds_read_b64 v[10:11], v32 offset:10416
	s_waitcnt lgkmcnt(0)
	ds_write_b64 v31, v[10:11] offset:11424
	ds_read_b64 v[10:11], v32 offset:10424
	s_waitcnt lgkmcnt(0)
	ds_write_b64 v31, v[10:11] offset:11936
.LBB141_375:
	s_or_b64 exec, exec, s[14:15]
	s_waitcnt lgkmcnt(0)
	s_barrier
	s_and_saveexec_b64 s[14:15], vcc
	s_cbranch_execz .LBB141_377
; %bb.376:
	v_mov_b32_e32 v33, 0
	ds_read_b64 v[31:32], v33 offset:11448
	v_mov_b32_e32 v34, 0x3ff00000
	ds_write_b64 v33, v[33:34] offset:11440
	s_waitcnt lgkmcnt(1)
	ds_write_b128 v33, v[31:34] offset:11952
.LBB141_377:
	s_or_b64 exec, exec, s[14:15]
	v_mov_b32_e32 v10, 0
	v_mov_b32_e32 v11, 0
	s_waitcnt lgkmcnt(0)
	s_barrier
	s_and_saveexec_b64 s[16:17], s[8:9]
	s_cbranch_execz .LBB141_387
; %bb.378:
	v_mul_u32_u24_e32 v31, 0x208, v25
	ds_read_b64 v[10:11], v21 offset:8384
	ds_read_b64 v[32:33], v31 offset:8320
	v_cmp_gt_u32_e64 s[14:15], 56, v14
	s_waitcnt lgkmcnt(0)
	v_fma_f64 v[10:11], v[10:11], v[32:33], 0
	s_and_saveexec_b64 s[20:21], s[14:15]
	s_cbranch_execnz .LBB141_1186
; %bb.379:
	s_or_b64 exec, exec, s[20:21]
	v_cmp_gt_u32_e64 s[14:15], 48, v14
	s_and_saveexec_b64 s[20:21], s[14:15]
	s_cbranch_execnz .LBB141_1187
.LBB141_380:
	s_or_b64 exec, exec, s[20:21]
	v_cmp_gt_u32_e64 s[14:15], 40, v14
	s_and_saveexec_b64 s[20:21], s[14:15]
	s_cbranch_execnz .LBB141_1188
.LBB141_381:
	s_or_b64 exec, exec, s[20:21]
	v_cmp_gt_u32_e64 s[14:15], 32, v14
	s_and_saveexec_b64 s[0:1], s[14:15]
	s_cbranch_execnz .LBB141_1189
.LBB141_382:
	s_or_b64 exec, exec, s[0:1]
	v_cmp_gt_u32_e64 s[14:15], 24, v14
	s_and_saveexec_b64 s[20:21], s[14:15]
	s_cbranch_execnz .LBB141_1190
.LBB141_383:
	s_or_b64 exec, exec, s[20:21]
	v_cmp_gt_u32_e64 s[14:15], 16, v14
	s_and_saveexec_b64 s[0:1], s[14:15]
	s_cbranch_execnz .LBB141_1191
.LBB141_384:
	s_or_b64 exec, exec, s[0:1]
	v_cmp_gt_u32_e64 s[14:15], 8, v14
	s_and_saveexec_b64 s[20:21], s[14:15]
	s_cbranch_execz .LBB141_386
.LBB141_385:
	v_lshlrev_b32_e32 v31, 3, v0
	v_mov_b32_e32 v33, 0
	ds_read_b64 v[31:32], v31 offset:11968
	ds_read_b64 v[33:34], v33 offset:8376
	s_waitcnt lgkmcnt(0)
	v_fma_f64 v[10:11], v[31:32], v[33:34], v[10:11]
.LBB141_386:
	s_or_b64 exec, exec, s[20:21]
	v_xor_b32_e32 v11, 0x80000000, v11
.LBB141_387:
	s_or_b64 exec, exec, s[16:17]
	s_and_saveexec_b64 s[0:1], s[60:61]
; %bb.388:
	ds_write_b64 v23, v[10:11]
; %bb.389:
	s_or_b64 exec, exec, s[0:1]
	s_waitcnt lgkmcnt(0)
	s_barrier
	s_and_saveexec_b64 s[0:1], s[62:63]
	s_cbranch_execz .LBB141_391
; %bb.390:
	ds_read_b64 v[31:32], v22 offset:12480
	ds_read_b64 v[33:34], v23
	s_waitcnt lgkmcnt(0)
	v_fma_f64 v[10:11], v[31:32], v[33:34], v[10:11]
.LBB141_391:
	s_or_b64 exec, exec, s[0:1]
	s_barrier
	s_and_saveexec_b64 s[0:1], s[64:65]
; %bb.392:
	ds_write_b64 v23, v[10:11]
; %bb.393:
	s_or_b64 exec, exec, s[0:1]
	s_waitcnt lgkmcnt(0)
	s_barrier
	s_and_saveexec_b64 s[0:1], s[66:67]
	s_cbranch_execz .LBB141_395
; %bb.394:
	ds_read_b64 v[31:32], v22 offset:12992
	ds_read_b64 v[33:34], v23
	s_waitcnt lgkmcnt(0)
	v_fma_f64 v[10:11], v[31:32], v[33:34], v[10:11]
.LBB141_395:
	s_or_b64 exec, exec, s[0:1]
	s_barrier
	;; [unrolled: 17-line block ×6, first 2 shown]
	s_and_saveexec_b64 s[0:1], s[86:87]
; %bb.412:
	ds_write_b64 v23, v[10:11]
; %bb.413:
	s_or_b64 exec, exec, s[0:1]
	s_waitcnt lgkmcnt(0)
	s_barrier
	s_and_saveexec_b64 s[0:1], s[70:71]
	s_cbranch_execz .LBB141_415
; %bb.414:
	v_mov_b32_e32 v31, 0
	ds_read_b64 v[31:32], v31 offset:15608
	ds_read_b64 v[33:34], v23
	s_waitcnt lgkmcnt(0)
	v_fma_f64 v[10:11], v[31:32], v[33:34], v[10:11]
.LBB141_415:
	s_or_b64 exec, exec, s[0:1]
	s_barrier
	s_and_saveexec_b64 s[0:1], s[70:71]
; %bb.416:
	ds_write_b64 v23, v[10:11]
; %bb.417:
	s_or_b64 exec, exec, s[0:1]
	s_waitcnt lgkmcnt(0)
	s_barrier
	s_barrier
	s_and_saveexec_b64 s[0:1], s[8:9]
; %bb.418:
	v_xor_b32_e32 v11, 0x80000000, v11
	ds_write_b64 v21, v[10:11] offset:8384
; %bb.419:
	s_or_b64 exec, exec, s[0:1]
	s_waitcnt lgkmcnt(0)
	s_barrier
	s_barrier
	s_and_saveexec_b64 s[14:15], s[88:89]
	s_cbranch_execz .LBB141_421
; %bb.420:
	v_lshlrev_b32_e32 v31, 9, v0
	ds_read_b64 v[10:11], v31 offset:8384
	s_movk_i32 s0, 0xfe08
	v_mad_i32_i24 v32, v0, s0, v31
	s_waitcnt lgkmcnt(0)
	ds_write_b64 v32, v[10:11] offset:12416
	ds_read_b64 v[10:11], v31 offset:8392
	s_waitcnt lgkmcnt(0)
	ds_write_b64 v32, v[10:11] offset:12928
	ds_read_b64 v[10:11], v31 offset:8400
	;; [unrolled: 3-line block ×7, first 2 shown]
	s_waitcnt lgkmcnt(0)
	ds_write_b64 v32, v[10:11] offset:16000
.LBB141_421:
	s_or_b64 exec, exec, s[14:15]
	s_waitcnt lgkmcnt(0)
	s_barrier
	s_and_saveexec_b64 s[14:15], vcc
	s_cbranch_execz .LBB141_423
; %bb.422:
	v_mov_b32_e32 v33, 0
	ds_read_b64 v[31:32], v33 offset:12488
	v_mov_b32_e32 v34, 0x3ff00000
	ds_write_b64 v33, v[33:34] offset:12480
	s_waitcnt lgkmcnt(1)
	ds_write_b128 v33, v[31:34] offset:12992
.LBB141_423:
	s_or_b64 exec, exec, s[14:15]
	v_mov_b32_e32 v10, 0
	v_mov_b32_e32 v11, 0
	s_waitcnt lgkmcnt(0)
	s_barrier
	s_and_saveexec_b64 s[16:17], s[2:3]
	s_cbranch_execz .LBB141_427
; %bb.424:
	v_mul_u32_u24_e32 v31, 0x208, v15
	ds_read_b64 v[10:11], v12 offset:12496
	ds_read_b64 v[31:32], v31 offset:12480
	v_cmp_gt_u32_e64 s[14:15], 2, v14
	s_waitcnt lgkmcnt(0)
	v_fma_f64 v[10:11], v[10:11], v[31:32], 0
	s_and_saveexec_b64 s[20:21], s[14:15]
	s_cbranch_execz .LBB141_426
; %bb.425:
	v_lshlrev_b32_e32 v31, 3, v0
	v_mov_b32_e32 v33, 0
	ds_read_b64 v[31:32], v31 offset:13008
	ds_read_b64 v[33:34], v33 offset:12488
	s_waitcnt lgkmcnt(0)
	v_fma_f64 v[10:11], v[31:32], v[33:34], v[10:11]
.LBB141_426:
	s_or_b64 exec, exec, s[20:21]
	v_xor_b32_e32 v11, 0x80000000, v11
.LBB141_427:
	s_or_b64 exec, exec, s[16:17]
	s_and_saveexec_b64 s[0:1], s[42:43]
; %bb.428:
	ds_write_b64 v13, v[10:11]
; %bb.429:
	s_or_b64 exec, exec, s[0:1]
	s_waitcnt lgkmcnt(0)
	s_barrier
	s_and_saveexec_b64 s[0:1], s[40:41]
	s_cbranch_execz .LBB141_431
; %bb.430:
	v_mov_b32_e32 v31, 0
	ds_read_b64 v[31:32], v31 offset:13528
	ds_read_b64 v[33:34], v13
	s_waitcnt lgkmcnt(0)
	v_fma_f64 v[10:11], v[31:32], v[33:34], v[10:11]
.LBB141_431:
	s_or_b64 exec, exec, s[0:1]
	s_barrier
	s_and_saveexec_b64 s[0:1], s[40:41]
; %bb.432:
	ds_write_b64 v13, v[10:11]
; %bb.433:
	s_or_b64 exec, exec, s[0:1]
	s_waitcnt lgkmcnt(0)
	s_barrier
	s_barrier
	s_and_saveexec_b64 s[0:1], s[2:3]
; %bb.434:
	v_xor_b32_e32 v11, 0x80000000, v11
	ds_write_b64 v12, v[10:11] offset:12496
; %bb.435:
	s_or_b64 exec, exec, s[0:1]
	s_waitcnt lgkmcnt(0)
	s_barrier
	s_barrier
	s_and_saveexec_b64 s[14:15], s[44:45]
	s_cbranch_execz .LBB141_437
; %bb.436:
	v_lshlrev_b32_e32 v31, 3, v0
	s_movk_i32 s0, 0x1f8
	v_mad_u32_u24 v32, v0, s0, v31
	ds_read_b64 v[10:11], v32 offset:12496
	s_waitcnt lgkmcnt(0)
	ds_write_b64 v31, v[10:11] offset:13504
	ds_read_b64 v[10:11], v32 offset:12504
	s_waitcnt lgkmcnt(0)
	ds_write_b64 v31, v[10:11] offset:14016
.LBB141_437:
	s_or_b64 exec, exec, s[14:15]
	s_waitcnt lgkmcnt(0)
	s_barrier
	s_and_saveexec_b64 s[14:15], vcc
	s_cbranch_execz .LBB141_439
; %bb.438:
	v_mov_b32_e32 v33, 0
	ds_read_b64 v[31:32], v33 offset:13528
	v_mov_b32_e32 v34, 0x3ff00000
	ds_write_b64 v33, v[33:34] offset:13520
	s_waitcnt lgkmcnt(1)
	ds_write_b128 v33, v[31:34] offset:14032
.LBB141_439:
	s_or_b64 exec, exec, s[14:15]
	v_mov_b32_e32 v10, 0
	v_mov_b32_e32 v11, 0
	s_waitcnt lgkmcnt(0)
	s_barrier
	s_and_saveexec_b64 s[16:17], s[18:19]
	s_cbranch_execz .LBB141_445
; %bb.440:
	v_mul_u32_u24_e32 v31, 0x208, v20
	ds_read_b64 v[10:11], v16 offset:12512
	ds_read_b64 v[32:33], v31 offset:12480
	v_cmp_gt_u32_e64 s[14:15], 12, v14
	s_waitcnt lgkmcnt(0)
	v_fma_f64 v[10:11], v[10:11], v[32:33], 0
	s_and_saveexec_b64 s[20:21], s[14:15]
	s_cbranch_execnz .LBB141_1192
; %bb.441:
	s_or_b64 exec, exec, s[20:21]
	v_cmp_gt_u32_e64 s[14:15], 8, v14
	s_and_saveexec_b64 s[0:1], s[14:15]
	s_cbranch_execnz .LBB141_1193
.LBB141_442:
	s_or_b64 exec, exec, s[0:1]
	v_cmp_gt_u32_e64 s[14:15], 4, v14
	s_and_saveexec_b64 s[20:21], s[14:15]
	s_cbranch_execz .LBB141_444
.LBB141_443:
	v_lshlrev_b32_e32 v31, 3, v0
	v_mov_b32_e32 v33, 0
	ds_read_b64 v[31:32], v31 offset:14048
	ds_read_b64 v[33:34], v33 offset:12504
	s_waitcnt lgkmcnt(0)
	v_fma_f64 v[10:11], v[31:32], v[33:34], v[10:11]
.LBB141_444:
	s_or_b64 exec, exec, s[20:21]
	v_xor_b32_e32 v11, 0x80000000, v11
.LBB141_445:
	s_or_b64 exec, exec, s[16:17]
	s_and_saveexec_b64 s[0:1], s[48:49]
; %bb.446:
	ds_write_b64 v18, v[10:11]
; %bb.447:
	s_or_b64 exec, exec, s[0:1]
	s_waitcnt lgkmcnt(0)
	s_barrier
	s_and_saveexec_b64 s[0:1], s[50:51]
	s_cbranch_execz .LBB141_449
; %bb.448:
	ds_read_b64 v[31:32], v17 offset:14560
	ds_read_b64 v[33:34], v18
	s_waitcnt lgkmcnt(0)
	v_fma_f64 v[10:11], v[31:32], v[33:34], v[10:11]
.LBB141_449:
	s_or_b64 exec, exec, s[0:1]
	s_barrier
	s_and_saveexec_b64 s[0:1], s[52:53]
; %bb.450:
	ds_write_b64 v18, v[10:11]
; %bb.451:
	s_or_b64 exec, exec, s[0:1]
	s_waitcnt lgkmcnt(0)
	s_barrier
	s_and_saveexec_b64 s[0:1], s[54:55]
	s_cbranch_execz .LBB141_453
; %bb.452:
	ds_read_b64 v[31:32], v17 offset:15072
	ds_read_b64 v[33:34], v18
	s_waitcnt lgkmcnt(0)
	v_fma_f64 v[10:11], v[31:32], v[33:34], v[10:11]
.LBB141_453:
	s_or_b64 exec, exec, s[0:1]
	s_barrier
	s_and_saveexec_b64 s[0:1], s[56:57]
; %bb.454:
	ds_write_b64 v18, v[10:11]
; %bb.455:
	s_or_b64 exec, exec, s[0:1]
	s_waitcnt lgkmcnt(0)
	s_barrier
	s_and_saveexec_b64 s[0:1], s[46:47]
	s_cbranch_execz .LBB141_457
; %bb.456:
	v_mov_b32_e32 v31, 0
	ds_read_b64 v[31:32], v31 offset:15608
	ds_read_b64 v[33:34], v18
	s_waitcnt lgkmcnt(0)
	v_fma_f64 v[10:11], v[31:32], v[33:34], v[10:11]
.LBB141_457:
	s_or_b64 exec, exec, s[0:1]
	s_barrier
	s_and_saveexec_b64 s[0:1], s[46:47]
; %bb.458:
	ds_write_b64 v18, v[10:11]
; %bb.459:
	s_or_b64 exec, exec, s[0:1]
	s_waitcnt lgkmcnt(0)
	s_barrier
	s_barrier
	s_and_saveexec_b64 s[0:1], s[18:19]
; %bb.460:
	v_xor_b32_e32 v11, 0x80000000, v11
	ds_write_b64 v16, v[10:11] offset:12512
; %bb.461:
	s_or_b64 exec, exec, s[0:1]
	s_waitcnt lgkmcnt(0)
	s_barrier
	s_barrier
	s_and_saveexec_b64 s[14:15], s[58:59]
	s_cbranch_execz .LBB141_463
; %bb.462:
	v_lshlrev_b32_e32 v31, 9, v0
	ds_read_b64 v[10:11], v31 offset:12512
	s_movk_i32 s0, 0xfe08
	v_mad_i32_i24 v32, v0, s0, v31
	s_waitcnt lgkmcnt(0)
	ds_write_b64 v32, v[10:11] offset:14528
	ds_read_b64 v[10:11], v31 offset:12520
	s_waitcnt lgkmcnt(0)
	ds_write_b64 v32, v[10:11] offset:15040
	ds_read_b64 v[10:11], v31 offset:12528
	;; [unrolled: 3-line block ×3, first 2 shown]
	s_waitcnt lgkmcnt(0)
	ds_write_b64 v32, v[10:11] offset:16064
.LBB141_463:
	s_or_b64 exec, exec, s[14:15]
	s_waitcnt lgkmcnt(0)
	s_barrier
	s_and_saveexec_b64 s[14:15], vcc
	s_cbranch_execz .LBB141_465
; %bb.464:
	v_mov_b32_e32 v33, 0
	ds_read_b64 v[31:32], v33 offset:14568
	v_mov_b32_e32 v34, 0x3ff00000
	ds_write_b64 v33, v[33:34] offset:14560
	s_waitcnt lgkmcnt(1)
	ds_write_b128 v33, v[31:34] offset:15072
.LBB141_465:
	s_or_b64 exec, exec, s[14:15]
	v_mov_b32_e32 v10, 0
	v_mov_b32_e32 v11, 0
	s_waitcnt lgkmcnt(0)
	s_barrier
	s_and_saveexec_b64 s[16:17], s[2:3]
	s_cbranch_execz .LBB141_469
; %bb.466:
	v_mul_u32_u24_e32 v31, 0x208, v15
	ds_read_b64 v[10:11], v12 offset:14576
	ds_read_b64 v[31:32], v31 offset:14560
	v_cmp_gt_u32_e64 s[14:15], 2, v14
	s_waitcnt lgkmcnt(0)
	v_fma_f64 v[10:11], v[10:11], v[31:32], 0
	s_and_saveexec_b64 s[20:21], s[14:15]
	s_cbranch_execz .LBB141_468
; %bb.467:
	v_lshlrev_b32_e32 v31, 3, v0
	v_mov_b32_e32 v33, 0
	ds_read_b64 v[31:32], v31 offset:15088
	ds_read_b64 v[33:34], v33 offset:14568
	s_waitcnt lgkmcnt(0)
	v_fma_f64 v[10:11], v[31:32], v[33:34], v[10:11]
.LBB141_468:
	s_or_b64 exec, exec, s[20:21]
	v_xor_b32_e32 v11, 0x80000000, v11
.LBB141_469:
	s_or_b64 exec, exec, s[16:17]
	s_and_saveexec_b64 s[0:1], s[42:43]
; %bb.470:
	ds_write_b64 v13, v[10:11]
; %bb.471:
	s_or_b64 exec, exec, s[0:1]
	s_waitcnt lgkmcnt(0)
	s_barrier
	s_and_saveexec_b64 s[0:1], s[40:41]
	s_cbranch_execz .LBB141_473
; %bb.472:
	v_mov_b32_e32 v31, 0
	ds_read_b64 v[31:32], v31 offset:15608
	ds_read_b64 v[33:34], v13
	s_waitcnt lgkmcnt(0)
	v_fma_f64 v[10:11], v[31:32], v[33:34], v[10:11]
.LBB141_473:
	s_or_b64 exec, exec, s[0:1]
	s_barrier
	s_and_saveexec_b64 s[0:1], s[40:41]
; %bb.474:
	ds_write_b64 v13, v[10:11]
; %bb.475:
	s_or_b64 exec, exec, s[0:1]
	s_waitcnt lgkmcnt(0)
	s_barrier
	s_barrier
	s_and_saveexec_b64 s[0:1], s[2:3]
; %bb.476:
	v_xor_b32_e32 v11, 0x80000000, v11
	ds_write_b64 v12, v[10:11] offset:14576
; %bb.477:
	s_or_b64 exec, exec, s[0:1]
	s_waitcnt lgkmcnt(0)
	s_barrier
	s_barrier
	s_and_saveexec_b64 s[14:15], s[44:45]
	s_cbranch_execz .LBB141_479
; %bb.478:
	v_lshlrev_b32_e32 v31, 3, v0
	s_movk_i32 s0, 0x1f8
	v_mad_u32_u24 v32, v0, s0, v31
	ds_read_b64 v[10:11], v32 offset:14576
	s_waitcnt lgkmcnt(0)
	ds_write_b64 v31, v[10:11] offset:15584
	ds_read_b64 v[10:11], v32 offset:14584
	s_waitcnt lgkmcnt(0)
	ds_write_b64 v31, v[10:11] offset:16096
.LBB141_479:
	s_or_b64 exec, exec, s[14:15]
	s_waitcnt lgkmcnt(0)
	s_barrier
	s_and_saveexec_b64 s[14:15], vcc
	s_cbranch_execz .LBB141_481
; %bb.480:
	v_mov_b32_e32 v33, 0
	ds_read_b64 v[31:32], v33 offset:15608
	v_mov_b32_e32 v34, 0x3ff00000
	ds_write_b64 v33, v[33:34] offset:15600
	s_waitcnt lgkmcnt(1)
	ds_write_b128 v33, v[31:34] offset:16112
.LBB141_481:
	s_or_b64 exec, exec, s[14:15]
	v_and_b32_e32 v33, 31, v0
	s_movk_i32 s0, 0x3ff
	v_lshrrev_b32_e32 v34, 5, v14
	v_cmp_lt_u32_e64 s[16:17], s0, v14
	s_movk_i32 s0, 0x400
	v_lshlrev_b32_e32 v32, 3, v33
	v_mov_b32_e32 v10, 0
	v_cmp_gt_u32_e64 s[14:15], s0, v14
	v_mov_b32_e32 v11, 0
	v_lshl_or_b32 v31, v34, 9, v32
	s_waitcnt lgkmcnt(0)
	s_barrier
	s_and_saveexec_b64 s[94:95], s[14:15]
	s_cbranch_execz .LBB141_543
; %bb.482:
	v_mul_u32_u24_e32 v35, 0x208, v34
	ds_read_b64 v[10:11], v31 offset:256
	ds_read_b64 v[36:37], v35
	s_movk_i32 s0, 0x3e0
	v_cmp_gt_u32_e64 s[20:21], s0, v14
	s_waitcnt lgkmcnt(0)
	v_fma_f64 v[10:11], v[10:11], v[36:37], 0
	s_and_saveexec_b64 s[0:1], s[20:21]
	s_cbranch_execz .LBB141_484
; %bb.483:
	ds_read_b64 v[36:37], v31 offset:768
	ds_read_b64 v[38:39], v35 offset:8
	s_waitcnt lgkmcnt(0)
	v_fma_f64 v[10:11], v[36:37], v[38:39], v[10:11]
.LBB141_484:
	s_or_b64 exec, exec, s[0:1]
	s_movk_i32 s0, 0x3c0
	v_cmp_gt_u32_e64 s[20:21], s0, v14
	s_and_saveexec_b64 s[0:1], s[20:21]
	s_cbranch_execz .LBB141_486
; %bb.485:
	ds_read_b64 v[36:37], v31 offset:1280
	ds_read_b64 v[38:39], v35 offset:16
	s_waitcnt lgkmcnt(0)
	v_fma_f64 v[10:11], v[36:37], v[38:39], v[10:11]
.LBB141_486:
	s_or_b64 exec, exec, s[0:1]
	s_movk_i32 s0, 0x3a0
	v_cmp_gt_u32_e64 s[20:21], s0, v14
	;; [unrolled: 11-line block ×28, first 2 shown]
	s_and_saveexec_b64 s[0:1], s[20:21]
	s_cbranch_execnz .LBB141_1194
; %bb.539:
	s_or_b64 exec, exec, s[0:1]
	v_cmp_gt_u32_e64 s[20:21], 64, v14
	s_and_saveexec_b64 s[0:1], s[20:21]
	s_cbranch_execnz .LBB141_1195
.LBB141_540:
	s_or_b64 exec, exec, s[0:1]
	v_cmp_gt_u32_e64 s[20:21], 32, v14
	s_and_saveexec_b64 s[0:1], s[20:21]
	s_cbranch_execz .LBB141_542
.LBB141_541:
	v_lshlrev_b32_e32 v35, 3, v0
	v_mov_b32_e32 v37, 0
	ds_read_b64 v[35:36], v35 offset:16128
	ds_read_b64 v[37:38], v37 offset:248
	s_waitcnt lgkmcnt(0)
	v_fma_f64 v[10:11], v[35:36], v[37:38], v[10:11]
.LBB141_542:
	s_or_b64 exec, exec, s[0:1]
	v_xor_b32_e32 v11, 0x80000000, v11
.LBB141_543:
	s_or_b64 exec, exec, s[94:95]
	v_mov_b32_e32 v35, 0x8000
	v_cmp_eq_u32_e64 s[20:21], 0, v33
	s_xor_b64 s[94:95], s[16:17], -1
	v_lshl_or_b32 v34, v34, 3, v35
	s_and_b64 s[16:17], s[94:95], s[20:21]
	s_and_saveexec_b64 s[0:1], s[16:17]
; %bb.544:
	ds_write_b64 v34, v[10:11]
; %bb.545:
	s_or_b64 exec, exec, s[0:1]
	v_cmp_ne_u32_e64 s[16:17], 0, v33
	s_and_b64 s[16:17], s[94:95], s[16:17]
	s_waitcnt lgkmcnt(0)
	s_barrier
	s_and_saveexec_b64 s[0:1], s[16:17]
	s_cbranch_execz .LBB141_547
; %bb.546:
	ds_read_b64 v[35:36], v32 offset:16640
	ds_read_b64 v[37:38], v34
	s_waitcnt lgkmcnt(0)
	v_fma_f64 v[10:11], v[35:36], v[37:38], v[10:11]
.LBB141_547:
	s_or_b64 exec, exec, s[0:1]
	v_cmp_eq_u32_e64 s[16:17], 1, v33
	s_and_b64 s[16:17], s[94:95], s[16:17]
	s_barrier
	s_and_saveexec_b64 s[0:1], s[16:17]
; %bb.548:
	ds_write_b64 v34, v[10:11]
; %bb.549:
	s_or_b64 exec, exec, s[0:1]
	v_cmp_lt_u32_e64 s[16:17], 1, v33
	s_and_b64 s[16:17], s[94:95], s[16:17]
	s_waitcnt lgkmcnt(0)
	s_barrier
	s_and_saveexec_b64 s[0:1], s[16:17]
	s_cbranch_execz .LBB141_551
; %bb.550:
	ds_read_b64 v[35:36], v32 offset:17152
	ds_read_b64 v[37:38], v34
	s_waitcnt lgkmcnt(0)
	v_fma_f64 v[10:11], v[35:36], v[37:38], v[10:11]
.LBB141_551:
	s_or_b64 exec, exec, s[0:1]
	v_cmp_eq_u32_e64 s[16:17], 2, v33
	s_and_b64 s[16:17], s[94:95], s[16:17]
	s_barrier
	s_and_saveexec_b64 s[0:1], s[16:17]
; %bb.552:
	ds_write_b64 v34, v[10:11]
; %bb.553:
	s_or_b64 exec, exec, s[0:1]
	v_cmp_lt_u32_e64 s[16:17], 2, v33
	;; [unrolled: 21-line block ×29, first 2 shown]
	s_and_b64 s[16:17], s[94:95], s[16:17]
	s_waitcnt lgkmcnt(0)
	s_barrier
	s_and_saveexec_b64 s[0:1], s[16:17]
	s_cbranch_execz .LBB141_663
; %bb.662:
	ds_read_b64 v[35:36], v32 offset:31488
	ds_read_b64 v[37:38], v34
	s_waitcnt lgkmcnt(0)
	v_fma_f64 v[10:11], v[35:36], v[37:38], v[10:11]
.LBB141_663:
	s_or_b64 exec, exec, s[0:1]
	v_cmp_eq_u32_e64 s[16:17], 30, v33
	s_and_b64 s[16:17], s[94:95], s[16:17]
	s_barrier
	s_and_saveexec_b64 s[0:1], s[16:17]
; %bb.664:
	ds_write_b64 v34, v[10:11]
; %bb.665:
	s_or_b64 exec, exec, s[0:1]
	v_cmp_eq_u32_e64 s[16:17], 31, v33
	s_and_b64 s[16:17], s[94:95], s[16:17]
	s_waitcnt lgkmcnt(0)
	s_barrier
	s_and_saveexec_b64 s[0:1], s[16:17]
	s_cbranch_execz .LBB141_667
; %bb.666:
	ds_read_b64 v[32:33], v32 offset:32000
	ds_read_b64 v[35:36], v34
	s_waitcnt lgkmcnt(0)
	v_fma_f64 v[10:11], v[32:33], v[35:36], v[10:11]
.LBB141_667:
	s_or_b64 exec, exec, s[0:1]
	s_barrier
	s_and_saveexec_b64 s[0:1], s[16:17]
; %bb.668:
	ds_write_b64 v34, v[10:11]
; %bb.669:
	s_or_b64 exec, exec, s[0:1]
	s_waitcnt lgkmcnt(0)
	s_barrier
	s_barrier
	s_and_saveexec_b64 s[0:1], s[14:15]
; %bb.670:
	v_xor_b32_e32 v11, 0x80000000, v11
	ds_write_b64 v31, v[10:11] offset:256
; %bb.671:
	s_or_b64 exec, exec, s[0:1]
	v_cmp_gt_u32_e64 s[14:15], 32, v0
	s_and_b64 s[0:1], s[12:13], s[14:15]
	s_waitcnt lgkmcnt(0)
	s_barrier
	s_barrier
	s_and_saveexec_b64 s[12:13], s[0:1]
	s_cbranch_execz .LBB141_673
; %bb.672:
	v_lshlrev_b32_e32 v31, 9, v0
	ds_read_b64 v[10:11], v31 offset:256
	s_movk_i32 s0, 0xfe08
	v_mad_i32_i24 v32, v0, s0, v31
	s_waitcnt lgkmcnt(0)
	ds_write_b64 v32, v[10:11] offset:16384
	ds_read_b64 v[10:11], v31 offset:264
	s_waitcnt lgkmcnt(0)
	ds_write_b64 v32, v[10:11] offset:16896
	ds_read_b64 v[10:11], v31 offset:272
	s_waitcnt lgkmcnt(0)
	ds_write_b64 v32, v[10:11] offset:17408
	ds_read_b64 v[10:11], v31 offset:280
	s_waitcnt lgkmcnt(0)
	ds_write_b64 v32, v[10:11] offset:17920
	ds_read_b64 v[10:11], v31 offset:288
	s_waitcnt lgkmcnt(0)
	ds_write_b64 v32, v[10:11] offset:18432
	ds_read_b64 v[10:11], v31 offset:296
	s_waitcnt lgkmcnt(0)
	ds_write_b64 v32, v[10:11] offset:18944
	ds_read_b64 v[10:11], v31 offset:304
	s_waitcnt lgkmcnt(0)
	ds_write_b64 v32, v[10:11] offset:19456
	ds_read_b64 v[10:11], v31 offset:312
	s_waitcnt lgkmcnt(0)
	ds_write_b64 v32, v[10:11] offset:19968
	ds_read_b64 v[10:11], v31 offset:320
	s_waitcnt lgkmcnt(0)
	ds_write_b64 v32, v[10:11] offset:20480
	ds_read_b64 v[10:11], v31 offset:328
	s_waitcnt lgkmcnt(0)
	ds_write_b64 v32, v[10:11] offset:20992
	ds_read_b64 v[10:11], v31 offset:336
	s_waitcnt lgkmcnt(0)
	ds_write_b64 v32, v[10:11] offset:21504
	ds_read_b64 v[10:11], v31 offset:344
	s_waitcnt lgkmcnt(0)
	ds_write_b64 v32, v[10:11] offset:22016
	ds_read_b64 v[10:11], v31 offset:352
	s_waitcnt lgkmcnt(0)
	ds_write_b64 v32, v[10:11] offset:22528
	ds_read_b64 v[10:11], v31 offset:360
	s_waitcnt lgkmcnt(0)
	ds_write_b64 v32, v[10:11] offset:23040
	ds_read_b64 v[10:11], v31 offset:368
	s_waitcnt lgkmcnt(0)
	ds_write_b64 v32, v[10:11] offset:23552
	ds_read_b64 v[10:11], v31 offset:376
	s_waitcnt lgkmcnt(0)
	ds_write_b64 v32, v[10:11] offset:24064
	ds_read_b64 v[10:11], v31 offset:384
	s_waitcnt lgkmcnt(0)
	ds_write_b64 v32, v[10:11] offset:24576
	ds_read_b64 v[10:11], v31 offset:392
	s_waitcnt lgkmcnt(0)
	ds_write_b64 v32, v[10:11] offset:25088
	ds_read_b64 v[10:11], v31 offset:400
	s_waitcnt lgkmcnt(0)
	ds_write_b64 v32, v[10:11] offset:25600
	ds_read_b64 v[10:11], v31 offset:408
	s_waitcnt lgkmcnt(0)
	ds_write_b64 v32, v[10:11] offset:26112
	ds_read_b64 v[10:11], v31 offset:416
	s_waitcnt lgkmcnt(0)
	ds_write_b64 v32, v[10:11] offset:26624
	ds_read_b64 v[10:11], v31 offset:424
	s_waitcnt lgkmcnt(0)
	ds_write_b64 v32, v[10:11] offset:27136
	ds_read_b64 v[10:11], v31 offset:432
	s_waitcnt lgkmcnt(0)
	ds_write_b64 v32, v[10:11] offset:27648
	ds_read_b64 v[10:11], v31 offset:440
	s_waitcnt lgkmcnt(0)
	ds_write_b64 v32, v[10:11] offset:28160
	ds_read_b64 v[10:11], v31 offset:448
	s_waitcnt lgkmcnt(0)
	ds_write_b64 v32, v[10:11] offset:28672
	ds_read_b64 v[10:11], v31 offset:456
	s_waitcnt lgkmcnt(0)
	ds_write_b64 v32, v[10:11] offset:29184
	ds_read_b64 v[10:11], v31 offset:464
	s_waitcnt lgkmcnt(0)
	ds_write_b64 v32, v[10:11] offset:29696
	ds_read_b64 v[10:11], v31 offset:472
	s_waitcnt lgkmcnt(0)
	ds_write_b64 v32, v[10:11] offset:30208
	ds_read_b64 v[10:11], v31 offset:480
	s_waitcnt lgkmcnt(0)
	ds_write_b64 v32, v[10:11] offset:30720
	ds_read_b64 v[10:11], v31 offset:488
	s_waitcnt lgkmcnt(0)
	ds_write_b64 v32, v[10:11] offset:31232
	ds_read_b64 v[10:11], v31 offset:496
	s_waitcnt lgkmcnt(0)
	ds_write_b64 v32, v[10:11] offset:31744
	ds_read_b64 v[10:11], v31 offset:504
	s_waitcnt lgkmcnt(0)
	ds_write_b64 v32, v[10:11] offset:32256
.LBB141_673:
	s_or_b64 exec, exec, s[12:13]
	s_waitcnt lgkmcnt(0)
	s_barrier
	s_and_saveexec_b64 s[12:13], vcc
	s_cbranch_execz .LBB141_675
; %bb.674:
	v_mov_b32_e32 v33, 0
	ds_read_b64 v[31:32], v33 offset:16648
	v_mov_b32_e32 v34, 0x3ff00000
	ds_write_b64 v33, v[33:34] offset:16640
	s_waitcnt lgkmcnt(1)
	ds_write_b128 v33, v[31:34] offset:17152
.LBB141_675:
	s_or_b64 exec, exec, s[12:13]
	v_mov_b32_e32 v10, 0
	v_mov_b32_e32 v11, 0
	s_waitcnt lgkmcnt(0)
	s_barrier
	s_and_saveexec_b64 s[14:15], s[2:3]
	s_cbranch_execz .LBB141_679
; %bb.676:
	v_mul_u32_u24_e32 v31, 0x208, v15
	ds_read_b64 v[10:11], v12 offset:16656
	ds_read_b64 v[31:32], v31 offset:16640
	v_cmp_gt_u32_e64 s[12:13], 2, v14
	s_waitcnt lgkmcnt(0)
	v_fma_f64 v[10:11], v[10:11], v[31:32], 0
	s_and_saveexec_b64 s[16:17], s[12:13]
	s_cbranch_execz .LBB141_678
; %bb.677:
	v_lshlrev_b32_e32 v31, 3, v0
	v_mov_b32_e32 v33, 0
	ds_read_b64 v[31:32], v31 offset:17168
	ds_read_b64 v[33:34], v33 offset:16648
	s_waitcnt lgkmcnt(0)
	v_fma_f64 v[10:11], v[31:32], v[33:34], v[10:11]
.LBB141_678:
	s_or_b64 exec, exec, s[16:17]
	v_xor_b32_e32 v11, 0x80000000, v11
.LBB141_679:
	s_or_b64 exec, exec, s[14:15]
	s_and_saveexec_b64 s[0:1], s[42:43]
; %bb.680:
	ds_write_b64 v13, v[10:11]
; %bb.681:
	s_or_b64 exec, exec, s[0:1]
	s_waitcnt lgkmcnt(0)
	s_barrier
	s_and_saveexec_b64 s[0:1], s[40:41]
	s_cbranch_execz .LBB141_683
; %bb.682:
	v_mov_b32_e32 v31, 0
	ds_read_b64 v[31:32], v31 offset:17688
	ds_read_b64 v[33:34], v13
	s_waitcnt lgkmcnt(0)
	v_fma_f64 v[10:11], v[31:32], v[33:34], v[10:11]
.LBB141_683:
	s_or_b64 exec, exec, s[0:1]
	s_barrier
	s_and_saveexec_b64 s[0:1], s[40:41]
; %bb.684:
	ds_write_b64 v13, v[10:11]
; %bb.685:
	s_or_b64 exec, exec, s[0:1]
	s_waitcnt lgkmcnt(0)
	s_barrier
	s_barrier
	s_and_saveexec_b64 s[0:1], s[2:3]
; %bb.686:
	v_xor_b32_e32 v11, 0x80000000, v11
	ds_write_b64 v12, v[10:11] offset:16656
; %bb.687:
	s_or_b64 exec, exec, s[0:1]
	s_waitcnt lgkmcnt(0)
	s_barrier
	s_barrier
	s_and_saveexec_b64 s[0:1], s[44:45]
	s_cbranch_execz .LBB141_689
; %bb.688:
	v_lshlrev_b32_e32 v31, 3, v0
	s_movk_i32 s12, 0x1f8
	v_mad_u32_u24 v32, v0, s12, v31
	ds_read_b64 v[10:11], v32 offset:16656
	s_waitcnt lgkmcnt(0)
	ds_write_b64 v31, v[10:11] offset:17664
	ds_read_b64 v[10:11], v32 offset:16664
	s_waitcnt lgkmcnt(0)
	ds_write_b64 v31, v[10:11] offset:18176
.LBB141_689:
	s_or_b64 exec, exec, s[0:1]
	s_waitcnt lgkmcnt(0)
	s_barrier
	s_and_saveexec_b64 s[12:13], vcc
	s_cbranch_execz .LBB141_691
; %bb.690:
	v_mov_b32_e32 v33, 0
	ds_read_b64 v[31:32], v33 offset:17688
	v_mov_b32_e32 v34, 0x3ff00000
	ds_write_b64 v33, v[33:34] offset:17680
	s_waitcnt lgkmcnt(1)
	ds_write_b128 v33, v[31:34] offset:18192
.LBB141_691:
	s_or_b64 exec, exec, s[12:13]
	v_mov_b32_e32 v10, 0
	v_mov_b32_e32 v11, 0
	s_waitcnt lgkmcnt(0)
	s_barrier
	s_and_saveexec_b64 s[14:15], s[18:19]
	s_cbranch_execz .LBB141_697
; %bb.692:
	v_mul_u32_u24_e32 v31, 0x208, v20
	ds_read_b64 v[10:11], v16 offset:16672
	ds_read_b64 v[32:33], v31 offset:16640
	v_cmp_gt_u32_e64 s[12:13], 12, v14
	s_waitcnt lgkmcnt(0)
	v_fma_f64 v[10:11], v[10:11], v[32:33], 0
	s_and_saveexec_b64 s[16:17], s[12:13]
	s_cbranch_execnz .LBB141_1196
; %bb.693:
	s_or_b64 exec, exec, s[16:17]
	v_cmp_gt_u32_e64 s[12:13], 8, v14
	s_and_saveexec_b64 s[0:1], s[12:13]
	s_cbranch_execnz .LBB141_1197
.LBB141_694:
	s_or_b64 exec, exec, s[0:1]
	v_cmp_gt_u32_e64 s[12:13], 4, v14
	s_and_saveexec_b64 s[0:1], s[12:13]
	s_cbranch_execz .LBB141_696
.LBB141_695:
	v_lshlrev_b32_e32 v31, 3, v0
	v_mov_b32_e32 v33, 0
	ds_read_b64 v[31:32], v31 offset:18208
	ds_read_b64 v[33:34], v33 offset:16664
	s_waitcnt lgkmcnt(0)
	v_fma_f64 v[10:11], v[31:32], v[33:34], v[10:11]
.LBB141_696:
	s_or_b64 exec, exec, s[0:1]
	v_xor_b32_e32 v11, 0x80000000, v11
.LBB141_697:
	s_or_b64 exec, exec, s[14:15]
	s_and_saveexec_b64 s[0:1], s[48:49]
; %bb.698:
	ds_write_b64 v18, v[10:11]
; %bb.699:
	s_or_b64 exec, exec, s[0:1]
	s_waitcnt lgkmcnt(0)
	s_barrier
	s_and_saveexec_b64 s[0:1], s[50:51]
	s_cbranch_execz .LBB141_701
; %bb.700:
	ds_read_b64 v[31:32], v17 offset:18720
	ds_read_b64 v[33:34], v18
	s_waitcnt lgkmcnt(0)
	v_fma_f64 v[10:11], v[31:32], v[33:34], v[10:11]
.LBB141_701:
	s_or_b64 exec, exec, s[0:1]
	s_barrier
	s_and_saveexec_b64 s[0:1], s[52:53]
; %bb.702:
	ds_write_b64 v18, v[10:11]
; %bb.703:
	s_or_b64 exec, exec, s[0:1]
	s_waitcnt lgkmcnt(0)
	s_barrier
	s_and_saveexec_b64 s[0:1], s[54:55]
	s_cbranch_execz .LBB141_705
; %bb.704:
	ds_read_b64 v[31:32], v17 offset:19232
	ds_read_b64 v[33:34], v18
	s_waitcnt lgkmcnt(0)
	v_fma_f64 v[10:11], v[31:32], v[33:34], v[10:11]
.LBB141_705:
	s_or_b64 exec, exec, s[0:1]
	s_barrier
	s_and_saveexec_b64 s[0:1], s[56:57]
; %bb.706:
	ds_write_b64 v18, v[10:11]
; %bb.707:
	s_or_b64 exec, exec, s[0:1]
	s_waitcnt lgkmcnt(0)
	s_barrier
	s_and_saveexec_b64 s[0:1], s[46:47]
	s_cbranch_execz .LBB141_709
; %bb.708:
	v_mov_b32_e32 v31, 0
	ds_read_b64 v[31:32], v31 offset:19768
	ds_read_b64 v[33:34], v18
	s_waitcnt lgkmcnt(0)
	v_fma_f64 v[10:11], v[31:32], v[33:34], v[10:11]
.LBB141_709:
	s_or_b64 exec, exec, s[0:1]
	s_barrier
	s_and_saveexec_b64 s[0:1], s[46:47]
; %bb.710:
	ds_write_b64 v18, v[10:11]
; %bb.711:
	s_or_b64 exec, exec, s[0:1]
	s_waitcnt lgkmcnt(0)
	s_barrier
	s_barrier
	s_and_saveexec_b64 s[0:1], s[18:19]
; %bb.712:
	v_xor_b32_e32 v11, 0x80000000, v11
	ds_write_b64 v16, v[10:11] offset:16672
; %bb.713:
	s_or_b64 exec, exec, s[0:1]
	s_waitcnt lgkmcnt(0)
	s_barrier
	s_barrier
	s_and_saveexec_b64 s[12:13], s[58:59]
	s_cbranch_execz .LBB141_715
; %bb.714:
	v_lshlrev_b32_e32 v31, 9, v0
	ds_read_b64 v[10:11], v31 offset:16672
	s_movk_i32 s0, 0xfe08
	v_mad_i32_i24 v32, v0, s0, v31
	s_waitcnt lgkmcnt(0)
	ds_write_b64 v32, v[10:11] offset:18688
	ds_read_b64 v[10:11], v31 offset:16680
	s_waitcnt lgkmcnt(0)
	ds_write_b64 v32, v[10:11] offset:19200
	ds_read_b64 v[10:11], v31 offset:16688
	;; [unrolled: 3-line block ×3, first 2 shown]
	s_waitcnt lgkmcnt(0)
	ds_write_b64 v32, v[10:11] offset:20224
.LBB141_715:
	s_or_b64 exec, exec, s[12:13]
	s_waitcnt lgkmcnt(0)
	s_barrier
	s_and_saveexec_b64 s[12:13], vcc
	s_cbranch_execz .LBB141_717
; %bb.716:
	v_mov_b32_e32 v33, 0
	ds_read_b64 v[31:32], v33 offset:18728
	v_mov_b32_e32 v34, 0x3ff00000
	ds_write_b64 v33, v[33:34] offset:18720
	s_waitcnt lgkmcnt(1)
	ds_write_b128 v33, v[31:34] offset:19232
.LBB141_717:
	s_or_b64 exec, exec, s[12:13]
	v_mov_b32_e32 v10, 0
	v_mov_b32_e32 v11, 0
	s_waitcnt lgkmcnt(0)
	s_barrier
	s_and_saveexec_b64 s[14:15], s[2:3]
	s_cbranch_execz .LBB141_721
; %bb.718:
	v_mul_u32_u24_e32 v31, 0x208, v15
	ds_read_b64 v[10:11], v12 offset:18736
	ds_read_b64 v[31:32], v31 offset:18720
	v_cmp_gt_u32_e64 s[12:13], 2, v14
	s_waitcnt lgkmcnt(0)
	v_fma_f64 v[10:11], v[10:11], v[31:32], 0
	s_and_saveexec_b64 s[16:17], s[12:13]
	s_cbranch_execz .LBB141_720
; %bb.719:
	v_lshlrev_b32_e32 v31, 3, v0
	v_mov_b32_e32 v33, 0
	ds_read_b64 v[31:32], v31 offset:19248
	ds_read_b64 v[33:34], v33 offset:18728
	s_waitcnt lgkmcnt(0)
	v_fma_f64 v[10:11], v[31:32], v[33:34], v[10:11]
.LBB141_720:
	s_or_b64 exec, exec, s[16:17]
	v_xor_b32_e32 v11, 0x80000000, v11
.LBB141_721:
	s_or_b64 exec, exec, s[14:15]
	s_and_saveexec_b64 s[0:1], s[42:43]
; %bb.722:
	ds_write_b64 v13, v[10:11]
; %bb.723:
	s_or_b64 exec, exec, s[0:1]
	s_waitcnt lgkmcnt(0)
	s_barrier
	s_and_saveexec_b64 s[0:1], s[40:41]
	s_cbranch_execz .LBB141_725
; %bb.724:
	v_mov_b32_e32 v31, 0
	ds_read_b64 v[31:32], v31 offset:19768
	ds_read_b64 v[33:34], v13
	s_waitcnt lgkmcnt(0)
	v_fma_f64 v[10:11], v[31:32], v[33:34], v[10:11]
.LBB141_725:
	s_or_b64 exec, exec, s[0:1]
	s_barrier
	s_and_saveexec_b64 s[0:1], s[40:41]
; %bb.726:
	ds_write_b64 v13, v[10:11]
; %bb.727:
	s_or_b64 exec, exec, s[0:1]
	s_waitcnt lgkmcnt(0)
	s_barrier
	s_barrier
	s_and_saveexec_b64 s[0:1], s[2:3]
; %bb.728:
	v_xor_b32_e32 v11, 0x80000000, v11
	ds_write_b64 v12, v[10:11] offset:18736
; %bb.729:
	s_or_b64 exec, exec, s[0:1]
	s_waitcnt lgkmcnt(0)
	s_barrier
	s_barrier
	s_and_saveexec_b64 s[0:1], s[44:45]
	s_cbranch_execz .LBB141_731
; %bb.730:
	v_lshlrev_b32_e32 v31, 3, v0
	s_movk_i32 s12, 0x1f8
	v_mad_u32_u24 v32, v0, s12, v31
	ds_read_b64 v[10:11], v32 offset:18736
	s_waitcnt lgkmcnt(0)
	ds_write_b64 v31, v[10:11] offset:19744
	ds_read_b64 v[10:11], v32 offset:18744
	s_waitcnt lgkmcnt(0)
	ds_write_b64 v31, v[10:11] offset:20256
.LBB141_731:
	s_or_b64 exec, exec, s[0:1]
	s_waitcnt lgkmcnt(0)
	s_barrier
	s_and_saveexec_b64 s[12:13], vcc
	s_cbranch_execz .LBB141_733
; %bb.732:
	v_mov_b32_e32 v33, 0
	ds_read_b64 v[31:32], v33 offset:19768
	v_mov_b32_e32 v34, 0x3ff00000
	ds_write_b64 v33, v[33:34] offset:19760
	s_waitcnt lgkmcnt(1)
	ds_write_b128 v33, v[31:34] offset:20272
.LBB141_733:
	s_or_b64 exec, exec, s[12:13]
	v_mov_b32_e32 v10, 0
	v_mov_b32_e32 v11, 0
	s_waitcnt lgkmcnt(0)
	s_barrier
	s_and_saveexec_b64 s[14:15], s[8:9]
	s_cbranch_execz .LBB141_743
; %bb.734:
	v_mul_u32_u24_e32 v31, 0x208, v25
	ds_read_b64 v[10:11], v21 offset:16704
	ds_read_b64 v[32:33], v31 offset:16640
	v_cmp_gt_u32_e64 s[12:13], 56, v14
	s_waitcnt lgkmcnt(0)
	v_fma_f64 v[10:11], v[10:11], v[32:33], 0
	s_and_saveexec_b64 s[16:17], s[12:13]
	s_cbranch_execnz .LBB141_1198
; %bb.735:
	s_or_b64 exec, exec, s[16:17]
	v_cmp_gt_u32_e64 s[12:13], 48, v14
	s_and_saveexec_b64 s[0:1], s[12:13]
	s_cbranch_execnz .LBB141_1199
.LBB141_736:
	s_or_b64 exec, exec, s[0:1]
	v_cmp_gt_u32_e64 s[12:13], 40, v14
	s_and_saveexec_b64 s[0:1], s[12:13]
	s_cbranch_execnz .LBB141_1200
.LBB141_737:
	s_or_b64 exec, exec, s[0:1]
	v_cmp_gt_u32_e64 s[12:13], 32, v14
	s_and_saveexec_b64 s[0:1], s[12:13]
	s_cbranch_execnz .LBB141_1201
.LBB141_738:
	s_or_b64 exec, exec, s[0:1]
	v_cmp_gt_u32_e64 s[12:13], 24, v14
	s_and_saveexec_b64 s[0:1], s[12:13]
	s_cbranch_execnz .LBB141_1202
.LBB141_739:
	s_or_b64 exec, exec, s[0:1]
	v_cmp_gt_u32_e64 s[12:13], 16, v14
	s_and_saveexec_b64 s[0:1], s[12:13]
	s_cbranch_execnz .LBB141_1203
.LBB141_740:
	s_or_b64 exec, exec, s[0:1]
	v_cmp_gt_u32_e64 s[12:13], 8, v14
	s_and_saveexec_b64 s[0:1], s[12:13]
	s_cbranch_execz .LBB141_742
.LBB141_741:
	v_lshlrev_b32_e32 v31, 3, v0
	v_mov_b32_e32 v33, 0
	ds_read_b64 v[31:32], v31 offset:20288
	ds_read_b64 v[33:34], v33 offset:16696
	s_waitcnt lgkmcnt(0)
	v_fma_f64 v[10:11], v[31:32], v[33:34], v[10:11]
.LBB141_742:
	s_or_b64 exec, exec, s[0:1]
	v_xor_b32_e32 v11, 0x80000000, v11
.LBB141_743:
	s_or_b64 exec, exec, s[14:15]
	s_and_saveexec_b64 s[0:1], s[60:61]
; %bb.744:
	ds_write_b64 v23, v[10:11]
; %bb.745:
	s_or_b64 exec, exec, s[0:1]
	s_waitcnt lgkmcnt(0)
	s_barrier
	s_and_saveexec_b64 s[0:1], s[62:63]
	s_cbranch_execz .LBB141_747
; %bb.746:
	ds_read_b64 v[31:32], v22 offset:20800
	ds_read_b64 v[33:34], v23
	s_waitcnt lgkmcnt(0)
	v_fma_f64 v[10:11], v[31:32], v[33:34], v[10:11]
.LBB141_747:
	s_or_b64 exec, exec, s[0:1]
	s_barrier
	s_and_saveexec_b64 s[0:1], s[64:65]
; %bb.748:
	ds_write_b64 v23, v[10:11]
; %bb.749:
	s_or_b64 exec, exec, s[0:1]
	s_waitcnt lgkmcnt(0)
	s_barrier
	s_and_saveexec_b64 s[0:1], s[66:67]
	s_cbranch_execz .LBB141_751
; %bb.750:
	ds_read_b64 v[31:32], v22 offset:21312
	ds_read_b64 v[33:34], v23
	s_waitcnt lgkmcnt(0)
	v_fma_f64 v[10:11], v[31:32], v[33:34], v[10:11]
.LBB141_751:
	s_or_b64 exec, exec, s[0:1]
	s_barrier
	;; [unrolled: 17-line block ×6, first 2 shown]
	s_and_saveexec_b64 s[0:1], s[86:87]
; %bb.768:
	ds_write_b64 v23, v[10:11]
; %bb.769:
	s_or_b64 exec, exec, s[0:1]
	s_waitcnt lgkmcnt(0)
	s_barrier
	s_and_saveexec_b64 s[0:1], s[70:71]
	s_cbranch_execz .LBB141_771
; %bb.770:
	v_mov_b32_e32 v31, 0
	ds_read_b64 v[31:32], v31 offset:23928
	ds_read_b64 v[33:34], v23
	s_waitcnt lgkmcnt(0)
	v_fma_f64 v[10:11], v[31:32], v[33:34], v[10:11]
.LBB141_771:
	s_or_b64 exec, exec, s[0:1]
	s_barrier
	s_and_saveexec_b64 s[0:1], s[70:71]
; %bb.772:
	ds_write_b64 v23, v[10:11]
; %bb.773:
	s_or_b64 exec, exec, s[0:1]
	s_waitcnt lgkmcnt(0)
	s_barrier
	s_barrier
	s_and_saveexec_b64 s[0:1], s[8:9]
; %bb.774:
	v_xor_b32_e32 v11, 0x80000000, v11
	ds_write_b64 v21, v[10:11] offset:16704
; %bb.775:
	s_or_b64 exec, exec, s[0:1]
	s_waitcnt lgkmcnt(0)
	s_barrier
	s_barrier
	s_and_saveexec_b64 s[12:13], s[88:89]
	s_cbranch_execz .LBB141_777
; %bb.776:
	v_lshlrev_b32_e32 v31, 9, v0
	ds_read_b64 v[10:11], v31 offset:16704
	s_movk_i32 s0, 0xfe08
	v_mad_i32_i24 v32, v0, s0, v31
	s_waitcnt lgkmcnt(0)
	ds_write_b64 v32, v[10:11] offset:20736
	ds_read_b64 v[10:11], v31 offset:16712
	s_waitcnt lgkmcnt(0)
	ds_write_b64 v32, v[10:11] offset:21248
	ds_read_b64 v[10:11], v31 offset:16720
	;; [unrolled: 3-line block ×7, first 2 shown]
	s_waitcnt lgkmcnt(0)
	ds_write_b64 v32, v[10:11] offset:24320
.LBB141_777:
	s_or_b64 exec, exec, s[12:13]
	s_waitcnt lgkmcnt(0)
	s_barrier
	s_and_saveexec_b64 s[12:13], vcc
	s_cbranch_execz .LBB141_779
; %bb.778:
	v_mov_b32_e32 v33, 0
	ds_read_b64 v[31:32], v33 offset:20808
	v_mov_b32_e32 v34, 0x3ff00000
	ds_write_b64 v33, v[33:34] offset:20800
	s_waitcnt lgkmcnt(1)
	ds_write_b128 v33, v[31:34] offset:21312
.LBB141_779:
	s_or_b64 exec, exec, s[12:13]
	v_mov_b32_e32 v10, 0
	v_mov_b32_e32 v11, 0
	s_waitcnt lgkmcnt(0)
	s_barrier
	s_and_saveexec_b64 s[14:15], s[2:3]
	s_cbranch_execz .LBB141_783
; %bb.780:
	v_mul_u32_u24_e32 v31, 0x208, v15
	ds_read_b64 v[10:11], v12 offset:20816
	ds_read_b64 v[31:32], v31 offset:20800
	v_cmp_gt_u32_e64 s[12:13], 2, v14
	s_waitcnt lgkmcnt(0)
	v_fma_f64 v[10:11], v[10:11], v[31:32], 0
	s_and_saveexec_b64 s[16:17], s[12:13]
	s_cbranch_execz .LBB141_782
; %bb.781:
	v_lshlrev_b32_e32 v31, 3, v0
	v_mov_b32_e32 v33, 0
	ds_read_b64 v[31:32], v31 offset:21328
	ds_read_b64 v[33:34], v33 offset:20808
	s_waitcnt lgkmcnt(0)
	v_fma_f64 v[10:11], v[31:32], v[33:34], v[10:11]
.LBB141_782:
	s_or_b64 exec, exec, s[16:17]
	v_xor_b32_e32 v11, 0x80000000, v11
.LBB141_783:
	s_or_b64 exec, exec, s[14:15]
	s_and_saveexec_b64 s[0:1], s[42:43]
; %bb.784:
	ds_write_b64 v13, v[10:11]
; %bb.785:
	s_or_b64 exec, exec, s[0:1]
	s_waitcnt lgkmcnt(0)
	s_barrier
	s_and_saveexec_b64 s[0:1], s[40:41]
	s_cbranch_execz .LBB141_787
; %bb.786:
	v_mov_b32_e32 v31, 0
	ds_read_b64 v[31:32], v31 offset:21848
	ds_read_b64 v[33:34], v13
	s_waitcnt lgkmcnt(0)
	v_fma_f64 v[10:11], v[31:32], v[33:34], v[10:11]
.LBB141_787:
	s_or_b64 exec, exec, s[0:1]
	s_barrier
	s_and_saveexec_b64 s[0:1], s[40:41]
; %bb.788:
	ds_write_b64 v13, v[10:11]
; %bb.789:
	s_or_b64 exec, exec, s[0:1]
	s_waitcnt lgkmcnt(0)
	s_barrier
	s_barrier
	s_and_saveexec_b64 s[0:1], s[2:3]
; %bb.790:
	v_xor_b32_e32 v11, 0x80000000, v11
	ds_write_b64 v12, v[10:11] offset:20816
; %bb.791:
	s_or_b64 exec, exec, s[0:1]
	s_waitcnt lgkmcnt(0)
	s_barrier
	s_barrier
	s_and_saveexec_b64 s[0:1], s[44:45]
	s_cbranch_execz .LBB141_793
; %bb.792:
	v_lshlrev_b32_e32 v31, 3, v0
	s_movk_i32 s12, 0x1f8
	v_mad_u32_u24 v32, v0, s12, v31
	ds_read_b64 v[10:11], v32 offset:20816
	s_waitcnt lgkmcnt(0)
	ds_write_b64 v31, v[10:11] offset:21824
	ds_read_b64 v[10:11], v32 offset:20824
	s_waitcnt lgkmcnt(0)
	ds_write_b64 v31, v[10:11] offset:22336
.LBB141_793:
	s_or_b64 exec, exec, s[0:1]
	s_waitcnt lgkmcnt(0)
	s_barrier
	s_and_saveexec_b64 s[12:13], vcc
	s_cbranch_execz .LBB141_795
; %bb.794:
	v_mov_b32_e32 v33, 0
	ds_read_b64 v[31:32], v33 offset:21848
	v_mov_b32_e32 v34, 0x3ff00000
	ds_write_b64 v33, v[33:34] offset:21840
	s_waitcnt lgkmcnt(1)
	ds_write_b128 v33, v[31:34] offset:22352
.LBB141_795:
	s_or_b64 exec, exec, s[12:13]
	v_mov_b32_e32 v10, 0
	v_mov_b32_e32 v11, 0
	s_waitcnt lgkmcnt(0)
	s_barrier
	s_and_saveexec_b64 s[14:15], s[18:19]
	s_cbranch_execz .LBB141_801
; %bb.796:
	v_mul_u32_u24_e32 v31, 0x208, v20
	ds_read_b64 v[10:11], v16 offset:20832
	ds_read_b64 v[32:33], v31 offset:20800
	v_cmp_gt_u32_e64 s[12:13], 12, v14
	s_waitcnt lgkmcnt(0)
	v_fma_f64 v[10:11], v[10:11], v[32:33], 0
	s_and_saveexec_b64 s[16:17], s[12:13]
	s_cbranch_execnz .LBB141_1204
; %bb.797:
	s_or_b64 exec, exec, s[16:17]
	v_cmp_gt_u32_e64 s[12:13], 8, v14
	s_and_saveexec_b64 s[0:1], s[12:13]
	s_cbranch_execnz .LBB141_1205
.LBB141_798:
	s_or_b64 exec, exec, s[0:1]
	v_cmp_gt_u32_e64 s[12:13], 4, v14
	s_and_saveexec_b64 s[0:1], s[12:13]
	s_cbranch_execz .LBB141_800
.LBB141_799:
	v_lshlrev_b32_e32 v31, 3, v0
	v_mov_b32_e32 v33, 0
	ds_read_b64 v[31:32], v31 offset:22368
	ds_read_b64 v[33:34], v33 offset:20824
	s_waitcnt lgkmcnt(0)
	v_fma_f64 v[10:11], v[31:32], v[33:34], v[10:11]
.LBB141_800:
	s_or_b64 exec, exec, s[0:1]
	v_xor_b32_e32 v11, 0x80000000, v11
.LBB141_801:
	s_or_b64 exec, exec, s[14:15]
	s_and_saveexec_b64 s[0:1], s[48:49]
; %bb.802:
	ds_write_b64 v18, v[10:11]
; %bb.803:
	s_or_b64 exec, exec, s[0:1]
	s_waitcnt lgkmcnt(0)
	s_barrier
	s_and_saveexec_b64 s[0:1], s[50:51]
	s_cbranch_execz .LBB141_805
; %bb.804:
	ds_read_b64 v[31:32], v17 offset:22880
	ds_read_b64 v[33:34], v18
	s_waitcnt lgkmcnt(0)
	v_fma_f64 v[10:11], v[31:32], v[33:34], v[10:11]
.LBB141_805:
	s_or_b64 exec, exec, s[0:1]
	s_barrier
	s_and_saveexec_b64 s[0:1], s[52:53]
; %bb.806:
	ds_write_b64 v18, v[10:11]
; %bb.807:
	s_or_b64 exec, exec, s[0:1]
	s_waitcnt lgkmcnt(0)
	s_barrier
	s_and_saveexec_b64 s[0:1], s[54:55]
	s_cbranch_execz .LBB141_809
; %bb.808:
	ds_read_b64 v[31:32], v17 offset:23392
	ds_read_b64 v[33:34], v18
	s_waitcnt lgkmcnt(0)
	v_fma_f64 v[10:11], v[31:32], v[33:34], v[10:11]
.LBB141_809:
	s_or_b64 exec, exec, s[0:1]
	s_barrier
	s_and_saveexec_b64 s[0:1], s[56:57]
; %bb.810:
	ds_write_b64 v18, v[10:11]
; %bb.811:
	s_or_b64 exec, exec, s[0:1]
	s_waitcnt lgkmcnt(0)
	s_barrier
	s_and_saveexec_b64 s[0:1], s[46:47]
	s_cbranch_execz .LBB141_813
; %bb.812:
	v_mov_b32_e32 v31, 0
	ds_read_b64 v[31:32], v31 offset:23928
	ds_read_b64 v[33:34], v18
	s_waitcnt lgkmcnt(0)
	v_fma_f64 v[10:11], v[31:32], v[33:34], v[10:11]
.LBB141_813:
	s_or_b64 exec, exec, s[0:1]
	s_barrier
	s_and_saveexec_b64 s[0:1], s[46:47]
; %bb.814:
	ds_write_b64 v18, v[10:11]
; %bb.815:
	s_or_b64 exec, exec, s[0:1]
	s_waitcnt lgkmcnt(0)
	s_barrier
	s_barrier
	s_and_saveexec_b64 s[0:1], s[18:19]
; %bb.816:
	v_xor_b32_e32 v11, 0x80000000, v11
	ds_write_b64 v16, v[10:11] offset:20832
; %bb.817:
	s_or_b64 exec, exec, s[0:1]
	s_waitcnt lgkmcnt(0)
	s_barrier
	s_barrier
	s_and_saveexec_b64 s[12:13], s[58:59]
	s_cbranch_execz .LBB141_819
; %bb.818:
	v_lshlrev_b32_e32 v31, 9, v0
	ds_read_b64 v[10:11], v31 offset:20832
	s_movk_i32 s0, 0xfe08
	v_mad_i32_i24 v32, v0, s0, v31
	s_waitcnt lgkmcnt(0)
	ds_write_b64 v32, v[10:11] offset:22848
	ds_read_b64 v[10:11], v31 offset:20840
	s_waitcnt lgkmcnt(0)
	ds_write_b64 v32, v[10:11] offset:23360
	ds_read_b64 v[10:11], v31 offset:20848
	;; [unrolled: 3-line block ×3, first 2 shown]
	s_waitcnt lgkmcnt(0)
	ds_write_b64 v32, v[10:11] offset:24384
.LBB141_819:
	s_or_b64 exec, exec, s[12:13]
	s_waitcnt lgkmcnt(0)
	s_barrier
	s_and_saveexec_b64 s[12:13], vcc
	s_cbranch_execz .LBB141_821
; %bb.820:
	v_mov_b32_e32 v33, 0
	ds_read_b64 v[31:32], v33 offset:22888
	v_mov_b32_e32 v34, 0x3ff00000
	ds_write_b64 v33, v[33:34] offset:22880
	s_waitcnt lgkmcnt(1)
	ds_write_b128 v33, v[31:34] offset:23392
.LBB141_821:
	s_or_b64 exec, exec, s[12:13]
	v_mov_b32_e32 v10, 0
	v_mov_b32_e32 v11, 0
	s_waitcnt lgkmcnt(0)
	s_barrier
	s_and_saveexec_b64 s[14:15], s[2:3]
	s_cbranch_execz .LBB141_825
; %bb.822:
	v_mul_u32_u24_e32 v31, 0x208, v15
	ds_read_b64 v[10:11], v12 offset:22896
	ds_read_b64 v[31:32], v31 offset:22880
	v_cmp_gt_u32_e64 s[12:13], 2, v14
	s_waitcnt lgkmcnt(0)
	v_fma_f64 v[10:11], v[10:11], v[31:32], 0
	s_and_saveexec_b64 s[16:17], s[12:13]
	s_cbranch_execz .LBB141_824
; %bb.823:
	v_lshlrev_b32_e32 v31, 3, v0
	v_mov_b32_e32 v33, 0
	ds_read_b64 v[31:32], v31 offset:23408
	ds_read_b64 v[33:34], v33 offset:22888
	s_waitcnt lgkmcnt(0)
	v_fma_f64 v[10:11], v[31:32], v[33:34], v[10:11]
.LBB141_824:
	s_or_b64 exec, exec, s[16:17]
	v_xor_b32_e32 v11, 0x80000000, v11
.LBB141_825:
	s_or_b64 exec, exec, s[14:15]
	s_and_saveexec_b64 s[0:1], s[42:43]
; %bb.826:
	ds_write_b64 v13, v[10:11]
; %bb.827:
	s_or_b64 exec, exec, s[0:1]
	s_waitcnt lgkmcnt(0)
	s_barrier
	s_and_saveexec_b64 s[0:1], s[40:41]
	s_cbranch_execz .LBB141_829
; %bb.828:
	v_mov_b32_e32 v31, 0
	ds_read_b64 v[31:32], v31 offset:23928
	ds_read_b64 v[33:34], v13
	s_waitcnt lgkmcnt(0)
	v_fma_f64 v[10:11], v[31:32], v[33:34], v[10:11]
.LBB141_829:
	s_or_b64 exec, exec, s[0:1]
	s_barrier
	s_and_saveexec_b64 s[0:1], s[40:41]
; %bb.830:
	ds_write_b64 v13, v[10:11]
; %bb.831:
	s_or_b64 exec, exec, s[0:1]
	s_waitcnt lgkmcnt(0)
	s_barrier
	s_barrier
	s_and_saveexec_b64 s[0:1], s[2:3]
; %bb.832:
	v_xor_b32_e32 v11, 0x80000000, v11
	ds_write_b64 v12, v[10:11] offset:22896
; %bb.833:
	s_or_b64 exec, exec, s[0:1]
	s_waitcnt lgkmcnt(0)
	s_barrier
	s_barrier
	s_and_saveexec_b64 s[0:1], s[44:45]
	s_cbranch_execz .LBB141_835
; %bb.834:
	v_lshlrev_b32_e32 v31, 3, v0
	s_movk_i32 s12, 0x1f8
	v_mad_u32_u24 v32, v0, s12, v31
	ds_read_b64 v[10:11], v32 offset:22896
	s_waitcnt lgkmcnt(0)
	ds_write_b64 v31, v[10:11] offset:23904
	ds_read_b64 v[10:11], v32 offset:22904
	s_waitcnt lgkmcnt(0)
	ds_write_b64 v31, v[10:11] offset:24416
.LBB141_835:
	s_or_b64 exec, exec, s[0:1]
	s_waitcnt lgkmcnt(0)
	s_barrier
	s_and_saveexec_b64 s[12:13], vcc
	s_cbranch_execz .LBB141_837
; %bb.836:
	v_mov_b32_e32 v33, 0
	ds_read_b64 v[31:32], v33 offset:23928
	v_mov_b32_e32 v34, 0x3ff00000
	ds_write_b64 v33, v[33:34] offset:23920
	s_waitcnt lgkmcnt(1)
	ds_write_b128 v33, v[31:34] offset:24432
.LBB141_837:
	s_or_b64 exec, exec, s[12:13]
	v_mov_b32_e32 v10, 0
	v_mov_b32_e32 v11, 0
	s_waitcnt lgkmcnt(0)
	s_barrier
	s_and_saveexec_b64 s[14:15], s[10:11]
	s_cbranch_execz .LBB141_865
; %bb.838:
	v_mul_u32_u24_e32 v31, 0x208, v30
	ds_read_b64 v[10:11], v26 offset:16768
	ds_read_b64 v[32:33], v31 offset:16640
	s_movk_i32 s0, 0xf0
	v_cmp_gt_u32_e64 s[12:13], s0, v14
	s_waitcnt lgkmcnt(0)
	v_fma_f64 v[10:11], v[10:11], v[32:33], 0
	s_and_saveexec_b64 s[16:17], s[12:13]
	s_cbranch_execz .LBB141_840
; %bb.839:
	v_lshlrev_b32_e32 v32, 3, v30
	v_sub_u32_e32 v32, v31, v32
	v_lshl_add_u32 v32, v27, 3, v32
	ds_read_b64 v[32:33], v32 offset:17280
	ds_read_b64 v[34:35], v31 offset:16648
	s_waitcnt lgkmcnt(0)
	v_fma_f64 v[10:11], v[32:33], v[34:35], v[10:11]
.LBB141_840:
	s_or_b64 exec, exec, s[16:17]
	s_movk_i32 s0, 0xe0
	v_cmp_gt_u32_e64 s[12:13], s0, v14
	s_and_saveexec_b64 s[0:1], s[12:13]
	s_cbranch_execz .LBB141_842
; %bb.841:
	v_lshlrev_b32_e32 v32, 3, v30
	v_sub_u32_e32 v32, v31, v32
	v_lshl_add_u32 v32, v27, 3, v32
	ds_read_b64 v[32:33], v32 offset:17792
	ds_read_b64 v[34:35], v31 offset:16656
	s_waitcnt lgkmcnt(0)
	v_fma_f64 v[10:11], v[32:33], v[34:35], v[10:11]
.LBB141_842:
	s_or_b64 exec, exec, s[0:1]
	s_movk_i32 s0, 0xd0
	v_cmp_gt_u32_e64 s[12:13], s0, v14
	s_and_saveexec_b64 s[0:1], s[12:13]
	s_cbranch_execz .LBB141_844
; %bb.843:
	v_lshlrev_b32_e32 v32, 3, v30
	v_sub_u32_e32 v32, v31, v32
	v_lshl_add_u32 v32, v27, 3, v32
	ds_read_b64 v[32:33], v32 offset:18304
	ds_read_b64 v[34:35], v31 offset:16664
	s_waitcnt lgkmcnt(0)
	v_fma_f64 v[10:11], v[32:33], v[34:35], v[10:11]
.LBB141_844:
	s_or_b64 exec, exec, s[0:1]
	s_movk_i32 s0, 0xc0
	v_cmp_gt_u32_e64 s[12:13], s0, v14
	s_and_saveexec_b64 s[0:1], s[12:13]
	s_cbranch_execz .LBB141_846
; %bb.845:
	v_lshlrev_b32_e32 v32, 3, v30
	v_sub_u32_e32 v32, v31, v32
	v_lshl_add_u32 v32, v27, 3, v32
	ds_read_b64 v[32:33], v32 offset:18816
	ds_read_b64 v[34:35], v31 offset:16672
	s_waitcnt lgkmcnt(0)
	v_fma_f64 v[10:11], v[32:33], v[34:35], v[10:11]
.LBB141_846:
	s_or_b64 exec, exec, s[0:1]
	s_movk_i32 s0, 0xb0
	v_cmp_gt_u32_e64 s[12:13], s0, v14
	s_and_saveexec_b64 s[0:1], s[12:13]
	s_cbranch_execz .LBB141_848
; %bb.847:
	v_lshlrev_b32_e32 v32, 3, v30
	v_sub_u32_e32 v32, v31, v32
	v_lshl_add_u32 v32, v27, 3, v32
	ds_read_b64 v[32:33], v32 offset:19328
	ds_read_b64 v[34:35], v31 offset:16680
	s_waitcnt lgkmcnt(0)
	v_fma_f64 v[10:11], v[32:33], v[34:35], v[10:11]
.LBB141_848:
	s_or_b64 exec, exec, s[0:1]
	s_movk_i32 s0, 0xa0
	v_cmp_gt_u32_e64 s[12:13], s0, v14
	s_and_saveexec_b64 s[0:1], s[12:13]
	s_cbranch_execz .LBB141_850
; %bb.849:
	v_lshlrev_b32_e32 v32, 3, v30
	v_sub_u32_e32 v32, v31, v32
	v_lshl_add_u32 v32, v27, 3, v32
	ds_read_b64 v[32:33], v32 offset:19840
	ds_read_b64 v[34:35], v31 offset:16688
	s_waitcnt lgkmcnt(0)
	v_fma_f64 v[10:11], v[32:33], v[34:35], v[10:11]
.LBB141_850:
	s_or_b64 exec, exec, s[0:1]
	s_movk_i32 s0, 0x90
	v_cmp_gt_u32_e64 s[12:13], s0, v14
	s_and_saveexec_b64 s[0:1], s[12:13]
	s_cbranch_execz .LBB141_852
; %bb.851:
	v_lshlrev_b32_e32 v30, 3, v30
	v_sub_u32_e32 v30, v31, v30
	v_lshl_add_u32 v30, v27, 3, v30
	ds_read_b64 v[32:33], v30 offset:20352
	ds_read_b64 v[34:35], v31 offset:16696
	s_waitcnt lgkmcnt(0)
	v_fma_f64 v[10:11], v[32:33], v[34:35], v[10:11]
.LBB141_852:
	s_or_b64 exec, exec, s[0:1]
	s_movk_i32 s0, 0x80
	v_cmp_gt_u32_e64 s[12:13], s0, v14
	s_and_saveexec_b64 s[0:1], s[12:13]
	s_cbranch_execz .LBB141_854
; %bb.853:
	ds_read_b64 v[32:33], v26 offset:20864
	ds_read_b64 v[34:35], v31 offset:16704
	s_waitcnt lgkmcnt(0)
	v_fma_f64 v[10:11], v[32:33], v[34:35], v[10:11]
.LBB141_854:
	s_or_b64 exec, exec, s[0:1]
	s_movk_i32 s0, 0x70
	v_cmp_gt_u32_e64 s[12:13], s0, v14
	s_and_saveexec_b64 s[0:1], s[12:13]
	s_cbranch_execz .LBB141_856
; %bb.855:
	v_lshlrev_b32_e32 v30, 3, v27
	v_lshl_add_u32 v30, v29, 3, v30
	ds_read_b64 v[32:33], v30 offset:21376
	ds_read_b64 v[34:35], v31 offset:16712
	s_waitcnt lgkmcnt(0)
	v_fma_f64 v[10:11], v[32:33], v[34:35], v[10:11]
.LBB141_856:
	s_or_b64 exec, exec, s[0:1]
	s_movk_i32 s0, 0x60
	v_cmp_gt_u32_e64 s[12:13], s0, v14
	s_and_saveexec_b64 s[0:1], s[12:13]
	s_cbranch_execz .LBB141_858
; %bb.857:
	v_lshlrev_b32_e32 v30, 3, v27
	v_lshl_add_u32 v30, v29, 3, v30
	ds_read_b64 v[32:33], v30 offset:21888
	ds_read_b64 v[34:35], v31 offset:16720
	s_waitcnt lgkmcnt(0)
	v_fma_f64 v[10:11], v[32:33], v[34:35], v[10:11]
.LBB141_858:
	s_or_b64 exec, exec, s[0:1]
	s_movk_i32 s0, 0x50
	v_cmp_gt_u32_e64 s[12:13], s0, v14
	s_and_saveexec_b64 s[0:1], s[12:13]
	s_cbranch_execnz .LBB141_1206
; %bb.859:
	s_or_b64 exec, exec, s[0:1]
	v_cmp_gt_u32_e64 s[12:13], 64, v14
	s_and_saveexec_b64 s[0:1], s[12:13]
	s_cbranch_execnz .LBB141_1207
.LBB141_860:
	s_or_b64 exec, exec, s[0:1]
	v_cmp_gt_u32_e64 s[12:13], 48, v14
	s_and_saveexec_b64 s[0:1], s[12:13]
	s_cbranch_execnz .LBB141_1208
.LBB141_861:
	s_or_b64 exec, exec, s[0:1]
	v_cmp_gt_u32_e64 s[12:13], 32, v14
	s_and_saveexec_b64 s[0:1], s[12:13]
	s_cbranch_execnz .LBB141_1209
.LBB141_862:
	s_or_b64 exec, exec, s[0:1]
	v_cmp_gt_u32_e64 s[12:13], 16, v14
	s_and_saveexec_b64 s[0:1], s[12:13]
	s_cbranch_execz .LBB141_864
.LBB141_863:
	v_lshlrev_b32_e32 v29, 3, v0
	v_mov_b32_e32 v31, 0
	ds_read_b64 v[29:30], v29 offset:24448
	ds_read_b64 v[31:32], v31 offset:16760
	s_waitcnt lgkmcnt(0)
	v_fma_f64 v[10:11], v[29:30], v[31:32], v[10:11]
.LBB141_864:
	s_or_b64 exec, exec, s[0:1]
	v_xor_b32_e32 v11, 0x80000000, v11
.LBB141_865:
	s_or_b64 exec, exec, s[14:15]
	s_mov_b64 s[0:1], exec
	v_readlane_b32 s12, v40, 4
	v_readlane_b32 s13, v40, 5
	s_and_b64 s[12:13], s[0:1], s[12:13]
	s_mov_b64 exec, s[12:13]
; %bb.866:
	ds_write_b64 v28, v[10:11]
; %bb.867:
	s_or_b64 exec, exec, s[0:1]
	s_waitcnt lgkmcnt(0)
	s_barrier
	s_mov_b64 s[0:1], exec
	v_readlane_b32 s12, v40, 6
	v_readlane_b32 s13, v40, 7
	s_and_b64 s[12:13], s[0:1], s[12:13]
	s_mov_b64 exec, s[12:13]
	s_cbranch_execz .LBB141_869
; %bb.868:
	v_lshlrev_b32_e32 v29, 3, v27
	ds_read_b64 v[29:30], v29 offset:24960
	ds_read_b64 v[31:32], v28
	s_waitcnt lgkmcnt(0)
	v_fma_f64 v[10:11], v[29:30], v[31:32], v[10:11]
.LBB141_869:
	s_or_b64 exec, exec, s[0:1]
	s_barrier
	s_mov_b64 s[0:1], exec
	v_readlane_b32 s12, v40, 8
	v_readlane_b32 s13, v40, 9
	s_and_b64 s[12:13], s[0:1], s[12:13]
	s_mov_b64 exec, s[12:13]
; %bb.870:
	ds_write_b64 v28, v[10:11]
; %bb.871:
	s_or_b64 exec, exec, s[0:1]
	s_waitcnt lgkmcnt(0)
	s_barrier
	s_mov_b64 s[0:1], exec
	v_readlane_b32 s12, v40, 10
	v_readlane_b32 s13, v40, 11
	s_and_b64 s[12:13], s[0:1], s[12:13]
	s_mov_b64 exec, s[12:13]
	s_cbranch_execz .LBB141_873
; %bb.872:
	v_lshlrev_b32_e32 v29, 3, v27
	ds_read_b64 v[29:30], v29 offset:25472
	ds_read_b64 v[31:32], v28
	s_waitcnt lgkmcnt(0)
	v_fma_f64 v[10:11], v[29:30], v[31:32], v[10:11]
.LBB141_873:
	s_or_b64 exec, exec, s[0:1]
	s_barrier
	;; [unrolled: 26-line block ×14, first 2 shown]
	s_mov_b64 s[0:1], exec
	v_readlane_b32 s12, v40, 60
	v_readlane_b32 s13, v40, 61
	s_and_b64 s[12:13], s[0:1], s[12:13]
	s_mov_b64 exec, s[12:13]
; %bb.922:
	ds_write_b64 v28, v[10:11]
; %bb.923:
	s_or_b64 exec, exec, s[0:1]
	s_waitcnt lgkmcnt(0)
	s_barrier
	s_and_saveexec_b64 s[0:1], s[92:93]
	s_cbranch_execz .LBB141_925
; %bb.924:
	v_mov_b32_e32 v27, 0
	ds_read_b64 v[29:30], v27 offset:32248
	ds_read_b64 v[31:32], v28
	s_waitcnt lgkmcnt(0)
	v_fma_f64 v[10:11], v[29:30], v[31:32], v[10:11]
.LBB141_925:
	s_or_b64 exec, exec, s[0:1]
	s_barrier
	s_and_saveexec_b64 s[0:1], s[92:93]
; %bb.926:
	ds_write_b64 v28, v[10:11]
; %bb.927:
	s_or_b64 exec, exec, s[0:1]
	s_waitcnt lgkmcnt(0)
	s_barrier
	s_barrier
	s_and_saveexec_b64 s[0:1], s[10:11]
; %bb.928:
	v_xor_b32_e32 v11, 0x80000000, v11
	ds_write_b64 v26, v[10:11] offset:16768
; %bb.929:
	s_or_b64 exec, exec, s[0:1]
	s_waitcnt lgkmcnt(0)
	s_barrier
	s_barrier
	s_mov_b64 s[0:1], exec
	v_readlane_b32 s10, v40, 62
	v_readlane_b32 s11, v40, 63
	s_and_b64 s[10:11], s[0:1], s[10:11]
	s_mov_b64 exec, s[10:11]
	s_cbranch_execz .LBB141_931
; %bb.930:
	v_lshlrev_b32_e32 v26, 9, v0
	ds_read_b64 v[10:11], v26 offset:16768
	s_movk_i32 s10, 0xfe08
	v_mad_i32_i24 v27, v0, s10, v26
	s_waitcnt lgkmcnt(0)
	ds_write_b64 v27, v[10:11] offset:24832
	ds_read_b64 v[10:11], v26 offset:16776
	s_waitcnt lgkmcnt(0)
	ds_write_b64 v27, v[10:11] offset:25344
	ds_read_b64 v[10:11], v26 offset:16784
	;; [unrolled: 3-line block ×15, first 2 shown]
	s_waitcnt lgkmcnt(0)
	ds_write_b64 v27, v[10:11] offset:32512
.LBB141_931:
	s_or_b64 exec, exec, s[0:1]
	s_waitcnt lgkmcnt(0)
	s_barrier
	s_and_saveexec_b64 s[0:1], vcc
	s_cbranch_execz .LBB141_933
; %bb.932:
	v_mov_b32_e32 v28, 0
	ds_read_b64 v[26:27], v28 offset:24968
	v_mov_b32_e32 v29, 0x3ff00000
	ds_write_b64 v28, v[28:29] offset:24960
	s_waitcnt lgkmcnt(1)
	ds_write_b128 v28, v[26:29] offset:25472
.LBB141_933:
	s_or_b64 exec, exec, s[0:1]
	v_mov_b32_e32 v10, 0
	v_mov_b32_e32 v11, 0
	s_waitcnt lgkmcnt(0)
	s_barrier
	s_and_saveexec_b64 s[0:1], s[2:3]
	s_cbranch_execz .LBB141_937
; %bb.934:
	v_mul_u32_u24_e32 v26, 0x208, v15
	ds_read_b64 v[10:11], v12 offset:24976
	ds_read_b64 v[26:27], v26 offset:24960
	v_cmp_gt_u32_e64 s[10:11], 2, v14
	s_waitcnt lgkmcnt(0)
	v_fma_f64 v[10:11], v[10:11], v[26:27], 0
	s_and_saveexec_b64 s[12:13], s[10:11]
	s_cbranch_execz .LBB141_936
; %bb.935:
	v_lshlrev_b32_e32 v26, 3, v0
	v_mov_b32_e32 v28, 0
	ds_read_b64 v[26:27], v26 offset:25488
	ds_read_b64 v[28:29], v28 offset:24968
	s_waitcnt lgkmcnt(0)
	v_fma_f64 v[10:11], v[26:27], v[28:29], v[10:11]
.LBB141_936:
	s_or_b64 exec, exec, s[12:13]
	v_xor_b32_e32 v11, 0x80000000, v11
.LBB141_937:
	s_or_b64 exec, exec, s[0:1]
	s_and_saveexec_b64 s[0:1], s[42:43]
; %bb.938:
	ds_write_b64 v13, v[10:11]
; %bb.939:
	s_or_b64 exec, exec, s[0:1]
	s_waitcnt lgkmcnt(0)
	s_barrier
	s_and_saveexec_b64 s[0:1], s[40:41]
	s_cbranch_execz .LBB141_941
; %bb.940:
	v_mov_b32_e32 v26, 0
	ds_read_b64 v[26:27], v26 offset:26008
	ds_read_b64 v[28:29], v13
	s_waitcnt lgkmcnt(0)
	v_fma_f64 v[10:11], v[26:27], v[28:29], v[10:11]
.LBB141_941:
	s_or_b64 exec, exec, s[0:1]
	s_barrier
	s_and_saveexec_b64 s[0:1], s[40:41]
; %bb.942:
	ds_write_b64 v13, v[10:11]
; %bb.943:
	s_or_b64 exec, exec, s[0:1]
	s_waitcnt lgkmcnt(0)
	s_barrier
	s_barrier
	s_and_saveexec_b64 s[0:1], s[2:3]
; %bb.944:
	v_xor_b32_e32 v11, 0x80000000, v11
	ds_write_b64 v12, v[10:11] offset:24976
; %bb.945:
	s_or_b64 exec, exec, s[0:1]
	s_waitcnt lgkmcnt(0)
	s_barrier
	s_barrier
	s_and_saveexec_b64 s[0:1], s[44:45]
	s_cbranch_execz .LBB141_947
; %bb.946:
	v_lshlrev_b32_e32 v26, 3, v0
	s_movk_i32 s10, 0x1f8
	v_mad_u32_u24 v27, v0, s10, v26
	ds_read_b64 v[10:11], v27 offset:24976
	s_waitcnt lgkmcnt(0)
	ds_write_b64 v26, v[10:11] offset:25984
	ds_read_b64 v[10:11], v27 offset:24984
	s_waitcnt lgkmcnt(0)
	ds_write_b64 v26, v[10:11] offset:26496
.LBB141_947:
	s_or_b64 exec, exec, s[0:1]
	s_waitcnt lgkmcnt(0)
	s_barrier
	s_and_saveexec_b64 s[0:1], vcc
	s_cbranch_execz .LBB141_949
; %bb.948:
	v_mov_b32_e32 v28, 0
	ds_read_b64 v[26:27], v28 offset:26008
	v_mov_b32_e32 v29, 0x3ff00000
	ds_write_b64 v28, v[28:29] offset:26000
	s_waitcnt lgkmcnt(1)
	ds_write_b128 v28, v[26:29] offset:26512
.LBB141_949:
	s_or_b64 exec, exec, s[0:1]
	v_mov_b32_e32 v10, 0
	v_mov_b32_e32 v11, 0
	s_waitcnt lgkmcnt(0)
	s_barrier
	s_and_saveexec_b64 s[0:1], s[18:19]
	s_cbranch_execz .LBB141_955
; %bb.950:
	v_mul_u32_u24_e32 v26, 0x208, v20
	ds_read_b64 v[10:11], v16 offset:24992
	ds_read_b64 v[27:28], v26 offset:24960
	v_cmp_gt_u32_e64 s[10:11], 12, v14
	s_waitcnt lgkmcnt(0)
	v_fma_f64 v[10:11], v[10:11], v[27:28], 0
	s_and_saveexec_b64 s[12:13], s[10:11]
	s_cbranch_execnz .LBB141_1210
; %bb.951:
	s_or_b64 exec, exec, s[12:13]
	v_cmp_gt_u32_e64 s[10:11], 8, v14
	s_and_saveexec_b64 s[12:13], s[10:11]
	s_cbranch_execnz .LBB141_1211
.LBB141_952:
	s_or_b64 exec, exec, s[12:13]
	v_cmp_gt_u32_e64 s[10:11], 4, v14
	s_and_saveexec_b64 s[12:13], s[10:11]
	s_cbranch_execz .LBB141_954
.LBB141_953:
	v_lshlrev_b32_e32 v26, 3, v0
	v_mov_b32_e32 v28, 0
	ds_read_b64 v[26:27], v26 offset:26528
	ds_read_b64 v[28:29], v28 offset:24984
	s_waitcnt lgkmcnt(0)
	v_fma_f64 v[10:11], v[26:27], v[28:29], v[10:11]
.LBB141_954:
	s_or_b64 exec, exec, s[12:13]
	v_xor_b32_e32 v11, 0x80000000, v11
.LBB141_955:
	s_or_b64 exec, exec, s[0:1]
	s_and_saveexec_b64 s[0:1], s[48:49]
; %bb.956:
	ds_write_b64 v18, v[10:11]
; %bb.957:
	s_or_b64 exec, exec, s[0:1]
	s_waitcnt lgkmcnt(0)
	s_barrier
	s_and_saveexec_b64 s[0:1], s[50:51]
	s_cbranch_execz .LBB141_959
; %bb.958:
	ds_read_b64 v[26:27], v17 offset:27040
	ds_read_b64 v[28:29], v18
	s_waitcnt lgkmcnt(0)
	v_fma_f64 v[10:11], v[26:27], v[28:29], v[10:11]
.LBB141_959:
	s_or_b64 exec, exec, s[0:1]
	s_barrier
	s_and_saveexec_b64 s[0:1], s[52:53]
; %bb.960:
	ds_write_b64 v18, v[10:11]
; %bb.961:
	s_or_b64 exec, exec, s[0:1]
	s_waitcnt lgkmcnt(0)
	s_barrier
	s_and_saveexec_b64 s[0:1], s[54:55]
	s_cbranch_execz .LBB141_963
; %bb.962:
	ds_read_b64 v[26:27], v17 offset:27552
	ds_read_b64 v[28:29], v18
	s_waitcnt lgkmcnt(0)
	v_fma_f64 v[10:11], v[26:27], v[28:29], v[10:11]
.LBB141_963:
	s_or_b64 exec, exec, s[0:1]
	s_barrier
	s_and_saveexec_b64 s[0:1], s[56:57]
; %bb.964:
	ds_write_b64 v18, v[10:11]
; %bb.965:
	s_or_b64 exec, exec, s[0:1]
	s_waitcnt lgkmcnt(0)
	s_barrier
	s_and_saveexec_b64 s[0:1], s[46:47]
	s_cbranch_execz .LBB141_967
; %bb.966:
	v_mov_b32_e32 v26, 0
	ds_read_b64 v[26:27], v26 offset:28088
	ds_read_b64 v[28:29], v18
	s_waitcnt lgkmcnt(0)
	v_fma_f64 v[10:11], v[26:27], v[28:29], v[10:11]
.LBB141_967:
	s_or_b64 exec, exec, s[0:1]
	s_barrier
	s_and_saveexec_b64 s[0:1], s[46:47]
; %bb.968:
	ds_write_b64 v18, v[10:11]
; %bb.969:
	s_or_b64 exec, exec, s[0:1]
	s_waitcnt lgkmcnt(0)
	s_barrier
	s_barrier
	s_and_saveexec_b64 s[0:1], s[18:19]
; %bb.970:
	v_xor_b32_e32 v11, 0x80000000, v11
	ds_write_b64 v16, v[10:11] offset:24992
; %bb.971:
	s_or_b64 exec, exec, s[0:1]
	s_waitcnt lgkmcnt(0)
	s_barrier
	s_barrier
	s_and_saveexec_b64 s[0:1], s[58:59]
	s_cbranch_execz .LBB141_973
; %bb.972:
	v_lshlrev_b32_e32 v26, 9, v0
	ds_read_b64 v[10:11], v26 offset:24992
	s_movk_i32 s10, 0xfe08
	v_mad_i32_i24 v27, v0, s10, v26
	s_waitcnt lgkmcnt(0)
	ds_write_b64 v27, v[10:11] offset:27008
	ds_read_b64 v[10:11], v26 offset:25000
	s_waitcnt lgkmcnt(0)
	ds_write_b64 v27, v[10:11] offset:27520
	ds_read_b64 v[10:11], v26 offset:25008
	;; [unrolled: 3-line block ×3, first 2 shown]
	s_waitcnt lgkmcnt(0)
	ds_write_b64 v27, v[10:11] offset:28544
.LBB141_973:
	s_or_b64 exec, exec, s[0:1]
	s_waitcnt lgkmcnt(0)
	s_barrier
	s_and_saveexec_b64 s[0:1], vcc
	s_cbranch_execz .LBB141_975
; %bb.974:
	v_mov_b32_e32 v28, 0
	ds_read_b64 v[26:27], v28 offset:27048
	v_mov_b32_e32 v29, 0x3ff00000
	ds_write_b64 v28, v[28:29] offset:27040
	s_waitcnt lgkmcnt(1)
	ds_write_b128 v28, v[26:29] offset:27552
.LBB141_975:
	s_or_b64 exec, exec, s[0:1]
	v_mov_b32_e32 v10, 0
	v_mov_b32_e32 v11, 0
	s_waitcnt lgkmcnt(0)
	s_barrier
	s_and_saveexec_b64 s[0:1], s[2:3]
	s_cbranch_execz .LBB141_979
; %bb.976:
	v_mul_u32_u24_e32 v26, 0x208, v15
	ds_read_b64 v[10:11], v12 offset:27056
	ds_read_b64 v[26:27], v26 offset:27040
	v_cmp_gt_u32_e64 s[10:11], 2, v14
	s_waitcnt lgkmcnt(0)
	v_fma_f64 v[10:11], v[10:11], v[26:27], 0
	s_and_saveexec_b64 s[12:13], s[10:11]
	s_cbranch_execz .LBB141_978
; %bb.977:
	v_lshlrev_b32_e32 v26, 3, v0
	v_mov_b32_e32 v28, 0
	ds_read_b64 v[26:27], v26 offset:27568
	ds_read_b64 v[28:29], v28 offset:27048
	s_waitcnt lgkmcnt(0)
	v_fma_f64 v[10:11], v[26:27], v[28:29], v[10:11]
.LBB141_978:
	s_or_b64 exec, exec, s[12:13]
	v_xor_b32_e32 v11, 0x80000000, v11
.LBB141_979:
	s_or_b64 exec, exec, s[0:1]
	s_and_saveexec_b64 s[0:1], s[42:43]
; %bb.980:
	ds_write_b64 v13, v[10:11]
; %bb.981:
	s_or_b64 exec, exec, s[0:1]
	s_waitcnt lgkmcnt(0)
	s_barrier
	s_and_saveexec_b64 s[0:1], s[40:41]
	s_cbranch_execz .LBB141_983
; %bb.982:
	v_mov_b32_e32 v26, 0
	ds_read_b64 v[26:27], v26 offset:28088
	ds_read_b64 v[28:29], v13
	s_waitcnt lgkmcnt(0)
	v_fma_f64 v[10:11], v[26:27], v[28:29], v[10:11]
.LBB141_983:
	s_or_b64 exec, exec, s[0:1]
	s_barrier
	s_and_saveexec_b64 s[0:1], s[40:41]
; %bb.984:
	ds_write_b64 v13, v[10:11]
; %bb.985:
	s_or_b64 exec, exec, s[0:1]
	s_waitcnt lgkmcnt(0)
	s_barrier
	s_barrier
	s_and_saveexec_b64 s[0:1], s[2:3]
; %bb.986:
	v_xor_b32_e32 v11, 0x80000000, v11
	ds_write_b64 v12, v[10:11] offset:27056
; %bb.987:
	s_or_b64 exec, exec, s[0:1]
	s_waitcnt lgkmcnt(0)
	s_barrier
	s_barrier
	s_and_saveexec_b64 s[0:1], s[44:45]
	s_cbranch_execz .LBB141_989
; %bb.988:
	v_lshlrev_b32_e32 v26, 3, v0
	s_movk_i32 s10, 0x1f8
	v_mad_u32_u24 v27, v0, s10, v26
	ds_read_b64 v[10:11], v27 offset:27056
	s_waitcnt lgkmcnt(0)
	ds_write_b64 v26, v[10:11] offset:28064
	ds_read_b64 v[10:11], v27 offset:27064
	s_waitcnt lgkmcnt(0)
	ds_write_b64 v26, v[10:11] offset:28576
.LBB141_989:
	s_or_b64 exec, exec, s[0:1]
	s_waitcnt lgkmcnt(0)
	s_barrier
	s_and_saveexec_b64 s[0:1], vcc
	s_cbranch_execz .LBB141_991
; %bb.990:
	v_mov_b32_e32 v28, 0
	ds_read_b64 v[26:27], v28 offset:28088
	v_mov_b32_e32 v29, 0x3ff00000
	ds_write_b64 v28, v[28:29] offset:28080
	s_waitcnt lgkmcnt(1)
	ds_write_b128 v28, v[26:29] offset:28592
.LBB141_991:
	s_or_b64 exec, exec, s[0:1]
	v_mov_b32_e32 v10, 0
	v_mov_b32_e32 v11, 0
	s_waitcnt lgkmcnt(0)
	s_barrier
	s_and_saveexec_b64 s[0:1], s[8:9]
	s_cbranch_execz .LBB141_1001
; %bb.992:
	v_mul_u32_u24_e32 v26, 0x208, v25
	ds_read_b64 v[10:11], v21 offset:25024
	ds_read_b64 v[27:28], v26 offset:24960
	v_cmp_gt_u32_e64 s[10:11], 56, v14
	s_waitcnt lgkmcnt(0)
	v_fma_f64 v[10:11], v[10:11], v[27:28], 0
	s_and_saveexec_b64 s[12:13], s[10:11]
	s_cbranch_execnz .LBB141_1212
; %bb.993:
	s_or_b64 exec, exec, s[12:13]
	v_cmp_gt_u32_e64 s[10:11], 48, v14
	s_and_saveexec_b64 s[12:13], s[10:11]
	s_cbranch_execnz .LBB141_1213
.LBB141_994:
	s_or_b64 exec, exec, s[12:13]
	v_cmp_gt_u32_e64 s[10:11], 40, v14
	s_and_saveexec_b64 s[12:13], s[10:11]
	s_cbranch_execnz .LBB141_1214
.LBB141_995:
	s_or_b64 exec, exec, s[12:13]
	v_cmp_gt_u32_e64 s[10:11], 32, v14
	s_and_saveexec_b64 s[12:13], s[10:11]
	s_cbranch_execnz .LBB141_1215
.LBB141_996:
	s_or_b64 exec, exec, s[12:13]
	v_cmp_gt_u32_e64 s[10:11], 24, v14
	s_and_saveexec_b64 s[12:13], s[10:11]
	s_cbranch_execnz .LBB141_1216
.LBB141_997:
	s_or_b64 exec, exec, s[12:13]
	v_cmp_gt_u32_e64 s[10:11], 16, v14
	s_and_saveexec_b64 s[12:13], s[10:11]
	s_cbranch_execnz .LBB141_1217
.LBB141_998:
	s_or_b64 exec, exec, s[12:13]
	v_cmp_gt_u32_e64 s[10:11], 8, v14
	s_and_saveexec_b64 s[12:13], s[10:11]
	s_cbranch_execz .LBB141_1000
.LBB141_999:
	v_lshlrev_b32_e32 v24, 3, v0
	v_mov_b32_e32 v26, 0
	ds_read_b64 v[24:25], v24 offset:28608
	ds_read_b64 v[26:27], v26 offset:25016
	s_waitcnt lgkmcnt(0)
	v_fma_f64 v[10:11], v[24:25], v[26:27], v[10:11]
.LBB141_1000:
	s_or_b64 exec, exec, s[12:13]
	v_xor_b32_e32 v11, 0x80000000, v11
.LBB141_1001:
	s_or_b64 exec, exec, s[0:1]
	s_and_saveexec_b64 s[0:1], s[60:61]
; %bb.1002:
	ds_write_b64 v23, v[10:11]
; %bb.1003:
	s_or_b64 exec, exec, s[0:1]
	s_waitcnt lgkmcnt(0)
	s_barrier
	s_and_saveexec_b64 s[0:1], s[62:63]
	s_cbranch_execz .LBB141_1005
; %bb.1004:
	ds_read_b64 v[24:25], v22 offset:29120
	ds_read_b64 v[26:27], v23
	s_waitcnt lgkmcnt(0)
	v_fma_f64 v[10:11], v[24:25], v[26:27], v[10:11]
.LBB141_1005:
	s_or_b64 exec, exec, s[0:1]
	s_barrier
	s_and_saveexec_b64 s[0:1], s[64:65]
; %bb.1006:
	ds_write_b64 v23, v[10:11]
; %bb.1007:
	s_or_b64 exec, exec, s[0:1]
	s_waitcnt lgkmcnt(0)
	s_barrier
	s_and_saveexec_b64 s[0:1], s[66:67]
	s_cbranch_execz .LBB141_1009
; %bb.1008:
	ds_read_b64 v[24:25], v22 offset:29632
	ds_read_b64 v[26:27], v23
	s_waitcnt lgkmcnt(0)
	v_fma_f64 v[10:11], v[24:25], v[26:27], v[10:11]
.LBB141_1009:
	s_or_b64 exec, exec, s[0:1]
	s_barrier
	;; [unrolled: 17-line block ×6, first 2 shown]
	s_and_saveexec_b64 s[0:1], s[86:87]
; %bb.1026:
	ds_write_b64 v23, v[10:11]
; %bb.1027:
	s_or_b64 exec, exec, s[0:1]
	s_waitcnt lgkmcnt(0)
	s_barrier
	s_and_saveexec_b64 s[0:1], s[70:71]
	s_cbranch_execz .LBB141_1029
; %bb.1028:
	v_mov_b32_e32 v22, 0
	ds_read_b64 v[24:25], v22 offset:32248
	ds_read_b64 v[26:27], v23
	s_waitcnt lgkmcnt(0)
	v_fma_f64 v[10:11], v[24:25], v[26:27], v[10:11]
.LBB141_1029:
	s_or_b64 exec, exec, s[0:1]
	s_barrier
	s_and_saveexec_b64 s[0:1], s[70:71]
; %bb.1030:
	ds_write_b64 v23, v[10:11]
; %bb.1031:
	s_or_b64 exec, exec, s[0:1]
	s_waitcnt lgkmcnt(0)
	s_barrier
	s_barrier
	s_and_saveexec_b64 s[0:1], s[8:9]
; %bb.1032:
	v_xor_b32_e32 v11, 0x80000000, v11
	ds_write_b64 v21, v[10:11] offset:25024
; %bb.1033:
	s_or_b64 exec, exec, s[0:1]
	s_waitcnt lgkmcnt(0)
	s_barrier
	s_barrier
	s_and_saveexec_b64 s[0:1], s[88:89]
	s_cbranch_execz .LBB141_1035
; %bb.1034:
	v_lshlrev_b32_e32 v21, 9, v0
	ds_read_b64 v[10:11], v21 offset:25024
	s_movk_i32 s8, 0xfe08
	v_mad_i32_i24 v22, v0, s8, v21
	s_waitcnt lgkmcnt(0)
	ds_write_b64 v22, v[10:11] offset:29056
	ds_read_b64 v[10:11], v21 offset:25032
	s_waitcnt lgkmcnt(0)
	ds_write_b64 v22, v[10:11] offset:29568
	ds_read_b64 v[10:11], v21 offset:25040
	;; [unrolled: 3-line block ×7, first 2 shown]
	s_waitcnt lgkmcnt(0)
	ds_write_b64 v22, v[10:11] offset:32640
.LBB141_1035:
	s_or_b64 exec, exec, s[0:1]
	s_waitcnt lgkmcnt(0)
	s_barrier
	s_and_saveexec_b64 s[0:1], vcc
	s_cbranch_execz .LBB141_1037
; %bb.1036:
	v_mov_b32_e32 v23, 0
	ds_read_b64 v[21:22], v23 offset:29128
	v_mov_b32_e32 v24, 0x3ff00000
	ds_write_b64 v23, v[23:24] offset:29120
	s_waitcnt lgkmcnt(1)
	ds_write_b128 v23, v[21:24] offset:29632
.LBB141_1037:
	s_or_b64 exec, exec, s[0:1]
	v_mov_b32_e32 v10, 0
	v_mov_b32_e32 v11, 0
	s_waitcnt lgkmcnt(0)
	s_barrier
	s_and_saveexec_b64 s[0:1], s[2:3]
	s_cbranch_execz .LBB141_1041
; %bb.1038:
	v_mul_u32_u24_e32 v21, 0x208, v15
	ds_read_b64 v[10:11], v12 offset:29136
	ds_read_b64 v[21:22], v21 offset:29120
	v_cmp_gt_u32_e64 s[8:9], 2, v14
	s_waitcnt lgkmcnt(0)
	v_fma_f64 v[10:11], v[10:11], v[21:22], 0
	s_and_saveexec_b64 s[10:11], s[8:9]
	s_cbranch_execz .LBB141_1040
; %bb.1039:
	v_lshlrev_b32_e32 v21, 3, v0
	v_mov_b32_e32 v23, 0
	ds_read_b64 v[21:22], v21 offset:29648
	ds_read_b64 v[23:24], v23 offset:29128
	s_waitcnt lgkmcnt(0)
	v_fma_f64 v[10:11], v[21:22], v[23:24], v[10:11]
.LBB141_1040:
	s_or_b64 exec, exec, s[10:11]
	v_xor_b32_e32 v11, 0x80000000, v11
.LBB141_1041:
	s_or_b64 exec, exec, s[0:1]
	s_and_saveexec_b64 s[0:1], s[42:43]
; %bb.1042:
	ds_write_b64 v13, v[10:11]
; %bb.1043:
	s_or_b64 exec, exec, s[0:1]
	s_waitcnt lgkmcnt(0)
	s_barrier
	s_and_saveexec_b64 s[0:1], s[40:41]
	s_cbranch_execz .LBB141_1045
; %bb.1044:
	v_mov_b32_e32 v21, 0
	ds_read_b64 v[21:22], v21 offset:30168
	ds_read_b64 v[23:24], v13
	s_waitcnt lgkmcnt(0)
	v_fma_f64 v[10:11], v[21:22], v[23:24], v[10:11]
.LBB141_1045:
	s_or_b64 exec, exec, s[0:1]
	s_barrier
	s_and_saveexec_b64 s[0:1], s[40:41]
; %bb.1046:
	ds_write_b64 v13, v[10:11]
; %bb.1047:
	s_or_b64 exec, exec, s[0:1]
	s_waitcnt lgkmcnt(0)
	s_barrier
	s_barrier
	s_and_saveexec_b64 s[0:1], s[2:3]
; %bb.1048:
	v_xor_b32_e32 v11, 0x80000000, v11
	ds_write_b64 v12, v[10:11] offset:29136
; %bb.1049:
	s_or_b64 exec, exec, s[0:1]
	s_waitcnt lgkmcnt(0)
	s_barrier
	s_barrier
	s_and_saveexec_b64 s[0:1], s[44:45]
	s_cbranch_execz .LBB141_1051
; %bb.1050:
	v_lshlrev_b32_e32 v21, 3, v0
	s_movk_i32 s8, 0x1f8
	v_mad_u32_u24 v22, v0, s8, v21
	ds_read_b64 v[10:11], v22 offset:29136
	s_waitcnt lgkmcnt(0)
	ds_write_b64 v21, v[10:11] offset:30144
	ds_read_b64 v[10:11], v22 offset:29144
	s_waitcnt lgkmcnt(0)
	ds_write_b64 v21, v[10:11] offset:30656
.LBB141_1051:
	s_or_b64 exec, exec, s[0:1]
	s_waitcnt lgkmcnt(0)
	s_barrier
	s_and_saveexec_b64 s[0:1], vcc
	s_cbranch_execz .LBB141_1053
; %bb.1052:
	v_mov_b32_e32 v23, 0
	ds_read_b64 v[21:22], v23 offset:30168
	v_mov_b32_e32 v24, 0x3ff00000
	ds_write_b64 v23, v[23:24] offset:30160
	s_waitcnt lgkmcnt(1)
	ds_write_b128 v23, v[21:24] offset:30672
.LBB141_1053:
	s_or_b64 exec, exec, s[0:1]
	v_mov_b32_e32 v10, 0
	v_mov_b32_e32 v11, 0
	s_waitcnt lgkmcnt(0)
	s_barrier
	s_and_saveexec_b64 s[0:1], s[18:19]
	s_cbranch_execz .LBB141_1059
; %bb.1054:
	v_mul_u32_u24_e32 v21, 0x208, v20
	ds_read_b64 v[10:11], v16 offset:29152
	ds_read_b64 v[22:23], v21 offset:29120
	v_cmp_gt_u32_e64 s[8:9], 12, v14
	s_waitcnt lgkmcnt(0)
	v_fma_f64 v[10:11], v[10:11], v[22:23], 0
	s_and_saveexec_b64 s[10:11], s[8:9]
	s_cbranch_execnz .LBB141_1218
; %bb.1055:
	s_or_b64 exec, exec, s[10:11]
	v_cmp_gt_u32_e64 s[8:9], 8, v14
	s_and_saveexec_b64 s[10:11], s[8:9]
	s_cbranch_execnz .LBB141_1219
.LBB141_1056:
	s_or_b64 exec, exec, s[10:11]
	v_cmp_gt_u32_e64 s[8:9], 4, v14
	s_and_saveexec_b64 s[10:11], s[8:9]
	s_cbranch_execz .LBB141_1058
.LBB141_1057:
	v_lshlrev_b32_e32 v19, 3, v0
	v_mov_b32_e32 v21, 0
	ds_read_b64 v[19:20], v19 offset:30688
	ds_read_b64 v[21:22], v21 offset:29144
	s_waitcnt lgkmcnt(0)
	v_fma_f64 v[10:11], v[19:20], v[21:22], v[10:11]
.LBB141_1058:
	s_or_b64 exec, exec, s[10:11]
	v_xor_b32_e32 v11, 0x80000000, v11
.LBB141_1059:
	s_or_b64 exec, exec, s[0:1]
	s_and_saveexec_b64 s[0:1], s[48:49]
; %bb.1060:
	ds_write_b64 v18, v[10:11]
; %bb.1061:
	s_or_b64 exec, exec, s[0:1]
	s_waitcnt lgkmcnt(0)
	s_barrier
	s_and_saveexec_b64 s[0:1], s[50:51]
	s_cbranch_execz .LBB141_1063
; %bb.1062:
	ds_read_b64 v[19:20], v17 offset:31200
	ds_read_b64 v[21:22], v18
	s_waitcnt lgkmcnt(0)
	v_fma_f64 v[10:11], v[19:20], v[21:22], v[10:11]
.LBB141_1063:
	s_or_b64 exec, exec, s[0:1]
	s_barrier
	s_and_saveexec_b64 s[0:1], s[52:53]
; %bb.1064:
	ds_write_b64 v18, v[10:11]
; %bb.1065:
	s_or_b64 exec, exec, s[0:1]
	s_waitcnt lgkmcnt(0)
	s_barrier
	s_and_saveexec_b64 s[0:1], s[54:55]
	s_cbranch_execz .LBB141_1067
; %bb.1066:
	ds_read_b64 v[19:20], v17 offset:31712
	ds_read_b64 v[21:22], v18
	s_waitcnt lgkmcnt(0)
	v_fma_f64 v[10:11], v[19:20], v[21:22], v[10:11]
.LBB141_1067:
	s_or_b64 exec, exec, s[0:1]
	s_barrier
	s_and_saveexec_b64 s[0:1], s[56:57]
; %bb.1068:
	ds_write_b64 v18, v[10:11]
; %bb.1069:
	s_or_b64 exec, exec, s[0:1]
	s_waitcnt lgkmcnt(0)
	s_barrier
	s_and_saveexec_b64 s[0:1], s[46:47]
	s_cbranch_execz .LBB141_1071
; %bb.1070:
	v_mov_b32_e32 v17, 0
	ds_read_b64 v[19:20], v17 offset:32248
	ds_read_b64 v[21:22], v18
	s_waitcnt lgkmcnt(0)
	v_fma_f64 v[10:11], v[19:20], v[21:22], v[10:11]
.LBB141_1071:
	s_or_b64 exec, exec, s[0:1]
	s_barrier
	s_and_saveexec_b64 s[0:1], s[46:47]
; %bb.1072:
	ds_write_b64 v18, v[10:11]
; %bb.1073:
	s_or_b64 exec, exec, s[0:1]
	s_waitcnt lgkmcnt(0)
	s_barrier
	s_barrier
	s_and_saveexec_b64 s[0:1], s[18:19]
; %bb.1074:
	v_xor_b32_e32 v11, 0x80000000, v11
	ds_write_b64 v16, v[10:11] offset:29152
; %bb.1075:
	s_or_b64 exec, exec, s[0:1]
	s_waitcnt lgkmcnt(0)
	s_barrier
	s_barrier
	s_and_saveexec_b64 s[0:1], s[58:59]
	s_cbranch_execz .LBB141_1077
; %bb.1076:
	v_lshlrev_b32_e32 v16, 9, v0
	ds_read_b64 v[10:11], v16 offset:29152
	s_movk_i32 s8, 0xfe08
	v_mad_i32_i24 v17, v0, s8, v16
	s_waitcnt lgkmcnt(0)
	ds_write_b64 v17, v[10:11] offset:31168
	ds_read_b64 v[10:11], v16 offset:29160
	s_waitcnt lgkmcnt(0)
	ds_write_b64 v17, v[10:11] offset:31680
	ds_read_b64 v[10:11], v16 offset:29168
	;; [unrolled: 3-line block ×3, first 2 shown]
	s_waitcnt lgkmcnt(0)
	ds_write_b64 v17, v[10:11] offset:32704
.LBB141_1077:
	s_or_b64 exec, exec, s[0:1]
	s_waitcnt lgkmcnt(0)
	s_barrier
	s_and_saveexec_b64 s[0:1], vcc
	s_cbranch_execz .LBB141_1079
; %bb.1078:
	v_mov_b32_e32 v18, 0
	ds_read_b64 v[16:17], v18 offset:31208
	v_mov_b32_e32 v19, 0x3ff00000
	ds_write_b64 v18, v[18:19] offset:31200
	s_waitcnt lgkmcnt(1)
	ds_write_b128 v18, v[16:19] offset:31712
.LBB141_1079:
	s_or_b64 exec, exec, s[0:1]
	v_mov_b32_e32 v10, 0
	v_mov_b32_e32 v11, 0
	s_waitcnt lgkmcnt(0)
	s_barrier
	s_and_saveexec_b64 s[0:1], s[2:3]
	s_cbranch_execz .LBB141_1083
; %bb.1080:
	v_mul_u32_u24_e32 v15, 0x208, v15
	ds_read_b64 v[10:11], v12 offset:31216
	ds_read_b64 v[15:16], v15 offset:31200
	v_cmp_gt_u32_e64 s[8:9], 2, v14
	s_waitcnt lgkmcnt(0)
	v_fma_f64 v[10:11], v[10:11], v[15:16], 0
	s_and_saveexec_b64 s[10:11], s[8:9]
	s_cbranch_execz .LBB141_1082
; %bb.1081:
	v_lshlrev_b32_e32 v14, 3, v0
	v_mov_b32_e32 v16, 0
	ds_read_b64 v[14:15], v14 offset:31728
	ds_read_b64 v[16:17], v16 offset:31208
	s_waitcnt lgkmcnt(0)
	v_fma_f64 v[10:11], v[14:15], v[16:17], v[10:11]
.LBB141_1082:
	s_or_b64 exec, exec, s[10:11]
	v_xor_b32_e32 v11, 0x80000000, v11
.LBB141_1083:
	s_or_b64 exec, exec, s[0:1]
	s_and_saveexec_b64 s[0:1], s[42:43]
; %bb.1084:
	ds_write_b64 v13, v[10:11]
; %bb.1085:
	s_or_b64 exec, exec, s[0:1]
	s_waitcnt lgkmcnt(0)
	s_barrier
	s_and_saveexec_b64 s[0:1], s[40:41]
	v_readlane_b32 s16, v40, 2
	v_readlane_b32 s42, v40, 0
	;; [unrolled: 1-line block ×4, first 2 shown]
	s_cbranch_execz .LBB141_1087
; %bb.1086:
	v_mov_b32_e32 v14, 0
	ds_read_b64 v[14:15], v14 offset:32248
	ds_read_b64 v[16:17], v13
	s_waitcnt lgkmcnt(0)
	v_fma_f64 v[10:11], v[14:15], v[16:17], v[10:11]
.LBB141_1087:
	s_or_b64 exec, exec, s[0:1]
	s_barrier
	s_and_saveexec_b64 s[0:1], s[40:41]
; %bb.1088:
	ds_write_b64 v13, v[10:11]
; %bb.1089:
	s_or_b64 exec, exec, s[0:1]
	s_waitcnt lgkmcnt(0)
	s_barrier
	s_barrier
	s_and_saveexec_b64 s[0:1], s[2:3]
; %bb.1090:
	v_xor_b32_e32 v11, 0x80000000, v11
	ds_write_b64 v12, v[10:11] offset:31216
; %bb.1091:
	s_or_b64 exec, exec, s[0:1]
	s_waitcnt lgkmcnt(0)
	s_barrier
	s_barrier
	s_and_saveexec_b64 s[0:1], s[44:45]
	s_cbranch_execz .LBB141_1093
; %bb.1092:
	v_lshlrev_b32_e32 v12, 3, v0
	s_movk_i32 s2, 0x1f8
	v_mad_u32_u24 v13, v0, s2, v12
	ds_read_b64 v[10:11], v13 offset:31216
	s_waitcnt lgkmcnt(0)
	ds_write_b64 v12, v[10:11] offset:32224
	ds_read_b64 v[10:11], v13 offset:31224
	s_waitcnt lgkmcnt(0)
	ds_write_b64 v12, v[10:11] offset:32736
.LBB141_1093:
	s_or_b64 exec, exec, s[0:1]
	s_waitcnt lgkmcnt(0)
	s_barrier
	s_and_saveexec_b64 s[0:1], vcc
	s_cbranch_execz .LBB141_1095
; %bb.1094:
	v_mov_b32_e32 v12, 0
	ds_read_b64 v[10:11], v12 offset:32248
	v_mov_b32_e32 v13, 0x3ff00000
	ds_write_b64 v12, v[12:13] offset:32240
	s_waitcnt lgkmcnt(1)
	ds_write_b128 v12, v[10:13] offset:32752
.LBB141_1095:
	s_or_b64 exec, exec, s[0:1]
.LBB141_1096:
	s_lshl_b64 s[0:1], s[28:29], 3
	s_add_u32 s20, s16, s0
	v_cmp_le_i32_e32 vcc, s90, v0
	s_addc_u32 s21, s17, s1
	s_and_b64 s[14:15], vcc, s[26:27]
	v_cmp_eq_u32_e64 s[2:3], 0, v1
	s_xor_b64 s[0:1], s[14:15], -1
	v_mov_b32_e32 v10, 0
	s_and_b64 s[8:9], s[2:3], s[0:1]
	v_mov_b32_e32 v11, 0
	v_lshl_add_u32 v12, s33, 6, v0
	s_waitcnt lgkmcnt(0)
	s_barrier
	s_and_saveexec_b64 s[0:1], s[8:9]
	s_cbranch_execz .LBB141_1098
; %bb.1097:
	v_ashrrev_i32_e32 v13, 31, v12
	v_mul_lo_u32 v14, s31, v12
	v_mad_u64_u32 v[10:11], s[8:9], s30, v12, 0
	v_mul_lo_u32 v13, s30, v13
	v_add3_u32 v11, v11, v13, v14
	v_lshlrev_b64 v[10:11], 3, v[10:11]
	v_mov_b32_e32 v13, s21
	v_add_co_u32_e32 v10, vcc, s20, v10
	v_addc_co_u32_e32 v11, vcc, v13, v11, vcc
	flat_load_dwordx2 v[10:11], v[10:11]
	s_waitcnt vmcnt(0) lgkmcnt(0)
	v_mul_f64 v[10:11], v[10:11], -s[24:25]
.LBB141_1098:
	s_or_b64 exec, exec, s[0:1]
	s_load_dwordx2 s[0:1], s[4:5], 0x50
	s_and_b32 s4, 0xffff, s39
	v_mad_u32_u24 v17, v1, s4, v0
	v_mov_b32_e32 v18, 0
	s_cmp_lt_i32 s6, 1
	v_cmp_eq_u32_e64 s[4:5], 0, v17
	s_cbranch_scc1 .LBB141_1124
; %bb.1099:
	v_ashrrev_i32_e32 v15, 31, v12
	v_mul_lo_u32 v16, s37, v12
	v_mad_u64_u32 v[13:14], s[8:9], s36, v12, 0
	v_mul_lo_u32 v15, s36, v15
	s_lshl_b64 s[8:9], s[22:23], 2
	s_waitcnt lgkmcnt(0)
	s_add_u32 s16, s0, s8
	s_addc_u32 s17, s1, s9
	v_add3_u32 v14, v14, v15, v16
	v_cmp_gt_i32_e64 s[8:9], s34, v12
	v_lshlrev_b64 v[12:13], 3, v[13:14]
	v_mov_b32_e32 v15, 0xa000
	v_mov_b32_e32 v14, s38
	v_add_co_u32_e32 v21, vcc, s91, v12
	s_mov_b32 s24, 0
	v_cmp_gt_u32_e64 s[12:13], 64, v17
	v_lshl_add_u32 v19, v17, 3, v15
	v_lshl_or_b32 v20, v1, 3, v15
	s_add_i32 s25, s33, 1
	v_addc_co_u32_e32 v22, vcc, v14, v13, vcc
	v_mov_b32_e32 v23, -1
	s_branch .LBB141_1102
.LBB141_1100:                           ;   in Loop: Header=BB141_1102 Depth=1
	ds_read_b64 v[12:13], v20 offset:384
	s_waitcnt vmcnt(0) lgkmcnt(0)
	v_fma_f64 v[10:11], v[14:15], v[12:13], v[10:11]
.LBB141_1101:                           ;   in Loop: Header=BB141_1102 Depth=1
	s_or_b64 exec, exec, s[18:19]
	s_add_i32 s24, s24, 1
	s_cmp_eq_u32 s24, s6
	s_cbranch_scc1 .LBB141_1124
.LBB141_1102:                           ; =>This Loop Header: Depth=1
                                        ;     Child Loop BB141_1104 Depth 2
	v_cmp_gt_i32_e32 vcc, s24, v23
	s_and_b64 s[18:19], s[4:5], vcc
	s_and_saveexec_b64 s[10:11], s[18:19]
	s_cbranch_execz .LBB141_1105
; %bb.1103:                             ;   in Loop: Header=BB141_1102 Depth=1
	global_load_dword v23, v18, s[16:17]
	s_waitcnt vmcnt(0)
	v_cmp_le_i32_e32 vcc, s24, v23
	s_cbranch_vccnz .LBB141_1105
.LBB141_1104:                           ;   Parent Loop BB141_1102 Depth=1
                                        ; =>  This Inner Loop Header: Depth=2
	buffer_wbinvl1_vol
	global_load_dword v23, v18, s[16:17]
	s_waitcnt vmcnt(0)
	v_cmp_gt_i32_e32 vcc, s24, v23
	s_cbranch_vccnz .LBB141_1104
.LBB141_1105:                           ;   in Loop: Header=BB141_1102 Depth=1
	s_or_b64 exec, exec, s[10:11]
	s_sub_i32 s28, s7, s24
	s_lshl_b32 s29, s28, 6
	buffer_wbinvl1_vol
	s_barrier
	s_and_saveexec_b64 s[10:11], s[12:13]
	s_cbranch_execz .LBB141_1109
; %bb.1106:                             ;   in Loop: Header=BB141_1102 Depth=1
	s_ashr_i32 s18, s29, 31
	v_mov_b32_e32 v13, s18
	v_or_b32_e32 v12, s29, v17
	v_cmp_gt_i64_e32 vcc, s[34:35], v[12:13]
	v_mov_b32_e32 v14, 0
	v_mov_b32_e32 v15, 0
	s_and_saveexec_b64 s[18:19], vcc
	s_cbranch_execz .LBB141_1108
; %bb.1107:                             ;   in Loop: Header=BB141_1102 Depth=1
	v_mul_lo_u32 v14, v13, s30
	v_mul_lo_u32 v15, v12, s31
	v_mad_u64_u32 v[12:13], s[36:37], v12, s30, 0
	v_add3_u32 v13, v13, v15, v14
	v_lshlrev_b64 v[12:13], 3, v[12:13]
	v_mov_b32_e32 v14, s21
	v_add_co_u32_e32 v12, vcc, s20, v12
	v_addc_co_u32_e32 v13, vcc, v14, v13, vcc
	flat_load_dwordx2 v[14:15], v[12:13]
.LBB141_1108:                           ;   in Loop: Header=BB141_1102 Depth=1
	s_or_b64 exec, exec, s[18:19]
	s_waitcnt vmcnt(0) lgkmcnt(0)
	ds_write_b64 v19, v[14:15]
.LBB141_1109:                           ;   in Loop: Header=BB141_1102 Depth=1
	s_or_b64 exec, exec, s[10:11]
	v_add_u32_e32 v14, s29, v1
	v_ashrrev_i32_e32 v15, 31, v14
	v_lshlrev_b64 v[12:13], 3, v[14:15]
	s_cmp_lg_u32 s28, s25
	v_add_co_u32_e32 v12, vcc, v21, v12
	s_cselect_b64 s[10:11], -1, 0
	v_addc_co_u32_e32 v13, vcc, v22, v13, vcc
	v_cmp_gt_i32_e32 vcc, s34, v14
	v_cndmask_b32_e64 v15, 0, 1, s[10:11]
	s_and_b64 s[28:29], vcc, s[8:9]
	v_cmp_ne_u32_e64 s[10:11], 1, v15
	s_waitcnt lgkmcnt(0)
	s_barrier
	s_and_saveexec_b64 s[18:19], s[28:29]
	s_cbranch_execz .LBB141_1113
; %bb.1110:                             ;   in Loop: Header=BB141_1102 Depth=1
	v_mov_b32_e32 v16, v5
	s_and_b64 vcc, exec, s[10:11]
	v_mov_b32_e32 v15, v4
	s_cbranch_vccnz .LBB141_1112
; %bb.1111:                             ;   in Loop: Header=BB141_1102 Depth=1
	flat_load_dwordx2 v[15:16], v[12:13]
.LBB141_1112:                           ;   in Loop: Header=BB141_1102 Depth=1
	ds_read_b64 v[24:25], v20
	s_waitcnt vmcnt(0) lgkmcnt(0)
	v_fma_f64 v[10:11], v[15:16], v[24:25], v[10:11]
.LBB141_1113:                           ;   in Loop: Header=BB141_1102 Depth=1
	s_or_b64 exec, exec, s[18:19]
	v_add_u32_e32 v15, 16, v14
	v_cmp_gt_i32_e32 vcc, s34, v15
	s_and_b64 s[28:29], vcc, s[8:9]
	s_and_saveexec_b64 s[18:19], s[28:29]
	s_cbranch_execz .LBB141_1117
; %bb.1114:                             ;   in Loop: Header=BB141_1102 Depth=1
	v_mov_b32_e32 v16, v3
	s_and_b64 vcc, exec, s[10:11]
	v_mov_b32_e32 v15, v2
	s_cbranch_vccnz .LBB141_1116
; %bb.1115:                             ;   in Loop: Header=BB141_1102 Depth=1
	flat_load_dwordx2 v[15:16], v[12:13] offset:128
.LBB141_1116:                           ;   in Loop: Header=BB141_1102 Depth=1
	ds_read_b64 v[24:25], v20 offset:128
	s_waitcnt vmcnt(0) lgkmcnt(0)
	v_fma_f64 v[10:11], v[15:16], v[24:25], v[10:11]
.LBB141_1117:                           ;   in Loop: Header=BB141_1102 Depth=1
	s_or_b64 exec, exec, s[18:19]
	v_add_u32_e32 v15, 32, v14
	v_cmp_gt_i32_e32 vcc, s34, v15
	s_and_b64 s[28:29], vcc, s[8:9]
	s_and_saveexec_b64 s[18:19], s[28:29]
	s_cbranch_execz .LBB141_1121
; %bb.1118:                             ;   in Loop: Header=BB141_1102 Depth=1
	v_mov_b32_e32 v16, v9
	s_and_b64 vcc, exec, s[10:11]
	v_mov_b32_e32 v15, v8
	s_cbranch_vccnz .LBB141_1120
; %bb.1119:                             ;   in Loop: Header=BB141_1102 Depth=1
	flat_load_dwordx2 v[15:16], v[12:13] offset:256
.LBB141_1120:                           ;   in Loop: Header=BB141_1102 Depth=1
	ds_read_b64 v[24:25], v20 offset:256
	s_waitcnt vmcnt(0) lgkmcnt(0)
	v_fma_f64 v[10:11], v[15:16], v[24:25], v[10:11]
.LBB141_1121:                           ;   in Loop: Header=BB141_1102 Depth=1
	s_or_b64 exec, exec, s[18:19]
	v_add_u32_e32 v14, 48, v14
	v_cmp_gt_i32_e32 vcc, s34, v14
	s_and_b64 s[28:29], vcc, s[8:9]
	s_and_saveexec_b64 s[18:19], s[28:29]
	s_cbranch_execz .LBB141_1101
; %bb.1122:                             ;   in Loop: Header=BB141_1102 Depth=1
	v_mov_b32_e32 v15, v7
	s_and_b64 vcc, exec, s[10:11]
	v_mov_b32_e32 v14, v6
	s_cbranch_vccnz .LBB141_1100
; %bb.1123:                             ;   in Loop: Header=BB141_1102 Depth=1
	flat_load_dwordx2 v[14:15], v[12:13] offset:384
	s_branch .LBB141_1100
.LBB141_1124:
	v_lshl_add_u32 v2, v1, 6, v0
	s_xor_b64 s[4:5], s[26:27], -1
	v_lshlrev_b32_e32 v4, 3, v2
	ds_write_b64 v4, v[10:11] offset:32768
	s_waitcnt lgkmcnt(0)
	s_barrier
	s_and_saveexec_b64 s[6:7], s[2:3]
	s_cbranch_execz .LBB141_1126
; %bb.1125:
	v_lshlrev_b32_e32 v15, 3, v0
	ds_read2st64_b64 v[5:8], v15 offset0:65 offset1:66
	ds_read_b64 v[2:3], v15 offset:40448
	s_waitcnt lgkmcnt(1)
	v_add_f64 v[5:6], v[10:11], v[5:6]
	v_add_f64 v[13:14], v[5:6], v[7:8]
	ds_read2st64_b64 v[5:8], v15 offset0:67 offset1:68
	ds_read2st64_b64 v[9:12], v15 offset0:69 offset1:70
	s_waitcnt lgkmcnt(1)
	v_add_f64 v[5:6], v[13:14], v[5:6]
	v_add_f64 v[5:6], v[5:6], v[7:8]
	s_waitcnt lgkmcnt(0)
	v_add_f64 v[5:6], v[5:6], v[9:10]
	v_add_f64 v[13:14], v[5:6], v[11:12]
	ds_read2st64_b64 v[5:8], v15 offset0:71 offset1:72
	ds_read2st64_b64 v[9:12], v15 offset0:73 offset1:74
	s_waitcnt lgkmcnt(1)
	v_add_f64 v[5:6], v[13:14], v[5:6]
	v_add_f64 v[5:6], v[5:6], v[7:8]
	;; [unrolled: 8-line block ×3, first 2 shown]
	s_waitcnt lgkmcnt(0)
	v_add_f64 v[5:6], v[5:6], v[9:10]
	v_add_f64 v[5:6], v[5:6], v[11:12]
	;; [unrolled: 1-line block ×3, first 2 shown]
	v_xor_b32_e32 v3, 0x80000000, v3
	v_cndmask_b32_e64 v11, v3, 0, s[14:15]
	v_cndmask_b32_e64 v10, v2, 0, s[14:15]
.LBB141_1126:
	s_or_b64 exec, exec, s[6:7]
	s_and_b64 vcc, exec, s[42:43]
	s_cbranch_vccnz .LBB141_1140
; %bb.1127:
	v_mov_b32_e32 v2, 0xa000
	v_lshl_or_b32 v5, v1, 3, v2
	s_and_saveexec_b64 s[6:7], s[2:3]
; %bb.1128:
	v_lshl_add_u32 v2, v0, 3, v5
	ds_write_b64 v2, v[10:11]
; %bb.1129:
	s_or_b64 exec, exec, s[6:7]
	v_mov_b32_e32 v2, 0
	v_mov_b32_e32 v3, 0
	v_cmp_le_u32_e32 vcc, v0, v1
	s_waitcnt lgkmcnt(0)
	s_barrier
	s_and_saveexec_b64 s[6:7], vcc
	s_cbranch_execz .LBB141_1131
; %bb.1130:
	ds_read_b64 v[2:3], v4
	ds_read_b64 v[6:7], v5
	s_waitcnt lgkmcnt(0)
	v_fma_f64 v[2:3], v[2:3], v[6:7], 0
.LBB141_1131:
	s_or_b64 exec, exec, s[6:7]
	v_add_u32_e32 v6, 16, v1
	v_cmp_le_u32_e32 vcc, v0, v6
	s_and_saveexec_b64 s[6:7], vcc
	s_cbranch_execz .LBB141_1133
; %bb.1132:
	ds_read_b64 v[6:7], v4 offset:8192
	ds_read_b64 v[8:9], v5 offset:128
	s_waitcnt lgkmcnt(0)
	v_fma_f64 v[2:3], v[6:7], v[8:9], v[2:3]
.LBB141_1133:
	s_or_b64 exec, exec, s[6:7]
	v_add_u32_e32 v6, 32, v1
	v_cmp_le_u32_e32 vcc, v0, v6
	s_and_saveexec_b64 s[6:7], vcc
	s_cbranch_execz .LBB141_1135
; %bb.1134:
	ds_read_b64 v[6:7], v4 offset:16384
	ds_read_b64 v[8:9], v5 offset:256
	s_waitcnt lgkmcnt(0)
	v_fma_f64 v[2:3], v[6:7], v[8:9], v[2:3]
.LBB141_1135:
	s_or_b64 exec, exec, s[6:7]
	v_add_u32_e32 v1, 48, v1
	v_add_u32_e32 v6, 0x8000, v4
	v_cmp_le_u32_e32 vcc, v0, v1
	s_and_saveexec_b64 s[6:7], vcc
	s_cbranch_execz .LBB141_1137
; %bb.1136:
	ds_read_b64 v[7:8], v4 offset:24576
	ds_read_b64 v[4:5], v5 offset:384
	s_waitcnt lgkmcnt(0)
	v_fma_f64 v[2:3], v[7:8], v[4:5], v[2:3]
.LBB141_1137:
	s_or_b64 exec, exec, s[6:7]
	s_mov_b64 s[8:9], 0
	s_mov_b64 s[6:7], 0
	ds_write_b64 v6, v[2:3]
	s_waitcnt lgkmcnt(0)
	s_barrier
                                        ; implicit-def: $vgpr4_vgpr5
	s_and_saveexec_b64 s[10:11], s[2:3]
	s_cbranch_execz .LBB141_1166
; %bb.1138:
	v_lshlrev_b32_e32 v9, 3, v0
	ds_read2st64_b64 v[4:7], v9 offset0:65 offset1:66
	ds_read_b64 v[12:13], v9 offset:40448
	s_mov_b64 s[6:7], exec
	s_waitcnt lgkmcnt(1)
	v_add_f64 v[1:2], v[2:3], v[4:5]
	v_add_f64 v[14:15], v[6:7], v[1:2]
	ds_read2st64_b64 v[1:4], v9 offset0:67 offset1:68
	ds_read2st64_b64 v[5:8], v9 offset0:69 offset1:70
	s_waitcnt lgkmcnt(1)
	v_add_f64 v[1:2], v[1:2], v[14:15]
	v_add_f64 v[1:2], v[3:4], v[1:2]
	s_waitcnt lgkmcnt(0)
	v_add_f64 v[1:2], v[5:6], v[1:2]
	v_add_f64 v[14:15], v[7:8], v[1:2]
	ds_read2st64_b64 v[1:4], v9 offset0:71 offset1:72
	ds_read2st64_b64 v[5:8], v9 offset0:73 offset1:74
	s_waitcnt lgkmcnt(1)
	v_add_f64 v[1:2], v[1:2], v[14:15]
	v_add_f64 v[1:2], v[3:4], v[1:2]
	;; [unrolled: 8-line block ×3, first 2 shown]
	s_waitcnt lgkmcnt(0)
	v_add_f64 v[1:2], v[5:6], v[1:2]
	v_add_f64 v[1:2], v[7:8], v[1:2]
	;; [unrolled: 1-line block ×3, first 2 shown]
	s_or_b64 exec, exec, s[10:11]
	s_and_b64 vcc, exec, s[8:9]
	s_cbranch_vccnz .LBB141_1141
	s_branch .LBB141_1167
.LBB141_1139:
	v_mad_u64_u32 v[12:13], s[2:3], s36, v15, 0
	s_or_b64 s[10:11], s[10:11], exec
	v_mad_u64_u32 v[13:14], s[2:3], s37, v15, v[13:14]
	v_lshlrev_b64 v[12:13], 3, v[12:13]
	v_add_co_u32_e32 v10, vcc, v10, v12
	v_addc_co_u32_e32 v11, vcc, v11, v13, vcc
	flat_load_dwordx2 v[12:13], v[10:11]
	s_waitcnt vmcnt(0) lgkmcnt(0)
	v_xor_b32_e32 v13, 0x80000000, v13
	s_or_b64 exec, exec, s[8:9]
	s_xor_b64 s[0:1], s[0:1], -1
	s_and_saveexec_b64 s[2:3], s[10:11]
	s_cbranch_execnz .LBB141_57
	s_branch .LBB141_58
.LBB141_1140:
	s_mov_b64 s[6:7], 0
                                        ; implicit-def: $vgpr4_vgpr5
	s_cbranch_execz .LBB141_1167
.LBB141_1141:
	v_mov_b32_e32 v1, 0x7800
	v_lshl_add_u32 v1, v0, 3, v1
	v_mov_b32_e32 v3, 63
	v_mov_b32_e32 v2, 0
	s_branch .LBB141_1143
.LBB141_1142:                           ;   in Loop: Header=BB141_1143 Depth=1
	s_or_b64 exec, exec, s[8:9]
	v_subrev_co_u32_e32 v3, vcc, 1, v3
	s_andn2_b64 vcc, exec, vcc
	v_add_u32_e32 v1, 0xfffff800, v1
	s_barrier
	s_cbranch_vccz .LBB141_1159
.LBB141_1143:                           ; =>This Inner Loop Header: Depth=1
	v_cmp_eq_u32_e32 vcc, v0, v3
	s_and_b64 s[10:11], s[2:3], vcc
	s_and_saveexec_b64 s[8:9], s[10:11]
; %bb.1144:                             ;   in Loop: Header=BB141_1143 Depth=1
	ds_write_b64 v2, v[10:11] offset:41472
; %bb.1145:                             ;   in Loop: Header=BB141_1143 Depth=1
	s_or_b64 exec, exec, s[8:9]
	v_cmp_lt_u32_e32 vcc, v0, v3
	s_and_b64 s[10:11], s[2:3], vcc
	s_waitcnt lgkmcnt(0)
	s_barrier
	s_and_saveexec_b64 s[8:9], s[10:11]
	s_cbranch_execz .LBB141_1147
; %bb.1146:                             ;   in Loop: Header=BB141_1143 Depth=1
	ds_read_b64 v[4:5], v1 offset:1536
	ds_read_b64 v[6:7], v2 offset:41472
	s_waitcnt lgkmcnt(0)
	v_fma_f64 v[10:11], v[4:5], v[6:7], v[10:11]
.LBB141_1147:                           ;   in Loop: Header=BB141_1143 Depth=1
	s_or_b64 exec, exec, s[8:9]
	v_add_u32_e32 v3, -1, v3
	v_cmp_eq_u32_e32 vcc, v0, v3
	s_and_b64 s[10:11], s[2:3], vcc
	s_barrier
	s_and_saveexec_b64 s[8:9], s[10:11]
; %bb.1148:                             ;   in Loop: Header=BB141_1143 Depth=1
	ds_write_b64 v2, v[10:11] offset:41472
; %bb.1149:                             ;   in Loop: Header=BB141_1143 Depth=1
	s_or_b64 exec, exec, s[8:9]
	v_cmp_lt_u32_e32 vcc, v0, v3
	s_and_b64 s[10:11], s[2:3], vcc
	s_waitcnt lgkmcnt(0)
	s_barrier
	s_and_saveexec_b64 s[8:9], s[10:11]
	s_cbranch_execz .LBB141_1151
; %bb.1150:                             ;   in Loop: Header=BB141_1143 Depth=1
	ds_read_b64 v[4:5], v1 offset:1024
	ds_read_b64 v[6:7], v2 offset:41472
	s_waitcnt lgkmcnt(0)
	v_fma_f64 v[10:11], v[4:5], v[6:7], v[10:11]
.LBB141_1151:                           ;   in Loop: Header=BB141_1143 Depth=1
	s_or_b64 exec, exec, s[8:9]
	v_add_u32_e32 v3, -1, v3
	v_cmp_eq_u32_e32 vcc, v0, v3
	s_and_b64 s[10:11], s[2:3], vcc
	s_barrier
	;; [unrolled: 22-line block ×3, first 2 shown]
	s_and_saveexec_b64 s[8:9], s[10:11]
; %bb.1156:                             ;   in Loop: Header=BB141_1143 Depth=1
	ds_write_b64 v2, v[10:11] offset:41472
; %bb.1157:                             ;   in Loop: Header=BB141_1143 Depth=1
	s_or_b64 exec, exec, s[8:9]
	v_cmp_lt_u32_e32 vcc, v0, v3
	s_and_b64 s[10:11], s[2:3], vcc
	s_waitcnt lgkmcnt(0)
	s_barrier
	s_and_saveexec_b64 s[8:9], s[10:11]
	s_cbranch_execz .LBB141_1142
; %bb.1158:                             ;   in Loop: Header=BB141_1143 Depth=1
	ds_read_b64 v[4:5], v1
	ds_read_b64 v[6:7], v2 offset:41472
	s_waitcnt lgkmcnt(0)
	v_fma_f64 v[10:11], v[4:5], v[6:7], v[10:11]
	s_branch .LBB141_1142
.LBB141_1159:
	s_mov_b64 s[8:9], -1
	s_and_b64 vcc, exec, s[4:5]
	s_cbranch_vccnz .LBB141_1168
; %bb.1160:
	s_andn2_b64 vcc, exec, s[8:9]
	s_cbranch_vccz .LBB141_1169
.LBB141_1161:
	s_and_saveexec_b64 s[2:3], s[6:7]
	s_cbranch_execz .LBB141_1163
.LBB141_1162:
	s_lshl_b32 s4, s33, 6
	s_ashr_i32 s5, s4, 31
	v_mov_b32_e32 v0, s5
	v_add_co_u32_e32 v1, vcc, s4, v17
	v_addc_co_u32_e32 v0, vcc, 0, v0, vcc
	v_mul_lo_u32 v2, v0, s30
	v_mul_lo_u32 v3, v1, s31
	v_mad_u64_u32 v[0:1], s[4:5], v1, s30, 0
	v_add3_u32 v1, v1, v3, v2
	v_lshlrev_b64 v[0:1], 3, v[0:1]
	v_mov_b32_e32 v2, s21
	v_add_co_u32_e32 v0, vcc, s20, v0
	v_addc_co_u32_e32 v1, vcc, v2, v1, vcc
	flat_store_dwordx2 v[0:1], v[10:11]
.LBB141_1163:
	s_or_b64 exec, exec, s[2:3]
	v_cmp_eq_u32_e32 vcc, 0, v17
	s_waitcnt vmcnt(0) lgkmcnt(0)
	buffer_wbinvl1_vol
	s_barrier
	s_and_saveexec_b64 s[2:3], vcc
	s_cbranch_execz .LBB141_1165
; %bb.1164:
	s_lshl_b64 s[4:5], s[22:23], 2
	s_add_u32 s0, s0, s4
	s_addc_u32 s1, s1, s5
	v_mov_b32_e32 v0, 0
	global_load_dword v1, v0, s[0:1]
	s_waitcnt vmcnt(0)
	v_add_u32_e32 v1, 1, v1
	global_store_dword v0, v1, s[0:1]
.LBB141_1165:
	s_or_b64 exec, exec, s[2:3]
	s_waitcnt vmcnt(0)
	buffer_wbinvl1_vol
	s_endpgm
.LBB141_1166:
	s_or_b64 exec, exec, s[10:11]
	s_and_b64 vcc, exec, s[8:9]
	s_cbranch_vccnz .LBB141_1141
.LBB141_1167:
	v_mov_b32_e32 v11, v5
	v_mov_b32_e32 v10, v4
	s_and_saveexec_b64 s[2:3], s[6:7]
	s_cbranch_execnz .LBB141_1162
	s_branch .LBB141_1163
.LBB141_1168:
	s_andn2_b64 s[4:5], s[6:7], exec
	s_and_b64 s[6:7], s[2:3], exec
	s_or_b64 s[6:7], s[4:5], s[6:7]
	s_cbranch_execnz .LBB141_1161
.LBB141_1169:
	v_cmp_gt_i32_e32 vcc, s90, v0
	s_and_b64 s[2:3], s[2:3], vcc
	s_andn2_b64 s[4:5], s[6:7], exec
	s_and_b64 s[2:3], s[2:3], exec
	s_or_b64 s[6:7], s[4:5], s[2:3]
	s_and_saveexec_b64 s[2:3], s[6:7]
	s_cbranch_execnz .LBB141_1162
	s_branch .LBB141_1163
.LBB141_1170:
	v_lshlrev_b32_e32 v21, 3, v20
	v_sub_u32_e32 v21, v18, v21
	v_lshl_add_u32 v21, v19, 3, v21
	ds_read_b64 v[21:22], v21 offset:544
	ds_read_b64 v[23:24], v18 offset:8
	s_waitcnt lgkmcnt(0)
	v_fma_f64 v[10:11], v[21:22], v[23:24], v[10:11]
	s_or_b64 exec, exec, s[14:15]
	v_cmp_gt_u32_e64 s[10:11], 8, v14
	s_and_saveexec_b64 s[14:15], s[10:11]
	s_cbranch_execz .LBB141_80
.LBB141_1171:
	ds_read_b64 v[21:22], v16 offset:1056
	ds_read_b64 v[23:24], v18 offset:16
	s_waitcnt lgkmcnt(0)
	v_fma_f64 v[10:11], v[21:22], v[23:24], v[10:11]
	s_or_b64 exec, exec, s[14:15]
	v_cmp_gt_u32_e64 s[10:11], 4, v14
	s_and_saveexec_b64 s[14:15], s[10:11]
	s_cbranch_execnz .LBB141_81
	s_branch .LBB141_82
.LBB141_1172:
	v_lshlrev_b32_e32 v26, 3, v25
	v_sub_u32_e32 v26, v23, v26
	v_lshl_add_u32 v26, v24, 3, v26
	ds_read_b64 v[26:27], v26 offset:576
	ds_read_b64 v[28:29], v23 offset:8
	s_waitcnt lgkmcnt(0)
	v_fma_f64 v[10:11], v[26:27], v[28:29], v[10:11]
	s_or_b64 exec, exec, s[16:17]
	v_cmp_gt_u32_e64 s[14:15], 48, v14
	s_and_saveexec_b64 s[16:17], s[14:15]
	s_cbranch_execz .LBB141_122
.LBB141_1173:
	v_lshlrev_b32_e32 v26, 3, v25
	v_sub_u32_e32 v26, v23, v26
	v_lshl_add_u32 v26, v24, 3, v26
	ds_read_b64 v[26:27], v26 offset:1088
	ds_read_b64 v[28:29], v23 offset:16
	s_waitcnt lgkmcnt(0)
	v_fma_f64 v[10:11], v[26:27], v[28:29], v[10:11]
	s_or_b64 exec, exec, s[16:17]
	v_cmp_gt_u32_e64 s[14:15], 40, v14
	s_and_saveexec_b64 s[16:17], s[14:15]
	s_cbranch_execz .LBB141_123
.LBB141_1174:
	v_lshlrev_b32_e32 v26, 3, v25
	v_sub_u32_e32 v26, v23, v26
	v_lshl_add_u32 v26, v24, 3, v26
	ds_read_b64 v[26:27], v26 offset:1600
	ds_read_b64 v[28:29], v23 offset:24
	s_waitcnt lgkmcnt(0)
	v_fma_f64 v[10:11], v[26:27], v[28:29], v[10:11]
	s_or_b64 exec, exec, s[16:17]
	v_cmp_gt_u32_e64 s[14:15], 32, v14
	s_and_saveexec_b64 s[16:17], s[14:15]
	s_cbranch_execz .LBB141_124
.LBB141_1175:
	ds_read_b64 v[26:27], v21 offset:2112
	ds_read_b64 v[28:29], v23 offset:32
	s_waitcnt lgkmcnt(0)
	v_fma_f64 v[10:11], v[26:27], v[28:29], v[10:11]
	s_or_b64 exec, exec, s[16:17]
	v_cmp_gt_u32_e64 s[14:15], 24, v14
	s_and_saveexec_b64 s[16:17], s[14:15]
	s_cbranch_execz .LBB141_125
.LBB141_1176:
	v_lshlrev_b32_e32 v26, 3, v25
	v_sub_u32_e32 v26, v23, v26
	v_lshl_add_u32 v26, v24, 3, v26
	ds_read_b64 v[26:27], v26 offset:2624
	ds_read_b64 v[28:29], v23 offset:40
	s_waitcnt lgkmcnt(0)
	v_fma_f64 v[10:11], v[26:27], v[28:29], v[10:11]
	s_or_b64 exec, exec, s[16:17]
	v_cmp_gt_u32_e64 s[14:15], 16, v14
	s_and_saveexec_b64 s[16:17], s[14:15]
	s_cbranch_execz .LBB141_126
.LBB141_1177:
	ds_read_b64 v[26:27], v21 offset:3136
	ds_read_b64 v[28:29], v23 offset:48
	s_waitcnt lgkmcnt(0)
	v_fma_f64 v[10:11], v[26:27], v[28:29], v[10:11]
	s_or_b64 exec, exec, s[16:17]
	v_cmp_gt_u32_e64 s[14:15], 8, v14
	s_and_saveexec_b64 s[16:17], s[14:15]
	s_cbranch_execnz .LBB141_127
	s_branch .LBB141_128
.LBB141_1178:
	v_lshlrev_b32_e32 v27, 3, v20
	v_sub_u32_e32 v27, v26, v27
	v_lshl_add_u32 v27, v19, 3, v27
	ds_read_b64 v[27:28], v27 offset:4704
	ds_read_b64 v[29:30], v26 offset:4168
	s_waitcnt lgkmcnt(0)
	v_fma_f64 v[10:11], v[27:28], v[29:30], v[10:11]
	s_or_b64 exec, exec, s[14:15]
	v_cmp_gt_u32_e64 s[10:11], 8, v14
	s_and_saveexec_b64 s[14:15], s[10:11]
	s_cbranch_execz .LBB141_184
.LBB141_1179:
	ds_read_b64 v[27:28], v16 offset:5216
	ds_read_b64 v[29:30], v26 offset:4176
	s_waitcnt lgkmcnt(0)
	v_fma_f64 v[10:11], v[27:28], v[29:30], v[10:11]
	s_or_b64 exec, exec, s[14:15]
	v_cmp_gt_u32_e64 s[10:11], 4, v14
	s_and_saveexec_b64 s[14:15], s[10:11]
	s_cbranch_execnz .LBB141_185
	s_branch .LBB141_186
.LBB141_1180:
	v_lshlrev_b32_e32 v31, 3, v27
	v_lshl_add_u32 v31, v29, 3, v31
	ds_read_b64 v[31:32], v31 offset:5760
	ds_read_b64 v[33:34], v28 offset:88
	s_waitcnt lgkmcnt(0)
	v_fma_f64 v[10:11], v[31:32], v[33:34], v[10:11]
	s_or_b64 exec, exec, s[20:21]
	v_cmp_gt_u32_e64 s[16:17], 64, v14
	s_and_saveexec_b64 s[20:21], s[16:17]
	s_cbranch_execz .LBB141_246
.LBB141_1181:
	ds_read_b64 v[31:32], v26 offset:6272
	ds_read_b64 v[33:34], v28 offset:96
	s_waitcnt lgkmcnt(0)
	v_fma_f64 v[10:11], v[31:32], v[33:34], v[10:11]
	s_or_b64 exec, exec, s[20:21]
	v_cmp_gt_u32_e64 s[16:17], 48, v14
	s_and_saveexec_b64 s[20:21], s[16:17]
	s_cbranch_execz .LBB141_247
.LBB141_1182:
	v_lshlrev_b32_e32 v31, 3, v27
	v_lshl_add_u32 v31, v29, 3, v31
	ds_read_b64 v[31:32], v31 offset:6784
	ds_read_b64 v[33:34], v28 offset:104
	s_waitcnt lgkmcnt(0)
	v_fma_f64 v[10:11], v[31:32], v[33:34], v[10:11]
	s_or_b64 exec, exec, s[20:21]
	v_cmp_gt_u32_e64 s[16:17], 32, v14
	s_and_saveexec_b64 s[20:21], s[16:17]
	s_cbranch_execz .LBB141_248
.LBB141_1183:
	ds_read_b64 v[31:32], v26 offset:7296
	ds_read_b64 v[33:34], v28 offset:112
	s_waitcnt lgkmcnt(0)
	v_fma_f64 v[10:11], v[31:32], v[33:34], v[10:11]
	s_or_b64 exec, exec, s[20:21]
	v_cmp_gt_u32_e64 s[16:17], 16, v14
	s_and_saveexec_b64 s[20:21], s[16:17]
	s_cbranch_execnz .LBB141_249
	s_branch .LBB141_250
.LBB141_1184:
	v_lshlrev_b32_e32 v32, 3, v20
	v_sub_u32_e32 v32, v31, v32
	v_lshl_add_u32 v32, v19, 3, v32
	ds_read_b64 v[32:33], v32 offset:8864
	ds_read_b64 v[34:35], v31 offset:8328
	s_waitcnt lgkmcnt(0)
	v_fma_f64 v[10:11], v[32:33], v[34:35], v[10:11]
	s_or_b64 exec, exec, s[20:21]
	v_cmp_gt_u32_e64 s[14:15], 8, v14
	s_and_saveexec_b64 s[0:1], s[14:15]
	s_cbranch_execz .LBB141_338
.LBB141_1185:
	ds_read_b64 v[32:33], v16 offset:9376
	ds_read_b64 v[34:35], v31 offset:8336
	s_waitcnt lgkmcnt(0)
	v_fma_f64 v[10:11], v[32:33], v[34:35], v[10:11]
	s_or_b64 exec, exec, s[0:1]
	v_cmp_gt_u32_e64 s[14:15], 4, v14
	s_and_saveexec_b64 s[20:21], s[14:15]
	s_cbranch_execnz .LBB141_339
	s_branch .LBB141_340
.LBB141_1186:
	v_lshlrev_b32_e32 v32, 3, v25
	v_sub_u32_e32 v32, v31, v32
	v_lshl_add_u32 v32, v24, 3, v32
	ds_read_b64 v[32:33], v32 offset:8896
	ds_read_b64 v[34:35], v31 offset:8328
	s_waitcnt lgkmcnt(0)
	v_fma_f64 v[10:11], v[32:33], v[34:35], v[10:11]
	s_or_b64 exec, exec, s[20:21]
	v_cmp_gt_u32_e64 s[14:15], 48, v14
	s_and_saveexec_b64 s[20:21], s[14:15]
	s_cbranch_execz .LBB141_380
.LBB141_1187:
	v_lshlrev_b32_e32 v32, 3, v25
	v_sub_u32_e32 v32, v31, v32
	v_lshl_add_u32 v32, v24, 3, v32
	ds_read_b64 v[32:33], v32 offset:9408
	ds_read_b64 v[34:35], v31 offset:8336
	s_waitcnt lgkmcnt(0)
	v_fma_f64 v[10:11], v[32:33], v[34:35], v[10:11]
	s_or_b64 exec, exec, s[20:21]
	v_cmp_gt_u32_e64 s[14:15], 40, v14
	s_and_saveexec_b64 s[20:21], s[14:15]
	s_cbranch_execz .LBB141_381
.LBB141_1188:
	v_lshlrev_b32_e32 v32, 3, v25
	v_sub_u32_e32 v32, v31, v32
	v_lshl_add_u32 v32, v24, 3, v32
	ds_read_b64 v[32:33], v32 offset:9920
	ds_read_b64 v[34:35], v31 offset:8344
	s_waitcnt lgkmcnt(0)
	v_fma_f64 v[10:11], v[32:33], v[34:35], v[10:11]
	s_or_b64 exec, exec, s[20:21]
	v_cmp_gt_u32_e64 s[14:15], 32, v14
	s_and_saveexec_b64 s[0:1], s[14:15]
	s_cbranch_execz .LBB141_382
.LBB141_1189:
	ds_read_b64 v[32:33], v21 offset:10432
	ds_read_b64 v[34:35], v31 offset:8352
	s_waitcnt lgkmcnt(0)
	v_fma_f64 v[10:11], v[32:33], v[34:35], v[10:11]
	s_or_b64 exec, exec, s[0:1]
	v_cmp_gt_u32_e64 s[14:15], 24, v14
	s_and_saveexec_b64 s[20:21], s[14:15]
	s_cbranch_execz .LBB141_383
.LBB141_1190:
	v_lshlrev_b32_e32 v32, 3, v25
	v_sub_u32_e32 v32, v31, v32
	v_lshl_add_u32 v32, v24, 3, v32
	ds_read_b64 v[32:33], v32 offset:10944
	ds_read_b64 v[34:35], v31 offset:8360
	s_waitcnt lgkmcnt(0)
	v_fma_f64 v[10:11], v[32:33], v[34:35], v[10:11]
	s_or_b64 exec, exec, s[20:21]
	v_cmp_gt_u32_e64 s[14:15], 16, v14
	s_and_saveexec_b64 s[0:1], s[14:15]
	s_cbranch_execz .LBB141_384
.LBB141_1191:
	ds_read_b64 v[32:33], v21 offset:11456
	ds_read_b64 v[34:35], v31 offset:8368
	s_waitcnt lgkmcnt(0)
	v_fma_f64 v[10:11], v[32:33], v[34:35], v[10:11]
	s_or_b64 exec, exec, s[0:1]
	v_cmp_gt_u32_e64 s[14:15], 8, v14
	s_and_saveexec_b64 s[20:21], s[14:15]
	s_cbranch_execnz .LBB141_385
	s_branch .LBB141_386
.LBB141_1192:
	v_lshlrev_b32_e32 v32, 3, v20
	v_sub_u32_e32 v32, v31, v32
	v_lshl_add_u32 v32, v19, 3, v32
	ds_read_b64 v[32:33], v32 offset:13024
	ds_read_b64 v[34:35], v31 offset:12488
	s_waitcnt lgkmcnt(0)
	v_fma_f64 v[10:11], v[32:33], v[34:35], v[10:11]
	s_or_b64 exec, exec, s[20:21]
	v_cmp_gt_u32_e64 s[14:15], 8, v14
	s_and_saveexec_b64 s[0:1], s[14:15]
	s_cbranch_execz .LBB141_442
.LBB141_1193:
	ds_read_b64 v[32:33], v16 offset:13536
	ds_read_b64 v[34:35], v31 offset:12496
	s_waitcnt lgkmcnt(0)
	v_fma_f64 v[10:11], v[32:33], v[34:35], v[10:11]
	s_or_b64 exec, exec, s[0:1]
	v_cmp_gt_u32_e64 s[14:15], 4, v14
	s_and_saveexec_b64 s[20:21], s[14:15]
	s_cbranch_execnz .LBB141_443
	s_branch .LBB141_444
.LBB141_1194:
	ds_read_b64 v[36:37], v31 offset:15104
	ds_read_b64 v[38:39], v35 offset:232
	s_waitcnt lgkmcnt(0)
	v_fma_f64 v[10:11], v[36:37], v[38:39], v[10:11]
	s_or_b64 exec, exec, s[0:1]
	v_cmp_gt_u32_e64 s[20:21], 64, v14
	s_and_saveexec_b64 s[0:1], s[20:21]
	s_cbranch_execz .LBB141_540
.LBB141_1195:
	ds_read_b64 v[36:37], v31 offset:15616
	ds_read_b64 v[38:39], v35 offset:240
	s_waitcnt lgkmcnt(0)
	v_fma_f64 v[10:11], v[36:37], v[38:39], v[10:11]
	s_or_b64 exec, exec, s[0:1]
	v_cmp_gt_u32_e64 s[20:21], 32, v14
	s_and_saveexec_b64 s[0:1], s[20:21]
	s_cbranch_execnz .LBB141_541
	s_branch .LBB141_542
.LBB141_1196:
	v_lshlrev_b32_e32 v32, 3, v20
	v_sub_u32_e32 v32, v31, v32
	v_lshl_add_u32 v32, v19, 3, v32
	ds_read_b64 v[32:33], v32 offset:17184
	ds_read_b64 v[34:35], v31 offset:16648
	s_waitcnt lgkmcnt(0)
	v_fma_f64 v[10:11], v[32:33], v[34:35], v[10:11]
	s_or_b64 exec, exec, s[16:17]
	v_cmp_gt_u32_e64 s[12:13], 8, v14
	s_and_saveexec_b64 s[0:1], s[12:13]
	s_cbranch_execz .LBB141_694
.LBB141_1197:
	ds_read_b64 v[32:33], v16 offset:17696
	ds_read_b64 v[34:35], v31 offset:16656
	s_waitcnt lgkmcnt(0)
	v_fma_f64 v[10:11], v[32:33], v[34:35], v[10:11]
	s_or_b64 exec, exec, s[0:1]
	v_cmp_gt_u32_e64 s[12:13], 4, v14
	s_and_saveexec_b64 s[0:1], s[12:13]
	s_cbranch_execnz .LBB141_695
	s_branch .LBB141_696
.LBB141_1198:
	v_lshlrev_b32_e32 v32, 3, v25
	v_sub_u32_e32 v32, v31, v32
	v_lshl_add_u32 v32, v24, 3, v32
	ds_read_b64 v[32:33], v32 offset:17216
	ds_read_b64 v[34:35], v31 offset:16648
	s_waitcnt lgkmcnt(0)
	v_fma_f64 v[10:11], v[32:33], v[34:35], v[10:11]
	s_or_b64 exec, exec, s[16:17]
	v_cmp_gt_u32_e64 s[12:13], 48, v14
	s_and_saveexec_b64 s[0:1], s[12:13]
	s_cbranch_execz .LBB141_736
.LBB141_1199:
	v_lshlrev_b32_e32 v32, 3, v25
	v_sub_u32_e32 v32, v31, v32
	v_lshl_add_u32 v32, v24, 3, v32
	ds_read_b64 v[32:33], v32 offset:17728
	ds_read_b64 v[34:35], v31 offset:16656
	s_waitcnt lgkmcnt(0)
	v_fma_f64 v[10:11], v[32:33], v[34:35], v[10:11]
	s_or_b64 exec, exec, s[0:1]
	v_cmp_gt_u32_e64 s[12:13], 40, v14
	s_and_saveexec_b64 s[0:1], s[12:13]
	s_cbranch_execz .LBB141_737
.LBB141_1200:
	v_lshlrev_b32_e32 v32, 3, v25
	v_sub_u32_e32 v32, v31, v32
	v_lshl_add_u32 v32, v24, 3, v32
	ds_read_b64 v[32:33], v32 offset:18240
	ds_read_b64 v[34:35], v31 offset:16664
	s_waitcnt lgkmcnt(0)
	v_fma_f64 v[10:11], v[32:33], v[34:35], v[10:11]
	s_or_b64 exec, exec, s[0:1]
	v_cmp_gt_u32_e64 s[12:13], 32, v14
	s_and_saveexec_b64 s[0:1], s[12:13]
	s_cbranch_execz .LBB141_738
.LBB141_1201:
	ds_read_b64 v[32:33], v21 offset:18752
	ds_read_b64 v[34:35], v31 offset:16672
	s_waitcnt lgkmcnt(0)
	v_fma_f64 v[10:11], v[32:33], v[34:35], v[10:11]
	s_or_b64 exec, exec, s[0:1]
	v_cmp_gt_u32_e64 s[12:13], 24, v14
	s_and_saveexec_b64 s[0:1], s[12:13]
	s_cbranch_execz .LBB141_739
.LBB141_1202:
	v_lshlrev_b32_e32 v32, 3, v25
	v_sub_u32_e32 v32, v31, v32
	v_lshl_add_u32 v32, v24, 3, v32
	ds_read_b64 v[32:33], v32 offset:19264
	ds_read_b64 v[34:35], v31 offset:16680
	s_waitcnt lgkmcnt(0)
	v_fma_f64 v[10:11], v[32:33], v[34:35], v[10:11]
	s_or_b64 exec, exec, s[0:1]
	v_cmp_gt_u32_e64 s[12:13], 16, v14
	s_and_saveexec_b64 s[0:1], s[12:13]
	s_cbranch_execz .LBB141_740
.LBB141_1203:
	ds_read_b64 v[32:33], v21 offset:19776
	ds_read_b64 v[34:35], v31 offset:16688
	s_waitcnt lgkmcnt(0)
	v_fma_f64 v[10:11], v[32:33], v[34:35], v[10:11]
	s_or_b64 exec, exec, s[0:1]
	v_cmp_gt_u32_e64 s[12:13], 8, v14
	s_and_saveexec_b64 s[0:1], s[12:13]
	s_cbranch_execnz .LBB141_741
	s_branch .LBB141_742
.LBB141_1204:
	v_lshlrev_b32_e32 v32, 3, v20
	v_sub_u32_e32 v32, v31, v32
	v_lshl_add_u32 v32, v19, 3, v32
	ds_read_b64 v[32:33], v32 offset:21344
	ds_read_b64 v[34:35], v31 offset:20808
	s_waitcnt lgkmcnt(0)
	v_fma_f64 v[10:11], v[32:33], v[34:35], v[10:11]
	s_or_b64 exec, exec, s[16:17]
	v_cmp_gt_u32_e64 s[12:13], 8, v14
	s_and_saveexec_b64 s[0:1], s[12:13]
	s_cbranch_execz .LBB141_798
.LBB141_1205:
	ds_read_b64 v[32:33], v16 offset:21856
	ds_read_b64 v[34:35], v31 offset:20816
	s_waitcnt lgkmcnt(0)
	v_fma_f64 v[10:11], v[32:33], v[34:35], v[10:11]
	s_or_b64 exec, exec, s[0:1]
	v_cmp_gt_u32_e64 s[12:13], 4, v14
	s_and_saveexec_b64 s[0:1], s[12:13]
	s_cbranch_execnz .LBB141_799
	s_branch .LBB141_800
.LBB141_1206:
	v_lshlrev_b32_e32 v30, 3, v27
	v_lshl_add_u32 v30, v29, 3, v30
	ds_read_b64 v[32:33], v30 offset:22400
	ds_read_b64 v[34:35], v31 offset:16728
	s_waitcnt lgkmcnt(0)
	v_fma_f64 v[10:11], v[32:33], v[34:35], v[10:11]
	s_or_b64 exec, exec, s[0:1]
	v_cmp_gt_u32_e64 s[12:13], 64, v14
	s_and_saveexec_b64 s[0:1], s[12:13]
	s_cbranch_execz .LBB141_860
.LBB141_1207:
	ds_read_b64 v[32:33], v26 offset:22912
	ds_read_b64 v[34:35], v31 offset:16736
	s_waitcnt lgkmcnt(0)
	v_fma_f64 v[10:11], v[32:33], v[34:35], v[10:11]
	s_or_b64 exec, exec, s[0:1]
	v_cmp_gt_u32_e64 s[12:13], 48, v14
	s_and_saveexec_b64 s[0:1], s[12:13]
	s_cbranch_execz .LBB141_861
.LBB141_1208:
	v_lshlrev_b32_e32 v30, 3, v27
	v_lshl_add_u32 v29, v29, 3, v30
	ds_read_b64 v[29:30], v29 offset:23424
	ds_read_b64 v[32:33], v31 offset:16744
	s_waitcnt lgkmcnt(0)
	v_fma_f64 v[10:11], v[29:30], v[32:33], v[10:11]
	s_or_b64 exec, exec, s[0:1]
	v_cmp_gt_u32_e64 s[12:13], 32, v14
	s_and_saveexec_b64 s[0:1], s[12:13]
	s_cbranch_execz .LBB141_862
.LBB141_1209:
	ds_read_b64 v[29:30], v26 offset:23936
	ds_read_b64 v[31:32], v31 offset:16752
	s_waitcnt lgkmcnt(0)
	v_fma_f64 v[10:11], v[29:30], v[31:32], v[10:11]
	s_or_b64 exec, exec, s[0:1]
	v_cmp_gt_u32_e64 s[12:13], 16, v14
	s_and_saveexec_b64 s[0:1], s[12:13]
	s_cbranch_execnz .LBB141_863
	s_branch .LBB141_864
.LBB141_1210:
	v_lshlrev_b32_e32 v27, 3, v20
	v_sub_u32_e32 v27, v26, v27
	v_lshl_add_u32 v27, v19, 3, v27
	ds_read_b64 v[27:28], v27 offset:25504
	ds_read_b64 v[29:30], v26 offset:24968
	s_waitcnt lgkmcnt(0)
	v_fma_f64 v[10:11], v[27:28], v[29:30], v[10:11]
	s_or_b64 exec, exec, s[12:13]
	v_cmp_gt_u32_e64 s[10:11], 8, v14
	s_and_saveexec_b64 s[12:13], s[10:11]
	s_cbranch_execz .LBB141_952
.LBB141_1211:
	ds_read_b64 v[27:28], v16 offset:26016
	ds_read_b64 v[29:30], v26 offset:24976
	s_waitcnt lgkmcnt(0)
	v_fma_f64 v[10:11], v[27:28], v[29:30], v[10:11]
	s_or_b64 exec, exec, s[12:13]
	v_cmp_gt_u32_e64 s[10:11], 4, v14
	s_and_saveexec_b64 s[12:13], s[10:11]
	s_cbranch_execnz .LBB141_953
	s_branch .LBB141_954
.LBB141_1212:
	v_lshlrev_b32_e32 v27, 3, v25
	v_sub_u32_e32 v27, v26, v27
	v_lshl_add_u32 v27, v24, 3, v27
	ds_read_b64 v[27:28], v27 offset:25536
	ds_read_b64 v[29:30], v26 offset:24968
	s_waitcnt lgkmcnt(0)
	v_fma_f64 v[10:11], v[27:28], v[29:30], v[10:11]
	s_or_b64 exec, exec, s[12:13]
	v_cmp_gt_u32_e64 s[10:11], 48, v14
	s_and_saveexec_b64 s[12:13], s[10:11]
	s_cbranch_execz .LBB141_994
.LBB141_1213:
	v_lshlrev_b32_e32 v27, 3, v25
	v_sub_u32_e32 v27, v26, v27
	v_lshl_add_u32 v27, v24, 3, v27
	ds_read_b64 v[27:28], v27 offset:26048
	ds_read_b64 v[29:30], v26 offset:24976
	s_waitcnt lgkmcnt(0)
	v_fma_f64 v[10:11], v[27:28], v[29:30], v[10:11]
	s_or_b64 exec, exec, s[12:13]
	v_cmp_gt_u32_e64 s[10:11], 40, v14
	s_and_saveexec_b64 s[12:13], s[10:11]
	s_cbranch_execz .LBB141_995
.LBB141_1214:
	v_lshlrev_b32_e32 v27, 3, v25
	v_sub_u32_e32 v27, v26, v27
	v_lshl_add_u32 v27, v24, 3, v27
	ds_read_b64 v[27:28], v27 offset:26560
	ds_read_b64 v[29:30], v26 offset:24984
	s_waitcnt lgkmcnt(0)
	v_fma_f64 v[10:11], v[27:28], v[29:30], v[10:11]
	s_or_b64 exec, exec, s[12:13]
	v_cmp_gt_u32_e64 s[10:11], 32, v14
	s_and_saveexec_b64 s[12:13], s[10:11]
	s_cbranch_execz .LBB141_996
.LBB141_1215:
	ds_read_b64 v[27:28], v21 offset:27072
	ds_read_b64 v[29:30], v26 offset:24992
	s_waitcnt lgkmcnt(0)
	v_fma_f64 v[10:11], v[27:28], v[29:30], v[10:11]
	s_or_b64 exec, exec, s[12:13]
	v_cmp_gt_u32_e64 s[10:11], 24, v14
	s_and_saveexec_b64 s[12:13], s[10:11]
	s_cbranch_execz .LBB141_997
.LBB141_1216:
	v_lshlrev_b32_e32 v25, 3, v25
	v_sub_u32_e32 v25, v26, v25
	v_lshl_add_u32 v24, v24, 3, v25
	ds_read_b64 v[24:25], v24 offset:27584
	ds_read_b64 v[27:28], v26 offset:25000
	s_waitcnt lgkmcnt(0)
	v_fma_f64 v[10:11], v[24:25], v[27:28], v[10:11]
	s_or_b64 exec, exec, s[12:13]
	v_cmp_gt_u32_e64 s[10:11], 16, v14
	s_and_saveexec_b64 s[12:13], s[10:11]
	s_cbranch_execz .LBB141_998
.LBB141_1217:
	ds_read_b64 v[24:25], v21 offset:28096
	ds_read_b64 v[26:27], v26 offset:25008
	s_waitcnt lgkmcnt(0)
	v_fma_f64 v[10:11], v[24:25], v[26:27], v[10:11]
	s_or_b64 exec, exec, s[12:13]
	v_cmp_gt_u32_e64 s[10:11], 8, v14
	s_and_saveexec_b64 s[12:13], s[10:11]
	s_cbranch_execnz .LBB141_999
	s_branch .LBB141_1000
.LBB141_1218:
	v_lshlrev_b32_e32 v20, 3, v20
	v_sub_u32_e32 v20, v21, v20
	v_lshl_add_u32 v19, v19, 3, v20
	ds_read_b64 v[19:20], v19 offset:29664
	ds_read_b64 v[22:23], v21 offset:29128
	s_waitcnt lgkmcnt(0)
	v_fma_f64 v[10:11], v[19:20], v[22:23], v[10:11]
	s_or_b64 exec, exec, s[10:11]
	v_cmp_gt_u32_e64 s[8:9], 8, v14
	s_and_saveexec_b64 s[10:11], s[8:9]
	s_cbranch_execz .LBB141_1056
.LBB141_1219:
	ds_read_b64 v[19:20], v16 offset:30176
	ds_read_b64 v[21:22], v21 offset:29136
	s_waitcnt lgkmcnt(0)
	v_fma_f64 v[10:11], v[19:20], v[21:22], v[10:11]
	s_or_b64 exec, exec, s[10:11]
	v_cmp_gt_u32_e64 s[8:9], 4, v14
	s_and_saveexec_b64 s[10:11], s[8:9]
	s_cbranch_execnz .LBB141_1057
	s_branch .LBB141_1058
	.section	.rodata,"a",@progbits
	.p2align	6, 0x0
	.amdhsa_kernel _ZL19rocblas_trsv_deviceILi64ELi16ELb1ELb1ELb1ELb1EddPKPKdPKPdEviT7_lllT6_T8_lllPii
		.amdhsa_group_segment_fixed_size 41480
		.amdhsa_private_segment_fixed_size 0
		.amdhsa_kernarg_size 352
		.amdhsa_user_sgpr_count 6
		.amdhsa_user_sgpr_private_segment_buffer 1
		.amdhsa_user_sgpr_dispatch_ptr 0
		.amdhsa_user_sgpr_queue_ptr 0
		.amdhsa_user_sgpr_kernarg_segment_ptr 1
		.amdhsa_user_sgpr_dispatch_id 0
		.amdhsa_user_sgpr_flat_scratch_init 0
		.amdhsa_user_sgpr_private_segment_size 0
		.amdhsa_uses_dynamic_stack 0
		.amdhsa_system_sgpr_private_segment_wavefront_offset 0
		.amdhsa_system_sgpr_workgroup_id_x 1
		.amdhsa_system_sgpr_workgroup_id_y 0
		.amdhsa_system_sgpr_workgroup_id_z 1
		.amdhsa_system_sgpr_workgroup_info 0
		.amdhsa_system_vgpr_workitem_id 1
		.amdhsa_next_free_vgpr 49
		.amdhsa_next_free_sgpr 98
		.amdhsa_reserve_vcc 1
		.amdhsa_reserve_flat_scratch 0
		.amdhsa_float_round_mode_32 0
		.amdhsa_float_round_mode_16_64 0
		.amdhsa_float_denorm_mode_32 3
		.amdhsa_float_denorm_mode_16_64 3
		.amdhsa_dx10_clamp 1
		.amdhsa_ieee_mode 1
		.amdhsa_fp16_overflow 0
		.amdhsa_exception_fp_ieee_invalid_op 0
		.amdhsa_exception_fp_denorm_src 0
		.amdhsa_exception_fp_ieee_div_zero 0
		.amdhsa_exception_fp_ieee_overflow 0
		.amdhsa_exception_fp_ieee_underflow 0
		.amdhsa_exception_fp_ieee_inexact 0
		.amdhsa_exception_int_div_zero 0
	.end_amdhsa_kernel
	.section	.text._ZL19rocblas_trsv_deviceILi64ELi16ELb1ELb1ELb1ELb1EddPKPKdPKPdEviT7_lllT6_T8_lllPii,"axG",@progbits,_ZL19rocblas_trsv_deviceILi64ELi16ELb1ELb1ELb1ELb1EddPKPKdPKPdEviT7_lllT6_T8_lllPii,comdat
.Lfunc_end141:
	.size	_ZL19rocblas_trsv_deviceILi64ELi16ELb1ELb1ELb1ELb1EddPKPKdPKPdEviT7_lllT6_T8_lllPii, .Lfunc_end141-_ZL19rocblas_trsv_deviceILi64ELi16ELb1ELb1ELb1ELb1EddPKPKdPKPdEviT7_lllT6_T8_lllPii
                                        ; -- End function
	.set _ZL19rocblas_trsv_deviceILi64ELi16ELb1ELb1ELb1ELb1EddPKPKdPKPdEviT7_lllT6_T8_lllPii.num_vgpr, 41
	.set _ZL19rocblas_trsv_deviceILi64ELi16ELb1ELb1ELb1ELb1EddPKPKdPKPdEviT7_lllT6_T8_lllPii.num_agpr, 0
	.set _ZL19rocblas_trsv_deviceILi64ELi16ELb1ELb1ELb1ELb1EddPKPKdPKPdEviT7_lllT6_T8_lllPii.numbered_sgpr, 96
	.set _ZL19rocblas_trsv_deviceILi64ELi16ELb1ELb1ELb1ELb1EddPKPKdPKPdEviT7_lllT6_T8_lllPii.num_named_barrier, 0
	.set _ZL19rocblas_trsv_deviceILi64ELi16ELb1ELb1ELb1ELb1EddPKPKdPKPdEviT7_lllT6_T8_lllPii.private_seg_size, 0
	.set _ZL19rocblas_trsv_deviceILi64ELi16ELb1ELb1ELb1ELb1EddPKPKdPKPdEviT7_lllT6_T8_lllPii.uses_vcc, 1
	.set _ZL19rocblas_trsv_deviceILi64ELi16ELb1ELb1ELb1ELb1EddPKPKdPKPdEviT7_lllT6_T8_lllPii.uses_flat_scratch, 0
	.set _ZL19rocblas_trsv_deviceILi64ELi16ELb1ELb1ELb1ELb1EddPKPKdPKPdEviT7_lllT6_T8_lllPii.has_dyn_sized_stack, 0
	.set _ZL19rocblas_trsv_deviceILi64ELi16ELb1ELb1ELb1ELb1EddPKPKdPKPdEviT7_lllT6_T8_lllPii.has_recursion, 0
	.set _ZL19rocblas_trsv_deviceILi64ELi16ELb1ELb1ELb1ELb1EddPKPKdPKPdEviT7_lllT6_T8_lllPii.has_indirect_call, 0
	.section	.AMDGPU.csdata,"",@progbits
; Kernel info:
; codeLenInByte = 35276
; TotalNumSgprs: 100
; NumVgprs: 41
; ScratchSize: 0
; MemoryBound: 0
; FloatMode: 240
; IeeeMode: 1
; LDSByteSize: 41480 bytes/workgroup (compile time only)
; SGPRBlocks: 12
; VGPRBlocks: 12
; NumSGPRsForWavesPerEU: 102
; NumVGPRsForWavesPerEU: 49
; Occupancy: 4
; WaveLimiterHint : 1
; COMPUTE_PGM_RSRC2:SCRATCH_EN: 0
; COMPUTE_PGM_RSRC2:USER_SGPR: 6
; COMPUTE_PGM_RSRC2:TRAP_HANDLER: 0
; COMPUTE_PGM_RSRC2:TGID_X_EN: 1
; COMPUTE_PGM_RSRC2:TGID_Y_EN: 0
; COMPUTE_PGM_RSRC2:TGID_Z_EN: 1
; COMPUTE_PGM_RSRC2:TIDIG_COMP_CNT: 1
	.section	.text._ZL19rocblas_trsv_deviceILi64ELi16ELb1ELb0ELb0ELb0EddPKPKdPKPdEviT7_lllT6_T8_lllPii,"axG",@progbits,_ZL19rocblas_trsv_deviceILi64ELi16ELb1ELb0ELb0ELb0EddPKPKdPKPdEviT7_lllT6_T8_lllPii,comdat
	.globl	_ZL19rocblas_trsv_deviceILi64ELi16ELb1ELb0ELb0ELb0EddPKPKdPKPdEviT7_lllT6_T8_lllPii ; -- Begin function _ZL19rocblas_trsv_deviceILi64ELi16ELb1ELb0ELb0ELb0EddPKPKdPKPdEviT7_lllT6_T8_lllPii
	.p2align	8
	.type	_ZL19rocblas_trsv_deviceILi64ELi16ELb1ELb0ELb0ELb0EddPKPKdPKPdEviT7_lllT6_T8_lllPii,@function
_ZL19rocblas_trsv_deviceILi64ELi16ELb1ELb0ELb0ELb0EddPKPKdPKPdEviT7_lllT6_T8_lllPii: ; @_ZL19rocblas_trsv_deviceILi64ELi16ELb1ELb0ELb0ELb0EddPKPKdPKPdEviT7_lllT6_T8_lllPii
; %bb.0:
	s_load_dwordx4 s[0:3], s[4:5], 0x8
	s_mov_b32 s18, s7
	s_mov_b32 s19, 0
	s_lshl_b64 s[8:9], s[18:19], 3
	v_mov_b32_e32 v2, v1
	s_waitcnt lgkmcnt(0)
	s_add_u32 s0, s0, s8
	s_addc_u32 s1, s1, s9
	s_load_dwordx2 s[10:11], s[0:1], 0x0
	s_load_dword s7, s[4:5], 0x0
	s_load_dwordx8 s[20:27], s[4:5], 0x28
	s_load_dwordx2 s[28:29], s[4:5], 0x18
	s_lshl_b64 s[0:1], s[2:3], 3
	s_waitcnt lgkmcnt(0)
	s_add_u32 s93, s10, s0
	s_addc_u32 s94, s11, s1
	s_add_u32 s0, s22, s8
	s_addc_u32 s1, s23, s9
	s_load_dwordx2 s[30:31], s[0:1], 0x0
	s_load_dword s95, s[4:5], 0x6c
	s_cmp_eq_u32 s6, 0
	s_cbranch_scc1 .LBB142_10
; %bb.1:
	s_lshl_b32 s33, s6, 6
	v_add_u32_e32 v1, s33, v2
	v_subrev_u32_e32 v1, 64, v1
	v_ashrrev_i32_e32 v3, 31, v1
	v_mul_lo_u32 v7, s28, v3
	v_mul_lo_u32 v8, s29, v1
	v_mad_u64_u32 v[3:4], s[0:1], s28, v1, 0
	v_add_u32_e32 v5, s33, v0
	v_ashrrev_i32_e32 v6, 31, v5
	v_add3_u32 v4, v4, v7, v8
	v_lshlrev_b64 v[3:4], 3, v[3:4]
	v_mov_b32_e32 v7, s94
	v_add_co_u32_e64 v8, s[0:1], s93, v3
	v_addc_co_u32_e64 v7, s[0:1], v7, v4, s[0:1]
	v_lshlrev_b64 v[3:4], 3, v[5:6]
	v_cmp_gt_i32_e32 vcc, s7, v5
	v_add_co_u32_e64 v11, s[0:1], v8, v3
	v_addc_co_u32_e64 v12, s[0:1], v7, v4, s[0:1]
	v_cmp_gt_i32_e64 s[0:1], s7, v1
	v_mov_b32_e32 v5, 0
	v_mov_b32_e32 v3, 0
	;; [unrolled: 1-line block ×4, first 2 shown]
	s_and_b64 s[2:3], vcc, s[0:1]
	s_waitcnt lgkmcnt(0)
	s_barrier
	s_and_saveexec_b64 s[0:1], s[2:3]
	s_cbranch_execz .LBB142_3
; %bb.2:
	flat_load_dwordx2 v[3:4], v[11:12]
.LBB142_3:
	s_or_b64 exec, exec, s[0:1]
	v_add_u32_e32 v7, 16, v1
	v_cmp_gt_i32_e64 s[0:1], s7, v7
	s_and_b64 s[0:1], vcc, s[0:1]
	s_waitcnt vmcnt(0) lgkmcnt(0)
	s_barrier
	s_and_saveexec_b64 s[2:3], s[0:1]
	s_cbranch_execz .LBB142_5
; %bb.4:
	s_lshl_b64 s[0:1], s[28:29], 7
	v_mov_b32_e32 v6, s1
	v_add_co_u32_e64 v5, s[0:1], s0, v11
	v_addc_co_u32_e64 v6, s[0:1], v12, v6, s[0:1]
	flat_load_dwordx2 v[5:6], v[5:6]
.LBB142_5:
	s_or_b64 exec, exec, s[2:3]
	v_add_u32_e32 v7, 32, v1
	v_cmp_gt_i32_e64 s[0:1], s7, v7
	v_mov_b32_e32 v7, 0
	v_mov_b32_e32 v9, 0
	;; [unrolled: 1-line block ×4, first 2 shown]
	s_and_b64 s[0:1], vcc, s[0:1]
	s_waitcnt vmcnt(0) lgkmcnt(0)
	s_barrier
	s_and_saveexec_b64 s[2:3], s[0:1]
	s_cbranch_execz .LBB142_7
; %bb.6:
	s_lshl_b64 s[0:1], s[28:29], 8
	v_mov_b32_e32 v10, s1
	v_add_co_u32_e64 v9, s[0:1], s0, v11
	v_addc_co_u32_e64 v10, s[0:1], v12, v10, s[0:1]
	flat_load_dwordx2 v[9:10], v[9:10]
.LBB142_7:
	s_or_b64 exec, exec, s[2:3]
	v_add_u32_e32 v1, 48, v1
	v_cmp_gt_i32_e64 s[0:1], s7, v1
	s_and_b64 s[2:3], vcc, s[0:1]
	s_waitcnt vmcnt(0) lgkmcnt(0)
	s_barrier
	s_and_saveexec_b64 s[0:1], s[2:3]
	s_cbranch_execz .LBB142_9
; %bb.8:
	v_mov_b32_e32 v1, 0x180
	v_mad_u64_u32 v[7:8], s[2:3], s28, v1, v[11:12]
	s_mul_i32 s2, s29, 0x180
	v_add_u32_e32 v8, s2, v8
	flat_load_dwordx2 v[7:8], v[7:8]
.LBB142_9:
	s_or_b64 exec, exec, s[0:1]
	s_branch .LBB142_11
.LBB142_10:
                                        ; implicit-def: $vgpr7_vgpr8
                                        ; implicit-def: $vgpr9_vgpr10
                                        ; implicit-def: $vgpr5_vgpr6
                                        ; implicit-def: $vgpr3_vgpr4
	s_mov_b32 s33, s19
.LBB142_11:
	s_ashr_i32 s0, s7, 31
	s_lshr_b32 s0, s0, 26
	s_add_i32 s0, s7, s0
	s_andn2_b32 s0, s0, 63
	s_sub_i32 s92, s7, s0
	s_add_i32 s0, s7, -1
	s_ashr_i32 s1, s0, 31
	s_lshr_b32 s1, s1, 26
	s_add_i32 s0, s0, s1
	s_ashr_i32 s0, s0, 6
	s_cmp_eq_u32 s0, s6
	s_cselect_b64 s[0:1], -1, 0
	s_cmp_lg_u32 s92, 0
	s_cselect_b64 s[2:3], -1, 0
	s_and_b64 s[22:23], s[2:3], s[0:1]
	s_ashr_i32 s52, s33, 31
	s_add_u32 s8, s28, 1
	v_mov_b32_e32 v1, 0
	v_mov_b32_e32 v11, s33
	v_mad_u64_u32 v[11:12], s[0:1], s8, v11, v[0:1]
	s_addc_u32 s9, s29, 0
	s_mul_i32 s0, s8, s52
	s_mul_i32 s9, s9, s33
	s_add_i32 s0, s0, s9
	s_mov_b64 s[2:3], -1
	v_add_u32_e32 v12, s0, v12
	s_and_b64 vcc, exec, s[22:23]
	v_cmp_le_u32_e64 s[0:1], v0, v2
	s_cbranch_vccnz .LBB142_33
; %bb.12:
	v_mad_u64_u32 v[15:16], s[2:3], s28, v2, v[11:12]
	v_mov_b32_e32 v1, v16
	v_mad_u64_u32 v[13:14], s[2:3], s29, v2, v[1:2]
	s_mov_b64 s[2:3], 0
	v_mov_b32_e32 v16, v13
                                        ; implicit-def: $vgpr13_vgpr14
	s_and_saveexec_b64 s[8:9], s[0:1]
	s_xor_b64 s[0:1], exec, s[8:9]
	s_cbranch_execnz .LBB142_989
; %bb.13:
	s_andn2_saveexec_b64 s[0:1], s[0:1]
	s_cbranch_execnz .LBB142_994
.LBB142_14:
	s_or_b64 exec, exec, s[0:1]
	s_and_saveexec_b64 s[0:1], s[2:3]
.LBB142_15:
	v_lshlrev_b32_e32 v1, 3, v0
	v_lshl_add_u32 v1, v2, 9, v1
	ds_write_b64 v1, v[13:14]
.LBB142_16:
	s_or_b64 exec, exec, s[0:1]
	v_add_u32_e32 v1, 16, v2
	v_mad_u64_u32 v[15:16], s[0:1], s28, v1, v[11:12]
	v_cmp_le_u32_e32 vcc, v0, v1
	s_mov_b64 s[2:3], 0
	v_mov_b32_e32 v13, v16
	v_mad_u64_u32 v[13:14], s[0:1], s29, v1, v[13:14]
	v_mov_b32_e32 v16, v13
                                        ; implicit-def: $vgpr13_vgpr14
	s_and_saveexec_b64 s[0:1], vcc
	s_xor_b64 s[0:1], exec, s[0:1]
	s_cbranch_execnz .LBB142_995
; %bb.17:
	s_andn2_saveexec_b64 s[0:1], s[0:1]
	s_cbranch_execnz .LBB142_1000
.LBB142_18:
	s_or_b64 exec, exec, s[0:1]
	s_and_saveexec_b64 s[0:1], s[2:3]
.LBB142_19:
	v_lshlrev_b32_e32 v15, 3, v0
	v_lshl_add_u32 v1, v1, 9, v15
	ds_write_b64 v1, v[13:14]
.LBB142_20:
	s_or_b64 exec, exec, s[0:1]
	v_add_u32_e32 v1, 32, v2
	v_mad_u64_u32 v[15:16], s[0:1], s28, v1, v[11:12]
	v_cmp_le_u32_e32 vcc, v0, v1
	s_mov_b64 s[2:3], 0
	v_mov_b32_e32 v13, v16
	v_mad_u64_u32 v[13:14], s[0:1], s29, v1, v[13:14]
	v_mov_b32_e32 v16, v13
                                        ; implicit-def: $vgpr13_vgpr14
	s_and_saveexec_b64 s[0:1], vcc
	s_xor_b64 s[0:1], exec, s[0:1]
	s_cbranch_execnz .LBB142_1001
; %bb.21:
	s_andn2_saveexec_b64 s[0:1], s[0:1]
	s_cbranch_execnz .LBB142_1006
.LBB142_22:
	s_or_b64 exec, exec, s[0:1]
	s_and_saveexec_b64 s[0:1], s[2:3]
.LBB142_23:
	v_lshlrev_b32_e32 v15, 3, v0
	v_lshl_add_u32 v1, v1, 9, v15
	ds_write_b64 v1, v[13:14]
.LBB142_24:
	s_or_b64 exec, exec, s[0:1]
	v_add_u32_e32 v1, 48, v2
	v_mad_u64_u32 v[15:16], s[0:1], s28, v1, v[11:12]
	v_cmp_le_u32_e32 vcc, v0, v1
	s_mov_b64 s[8:9], 0
	v_mov_b32_e32 v13, v16
	v_mad_u64_u32 v[13:14], s[0:1], s29, v1, v[13:14]
	v_mov_b32_e32 v16, v13
                                        ; implicit-def: $vgpr13_vgpr14
	s_and_saveexec_b64 s[0:1], vcc
	s_xor_b64 s[0:1], exec, s[0:1]
	s_cbranch_execz .LBB142_30
; %bb.25:
	v_cmp_ne_u32_e32 vcc, v0, v1
	s_mov_b64 s[2:3], 0
	s_and_saveexec_b64 s[8:9], vcc
	s_xor_b64 s[8:9], exec, s[8:9]
; %bb.26:
	v_or_b32_e32 v13, v1, v0
	v_cmp_gt_u32_e32 vcc, 64, v13
	s_and_b64 s[2:3], vcc, exec
                                        ; implicit-def: $vgpr15_vgpr16
; %bb.27:
	s_or_saveexec_b64 s[8:9], s[8:9]
	v_mov_b32_e32 v13, 0
	v_mov_b32_e32 v14, 0
	s_xor_b64 exec, exec, s[8:9]
	s_cbranch_execz .LBB142_29
; %bb.28:
	v_lshlrev_b64 v[13:14], 3, v[15:16]
	v_mov_b32_e32 v1, s94
	v_add_co_u32_e32 v13, vcc, s93, v13
	v_addc_co_u32_e32 v14, vcc, v1, v14, vcc
	flat_load_dwordx2 v[13:14], v[13:14]
	s_or_b64 s[2:3], s[2:3], exec
	v_mov_b32_e32 v1, v0
	s_waitcnt vmcnt(0) lgkmcnt(0)
	v_div_scale_f64 v[15:16], s[10:11], v[13:14], v[13:14], 1.0
	v_div_scale_f64 v[21:22], vcc, 1.0, v[13:14], 1.0
	v_rcp_f64_e32 v[17:18], v[15:16]
	v_fma_f64 v[19:20], -v[15:16], v[17:18], 1.0
	v_fma_f64 v[17:18], v[17:18], v[19:20], v[17:18]
	v_fma_f64 v[19:20], -v[15:16], v[17:18], 1.0
	v_fma_f64 v[17:18], v[17:18], v[19:20], v[17:18]
	v_mul_f64 v[19:20], v[21:22], v[17:18]
	v_fma_f64 v[15:16], -v[15:16], v[19:20], v[21:22]
	v_div_fmas_f64 v[15:16], v[15:16], v[17:18], v[19:20]
	v_div_fixup_f64 v[13:14], v[15:16], v[13:14], 1.0
.LBB142_29:
	s_or_b64 exec, exec, s[8:9]
	s_and_b64 s[8:9], s[2:3], exec
                                        ; implicit-def: $vgpr15_vgpr16
.LBB142_30:
	s_andn2_saveexec_b64 s[0:1], s[0:1]
	s_cbranch_execz .LBB142_32
; %bb.31:
	v_lshlrev_b64 v[13:14], 3, v[15:16]
	v_mov_b32_e32 v15, s94
	v_add_co_u32_e32 v13, vcc, s93, v13
	v_addc_co_u32_e32 v14, vcc, v15, v14, vcc
	flat_load_dwordx2 v[13:14], v[13:14]
	s_or_b64 s[8:9], s[8:9], exec
	s_waitcnt vmcnt(0) lgkmcnt(0)
	v_xor_b32_e32 v14, 0x80000000, v14
.LBB142_32:
	s_or_b64 exec, exec, s[0:1]
	s_branch .LBB142_55
.LBB142_33:
	s_mov_b64 s[8:9], 0
                                        ; implicit-def: $vgpr13_vgpr14
                                        ; implicit-def: $vgpr1
	s_and_b64 vcc, exec, s[2:3]
	s_cbranch_vccz .LBB142_55
; %bb.34:
	v_mad_u64_u32 v[13:14], s[0:1], s28, v2, v[11:12]
	v_cmp_le_u32_e32 vcc, v0, v2
	v_cmp_gt_i32_e64 s[0:1], s92, v0
	v_mov_b32_e32 v1, v14
	v_mad_u64_u32 v[14:15], s[2:3], s29, v2, v[1:2]
	v_max_i32_e32 v1, v2, v0
	v_cmp_le_i32_e64 s[2:3], s92, v1
	s_or_b64 s[2:3], s[2:3], vcc
	s_mov_b64 s[10:11], 0
                                        ; implicit-def: $vgpr15_vgpr16
	s_and_saveexec_b64 s[12:13], s[2:3]
	s_xor_b64 s[2:3], exec, s[12:13]
	s_cbranch_execnz .LBB142_1007
; %bb.35:
	s_andn2_saveexec_b64 s[2:3], s[2:3]
	s_cbranch_execnz .LBB142_1012
.LBB142_36:
	s_or_b64 exec, exec, s[2:3]
	s_and_saveexec_b64 s[2:3], s[10:11]
.LBB142_37:
	v_lshlrev_b32_e32 v1, 3, v0
	v_lshl_add_u32 v1, v2, 9, v1
	ds_write_b64 v1, v[15:16]
.LBB142_38:
	s_or_b64 exec, exec, s[2:3]
	v_add_u32_e32 v1, 16, v2
	v_mad_u64_u32 v[13:14], s[2:3], s28, v1, v[11:12]
	v_cmp_gt_u32_e32 vcc, v0, v1
	s_mov_b64 s[10:11], 0
	v_mad_u64_u32 v[14:15], s[2:3], s29, v1, v[14:15]
	v_cmp_gt_i32_e64 s[2:3], s92, v1
	s_and_b64 s[2:3], vcc, s[2:3]
	s_and_b64 s[2:3], s[0:1], s[2:3]
	s_xor_b64 s[2:3], s[2:3], -1
                                        ; implicit-def: $vgpr15_vgpr16
	s_and_saveexec_b64 s[12:13], s[2:3]
	s_xor_b64 s[2:3], exec, s[12:13]
	s_cbranch_execnz .LBB142_1013
; %bb.39:
	s_andn2_saveexec_b64 s[2:3], s[2:3]
	s_cbranch_execnz .LBB142_1018
.LBB142_40:
	s_or_b64 exec, exec, s[2:3]
	s_and_saveexec_b64 s[2:3], s[10:11]
.LBB142_41:
	v_lshlrev_b32_e32 v13, 3, v0
	v_lshl_add_u32 v1, v1, 9, v13
	ds_write_b64 v1, v[15:16]
.LBB142_42:
	s_or_b64 exec, exec, s[2:3]
	v_add_u32_e32 v1, 32, v2
	v_mad_u64_u32 v[13:14], s[2:3], s28, v1, v[11:12]
	v_cmp_gt_u32_e32 vcc, v0, v1
	s_mov_b64 s[10:11], 0
	v_mad_u64_u32 v[14:15], s[2:3], s29, v1, v[14:15]
	v_cmp_gt_i32_e64 s[2:3], s92, v1
	s_and_b64 s[2:3], vcc, s[2:3]
	s_and_b64 s[2:3], s[0:1], s[2:3]
	s_xor_b64 s[2:3], s[2:3], -1
                                        ; implicit-def: $vgpr15_vgpr16
	s_and_saveexec_b64 s[12:13], s[2:3]
	s_xor_b64 s[2:3], exec, s[12:13]
	s_cbranch_execnz .LBB142_1019
; %bb.43:
	s_andn2_saveexec_b64 s[2:3], s[2:3]
	s_cbranch_execnz .LBB142_1024
.LBB142_44:
	s_or_b64 exec, exec, s[2:3]
	s_and_saveexec_b64 s[2:3], s[10:11]
.LBB142_45:
	v_lshlrev_b32_e32 v13, 3, v0
	v_lshl_add_u32 v1, v1, 9, v13
	ds_write_b64 v1, v[15:16]
.LBB142_46:
	s_or_b64 exec, exec, s[2:3]
	v_add_u32_e32 v1, 48, v2
	v_mad_u64_u32 v[11:12], s[2:3], s28, v1, v[11:12]
	v_cmp_gt_u32_e32 vcc, v0, v1
	v_mad_u64_u32 v[12:13], s[2:3], s29, v1, v[12:13]
	v_cmp_gt_i32_e64 s[2:3], s92, v1
	s_and_b64 s[2:3], vcc, s[2:3]
	s_and_b64 s[2:3], s[0:1], s[2:3]
	s_xor_b64 s[2:3], s[2:3], -1
                                        ; implicit-def: $vgpr13_vgpr14
	s_and_saveexec_b64 s[10:11], s[2:3]
	s_xor_b64 s[2:3], exec, s[10:11]
	s_cbranch_execz .LBB142_52
; %bb.47:
	v_cmp_ne_u32_e32 vcc, v0, v1
	s_xor_b64 s[0:1], s[0:1], -1
	s_or_b64 s[10:11], s[0:1], vcc
	s_mov_b64 s[0:1], s[8:9]
	s_and_saveexec_b64 s[12:13], s[10:11]
	s_xor_b64 s[10:11], exec, s[12:13]
; %bb.48:
	v_or_b32_e32 v11, v1, v0
	v_cmp_gt_u32_e32 vcc, 64, v11
	s_andn2_b64 s[0:1], s[8:9], exec
	s_and_b64 s[12:13], vcc, exec
	s_or_b64 s[0:1], s[0:1], s[12:13]
                                        ; implicit-def: $vgpr11_vgpr12
; %bb.49:
	s_or_saveexec_b64 s[10:11], s[10:11]
	v_mov_b32_e32 v13, 0
	v_mov_b32_e32 v14, 0
	s_xor_b64 exec, exec, s[10:11]
	s_cbranch_execz .LBB142_51
; %bb.50:
	v_lshlrev_b64 v[11:12], 3, v[11:12]
	v_mov_b32_e32 v1, s94
	v_add_co_u32_e32 v11, vcc, s93, v11
	v_addc_co_u32_e32 v12, vcc, v1, v12, vcc
	flat_load_dwordx2 v[11:12], v[11:12]
	s_or_b64 s[0:1], s[0:1], exec
	v_mov_b32_e32 v1, v0
	s_waitcnt vmcnt(0) lgkmcnt(0)
	v_div_scale_f64 v[13:14], s[12:13], v[11:12], v[11:12], 1.0
	v_div_scale_f64 v[19:20], vcc, 1.0, v[11:12], 1.0
	v_rcp_f64_e32 v[15:16], v[13:14]
	v_fma_f64 v[17:18], -v[13:14], v[15:16], 1.0
	v_fma_f64 v[15:16], v[15:16], v[17:18], v[15:16]
	v_fma_f64 v[17:18], -v[13:14], v[15:16], 1.0
	v_fma_f64 v[15:16], v[15:16], v[17:18], v[15:16]
	v_mul_f64 v[17:18], v[19:20], v[15:16]
	v_fma_f64 v[13:14], -v[13:14], v[17:18], v[19:20]
	v_div_fmas_f64 v[13:14], v[13:14], v[15:16], v[17:18]
	v_div_fixup_f64 v[13:14], v[13:14], v[11:12], 1.0
.LBB142_51:
	s_or_b64 exec, exec, s[10:11]
	s_andn2_b64 s[8:9], s[8:9], exec
	s_and_b64 s[0:1], s[0:1], exec
	s_or_b64 s[8:9], s[8:9], s[0:1]
                                        ; implicit-def: $vgpr11_vgpr12
.LBB142_52:
	s_andn2_saveexec_b64 s[0:1], s[2:3]
	s_cbranch_execz .LBB142_54
; %bb.53:
	v_lshlrev_b64 v[11:12], 3, v[11:12]
	v_mov_b32_e32 v13, s94
	v_add_co_u32_e32 v11, vcc, s93, v11
	v_addc_co_u32_e32 v12, vcc, v13, v12, vcc
	flat_load_dwordx2 v[13:14], v[11:12]
	s_or_b64 s[8:9], s[8:9], exec
	s_waitcnt vmcnt(0) lgkmcnt(0)
	v_xor_b32_e32 v14, 0x80000000, v14
.LBB142_54:
	s_or_b64 exec, exec, s[0:1]
.LBB142_55:
	s_and_saveexec_b64 s[0:1], s[8:9]
; %bb.56:
	v_lshlrev_b32_e32 v11, 3, v0
	v_lshl_add_u32 v1, v1, 9, v11
	ds_write_b64 v1, v[13:14]
; %bb.57:
	s_or_b64 exec, exec, s[0:1]
	s_cmp_lt_i32 s6, 5
	s_cselect_b64 s[0:1], -1, 0
	s_or_b64 s[34:35], s[0:1], s[22:23]
	s_and_b64 vcc, exec, s[34:35]
	s_waitcnt vmcnt(0) lgkmcnt(0)
	s_barrier
	s_cbranch_vccnz .LBB142_925
; %bb.58:
	v_or_b32_e32 v1, v0, v2
	v_cmp_eq_u32_e32 vcc, 0, v1
	s_and_saveexec_b64 s[0:1], vcc
	s_cbranch_execz .LBB142_60
; %bb.59:
	v_mov_b32_e32 v1, 0
	ds_read_b128 v[11:14], v1
	ds_read_b64 v[15:16], v1 offset:520
	s_waitcnt lgkmcnt(0)
	v_mul_f64 v[11:12], v[11:12], v[15:16]
	v_mul_f64 v[11:12], v[13:14], v[11:12]
	ds_write_b64 v1, v[11:12] offset:8
.LBB142_60:
	s_or_b64 exec, exec, s[0:1]
	v_lshl_add_u32 v14, v2, 6, v0
	v_and_b32_e32 v16, 1, v0
	v_lshrrev_b32_e32 v15, 1, v14
	v_lshlrev_b32_e32 v1, 3, v16
	v_mov_b32_e32 v11, 0
	v_cmp_lt_u32_e64 s[2:3], 3, v14
	v_cmp_gt_u32_e64 s[0:1], 4, v14
	v_mov_b32_e32 v12, 0
	v_lshl_or_b32 v1, v15, 9, v1
	s_waitcnt lgkmcnt(0)
	s_barrier
	s_and_saveexec_b64 s[10:11], s[0:1]
	s_cbranch_execz .LBB142_64
; %bb.61:
	v_mul_u32_u24_e32 v13, 0x208, v15
	ds_read_b64 v[11:12], v1 offset:16
	ds_read_b64 v[17:18], v13
	v_cmp_gt_u32_e64 s[8:9], 2, v14
	s_waitcnt lgkmcnt(0)
	v_fma_f64 v[11:12], v[11:12], v[17:18], 0
	s_and_saveexec_b64 s[12:13], s[8:9]
	s_cbranch_execz .LBB142_63
; %bb.62:
	v_lshlrev_b32_e32 v13, 3, v0
	v_mov_b32_e32 v19, 0
	ds_read_b64 v[17:18], v13 offset:528
	ds_read_b64 v[19:20], v19 offset:8
	s_waitcnt lgkmcnt(0)
	v_fma_f64 v[11:12], v[17:18], v[19:20], v[11:12]
.LBB142_63:
	s_or_b64 exec, exec, s[12:13]
	v_xor_b32_e32 v12, 0x80000000, v12
.LBB142_64:
                                        ; implicit-def: $vgpr41 : SGPR spill to VGPR lane
	v_writelane_b32 v41, s30, 0
	v_writelane_b32 v41, s31, 1
	s_or_b64 exec, exec, s[10:11]
	v_mov_b32_e32 v13, 0x8000
	v_cmp_eq_u32_e64 s[8:9], 0, v16
	s_xor_b64 s[10:11], s[2:3], -1
	v_lshl_add_u32 v13, v15, 3, v13
	s_and_b64 s[38:39], s[8:9], s[10:11]
	s_and_saveexec_b64 s[2:3], s[38:39]
	s_cbranch_execz .LBB142_66
; %bb.65:
	v_mov_b32_e32 v17, 0
	ds_read_b64 v[17:18], v17 offset:1040
	s_waitcnt lgkmcnt(0)
	v_mul_f64 v[11:12], v[11:12], v[17:18]
	ds_write_b64 v13, v[11:12]
.LBB142_66:
	s_or_b64 exec, exec, s[2:3]
	v_cmp_ne_u32_e64 s[2:3], 0, v16
	s_and_b64 s[36:37], s[2:3], s[10:11]
	s_waitcnt lgkmcnt(0)
	s_barrier
	s_and_saveexec_b64 s[2:3], s[36:37]
	s_cbranch_execz .LBB142_68
; %bb.67:
	v_mov_b32_e32 v16, 0
	ds_read_b64 v[16:17], v16 offset:1048
	ds_read_b64 v[18:19], v13
	s_waitcnt lgkmcnt(0)
	v_fma_f64 v[11:12], v[16:17], v[18:19], v[11:12]
.LBB142_68:
	s_or_b64 exec, exec, s[2:3]
	s_barrier
	s_and_saveexec_b64 s[2:3], s[36:37]
	s_cbranch_execz .LBB142_70
; %bb.69:
	v_mov_b32_e32 v16, 0
	ds_read_b64 v[16:17], v16 offset:1560
	s_waitcnt lgkmcnt(0)
	v_mul_f64 v[11:12], v[11:12], v[16:17]
	ds_write_b64 v13, v[11:12]
.LBB142_70:
	s_or_b64 exec, exec, s[2:3]
	s_waitcnt lgkmcnt(0)
	s_barrier
	s_barrier
	s_and_saveexec_b64 s[2:3], s[0:1]
; %bb.71:
	v_xor_b32_e32 v12, 0x80000000, v12
	ds_write_b64 v1, v[11:12] offset:16
; %bb.72:
	s_or_b64 exec, exec, s[2:3]
	s_waitcnt lgkmcnt(0)
	s_barrier
	s_barrier
	s_and_saveexec_b64 s[2:3], vcc
	s_cbranch_execz .LBB142_74
; %bb.73:
	v_mov_b32_e32 v20, 0
	ds_read_b128 v[16:19], v20 offset:1040
	ds_read_b64 v[11:12], v20 offset:1560
	s_waitcnt lgkmcnt(0)
	v_mul_f64 v[11:12], v[16:17], v[11:12]
	v_mul_f64 v[11:12], v[18:19], v[11:12]
	ds_write_b64 v20, v[11:12] offset:1048
.LBB142_74:
	s_or_b64 exec, exec, s[2:3]
	v_and_b32_e32 v19, 3, v0
	v_lshrrev_b32_e32 v20, 2, v14
	v_lshlrev_b32_e32 v17, 3, v19
	v_mov_b32_e32 v11, 0
	v_cmp_lt_u32_e64 s[8:9], 15, v14
	v_cmp_gt_u32_e64 s[2:3], 16, v14
	v_mov_b32_e32 v12, 0
	v_lshl_or_b32 v16, v20, 9, v17
	s_waitcnt lgkmcnt(0)
	s_barrier
	s_and_saveexec_b64 s[12:13], s[2:3]
	s_cbranch_execz .LBB142_80
; %bb.75:
	v_mul_u32_u24_e32 v18, 0x208, v20
	ds_read_b64 v[11:12], v16 offset:32
	ds_read_b64 v[21:22], v18
	v_cmp_gt_u32_e64 s[10:11], 12, v14
	s_waitcnt lgkmcnt(0)
	v_fma_f64 v[11:12], v[11:12], v[21:22], 0
	s_and_saveexec_b64 s[14:15], s[10:11]
	s_cbranch_execnz .LBB142_1036
; %bb.76:
	s_or_b64 exec, exec, s[14:15]
	v_cmp_gt_u32_e64 s[10:11], 8, v14
	s_and_saveexec_b64 s[14:15], s[10:11]
	s_cbranch_execnz .LBB142_1037
.LBB142_77:
	s_or_b64 exec, exec, s[14:15]
	v_cmp_gt_u32_e64 s[10:11], 4, v14
	s_and_saveexec_b64 s[14:15], s[10:11]
	s_cbranch_execz .LBB142_79
.LBB142_78:
	v_lshlrev_b32_e32 v18, 3, v0
	v_mov_b32_e32 v23, 0
	ds_read_b64 v[21:22], v18 offset:1568
	ds_read_b64 v[23:24], v23 offset:24
	s_waitcnt lgkmcnt(0)
	v_fma_f64 v[11:12], v[21:22], v[23:24], v[11:12]
.LBB142_79:
	s_or_b64 exec, exec, s[14:15]
	v_xor_b32_e32 v12, 0x80000000, v12
.LBB142_80:
	s_or_b64 exec, exec, s[12:13]
	v_mov_b32_e32 v18, 0x8000
	v_cmp_eq_u32_e64 s[10:11], 0, v19
	s_xor_b64 s[12:13], s[8:9], -1
	v_lshl_add_u32 v18, v20, 3, v18
	s_and_b64 s[42:43], s[10:11], s[12:13]
	s_and_saveexec_b64 s[8:9], s[42:43]
	s_cbranch_execz .LBB142_82
; %bb.81:
	v_mov_b32_e32 v21, 0
	ds_read_b64 v[21:22], v21 offset:2080
	s_waitcnt lgkmcnt(0)
	v_mul_f64 v[11:12], v[11:12], v[21:22]
	ds_write_b64 v18, v[11:12]
.LBB142_82:
	s_or_b64 exec, exec, s[8:9]
	v_cmp_ne_u32_e64 s[8:9], 0, v19
	s_and_b64 s[44:45], s[8:9], s[12:13]
	s_waitcnt lgkmcnt(0)
	s_barrier
	s_and_saveexec_b64 s[8:9], s[44:45]
	s_cbranch_execz .LBB142_84
; %bb.83:
	ds_read_b64 v[21:22], v17 offset:2080
	ds_read_b64 v[23:24], v18
	s_waitcnt lgkmcnt(0)
	v_fma_f64 v[11:12], v[21:22], v[23:24], v[11:12]
.LBB142_84:
	s_or_b64 exec, exec, s[8:9]
	v_cmp_eq_u32_e64 s[8:9], 1, v19
	s_and_b64 s[46:47], s[8:9], s[12:13]
	s_barrier
	s_and_saveexec_b64 s[8:9], s[46:47]
	s_cbranch_execz .LBB142_86
; %bb.85:
	v_mov_b32_e32 v21, 0
	ds_read_b64 v[21:22], v21 offset:2600
	s_waitcnt lgkmcnt(0)
	v_mul_f64 v[11:12], v[11:12], v[21:22]
	ds_write_b64 v18, v[11:12]
.LBB142_86:
	s_or_b64 exec, exec, s[8:9]
	v_cmp_lt_u32_e64 s[8:9], 1, v19
	s_and_b64 s[48:49], s[8:9], s[12:13]
	s_waitcnt lgkmcnt(0)
	s_barrier
	s_and_saveexec_b64 s[8:9], s[48:49]
	s_cbranch_execz .LBB142_88
; %bb.87:
	ds_read_b64 v[21:22], v17 offset:2592
	ds_read_b64 v[23:24], v18
	s_waitcnt lgkmcnt(0)
	v_fma_f64 v[11:12], v[21:22], v[23:24], v[11:12]
.LBB142_88:
	s_or_b64 exec, exec, s[8:9]
	v_cmp_eq_u32_e64 s[8:9], 2, v19
	s_and_b64 s[50:51], s[8:9], s[12:13]
	s_barrier
	s_and_saveexec_b64 s[8:9], s[50:51]
	s_cbranch_execz .LBB142_90
; %bb.89:
	v_mov_b32_e32 v21, 0
	ds_read_b64 v[21:22], v21 offset:3120
	s_waitcnt lgkmcnt(0)
	v_mul_f64 v[11:12], v[11:12], v[21:22]
	ds_write_b64 v18, v[11:12]
.LBB142_90:
	s_or_b64 exec, exec, s[8:9]
	v_cmp_eq_u32_e64 s[8:9], 3, v19
	s_and_b64 s[40:41], s[8:9], s[12:13]
	s_waitcnt lgkmcnt(0)
	s_barrier
	s_and_saveexec_b64 s[8:9], s[40:41]
	s_cbranch_execz .LBB142_92
; %bb.91:
	v_mov_b32_e32 v21, 0
	ds_read_b64 v[21:22], v21 offset:3128
	ds_read_b64 v[23:24], v18
	s_waitcnt lgkmcnt(0)
	v_fma_f64 v[11:12], v[21:22], v[23:24], v[11:12]
.LBB142_92:
	s_or_b64 exec, exec, s[8:9]
	s_barrier
	s_and_saveexec_b64 s[8:9], s[40:41]
	s_cbranch_execz .LBB142_94
; %bb.93:
	v_mov_b32_e32 v21, 0
	ds_read_b64 v[21:22], v21 offset:3640
	s_waitcnt lgkmcnt(0)
	v_mul_f64 v[11:12], v[11:12], v[21:22]
	ds_write_b64 v18, v[11:12]
.LBB142_94:
	s_or_b64 exec, exec, s[8:9]
	s_waitcnt lgkmcnt(0)
	s_barrier
	s_barrier
	s_and_saveexec_b64 s[8:9], s[2:3]
; %bb.95:
	v_xor_b32_e32 v12, 0x80000000, v12
	ds_write_b64 v16, v[11:12] offset:32
; %bb.96:
	s_or_b64 exec, exec, s[8:9]
	s_waitcnt lgkmcnt(0)
	s_barrier
	s_barrier
	s_and_saveexec_b64 s[8:9], vcc
	s_cbranch_execz .LBB142_98
; %bb.97:
	v_mov_b32_e32 v25, 0
	ds_read_b128 v[21:24], v25 offset:2080
	ds_read_b64 v[11:12], v25 offset:2600
	s_waitcnt lgkmcnt(0)
	v_mul_f64 v[11:12], v[21:22], v[11:12]
	v_mul_f64 v[11:12], v[23:24], v[11:12]
	ds_write_b64 v25, v[11:12] offset:2088
.LBB142_98:
	s_or_b64 exec, exec, s[8:9]
	v_mov_b32_e32 v11, 0
	v_mov_b32_e32 v12, 0
	s_waitcnt lgkmcnt(0)
	s_barrier
	s_and_saveexec_b64 s[10:11], s[0:1]
	s_cbranch_execz .LBB142_102
; %bb.99:
	v_mul_u32_u24_e32 v21, 0x208, v15
	ds_read_b64 v[11:12], v1 offset:2096
	ds_read_b64 v[21:22], v21 offset:2080
	v_cmp_gt_u32_e64 s[8:9], 2, v14
	s_waitcnt lgkmcnt(0)
	v_fma_f64 v[11:12], v[11:12], v[21:22], 0
	s_and_saveexec_b64 s[12:13], s[8:9]
	s_cbranch_execz .LBB142_101
; %bb.100:
	v_lshlrev_b32_e32 v21, 3, v0
	v_mov_b32_e32 v23, 0
	ds_read_b64 v[21:22], v21 offset:2608
	ds_read_b64 v[23:24], v23 offset:2088
	s_waitcnt lgkmcnt(0)
	v_fma_f64 v[11:12], v[21:22], v[23:24], v[11:12]
.LBB142_101:
	s_or_b64 exec, exec, s[12:13]
	v_xor_b32_e32 v12, 0x80000000, v12
.LBB142_102:
	s_or_b64 exec, exec, s[10:11]
	s_and_saveexec_b64 s[8:9], s[38:39]
	s_cbranch_execz .LBB142_104
; %bb.103:
	v_mov_b32_e32 v21, 0
	ds_read_b64 v[21:22], v21 offset:3120
	s_waitcnt lgkmcnt(0)
	v_mul_f64 v[11:12], v[11:12], v[21:22]
	ds_write_b64 v13, v[11:12]
.LBB142_104:
	s_or_b64 exec, exec, s[8:9]
	s_waitcnt lgkmcnt(0)
	s_barrier
	s_and_saveexec_b64 s[8:9], s[36:37]
	s_cbranch_execz .LBB142_106
; %bb.105:
	v_mov_b32_e32 v21, 0
	ds_read_b64 v[21:22], v21 offset:3128
	ds_read_b64 v[23:24], v13
	s_waitcnt lgkmcnt(0)
	v_fma_f64 v[11:12], v[21:22], v[23:24], v[11:12]
.LBB142_106:
	s_or_b64 exec, exec, s[8:9]
	s_barrier
	s_and_saveexec_b64 s[8:9], s[36:37]
	s_cbranch_execz .LBB142_108
; %bb.107:
	v_mov_b32_e32 v21, 0
	ds_read_b64 v[21:22], v21 offset:3640
	s_waitcnt lgkmcnt(0)
	v_mul_f64 v[11:12], v[11:12], v[21:22]
	ds_write_b64 v13, v[11:12]
.LBB142_108:
	s_or_b64 exec, exec, s[8:9]
	s_waitcnt lgkmcnt(0)
	s_barrier
	s_barrier
	s_and_saveexec_b64 s[8:9], s[0:1]
; %bb.109:
	v_xor_b32_e32 v12, 0x80000000, v12
	ds_write_b64 v1, v[11:12] offset:2096
; %bb.110:
	s_or_b64 exec, exec, s[8:9]
	s_waitcnt lgkmcnt(0)
	s_barrier
	s_barrier
	s_and_saveexec_b64 s[8:9], vcc
	s_cbranch_execz .LBB142_112
; %bb.111:
	v_mov_b32_e32 v25, 0
	ds_read_b128 v[21:24], v25 offset:3120
	ds_read_b64 v[11:12], v25 offset:3640
	s_waitcnt lgkmcnt(0)
	v_mul_f64 v[11:12], v[21:22], v[11:12]
	v_mul_f64 v[11:12], v[23:24], v[11:12]
	ds_write_b64 v25, v[11:12] offset:3128
.LBB142_112:
	s_or_b64 exec, exec, s[8:9]
	v_and_b32_e32 v24, 7, v0
	v_lshrrev_b32_e32 v25, 3, v14
	v_lshlrev_b32_e32 v22, 3, v24
	v_mov_b32_e32 v11, 0
	v_cmp_lt_u32_e64 s[8:9], 63, v14
	v_cmp_gt_u32_e64 s[14:15], 64, v14
	v_mov_b32_e32 v12, 0
	v_lshl_or_b32 v21, v25, 9, v22
	s_waitcnt lgkmcnt(0)
	s_barrier
	s_and_saveexec_b64 s[12:13], s[14:15]
	s_cbranch_execz .LBB142_122
; %bb.113:
	v_mul_u32_u24_e32 v23, 0x208, v25
	ds_read_b64 v[11:12], v21 offset:64
	ds_read_b64 v[26:27], v23
	v_cmp_gt_u32_e64 s[10:11], 56, v14
	s_waitcnt lgkmcnt(0)
	v_fma_f64 v[11:12], v[11:12], v[26:27], 0
	s_and_saveexec_b64 s[16:17], s[10:11]
	s_cbranch_execnz .LBB142_1038
; %bb.114:
	s_or_b64 exec, exec, s[16:17]
	v_cmp_gt_u32_e64 s[10:11], 48, v14
	s_and_saveexec_b64 s[16:17], s[10:11]
	s_cbranch_execnz .LBB142_1039
.LBB142_115:
	s_or_b64 exec, exec, s[16:17]
	v_cmp_gt_u32_e64 s[10:11], 40, v14
	s_and_saveexec_b64 s[16:17], s[10:11]
	s_cbranch_execnz .LBB142_1040
.LBB142_116:
	s_or_b64 exec, exec, s[16:17]
	v_cmp_gt_u32_e64 s[10:11], 32, v14
	s_and_saveexec_b64 s[16:17], s[10:11]
	s_cbranch_execnz .LBB142_1041
.LBB142_117:
	s_or_b64 exec, exec, s[16:17]
	v_cmp_gt_u32_e64 s[10:11], 24, v14
	s_and_saveexec_b64 s[16:17], s[10:11]
	s_cbranch_execnz .LBB142_1042
.LBB142_118:
	s_or_b64 exec, exec, s[16:17]
	v_cmp_gt_u32_e64 s[10:11], 16, v14
	s_and_saveexec_b64 s[16:17], s[10:11]
	s_cbranch_execnz .LBB142_1043
.LBB142_119:
	s_or_b64 exec, exec, s[16:17]
	v_cmp_gt_u32_e64 s[10:11], 8, v14
	s_and_saveexec_b64 s[16:17], s[10:11]
	s_cbranch_execz .LBB142_121
.LBB142_120:
	v_lshlrev_b32_e32 v23, 3, v0
	v_mov_b32_e32 v28, 0
	ds_read_b64 v[26:27], v23 offset:3648
	ds_read_b64 v[28:29], v28 offset:56
	s_waitcnt lgkmcnt(0)
	v_fma_f64 v[11:12], v[26:27], v[28:29], v[11:12]
.LBB142_121:
	s_or_b64 exec, exec, s[16:17]
	v_xor_b32_e32 v12, 0x80000000, v12
.LBB142_122:
	v_writelane_b32 v41, s52, 2
	s_or_b64 exec, exec, s[12:13]
	v_mov_b32_e32 v23, 0x8000
	v_cmp_eq_u32_e64 s[10:11], 0, v24
	s_xor_b64 s[12:13], s[8:9], -1
	v_lshl_add_u32 v23, v25, 3, v23
	s_and_b64 s[52:53], s[10:11], s[12:13]
	s_and_saveexec_b64 s[8:9], s[52:53]
	s_cbranch_execz .LBB142_124
; %bb.123:
	v_mov_b32_e32 v26, 0
	ds_read_b64 v[26:27], v26 offset:4160
	s_waitcnt lgkmcnt(0)
	v_mul_f64 v[11:12], v[11:12], v[26:27]
	ds_write_b64 v23, v[11:12]
.LBB142_124:
	s_or_b64 exec, exec, s[8:9]
	v_cmp_ne_u32_e64 s[8:9], 0, v24
	s_and_b64 s[54:55], s[8:9], s[12:13]
	s_waitcnt lgkmcnt(0)
	s_barrier
	s_and_saveexec_b64 s[8:9], s[54:55]
	s_cbranch_execz .LBB142_126
; %bb.125:
	ds_read_b64 v[26:27], v22 offset:4160
	ds_read_b64 v[28:29], v23
	s_waitcnt lgkmcnt(0)
	v_fma_f64 v[11:12], v[26:27], v[28:29], v[11:12]
.LBB142_126:
	s_or_b64 exec, exec, s[8:9]
	v_cmp_eq_u32_e64 s[8:9], 1, v24
	s_and_b64 s[56:57], s[8:9], s[12:13]
	s_barrier
	s_and_saveexec_b64 s[8:9], s[56:57]
	s_cbranch_execz .LBB142_128
; %bb.127:
	v_mov_b32_e32 v26, 0
	ds_read_b64 v[26:27], v26 offset:4680
	s_waitcnt lgkmcnt(0)
	v_mul_f64 v[11:12], v[11:12], v[26:27]
	ds_write_b64 v23, v[11:12]
.LBB142_128:
	s_or_b64 exec, exec, s[8:9]
	v_cmp_lt_u32_e64 s[8:9], 1, v24
	s_and_b64 s[58:59], s[8:9], s[12:13]
	s_waitcnt lgkmcnt(0)
	s_barrier
	s_and_saveexec_b64 s[8:9], s[58:59]
	s_cbranch_execz .LBB142_130
; %bb.129:
	ds_read_b64 v[26:27], v22 offset:4672
	ds_read_b64 v[28:29], v23
	s_waitcnt lgkmcnt(0)
	v_fma_f64 v[11:12], v[26:27], v[28:29], v[11:12]
.LBB142_130:
	s_or_b64 exec, exec, s[8:9]
	v_cmp_eq_u32_e64 s[8:9], 2, v24
	s_and_b64 s[60:61], s[8:9], s[12:13]
	s_barrier
	s_and_saveexec_b64 s[8:9], s[60:61]
	s_cbranch_execz .LBB142_132
; %bb.131:
	v_mov_b32_e32 v26, 0
	ds_read_b64 v[26:27], v26 offset:5200
	s_waitcnt lgkmcnt(0)
	v_mul_f64 v[11:12], v[11:12], v[26:27]
	ds_write_b64 v23, v[11:12]
.LBB142_132:
	s_or_b64 exec, exec, s[8:9]
	v_cmp_lt_u32_e64 s[8:9], 2, v24
	;; [unrolled: 26-line block ×5, first 2 shown]
	s_and_b64 s[76:77], s[8:9], s[12:13]
	s_waitcnt lgkmcnt(0)
	s_barrier
	s_and_saveexec_b64 s[8:9], s[76:77]
	s_cbranch_execz .LBB142_146
; %bb.145:
	ds_read_b64 v[26:27], v22 offset:6720
	ds_read_b64 v[28:29], v23
	s_waitcnt lgkmcnt(0)
	v_fma_f64 v[11:12], v[26:27], v[28:29], v[11:12]
.LBB142_146:
	s_or_b64 exec, exec, s[8:9]
	v_cmp_eq_u32_e64 s[8:9], 6, v24
	s_and_b64 s[78:79], s[8:9], s[12:13]
	s_barrier
	s_and_saveexec_b64 s[8:9], s[78:79]
	s_cbranch_execz .LBB142_148
; %bb.147:
	v_mov_b32_e32 v26, 0
	ds_read_b64 v[26:27], v26 offset:7280
	s_waitcnt lgkmcnt(0)
	v_mul_f64 v[11:12], v[11:12], v[26:27]
	ds_write_b64 v23, v[11:12]
.LBB142_148:
	s_or_b64 exec, exec, s[8:9]
	v_cmp_eq_u32_e64 s[8:9], 7, v24
	s_and_b64 s[62:63], s[8:9], s[12:13]
	s_waitcnt lgkmcnt(0)
	s_barrier
	s_and_saveexec_b64 s[8:9], s[62:63]
	s_cbranch_execz .LBB142_150
; %bb.149:
	v_mov_b32_e32 v26, 0
	ds_read_b64 v[26:27], v26 offset:7288
	ds_read_b64 v[28:29], v23
	s_waitcnt lgkmcnt(0)
	v_fma_f64 v[11:12], v[26:27], v[28:29], v[11:12]
.LBB142_150:
	s_or_b64 exec, exec, s[8:9]
	s_barrier
	s_and_saveexec_b64 s[8:9], s[62:63]
	s_cbranch_execz .LBB142_152
; %bb.151:
	v_mov_b32_e32 v26, 0
	ds_read_b64 v[26:27], v26 offset:7800
	s_waitcnt lgkmcnt(0)
	v_mul_f64 v[11:12], v[11:12], v[26:27]
	ds_write_b64 v23, v[11:12]
.LBB142_152:
	s_or_b64 exec, exec, s[8:9]
	s_waitcnt lgkmcnt(0)
	s_barrier
	s_barrier
	s_and_saveexec_b64 s[8:9], s[14:15]
; %bb.153:
	v_xor_b32_e32 v12, 0x80000000, v12
	ds_write_b64 v21, v[11:12] offset:64
; %bb.154:
	s_or_b64 exec, exec, s[8:9]
	s_waitcnt lgkmcnt(0)
	s_barrier
	s_barrier
	s_and_saveexec_b64 s[8:9], vcc
	s_cbranch_execz .LBB142_156
; %bb.155:
	v_mov_b32_e32 v30, 0
	ds_read_b128 v[26:29], v30 offset:4160
	ds_read_b64 v[11:12], v30 offset:4680
	s_waitcnt lgkmcnt(0)
	v_mul_f64 v[11:12], v[26:27], v[11:12]
	v_mul_f64 v[11:12], v[28:29], v[11:12]
	ds_write_b64 v30, v[11:12] offset:4168
.LBB142_156:
	s_or_b64 exec, exec, s[8:9]
	v_mov_b32_e32 v11, 0
	v_mov_b32_e32 v12, 0
	s_waitcnt lgkmcnt(0)
	s_barrier
	s_and_saveexec_b64 s[10:11], s[0:1]
	s_cbranch_execz .LBB142_160
; %bb.157:
	v_mul_u32_u24_e32 v26, 0x208, v15
	ds_read_b64 v[11:12], v1 offset:4176
	ds_read_b64 v[26:27], v26 offset:4160
	v_cmp_gt_u32_e64 s[8:9], 2, v14
	s_waitcnt lgkmcnt(0)
	v_fma_f64 v[11:12], v[11:12], v[26:27], 0
	s_and_saveexec_b64 s[12:13], s[8:9]
	s_cbranch_execz .LBB142_159
; %bb.158:
	v_lshlrev_b32_e32 v26, 3, v0
	v_mov_b32_e32 v28, 0
	ds_read_b64 v[26:27], v26 offset:4688
	ds_read_b64 v[28:29], v28 offset:4168
	s_waitcnt lgkmcnt(0)
	v_fma_f64 v[11:12], v[26:27], v[28:29], v[11:12]
.LBB142_159:
	s_or_b64 exec, exec, s[12:13]
	v_xor_b32_e32 v12, 0x80000000, v12
.LBB142_160:
	s_or_b64 exec, exec, s[10:11]
	s_and_saveexec_b64 s[8:9], s[38:39]
	s_cbranch_execz .LBB142_162
; %bb.161:
	v_mov_b32_e32 v26, 0
	ds_read_b64 v[26:27], v26 offset:5200
	s_waitcnt lgkmcnt(0)
	v_mul_f64 v[11:12], v[11:12], v[26:27]
	ds_write_b64 v13, v[11:12]
.LBB142_162:
	s_or_b64 exec, exec, s[8:9]
	s_waitcnt lgkmcnt(0)
	s_barrier
	s_and_saveexec_b64 s[8:9], s[36:37]
	s_cbranch_execz .LBB142_164
; %bb.163:
	v_mov_b32_e32 v26, 0
	ds_read_b64 v[26:27], v26 offset:5208
	ds_read_b64 v[28:29], v13
	s_waitcnt lgkmcnt(0)
	v_fma_f64 v[11:12], v[26:27], v[28:29], v[11:12]
.LBB142_164:
	s_or_b64 exec, exec, s[8:9]
	s_barrier
	s_and_saveexec_b64 s[8:9], s[36:37]
	s_cbranch_execz .LBB142_166
; %bb.165:
	v_mov_b32_e32 v26, 0
	ds_read_b64 v[26:27], v26 offset:5720
	s_waitcnt lgkmcnt(0)
	v_mul_f64 v[11:12], v[11:12], v[26:27]
	ds_write_b64 v13, v[11:12]
.LBB142_166:
	s_or_b64 exec, exec, s[8:9]
	s_waitcnt lgkmcnt(0)
	s_barrier
	s_barrier
	s_and_saveexec_b64 s[8:9], s[0:1]
; %bb.167:
	v_xor_b32_e32 v12, 0x80000000, v12
	ds_write_b64 v1, v[11:12] offset:4176
; %bb.168:
	s_or_b64 exec, exec, s[8:9]
	s_waitcnt lgkmcnt(0)
	s_barrier
	s_barrier
	s_and_saveexec_b64 s[8:9], vcc
	s_cbranch_execz .LBB142_170
; %bb.169:
	v_mov_b32_e32 v30, 0
	ds_read_b128 v[26:29], v30 offset:5200
	ds_read_b64 v[11:12], v30 offset:5720
	s_waitcnt lgkmcnt(0)
	v_mul_f64 v[11:12], v[26:27], v[11:12]
	v_mul_f64 v[11:12], v[28:29], v[11:12]
	ds_write_b64 v30, v[11:12] offset:5208
.LBB142_170:
	s_or_b64 exec, exec, s[8:9]
	v_mov_b32_e32 v11, 0
	v_mov_b32_e32 v12, 0
	s_waitcnt lgkmcnt(0)
	s_barrier
	s_and_saveexec_b64 s[10:11], s[2:3]
	s_cbranch_execz .LBB142_176
; %bb.171:
	v_mul_u32_u24_e32 v26, 0x208, v20
	ds_read_b64 v[11:12], v16 offset:4192
	ds_read_b64 v[27:28], v26 offset:4160
	v_cmp_gt_u32_e64 s[8:9], 12, v14
	s_waitcnt lgkmcnt(0)
	v_fma_f64 v[11:12], v[11:12], v[27:28], 0
	s_and_saveexec_b64 s[12:13], s[8:9]
	s_cbranch_execnz .LBB142_1044
; %bb.172:
	s_or_b64 exec, exec, s[12:13]
	v_cmp_gt_u32_e64 s[8:9], 8, v14
	s_and_saveexec_b64 s[12:13], s[8:9]
	s_cbranch_execnz .LBB142_1045
.LBB142_173:
	s_or_b64 exec, exec, s[12:13]
	v_cmp_gt_u32_e64 s[8:9], 4, v14
	s_and_saveexec_b64 s[12:13], s[8:9]
	s_cbranch_execz .LBB142_175
.LBB142_174:
	v_lshlrev_b32_e32 v26, 3, v0
	v_mov_b32_e32 v28, 0
	ds_read_b64 v[26:27], v26 offset:5728
	ds_read_b64 v[28:29], v28 offset:4184
	s_waitcnt lgkmcnt(0)
	v_fma_f64 v[11:12], v[26:27], v[28:29], v[11:12]
.LBB142_175:
	s_or_b64 exec, exec, s[12:13]
	v_xor_b32_e32 v12, 0x80000000, v12
.LBB142_176:
	s_or_b64 exec, exec, s[10:11]
	s_and_saveexec_b64 s[8:9], s[42:43]
	s_cbranch_execz .LBB142_178
; %bb.177:
	v_mov_b32_e32 v26, 0
	ds_read_b64 v[26:27], v26 offset:6240
	s_waitcnt lgkmcnt(0)
	v_mul_f64 v[11:12], v[11:12], v[26:27]
	ds_write_b64 v18, v[11:12]
.LBB142_178:
	s_or_b64 exec, exec, s[8:9]
	s_waitcnt lgkmcnt(0)
	s_barrier
	s_and_saveexec_b64 s[8:9], s[44:45]
	s_cbranch_execz .LBB142_180
; %bb.179:
	ds_read_b64 v[26:27], v17 offset:6240
	ds_read_b64 v[28:29], v18
	s_waitcnt lgkmcnt(0)
	v_fma_f64 v[11:12], v[26:27], v[28:29], v[11:12]
.LBB142_180:
	s_or_b64 exec, exec, s[8:9]
	s_barrier
	s_and_saveexec_b64 s[8:9], s[46:47]
	s_cbranch_execz .LBB142_182
; %bb.181:
	v_mov_b32_e32 v26, 0
	ds_read_b64 v[26:27], v26 offset:6760
	s_waitcnt lgkmcnt(0)
	v_mul_f64 v[11:12], v[11:12], v[26:27]
	ds_write_b64 v18, v[11:12]
.LBB142_182:
	s_or_b64 exec, exec, s[8:9]
	s_waitcnt lgkmcnt(0)
	s_barrier
	s_and_saveexec_b64 s[8:9], s[48:49]
	s_cbranch_execz .LBB142_184
; %bb.183:
	ds_read_b64 v[26:27], v17 offset:6752
	ds_read_b64 v[28:29], v18
	s_waitcnt lgkmcnt(0)
	v_fma_f64 v[11:12], v[26:27], v[28:29], v[11:12]
.LBB142_184:
	s_or_b64 exec, exec, s[8:9]
	s_barrier
	s_and_saveexec_b64 s[8:9], s[50:51]
	s_cbranch_execz .LBB142_186
; %bb.185:
	v_mov_b32_e32 v26, 0
	ds_read_b64 v[26:27], v26 offset:7280
	s_waitcnt lgkmcnt(0)
	v_mul_f64 v[11:12], v[11:12], v[26:27]
	ds_write_b64 v18, v[11:12]
.LBB142_186:
	s_or_b64 exec, exec, s[8:9]
	s_waitcnt lgkmcnt(0)
	s_barrier
	s_and_saveexec_b64 s[8:9], s[40:41]
	s_cbranch_execz .LBB142_188
; %bb.187:
	v_mov_b32_e32 v26, 0
	ds_read_b64 v[26:27], v26 offset:7288
	ds_read_b64 v[28:29], v18
	s_waitcnt lgkmcnt(0)
	v_fma_f64 v[11:12], v[26:27], v[28:29], v[11:12]
.LBB142_188:
	s_or_b64 exec, exec, s[8:9]
	s_barrier
	s_and_saveexec_b64 s[8:9], s[40:41]
	s_cbranch_execz .LBB142_190
; %bb.189:
	v_mov_b32_e32 v26, 0
	ds_read_b64 v[26:27], v26 offset:7800
	s_waitcnt lgkmcnt(0)
	v_mul_f64 v[11:12], v[11:12], v[26:27]
	ds_write_b64 v18, v[11:12]
.LBB142_190:
	s_or_b64 exec, exec, s[8:9]
	s_waitcnt lgkmcnt(0)
	s_barrier
	s_barrier
	s_and_saveexec_b64 s[8:9], s[2:3]
; %bb.191:
	v_xor_b32_e32 v12, 0x80000000, v12
	ds_write_b64 v16, v[11:12] offset:4192
; %bb.192:
	s_or_b64 exec, exec, s[8:9]
	s_waitcnt lgkmcnt(0)
	s_barrier
	s_barrier
	s_and_saveexec_b64 s[8:9], vcc
	s_cbranch_execz .LBB142_194
; %bb.193:
	v_mov_b32_e32 v30, 0
	ds_read_b128 v[26:29], v30 offset:6240
	ds_read_b64 v[11:12], v30 offset:6760
	s_waitcnt lgkmcnt(0)
	v_mul_f64 v[11:12], v[26:27], v[11:12]
	v_mul_f64 v[11:12], v[28:29], v[11:12]
	ds_write_b64 v30, v[11:12] offset:6248
.LBB142_194:
	s_or_b64 exec, exec, s[8:9]
	v_mov_b32_e32 v11, 0
	v_mov_b32_e32 v12, 0
	s_waitcnt lgkmcnt(0)
	s_barrier
	s_and_saveexec_b64 s[10:11], s[0:1]
	s_cbranch_execz .LBB142_198
; %bb.195:
	v_mul_u32_u24_e32 v26, 0x208, v15
	ds_read_b64 v[11:12], v1 offset:6256
	ds_read_b64 v[26:27], v26 offset:6240
	v_cmp_gt_u32_e64 s[8:9], 2, v14
	s_waitcnt lgkmcnt(0)
	v_fma_f64 v[11:12], v[11:12], v[26:27], 0
	s_and_saveexec_b64 s[12:13], s[8:9]
	s_cbranch_execz .LBB142_197
; %bb.196:
	v_lshlrev_b32_e32 v26, 3, v0
	v_mov_b32_e32 v28, 0
	ds_read_b64 v[26:27], v26 offset:6768
	ds_read_b64 v[28:29], v28 offset:6248
	s_waitcnt lgkmcnt(0)
	v_fma_f64 v[11:12], v[26:27], v[28:29], v[11:12]
.LBB142_197:
	s_or_b64 exec, exec, s[12:13]
	v_xor_b32_e32 v12, 0x80000000, v12
.LBB142_198:
	s_or_b64 exec, exec, s[10:11]
	s_and_saveexec_b64 s[8:9], s[38:39]
	s_cbranch_execz .LBB142_200
; %bb.199:
	v_mov_b32_e32 v26, 0
	ds_read_b64 v[26:27], v26 offset:7280
	s_waitcnt lgkmcnt(0)
	v_mul_f64 v[11:12], v[11:12], v[26:27]
	ds_write_b64 v13, v[11:12]
.LBB142_200:
	s_or_b64 exec, exec, s[8:9]
	s_waitcnt lgkmcnt(0)
	s_barrier
	s_and_saveexec_b64 s[8:9], s[36:37]
	s_cbranch_execz .LBB142_202
; %bb.201:
	v_mov_b32_e32 v26, 0
	ds_read_b64 v[26:27], v26 offset:7288
	ds_read_b64 v[28:29], v13
	s_waitcnt lgkmcnt(0)
	v_fma_f64 v[11:12], v[26:27], v[28:29], v[11:12]
.LBB142_202:
	s_or_b64 exec, exec, s[8:9]
	s_barrier
	s_and_saveexec_b64 s[8:9], s[36:37]
	s_cbranch_execz .LBB142_204
; %bb.203:
	v_mov_b32_e32 v26, 0
	ds_read_b64 v[26:27], v26 offset:7800
	s_waitcnt lgkmcnt(0)
	v_mul_f64 v[11:12], v[11:12], v[26:27]
	ds_write_b64 v13, v[11:12]
.LBB142_204:
	s_or_b64 exec, exec, s[8:9]
	s_waitcnt lgkmcnt(0)
	s_barrier
	s_barrier
	s_and_saveexec_b64 s[8:9], s[0:1]
; %bb.205:
	v_xor_b32_e32 v12, 0x80000000, v12
	ds_write_b64 v1, v[11:12] offset:6256
; %bb.206:
	s_or_b64 exec, exec, s[8:9]
	s_waitcnt lgkmcnt(0)
	s_barrier
	s_barrier
	s_and_saveexec_b64 s[8:9], vcc
	s_cbranch_execz .LBB142_208
; %bb.207:
	v_mov_b32_e32 v30, 0
	ds_read_b128 v[26:29], v30 offset:7280
	ds_read_b64 v[11:12], v30 offset:7800
	s_waitcnt lgkmcnt(0)
	v_mul_f64 v[11:12], v[26:27], v[11:12]
	v_mul_f64 v[11:12], v[28:29], v[11:12]
	ds_write_b64 v30, v[11:12] offset:7288
.LBB142_208:
	s_or_b64 exec, exec, s[8:9]
	v_lshrrev_b32_e32 v30, 4, v14
	v_and_b32_e32 v27, 15, v0
	s_movk_i32 s8, 0xff
	v_lshlrev_b32_e32 v29, 6, v30
	v_cmp_lt_u32_e64 s[10:11], s8, v14
	s_movk_i32 s8, 0x100
	v_or_b32_e32 v26, v29, v27
	v_mov_b32_e32 v11, 0
	v_cmp_gt_u32_e64 s[8:9], s8, v14
	v_mov_b32_e32 v12, 0
	v_lshlrev_b32_e32 v26, 3, v26
	s_waitcnt lgkmcnt(0)
	s_barrier
	s_and_saveexec_b64 s[16:17], s[8:9]
	s_cbranch_execz .LBB142_236
; %bb.209:
	v_mul_u32_u24_e32 v28, 0x208, v30
	ds_read_b64 v[11:12], v26 offset:128
	ds_read_b64 v[31:32], v28
	s_movk_i32 s12, 0xf0
	v_cmp_gt_u32_e64 s[12:13], s12, v14
	s_waitcnt lgkmcnt(0)
	v_fma_f64 v[11:12], v[11:12], v[31:32], 0
	s_and_saveexec_b64 s[30:31], s[12:13]
	s_cbranch_execz .LBB142_211
; %bb.210:
	v_lshlrev_b32_e32 v31, 3, v30
	v_sub_u32_e32 v31, v28, v31
	v_lshl_add_u32 v31, v27, 3, v31
	ds_read_b64 v[31:32], v31 offset:640
	ds_read_b64 v[33:34], v28 offset:8
	s_waitcnt lgkmcnt(0)
	v_fma_f64 v[11:12], v[31:32], v[33:34], v[11:12]
.LBB142_211:
	s_or_b64 exec, exec, s[30:31]
	s_movk_i32 s12, 0xe0
	v_cmp_gt_u32_e64 s[12:13], s12, v14
	s_and_saveexec_b64 s[30:31], s[12:13]
	s_cbranch_execz .LBB142_213
; %bb.212:
	v_lshlrev_b32_e32 v31, 3, v30
	v_sub_u32_e32 v31, v28, v31
	v_lshl_add_u32 v31, v27, 3, v31
	ds_read_b64 v[31:32], v31 offset:1152
	ds_read_b64 v[33:34], v28 offset:16
	s_waitcnt lgkmcnt(0)
	v_fma_f64 v[11:12], v[31:32], v[33:34], v[11:12]
.LBB142_213:
	s_or_b64 exec, exec, s[30:31]
	s_movk_i32 s12, 0xd0
	v_cmp_gt_u32_e64 s[12:13], s12, v14
	;; [unrolled: 14-line block ×7, first 2 shown]
	s_and_saveexec_b64 s[30:31], s[12:13]
	s_cbranch_execz .LBB142_225
; %bb.224:
	ds_read_b64 v[31:32], v26 offset:4224
	ds_read_b64 v[33:34], v28 offset:64
	s_waitcnt lgkmcnt(0)
	v_fma_f64 v[11:12], v[31:32], v[33:34], v[11:12]
.LBB142_225:
	s_or_b64 exec, exec, s[30:31]
	s_movk_i32 s12, 0x70
	v_cmp_gt_u32_e64 s[12:13], s12, v14
	s_and_saveexec_b64 s[30:31], s[12:13]
	s_cbranch_execz .LBB142_227
; %bb.226:
	v_lshlrev_b32_e32 v31, 3, v30
	v_sub_u32_e32 v31, v28, v31
	v_lshl_add_u32 v31, v27, 3, v31
	ds_read_b64 v[31:32], v31 offset:4736
	ds_read_b64 v[33:34], v28 offset:72
	s_waitcnt lgkmcnt(0)
	v_fma_f64 v[11:12], v[31:32], v[33:34], v[11:12]
.LBB142_227:
	s_or_b64 exec, exec, s[30:31]
	s_movk_i32 s12, 0x60
	v_cmp_gt_u32_e64 s[12:13], s12, v14
	s_and_saveexec_b64 s[30:31], s[12:13]
	s_cbranch_execz .LBB142_229
; %bb.228:
	v_lshlrev_b32_e32 v31, 3, v27
	v_lshl_add_u32 v31, v29, 3, v31
	ds_read_b64 v[31:32], v31 offset:5248
	ds_read_b64 v[33:34], v28 offset:80
	s_waitcnt lgkmcnt(0)
	v_fma_f64 v[11:12], v[31:32], v[33:34], v[11:12]
.LBB142_229:
	s_or_b64 exec, exec, s[30:31]
	s_movk_i32 s12, 0x50
	v_cmp_gt_u32_e64 s[12:13], s12, v14
	s_and_saveexec_b64 s[30:31], s[12:13]
	s_cbranch_execnz .LBB142_1046
; %bb.230:
	s_or_b64 exec, exec, s[30:31]
	v_cmp_gt_u32_e64 s[12:13], 64, v14
	s_and_saveexec_b64 s[30:31], s[12:13]
	s_cbranch_execnz .LBB142_1047
.LBB142_231:
	s_or_b64 exec, exec, s[30:31]
	v_cmp_gt_u32_e64 s[12:13], 48, v14
	s_and_saveexec_b64 s[30:31], s[12:13]
	s_cbranch_execnz .LBB142_1048
.LBB142_232:
	s_or_b64 exec, exec, s[30:31]
	v_cmp_gt_u32_e64 s[12:13], 32, v14
	s_and_saveexec_b64 s[30:31], s[12:13]
	s_cbranch_execnz .LBB142_1049
.LBB142_233:
	s_or_b64 exec, exec, s[30:31]
	v_cmp_gt_u32_e64 s[12:13], 16, v14
	s_and_saveexec_b64 s[30:31], s[12:13]
	s_cbranch_execz .LBB142_235
.LBB142_234:
	v_lshlrev_b32_e32 v28, 3, v0
	v_mov_b32_e32 v33, 0
	ds_read_b64 v[31:32], v28 offset:7808
	ds_read_b64 v[33:34], v33 offset:120
	s_waitcnt lgkmcnt(0)
	v_fma_f64 v[11:12], v[31:32], v[33:34], v[11:12]
.LBB142_235:
	s_or_b64 exec, exec, s[30:31]
	v_xor_b32_e32 v12, 0x80000000, v12
.LBB142_236:
	s_or_b64 exec, exec, s[16:17]
	v_mov_b32_e32 v28, 0x8000
	v_lshl_add_u32 v28, v30, 3, v28
	v_cmp_eq_u32_e64 s[12:13], 0, v27
	s_xor_b64 s[16:17], s[10:11], -1
	s_and_b64 s[12:13], s[12:13], s[16:17]
	s_mov_b64 s[10:11], exec
	v_writelane_b32 v41, s12, 3
	v_writelane_b32 v41, s13, 4
	s_and_b64 s[12:13], s[10:11], s[12:13]
	s_mov_b64 exec, s[12:13]
	s_cbranch_execz .LBB142_238
; %bb.237:
	v_mov_b32_e32 v31, 0
	ds_read_b64 v[31:32], v31 offset:8320
	s_waitcnt lgkmcnt(0)
	v_mul_f64 v[11:12], v[11:12], v[31:32]
	ds_write_b64 v28, v[11:12]
.LBB142_238:
	s_or_b64 exec, exec, s[10:11]
	v_cmp_ne_u32_e64 s[10:11], 0, v27
	s_waitcnt lgkmcnt(0)
	s_barrier
	s_and_b64 s[12:13], s[10:11], s[16:17]
	s_mov_b64 s[10:11], exec
	v_writelane_b32 v41, s12, 5
	v_writelane_b32 v41, s13, 6
	s_and_b64 s[12:13], s[10:11], s[12:13]
	s_mov_b64 exec, s[12:13]
	s_cbranch_execz .LBB142_240
; %bb.239:
	v_lshlrev_b32_e32 v31, 3, v27
	ds_read_b64 v[31:32], v31 offset:8320
	ds_read_b64 v[33:34], v28
	s_waitcnt lgkmcnt(0)
	v_fma_f64 v[11:12], v[31:32], v[33:34], v[11:12]
.LBB142_240:
	s_or_b64 exec, exec, s[10:11]
	v_cmp_eq_u32_e64 s[10:11], 1, v27
	s_barrier
	s_and_b64 s[12:13], s[10:11], s[16:17]
	s_mov_b64 s[10:11], exec
	v_writelane_b32 v41, s12, 7
	v_writelane_b32 v41, s13, 8
	s_and_b64 s[12:13], s[10:11], s[12:13]
	s_mov_b64 exec, s[12:13]
	s_cbranch_execz .LBB142_242
; %bb.241:
	v_mov_b32_e32 v31, 0
	ds_read_b64 v[31:32], v31 offset:8840
	s_waitcnt lgkmcnt(0)
	v_mul_f64 v[11:12], v[11:12], v[31:32]
	ds_write_b64 v28, v[11:12]
.LBB142_242:
	s_or_b64 exec, exec, s[10:11]
	v_cmp_lt_u32_e64 s[10:11], 1, v27
	s_waitcnt lgkmcnt(0)
	s_barrier
	s_and_b64 s[12:13], s[10:11], s[16:17]
	s_mov_b64 s[10:11], exec
	v_writelane_b32 v41, s12, 9
	v_writelane_b32 v41, s13, 10
	s_and_b64 s[12:13], s[10:11], s[12:13]
	s_mov_b64 exec, s[12:13]
	s_cbranch_execz .LBB142_244
; %bb.243:
	v_lshlrev_b32_e32 v31, 3, v27
	ds_read_b64 v[31:32], v31 offset:8832
	ds_read_b64 v[33:34], v28
	s_waitcnt lgkmcnt(0)
	v_fma_f64 v[11:12], v[31:32], v[33:34], v[11:12]
.LBB142_244:
	s_or_b64 exec, exec, s[10:11]
	v_cmp_eq_u32_e64 s[10:11], 2, v27
	s_barrier
	s_and_b64 s[12:13], s[10:11], s[16:17]
	s_mov_b64 s[10:11], exec
	v_writelane_b32 v41, s12, 11
	v_writelane_b32 v41, s13, 12
	s_and_b64 s[12:13], s[10:11], s[12:13]
	s_mov_b64 exec, s[12:13]
	s_cbranch_execz .LBB142_246
; %bb.245:
	v_mov_b32_e32 v31, 0
	ds_read_b64 v[31:32], v31 offset:9360
	s_waitcnt lgkmcnt(0)
	v_mul_f64 v[11:12], v[11:12], v[31:32]
	ds_write_b64 v28, v[11:12]
.LBB142_246:
	s_or_b64 exec, exec, s[10:11]
	v_cmp_lt_u32_e64 s[10:11], 2, v27
	;; [unrolled: 35-line block ×12, first 2 shown]
	s_and_b64 s[30:31], s[10:11], s[16:17]
	s_waitcnt lgkmcnt(0)
	s_barrier
	s_and_saveexec_b64 s[10:11], s[30:31]
	s_cbranch_execz .LBB142_288
; %bb.287:
	v_lshlrev_b32_e32 v31, 3, v27
	ds_read_b64 v[31:32], v31 offset:14464
	ds_read_b64 v[33:34], v28
	s_waitcnt lgkmcnt(0)
	v_fma_f64 v[11:12], v[31:32], v[33:34], v[11:12]
.LBB142_288:
	s_or_b64 exec, exec, s[10:11]
	v_cmp_eq_u32_e64 s[10:11], 13, v27
	s_and_b64 s[80:81], s[10:11], s[16:17]
	s_barrier
	s_and_saveexec_b64 s[10:11], s[80:81]
	s_cbranch_execz .LBB142_290
; %bb.289:
	v_mov_b32_e32 v31, 0
	ds_read_b64 v[31:32], v31 offset:15080
	s_waitcnt lgkmcnt(0)
	v_mul_f64 v[11:12], v[11:12], v[31:32]
	ds_write_b64 v28, v[11:12]
.LBB142_290:
	s_or_b64 exec, exec, s[10:11]
	v_cmp_lt_u32_e64 s[10:11], 13, v27
	s_and_b64 s[82:83], s[10:11], s[16:17]
	s_waitcnt lgkmcnt(0)
	s_barrier
	s_and_saveexec_b64 s[10:11], s[82:83]
	s_cbranch_execz .LBB142_292
; %bb.291:
	v_lshlrev_b32_e32 v31, 3, v27
	ds_read_b64 v[31:32], v31 offset:14976
	ds_read_b64 v[33:34], v28
	s_waitcnt lgkmcnt(0)
	v_fma_f64 v[11:12], v[31:32], v[33:34], v[11:12]
.LBB142_292:
	s_or_b64 exec, exec, s[10:11]
	v_cmp_eq_u32_e64 s[10:11], 14, v27
	s_and_b64 s[84:85], s[10:11], s[16:17]
	s_barrier
	s_and_saveexec_b64 s[10:11], s[84:85]
	s_cbranch_execz .LBB142_294
; %bb.293:
	v_mov_b32_e32 v31, 0
	ds_read_b64 v[31:32], v31 offset:15600
	s_waitcnt lgkmcnt(0)
	v_mul_f64 v[11:12], v[11:12], v[31:32]
	ds_write_b64 v28, v[11:12]
.LBB142_294:
	s_or_b64 exec, exec, s[10:11]
	v_cmp_eq_u32_e64 s[10:11], 15, v27
	s_and_b64 s[86:87], s[10:11], s[16:17]
	s_waitcnt lgkmcnt(0)
	s_barrier
	s_and_saveexec_b64 s[10:11], s[86:87]
	s_cbranch_execz .LBB142_296
; %bb.295:
	v_mov_b32_e32 v31, 0
	ds_read_b64 v[31:32], v31 offset:15608
	ds_read_b64 v[33:34], v28
	s_waitcnt lgkmcnt(0)
	v_fma_f64 v[11:12], v[31:32], v[33:34], v[11:12]
.LBB142_296:
	s_or_b64 exec, exec, s[10:11]
	s_barrier
	s_and_saveexec_b64 s[10:11], s[86:87]
	s_cbranch_execz .LBB142_298
; %bb.297:
	v_mov_b32_e32 v31, 0
	ds_read_b64 v[31:32], v31 offset:16120
	s_waitcnt lgkmcnt(0)
	v_mul_f64 v[11:12], v[11:12], v[31:32]
	ds_write_b64 v28, v[11:12]
.LBB142_298:
	s_or_b64 exec, exec, s[10:11]
	s_waitcnt lgkmcnt(0)
	s_barrier
	s_barrier
	s_and_saveexec_b64 s[10:11], s[8:9]
; %bb.299:
	v_xor_b32_e32 v12, 0x80000000, v12
	ds_write_b64 v26, v[11:12] offset:128
; %bb.300:
	s_or_b64 exec, exec, s[10:11]
	s_waitcnt lgkmcnt(0)
	s_barrier
	s_barrier
	s_and_saveexec_b64 s[10:11], vcc
	s_cbranch_execz .LBB142_302
; %bb.301:
	v_mov_b32_e32 v35, 0
	ds_read_b128 v[31:34], v35 offset:8320
	ds_read_b64 v[11:12], v35 offset:8840
	s_waitcnt lgkmcnt(0)
	v_mul_f64 v[11:12], v[31:32], v[11:12]
	v_mul_f64 v[11:12], v[33:34], v[11:12]
	ds_write_b64 v35, v[11:12] offset:8328
.LBB142_302:
	s_or_b64 exec, exec, s[10:11]
	v_mov_b32_e32 v11, 0
	v_mov_b32_e32 v12, 0
	s_waitcnt lgkmcnt(0)
	s_barrier
	s_and_saveexec_b64 s[12:13], s[0:1]
	s_cbranch_execz .LBB142_306
; %bb.303:
	v_mul_u32_u24_e32 v31, 0x208, v15
	ds_read_b64 v[11:12], v1 offset:8336
	ds_read_b64 v[31:32], v31 offset:8320
	v_cmp_gt_u32_e64 s[10:11], 2, v14
	s_waitcnt lgkmcnt(0)
	v_fma_f64 v[11:12], v[11:12], v[31:32], 0
	s_and_saveexec_b64 s[16:17], s[10:11]
	s_cbranch_execz .LBB142_305
; %bb.304:
	v_lshlrev_b32_e32 v31, 3, v0
	v_mov_b32_e32 v33, 0
	ds_read_b64 v[31:32], v31 offset:8848
	ds_read_b64 v[33:34], v33 offset:8328
	s_waitcnt lgkmcnt(0)
	v_fma_f64 v[11:12], v[31:32], v[33:34], v[11:12]
.LBB142_305:
	s_or_b64 exec, exec, s[16:17]
	v_xor_b32_e32 v12, 0x80000000, v12
.LBB142_306:
	s_or_b64 exec, exec, s[12:13]
	s_and_saveexec_b64 s[10:11], s[38:39]
	s_cbranch_execz .LBB142_308
; %bb.307:
	v_mov_b32_e32 v31, 0
	ds_read_b64 v[31:32], v31 offset:9360
	s_waitcnt lgkmcnt(0)
	v_mul_f64 v[11:12], v[11:12], v[31:32]
	ds_write_b64 v13, v[11:12]
.LBB142_308:
	s_or_b64 exec, exec, s[10:11]
	s_waitcnt lgkmcnt(0)
	s_barrier
	s_and_saveexec_b64 s[10:11], s[36:37]
	s_cbranch_execz .LBB142_310
; %bb.309:
	v_mov_b32_e32 v31, 0
	ds_read_b64 v[31:32], v31 offset:9368
	ds_read_b64 v[33:34], v13
	s_waitcnt lgkmcnt(0)
	v_fma_f64 v[11:12], v[31:32], v[33:34], v[11:12]
.LBB142_310:
	s_or_b64 exec, exec, s[10:11]
	s_barrier
	s_and_saveexec_b64 s[10:11], s[36:37]
	s_cbranch_execz .LBB142_312
; %bb.311:
	v_mov_b32_e32 v31, 0
	ds_read_b64 v[31:32], v31 offset:9880
	s_waitcnt lgkmcnt(0)
	v_mul_f64 v[11:12], v[11:12], v[31:32]
	ds_write_b64 v13, v[11:12]
.LBB142_312:
	s_or_b64 exec, exec, s[10:11]
	s_waitcnt lgkmcnt(0)
	s_barrier
	s_barrier
	s_and_saveexec_b64 s[10:11], s[0:1]
; %bb.313:
	v_xor_b32_e32 v12, 0x80000000, v12
	ds_write_b64 v1, v[11:12] offset:8336
; %bb.314:
	s_or_b64 exec, exec, s[10:11]
	s_waitcnt lgkmcnt(0)
	s_barrier
	s_barrier
	s_and_saveexec_b64 s[10:11], vcc
	s_cbranch_execz .LBB142_316
; %bb.315:
	v_mov_b32_e32 v35, 0
	ds_read_b128 v[31:34], v35 offset:9360
	ds_read_b64 v[11:12], v35 offset:9880
	s_waitcnt lgkmcnt(0)
	v_mul_f64 v[11:12], v[31:32], v[11:12]
	v_mul_f64 v[11:12], v[33:34], v[11:12]
	ds_write_b64 v35, v[11:12] offset:9368
.LBB142_316:
	s_or_b64 exec, exec, s[10:11]
	v_mov_b32_e32 v11, 0
	v_mov_b32_e32 v12, 0
	s_waitcnt lgkmcnt(0)
	s_barrier
	s_and_saveexec_b64 s[12:13], s[2:3]
	s_cbranch_execz .LBB142_322
; %bb.317:
	v_mul_u32_u24_e32 v31, 0x208, v20
	ds_read_b64 v[11:12], v16 offset:8352
	ds_read_b64 v[32:33], v31 offset:8320
	v_cmp_gt_u32_e64 s[10:11], 12, v14
	s_waitcnt lgkmcnt(0)
	v_fma_f64 v[11:12], v[11:12], v[32:33], 0
	s_and_saveexec_b64 s[16:17], s[10:11]
	s_cbranch_execnz .LBB142_1050
; %bb.318:
	s_or_b64 exec, exec, s[16:17]
	v_cmp_gt_u32_e64 s[10:11], 8, v14
	s_and_saveexec_b64 s[16:17], s[10:11]
	s_cbranch_execnz .LBB142_1051
.LBB142_319:
	s_or_b64 exec, exec, s[16:17]
	v_cmp_gt_u32_e64 s[10:11], 4, v14
	s_and_saveexec_b64 s[16:17], s[10:11]
	s_cbranch_execz .LBB142_321
.LBB142_320:
	v_lshlrev_b32_e32 v31, 3, v0
	v_mov_b32_e32 v33, 0
	ds_read_b64 v[31:32], v31 offset:9888
	ds_read_b64 v[33:34], v33 offset:8344
	s_waitcnt lgkmcnt(0)
	v_fma_f64 v[11:12], v[31:32], v[33:34], v[11:12]
.LBB142_321:
	s_or_b64 exec, exec, s[16:17]
	v_xor_b32_e32 v12, 0x80000000, v12
.LBB142_322:
	s_or_b64 exec, exec, s[12:13]
	s_and_saveexec_b64 s[10:11], s[42:43]
	s_cbranch_execz .LBB142_324
; %bb.323:
	v_mov_b32_e32 v31, 0
	ds_read_b64 v[31:32], v31 offset:10400
	s_waitcnt lgkmcnt(0)
	v_mul_f64 v[11:12], v[11:12], v[31:32]
	ds_write_b64 v18, v[11:12]
.LBB142_324:
	s_or_b64 exec, exec, s[10:11]
	s_waitcnt lgkmcnt(0)
	s_barrier
	s_and_saveexec_b64 s[10:11], s[44:45]
	s_cbranch_execz .LBB142_326
; %bb.325:
	ds_read_b64 v[31:32], v17 offset:10400
	ds_read_b64 v[33:34], v18
	s_waitcnt lgkmcnt(0)
	v_fma_f64 v[11:12], v[31:32], v[33:34], v[11:12]
.LBB142_326:
	s_or_b64 exec, exec, s[10:11]
	s_barrier
	s_and_saveexec_b64 s[10:11], s[46:47]
	s_cbranch_execz .LBB142_328
; %bb.327:
	v_mov_b32_e32 v31, 0
	ds_read_b64 v[31:32], v31 offset:10920
	s_waitcnt lgkmcnt(0)
	v_mul_f64 v[11:12], v[11:12], v[31:32]
	ds_write_b64 v18, v[11:12]
.LBB142_328:
	s_or_b64 exec, exec, s[10:11]
	s_waitcnt lgkmcnt(0)
	s_barrier
	s_and_saveexec_b64 s[10:11], s[48:49]
	s_cbranch_execz .LBB142_330
; %bb.329:
	ds_read_b64 v[31:32], v17 offset:10912
	ds_read_b64 v[33:34], v18
	s_waitcnt lgkmcnt(0)
	v_fma_f64 v[11:12], v[31:32], v[33:34], v[11:12]
.LBB142_330:
	s_or_b64 exec, exec, s[10:11]
	s_barrier
	s_and_saveexec_b64 s[10:11], s[50:51]
	s_cbranch_execz .LBB142_332
; %bb.331:
	v_mov_b32_e32 v31, 0
	ds_read_b64 v[31:32], v31 offset:11440
	s_waitcnt lgkmcnt(0)
	v_mul_f64 v[11:12], v[11:12], v[31:32]
	ds_write_b64 v18, v[11:12]
.LBB142_332:
	s_or_b64 exec, exec, s[10:11]
	s_waitcnt lgkmcnt(0)
	s_barrier
	s_and_saveexec_b64 s[10:11], s[40:41]
	s_cbranch_execz .LBB142_334
; %bb.333:
	v_mov_b32_e32 v31, 0
	ds_read_b64 v[31:32], v31 offset:11448
	ds_read_b64 v[33:34], v18
	s_waitcnt lgkmcnt(0)
	v_fma_f64 v[11:12], v[31:32], v[33:34], v[11:12]
.LBB142_334:
	s_or_b64 exec, exec, s[10:11]
	s_barrier
	s_and_saveexec_b64 s[10:11], s[40:41]
	s_cbranch_execz .LBB142_336
; %bb.335:
	v_mov_b32_e32 v31, 0
	ds_read_b64 v[31:32], v31 offset:11960
	s_waitcnt lgkmcnt(0)
	v_mul_f64 v[11:12], v[11:12], v[31:32]
	ds_write_b64 v18, v[11:12]
.LBB142_336:
	s_or_b64 exec, exec, s[10:11]
	s_waitcnt lgkmcnt(0)
	s_barrier
	s_barrier
	s_and_saveexec_b64 s[10:11], s[2:3]
; %bb.337:
	v_xor_b32_e32 v12, 0x80000000, v12
	ds_write_b64 v16, v[11:12] offset:8352
; %bb.338:
	s_or_b64 exec, exec, s[10:11]
	s_waitcnt lgkmcnt(0)
	s_barrier
	s_barrier
	s_and_saveexec_b64 s[10:11], vcc
	s_cbranch_execz .LBB142_340
; %bb.339:
	v_mov_b32_e32 v35, 0
	ds_read_b128 v[31:34], v35 offset:10400
	ds_read_b64 v[11:12], v35 offset:10920
	s_waitcnt lgkmcnt(0)
	v_mul_f64 v[11:12], v[31:32], v[11:12]
	v_mul_f64 v[11:12], v[33:34], v[11:12]
	ds_write_b64 v35, v[11:12] offset:10408
.LBB142_340:
	s_or_b64 exec, exec, s[10:11]
	v_mov_b32_e32 v11, 0
	v_mov_b32_e32 v12, 0
	s_waitcnt lgkmcnt(0)
	s_barrier
	s_and_saveexec_b64 s[12:13], s[0:1]
	s_cbranch_execz .LBB142_344
; %bb.341:
	v_mul_u32_u24_e32 v31, 0x208, v15
	ds_read_b64 v[11:12], v1 offset:10416
	ds_read_b64 v[31:32], v31 offset:10400
	v_cmp_gt_u32_e64 s[10:11], 2, v14
	s_waitcnt lgkmcnt(0)
	v_fma_f64 v[11:12], v[11:12], v[31:32], 0
	s_and_saveexec_b64 s[16:17], s[10:11]
	s_cbranch_execz .LBB142_343
; %bb.342:
	v_lshlrev_b32_e32 v31, 3, v0
	v_mov_b32_e32 v33, 0
	ds_read_b64 v[31:32], v31 offset:10928
	ds_read_b64 v[33:34], v33 offset:10408
	s_waitcnt lgkmcnt(0)
	v_fma_f64 v[11:12], v[31:32], v[33:34], v[11:12]
.LBB142_343:
	s_or_b64 exec, exec, s[16:17]
	v_xor_b32_e32 v12, 0x80000000, v12
.LBB142_344:
	s_or_b64 exec, exec, s[12:13]
	s_and_saveexec_b64 s[10:11], s[38:39]
	s_cbranch_execz .LBB142_346
; %bb.345:
	v_mov_b32_e32 v31, 0
	ds_read_b64 v[31:32], v31 offset:11440
	s_waitcnt lgkmcnt(0)
	v_mul_f64 v[11:12], v[11:12], v[31:32]
	ds_write_b64 v13, v[11:12]
.LBB142_346:
	s_or_b64 exec, exec, s[10:11]
	s_waitcnt lgkmcnt(0)
	s_barrier
	s_and_saveexec_b64 s[10:11], s[36:37]
	s_cbranch_execz .LBB142_348
; %bb.347:
	v_mov_b32_e32 v31, 0
	ds_read_b64 v[31:32], v31 offset:11448
	ds_read_b64 v[33:34], v13
	s_waitcnt lgkmcnt(0)
	v_fma_f64 v[11:12], v[31:32], v[33:34], v[11:12]
.LBB142_348:
	s_or_b64 exec, exec, s[10:11]
	s_barrier
	s_and_saveexec_b64 s[10:11], s[36:37]
	s_cbranch_execz .LBB142_350
; %bb.349:
	v_mov_b32_e32 v31, 0
	ds_read_b64 v[31:32], v31 offset:11960
	s_waitcnt lgkmcnt(0)
	v_mul_f64 v[11:12], v[11:12], v[31:32]
	ds_write_b64 v13, v[11:12]
.LBB142_350:
	s_or_b64 exec, exec, s[10:11]
	s_waitcnt lgkmcnt(0)
	s_barrier
	s_barrier
	s_and_saveexec_b64 s[10:11], s[0:1]
; %bb.351:
	v_xor_b32_e32 v12, 0x80000000, v12
	ds_write_b64 v1, v[11:12] offset:10416
; %bb.352:
	s_or_b64 exec, exec, s[10:11]
	s_waitcnt lgkmcnt(0)
	s_barrier
	s_barrier
	s_and_saveexec_b64 s[10:11], vcc
	s_cbranch_execz .LBB142_354
; %bb.353:
	v_mov_b32_e32 v35, 0
	ds_read_b128 v[31:34], v35 offset:11440
	ds_read_b64 v[11:12], v35 offset:11960
	s_waitcnt lgkmcnt(0)
	v_mul_f64 v[11:12], v[31:32], v[11:12]
	v_mul_f64 v[11:12], v[33:34], v[11:12]
	ds_write_b64 v35, v[11:12] offset:11448
.LBB142_354:
	s_or_b64 exec, exec, s[10:11]
	v_mov_b32_e32 v11, 0
	v_mov_b32_e32 v12, 0
	s_waitcnt lgkmcnt(0)
	s_barrier
	s_and_saveexec_b64 s[12:13], s[14:15]
	s_cbranch_execz .LBB142_364
; %bb.355:
	v_mul_u32_u24_e32 v31, 0x208, v25
	ds_read_b64 v[11:12], v21 offset:8384
	ds_read_b64 v[32:33], v31 offset:8320
	v_cmp_gt_u32_e64 s[10:11], 56, v14
	s_waitcnt lgkmcnt(0)
	v_fma_f64 v[11:12], v[11:12], v[32:33], 0
	s_and_saveexec_b64 s[16:17], s[10:11]
	s_cbranch_execnz .LBB142_1052
; %bb.356:
	s_or_b64 exec, exec, s[16:17]
	v_cmp_gt_u32_e64 s[10:11], 48, v14
	s_and_saveexec_b64 s[16:17], s[10:11]
	s_cbranch_execnz .LBB142_1053
.LBB142_357:
	s_or_b64 exec, exec, s[16:17]
	v_cmp_gt_u32_e64 s[10:11], 40, v14
	s_and_saveexec_b64 s[16:17], s[10:11]
	s_cbranch_execnz .LBB142_1054
.LBB142_358:
	s_or_b64 exec, exec, s[16:17]
	v_cmp_gt_u32_e64 s[10:11], 32, v14
	s_and_saveexec_b64 s[16:17], s[10:11]
	s_cbranch_execnz .LBB142_1055
.LBB142_359:
	s_or_b64 exec, exec, s[16:17]
	v_cmp_gt_u32_e64 s[10:11], 24, v14
	s_and_saveexec_b64 s[16:17], s[10:11]
	s_cbranch_execnz .LBB142_1056
.LBB142_360:
	s_or_b64 exec, exec, s[16:17]
	v_cmp_gt_u32_e64 s[10:11], 16, v14
	s_and_saveexec_b64 s[16:17], s[10:11]
	s_cbranch_execnz .LBB142_1057
.LBB142_361:
	s_or_b64 exec, exec, s[16:17]
	v_cmp_gt_u32_e64 s[10:11], 8, v14
	s_and_saveexec_b64 s[16:17], s[10:11]
	s_cbranch_execz .LBB142_363
.LBB142_362:
	v_lshlrev_b32_e32 v31, 3, v0
	v_mov_b32_e32 v33, 0
	ds_read_b64 v[31:32], v31 offset:11968
	ds_read_b64 v[33:34], v33 offset:8376
	s_waitcnt lgkmcnt(0)
	v_fma_f64 v[11:12], v[31:32], v[33:34], v[11:12]
.LBB142_363:
	s_or_b64 exec, exec, s[16:17]
	v_xor_b32_e32 v12, 0x80000000, v12
.LBB142_364:
	s_or_b64 exec, exec, s[12:13]
	s_and_saveexec_b64 s[10:11], s[52:53]
	s_cbranch_execz .LBB142_366
; %bb.365:
	v_mov_b32_e32 v31, 0
	ds_read_b64 v[31:32], v31 offset:12480
	s_waitcnt lgkmcnt(0)
	v_mul_f64 v[11:12], v[11:12], v[31:32]
	ds_write_b64 v23, v[11:12]
.LBB142_366:
	s_or_b64 exec, exec, s[10:11]
	s_waitcnt lgkmcnt(0)
	s_barrier
	s_and_saveexec_b64 s[10:11], s[54:55]
	s_cbranch_execz .LBB142_368
; %bb.367:
	ds_read_b64 v[31:32], v22 offset:12480
	ds_read_b64 v[33:34], v23
	s_waitcnt lgkmcnt(0)
	v_fma_f64 v[11:12], v[31:32], v[33:34], v[11:12]
.LBB142_368:
	s_or_b64 exec, exec, s[10:11]
	s_barrier
	s_and_saveexec_b64 s[10:11], s[56:57]
	s_cbranch_execz .LBB142_370
; %bb.369:
	v_mov_b32_e32 v31, 0
	ds_read_b64 v[31:32], v31 offset:13000
	s_waitcnt lgkmcnt(0)
	v_mul_f64 v[11:12], v[11:12], v[31:32]
	ds_write_b64 v23, v[11:12]
.LBB142_370:
	s_or_b64 exec, exec, s[10:11]
	s_waitcnt lgkmcnt(0)
	s_barrier
	s_and_saveexec_b64 s[10:11], s[58:59]
	s_cbranch_execz .LBB142_372
; %bb.371:
	ds_read_b64 v[31:32], v22 offset:12992
	ds_read_b64 v[33:34], v23
	s_waitcnt lgkmcnt(0)
	v_fma_f64 v[11:12], v[31:32], v[33:34], v[11:12]
.LBB142_372:
	s_or_b64 exec, exec, s[10:11]
	s_barrier
	;; [unrolled: 22-line block ×6, first 2 shown]
	s_and_saveexec_b64 s[10:11], s[78:79]
	s_cbranch_execz .LBB142_390
; %bb.389:
	v_mov_b32_e32 v31, 0
	ds_read_b64 v[31:32], v31 offset:15600
	s_waitcnt lgkmcnt(0)
	v_mul_f64 v[11:12], v[11:12], v[31:32]
	ds_write_b64 v23, v[11:12]
.LBB142_390:
	s_or_b64 exec, exec, s[10:11]
	s_waitcnt lgkmcnt(0)
	s_barrier
	s_and_saveexec_b64 s[10:11], s[62:63]
	s_cbranch_execz .LBB142_392
; %bb.391:
	v_mov_b32_e32 v31, 0
	ds_read_b64 v[31:32], v31 offset:15608
	ds_read_b64 v[33:34], v23
	s_waitcnt lgkmcnt(0)
	v_fma_f64 v[11:12], v[31:32], v[33:34], v[11:12]
.LBB142_392:
	s_or_b64 exec, exec, s[10:11]
	s_barrier
	s_and_saveexec_b64 s[10:11], s[62:63]
	s_cbranch_execz .LBB142_394
; %bb.393:
	v_mov_b32_e32 v31, 0
	ds_read_b64 v[31:32], v31 offset:16120
	s_waitcnt lgkmcnt(0)
	v_mul_f64 v[11:12], v[11:12], v[31:32]
	ds_write_b64 v23, v[11:12]
.LBB142_394:
	s_or_b64 exec, exec, s[10:11]
	s_waitcnt lgkmcnt(0)
	s_barrier
	s_barrier
	s_and_saveexec_b64 s[10:11], s[14:15]
; %bb.395:
	v_xor_b32_e32 v12, 0x80000000, v12
	ds_write_b64 v21, v[11:12] offset:8384
; %bb.396:
	s_or_b64 exec, exec, s[10:11]
	s_waitcnt lgkmcnt(0)
	s_barrier
	s_barrier
	s_and_saveexec_b64 s[10:11], vcc
	s_cbranch_execz .LBB142_398
; %bb.397:
	v_mov_b32_e32 v35, 0
	ds_read_b128 v[31:34], v35 offset:12480
	ds_read_b64 v[11:12], v35 offset:13000
	s_waitcnt lgkmcnt(0)
	v_mul_f64 v[11:12], v[31:32], v[11:12]
	v_mul_f64 v[11:12], v[33:34], v[11:12]
	ds_write_b64 v35, v[11:12] offset:12488
.LBB142_398:
	s_or_b64 exec, exec, s[10:11]
	v_mov_b32_e32 v11, 0
	v_mov_b32_e32 v12, 0
	s_waitcnt lgkmcnt(0)
	s_barrier
	s_and_saveexec_b64 s[12:13], s[0:1]
	s_cbranch_execz .LBB142_402
; %bb.399:
	v_mul_u32_u24_e32 v31, 0x208, v15
	ds_read_b64 v[11:12], v1 offset:12496
	ds_read_b64 v[31:32], v31 offset:12480
	v_cmp_gt_u32_e64 s[10:11], 2, v14
	s_waitcnt lgkmcnt(0)
	v_fma_f64 v[11:12], v[11:12], v[31:32], 0
	s_and_saveexec_b64 s[16:17], s[10:11]
	s_cbranch_execz .LBB142_401
; %bb.400:
	v_lshlrev_b32_e32 v31, 3, v0
	v_mov_b32_e32 v33, 0
	ds_read_b64 v[31:32], v31 offset:13008
	ds_read_b64 v[33:34], v33 offset:12488
	s_waitcnt lgkmcnt(0)
	v_fma_f64 v[11:12], v[31:32], v[33:34], v[11:12]
.LBB142_401:
	s_or_b64 exec, exec, s[16:17]
	v_xor_b32_e32 v12, 0x80000000, v12
.LBB142_402:
	s_or_b64 exec, exec, s[12:13]
	s_and_saveexec_b64 s[10:11], s[38:39]
	s_cbranch_execz .LBB142_404
; %bb.403:
	v_mov_b32_e32 v31, 0
	ds_read_b64 v[31:32], v31 offset:13520
	s_waitcnt lgkmcnt(0)
	v_mul_f64 v[11:12], v[11:12], v[31:32]
	ds_write_b64 v13, v[11:12]
.LBB142_404:
	s_or_b64 exec, exec, s[10:11]
	s_waitcnt lgkmcnt(0)
	s_barrier
	s_and_saveexec_b64 s[10:11], s[36:37]
	s_cbranch_execz .LBB142_406
; %bb.405:
	v_mov_b32_e32 v31, 0
	ds_read_b64 v[31:32], v31 offset:13528
	ds_read_b64 v[33:34], v13
	s_waitcnt lgkmcnt(0)
	v_fma_f64 v[11:12], v[31:32], v[33:34], v[11:12]
.LBB142_406:
	s_or_b64 exec, exec, s[10:11]
	s_barrier
	s_and_saveexec_b64 s[10:11], s[36:37]
	s_cbranch_execz .LBB142_408
; %bb.407:
	v_mov_b32_e32 v31, 0
	ds_read_b64 v[31:32], v31 offset:14040
	s_waitcnt lgkmcnt(0)
	v_mul_f64 v[11:12], v[11:12], v[31:32]
	ds_write_b64 v13, v[11:12]
.LBB142_408:
	s_or_b64 exec, exec, s[10:11]
	s_waitcnt lgkmcnt(0)
	s_barrier
	s_barrier
	s_and_saveexec_b64 s[10:11], s[0:1]
; %bb.409:
	v_xor_b32_e32 v12, 0x80000000, v12
	ds_write_b64 v1, v[11:12] offset:12496
; %bb.410:
	s_or_b64 exec, exec, s[10:11]
	s_waitcnt lgkmcnt(0)
	s_barrier
	s_barrier
	s_and_saveexec_b64 s[10:11], vcc
	s_cbranch_execz .LBB142_412
; %bb.411:
	v_mov_b32_e32 v35, 0
	ds_read_b128 v[31:34], v35 offset:13520
	ds_read_b64 v[11:12], v35 offset:14040
	s_waitcnt lgkmcnt(0)
	v_mul_f64 v[11:12], v[31:32], v[11:12]
	v_mul_f64 v[11:12], v[33:34], v[11:12]
	ds_write_b64 v35, v[11:12] offset:13528
.LBB142_412:
	s_or_b64 exec, exec, s[10:11]
	v_mov_b32_e32 v11, 0
	v_mov_b32_e32 v12, 0
	s_waitcnt lgkmcnt(0)
	s_barrier
	s_and_saveexec_b64 s[12:13], s[2:3]
	s_cbranch_execz .LBB142_418
; %bb.413:
	v_mul_u32_u24_e32 v31, 0x208, v20
	ds_read_b64 v[11:12], v16 offset:12512
	ds_read_b64 v[32:33], v31 offset:12480
	v_cmp_gt_u32_e64 s[10:11], 12, v14
	s_waitcnt lgkmcnt(0)
	v_fma_f64 v[11:12], v[11:12], v[32:33], 0
	s_and_saveexec_b64 s[16:17], s[10:11]
	s_cbranch_execnz .LBB142_1058
; %bb.414:
	s_or_b64 exec, exec, s[16:17]
	v_cmp_gt_u32_e64 s[10:11], 8, v14
	s_and_saveexec_b64 s[16:17], s[10:11]
	s_cbranch_execnz .LBB142_1059
.LBB142_415:
	s_or_b64 exec, exec, s[16:17]
	v_cmp_gt_u32_e64 s[10:11], 4, v14
	s_and_saveexec_b64 s[16:17], s[10:11]
	s_cbranch_execz .LBB142_417
.LBB142_416:
	v_lshlrev_b32_e32 v31, 3, v0
	v_mov_b32_e32 v33, 0
	ds_read_b64 v[31:32], v31 offset:14048
	ds_read_b64 v[33:34], v33 offset:12504
	s_waitcnt lgkmcnt(0)
	v_fma_f64 v[11:12], v[31:32], v[33:34], v[11:12]
.LBB142_417:
	s_or_b64 exec, exec, s[16:17]
	v_xor_b32_e32 v12, 0x80000000, v12
.LBB142_418:
	s_or_b64 exec, exec, s[12:13]
	s_and_saveexec_b64 s[10:11], s[42:43]
	s_cbranch_execz .LBB142_420
; %bb.419:
	v_mov_b32_e32 v31, 0
	ds_read_b64 v[31:32], v31 offset:14560
	s_waitcnt lgkmcnt(0)
	v_mul_f64 v[11:12], v[11:12], v[31:32]
	ds_write_b64 v18, v[11:12]
.LBB142_420:
	s_or_b64 exec, exec, s[10:11]
	s_waitcnt lgkmcnt(0)
	s_barrier
	s_and_saveexec_b64 s[10:11], s[44:45]
	s_cbranch_execz .LBB142_422
; %bb.421:
	ds_read_b64 v[31:32], v17 offset:14560
	ds_read_b64 v[33:34], v18
	s_waitcnt lgkmcnt(0)
	v_fma_f64 v[11:12], v[31:32], v[33:34], v[11:12]
.LBB142_422:
	s_or_b64 exec, exec, s[10:11]
	s_barrier
	s_and_saveexec_b64 s[10:11], s[46:47]
	s_cbranch_execz .LBB142_424
; %bb.423:
	v_mov_b32_e32 v31, 0
	ds_read_b64 v[31:32], v31 offset:15080
	s_waitcnt lgkmcnt(0)
	v_mul_f64 v[11:12], v[11:12], v[31:32]
	ds_write_b64 v18, v[11:12]
.LBB142_424:
	s_or_b64 exec, exec, s[10:11]
	s_waitcnt lgkmcnt(0)
	s_barrier
	s_and_saveexec_b64 s[10:11], s[48:49]
	s_cbranch_execz .LBB142_426
; %bb.425:
	ds_read_b64 v[31:32], v17 offset:15072
	ds_read_b64 v[33:34], v18
	s_waitcnt lgkmcnt(0)
	v_fma_f64 v[11:12], v[31:32], v[33:34], v[11:12]
.LBB142_426:
	s_or_b64 exec, exec, s[10:11]
	s_barrier
	s_and_saveexec_b64 s[10:11], s[50:51]
	s_cbranch_execz .LBB142_428
; %bb.427:
	v_mov_b32_e32 v31, 0
	ds_read_b64 v[31:32], v31 offset:15600
	s_waitcnt lgkmcnt(0)
	v_mul_f64 v[11:12], v[11:12], v[31:32]
	ds_write_b64 v18, v[11:12]
.LBB142_428:
	s_or_b64 exec, exec, s[10:11]
	s_waitcnt lgkmcnt(0)
	s_barrier
	s_and_saveexec_b64 s[10:11], s[40:41]
	s_cbranch_execz .LBB142_430
; %bb.429:
	v_mov_b32_e32 v31, 0
	ds_read_b64 v[31:32], v31 offset:15608
	ds_read_b64 v[33:34], v18
	s_waitcnt lgkmcnt(0)
	v_fma_f64 v[11:12], v[31:32], v[33:34], v[11:12]
.LBB142_430:
	s_or_b64 exec, exec, s[10:11]
	s_barrier
	s_and_saveexec_b64 s[10:11], s[40:41]
	s_cbranch_execz .LBB142_432
; %bb.431:
	v_mov_b32_e32 v31, 0
	ds_read_b64 v[31:32], v31 offset:16120
	s_waitcnt lgkmcnt(0)
	v_mul_f64 v[11:12], v[11:12], v[31:32]
	ds_write_b64 v18, v[11:12]
.LBB142_432:
	s_or_b64 exec, exec, s[10:11]
	s_waitcnt lgkmcnt(0)
	s_barrier
	s_barrier
	s_and_saveexec_b64 s[10:11], s[2:3]
; %bb.433:
	v_xor_b32_e32 v12, 0x80000000, v12
	ds_write_b64 v16, v[11:12] offset:12512
; %bb.434:
	s_or_b64 exec, exec, s[10:11]
	s_waitcnt lgkmcnt(0)
	s_barrier
	s_barrier
	s_and_saveexec_b64 s[10:11], vcc
	s_cbranch_execz .LBB142_436
; %bb.435:
	v_mov_b32_e32 v35, 0
	ds_read_b128 v[31:34], v35 offset:14560
	ds_read_b64 v[11:12], v35 offset:15080
	s_waitcnt lgkmcnt(0)
	v_mul_f64 v[11:12], v[31:32], v[11:12]
	v_mul_f64 v[11:12], v[33:34], v[11:12]
	ds_write_b64 v35, v[11:12] offset:14568
.LBB142_436:
	s_or_b64 exec, exec, s[10:11]
	v_mov_b32_e32 v11, 0
	v_mov_b32_e32 v12, 0
	s_waitcnt lgkmcnt(0)
	s_barrier
	s_and_saveexec_b64 s[12:13], s[0:1]
	s_cbranch_execz .LBB142_440
; %bb.437:
	v_mul_u32_u24_e32 v31, 0x208, v15
	ds_read_b64 v[11:12], v1 offset:14576
	ds_read_b64 v[31:32], v31 offset:14560
	v_cmp_gt_u32_e64 s[10:11], 2, v14
	s_waitcnt lgkmcnt(0)
	v_fma_f64 v[11:12], v[11:12], v[31:32], 0
	s_and_saveexec_b64 s[16:17], s[10:11]
	s_cbranch_execz .LBB142_439
; %bb.438:
	v_lshlrev_b32_e32 v31, 3, v0
	v_mov_b32_e32 v33, 0
	ds_read_b64 v[31:32], v31 offset:15088
	ds_read_b64 v[33:34], v33 offset:14568
	s_waitcnt lgkmcnt(0)
	v_fma_f64 v[11:12], v[31:32], v[33:34], v[11:12]
.LBB142_439:
	s_or_b64 exec, exec, s[16:17]
	v_xor_b32_e32 v12, 0x80000000, v12
.LBB142_440:
	s_or_b64 exec, exec, s[12:13]
	s_and_saveexec_b64 s[10:11], s[38:39]
	s_cbranch_execz .LBB142_442
; %bb.441:
	v_mov_b32_e32 v31, 0
	ds_read_b64 v[31:32], v31 offset:15600
	s_waitcnt lgkmcnt(0)
	v_mul_f64 v[11:12], v[11:12], v[31:32]
	ds_write_b64 v13, v[11:12]
.LBB142_442:
	s_or_b64 exec, exec, s[10:11]
	s_waitcnt lgkmcnt(0)
	s_barrier
	s_and_saveexec_b64 s[10:11], s[36:37]
	s_cbranch_execz .LBB142_444
; %bb.443:
	v_mov_b32_e32 v31, 0
	ds_read_b64 v[31:32], v31 offset:15608
	ds_read_b64 v[33:34], v13
	s_waitcnt lgkmcnt(0)
	v_fma_f64 v[11:12], v[31:32], v[33:34], v[11:12]
.LBB142_444:
	s_or_b64 exec, exec, s[10:11]
	s_barrier
	s_and_saveexec_b64 s[10:11], s[36:37]
	s_cbranch_execz .LBB142_446
; %bb.445:
	v_mov_b32_e32 v31, 0
	ds_read_b64 v[31:32], v31 offset:16120
	s_waitcnt lgkmcnt(0)
	v_mul_f64 v[11:12], v[11:12], v[31:32]
	ds_write_b64 v13, v[11:12]
.LBB142_446:
	s_or_b64 exec, exec, s[10:11]
	s_waitcnt lgkmcnt(0)
	s_barrier
	s_barrier
	s_and_saveexec_b64 s[10:11], s[0:1]
; %bb.447:
	v_xor_b32_e32 v12, 0x80000000, v12
	ds_write_b64 v1, v[11:12] offset:14576
; %bb.448:
	s_or_b64 exec, exec, s[10:11]
	s_waitcnt lgkmcnt(0)
	s_barrier
	s_barrier
	s_and_saveexec_b64 s[10:11], vcc
	s_cbranch_execz .LBB142_450
; %bb.449:
	v_mov_b32_e32 v35, 0
	ds_read_b128 v[31:34], v35 offset:15600
	ds_read_b64 v[11:12], v35 offset:16120
	s_waitcnt lgkmcnt(0)
	v_mul_f64 v[11:12], v[31:32], v[11:12]
	v_mul_f64 v[11:12], v[33:34], v[11:12]
	ds_write_b64 v35, v[11:12] offset:15608
.LBB142_450:
	s_or_b64 exec, exec, s[10:11]
	v_and_b32_e32 v32, 31, v0
	v_lshrrev_b32_e32 v33, 5, v14
	s_movk_i32 s10, 0x3ff
	v_lshlrev_b32_e32 v11, 3, v32
	v_cmp_lt_u32_e64 s[12:13], s10, v14
	s_movk_i32 s10, 0x400
	v_lshl_or_b32 v31, v33, 9, v11
	v_mov_b32_e32 v11, 0
	v_cmp_gt_u32_e64 s[10:11], s10, v14
	v_mov_b32_e32 v12, 0
	s_waitcnt lgkmcnt(0)
	s_barrier
	s_and_saveexec_b64 s[88:89], s[10:11]
	s_cbranch_execz .LBB142_512
; %bb.451:
	v_mul_u32_u24_e32 v34, 0x208, v33
	ds_read_b64 v[11:12], v31 offset:256
	ds_read_b64 v[35:36], v34
	s_movk_i32 s16, 0x3e0
	v_cmp_gt_u32_e64 s[16:17], s16, v14
	s_waitcnt lgkmcnt(0)
	v_fma_f64 v[11:12], v[11:12], v[35:36], 0
	s_and_saveexec_b64 s[90:91], s[16:17]
	s_cbranch_execz .LBB142_453
; %bb.452:
	ds_read_b64 v[35:36], v31 offset:768
	ds_read_b64 v[37:38], v34 offset:8
	s_waitcnt lgkmcnt(0)
	v_fma_f64 v[11:12], v[35:36], v[37:38], v[11:12]
.LBB142_453:
	s_or_b64 exec, exec, s[90:91]
	s_movk_i32 s16, 0x3c0
	v_cmp_gt_u32_e64 s[16:17], s16, v14
	s_and_saveexec_b64 s[90:91], s[16:17]
	s_cbranch_execz .LBB142_455
; %bb.454:
	ds_read_b64 v[35:36], v31 offset:1280
	ds_read_b64 v[37:38], v34 offset:16
	s_waitcnt lgkmcnt(0)
	v_fma_f64 v[11:12], v[35:36], v[37:38], v[11:12]
.LBB142_455:
	s_or_b64 exec, exec, s[90:91]
	s_movk_i32 s16, 0x3a0
	v_cmp_gt_u32_e64 s[16:17], s16, v14
	;; [unrolled: 11-line block ×28, first 2 shown]
	s_and_saveexec_b64 s[90:91], s[16:17]
	s_cbranch_execnz .LBB142_1060
; %bb.508:
	s_or_b64 exec, exec, s[90:91]
	v_cmp_gt_u32_e64 s[16:17], 64, v14
	s_and_saveexec_b64 s[90:91], s[16:17]
	s_cbranch_execnz .LBB142_1061
.LBB142_509:
	s_or_b64 exec, exec, s[90:91]
	v_cmp_gt_u32_e64 s[16:17], 32, v14
	s_and_saveexec_b64 s[90:91], s[16:17]
	s_cbranch_execz .LBB142_511
.LBB142_510:
	v_lshlrev_b32_e32 v34, 3, v0
	v_mov_b32_e32 v36, 0
	ds_read_b64 v[34:35], v34 offset:16128
	ds_read_b64 v[36:37], v36 offset:248
	s_waitcnt lgkmcnt(0)
	v_fma_f64 v[11:12], v[34:35], v[36:37], v[11:12]
.LBB142_511:
	s_or_b64 exec, exec, s[90:91]
	v_xor_b32_e32 v12, 0x80000000, v12
.LBB142_512:
	s_or_b64 exec, exec, s[88:89]
	v_mov_b32_e32 v34, 0x8000
	v_lshl_or_b32 v33, v33, 3, v34
	v_mul_u32_u24_e32 v34, 0x208, v32
	v_lshlrev_b32_e32 v35, 9, v32
	v_sub_u32_e32 v35, v34, v35
	v_add_u32_e32 v35, 0x4100, v35
	s_mov_b32 s88, 0
	s_xor_b64 s[16:17], s[12:13], -1
	v_mov_b32_e32 v36, v32
	s_branch .LBB142_514
.LBB142_513:                            ;   in Loop: Header=BB142_514 Depth=1
	s_or_b64 exec, exec, s[12:13]
	s_add_i32 s88, s88, 4
	v_add_u32_e32 v35, 0x800, v35
	s_cmp_eq_u32 s88, 32
	v_add_u32_e32 v36, -4, v36
	s_barrier
	s_cbranch_scc1 .LBB142_530
.LBB142_514:                            ; =>This Inner Loop Header: Depth=1
	v_cmp_eq_u32_e64 s[12:13], 0, v36
	s_and_b64 s[90:91], s[16:17], s[12:13]
	s_and_saveexec_b64 s[12:13], s[90:91]
	s_cbranch_execz .LBB142_516
; %bb.515:                              ;   in Loop: Header=BB142_514 Depth=1
	ds_read_b64 v[37:38], v34 offset:16640
	s_waitcnt lgkmcnt(0)
	v_mul_f64 v[11:12], v[11:12], v[37:38]
	ds_write_b64 v33, v[11:12]
.LBB142_516:                            ;   in Loop: Header=BB142_514 Depth=1
	s_or_b64 exec, exec, s[12:13]
	v_cmp_lt_u32_e64 s[12:13], s88, v32
	s_and_b64 s[90:91], s[16:17], s[12:13]
	s_waitcnt lgkmcnt(0)
	s_barrier
	s_and_saveexec_b64 s[12:13], s[90:91]
	s_cbranch_execz .LBB142_518
; %bb.517:                              ;   in Loop: Header=BB142_514 Depth=1
	ds_read_b64 v[37:38], v35
	ds_read_b64 v[39:40], v33
	s_waitcnt lgkmcnt(0)
	v_fma_f64 v[11:12], v[37:38], v[39:40], v[11:12]
.LBB142_518:                            ;   in Loop: Header=BB142_514 Depth=1
	s_or_b64 exec, exec, s[12:13]
	s_or_b32 s89, s88, 1
	v_cmp_eq_u32_e64 s[12:13], s89, v32
	s_and_b64 s[90:91], s[16:17], s[12:13]
	s_barrier
	s_and_saveexec_b64 s[12:13], s[90:91]
	s_cbranch_execz .LBB142_520
; %bb.519:                              ;   in Loop: Header=BB142_514 Depth=1
	ds_read_b64 v[37:38], v34 offset:16640
	s_waitcnt lgkmcnt(0)
	v_mul_f64 v[11:12], v[11:12], v[37:38]
	ds_write_b64 v33, v[11:12]
.LBB142_520:                            ;   in Loop: Header=BB142_514 Depth=1
	s_or_b64 exec, exec, s[12:13]
	v_cmp_lt_u32_e64 s[12:13], s89, v32
	s_and_b64 s[90:91], s[16:17], s[12:13]
	s_waitcnt lgkmcnt(0)
	s_barrier
	s_and_saveexec_b64 s[12:13], s[90:91]
	s_cbranch_execz .LBB142_522
; %bb.521:                              ;   in Loop: Header=BB142_514 Depth=1
	ds_read_b64 v[37:38], v35 offset:512
	ds_read_b64 v[39:40], v33
	s_waitcnt lgkmcnt(0)
	v_fma_f64 v[11:12], v[37:38], v[39:40], v[11:12]
.LBB142_522:                            ;   in Loop: Header=BB142_514 Depth=1
	s_or_b64 exec, exec, s[12:13]
	s_or_b32 s89, s88, 2
	v_cmp_eq_u32_e64 s[12:13], s89, v32
	s_and_b64 s[90:91], s[16:17], s[12:13]
	s_barrier
	s_and_saveexec_b64 s[12:13], s[90:91]
	s_cbranch_execz .LBB142_524
; %bb.523:                              ;   in Loop: Header=BB142_514 Depth=1
	ds_read_b64 v[37:38], v34 offset:16640
	s_waitcnt lgkmcnt(0)
	v_mul_f64 v[11:12], v[11:12], v[37:38]
	ds_write_b64 v33, v[11:12]
.LBB142_524:                            ;   in Loop: Header=BB142_514 Depth=1
	s_or_b64 exec, exec, s[12:13]
	v_cmp_lt_u32_e64 s[12:13], s89, v32
	s_and_b64 s[90:91], s[16:17], s[12:13]
	s_waitcnt lgkmcnt(0)
	s_barrier
	s_and_saveexec_b64 s[12:13], s[90:91]
	s_cbranch_execz .LBB142_526
; %bb.525:                              ;   in Loop: Header=BB142_514 Depth=1
	ds_read_b64 v[37:38], v35 offset:1024
	ds_read_b64 v[39:40], v33
	s_waitcnt lgkmcnt(0)
	v_fma_f64 v[11:12], v[37:38], v[39:40], v[11:12]
.LBB142_526:                            ;   in Loop: Header=BB142_514 Depth=1
	s_or_b64 exec, exec, s[12:13]
	s_or_b32 s89, s88, 3
	v_cmp_eq_u32_e64 s[12:13], s89, v32
	s_and_b64 s[90:91], s[16:17], s[12:13]
	s_barrier
	s_and_saveexec_b64 s[12:13], s[90:91]
	s_cbranch_execz .LBB142_528
; %bb.527:                              ;   in Loop: Header=BB142_514 Depth=1
	ds_read_b64 v[37:38], v34 offset:16640
	s_waitcnt lgkmcnt(0)
	v_mul_f64 v[11:12], v[11:12], v[37:38]
	ds_write_b64 v33, v[11:12]
.LBB142_528:                            ;   in Loop: Header=BB142_514 Depth=1
	s_or_b64 exec, exec, s[12:13]
	v_cmp_lt_u32_e64 s[12:13], s89, v32
	s_and_b64 s[90:91], s[16:17], s[12:13]
	s_waitcnt lgkmcnt(0)
	s_barrier
	s_and_saveexec_b64 s[12:13], s[90:91]
	s_cbranch_execz .LBB142_513
; %bb.529:                              ;   in Loop: Header=BB142_514 Depth=1
	ds_read_b64 v[37:38], v35 offset:1536
	ds_read_b64 v[39:40], v33
	s_waitcnt lgkmcnt(0)
	v_fma_f64 v[11:12], v[37:38], v[39:40], v[11:12]
	s_branch .LBB142_513
.LBB142_530:
	s_and_saveexec_b64 s[12:13], s[10:11]
; %bb.531:
	v_xor_b32_e32 v12, 0x80000000, v12
	ds_write_b64 v31, v[11:12] offset:256
; %bb.532:
	s_or_b64 exec, exec, s[12:13]
	s_waitcnt lgkmcnt(0)
	s_barrier
	s_barrier
	s_and_saveexec_b64 s[10:11], vcc
	s_cbranch_execz .LBB142_534
; %bb.533:
	v_mov_b32_e32 v35, 0
	ds_read_b128 v[31:34], v35 offset:16640
	ds_read_b64 v[11:12], v35 offset:17160
	s_waitcnt lgkmcnt(0)
	v_mul_f64 v[11:12], v[31:32], v[11:12]
	v_mul_f64 v[11:12], v[33:34], v[11:12]
	ds_write_b64 v35, v[11:12] offset:16648
.LBB142_534:
	s_or_b64 exec, exec, s[10:11]
	v_mov_b32_e32 v11, 0
	v_mov_b32_e32 v12, 0
	s_waitcnt lgkmcnt(0)
	s_barrier
	s_and_saveexec_b64 s[12:13], s[0:1]
	s_cbranch_execz .LBB142_538
; %bb.535:
	v_mul_u32_u24_e32 v31, 0x208, v15
	ds_read_b64 v[11:12], v1 offset:16656
	ds_read_b64 v[31:32], v31 offset:16640
	v_cmp_gt_u32_e64 s[10:11], 2, v14
	s_waitcnt lgkmcnt(0)
	v_fma_f64 v[11:12], v[11:12], v[31:32], 0
	s_and_saveexec_b64 s[16:17], s[10:11]
	s_cbranch_execz .LBB142_537
; %bb.536:
	v_lshlrev_b32_e32 v31, 3, v0
	v_mov_b32_e32 v33, 0
	ds_read_b64 v[31:32], v31 offset:17168
	ds_read_b64 v[33:34], v33 offset:16648
	s_waitcnt lgkmcnt(0)
	v_fma_f64 v[11:12], v[31:32], v[33:34], v[11:12]
.LBB142_537:
	s_or_b64 exec, exec, s[16:17]
	v_xor_b32_e32 v12, 0x80000000, v12
.LBB142_538:
	s_or_b64 exec, exec, s[12:13]
	s_and_saveexec_b64 s[10:11], s[38:39]
	s_cbranch_execz .LBB142_540
; %bb.539:
	v_mov_b32_e32 v31, 0
	ds_read_b64 v[31:32], v31 offset:17680
	s_waitcnt lgkmcnt(0)
	v_mul_f64 v[11:12], v[11:12], v[31:32]
	ds_write_b64 v13, v[11:12]
.LBB142_540:
	s_or_b64 exec, exec, s[10:11]
	s_waitcnt lgkmcnt(0)
	s_barrier
	s_and_saveexec_b64 s[10:11], s[36:37]
	s_cbranch_execz .LBB142_542
; %bb.541:
	v_mov_b32_e32 v31, 0
	ds_read_b64 v[31:32], v31 offset:17688
	ds_read_b64 v[33:34], v13
	s_waitcnt lgkmcnt(0)
	v_fma_f64 v[11:12], v[31:32], v[33:34], v[11:12]
.LBB142_542:
	s_or_b64 exec, exec, s[10:11]
	s_barrier
	s_and_saveexec_b64 s[10:11], s[36:37]
	s_cbranch_execz .LBB142_544
; %bb.543:
	v_mov_b32_e32 v31, 0
	ds_read_b64 v[31:32], v31 offset:18200
	s_waitcnt lgkmcnt(0)
	v_mul_f64 v[11:12], v[11:12], v[31:32]
	ds_write_b64 v13, v[11:12]
.LBB142_544:
	s_or_b64 exec, exec, s[10:11]
	s_waitcnt lgkmcnt(0)
	s_barrier
	s_barrier
	s_and_saveexec_b64 s[10:11], s[0:1]
; %bb.545:
	v_xor_b32_e32 v12, 0x80000000, v12
	ds_write_b64 v1, v[11:12] offset:16656
; %bb.546:
	s_or_b64 exec, exec, s[10:11]
	s_waitcnt lgkmcnt(0)
	s_barrier
	s_barrier
	s_and_saveexec_b64 s[10:11], vcc
	s_cbranch_execz .LBB142_548
; %bb.547:
	v_mov_b32_e32 v35, 0
	ds_read_b128 v[31:34], v35 offset:17680
	ds_read_b64 v[11:12], v35 offset:18200
	s_waitcnt lgkmcnt(0)
	v_mul_f64 v[11:12], v[31:32], v[11:12]
	v_mul_f64 v[11:12], v[33:34], v[11:12]
	ds_write_b64 v35, v[11:12] offset:17688
.LBB142_548:
	s_or_b64 exec, exec, s[10:11]
	v_mov_b32_e32 v11, 0
	v_mov_b32_e32 v12, 0
	s_waitcnt lgkmcnt(0)
	s_barrier
	s_and_saveexec_b64 s[12:13], s[2:3]
	s_cbranch_execz .LBB142_554
; %bb.549:
	v_mul_u32_u24_e32 v31, 0x208, v20
	ds_read_b64 v[11:12], v16 offset:16672
	ds_read_b64 v[32:33], v31 offset:16640
	v_cmp_gt_u32_e64 s[10:11], 12, v14
	s_waitcnt lgkmcnt(0)
	v_fma_f64 v[11:12], v[11:12], v[32:33], 0
	s_and_saveexec_b64 s[16:17], s[10:11]
	s_cbranch_execnz .LBB142_1062
; %bb.550:
	s_or_b64 exec, exec, s[16:17]
	v_cmp_gt_u32_e64 s[10:11], 8, v14
	s_and_saveexec_b64 s[16:17], s[10:11]
	s_cbranch_execnz .LBB142_1063
.LBB142_551:
	s_or_b64 exec, exec, s[16:17]
	v_cmp_gt_u32_e64 s[10:11], 4, v14
	s_and_saveexec_b64 s[16:17], s[10:11]
	s_cbranch_execz .LBB142_553
.LBB142_552:
	v_lshlrev_b32_e32 v31, 3, v0
	v_mov_b32_e32 v33, 0
	ds_read_b64 v[31:32], v31 offset:18208
	ds_read_b64 v[33:34], v33 offset:16664
	s_waitcnt lgkmcnt(0)
	v_fma_f64 v[11:12], v[31:32], v[33:34], v[11:12]
.LBB142_553:
	s_or_b64 exec, exec, s[16:17]
	v_xor_b32_e32 v12, 0x80000000, v12
.LBB142_554:
	s_or_b64 exec, exec, s[12:13]
	s_and_saveexec_b64 s[10:11], s[42:43]
	s_cbranch_execz .LBB142_556
; %bb.555:
	v_mov_b32_e32 v31, 0
	ds_read_b64 v[31:32], v31 offset:18720
	s_waitcnt lgkmcnt(0)
	v_mul_f64 v[11:12], v[11:12], v[31:32]
	ds_write_b64 v18, v[11:12]
.LBB142_556:
	s_or_b64 exec, exec, s[10:11]
	s_waitcnt lgkmcnt(0)
	s_barrier
	s_and_saveexec_b64 s[10:11], s[44:45]
	s_cbranch_execz .LBB142_558
; %bb.557:
	ds_read_b64 v[31:32], v17 offset:18720
	ds_read_b64 v[33:34], v18
	s_waitcnt lgkmcnt(0)
	v_fma_f64 v[11:12], v[31:32], v[33:34], v[11:12]
.LBB142_558:
	s_or_b64 exec, exec, s[10:11]
	s_barrier
	s_and_saveexec_b64 s[10:11], s[46:47]
	s_cbranch_execz .LBB142_560
; %bb.559:
	v_mov_b32_e32 v31, 0
	ds_read_b64 v[31:32], v31 offset:19240
	s_waitcnt lgkmcnt(0)
	v_mul_f64 v[11:12], v[11:12], v[31:32]
	ds_write_b64 v18, v[11:12]
.LBB142_560:
	s_or_b64 exec, exec, s[10:11]
	s_waitcnt lgkmcnt(0)
	s_barrier
	s_and_saveexec_b64 s[10:11], s[48:49]
	s_cbranch_execz .LBB142_562
; %bb.561:
	ds_read_b64 v[31:32], v17 offset:19232
	ds_read_b64 v[33:34], v18
	s_waitcnt lgkmcnt(0)
	v_fma_f64 v[11:12], v[31:32], v[33:34], v[11:12]
.LBB142_562:
	s_or_b64 exec, exec, s[10:11]
	s_barrier
	s_and_saveexec_b64 s[10:11], s[50:51]
	s_cbranch_execz .LBB142_564
; %bb.563:
	v_mov_b32_e32 v31, 0
	ds_read_b64 v[31:32], v31 offset:19760
	s_waitcnt lgkmcnt(0)
	v_mul_f64 v[11:12], v[11:12], v[31:32]
	ds_write_b64 v18, v[11:12]
.LBB142_564:
	s_or_b64 exec, exec, s[10:11]
	s_waitcnt lgkmcnt(0)
	s_barrier
	s_and_saveexec_b64 s[10:11], s[40:41]
	s_cbranch_execz .LBB142_566
; %bb.565:
	v_mov_b32_e32 v31, 0
	ds_read_b64 v[31:32], v31 offset:19768
	ds_read_b64 v[33:34], v18
	s_waitcnt lgkmcnt(0)
	v_fma_f64 v[11:12], v[31:32], v[33:34], v[11:12]
.LBB142_566:
	s_or_b64 exec, exec, s[10:11]
	s_barrier
	s_and_saveexec_b64 s[10:11], s[40:41]
	s_cbranch_execz .LBB142_568
; %bb.567:
	v_mov_b32_e32 v31, 0
	ds_read_b64 v[31:32], v31 offset:20280
	s_waitcnt lgkmcnt(0)
	v_mul_f64 v[11:12], v[11:12], v[31:32]
	ds_write_b64 v18, v[11:12]
.LBB142_568:
	s_or_b64 exec, exec, s[10:11]
	s_waitcnt lgkmcnt(0)
	s_barrier
	s_barrier
	s_and_saveexec_b64 s[10:11], s[2:3]
; %bb.569:
	v_xor_b32_e32 v12, 0x80000000, v12
	ds_write_b64 v16, v[11:12] offset:16672
; %bb.570:
	s_or_b64 exec, exec, s[10:11]
	s_waitcnt lgkmcnt(0)
	s_barrier
	s_barrier
	s_and_saveexec_b64 s[10:11], vcc
	s_cbranch_execz .LBB142_572
; %bb.571:
	v_mov_b32_e32 v35, 0
	ds_read_b128 v[31:34], v35 offset:18720
	ds_read_b64 v[11:12], v35 offset:19240
	s_waitcnt lgkmcnt(0)
	v_mul_f64 v[11:12], v[31:32], v[11:12]
	v_mul_f64 v[11:12], v[33:34], v[11:12]
	ds_write_b64 v35, v[11:12] offset:18728
.LBB142_572:
	s_or_b64 exec, exec, s[10:11]
	v_mov_b32_e32 v11, 0
	v_mov_b32_e32 v12, 0
	s_waitcnt lgkmcnt(0)
	s_barrier
	s_and_saveexec_b64 s[12:13], s[0:1]
	s_cbranch_execz .LBB142_576
; %bb.573:
	v_mul_u32_u24_e32 v31, 0x208, v15
	ds_read_b64 v[11:12], v1 offset:18736
	ds_read_b64 v[31:32], v31 offset:18720
	v_cmp_gt_u32_e64 s[10:11], 2, v14
	s_waitcnt lgkmcnt(0)
	v_fma_f64 v[11:12], v[11:12], v[31:32], 0
	s_and_saveexec_b64 s[16:17], s[10:11]
	s_cbranch_execz .LBB142_575
; %bb.574:
	v_lshlrev_b32_e32 v31, 3, v0
	v_mov_b32_e32 v33, 0
	ds_read_b64 v[31:32], v31 offset:19248
	ds_read_b64 v[33:34], v33 offset:18728
	s_waitcnt lgkmcnt(0)
	v_fma_f64 v[11:12], v[31:32], v[33:34], v[11:12]
.LBB142_575:
	s_or_b64 exec, exec, s[16:17]
	v_xor_b32_e32 v12, 0x80000000, v12
.LBB142_576:
	s_or_b64 exec, exec, s[12:13]
	s_and_saveexec_b64 s[10:11], s[38:39]
	s_cbranch_execz .LBB142_578
; %bb.577:
	v_mov_b32_e32 v31, 0
	ds_read_b64 v[31:32], v31 offset:19760
	s_waitcnt lgkmcnt(0)
	v_mul_f64 v[11:12], v[11:12], v[31:32]
	ds_write_b64 v13, v[11:12]
.LBB142_578:
	s_or_b64 exec, exec, s[10:11]
	s_waitcnt lgkmcnt(0)
	s_barrier
	s_and_saveexec_b64 s[10:11], s[36:37]
	s_cbranch_execz .LBB142_580
; %bb.579:
	v_mov_b32_e32 v31, 0
	ds_read_b64 v[31:32], v31 offset:19768
	ds_read_b64 v[33:34], v13
	s_waitcnt lgkmcnt(0)
	v_fma_f64 v[11:12], v[31:32], v[33:34], v[11:12]
.LBB142_580:
	s_or_b64 exec, exec, s[10:11]
	s_barrier
	s_and_saveexec_b64 s[10:11], s[36:37]
	s_cbranch_execz .LBB142_582
; %bb.581:
	v_mov_b32_e32 v31, 0
	ds_read_b64 v[31:32], v31 offset:20280
	s_waitcnt lgkmcnt(0)
	v_mul_f64 v[11:12], v[11:12], v[31:32]
	ds_write_b64 v13, v[11:12]
.LBB142_582:
	s_or_b64 exec, exec, s[10:11]
	s_waitcnt lgkmcnt(0)
	s_barrier
	s_barrier
	s_and_saveexec_b64 s[10:11], s[0:1]
; %bb.583:
	v_xor_b32_e32 v12, 0x80000000, v12
	ds_write_b64 v1, v[11:12] offset:18736
; %bb.584:
	s_or_b64 exec, exec, s[10:11]
	s_waitcnt lgkmcnt(0)
	s_barrier
	s_barrier
	s_and_saveexec_b64 s[10:11], vcc
	s_cbranch_execz .LBB142_586
; %bb.585:
	v_mov_b32_e32 v35, 0
	ds_read_b128 v[31:34], v35 offset:19760
	ds_read_b64 v[11:12], v35 offset:20280
	s_waitcnt lgkmcnt(0)
	v_mul_f64 v[11:12], v[31:32], v[11:12]
	v_mul_f64 v[11:12], v[33:34], v[11:12]
	ds_write_b64 v35, v[11:12] offset:19768
.LBB142_586:
	s_or_b64 exec, exec, s[10:11]
	v_mov_b32_e32 v11, 0
	v_mov_b32_e32 v12, 0
	s_waitcnt lgkmcnt(0)
	s_barrier
	s_and_saveexec_b64 s[12:13], s[14:15]
	s_cbranch_execz .LBB142_596
; %bb.587:
	v_mul_u32_u24_e32 v31, 0x208, v25
	ds_read_b64 v[11:12], v21 offset:16704
	ds_read_b64 v[32:33], v31 offset:16640
	v_cmp_gt_u32_e64 s[10:11], 56, v14
	s_waitcnt lgkmcnt(0)
	v_fma_f64 v[11:12], v[11:12], v[32:33], 0
	s_and_saveexec_b64 s[16:17], s[10:11]
	s_cbranch_execnz .LBB142_1064
; %bb.588:
	s_or_b64 exec, exec, s[16:17]
	v_cmp_gt_u32_e64 s[10:11], 48, v14
	s_and_saveexec_b64 s[16:17], s[10:11]
	s_cbranch_execnz .LBB142_1065
.LBB142_589:
	s_or_b64 exec, exec, s[16:17]
	v_cmp_gt_u32_e64 s[10:11], 40, v14
	s_and_saveexec_b64 s[16:17], s[10:11]
	s_cbranch_execnz .LBB142_1066
.LBB142_590:
	s_or_b64 exec, exec, s[16:17]
	v_cmp_gt_u32_e64 s[10:11], 32, v14
	s_and_saveexec_b64 s[16:17], s[10:11]
	s_cbranch_execnz .LBB142_1067
.LBB142_591:
	s_or_b64 exec, exec, s[16:17]
	v_cmp_gt_u32_e64 s[10:11], 24, v14
	s_and_saveexec_b64 s[16:17], s[10:11]
	s_cbranch_execnz .LBB142_1068
.LBB142_592:
	s_or_b64 exec, exec, s[16:17]
	v_cmp_gt_u32_e64 s[10:11], 16, v14
	s_and_saveexec_b64 s[16:17], s[10:11]
	s_cbranch_execnz .LBB142_1069
.LBB142_593:
	s_or_b64 exec, exec, s[16:17]
	v_cmp_gt_u32_e64 s[10:11], 8, v14
	s_and_saveexec_b64 s[16:17], s[10:11]
	s_cbranch_execz .LBB142_595
.LBB142_594:
	v_lshlrev_b32_e32 v31, 3, v0
	v_mov_b32_e32 v33, 0
	ds_read_b64 v[31:32], v31 offset:20288
	ds_read_b64 v[33:34], v33 offset:16696
	s_waitcnt lgkmcnt(0)
	v_fma_f64 v[11:12], v[31:32], v[33:34], v[11:12]
.LBB142_595:
	s_or_b64 exec, exec, s[16:17]
	v_xor_b32_e32 v12, 0x80000000, v12
.LBB142_596:
	s_or_b64 exec, exec, s[12:13]
	s_and_saveexec_b64 s[10:11], s[52:53]
	s_cbranch_execz .LBB142_598
; %bb.597:
	v_mov_b32_e32 v31, 0
	ds_read_b64 v[31:32], v31 offset:20800
	s_waitcnt lgkmcnt(0)
	v_mul_f64 v[11:12], v[11:12], v[31:32]
	ds_write_b64 v23, v[11:12]
.LBB142_598:
	s_or_b64 exec, exec, s[10:11]
	s_waitcnt lgkmcnt(0)
	s_barrier
	s_and_saveexec_b64 s[10:11], s[54:55]
	s_cbranch_execz .LBB142_600
; %bb.599:
	ds_read_b64 v[31:32], v22 offset:20800
	ds_read_b64 v[33:34], v23
	s_waitcnt lgkmcnt(0)
	v_fma_f64 v[11:12], v[31:32], v[33:34], v[11:12]
.LBB142_600:
	s_or_b64 exec, exec, s[10:11]
	s_barrier
	s_and_saveexec_b64 s[10:11], s[56:57]
	s_cbranch_execz .LBB142_602
; %bb.601:
	v_mov_b32_e32 v31, 0
	ds_read_b64 v[31:32], v31 offset:21320
	s_waitcnt lgkmcnt(0)
	v_mul_f64 v[11:12], v[11:12], v[31:32]
	ds_write_b64 v23, v[11:12]
.LBB142_602:
	s_or_b64 exec, exec, s[10:11]
	s_waitcnt lgkmcnt(0)
	s_barrier
	s_and_saveexec_b64 s[10:11], s[58:59]
	s_cbranch_execz .LBB142_604
; %bb.603:
	ds_read_b64 v[31:32], v22 offset:21312
	ds_read_b64 v[33:34], v23
	s_waitcnt lgkmcnt(0)
	v_fma_f64 v[11:12], v[31:32], v[33:34], v[11:12]
.LBB142_604:
	s_or_b64 exec, exec, s[10:11]
	s_barrier
	;; [unrolled: 22-line block ×6, first 2 shown]
	s_and_saveexec_b64 s[10:11], s[78:79]
	s_cbranch_execz .LBB142_622
; %bb.621:
	v_mov_b32_e32 v31, 0
	ds_read_b64 v[31:32], v31 offset:23920
	s_waitcnt lgkmcnt(0)
	v_mul_f64 v[11:12], v[11:12], v[31:32]
	ds_write_b64 v23, v[11:12]
.LBB142_622:
	s_or_b64 exec, exec, s[10:11]
	s_waitcnt lgkmcnt(0)
	s_barrier
	s_and_saveexec_b64 s[10:11], s[62:63]
	s_cbranch_execz .LBB142_624
; %bb.623:
	v_mov_b32_e32 v31, 0
	ds_read_b64 v[31:32], v31 offset:23928
	ds_read_b64 v[33:34], v23
	s_waitcnt lgkmcnt(0)
	v_fma_f64 v[11:12], v[31:32], v[33:34], v[11:12]
.LBB142_624:
	s_or_b64 exec, exec, s[10:11]
	s_barrier
	s_and_saveexec_b64 s[10:11], s[62:63]
	s_cbranch_execz .LBB142_626
; %bb.625:
	v_mov_b32_e32 v31, 0
	ds_read_b64 v[31:32], v31 offset:24440
	s_waitcnt lgkmcnt(0)
	v_mul_f64 v[11:12], v[11:12], v[31:32]
	ds_write_b64 v23, v[11:12]
.LBB142_626:
	s_or_b64 exec, exec, s[10:11]
	s_waitcnt lgkmcnt(0)
	s_barrier
	s_barrier
	s_and_saveexec_b64 s[10:11], s[14:15]
; %bb.627:
	v_xor_b32_e32 v12, 0x80000000, v12
	ds_write_b64 v21, v[11:12] offset:16704
; %bb.628:
	s_or_b64 exec, exec, s[10:11]
	s_waitcnt lgkmcnt(0)
	s_barrier
	s_barrier
	s_and_saveexec_b64 s[10:11], vcc
	s_cbranch_execz .LBB142_630
; %bb.629:
	v_mov_b32_e32 v35, 0
	ds_read_b128 v[31:34], v35 offset:20800
	ds_read_b64 v[11:12], v35 offset:21320
	s_waitcnt lgkmcnt(0)
	v_mul_f64 v[11:12], v[31:32], v[11:12]
	v_mul_f64 v[11:12], v[33:34], v[11:12]
	ds_write_b64 v35, v[11:12] offset:20808
.LBB142_630:
	s_or_b64 exec, exec, s[10:11]
	v_mov_b32_e32 v11, 0
	v_mov_b32_e32 v12, 0
	s_waitcnt lgkmcnt(0)
	s_barrier
	s_and_saveexec_b64 s[12:13], s[0:1]
	s_cbranch_execz .LBB142_634
; %bb.631:
	v_mul_u32_u24_e32 v31, 0x208, v15
	ds_read_b64 v[11:12], v1 offset:20816
	ds_read_b64 v[31:32], v31 offset:20800
	v_cmp_gt_u32_e64 s[10:11], 2, v14
	s_waitcnt lgkmcnt(0)
	v_fma_f64 v[11:12], v[11:12], v[31:32], 0
	s_and_saveexec_b64 s[16:17], s[10:11]
	s_cbranch_execz .LBB142_633
; %bb.632:
	v_lshlrev_b32_e32 v31, 3, v0
	v_mov_b32_e32 v33, 0
	ds_read_b64 v[31:32], v31 offset:21328
	ds_read_b64 v[33:34], v33 offset:20808
	s_waitcnt lgkmcnt(0)
	v_fma_f64 v[11:12], v[31:32], v[33:34], v[11:12]
.LBB142_633:
	s_or_b64 exec, exec, s[16:17]
	v_xor_b32_e32 v12, 0x80000000, v12
.LBB142_634:
	s_or_b64 exec, exec, s[12:13]
	s_and_saveexec_b64 s[10:11], s[38:39]
	s_cbranch_execz .LBB142_636
; %bb.635:
	v_mov_b32_e32 v31, 0
	ds_read_b64 v[31:32], v31 offset:21840
	s_waitcnt lgkmcnt(0)
	v_mul_f64 v[11:12], v[11:12], v[31:32]
	ds_write_b64 v13, v[11:12]
.LBB142_636:
	s_or_b64 exec, exec, s[10:11]
	s_waitcnt lgkmcnt(0)
	s_barrier
	s_and_saveexec_b64 s[10:11], s[36:37]
	s_cbranch_execz .LBB142_638
; %bb.637:
	v_mov_b32_e32 v31, 0
	ds_read_b64 v[31:32], v31 offset:21848
	ds_read_b64 v[33:34], v13
	s_waitcnt lgkmcnt(0)
	v_fma_f64 v[11:12], v[31:32], v[33:34], v[11:12]
.LBB142_638:
	s_or_b64 exec, exec, s[10:11]
	s_barrier
	s_and_saveexec_b64 s[10:11], s[36:37]
	s_cbranch_execz .LBB142_640
; %bb.639:
	v_mov_b32_e32 v31, 0
	ds_read_b64 v[31:32], v31 offset:22360
	s_waitcnt lgkmcnt(0)
	v_mul_f64 v[11:12], v[11:12], v[31:32]
	ds_write_b64 v13, v[11:12]
.LBB142_640:
	s_or_b64 exec, exec, s[10:11]
	s_waitcnt lgkmcnt(0)
	s_barrier
	s_barrier
	s_and_saveexec_b64 s[10:11], s[0:1]
; %bb.641:
	v_xor_b32_e32 v12, 0x80000000, v12
	ds_write_b64 v1, v[11:12] offset:20816
; %bb.642:
	s_or_b64 exec, exec, s[10:11]
	s_waitcnt lgkmcnt(0)
	s_barrier
	s_barrier
	s_and_saveexec_b64 s[10:11], vcc
	s_cbranch_execz .LBB142_644
; %bb.643:
	v_mov_b32_e32 v35, 0
	ds_read_b128 v[31:34], v35 offset:21840
	ds_read_b64 v[11:12], v35 offset:22360
	s_waitcnt lgkmcnt(0)
	v_mul_f64 v[11:12], v[31:32], v[11:12]
	v_mul_f64 v[11:12], v[33:34], v[11:12]
	ds_write_b64 v35, v[11:12] offset:21848
.LBB142_644:
	s_or_b64 exec, exec, s[10:11]
	v_mov_b32_e32 v11, 0
	v_mov_b32_e32 v12, 0
	s_waitcnt lgkmcnt(0)
	s_barrier
	s_and_saveexec_b64 s[12:13], s[2:3]
	s_cbranch_execz .LBB142_650
; %bb.645:
	v_mul_u32_u24_e32 v31, 0x208, v20
	ds_read_b64 v[11:12], v16 offset:20832
	ds_read_b64 v[32:33], v31 offset:20800
	v_cmp_gt_u32_e64 s[10:11], 12, v14
	s_waitcnt lgkmcnt(0)
	v_fma_f64 v[11:12], v[11:12], v[32:33], 0
	s_and_saveexec_b64 s[16:17], s[10:11]
	s_cbranch_execnz .LBB142_1070
; %bb.646:
	s_or_b64 exec, exec, s[16:17]
	v_cmp_gt_u32_e64 s[10:11], 8, v14
	s_and_saveexec_b64 s[16:17], s[10:11]
	s_cbranch_execnz .LBB142_1071
.LBB142_647:
	s_or_b64 exec, exec, s[16:17]
	v_cmp_gt_u32_e64 s[10:11], 4, v14
	s_and_saveexec_b64 s[16:17], s[10:11]
	s_cbranch_execz .LBB142_649
.LBB142_648:
	v_lshlrev_b32_e32 v31, 3, v0
	v_mov_b32_e32 v33, 0
	ds_read_b64 v[31:32], v31 offset:22368
	ds_read_b64 v[33:34], v33 offset:20824
	s_waitcnt lgkmcnt(0)
	v_fma_f64 v[11:12], v[31:32], v[33:34], v[11:12]
.LBB142_649:
	s_or_b64 exec, exec, s[16:17]
	v_xor_b32_e32 v12, 0x80000000, v12
.LBB142_650:
	s_or_b64 exec, exec, s[12:13]
	s_and_saveexec_b64 s[10:11], s[42:43]
	s_cbranch_execz .LBB142_652
; %bb.651:
	v_mov_b32_e32 v31, 0
	ds_read_b64 v[31:32], v31 offset:22880
	s_waitcnt lgkmcnt(0)
	v_mul_f64 v[11:12], v[11:12], v[31:32]
	ds_write_b64 v18, v[11:12]
.LBB142_652:
	s_or_b64 exec, exec, s[10:11]
	s_waitcnt lgkmcnt(0)
	s_barrier
	s_and_saveexec_b64 s[10:11], s[44:45]
	s_cbranch_execz .LBB142_654
; %bb.653:
	ds_read_b64 v[31:32], v17 offset:22880
	ds_read_b64 v[33:34], v18
	s_waitcnt lgkmcnt(0)
	v_fma_f64 v[11:12], v[31:32], v[33:34], v[11:12]
.LBB142_654:
	s_or_b64 exec, exec, s[10:11]
	s_barrier
	s_and_saveexec_b64 s[10:11], s[46:47]
	s_cbranch_execz .LBB142_656
; %bb.655:
	v_mov_b32_e32 v31, 0
	ds_read_b64 v[31:32], v31 offset:23400
	s_waitcnt lgkmcnt(0)
	v_mul_f64 v[11:12], v[11:12], v[31:32]
	ds_write_b64 v18, v[11:12]
.LBB142_656:
	s_or_b64 exec, exec, s[10:11]
	s_waitcnt lgkmcnt(0)
	s_barrier
	s_and_saveexec_b64 s[10:11], s[48:49]
	s_cbranch_execz .LBB142_658
; %bb.657:
	ds_read_b64 v[31:32], v17 offset:23392
	ds_read_b64 v[33:34], v18
	s_waitcnt lgkmcnt(0)
	v_fma_f64 v[11:12], v[31:32], v[33:34], v[11:12]
.LBB142_658:
	s_or_b64 exec, exec, s[10:11]
	s_barrier
	s_and_saveexec_b64 s[10:11], s[50:51]
	s_cbranch_execz .LBB142_660
; %bb.659:
	v_mov_b32_e32 v31, 0
	ds_read_b64 v[31:32], v31 offset:23920
	s_waitcnt lgkmcnt(0)
	v_mul_f64 v[11:12], v[11:12], v[31:32]
	ds_write_b64 v18, v[11:12]
.LBB142_660:
	s_or_b64 exec, exec, s[10:11]
	s_waitcnt lgkmcnt(0)
	s_barrier
	s_and_saveexec_b64 s[10:11], s[40:41]
	s_cbranch_execz .LBB142_662
; %bb.661:
	v_mov_b32_e32 v31, 0
	ds_read_b64 v[31:32], v31 offset:23928
	ds_read_b64 v[33:34], v18
	s_waitcnt lgkmcnt(0)
	v_fma_f64 v[11:12], v[31:32], v[33:34], v[11:12]
.LBB142_662:
	s_or_b64 exec, exec, s[10:11]
	s_barrier
	s_and_saveexec_b64 s[10:11], s[40:41]
	s_cbranch_execz .LBB142_664
; %bb.663:
	v_mov_b32_e32 v31, 0
	ds_read_b64 v[31:32], v31 offset:24440
	s_waitcnt lgkmcnt(0)
	v_mul_f64 v[11:12], v[11:12], v[31:32]
	ds_write_b64 v18, v[11:12]
.LBB142_664:
	s_or_b64 exec, exec, s[10:11]
	s_waitcnt lgkmcnt(0)
	s_barrier
	s_barrier
	s_and_saveexec_b64 s[10:11], s[2:3]
; %bb.665:
	v_xor_b32_e32 v12, 0x80000000, v12
	ds_write_b64 v16, v[11:12] offset:20832
; %bb.666:
	s_or_b64 exec, exec, s[10:11]
	s_waitcnt lgkmcnt(0)
	s_barrier
	s_barrier
	s_and_saveexec_b64 s[10:11], vcc
	s_cbranch_execz .LBB142_668
; %bb.667:
	v_mov_b32_e32 v35, 0
	ds_read_b128 v[31:34], v35 offset:22880
	ds_read_b64 v[11:12], v35 offset:23400
	s_waitcnt lgkmcnt(0)
	v_mul_f64 v[11:12], v[31:32], v[11:12]
	v_mul_f64 v[11:12], v[33:34], v[11:12]
	ds_write_b64 v35, v[11:12] offset:22888
.LBB142_668:
	s_or_b64 exec, exec, s[10:11]
	v_mov_b32_e32 v11, 0
	v_mov_b32_e32 v12, 0
	s_waitcnt lgkmcnt(0)
	s_barrier
	s_and_saveexec_b64 s[12:13], s[0:1]
	s_cbranch_execz .LBB142_672
; %bb.669:
	v_mul_u32_u24_e32 v31, 0x208, v15
	ds_read_b64 v[11:12], v1 offset:22896
	ds_read_b64 v[31:32], v31 offset:22880
	v_cmp_gt_u32_e64 s[10:11], 2, v14
	s_waitcnt lgkmcnt(0)
	v_fma_f64 v[11:12], v[11:12], v[31:32], 0
	s_and_saveexec_b64 s[16:17], s[10:11]
	s_cbranch_execz .LBB142_671
; %bb.670:
	v_lshlrev_b32_e32 v31, 3, v0
	v_mov_b32_e32 v33, 0
	ds_read_b64 v[31:32], v31 offset:23408
	ds_read_b64 v[33:34], v33 offset:22888
	s_waitcnt lgkmcnt(0)
	v_fma_f64 v[11:12], v[31:32], v[33:34], v[11:12]
.LBB142_671:
	s_or_b64 exec, exec, s[16:17]
	v_xor_b32_e32 v12, 0x80000000, v12
.LBB142_672:
	s_or_b64 exec, exec, s[12:13]
	s_and_saveexec_b64 s[10:11], s[38:39]
	s_cbranch_execz .LBB142_674
; %bb.673:
	v_mov_b32_e32 v31, 0
	ds_read_b64 v[31:32], v31 offset:23920
	s_waitcnt lgkmcnt(0)
	v_mul_f64 v[11:12], v[11:12], v[31:32]
	ds_write_b64 v13, v[11:12]
.LBB142_674:
	s_or_b64 exec, exec, s[10:11]
	s_waitcnt lgkmcnt(0)
	s_barrier
	s_and_saveexec_b64 s[10:11], s[36:37]
	s_cbranch_execz .LBB142_676
; %bb.675:
	v_mov_b32_e32 v31, 0
	ds_read_b64 v[31:32], v31 offset:23928
	ds_read_b64 v[33:34], v13
	s_waitcnt lgkmcnt(0)
	v_fma_f64 v[11:12], v[31:32], v[33:34], v[11:12]
.LBB142_676:
	s_or_b64 exec, exec, s[10:11]
	s_barrier
	s_and_saveexec_b64 s[10:11], s[36:37]
	s_cbranch_execz .LBB142_678
; %bb.677:
	v_mov_b32_e32 v31, 0
	ds_read_b64 v[31:32], v31 offset:24440
	s_waitcnt lgkmcnt(0)
	v_mul_f64 v[11:12], v[11:12], v[31:32]
	ds_write_b64 v13, v[11:12]
.LBB142_678:
	s_or_b64 exec, exec, s[10:11]
	s_waitcnt lgkmcnt(0)
	s_barrier
	s_barrier
	s_and_saveexec_b64 s[10:11], s[0:1]
; %bb.679:
	v_xor_b32_e32 v12, 0x80000000, v12
	ds_write_b64 v1, v[11:12] offset:22896
; %bb.680:
	s_or_b64 exec, exec, s[10:11]
	s_waitcnt lgkmcnt(0)
	s_barrier
	s_barrier
	s_and_saveexec_b64 s[10:11], vcc
	s_cbranch_execz .LBB142_682
; %bb.681:
	v_mov_b32_e32 v35, 0
	ds_read_b128 v[31:34], v35 offset:23920
	ds_read_b64 v[11:12], v35 offset:24440
	s_waitcnt lgkmcnt(0)
	v_mul_f64 v[11:12], v[31:32], v[11:12]
	v_mul_f64 v[11:12], v[33:34], v[11:12]
	ds_write_b64 v35, v[11:12] offset:23928
.LBB142_682:
	s_or_b64 exec, exec, s[10:11]
	v_mov_b32_e32 v11, 0
	v_mov_b32_e32 v12, 0
	s_waitcnt lgkmcnt(0)
	s_barrier
	s_and_saveexec_b64 s[12:13], s[8:9]
	s_cbranch_execz .LBB142_710
; %bb.683:
	v_mul_u32_u24_e32 v31, 0x208, v30
	ds_read_b64 v[11:12], v26 offset:16768
	ds_read_b64 v[32:33], v31 offset:16640
	s_movk_i32 s10, 0xf0
	v_cmp_gt_u32_e64 s[10:11], s10, v14
	s_waitcnt lgkmcnt(0)
	v_fma_f64 v[11:12], v[11:12], v[32:33], 0
	s_and_saveexec_b64 s[16:17], s[10:11]
	s_cbranch_execz .LBB142_685
; %bb.684:
	v_lshlrev_b32_e32 v32, 3, v30
	v_sub_u32_e32 v32, v31, v32
	v_lshl_add_u32 v32, v27, 3, v32
	ds_read_b64 v[32:33], v32 offset:17280
	ds_read_b64 v[34:35], v31 offset:16648
	s_waitcnt lgkmcnt(0)
	v_fma_f64 v[11:12], v[32:33], v[34:35], v[11:12]
.LBB142_685:
	s_or_b64 exec, exec, s[16:17]
	s_movk_i32 s10, 0xe0
	v_cmp_gt_u32_e64 s[10:11], s10, v14
	s_and_saveexec_b64 s[16:17], s[10:11]
	s_cbranch_execz .LBB142_687
; %bb.686:
	v_lshlrev_b32_e32 v32, 3, v30
	v_sub_u32_e32 v32, v31, v32
	v_lshl_add_u32 v32, v27, 3, v32
	ds_read_b64 v[32:33], v32 offset:17792
	ds_read_b64 v[34:35], v31 offset:16656
	s_waitcnt lgkmcnt(0)
	v_fma_f64 v[11:12], v[32:33], v[34:35], v[11:12]
.LBB142_687:
	s_or_b64 exec, exec, s[16:17]
	s_movk_i32 s10, 0xd0
	v_cmp_gt_u32_e64 s[10:11], s10, v14
	;; [unrolled: 14-line block ×7, first 2 shown]
	s_and_saveexec_b64 s[16:17], s[10:11]
	s_cbranch_execz .LBB142_699
; %bb.698:
	ds_read_b64 v[32:33], v26 offset:20864
	ds_read_b64 v[34:35], v31 offset:16704
	s_waitcnt lgkmcnt(0)
	v_fma_f64 v[11:12], v[32:33], v[34:35], v[11:12]
.LBB142_699:
	s_or_b64 exec, exec, s[16:17]
	s_movk_i32 s10, 0x70
	v_cmp_gt_u32_e64 s[10:11], s10, v14
	s_and_saveexec_b64 s[16:17], s[10:11]
	s_cbranch_execz .LBB142_701
; %bb.700:
	v_lshlrev_b32_e32 v30, 3, v27
	v_lshl_add_u32 v30, v29, 3, v30
	ds_read_b64 v[32:33], v30 offset:21376
	ds_read_b64 v[34:35], v31 offset:16712
	s_waitcnt lgkmcnt(0)
	v_fma_f64 v[11:12], v[32:33], v[34:35], v[11:12]
.LBB142_701:
	s_or_b64 exec, exec, s[16:17]
	s_movk_i32 s10, 0x60
	v_cmp_gt_u32_e64 s[10:11], s10, v14
	s_and_saveexec_b64 s[16:17], s[10:11]
	s_cbranch_execz .LBB142_703
; %bb.702:
	v_lshlrev_b32_e32 v30, 3, v27
	v_lshl_add_u32 v30, v29, 3, v30
	ds_read_b64 v[32:33], v30 offset:21888
	ds_read_b64 v[34:35], v31 offset:16720
	s_waitcnt lgkmcnt(0)
	v_fma_f64 v[11:12], v[32:33], v[34:35], v[11:12]
.LBB142_703:
	s_or_b64 exec, exec, s[16:17]
	s_movk_i32 s10, 0x50
	v_cmp_gt_u32_e64 s[10:11], s10, v14
	s_and_saveexec_b64 s[16:17], s[10:11]
	s_cbranch_execnz .LBB142_1072
; %bb.704:
	s_or_b64 exec, exec, s[16:17]
	v_cmp_gt_u32_e64 s[10:11], 64, v14
	s_and_saveexec_b64 s[16:17], s[10:11]
	s_cbranch_execnz .LBB142_1073
.LBB142_705:
	s_or_b64 exec, exec, s[16:17]
	v_cmp_gt_u32_e64 s[10:11], 48, v14
	s_and_saveexec_b64 s[16:17], s[10:11]
	s_cbranch_execnz .LBB142_1074
.LBB142_706:
	s_or_b64 exec, exec, s[16:17]
	v_cmp_gt_u32_e64 s[10:11], 32, v14
	s_and_saveexec_b64 s[16:17], s[10:11]
	s_cbranch_execnz .LBB142_1075
.LBB142_707:
	s_or_b64 exec, exec, s[16:17]
	v_cmp_gt_u32_e64 s[10:11], 16, v14
	s_and_saveexec_b64 s[16:17], s[10:11]
	s_cbranch_execz .LBB142_709
.LBB142_708:
	v_lshlrev_b32_e32 v29, 3, v0
	v_mov_b32_e32 v31, 0
	ds_read_b64 v[29:30], v29 offset:24448
	ds_read_b64 v[31:32], v31 offset:16760
	s_waitcnt lgkmcnt(0)
	v_fma_f64 v[11:12], v[29:30], v[31:32], v[11:12]
.LBB142_709:
	s_or_b64 exec, exec, s[16:17]
	v_xor_b32_e32 v12, 0x80000000, v12
.LBB142_710:
	s_or_b64 exec, exec, s[12:13]
	s_mov_b64 s[10:11], exec
	v_readlane_b32 s12, v41, 3
	v_readlane_b32 s13, v41, 4
	s_and_b64 s[12:13], s[10:11], s[12:13]
	s_mov_b64 exec, s[12:13]
	s_cbranch_execz .LBB142_712
; %bb.711:
	v_mov_b32_e32 v29, 0
	ds_read_b64 v[29:30], v29 offset:24960
	s_waitcnt lgkmcnt(0)
	v_mul_f64 v[11:12], v[11:12], v[29:30]
	ds_write_b64 v28, v[11:12]
.LBB142_712:
	s_or_b64 exec, exec, s[10:11]
	s_waitcnt lgkmcnt(0)
	s_barrier
	s_mov_b64 s[10:11], exec
	v_readlane_b32 s12, v41, 5
	v_readlane_b32 s13, v41, 6
	s_and_b64 s[12:13], s[10:11], s[12:13]
	s_mov_b64 exec, s[12:13]
	s_cbranch_execz .LBB142_714
; %bb.713:
	v_lshlrev_b32_e32 v29, 3, v27
	ds_read_b64 v[29:30], v29 offset:24960
	ds_read_b64 v[31:32], v28
	s_waitcnt lgkmcnt(0)
	v_fma_f64 v[11:12], v[29:30], v[31:32], v[11:12]
.LBB142_714:
	s_or_b64 exec, exec, s[10:11]
	s_barrier
	s_mov_b64 s[10:11], exec
	v_readlane_b32 s12, v41, 7
	v_readlane_b32 s13, v41, 8
	s_and_b64 s[12:13], s[10:11], s[12:13]
	s_mov_b64 exec, s[12:13]
	s_cbranch_execz .LBB142_716
; %bb.715:
	v_mov_b32_e32 v29, 0
	ds_read_b64 v[29:30], v29 offset:25480
	s_waitcnt lgkmcnt(0)
	v_mul_f64 v[11:12], v[11:12], v[29:30]
	ds_write_b64 v28, v[11:12]
.LBB142_716:
	s_or_b64 exec, exec, s[10:11]
	s_waitcnt lgkmcnt(0)
	s_barrier
	s_mov_b64 s[10:11], exec
	v_readlane_b32 s12, v41, 9
	v_readlane_b32 s13, v41, 10
	s_and_b64 s[12:13], s[10:11], s[12:13]
	s_mov_b64 exec, s[12:13]
	s_cbranch_execz .LBB142_718
; %bb.717:
	v_lshlrev_b32_e32 v29, 3, v27
	ds_read_b64 v[29:30], v29 offset:25472
	ds_read_b64 v[31:32], v28
	s_waitcnt lgkmcnt(0)
	v_fma_f64 v[11:12], v[29:30], v[31:32], v[11:12]
.LBB142_718:
	s_or_b64 exec, exec, s[10:11]
	s_barrier
	;; [unrolled: 31-line block ×12, first 2 shown]
	s_mov_b64 s[10:11], exec
	v_readlane_b32 s12, v41, 51
	v_readlane_b32 s13, v41, 52
	s_and_b64 s[12:13], s[10:11], s[12:13]
	s_mov_b64 exec, s[12:13]
	s_cbranch_execz .LBB142_760
; %bb.759:
	v_mov_b32_e32 v29, 0
	ds_read_b64 v[29:30], v29 offset:31200
	s_waitcnt lgkmcnt(0)
	v_mul_f64 v[11:12], v[11:12], v[29:30]
	ds_write_b64 v28, v[11:12]
.LBB142_760:
	s_or_b64 exec, exec, s[10:11]
	s_waitcnt lgkmcnt(0)
	s_barrier
	s_and_saveexec_b64 s[10:11], s[30:31]
	s_cbranch_execz .LBB142_762
; %bb.761:
	v_lshlrev_b32_e32 v29, 3, v27
	ds_read_b64 v[29:30], v29 offset:31104
	ds_read_b64 v[31:32], v28
	s_waitcnt lgkmcnt(0)
	v_fma_f64 v[11:12], v[29:30], v[31:32], v[11:12]
.LBB142_762:
	s_or_b64 exec, exec, s[10:11]
	s_barrier
	s_and_saveexec_b64 s[10:11], s[80:81]
	s_cbranch_execz .LBB142_764
; %bb.763:
	v_mov_b32_e32 v29, 0
	ds_read_b64 v[29:30], v29 offset:31720
	s_waitcnt lgkmcnt(0)
	v_mul_f64 v[11:12], v[11:12], v[29:30]
	ds_write_b64 v28, v[11:12]
.LBB142_764:
	s_or_b64 exec, exec, s[10:11]
	s_waitcnt lgkmcnt(0)
	s_barrier
	s_and_saveexec_b64 s[10:11], s[82:83]
	s_cbranch_execz .LBB142_766
; %bb.765:
	v_lshlrev_b32_e32 v27, 3, v27
	ds_read_b64 v[29:30], v27 offset:31616
	ds_read_b64 v[31:32], v28
	s_waitcnt lgkmcnt(0)
	v_fma_f64 v[11:12], v[29:30], v[31:32], v[11:12]
.LBB142_766:
	s_or_b64 exec, exec, s[10:11]
	s_barrier
	s_and_saveexec_b64 s[10:11], s[84:85]
	s_cbranch_execz .LBB142_768
; %bb.767:
	v_mov_b32_e32 v27, 0
	ds_read_b64 v[29:30], v27 offset:32240
	s_waitcnt lgkmcnt(0)
	v_mul_f64 v[11:12], v[11:12], v[29:30]
	ds_write_b64 v28, v[11:12]
.LBB142_768:
	s_or_b64 exec, exec, s[10:11]
	s_waitcnt lgkmcnt(0)
	s_barrier
	s_and_saveexec_b64 s[10:11], s[86:87]
	s_cbranch_execz .LBB142_770
; %bb.769:
	v_mov_b32_e32 v27, 0
	ds_read_b64 v[29:30], v27 offset:32248
	ds_read_b64 v[31:32], v28
	s_waitcnt lgkmcnt(0)
	v_fma_f64 v[11:12], v[29:30], v[31:32], v[11:12]
.LBB142_770:
	s_or_b64 exec, exec, s[10:11]
	s_barrier
	s_and_saveexec_b64 s[10:11], s[86:87]
	s_cbranch_execz .LBB142_772
; %bb.771:
	v_mov_b32_e32 v27, 0
	ds_read_b64 v[29:30], v27 offset:32760
	s_waitcnt lgkmcnt(0)
	v_mul_f64 v[11:12], v[11:12], v[29:30]
	ds_write_b64 v28, v[11:12]
.LBB142_772:
	s_or_b64 exec, exec, s[10:11]
	s_waitcnt lgkmcnt(0)
	s_barrier
	s_barrier
	s_and_saveexec_b64 s[10:11], s[8:9]
; %bb.773:
	v_xor_b32_e32 v12, 0x80000000, v12
	ds_write_b64 v26, v[11:12] offset:16768
; %bb.774:
	s_or_b64 exec, exec, s[10:11]
	s_waitcnt lgkmcnt(0)
	s_barrier
	s_barrier
	s_and_saveexec_b64 s[8:9], vcc
	s_cbranch_execz .LBB142_776
; %bb.775:
	v_mov_b32_e32 v30, 0
	ds_read_b128 v[26:29], v30 offset:24960
	ds_read_b64 v[11:12], v30 offset:25480
	s_waitcnt lgkmcnt(0)
	v_mul_f64 v[11:12], v[26:27], v[11:12]
	v_mul_f64 v[11:12], v[28:29], v[11:12]
	ds_write_b64 v30, v[11:12] offset:24968
.LBB142_776:
	s_or_b64 exec, exec, s[8:9]
	v_mov_b32_e32 v11, 0
	v_mov_b32_e32 v12, 0
	s_waitcnt lgkmcnt(0)
	s_barrier
	s_and_saveexec_b64 s[10:11], s[0:1]
	s_cbranch_execz .LBB142_780
; %bb.777:
	v_mul_u32_u24_e32 v26, 0x208, v15
	ds_read_b64 v[11:12], v1 offset:24976
	ds_read_b64 v[26:27], v26 offset:24960
	v_cmp_gt_u32_e64 s[8:9], 2, v14
	s_waitcnt lgkmcnt(0)
	v_fma_f64 v[11:12], v[11:12], v[26:27], 0
	s_and_saveexec_b64 s[12:13], s[8:9]
	s_cbranch_execz .LBB142_779
; %bb.778:
	v_lshlrev_b32_e32 v26, 3, v0
	v_mov_b32_e32 v28, 0
	ds_read_b64 v[26:27], v26 offset:25488
	ds_read_b64 v[28:29], v28 offset:24968
	s_waitcnt lgkmcnt(0)
	v_fma_f64 v[11:12], v[26:27], v[28:29], v[11:12]
.LBB142_779:
	s_or_b64 exec, exec, s[12:13]
	v_xor_b32_e32 v12, 0x80000000, v12
.LBB142_780:
	s_or_b64 exec, exec, s[10:11]
	s_and_saveexec_b64 s[8:9], s[38:39]
	s_cbranch_execz .LBB142_782
; %bb.781:
	v_mov_b32_e32 v26, 0
	ds_read_b64 v[26:27], v26 offset:26000
	s_waitcnt lgkmcnt(0)
	v_mul_f64 v[11:12], v[11:12], v[26:27]
	ds_write_b64 v13, v[11:12]
.LBB142_782:
	s_or_b64 exec, exec, s[8:9]
	s_waitcnt lgkmcnt(0)
	s_barrier
	s_and_saveexec_b64 s[8:9], s[36:37]
	s_cbranch_execz .LBB142_784
; %bb.783:
	v_mov_b32_e32 v26, 0
	ds_read_b64 v[26:27], v26 offset:26008
	ds_read_b64 v[28:29], v13
	s_waitcnt lgkmcnt(0)
	v_fma_f64 v[11:12], v[26:27], v[28:29], v[11:12]
.LBB142_784:
	s_or_b64 exec, exec, s[8:9]
	s_barrier
	s_and_saveexec_b64 s[8:9], s[36:37]
	s_cbranch_execz .LBB142_786
; %bb.785:
	v_mov_b32_e32 v26, 0
	ds_read_b64 v[26:27], v26 offset:26520
	s_waitcnt lgkmcnt(0)
	v_mul_f64 v[11:12], v[11:12], v[26:27]
	ds_write_b64 v13, v[11:12]
.LBB142_786:
	s_or_b64 exec, exec, s[8:9]
	s_waitcnt lgkmcnt(0)
	s_barrier
	s_barrier
	s_and_saveexec_b64 s[8:9], s[0:1]
; %bb.787:
	v_xor_b32_e32 v12, 0x80000000, v12
	ds_write_b64 v1, v[11:12] offset:24976
; %bb.788:
	s_or_b64 exec, exec, s[8:9]
	s_waitcnt lgkmcnt(0)
	s_barrier
	s_barrier
	s_and_saveexec_b64 s[8:9], vcc
	s_cbranch_execz .LBB142_790
; %bb.789:
	v_mov_b32_e32 v30, 0
	ds_read_b128 v[26:29], v30 offset:26000
	ds_read_b64 v[11:12], v30 offset:26520
	s_waitcnt lgkmcnt(0)
	v_mul_f64 v[11:12], v[26:27], v[11:12]
	v_mul_f64 v[11:12], v[28:29], v[11:12]
	ds_write_b64 v30, v[11:12] offset:26008
.LBB142_790:
	s_or_b64 exec, exec, s[8:9]
	v_mov_b32_e32 v11, 0
	v_mov_b32_e32 v12, 0
	s_waitcnt lgkmcnt(0)
	s_barrier
	s_and_saveexec_b64 s[10:11], s[2:3]
	s_cbranch_execz .LBB142_796
; %bb.791:
	v_mul_u32_u24_e32 v26, 0x208, v20
	ds_read_b64 v[11:12], v16 offset:24992
	ds_read_b64 v[27:28], v26 offset:24960
	v_cmp_gt_u32_e64 s[8:9], 12, v14
	s_waitcnt lgkmcnt(0)
	v_fma_f64 v[11:12], v[11:12], v[27:28], 0
	s_and_saveexec_b64 s[12:13], s[8:9]
	s_cbranch_execnz .LBB142_1076
; %bb.792:
	s_or_b64 exec, exec, s[12:13]
	v_cmp_gt_u32_e64 s[8:9], 8, v14
	s_and_saveexec_b64 s[12:13], s[8:9]
	s_cbranch_execnz .LBB142_1077
.LBB142_793:
	s_or_b64 exec, exec, s[12:13]
	v_cmp_gt_u32_e64 s[8:9], 4, v14
	s_and_saveexec_b64 s[12:13], s[8:9]
	s_cbranch_execz .LBB142_795
.LBB142_794:
	v_lshlrev_b32_e32 v26, 3, v0
	v_mov_b32_e32 v28, 0
	ds_read_b64 v[26:27], v26 offset:26528
	ds_read_b64 v[28:29], v28 offset:24984
	s_waitcnt lgkmcnt(0)
	v_fma_f64 v[11:12], v[26:27], v[28:29], v[11:12]
.LBB142_795:
	s_or_b64 exec, exec, s[12:13]
	v_xor_b32_e32 v12, 0x80000000, v12
.LBB142_796:
	s_or_b64 exec, exec, s[10:11]
	s_and_saveexec_b64 s[8:9], s[42:43]
	s_cbranch_execz .LBB142_798
; %bb.797:
	v_mov_b32_e32 v26, 0
	ds_read_b64 v[26:27], v26 offset:27040
	s_waitcnt lgkmcnt(0)
	v_mul_f64 v[11:12], v[11:12], v[26:27]
	ds_write_b64 v18, v[11:12]
.LBB142_798:
	s_or_b64 exec, exec, s[8:9]
	s_waitcnt lgkmcnt(0)
	s_barrier
	s_and_saveexec_b64 s[8:9], s[44:45]
	s_cbranch_execz .LBB142_800
; %bb.799:
	ds_read_b64 v[26:27], v17 offset:27040
	ds_read_b64 v[28:29], v18
	s_waitcnt lgkmcnt(0)
	v_fma_f64 v[11:12], v[26:27], v[28:29], v[11:12]
.LBB142_800:
	s_or_b64 exec, exec, s[8:9]
	s_barrier
	s_and_saveexec_b64 s[8:9], s[46:47]
	s_cbranch_execz .LBB142_802
; %bb.801:
	v_mov_b32_e32 v26, 0
	ds_read_b64 v[26:27], v26 offset:27560
	s_waitcnt lgkmcnt(0)
	v_mul_f64 v[11:12], v[11:12], v[26:27]
	ds_write_b64 v18, v[11:12]
.LBB142_802:
	s_or_b64 exec, exec, s[8:9]
	s_waitcnt lgkmcnt(0)
	s_barrier
	s_and_saveexec_b64 s[8:9], s[48:49]
	s_cbranch_execz .LBB142_804
; %bb.803:
	ds_read_b64 v[26:27], v17 offset:27552
	ds_read_b64 v[28:29], v18
	s_waitcnt lgkmcnt(0)
	v_fma_f64 v[11:12], v[26:27], v[28:29], v[11:12]
.LBB142_804:
	s_or_b64 exec, exec, s[8:9]
	s_barrier
	s_and_saveexec_b64 s[8:9], s[50:51]
	s_cbranch_execz .LBB142_806
; %bb.805:
	v_mov_b32_e32 v26, 0
	ds_read_b64 v[26:27], v26 offset:28080
	s_waitcnt lgkmcnt(0)
	v_mul_f64 v[11:12], v[11:12], v[26:27]
	ds_write_b64 v18, v[11:12]
.LBB142_806:
	s_or_b64 exec, exec, s[8:9]
	s_waitcnt lgkmcnt(0)
	s_barrier
	s_and_saveexec_b64 s[8:9], s[40:41]
	s_cbranch_execz .LBB142_808
; %bb.807:
	v_mov_b32_e32 v26, 0
	ds_read_b64 v[26:27], v26 offset:28088
	ds_read_b64 v[28:29], v18
	s_waitcnt lgkmcnt(0)
	v_fma_f64 v[11:12], v[26:27], v[28:29], v[11:12]
.LBB142_808:
	s_or_b64 exec, exec, s[8:9]
	s_barrier
	s_and_saveexec_b64 s[8:9], s[40:41]
	s_cbranch_execz .LBB142_810
; %bb.809:
	v_mov_b32_e32 v26, 0
	ds_read_b64 v[26:27], v26 offset:28600
	s_waitcnt lgkmcnt(0)
	v_mul_f64 v[11:12], v[11:12], v[26:27]
	ds_write_b64 v18, v[11:12]
.LBB142_810:
	s_or_b64 exec, exec, s[8:9]
	s_waitcnt lgkmcnt(0)
	s_barrier
	s_barrier
	s_and_saveexec_b64 s[8:9], s[2:3]
; %bb.811:
	v_xor_b32_e32 v12, 0x80000000, v12
	ds_write_b64 v16, v[11:12] offset:24992
; %bb.812:
	s_or_b64 exec, exec, s[8:9]
	s_waitcnt lgkmcnt(0)
	s_barrier
	s_barrier
	s_and_saveexec_b64 s[8:9], vcc
	s_cbranch_execz .LBB142_814
; %bb.813:
	v_mov_b32_e32 v30, 0
	ds_read_b128 v[26:29], v30 offset:27040
	ds_read_b64 v[11:12], v30 offset:27560
	s_waitcnt lgkmcnt(0)
	v_mul_f64 v[11:12], v[26:27], v[11:12]
	v_mul_f64 v[11:12], v[28:29], v[11:12]
	ds_write_b64 v30, v[11:12] offset:27048
.LBB142_814:
	s_or_b64 exec, exec, s[8:9]
	v_mov_b32_e32 v11, 0
	v_mov_b32_e32 v12, 0
	s_waitcnt lgkmcnt(0)
	s_barrier
	s_and_saveexec_b64 s[10:11], s[0:1]
	s_cbranch_execz .LBB142_818
; %bb.815:
	v_mul_u32_u24_e32 v26, 0x208, v15
	ds_read_b64 v[11:12], v1 offset:27056
	ds_read_b64 v[26:27], v26 offset:27040
	v_cmp_gt_u32_e64 s[8:9], 2, v14
	s_waitcnt lgkmcnt(0)
	v_fma_f64 v[11:12], v[11:12], v[26:27], 0
	s_and_saveexec_b64 s[12:13], s[8:9]
	s_cbranch_execz .LBB142_817
; %bb.816:
	v_lshlrev_b32_e32 v26, 3, v0
	v_mov_b32_e32 v28, 0
	ds_read_b64 v[26:27], v26 offset:27568
	ds_read_b64 v[28:29], v28 offset:27048
	s_waitcnt lgkmcnt(0)
	v_fma_f64 v[11:12], v[26:27], v[28:29], v[11:12]
.LBB142_817:
	s_or_b64 exec, exec, s[12:13]
	v_xor_b32_e32 v12, 0x80000000, v12
.LBB142_818:
	s_or_b64 exec, exec, s[10:11]
	s_and_saveexec_b64 s[8:9], s[38:39]
	s_cbranch_execz .LBB142_820
; %bb.819:
	v_mov_b32_e32 v26, 0
	ds_read_b64 v[26:27], v26 offset:28080
	s_waitcnt lgkmcnt(0)
	v_mul_f64 v[11:12], v[11:12], v[26:27]
	ds_write_b64 v13, v[11:12]
.LBB142_820:
	s_or_b64 exec, exec, s[8:9]
	s_waitcnt lgkmcnt(0)
	s_barrier
	s_and_saveexec_b64 s[8:9], s[36:37]
	s_cbranch_execz .LBB142_822
; %bb.821:
	v_mov_b32_e32 v26, 0
	ds_read_b64 v[26:27], v26 offset:28088
	ds_read_b64 v[28:29], v13
	s_waitcnt lgkmcnt(0)
	v_fma_f64 v[11:12], v[26:27], v[28:29], v[11:12]
.LBB142_822:
	s_or_b64 exec, exec, s[8:9]
	s_barrier
	s_and_saveexec_b64 s[8:9], s[36:37]
	s_cbranch_execz .LBB142_824
; %bb.823:
	v_mov_b32_e32 v26, 0
	ds_read_b64 v[26:27], v26 offset:28600
	s_waitcnt lgkmcnt(0)
	v_mul_f64 v[11:12], v[11:12], v[26:27]
	ds_write_b64 v13, v[11:12]
.LBB142_824:
	s_or_b64 exec, exec, s[8:9]
	s_waitcnt lgkmcnt(0)
	s_barrier
	s_barrier
	s_and_saveexec_b64 s[8:9], s[0:1]
; %bb.825:
	v_xor_b32_e32 v12, 0x80000000, v12
	ds_write_b64 v1, v[11:12] offset:27056
; %bb.826:
	s_or_b64 exec, exec, s[8:9]
	s_waitcnt lgkmcnt(0)
	s_barrier
	s_barrier
	s_and_saveexec_b64 s[8:9], vcc
	s_cbranch_execz .LBB142_828
; %bb.827:
	v_mov_b32_e32 v30, 0
	ds_read_b128 v[26:29], v30 offset:28080
	ds_read_b64 v[11:12], v30 offset:28600
	s_waitcnt lgkmcnt(0)
	v_mul_f64 v[11:12], v[26:27], v[11:12]
	v_mul_f64 v[11:12], v[28:29], v[11:12]
	ds_write_b64 v30, v[11:12] offset:28088
.LBB142_828:
	s_or_b64 exec, exec, s[8:9]
	v_mov_b32_e32 v11, 0
	v_mov_b32_e32 v12, 0
	s_waitcnt lgkmcnt(0)
	s_barrier
	s_and_saveexec_b64 s[10:11], s[14:15]
	s_cbranch_execz .LBB142_838
; %bb.829:
	v_mul_u32_u24_e32 v26, 0x208, v25
	ds_read_b64 v[11:12], v21 offset:25024
	ds_read_b64 v[27:28], v26 offset:24960
	v_cmp_gt_u32_e64 s[8:9], 56, v14
	s_waitcnt lgkmcnt(0)
	v_fma_f64 v[11:12], v[11:12], v[27:28], 0
	s_and_saveexec_b64 s[12:13], s[8:9]
	s_cbranch_execnz .LBB142_1078
; %bb.830:
	s_or_b64 exec, exec, s[12:13]
	v_cmp_gt_u32_e64 s[8:9], 48, v14
	s_and_saveexec_b64 s[12:13], s[8:9]
	s_cbranch_execnz .LBB142_1079
.LBB142_831:
	s_or_b64 exec, exec, s[12:13]
	v_cmp_gt_u32_e64 s[8:9], 40, v14
	s_and_saveexec_b64 s[12:13], s[8:9]
	s_cbranch_execnz .LBB142_1080
.LBB142_832:
	s_or_b64 exec, exec, s[12:13]
	v_cmp_gt_u32_e64 s[8:9], 32, v14
	s_and_saveexec_b64 s[12:13], s[8:9]
	s_cbranch_execnz .LBB142_1081
.LBB142_833:
	s_or_b64 exec, exec, s[12:13]
	v_cmp_gt_u32_e64 s[8:9], 24, v14
	s_and_saveexec_b64 s[12:13], s[8:9]
	s_cbranch_execnz .LBB142_1082
.LBB142_834:
	s_or_b64 exec, exec, s[12:13]
	v_cmp_gt_u32_e64 s[8:9], 16, v14
	s_and_saveexec_b64 s[12:13], s[8:9]
	s_cbranch_execnz .LBB142_1083
.LBB142_835:
	s_or_b64 exec, exec, s[12:13]
	v_cmp_gt_u32_e64 s[8:9], 8, v14
	s_and_saveexec_b64 s[12:13], s[8:9]
	s_cbranch_execz .LBB142_837
.LBB142_836:
	v_lshlrev_b32_e32 v24, 3, v0
	v_mov_b32_e32 v26, 0
	ds_read_b64 v[24:25], v24 offset:28608
	ds_read_b64 v[26:27], v26 offset:25016
	s_waitcnt lgkmcnt(0)
	v_fma_f64 v[11:12], v[24:25], v[26:27], v[11:12]
.LBB142_837:
	s_or_b64 exec, exec, s[12:13]
	v_xor_b32_e32 v12, 0x80000000, v12
.LBB142_838:
	s_or_b64 exec, exec, s[10:11]
	s_and_saveexec_b64 s[8:9], s[52:53]
	s_cbranch_execz .LBB142_840
; %bb.839:
	v_mov_b32_e32 v24, 0
	ds_read_b64 v[24:25], v24 offset:29120
	s_waitcnt lgkmcnt(0)
	v_mul_f64 v[11:12], v[11:12], v[24:25]
	ds_write_b64 v23, v[11:12]
.LBB142_840:
	s_or_b64 exec, exec, s[8:9]
	s_waitcnt lgkmcnt(0)
	s_barrier
	s_and_saveexec_b64 s[8:9], s[54:55]
	v_readlane_b32 s52, v41, 2
	s_cbranch_execz .LBB142_842
; %bb.841:
	ds_read_b64 v[24:25], v22 offset:29120
	ds_read_b64 v[26:27], v23
	s_waitcnt lgkmcnt(0)
	v_fma_f64 v[11:12], v[24:25], v[26:27], v[11:12]
.LBB142_842:
	s_or_b64 exec, exec, s[8:9]
	s_barrier
	s_and_saveexec_b64 s[8:9], s[56:57]
	s_cbranch_execz .LBB142_844
; %bb.843:
	v_mov_b32_e32 v24, 0
	ds_read_b64 v[24:25], v24 offset:29640
	s_waitcnt lgkmcnt(0)
	v_mul_f64 v[11:12], v[11:12], v[24:25]
	ds_write_b64 v23, v[11:12]
.LBB142_844:
	s_or_b64 exec, exec, s[8:9]
	s_waitcnt lgkmcnt(0)
	s_barrier
	s_and_saveexec_b64 s[8:9], s[58:59]
	s_cbranch_execz .LBB142_846
; %bb.845:
	ds_read_b64 v[24:25], v22 offset:29632
	ds_read_b64 v[26:27], v23
	s_waitcnt lgkmcnt(0)
	v_fma_f64 v[11:12], v[24:25], v[26:27], v[11:12]
.LBB142_846:
	s_or_b64 exec, exec, s[8:9]
	s_barrier
	s_and_saveexec_b64 s[8:9], s[60:61]
	s_cbranch_execz .LBB142_848
; %bb.847:
	v_mov_b32_e32 v24, 0
	ds_read_b64 v[24:25], v24 offset:30160
	s_waitcnt lgkmcnt(0)
	v_mul_f64 v[11:12], v[11:12], v[24:25]
	ds_write_b64 v23, v[11:12]
.LBB142_848:
	s_or_b64 exec, exec, s[8:9]
	s_waitcnt lgkmcnt(0)
	s_barrier
	s_and_saveexec_b64 s[8:9], s[64:65]
	s_cbranch_execz .LBB142_850
; %bb.849:
	ds_read_b64 v[24:25], v22 offset:30144
	ds_read_b64 v[26:27], v23
	s_waitcnt lgkmcnt(0)
	v_fma_f64 v[11:12], v[24:25], v[26:27], v[11:12]
.LBB142_850:
	s_or_b64 exec, exec, s[8:9]
	s_barrier
	s_and_saveexec_b64 s[8:9], s[66:67]
	s_cbranch_execz .LBB142_852
; %bb.851:
	v_mov_b32_e32 v24, 0
	ds_read_b64 v[24:25], v24 offset:30680
	s_waitcnt lgkmcnt(0)
	v_mul_f64 v[11:12], v[11:12], v[24:25]
	ds_write_b64 v23, v[11:12]
.LBB142_852:
	s_or_b64 exec, exec, s[8:9]
	s_waitcnt lgkmcnt(0)
	s_barrier
	s_and_saveexec_b64 s[8:9], s[68:69]
	s_cbranch_execz .LBB142_854
; %bb.853:
	ds_read_b64 v[24:25], v22 offset:30656
	ds_read_b64 v[26:27], v23
	s_waitcnt lgkmcnt(0)
	v_fma_f64 v[11:12], v[24:25], v[26:27], v[11:12]
.LBB142_854:
	s_or_b64 exec, exec, s[8:9]
	s_barrier
	s_and_saveexec_b64 s[8:9], s[70:71]
	s_cbranch_execz .LBB142_856
; %bb.855:
	v_mov_b32_e32 v24, 0
	ds_read_b64 v[24:25], v24 offset:31200
	s_waitcnt lgkmcnt(0)
	v_mul_f64 v[11:12], v[11:12], v[24:25]
	ds_write_b64 v23, v[11:12]
.LBB142_856:
	s_or_b64 exec, exec, s[8:9]
	s_waitcnt lgkmcnt(0)
	s_barrier
	s_and_saveexec_b64 s[8:9], s[72:73]
	s_cbranch_execz .LBB142_858
; %bb.857:
	ds_read_b64 v[24:25], v22 offset:31168
	ds_read_b64 v[26:27], v23
	s_waitcnt lgkmcnt(0)
	v_fma_f64 v[11:12], v[24:25], v[26:27], v[11:12]
.LBB142_858:
	s_or_b64 exec, exec, s[8:9]
	s_barrier
	s_and_saveexec_b64 s[8:9], s[74:75]
	s_cbranch_execz .LBB142_860
; %bb.859:
	v_mov_b32_e32 v24, 0
	ds_read_b64 v[24:25], v24 offset:31720
	s_waitcnt lgkmcnt(0)
	v_mul_f64 v[11:12], v[11:12], v[24:25]
	ds_write_b64 v23, v[11:12]
.LBB142_860:
	s_or_b64 exec, exec, s[8:9]
	s_waitcnt lgkmcnt(0)
	s_barrier
	s_and_saveexec_b64 s[8:9], s[76:77]
	s_cbranch_execz .LBB142_862
; %bb.861:
	ds_read_b64 v[24:25], v22 offset:31680
	ds_read_b64 v[26:27], v23
	s_waitcnt lgkmcnt(0)
	v_fma_f64 v[11:12], v[24:25], v[26:27], v[11:12]
.LBB142_862:
	s_or_b64 exec, exec, s[8:9]
	s_barrier
	s_and_saveexec_b64 s[8:9], s[78:79]
	s_cbranch_execz .LBB142_864
; %bb.863:
	v_mov_b32_e32 v22, 0
	ds_read_b64 v[24:25], v22 offset:32240
	s_waitcnt lgkmcnt(0)
	v_mul_f64 v[11:12], v[11:12], v[24:25]
	ds_write_b64 v23, v[11:12]
.LBB142_864:
	s_or_b64 exec, exec, s[8:9]
	s_waitcnt lgkmcnt(0)
	s_barrier
	s_and_saveexec_b64 s[8:9], s[62:63]
	s_cbranch_execz .LBB142_866
; %bb.865:
	v_mov_b32_e32 v22, 0
	ds_read_b64 v[24:25], v22 offset:32248
	ds_read_b64 v[26:27], v23
	s_waitcnt lgkmcnt(0)
	v_fma_f64 v[11:12], v[24:25], v[26:27], v[11:12]
.LBB142_866:
	s_or_b64 exec, exec, s[8:9]
	s_barrier
	s_and_saveexec_b64 s[8:9], s[62:63]
	s_cbranch_execz .LBB142_868
; %bb.867:
	v_mov_b32_e32 v22, 0
	ds_read_b64 v[24:25], v22 offset:32760
	s_waitcnt lgkmcnt(0)
	v_mul_f64 v[11:12], v[11:12], v[24:25]
	ds_write_b64 v23, v[11:12]
.LBB142_868:
	s_or_b64 exec, exec, s[8:9]
	s_waitcnt lgkmcnt(0)
	s_barrier
	s_barrier
	s_and_saveexec_b64 s[8:9], s[14:15]
; %bb.869:
	v_xor_b32_e32 v12, 0x80000000, v12
	ds_write_b64 v21, v[11:12] offset:25024
; %bb.870:
	s_or_b64 exec, exec, s[8:9]
	s_waitcnt lgkmcnt(0)
	s_barrier
	s_barrier
	s_and_saveexec_b64 s[8:9], vcc
	s_cbranch_execz .LBB142_872
; %bb.871:
	v_mov_b32_e32 v25, 0
	ds_read_b128 v[21:24], v25 offset:29120
	ds_read_b64 v[11:12], v25 offset:29640
	s_waitcnt lgkmcnt(0)
	v_mul_f64 v[11:12], v[21:22], v[11:12]
	v_mul_f64 v[11:12], v[23:24], v[11:12]
	ds_write_b64 v25, v[11:12] offset:29128
.LBB142_872:
	s_or_b64 exec, exec, s[8:9]
	v_mov_b32_e32 v11, 0
	v_mov_b32_e32 v12, 0
	s_waitcnt lgkmcnt(0)
	s_barrier
	s_and_saveexec_b64 s[10:11], s[0:1]
	s_cbranch_execz .LBB142_876
; %bb.873:
	v_mul_u32_u24_e32 v21, 0x208, v15
	ds_read_b64 v[11:12], v1 offset:29136
	ds_read_b64 v[21:22], v21 offset:29120
	v_cmp_gt_u32_e64 s[8:9], 2, v14
	s_waitcnt lgkmcnt(0)
	v_fma_f64 v[11:12], v[11:12], v[21:22], 0
	s_and_saveexec_b64 s[12:13], s[8:9]
	s_cbranch_execz .LBB142_875
; %bb.874:
	v_lshlrev_b32_e32 v21, 3, v0
	v_mov_b32_e32 v23, 0
	ds_read_b64 v[21:22], v21 offset:29648
	ds_read_b64 v[23:24], v23 offset:29128
	s_waitcnt lgkmcnt(0)
	v_fma_f64 v[11:12], v[21:22], v[23:24], v[11:12]
.LBB142_875:
	s_or_b64 exec, exec, s[12:13]
	v_xor_b32_e32 v12, 0x80000000, v12
.LBB142_876:
	s_or_b64 exec, exec, s[10:11]
	s_and_saveexec_b64 s[8:9], s[38:39]
	s_cbranch_execz .LBB142_878
; %bb.877:
	v_mov_b32_e32 v21, 0
	ds_read_b64 v[21:22], v21 offset:30160
	s_waitcnt lgkmcnt(0)
	v_mul_f64 v[11:12], v[11:12], v[21:22]
	ds_write_b64 v13, v[11:12]
.LBB142_878:
	s_or_b64 exec, exec, s[8:9]
	s_waitcnt lgkmcnt(0)
	s_barrier
	s_and_saveexec_b64 s[8:9], s[36:37]
	s_cbranch_execz .LBB142_880
; %bb.879:
	v_mov_b32_e32 v21, 0
	ds_read_b64 v[21:22], v21 offset:30168
	ds_read_b64 v[23:24], v13
	s_waitcnt lgkmcnt(0)
	v_fma_f64 v[11:12], v[21:22], v[23:24], v[11:12]
.LBB142_880:
	s_or_b64 exec, exec, s[8:9]
	s_barrier
	s_and_saveexec_b64 s[8:9], s[36:37]
	s_cbranch_execz .LBB142_882
; %bb.881:
	v_mov_b32_e32 v21, 0
	ds_read_b64 v[21:22], v21 offset:30680
	s_waitcnt lgkmcnt(0)
	v_mul_f64 v[11:12], v[11:12], v[21:22]
	ds_write_b64 v13, v[11:12]
.LBB142_882:
	s_or_b64 exec, exec, s[8:9]
	s_waitcnt lgkmcnt(0)
	s_barrier
	s_barrier
	s_and_saveexec_b64 s[8:9], s[0:1]
; %bb.883:
	v_xor_b32_e32 v12, 0x80000000, v12
	ds_write_b64 v1, v[11:12] offset:29136
; %bb.884:
	s_or_b64 exec, exec, s[8:9]
	s_waitcnt lgkmcnt(0)
	s_barrier
	s_barrier
	s_and_saveexec_b64 s[8:9], vcc
	s_cbranch_execz .LBB142_886
; %bb.885:
	v_mov_b32_e32 v25, 0
	ds_read_b128 v[21:24], v25 offset:30160
	ds_read_b64 v[11:12], v25 offset:30680
	s_waitcnt lgkmcnt(0)
	v_mul_f64 v[11:12], v[21:22], v[11:12]
	v_mul_f64 v[11:12], v[23:24], v[11:12]
	ds_write_b64 v25, v[11:12] offset:30168
.LBB142_886:
	s_or_b64 exec, exec, s[8:9]
	v_mov_b32_e32 v11, 0
	v_mov_b32_e32 v12, 0
	s_waitcnt lgkmcnt(0)
	s_barrier
	s_and_saveexec_b64 s[10:11], s[2:3]
	s_cbranch_execz .LBB142_892
; %bb.887:
	v_mul_u32_u24_e32 v21, 0x208, v20
	ds_read_b64 v[11:12], v16 offset:29152
	ds_read_b64 v[22:23], v21 offset:29120
	v_cmp_gt_u32_e64 s[8:9], 12, v14
	s_waitcnt lgkmcnt(0)
	v_fma_f64 v[11:12], v[11:12], v[22:23], 0
	s_and_saveexec_b64 s[12:13], s[8:9]
	s_cbranch_execnz .LBB142_1084
; %bb.888:
	s_or_b64 exec, exec, s[12:13]
	v_cmp_gt_u32_e64 s[8:9], 8, v14
	s_and_saveexec_b64 s[12:13], s[8:9]
	s_cbranch_execnz .LBB142_1085
.LBB142_889:
	s_or_b64 exec, exec, s[12:13]
	v_cmp_gt_u32_e64 s[8:9], 4, v14
	s_and_saveexec_b64 s[12:13], s[8:9]
	s_cbranch_execz .LBB142_891
.LBB142_890:
	v_lshlrev_b32_e32 v19, 3, v0
	v_mov_b32_e32 v21, 0
	ds_read_b64 v[19:20], v19 offset:30688
	ds_read_b64 v[21:22], v21 offset:29144
	s_waitcnt lgkmcnt(0)
	v_fma_f64 v[11:12], v[19:20], v[21:22], v[11:12]
.LBB142_891:
	s_or_b64 exec, exec, s[12:13]
	v_xor_b32_e32 v12, 0x80000000, v12
.LBB142_892:
	s_or_b64 exec, exec, s[10:11]
	s_and_saveexec_b64 s[8:9], s[42:43]
	s_cbranch_execz .LBB142_894
; %bb.893:
	v_mov_b32_e32 v19, 0
	ds_read_b64 v[19:20], v19 offset:31200
	s_waitcnt lgkmcnt(0)
	v_mul_f64 v[11:12], v[11:12], v[19:20]
	ds_write_b64 v18, v[11:12]
.LBB142_894:
	s_or_b64 exec, exec, s[8:9]
	s_waitcnt lgkmcnt(0)
	s_barrier
	s_and_saveexec_b64 s[8:9], s[44:45]
	s_cbranch_execz .LBB142_896
; %bb.895:
	ds_read_b64 v[19:20], v17 offset:31200
	ds_read_b64 v[21:22], v18
	s_waitcnt lgkmcnt(0)
	v_fma_f64 v[11:12], v[19:20], v[21:22], v[11:12]
.LBB142_896:
	s_or_b64 exec, exec, s[8:9]
	s_barrier
	s_and_saveexec_b64 s[8:9], s[46:47]
	s_cbranch_execz .LBB142_898
; %bb.897:
	v_mov_b32_e32 v19, 0
	ds_read_b64 v[19:20], v19 offset:31720
	s_waitcnt lgkmcnt(0)
	v_mul_f64 v[11:12], v[11:12], v[19:20]
	ds_write_b64 v18, v[11:12]
.LBB142_898:
	s_or_b64 exec, exec, s[8:9]
	s_waitcnt lgkmcnt(0)
	s_barrier
	s_and_saveexec_b64 s[8:9], s[48:49]
	s_cbranch_execz .LBB142_900
; %bb.899:
	ds_read_b64 v[19:20], v17 offset:31712
	ds_read_b64 v[21:22], v18
	s_waitcnt lgkmcnt(0)
	v_fma_f64 v[11:12], v[19:20], v[21:22], v[11:12]
.LBB142_900:
	s_or_b64 exec, exec, s[8:9]
	s_barrier
	s_and_saveexec_b64 s[8:9], s[50:51]
	s_cbranch_execz .LBB142_902
; %bb.901:
	v_mov_b32_e32 v17, 0
	ds_read_b64 v[19:20], v17 offset:32240
	s_waitcnt lgkmcnt(0)
	v_mul_f64 v[11:12], v[11:12], v[19:20]
	ds_write_b64 v18, v[11:12]
.LBB142_902:
	s_or_b64 exec, exec, s[8:9]
	s_waitcnt lgkmcnt(0)
	s_barrier
	s_and_saveexec_b64 s[8:9], s[40:41]
	s_cbranch_execz .LBB142_904
; %bb.903:
	v_mov_b32_e32 v17, 0
	ds_read_b64 v[19:20], v17 offset:32248
	ds_read_b64 v[21:22], v18
	s_waitcnt lgkmcnt(0)
	v_fma_f64 v[11:12], v[19:20], v[21:22], v[11:12]
.LBB142_904:
	s_or_b64 exec, exec, s[8:9]
	s_barrier
	s_and_saveexec_b64 s[8:9], s[40:41]
	s_cbranch_execz .LBB142_906
; %bb.905:
	v_mov_b32_e32 v17, 0
	ds_read_b64 v[19:20], v17 offset:32760
	s_waitcnt lgkmcnt(0)
	v_mul_f64 v[11:12], v[11:12], v[19:20]
	ds_write_b64 v18, v[11:12]
.LBB142_906:
	s_or_b64 exec, exec, s[8:9]
	s_waitcnt lgkmcnt(0)
	s_barrier
	s_barrier
	s_and_saveexec_b64 s[8:9], s[2:3]
; %bb.907:
	v_xor_b32_e32 v12, 0x80000000, v12
	ds_write_b64 v16, v[11:12] offset:29152
; %bb.908:
	s_or_b64 exec, exec, s[8:9]
	s_waitcnt lgkmcnt(0)
	s_barrier
	s_barrier
	s_and_saveexec_b64 s[2:3], vcc
	s_cbranch_execz .LBB142_910
; %bb.909:
	v_mov_b32_e32 v20, 0
	ds_read_b128 v[16:19], v20 offset:31200
	ds_read_b64 v[11:12], v20 offset:31720
	s_waitcnt lgkmcnt(0)
	v_mul_f64 v[11:12], v[16:17], v[11:12]
	v_mul_f64 v[11:12], v[18:19], v[11:12]
	ds_write_b64 v20, v[11:12] offset:31208
.LBB142_910:
	s_or_b64 exec, exec, s[2:3]
	v_mov_b32_e32 v11, 0
	v_mov_b32_e32 v12, 0
	s_waitcnt lgkmcnt(0)
	s_barrier
	s_and_saveexec_b64 s[8:9], s[0:1]
	s_cbranch_execz .LBB142_914
; %bb.911:
	v_mul_u32_u24_e32 v15, 0x208, v15
	ds_read_b64 v[11:12], v1 offset:31216
	ds_read_b64 v[15:16], v15 offset:31200
	v_cmp_gt_u32_e64 s[2:3], 2, v14
	s_waitcnt lgkmcnt(0)
	v_fma_f64 v[11:12], v[11:12], v[15:16], 0
	s_and_saveexec_b64 s[10:11], s[2:3]
	s_cbranch_execz .LBB142_913
; %bb.912:
	v_lshlrev_b32_e32 v14, 3, v0
	v_mov_b32_e32 v16, 0
	ds_read_b64 v[14:15], v14 offset:31728
	ds_read_b64 v[16:17], v16 offset:31208
	s_waitcnt lgkmcnt(0)
	v_fma_f64 v[11:12], v[14:15], v[16:17], v[11:12]
.LBB142_913:
	s_or_b64 exec, exec, s[10:11]
	v_xor_b32_e32 v12, 0x80000000, v12
.LBB142_914:
	s_or_b64 exec, exec, s[8:9]
	s_and_saveexec_b64 s[2:3], s[38:39]
	s_cbranch_execz .LBB142_916
; %bb.915:
	v_mov_b32_e32 v14, 0
	ds_read_b64 v[14:15], v14 offset:32240
	s_waitcnt lgkmcnt(0)
	v_mul_f64 v[11:12], v[11:12], v[14:15]
	ds_write_b64 v13, v[11:12]
.LBB142_916:
	s_or_b64 exec, exec, s[2:3]
	s_waitcnt lgkmcnt(0)
	s_barrier
	s_and_saveexec_b64 s[2:3], s[36:37]
	v_readlane_b32 s30, v41, 0
	v_readlane_b32 s31, v41, 1
	s_cbranch_execz .LBB142_918
; %bb.917:
	v_mov_b32_e32 v14, 0
	ds_read_b64 v[14:15], v14 offset:32248
	ds_read_b64 v[16:17], v13
	s_waitcnt lgkmcnt(0)
	v_fma_f64 v[11:12], v[14:15], v[16:17], v[11:12]
.LBB142_918:
	s_or_b64 exec, exec, s[2:3]
	s_barrier
	s_and_saveexec_b64 s[2:3], s[36:37]
	s_cbranch_execz .LBB142_920
; %bb.919:
	v_mov_b32_e32 v14, 0
	ds_read_b64 v[14:15], v14 offset:32760
	s_waitcnt lgkmcnt(0)
	v_mul_f64 v[11:12], v[11:12], v[14:15]
	ds_write_b64 v13, v[11:12]
.LBB142_920:
	s_or_b64 exec, exec, s[2:3]
	s_waitcnt lgkmcnt(0)
	s_barrier
	s_barrier
	s_and_saveexec_b64 s[2:3], s[0:1]
; %bb.921:
	v_xor_b32_e32 v12, 0x80000000, v12
	ds_write_b64 v1, v[11:12] offset:31216
; %bb.922:
	s_or_b64 exec, exec, s[2:3]
	s_waitcnt lgkmcnt(0)
	s_barrier
	s_barrier
	s_and_saveexec_b64 s[0:1], vcc
	s_cbranch_execz .LBB142_924
; %bb.923:
	v_mov_b32_e32 v1, 0
	ds_read_b128 v[11:14], v1 offset:32240
	ds_read_b64 v[15:16], v1 offset:32760
	s_waitcnt lgkmcnt(0)
	v_mul_f64 v[11:12], v[11:12], v[15:16]
	v_mul_f64 v[11:12], v[13:14], v[11:12]
	ds_write_b64 v1, v[11:12] offset:32248
.LBB142_924:
	s_or_b64 exec, exec, s[0:1]
.LBB142_925:
	s_lshl_b64 s[0:1], s[24:25], 3
	s_add_u32 s36, s30, s0
	v_cmp_le_i32_e32 vcc, s92, v0
	s_addc_u32 s37, s31, s1
	s_and_b64 s[14:15], vcc, s[22:23]
	v_cmp_eq_u32_e64 s[0:1], 0, v2
	s_xor_b64 s[2:3], s[14:15], -1
	v_mov_b32_e32 v11, 0
	s_and_b64 s[8:9], s[0:1], s[2:3]
	v_mov_b32_e32 v12, 0
	v_add_u32_e32 v13, s33, v0
	s_waitcnt lgkmcnt(0)
	s_barrier
	s_and_saveexec_b64 s[2:3], s[8:9]
	s_cbranch_execz .LBB142_927
; %bb.926:
	v_ashrrev_i32_e32 v1, 31, v13
	v_mul_lo_u32 v14, s27, v13
	v_mad_u64_u32 v[11:12], s[8:9], s26, v13, 0
	v_mul_lo_u32 v1, s26, v1
	v_add3_u32 v12, v12, v1, v14
	v_lshlrev_b64 v[11:12], 3, v[11:12]
	v_mov_b32_e32 v1, s37
	v_add_co_u32_e32 v11, vcc, s36, v11
	v_addc_co_u32_e32 v12, vcc, v1, v12, vcc
	flat_load_dwordx2 v[11:12], v[11:12]
	s_waitcnt vmcnt(0) lgkmcnt(0)
	v_mul_f64 v[11:12], v[11:12], -s[20:21]
.LBB142_927:
	s_or_b64 exec, exec, s[2:3]
	s_load_dwordx2 s[12:13], s[4:5], 0x50
	s_and_b32 s2, 0xffff, s95
	v_mad_u32_u24 v19, v2, s2, v0
	v_mov_b32_e32 v14, 0
	s_cmp_lt_i32 s6, 1
	v_cmp_eq_u32_e64 s[2:3], 0, v19
	s_cbranch_scc1 .LBB142_953
; %bb.928:
	v_mov_b32_e32 v15, 0xa000
	v_lshl_add_u32 v1, v19, 3, v15
	v_lshl_or_b32 v20, v2, 3, v15
	v_lshlrev_b64 v[15:16], 3, v[13:14]
	s_lshl_b64 s[4:5], s[18:19], 2
	s_waitcnt lgkmcnt(0)
	s_add_u32 s16, s12, s4
	v_cmp_gt_i32_e64 s[10:11], s7, v13
	v_mov_b32_e32 v17, s94
	v_add_co_u32_e32 v13, vcc, s93, v15
	s_mul_i32 s8, s29, 0x180
	s_mul_hi_u32 s9, s28, 0x180
	s_mov_b32 s38, 0
	s_addc_u32 s17, s13, s5
	v_cmp_gt_u32_e64 s[4:5], 64, v19
	s_add_i32 s39, s6, -1
	v_addc_co_u32_e32 v21, vcc, v17, v16, vcc
	s_lshl_b64 s[20:21], s[28:29], 7
	s_lshl_b64 s[24:25], s[28:29], 8
	s_add_i32 s40, s9, s8
	s_mul_i32 s41, s28, 0x180
	v_mov_b32_e32 v22, -1
	s_branch .LBB142_931
.LBB142_929:                            ;   in Loop: Header=BB142_931 Depth=1
	ds_read_b64 v[15:16], v20 offset:384
	s_waitcnt vmcnt(0) lgkmcnt(0)
	v_fma_f64 v[11:12], v[17:18], v[15:16], v[11:12]
.LBB142_930:                            ;   in Loop: Header=BB142_931 Depth=1
	s_or_b64 exec, exec, s[30:31]
	s_add_i32 s38, s38, 1
	s_cmp_eq_u32 s38, s6
	s_cbranch_scc1 .LBB142_953
.LBB142_931:                            ; =>This Loop Header: Depth=1
                                        ;     Child Loop BB142_933 Depth 2
	v_cmp_gt_i32_e32 vcc, s38, v22
	s_and_b64 s[30:31], s[2:3], vcc
	s_and_saveexec_b64 s[8:9], s[30:31]
	s_cbranch_execz .LBB142_934
; %bb.932:                              ;   in Loop: Header=BB142_931 Depth=1
	global_load_dword v22, v14, s[16:17]
	s_waitcnt vmcnt(0)
	v_cmp_le_i32_e32 vcc, s38, v22
	s_cbranch_vccnz .LBB142_934
.LBB142_933:                            ;   Parent Loop BB142_931 Depth=1
                                        ; =>  This Inner Loop Header: Depth=2
	buffer_wbinvl1_vol
	global_load_dword v22, v14, s[16:17]
	s_waitcnt vmcnt(0)
	v_cmp_gt_i32_e32 vcc, s38, v22
	s_cbranch_vccnz .LBB142_933
.LBB142_934:                            ;   in Loop: Header=BB142_931 Depth=1
	s_or_b64 exec, exec, s[8:9]
	s_lshl_b32 s42, s38, 6
	buffer_wbinvl1_vol
	s_barrier
	s_and_saveexec_b64 s[8:9], s[4:5]
	s_cbranch_execz .LBB142_938
; %bb.935:                              ;   in Loop: Header=BB142_931 Depth=1
	v_or_b32_e32 v17, s42, v19
	v_mov_b32_e32 v15, 0
	v_mov_b32_e32 v16, 0
	v_cmp_gt_i32_e32 vcc, s7, v17
	s_and_saveexec_b64 s[30:31], vcc
	s_cbranch_execz .LBB142_937
; %bb.936:                              ;   in Loop: Header=BB142_931 Depth=1
	v_mad_u64_u32 v[15:16], s[44:45], s26, v17, 0
	v_mad_u64_u32 v[16:17], s[44:45], s27, v17, v[16:17]
	v_mov_b32_e32 v17, s37
	v_lshlrev_b64 v[15:16], 3, v[15:16]
	v_add_co_u32_e32 v15, vcc, s36, v15
	v_addc_co_u32_e32 v16, vcc, v17, v16, vcc
	flat_load_dwordx2 v[15:16], v[15:16]
.LBB142_937:                            ;   in Loop: Header=BB142_931 Depth=1
	s_or_b64 exec, exec, s[30:31]
	s_waitcnt vmcnt(0) lgkmcnt(0)
	ds_write_b64 v1, v[15:16]
.LBB142_938:                            ;   in Loop: Header=BB142_931 Depth=1
	s_or_b64 exec, exec, s[8:9]
	v_add_u32_e32 v23, s42, v2
	v_mad_u64_u32 v[15:16], s[8:9], s28, v23, 0
	s_cmp_lg_u32 s38, s39
	s_waitcnt lgkmcnt(0)
	v_mad_u64_u32 v[16:17], s[8:9], s29, v23, v[16:17]
	s_cselect_b64 s[8:9], -1, 0
	v_cndmask_b32_e64 v17, 0, 1, s[8:9]
	v_lshlrev_b64 v[15:16], 3, v[15:16]
	v_cmp_ne_u32_e64 s[8:9], 1, v17
	v_add_co_u32_e32 v15, vcc, v13, v15
	v_addc_co_u32_e32 v16, vcc, v21, v16, vcc
	v_cmp_gt_i32_e32 vcc, s7, v23
	s_and_b64 s[42:43], s[10:11], vcc
	s_barrier
	s_and_saveexec_b64 s[30:31], s[42:43]
	s_cbranch_execz .LBB142_942
; %bb.939:                              ;   in Loop: Header=BB142_931 Depth=1
	v_mov_b32_e32 v18, v4
	s_and_b64 vcc, exec, s[8:9]
	v_mov_b32_e32 v17, v3
	s_cbranch_vccnz .LBB142_941
; %bb.940:                              ;   in Loop: Header=BB142_931 Depth=1
	flat_load_dwordx2 v[17:18], v[15:16]
.LBB142_941:                            ;   in Loop: Header=BB142_931 Depth=1
	ds_read_b64 v[24:25], v20
	s_waitcnt vmcnt(0) lgkmcnt(0)
	v_fma_f64 v[11:12], v[17:18], v[24:25], v[11:12]
.LBB142_942:                            ;   in Loop: Header=BB142_931 Depth=1
	s_or_b64 exec, exec, s[30:31]
	v_add_u32_e32 v17, 16, v23
	v_cmp_gt_i32_e32 vcc, s7, v17
	s_and_b64 s[42:43], s[10:11], vcc
	s_and_saveexec_b64 s[30:31], s[42:43]
	s_cbranch_execz .LBB142_946
; %bb.943:                              ;   in Loop: Header=BB142_931 Depth=1
	v_mov_b32_e32 v18, v6
	s_and_b64 vcc, exec, s[8:9]
	v_mov_b32_e32 v17, v5
	s_cbranch_vccnz .LBB142_945
; %bb.944:                              ;   in Loop: Header=BB142_931 Depth=1
	v_mov_b32_e32 v18, s21
	v_add_co_u32_e32 v17, vcc, s20, v15
	v_addc_co_u32_e32 v18, vcc, v16, v18, vcc
	flat_load_dwordx2 v[17:18], v[17:18]
.LBB142_945:                            ;   in Loop: Header=BB142_931 Depth=1
	ds_read_b64 v[24:25], v20 offset:128
	s_waitcnt vmcnt(0) lgkmcnt(0)
	v_fma_f64 v[11:12], v[17:18], v[24:25], v[11:12]
.LBB142_946:                            ;   in Loop: Header=BB142_931 Depth=1
	s_or_b64 exec, exec, s[30:31]
	v_add_u32_e32 v17, 32, v23
	v_cmp_gt_i32_e32 vcc, s7, v17
	s_and_b64 s[42:43], s[10:11], vcc
	s_and_saveexec_b64 s[30:31], s[42:43]
	s_cbranch_execz .LBB142_950
; %bb.947:                              ;   in Loop: Header=BB142_931 Depth=1
	v_mov_b32_e32 v18, v10
	s_and_b64 vcc, exec, s[8:9]
	v_mov_b32_e32 v17, v9
	s_cbranch_vccnz .LBB142_949
; %bb.948:                              ;   in Loop: Header=BB142_931 Depth=1
	v_mov_b32_e32 v18, s25
	v_add_co_u32_e32 v17, vcc, s24, v15
	v_addc_co_u32_e32 v18, vcc, v16, v18, vcc
	flat_load_dwordx2 v[17:18], v[17:18]
.LBB142_949:                            ;   in Loop: Header=BB142_931 Depth=1
	ds_read_b64 v[24:25], v20 offset:256
	s_waitcnt vmcnt(0) lgkmcnt(0)
	v_fma_f64 v[11:12], v[17:18], v[24:25], v[11:12]
.LBB142_950:                            ;   in Loop: Header=BB142_931 Depth=1
	s_or_b64 exec, exec, s[30:31]
	v_add_u32_e32 v17, 48, v23
	v_cmp_gt_i32_e32 vcc, s7, v17
	s_and_b64 s[42:43], s[10:11], vcc
	s_and_saveexec_b64 s[30:31], s[42:43]
	s_cbranch_execz .LBB142_930
; %bb.951:                              ;   in Loop: Header=BB142_931 Depth=1
	v_mov_b32_e32 v18, v8
	s_and_b64 vcc, exec, s[8:9]
	v_mov_b32_e32 v17, v7
	s_cbranch_vccnz .LBB142_929
; %bb.952:                              ;   in Loop: Header=BB142_931 Depth=1
	v_mov_b32_e32 v17, s40
	v_add_co_u32_e32 v15, vcc, s41, v15
	v_addc_co_u32_e32 v16, vcc, v16, v17, vcc
	flat_load_dwordx2 v[17:18], v[15:16]
	s_branch .LBB142_929
.LBB142_953:
	v_lshl_add_u32 v1, v2, 6, v0
	s_xor_b64 s[2:3], s[22:23], -1
	s_xor_b64 s[4:5], s[34:35], -1
	v_lshlrev_b32_e32 v1, 3, v1
	ds_write_b64 v1, v[11:12] offset:32768
	s_waitcnt lgkmcnt(0)
	s_barrier
	s_and_saveexec_b64 s[6:7], s[0:1]
	s_cbranch_execz .LBB142_955
; %bb.954:
	v_lshlrev_b32_e32 v15, 3, v0
	ds_read2st64_b64 v[3:6], v15 offset0:65 offset1:66
	ds_read_b64 v[13:14], v15 offset:40448
	s_waitcnt lgkmcnt(1)
	v_add_f64 v[3:4], v[11:12], v[3:4]
	v_add_f64 v[11:12], v[3:4], v[5:6]
	ds_read2st64_b64 v[3:6], v15 offset0:67 offset1:68
	ds_read2st64_b64 v[7:10], v15 offset0:69 offset1:70
	s_waitcnt lgkmcnt(1)
	v_add_f64 v[3:4], v[11:12], v[3:4]
	v_add_f64 v[3:4], v[3:4], v[5:6]
	s_waitcnt lgkmcnt(0)
	v_add_f64 v[3:4], v[3:4], v[7:8]
	v_add_f64 v[11:12], v[3:4], v[9:10]
	ds_read2st64_b64 v[3:6], v15 offset0:71 offset1:72
	ds_read2st64_b64 v[7:10], v15 offset0:73 offset1:74
	s_waitcnt lgkmcnt(1)
	v_add_f64 v[3:4], v[11:12], v[3:4]
	v_add_f64 v[3:4], v[3:4], v[5:6]
	;; [unrolled: 8-line block ×3, first 2 shown]
	s_waitcnt lgkmcnt(0)
	v_add_f64 v[3:4], v[3:4], v[7:8]
	v_add_f64 v[3:4], v[3:4], v[9:10]
	;; [unrolled: 1-line block ×3, first 2 shown]
	v_xor_b32_e32 v4, 0x80000000, v4
	v_cndmask_b32_e64 v12, v4, 0, s[14:15]
	v_cndmask_b32_e64 v11, v3, 0, s[14:15]
.LBB142_955:
	s_or_b64 exec, exec, s[6:7]
	s_andn2_b64 vcc, exec, s[4:5]
	s_cbranch_vccnz .LBB142_968
; %bb.956:
	v_mov_b32_e32 v3, 0xa000
	v_lshl_or_b32 v5, v2, 3, v3
	s_and_saveexec_b64 s[4:5], s[0:1]
; %bb.957:
	v_lshl_add_u32 v3, v0, 3, v5
	ds_write_b64 v3, v[11:12]
; %bb.958:
	s_or_b64 exec, exec, s[4:5]
	v_mov_b32_e32 v3, 0
	v_mov_b32_e32 v4, 0
	v_cmp_ge_u32_e32 vcc, v0, v2
	s_waitcnt lgkmcnt(0)
	s_barrier
	s_and_saveexec_b64 s[4:5], vcc
	s_cbranch_execz .LBB142_960
; %bb.959:
	ds_read_b64 v[3:4], v1
	ds_read_b64 v[6:7], v5
	s_waitcnt lgkmcnt(0)
	v_fma_f64 v[3:4], v[3:4], v[6:7], 0
.LBB142_960:
	s_or_b64 exec, exec, s[4:5]
	v_add_u32_e32 v6, 16, v2
	v_cmp_ge_u32_e32 vcc, v0, v6
	s_and_saveexec_b64 s[4:5], vcc
	s_cbranch_execz .LBB142_962
; %bb.961:
	ds_read_b64 v[6:7], v1 offset:8192
	ds_read_b64 v[8:9], v5 offset:128
	s_waitcnt lgkmcnt(0)
	v_fma_f64 v[3:4], v[6:7], v[8:9], v[3:4]
.LBB142_962:
	s_or_b64 exec, exec, s[4:5]
	v_add_u32_e32 v6, 32, v2
	v_cmp_ge_u32_e32 vcc, v0, v6
	s_and_saveexec_b64 s[4:5], vcc
	s_cbranch_execz .LBB142_964
; %bb.963:
	ds_read_b64 v[6:7], v1 offset:16384
	ds_read_b64 v[8:9], v5 offset:256
	s_waitcnt lgkmcnt(0)
	v_fma_f64 v[3:4], v[6:7], v[8:9], v[3:4]
.LBB142_964:
	s_or_b64 exec, exec, s[4:5]
	v_add_u32_e32 v2, 48, v2
	v_add_u32_e32 v6, 0x8000, v1
	v_cmp_ge_u32_e32 vcc, v0, v2
	s_and_saveexec_b64 s[4:5], vcc
	s_cbranch_execz .LBB142_966
; %bb.965:
	ds_read_b64 v[1:2], v1 offset:24576
	ds_read_b64 v[7:8], v5 offset:384
	s_waitcnt lgkmcnt(0)
	v_fma_f64 v[3:4], v[1:2], v[7:8], v[3:4]
.LBB142_966:
	s_or_b64 exec, exec, s[4:5]
	s_mov_b64 s[6:7], 0
	s_mov_b64 s[4:5], 0
	ds_write_b64 v6, v[3:4]
	s_waitcnt lgkmcnt(0)
	s_barrier
                                        ; implicit-def: $vgpr5_vgpr6
                                        ; implicit-def: $vgpr1_vgpr2
	s_and_saveexec_b64 s[8:9], s[0:1]
	s_cbranch_execz .LBB142_1025
; %bb.967:
	v_lshlrev_b32_e32 v15, 3, v0
	ds_read2st64_b64 v[5:8], v15 offset0:65 offset1:66
	ds_read_b64 v[9:10], v15 offset:40448
	s_mov_b64 s[4:5], exec
	s_waitcnt lgkmcnt(1)
	v_add_f64 v[1:2], v[3:4], v[5:6]
	v_add_f64 v[13:14], v[7:8], v[1:2]
	ds_read2st64_b64 v[1:4], v15 offset0:67 offset1:68
	ds_read2st64_b64 v[5:8], v15 offset0:69 offset1:70
	s_waitcnt lgkmcnt(1)
	v_add_f64 v[1:2], v[1:2], v[13:14]
	v_add_f64 v[1:2], v[3:4], v[1:2]
	s_waitcnt lgkmcnt(0)
	v_add_f64 v[1:2], v[5:6], v[1:2]
	v_add_f64 v[13:14], v[7:8], v[1:2]
	ds_read2st64_b64 v[1:4], v15 offset0:71 offset1:72
	ds_read2st64_b64 v[5:8], v15 offset0:73 offset1:74
	s_waitcnt lgkmcnt(1)
	v_add_f64 v[1:2], v[1:2], v[13:14]
	v_add_f64 v[1:2], v[3:4], v[1:2]
	;; [unrolled: 8-line block ×3, first 2 shown]
	s_waitcnt lgkmcnt(0)
	v_add_f64 v[1:2], v[5:6], v[1:2]
	v_add_f64 v[3:4], v[7:8], v[1:2]
	v_add_u32_e32 v7, s33, v19
	v_mad_u64_u32 v[1:2], s[10:11], s26, v7, 0
	v_add_f64 v[5:6], v[9:10], v[3:4]
	v_mad_u64_u32 v[2:3], s[10:11], s27, v7, v[2:3]
	s_or_b64 exec, exec, s[8:9]
	s_and_b64 vcc, exec, s[6:7]
	s_cbranch_vccnz .LBB142_969
	s_branch .LBB142_1026
.LBB142_968:
	s_mov_b64 s[4:5], 0
                                        ; implicit-def: $vgpr5_vgpr6
                                        ; implicit-def: $vgpr1_vgpr2
	s_cbranch_execz .LBB142_1026
.LBB142_969:
	v_mul_u32_u24_e32 v1, 0x208, v0
	v_lshlrev_b32_e32 v2, 9, v0
	v_sub_u32_e32 v2, v1, v2
	s_mov_b32 s8, 0
	v_mov_b32_e32 v3, 0
	v_mov_b32_e32 v4, v0
	s_branch .LBB142_971
.LBB142_970:                            ;   in Loop: Header=BB142_971 Depth=1
	s_or_b64 exec, exec, s[6:7]
	s_add_i32 s8, s8, 4
	v_add_u32_e32 v2, 0x800, v2
	s_cmp_lg_u32 s8, 64
	v_add_u32_e32 v4, -4, v4
	s_barrier
	s_cbranch_scc0 .LBB142_987
.LBB142_971:                            ; =>This Inner Loop Header: Depth=1
	v_cmp_eq_u32_e32 vcc, 0, v4
	s_and_b64 s[10:11], s[0:1], vcc
	s_and_saveexec_b64 s[6:7], s[10:11]
	s_cbranch_execz .LBB142_973
; %bb.972:                              ;   in Loop: Header=BB142_971 Depth=1
	ds_read_b64 v[5:6], v1
	s_waitcnt lgkmcnt(0)
	v_mul_f64 v[11:12], v[11:12], v[5:6]
	ds_write_b64 v3, v[11:12] offset:41472
.LBB142_973:                            ;   in Loop: Header=BB142_971 Depth=1
	s_or_b64 exec, exec, s[6:7]
	v_cmp_lt_u32_e32 vcc, s8, v0
	s_and_b64 s[10:11], s[0:1], vcc
	s_waitcnt lgkmcnt(0)
	s_barrier
	s_and_saveexec_b64 s[6:7], s[10:11]
	s_cbranch_execz .LBB142_975
; %bb.974:                              ;   in Loop: Header=BB142_971 Depth=1
	ds_read_b64 v[5:6], v2
	ds_read_b64 v[7:8], v3 offset:41472
	s_waitcnt lgkmcnt(0)
	v_fma_f64 v[11:12], v[5:6], v[7:8], v[11:12]
.LBB142_975:                            ;   in Loop: Header=BB142_971 Depth=1
	s_or_b64 exec, exec, s[6:7]
	s_or_b32 s9, s8, 1
	v_cmp_eq_u32_e32 vcc, s9, v0
	s_and_b64 s[10:11], s[0:1], vcc
	s_barrier
	s_and_saveexec_b64 s[6:7], s[10:11]
	s_cbranch_execz .LBB142_977
; %bb.976:                              ;   in Loop: Header=BB142_971 Depth=1
	ds_read_b64 v[5:6], v1
	s_waitcnt lgkmcnt(0)
	v_mul_f64 v[11:12], v[11:12], v[5:6]
	ds_write_b64 v3, v[11:12] offset:41472
.LBB142_977:                            ;   in Loop: Header=BB142_971 Depth=1
	s_or_b64 exec, exec, s[6:7]
	v_cmp_lt_u32_e32 vcc, s9, v0
	s_and_b64 s[10:11], s[0:1], vcc
	s_waitcnt lgkmcnt(0)
	s_barrier
	s_and_saveexec_b64 s[6:7], s[10:11]
	s_cbranch_execz .LBB142_979
; %bb.978:                              ;   in Loop: Header=BB142_971 Depth=1
	ds_read_b64 v[5:6], v2 offset:512
	ds_read_b64 v[7:8], v3 offset:41472
	s_waitcnt lgkmcnt(0)
	v_fma_f64 v[11:12], v[5:6], v[7:8], v[11:12]
.LBB142_979:                            ;   in Loop: Header=BB142_971 Depth=1
	s_or_b64 exec, exec, s[6:7]
	s_or_b32 s9, s8, 2
	v_cmp_eq_u32_e32 vcc, s9, v0
	s_and_b64 s[10:11], s[0:1], vcc
	s_barrier
	s_and_saveexec_b64 s[6:7], s[10:11]
	s_cbranch_execz .LBB142_981
; %bb.980:                              ;   in Loop: Header=BB142_971 Depth=1
	ds_read_b64 v[5:6], v1
	s_waitcnt lgkmcnt(0)
	v_mul_f64 v[11:12], v[11:12], v[5:6]
	ds_write_b64 v3, v[11:12] offset:41472
.LBB142_981:                            ;   in Loop: Header=BB142_971 Depth=1
	s_or_b64 exec, exec, s[6:7]
	v_cmp_lt_u32_e32 vcc, s9, v0
	s_and_b64 s[10:11], s[0:1], vcc
	s_waitcnt lgkmcnt(0)
	s_barrier
	s_and_saveexec_b64 s[6:7], s[10:11]
	s_cbranch_execz .LBB142_983
; %bb.982:                              ;   in Loop: Header=BB142_971 Depth=1
	ds_read_b64 v[5:6], v2 offset:1024
	ds_read_b64 v[7:8], v3 offset:41472
	s_waitcnt lgkmcnt(0)
	v_fma_f64 v[11:12], v[5:6], v[7:8], v[11:12]
.LBB142_983:                            ;   in Loop: Header=BB142_971 Depth=1
	s_or_b64 exec, exec, s[6:7]
	s_or_b32 s9, s8, 3
	v_cmp_eq_u32_e32 vcc, s9, v0
	s_and_b64 s[10:11], s[0:1], vcc
	s_barrier
	s_and_saveexec_b64 s[6:7], s[10:11]
	s_cbranch_execz .LBB142_985
; %bb.984:                              ;   in Loop: Header=BB142_971 Depth=1
	ds_read_b64 v[5:6], v1
	s_waitcnt lgkmcnt(0)
	v_mul_f64 v[11:12], v[11:12], v[5:6]
	ds_write_b64 v3, v[11:12] offset:41472
.LBB142_985:                            ;   in Loop: Header=BB142_971 Depth=1
	s_or_b64 exec, exec, s[6:7]
	v_cmp_lt_u32_e32 vcc, s9, v0
	s_and_b64 s[10:11], s[0:1], vcc
	s_waitcnt lgkmcnt(0)
	s_barrier
	s_and_saveexec_b64 s[6:7], s[10:11]
	s_cbranch_execz .LBB142_970
; %bb.986:                              ;   in Loop: Header=BB142_971 Depth=1
	ds_read_b64 v[5:6], v2 offset:1536
	ds_read_b64 v[7:8], v3 offset:41472
	s_waitcnt lgkmcnt(0)
	v_fma_f64 v[11:12], v[5:6], v[7:8], v[11:12]
	s_branch .LBB142_970
.LBB142_987:
	s_and_b64 vcc, exec, s[2:3]
	s_cbranch_vccz .LBB142_1027
; %bb.988:
	s_and_b64 s[2:3], s[0:1], exec
	s_cbranch_execz .LBB142_1028
	s_branch .LBB142_1029
.LBB142_989:
	v_cmp_ne_u32_e32 vcc, v0, v2
	s_and_saveexec_b64 s[8:9], vcc
	s_xor_b64 s[8:9], exec, s[8:9]
; %bb.990:
	v_or_b32_e32 v1, v2, v0
	v_cmp_gt_u32_e32 vcc, 64, v1
	s_and_b64 s[2:3], vcc, exec
                                        ; implicit-def: $vgpr15_vgpr16
; %bb.991:
	s_or_saveexec_b64 s[8:9], s[8:9]
	v_mov_b32_e32 v13, 0
	v_mov_b32_e32 v14, 0
	s_xor_b64 exec, exec, s[8:9]
	s_cbranch_execz .LBB142_993
; %bb.992:
	v_lshlrev_b64 v[13:14], 3, v[15:16]
	v_mov_b32_e32 v1, s94
	v_add_co_u32_e32 v13, vcc, s93, v13
	v_addc_co_u32_e32 v14, vcc, v1, v14, vcc
	flat_load_dwordx2 v[13:14], v[13:14]
	s_or_b64 s[2:3], s[2:3], exec
	s_waitcnt vmcnt(0) lgkmcnt(0)
	v_div_scale_f64 v[15:16], s[10:11], v[13:14], v[13:14], 1.0
	v_div_scale_f64 v[21:22], vcc, 1.0, v[13:14], 1.0
	v_rcp_f64_e32 v[17:18], v[15:16]
	v_fma_f64 v[19:20], -v[15:16], v[17:18], 1.0
	v_fma_f64 v[17:18], v[17:18], v[19:20], v[17:18]
	v_fma_f64 v[19:20], -v[15:16], v[17:18], 1.0
	v_fma_f64 v[17:18], v[17:18], v[19:20], v[17:18]
	v_mul_f64 v[19:20], v[21:22], v[17:18]
	v_fma_f64 v[15:16], -v[15:16], v[19:20], v[21:22]
	v_div_fmas_f64 v[15:16], v[15:16], v[17:18], v[19:20]
	v_div_fixup_f64 v[13:14], v[15:16], v[13:14], 1.0
.LBB142_993:
	s_or_b64 exec, exec, s[8:9]
	s_and_b64 s[2:3], s[2:3], exec
                                        ; implicit-def: $vgpr15_vgpr16
	s_andn2_saveexec_b64 s[0:1], s[0:1]
	s_cbranch_execz .LBB142_14
.LBB142_994:
	v_lshlrev_b64 v[13:14], 3, v[15:16]
	v_mov_b32_e32 v1, s94
	v_add_co_u32_e32 v13, vcc, s93, v13
	v_addc_co_u32_e32 v14, vcc, v1, v14, vcc
	flat_load_dwordx2 v[13:14], v[13:14]
	s_or_b64 s[2:3], s[2:3], exec
	s_waitcnt vmcnt(0) lgkmcnt(0)
	v_xor_b32_e32 v14, 0x80000000, v14
	s_or_b64 exec, exec, s[0:1]
	s_and_saveexec_b64 s[0:1], s[2:3]
	s_cbranch_execnz .LBB142_15
	s_branch .LBB142_16
.LBB142_995:
	v_cmp_ne_u32_e32 vcc, v0, v1
	s_and_saveexec_b64 s[8:9], vcc
	s_xor_b64 s[8:9], exec, s[8:9]
; %bb.996:
	v_or_b32_e32 v13, v1, v0
	v_cmp_gt_u32_e32 vcc, 64, v13
	s_and_b64 s[2:3], vcc, exec
                                        ; implicit-def: $vgpr15_vgpr16
; %bb.997:
	s_or_saveexec_b64 s[8:9], s[8:9]
	v_mov_b32_e32 v13, 0
	v_mov_b32_e32 v14, 0
	s_xor_b64 exec, exec, s[8:9]
	s_cbranch_execz .LBB142_999
; %bb.998:
	v_lshlrev_b64 v[13:14], 3, v[15:16]
	v_mov_b32_e32 v15, s94
	v_add_co_u32_e32 v13, vcc, s93, v13
	v_addc_co_u32_e32 v14, vcc, v15, v14, vcc
	flat_load_dwordx2 v[13:14], v[13:14]
	s_or_b64 s[2:3], s[2:3], exec
	s_waitcnt vmcnt(0) lgkmcnt(0)
	v_div_scale_f64 v[15:16], s[10:11], v[13:14], v[13:14], 1.0
	v_div_scale_f64 v[21:22], vcc, 1.0, v[13:14], 1.0
	v_rcp_f64_e32 v[17:18], v[15:16]
	v_fma_f64 v[19:20], -v[15:16], v[17:18], 1.0
	v_fma_f64 v[17:18], v[17:18], v[19:20], v[17:18]
	v_fma_f64 v[19:20], -v[15:16], v[17:18], 1.0
	v_fma_f64 v[17:18], v[17:18], v[19:20], v[17:18]
	v_mul_f64 v[19:20], v[21:22], v[17:18]
	v_fma_f64 v[15:16], -v[15:16], v[19:20], v[21:22]
	v_div_fmas_f64 v[15:16], v[15:16], v[17:18], v[19:20]
	v_div_fixup_f64 v[13:14], v[15:16], v[13:14], 1.0
.LBB142_999:
	s_or_b64 exec, exec, s[8:9]
	s_and_b64 s[2:3], s[2:3], exec
                                        ; implicit-def: $vgpr15_vgpr16
	s_andn2_saveexec_b64 s[0:1], s[0:1]
	s_cbranch_execz .LBB142_18
.LBB142_1000:
	v_lshlrev_b64 v[13:14], 3, v[15:16]
	v_mov_b32_e32 v15, s94
	v_add_co_u32_e32 v13, vcc, s93, v13
	v_addc_co_u32_e32 v14, vcc, v15, v14, vcc
	flat_load_dwordx2 v[13:14], v[13:14]
	s_or_b64 s[2:3], s[2:3], exec
	s_waitcnt vmcnt(0) lgkmcnt(0)
	v_xor_b32_e32 v14, 0x80000000, v14
	s_or_b64 exec, exec, s[0:1]
	s_and_saveexec_b64 s[0:1], s[2:3]
	s_cbranch_execnz .LBB142_19
	s_branch .LBB142_20
.LBB142_1001:
	v_cmp_ne_u32_e32 vcc, v0, v1
	s_and_saveexec_b64 s[8:9], vcc
	s_xor_b64 s[8:9], exec, s[8:9]
; %bb.1002:
	v_or_b32_e32 v13, v1, v0
	v_cmp_gt_u32_e32 vcc, 64, v13
	s_and_b64 s[2:3], vcc, exec
                                        ; implicit-def: $vgpr15_vgpr16
; %bb.1003:
	s_or_saveexec_b64 s[8:9], s[8:9]
	v_mov_b32_e32 v13, 0
	v_mov_b32_e32 v14, 0
	s_xor_b64 exec, exec, s[8:9]
	s_cbranch_execz .LBB142_1005
; %bb.1004:
	v_lshlrev_b64 v[13:14], 3, v[15:16]
	v_mov_b32_e32 v15, s94
	v_add_co_u32_e32 v13, vcc, s93, v13
	v_addc_co_u32_e32 v14, vcc, v15, v14, vcc
	flat_load_dwordx2 v[13:14], v[13:14]
	s_or_b64 s[2:3], s[2:3], exec
	s_waitcnt vmcnt(0) lgkmcnt(0)
	v_div_scale_f64 v[15:16], s[10:11], v[13:14], v[13:14], 1.0
	v_div_scale_f64 v[21:22], vcc, 1.0, v[13:14], 1.0
	v_rcp_f64_e32 v[17:18], v[15:16]
	v_fma_f64 v[19:20], -v[15:16], v[17:18], 1.0
	v_fma_f64 v[17:18], v[17:18], v[19:20], v[17:18]
	v_fma_f64 v[19:20], -v[15:16], v[17:18], 1.0
	v_fma_f64 v[17:18], v[17:18], v[19:20], v[17:18]
	v_mul_f64 v[19:20], v[21:22], v[17:18]
	v_fma_f64 v[15:16], -v[15:16], v[19:20], v[21:22]
	v_div_fmas_f64 v[15:16], v[15:16], v[17:18], v[19:20]
	v_div_fixup_f64 v[13:14], v[15:16], v[13:14], 1.0
.LBB142_1005:
	s_or_b64 exec, exec, s[8:9]
	s_and_b64 s[2:3], s[2:3], exec
                                        ; implicit-def: $vgpr15_vgpr16
	s_andn2_saveexec_b64 s[0:1], s[0:1]
	s_cbranch_execz .LBB142_22
.LBB142_1006:
	v_lshlrev_b64 v[13:14], 3, v[15:16]
	v_mov_b32_e32 v15, s94
	v_add_co_u32_e32 v13, vcc, s93, v13
	v_addc_co_u32_e32 v14, vcc, v15, v14, vcc
	flat_load_dwordx2 v[13:14], v[13:14]
	s_or_b64 s[2:3], s[2:3], exec
	s_waitcnt vmcnt(0) lgkmcnt(0)
	v_xor_b32_e32 v14, 0x80000000, v14
	s_or_b64 exec, exec, s[0:1]
	s_and_saveexec_b64 s[0:1], s[2:3]
	s_cbranch_execnz .LBB142_23
	s_branch .LBB142_24
.LBB142_1007:
	v_cmp_ne_u32_e32 vcc, v0, v2
	s_xor_b64 s[10:11], s[0:1], -1
	s_or_b64 s[12:13], s[10:11], vcc
	s_mov_b64 s[10:11], 0
	s_and_saveexec_b64 s[14:15], s[12:13]
	s_xor_b64 s[12:13], exec, s[14:15]
; %bb.1008:
	v_or_b32_e32 v1, v2, v0
	v_cmp_gt_u32_e32 vcc, 64, v1
	s_and_b64 s[10:11], vcc, exec
                                        ; implicit-def: $vgpr13_vgpr14
; %bb.1009:
	s_or_saveexec_b64 s[12:13], s[12:13]
	v_mov_b32_e32 v15, 0
	v_mov_b32_e32 v16, 0
	s_xor_b64 exec, exec, s[12:13]
	s_cbranch_execz .LBB142_1011
; %bb.1010:
	v_lshlrev_b64 v[13:14], 3, v[13:14]
	v_mov_b32_e32 v1, s94
	v_add_co_u32_e32 v13, vcc, s93, v13
	v_addc_co_u32_e32 v14, vcc, v1, v14, vcc
	flat_load_dwordx2 v[13:14], v[13:14]
	s_or_b64 s[10:11], s[10:11], exec
	s_waitcnt vmcnt(0) lgkmcnt(0)
	v_div_scale_f64 v[15:16], s[14:15], v[13:14], v[13:14], 1.0
	v_div_scale_f64 v[21:22], vcc, 1.0, v[13:14], 1.0
	v_rcp_f64_e32 v[17:18], v[15:16]
	v_fma_f64 v[19:20], -v[15:16], v[17:18], 1.0
	v_fma_f64 v[17:18], v[17:18], v[19:20], v[17:18]
	v_fma_f64 v[19:20], -v[15:16], v[17:18], 1.0
	v_fma_f64 v[17:18], v[17:18], v[19:20], v[17:18]
	v_mul_f64 v[19:20], v[21:22], v[17:18]
	v_fma_f64 v[15:16], -v[15:16], v[19:20], v[21:22]
	v_div_fmas_f64 v[15:16], v[15:16], v[17:18], v[19:20]
	v_div_fixup_f64 v[15:16], v[15:16], v[13:14], 1.0
.LBB142_1011:
	s_or_b64 exec, exec, s[12:13]
	s_and_b64 s[10:11], s[10:11], exec
                                        ; implicit-def: $vgpr13_vgpr14
	s_andn2_saveexec_b64 s[2:3], s[2:3]
	s_cbranch_execz .LBB142_36
.LBB142_1012:
	v_lshlrev_b64 v[13:14], 3, v[13:14]
	v_mov_b32_e32 v1, s94
	v_add_co_u32_e32 v13, vcc, s93, v13
	v_addc_co_u32_e32 v14, vcc, v1, v14, vcc
	flat_load_dwordx2 v[15:16], v[13:14]
	s_or_b64 s[10:11], s[10:11], exec
	s_waitcnt vmcnt(0) lgkmcnt(0)
	v_xor_b32_e32 v16, 0x80000000, v16
	s_or_b64 exec, exec, s[2:3]
	s_and_saveexec_b64 s[2:3], s[10:11]
	s_cbranch_execnz .LBB142_37
	s_branch .LBB142_38
.LBB142_1013:
	v_cmp_ne_u32_e32 vcc, v0, v1
	s_xor_b64 s[10:11], s[0:1], -1
	s_or_b64 s[12:13], s[10:11], vcc
	s_mov_b64 s[10:11], 0
	s_and_saveexec_b64 s[14:15], s[12:13]
	s_xor_b64 s[12:13], exec, s[14:15]
; %bb.1014:
	v_or_b32_e32 v13, v1, v0
	v_cmp_gt_u32_e32 vcc, 64, v13
	s_and_b64 s[10:11], vcc, exec
                                        ; implicit-def: $vgpr13_vgpr14
; %bb.1015:
	s_or_saveexec_b64 s[12:13], s[12:13]
	v_mov_b32_e32 v15, 0
	v_mov_b32_e32 v16, 0
	s_xor_b64 exec, exec, s[12:13]
	s_cbranch_execz .LBB142_1017
; %bb.1016:
	v_lshlrev_b64 v[13:14], 3, v[13:14]
	v_mov_b32_e32 v15, s94
	v_add_co_u32_e32 v13, vcc, s93, v13
	v_addc_co_u32_e32 v14, vcc, v15, v14, vcc
	flat_load_dwordx2 v[13:14], v[13:14]
	s_or_b64 s[10:11], s[10:11], exec
	s_waitcnt vmcnt(0) lgkmcnt(0)
	v_div_scale_f64 v[15:16], s[14:15], v[13:14], v[13:14], 1.0
	v_div_scale_f64 v[21:22], vcc, 1.0, v[13:14], 1.0
	v_rcp_f64_e32 v[17:18], v[15:16]
	v_fma_f64 v[19:20], -v[15:16], v[17:18], 1.0
	v_fma_f64 v[17:18], v[17:18], v[19:20], v[17:18]
	v_fma_f64 v[19:20], -v[15:16], v[17:18], 1.0
	v_fma_f64 v[17:18], v[17:18], v[19:20], v[17:18]
	v_mul_f64 v[19:20], v[21:22], v[17:18]
	v_fma_f64 v[15:16], -v[15:16], v[19:20], v[21:22]
	v_div_fmas_f64 v[15:16], v[15:16], v[17:18], v[19:20]
	v_div_fixup_f64 v[15:16], v[15:16], v[13:14], 1.0
.LBB142_1017:
	s_or_b64 exec, exec, s[12:13]
	s_and_b64 s[10:11], s[10:11], exec
                                        ; implicit-def: $vgpr13_vgpr14
	s_andn2_saveexec_b64 s[2:3], s[2:3]
	s_cbranch_execz .LBB142_40
.LBB142_1018:
	v_lshlrev_b64 v[13:14], 3, v[13:14]
	v_mov_b32_e32 v15, s94
	v_add_co_u32_e32 v13, vcc, s93, v13
	v_addc_co_u32_e32 v14, vcc, v15, v14, vcc
	flat_load_dwordx2 v[15:16], v[13:14]
	s_or_b64 s[10:11], s[10:11], exec
	s_waitcnt vmcnt(0) lgkmcnt(0)
	v_xor_b32_e32 v16, 0x80000000, v16
	s_or_b64 exec, exec, s[2:3]
	s_and_saveexec_b64 s[2:3], s[10:11]
	s_cbranch_execnz .LBB142_41
	s_branch .LBB142_42
.LBB142_1019:
	v_cmp_ne_u32_e32 vcc, v0, v1
	s_xor_b64 s[10:11], s[0:1], -1
	s_or_b64 s[12:13], s[10:11], vcc
	s_mov_b64 s[10:11], 0
	s_and_saveexec_b64 s[14:15], s[12:13]
	s_xor_b64 s[12:13], exec, s[14:15]
; %bb.1020:
	v_or_b32_e32 v13, v1, v0
	v_cmp_gt_u32_e32 vcc, 64, v13
	s_and_b64 s[10:11], vcc, exec
                                        ; implicit-def: $vgpr13_vgpr14
; %bb.1021:
	s_or_saveexec_b64 s[12:13], s[12:13]
	v_mov_b32_e32 v15, 0
	v_mov_b32_e32 v16, 0
	s_xor_b64 exec, exec, s[12:13]
	s_cbranch_execz .LBB142_1023
; %bb.1022:
	v_lshlrev_b64 v[13:14], 3, v[13:14]
	v_mov_b32_e32 v15, s94
	v_add_co_u32_e32 v13, vcc, s93, v13
	v_addc_co_u32_e32 v14, vcc, v15, v14, vcc
	flat_load_dwordx2 v[13:14], v[13:14]
	s_or_b64 s[10:11], s[10:11], exec
	s_waitcnt vmcnt(0) lgkmcnt(0)
	v_div_scale_f64 v[15:16], s[14:15], v[13:14], v[13:14], 1.0
	v_div_scale_f64 v[21:22], vcc, 1.0, v[13:14], 1.0
	v_rcp_f64_e32 v[17:18], v[15:16]
	v_fma_f64 v[19:20], -v[15:16], v[17:18], 1.0
	v_fma_f64 v[17:18], v[17:18], v[19:20], v[17:18]
	v_fma_f64 v[19:20], -v[15:16], v[17:18], 1.0
	v_fma_f64 v[17:18], v[17:18], v[19:20], v[17:18]
	v_mul_f64 v[19:20], v[21:22], v[17:18]
	v_fma_f64 v[15:16], -v[15:16], v[19:20], v[21:22]
	v_div_fmas_f64 v[15:16], v[15:16], v[17:18], v[19:20]
	v_div_fixup_f64 v[15:16], v[15:16], v[13:14], 1.0
.LBB142_1023:
	s_or_b64 exec, exec, s[12:13]
	s_and_b64 s[10:11], s[10:11], exec
                                        ; implicit-def: $vgpr13_vgpr14
	s_andn2_saveexec_b64 s[2:3], s[2:3]
	s_cbranch_execz .LBB142_44
.LBB142_1024:
	v_lshlrev_b64 v[13:14], 3, v[13:14]
	v_mov_b32_e32 v15, s94
	v_add_co_u32_e32 v13, vcc, s93, v13
	v_addc_co_u32_e32 v14, vcc, v15, v14, vcc
	flat_load_dwordx2 v[15:16], v[13:14]
	s_or_b64 s[10:11], s[10:11], exec
	s_waitcnt vmcnt(0) lgkmcnt(0)
	v_xor_b32_e32 v16, 0x80000000, v16
	s_or_b64 exec, exec, s[2:3]
	s_and_saveexec_b64 s[2:3], s[10:11]
	s_cbranch_execnz .LBB142_45
	s_branch .LBB142_46
.LBB142_1025:
	s_or_b64 exec, exec, s[8:9]
	s_and_b64 vcc, exec, s[6:7]
	s_cbranch_vccnz .LBB142_969
.LBB142_1026:
	v_mov_b32_e32 v12, v6
	v_mov_b32_e32 v11, v5
	s_and_saveexec_b64 s[0:1], s[4:5]
	s_cbranch_execnz .LBB142_1032
	s_branch .LBB142_1033
.LBB142_1027:
	s_mov_b64 s[2:3], 0
.LBB142_1028:
	v_cmp_gt_i32_e32 vcc, s92, v0
	s_and_b64 s[0:1], s[0:1], vcc
	s_andn2_b64 s[2:3], s[2:3], exec
	s_and_b64 s[0:1], s[0:1], exec
	s_or_b64 s[2:3], s[2:3], s[0:1]
.LBB142_1029:
                                        ; implicit-def: $vgpr1_vgpr2
	s_and_saveexec_b64 s[0:1], s[2:3]
	s_cbranch_execz .LBB142_1031
; %bb.1030:
	v_mov_b32_e32 v0, s52
	v_add_co_u32_e32 v1, vcc, s33, v19
	v_addc_co_u32_e32 v0, vcc, 0, v0, vcc
	v_mul_lo_u32 v0, v0, s26
	v_mul_lo_u32 v3, v1, s27
	v_mad_u64_u32 v[1:2], s[2:3], v1, s26, 0
	s_or_b64 s[4:5], s[4:5], exec
	v_add3_u32 v2, v2, v3, v0
.LBB142_1031:
	s_or_b64 exec, exec, s[0:1]
	s_and_saveexec_b64 s[0:1], s[4:5]
	s_cbranch_execz .LBB142_1033
.LBB142_1032:
	v_lshlrev_b64 v[0:1], 3, v[1:2]
	v_mov_b32_e32 v2, s37
	v_add_co_u32_e32 v0, vcc, s36, v0
	v_addc_co_u32_e32 v1, vcc, v2, v1, vcc
	flat_store_dwordx2 v[0:1], v[11:12]
.LBB142_1033:
	s_or_b64 exec, exec, s[0:1]
	v_cmp_eq_u32_e32 vcc, 0, v19
	s_waitcnt vmcnt(0) lgkmcnt(0)
	buffer_wbinvl1_vol
	s_barrier
	s_and_saveexec_b64 s[0:1], vcc
	s_cbranch_execz .LBB142_1035
; %bb.1034:
	s_lshl_b64 s[2:3], s[18:19], 2
	s_add_u32 s2, s12, s2
	s_addc_u32 s3, s13, s3
	v_mov_b32_e32 v0, 0
	global_load_dword v1, v0, s[2:3]
	s_waitcnt vmcnt(0)
	v_add_u32_e32 v1, 1, v1
	global_store_dword v0, v1, s[2:3]
.LBB142_1035:
	s_or_b64 exec, exec, s[0:1]
	s_waitcnt vmcnt(0)
	buffer_wbinvl1_vol
	s_endpgm
.LBB142_1036:
	v_lshlrev_b32_e32 v21, 3, v20
	v_sub_u32_e32 v21, v18, v21
	v_lshl_add_u32 v21, v19, 3, v21
	ds_read_b64 v[21:22], v21 offset:544
	ds_read_b64 v[23:24], v18 offset:8
	s_waitcnt lgkmcnt(0)
	v_fma_f64 v[11:12], v[21:22], v[23:24], v[11:12]
	s_or_b64 exec, exec, s[14:15]
	v_cmp_gt_u32_e64 s[10:11], 8, v14
	s_and_saveexec_b64 s[14:15], s[10:11]
	s_cbranch_execz .LBB142_77
.LBB142_1037:
	ds_read_b64 v[21:22], v16 offset:1056
	ds_read_b64 v[23:24], v18 offset:16
	s_waitcnt lgkmcnt(0)
	v_fma_f64 v[11:12], v[21:22], v[23:24], v[11:12]
	s_or_b64 exec, exec, s[14:15]
	v_cmp_gt_u32_e64 s[10:11], 4, v14
	s_and_saveexec_b64 s[14:15], s[10:11]
	s_cbranch_execnz .LBB142_78
	s_branch .LBB142_79
.LBB142_1038:
	v_lshlrev_b32_e32 v26, 3, v25
	v_sub_u32_e32 v26, v23, v26
	v_lshl_add_u32 v26, v24, 3, v26
	ds_read_b64 v[26:27], v26 offset:576
	ds_read_b64 v[28:29], v23 offset:8
	s_waitcnt lgkmcnt(0)
	v_fma_f64 v[11:12], v[26:27], v[28:29], v[11:12]
	s_or_b64 exec, exec, s[16:17]
	v_cmp_gt_u32_e64 s[10:11], 48, v14
	s_and_saveexec_b64 s[16:17], s[10:11]
	s_cbranch_execz .LBB142_115
.LBB142_1039:
	v_lshlrev_b32_e32 v26, 3, v25
	v_sub_u32_e32 v26, v23, v26
	v_lshl_add_u32 v26, v24, 3, v26
	ds_read_b64 v[26:27], v26 offset:1088
	ds_read_b64 v[28:29], v23 offset:16
	s_waitcnt lgkmcnt(0)
	v_fma_f64 v[11:12], v[26:27], v[28:29], v[11:12]
	s_or_b64 exec, exec, s[16:17]
	v_cmp_gt_u32_e64 s[10:11], 40, v14
	s_and_saveexec_b64 s[16:17], s[10:11]
	s_cbranch_execz .LBB142_116
.LBB142_1040:
	v_lshlrev_b32_e32 v26, 3, v25
	v_sub_u32_e32 v26, v23, v26
	v_lshl_add_u32 v26, v24, 3, v26
	ds_read_b64 v[26:27], v26 offset:1600
	ds_read_b64 v[28:29], v23 offset:24
	s_waitcnt lgkmcnt(0)
	v_fma_f64 v[11:12], v[26:27], v[28:29], v[11:12]
	s_or_b64 exec, exec, s[16:17]
	v_cmp_gt_u32_e64 s[10:11], 32, v14
	s_and_saveexec_b64 s[16:17], s[10:11]
	s_cbranch_execz .LBB142_117
.LBB142_1041:
	ds_read_b64 v[26:27], v21 offset:2112
	ds_read_b64 v[28:29], v23 offset:32
	s_waitcnt lgkmcnt(0)
	v_fma_f64 v[11:12], v[26:27], v[28:29], v[11:12]
	s_or_b64 exec, exec, s[16:17]
	v_cmp_gt_u32_e64 s[10:11], 24, v14
	s_and_saveexec_b64 s[16:17], s[10:11]
	s_cbranch_execz .LBB142_118
.LBB142_1042:
	v_lshlrev_b32_e32 v26, 3, v25
	v_sub_u32_e32 v26, v23, v26
	v_lshl_add_u32 v26, v24, 3, v26
	ds_read_b64 v[26:27], v26 offset:2624
	ds_read_b64 v[28:29], v23 offset:40
	s_waitcnt lgkmcnt(0)
	v_fma_f64 v[11:12], v[26:27], v[28:29], v[11:12]
	s_or_b64 exec, exec, s[16:17]
	v_cmp_gt_u32_e64 s[10:11], 16, v14
	s_and_saveexec_b64 s[16:17], s[10:11]
	s_cbranch_execz .LBB142_119
.LBB142_1043:
	ds_read_b64 v[26:27], v21 offset:3136
	ds_read_b64 v[28:29], v23 offset:48
	s_waitcnt lgkmcnt(0)
	v_fma_f64 v[11:12], v[26:27], v[28:29], v[11:12]
	s_or_b64 exec, exec, s[16:17]
	v_cmp_gt_u32_e64 s[10:11], 8, v14
	s_and_saveexec_b64 s[16:17], s[10:11]
	s_cbranch_execnz .LBB142_120
	s_branch .LBB142_121
.LBB142_1044:
	v_lshlrev_b32_e32 v27, 3, v20
	v_sub_u32_e32 v27, v26, v27
	v_lshl_add_u32 v27, v19, 3, v27
	ds_read_b64 v[27:28], v27 offset:4704
	ds_read_b64 v[29:30], v26 offset:4168
	s_waitcnt lgkmcnt(0)
	v_fma_f64 v[11:12], v[27:28], v[29:30], v[11:12]
	s_or_b64 exec, exec, s[12:13]
	v_cmp_gt_u32_e64 s[8:9], 8, v14
	s_and_saveexec_b64 s[12:13], s[8:9]
	s_cbranch_execz .LBB142_173
.LBB142_1045:
	ds_read_b64 v[27:28], v16 offset:5216
	ds_read_b64 v[29:30], v26 offset:4176
	s_waitcnt lgkmcnt(0)
	v_fma_f64 v[11:12], v[27:28], v[29:30], v[11:12]
	s_or_b64 exec, exec, s[12:13]
	v_cmp_gt_u32_e64 s[8:9], 4, v14
	s_and_saveexec_b64 s[12:13], s[8:9]
	s_cbranch_execnz .LBB142_174
	s_branch .LBB142_175
.LBB142_1046:
	v_lshlrev_b32_e32 v31, 3, v27
	v_lshl_add_u32 v31, v29, 3, v31
	ds_read_b64 v[31:32], v31 offset:5760
	ds_read_b64 v[33:34], v28 offset:88
	s_waitcnt lgkmcnt(0)
	v_fma_f64 v[11:12], v[31:32], v[33:34], v[11:12]
	s_or_b64 exec, exec, s[30:31]
	v_cmp_gt_u32_e64 s[12:13], 64, v14
	s_and_saveexec_b64 s[30:31], s[12:13]
	s_cbranch_execz .LBB142_231
.LBB142_1047:
	ds_read_b64 v[31:32], v26 offset:6272
	ds_read_b64 v[33:34], v28 offset:96
	s_waitcnt lgkmcnt(0)
	v_fma_f64 v[11:12], v[31:32], v[33:34], v[11:12]
	s_or_b64 exec, exec, s[30:31]
	v_cmp_gt_u32_e64 s[12:13], 48, v14
	s_and_saveexec_b64 s[30:31], s[12:13]
	s_cbranch_execz .LBB142_232
.LBB142_1048:
	v_lshlrev_b32_e32 v31, 3, v27
	v_lshl_add_u32 v31, v29, 3, v31
	ds_read_b64 v[31:32], v31 offset:6784
	ds_read_b64 v[33:34], v28 offset:104
	s_waitcnt lgkmcnt(0)
	v_fma_f64 v[11:12], v[31:32], v[33:34], v[11:12]
	s_or_b64 exec, exec, s[30:31]
	v_cmp_gt_u32_e64 s[12:13], 32, v14
	s_and_saveexec_b64 s[30:31], s[12:13]
	s_cbranch_execz .LBB142_233
.LBB142_1049:
	ds_read_b64 v[31:32], v26 offset:7296
	ds_read_b64 v[33:34], v28 offset:112
	s_waitcnt lgkmcnt(0)
	v_fma_f64 v[11:12], v[31:32], v[33:34], v[11:12]
	s_or_b64 exec, exec, s[30:31]
	v_cmp_gt_u32_e64 s[12:13], 16, v14
	s_and_saveexec_b64 s[30:31], s[12:13]
	s_cbranch_execnz .LBB142_234
	s_branch .LBB142_235
.LBB142_1050:
	v_lshlrev_b32_e32 v32, 3, v20
	v_sub_u32_e32 v32, v31, v32
	v_lshl_add_u32 v32, v19, 3, v32
	ds_read_b64 v[32:33], v32 offset:8864
	ds_read_b64 v[34:35], v31 offset:8328
	s_waitcnt lgkmcnt(0)
	v_fma_f64 v[11:12], v[32:33], v[34:35], v[11:12]
	s_or_b64 exec, exec, s[16:17]
	v_cmp_gt_u32_e64 s[10:11], 8, v14
	s_and_saveexec_b64 s[16:17], s[10:11]
	s_cbranch_execz .LBB142_319
.LBB142_1051:
	ds_read_b64 v[32:33], v16 offset:9376
	ds_read_b64 v[34:35], v31 offset:8336
	s_waitcnt lgkmcnt(0)
	v_fma_f64 v[11:12], v[32:33], v[34:35], v[11:12]
	s_or_b64 exec, exec, s[16:17]
	v_cmp_gt_u32_e64 s[10:11], 4, v14
	s_and_saveexec_b64 s[16:17], s[10:11]
	s_cbranch_execnz .LBB142_320
	s_branch .LBB142_321
.LBB142_1052:
	v_lshlrev_b32_e32 v32, 3, v25
	v_sub_u32_e32 v32, v31, v32
	v_lshl_add_u32 v32, v24, 3, v32
	ds_read_b64 v[32:33], v32 offset:8896
	ds_read_b64 v[34:35], v31 offset:8328
	s_waitcnt lgkmcnt(0)
	v_fma_f64 v[11:12], v[32:33], v[34:35], v[11:12]
	s_or_b64 exec, exec, s[16:17]
	v_cmp_gt_u32_e64 s[10:11], 48, v14
	s_and_saveexec_b64 s[16:17], s[10:11]
	s_cbranch_execz .LBB142_357
.LBB142_1053:
	v_lshlrev_b32_e32 v32, 3, v25
	v_sub_u32_e32 v32, v31, v32
	v_lshl_add_u32 v32, v24, 3, v32
	ds_read_b64 v[32:33], v32 offset:9408
	ds_read_b64 v[34:35], v31 offset:8336
	s_waitcnt lgkmcnt(0)
	v_fma_f64 v[11:12], v[32:33], v[34:35], v[11:12]
	s_or_b64 exec, exec, s[16:17]
	v_cmp_gt_u32_e64 s[10:11], 40, v14
	s_and_saveexec_b64 s[16:17], s[10:11]
	s_cbranch_execz .LBB142_358
.LBB142_1054:
	v_lshlrev_b32_e32 v32, 3, v25
	v_sub_u32_e32 v32, v31, v32
	v_lshl_add_u32 v32, v24, 3, v32
	ds_read_b64 v[32:33], v32 offset:9920
	ds_read_b64 v[34:35], v31 offset:8344
	s_waitcnt lgkmcnt(0)
	v_fma_f64 v[11:12], v[32:33], v[34:35], v[11:12]
	s_or_b64 exec, exec, s[16:17]
	v_cmp_gt_u32_e64 s[10:11], 32, v14
	s_and_saveexec_b64 s[16:17], s[10:11]
	s_cbranch_execz .LBB142_359
.LBB142_1055:
	ds_read_b64 v[32:33], v21 offset:10432
	ds_read_b64 v[34:35], v31 offset:8352
	s_waitcnt lgkmcnt(0)
	v_fma_f64 v[11:12], v[32:33], v[34:35], v[11:12]
	s_or_b64 exec, exec, s[16:17]
	v_cmp_gt_u32_e64 s[10:11], 24, v14
	s_and_saveexec_b64 s[16:17], s[10:11]
	s_cbranch_execz .LBB142_360
.LBB142_1056:
	v_lshlrev_b32_e32 v32, 3, v25
	v_sub_u32_e32 v32, v31, v32
	v_lshl_add_u32 v32, v24, 3, v32
	ds_read_b64 v[32:33], v32 offset:10944
	ds_read_b64 v[34:35], v31 offset:8360
	s_waitcnt lgkmcnt(0)
	v_fma_f64 v[11:12], v[32:33], v[34:35], v[11:12]
	s_or_b64 exec, exec, s[16:17]
	v_cmp_gt_u32_e64 s[10:11], 16, v14
	s_and_saveexec_b64 s[16:17], s[10:11]
	s_cbranch_execz .LBB142_361
.LBB142_1057:
	ds_read_b64 v[32:33], v21 offset:11456
	ds_read_b64 v[34:35], v31 offset:8368
	s_waitcnt lgkmcnt(0)
	v_fma_f64 v[11:12], v[32:33], v[34:35], v[11:12]
	s_or_b64 exec, exec, s[16:17]
	v_cmp_gt_u32_e64 s[10:11], 8, v14
	s_and_saveexec_b64 s[16:17], s[10:11]
	s_cbranch_execnz .LBB142_362
	s_branch .LBB142_363
.LBB142_1058:
	v_lshlrev_b32_e32 v32, 3, v20
	v_sub_u32_e32 v32, v31, v32
	v_lshl_add_u32 v32, v19, 3, v32
	ds_read_b64 v[32:33], v32 offset:13024
	ds_read_b64 v[34:35], v31 offset:12488
	s_waitcnt lgkmcnt(0)
	v_fma_f64 v[11:12], v[32:33], v[34:35], v[11:12]
	s_or_b64 exec, exec, s[16:17]
	v_cmp_gt_u32_e64 s[10:11], 8, v14
	s_and_saveexec_b64 s[16:17], s[10:11]
	s_cbranch_execz .LBB142_415
.LBB142_1059:
	ds_read_b64 v[32:33], v16 offset:13536
	ds_read_b64 v[34:35], v31 offset:12496
	s_waitcnt lgkmcnt(0)
	v_fma_f64 v[11:12], v[32:33], v[34:35], v[11:12]
	s_or_b64 exec, exec, s[16:17]
	v_cmp_gt_u32_e64 s[10:11], 4, v14
	s_and_saveexec_b64 s[16:17], s[10:11]
	s_cbranch_execnz .LBB142_416
	s_branch .LBB142_417
.LBB142_1060:
	ds_read_b64 v[35:36], v31 offset:15104
	ds_read_b64 v[37:38], v34 offset:232
	s_waitcnt lgkmcnt(0)
	v_fma_f64 v[11:12], v[35:36], v[37:38], v[11:12]
	s_or_b64 exec, exec, s[90:91]
	v_cmp_gt_u32_e64 s[16:17], 64, v14
	s_and_saveexec_b64 s[90:91], s[16:17]
	s_cbranch_execz .LBB142_509
.LBB142_1061:
	ds_read_b64 v[35:36], v31 offset:15616
	ds_read_b64 v[37:38], v34 offset:240
	s_waitcnt lgkmcnt(0)
	v_fma_f64 v[11:12], v[35:36], v[37:38], v[11:12]
	s_or_b64 exec, exec, s[90:91]
	v_cmp_gt_u32_e64 s[16:17], 32, v14
	s_and_saveexec_b64 s[90:91], s[16:17]
	s_cbranch_execnz .LBB142_510
	s_branch .LBB142_511
.LBB142_1062:
	v_lshlrev_b32_e32 v32, 3, v20
	v_sub_u32_e32 v32, v31, v32
	v_lshl_add_u32 v32, v19, 3, v32
	ds_read_b64 v[32:33], v32 offset:17184
	ds_read_b64 v[34:35], v31 offset:16648
	s_waitcnt lgkmcnt(0)
	v_fma_f64 v[11:12], v[32:33], v[34:35], v[11:12]
	s_or_b64 exec, exec, s[16:17]
	v_cmp_gt_u32_e64 s[10:11], 8, v14
	s_and_saveexec_b64 s[16:17], s[10:11]
	s_cbranch_execz .LBB142_551
.LBB142_1063:
	ds_read_b64 v[32:33], v16 offset:17696
	ds_read_b64 v[34:35], v31 offset:16656
	s_waitcnt lgkmcnt(0)
	v_fma_f64 v[11:12], v[32:33], v[34:35], v[11:12]
	s_or_b64 exec, exec, s[16:17]
	v_cmp_gt_u32_e64 s[10:11], 4, v14
	s_and_saveexec_b64 s[16:17], s[10:11]
	s_cbranch_execnz .LBB142_552
	s_branch .LBB142_553
.LBB142_1064:
	v_lshlrev_b32_e32 v32, 3, v25
	v_sub_u32_e32 v32, v31, v32
	v_lshl_add_u32 v32, v24, 3, v32
	ds_read_b64 v[32:33], v32 offset:17216
	ds_read_b64 v[34:35], v31 offset:16648
	s_waitcnt lgkmcnt(0)
	v_fma_f64 v[11:12], v[32:33], v[34:35], v[11:12]
	s_or_b64 exec, exec, s[16:17]
	v_cmp_gt_u32_e64 s[10:11], 48, v14
	s_and_saveexec_b64 s[16:17], s[10:11]
	s_cbranch_execz .LBB142_589
.LBB142_1065:
	v_lshlrev_b32_e32 v32, 3, v25
	v_sub_u32_e32 v32, v31, v32
	v_lshl_add_u32 v32, v24, 3, v32
	ds_read_b64 v[32:33], v32 offset:17728
	ds_read_b64 v[34:35], v31 offset:16656
	s_waitcnt lgkmcnt(0)
	v_fma_f64 v[11:12], v[32:33], v[34:35], v[11:12]
	s_or_b64 exec, exec, s[16:17]
	v_cmp_gt_u32_e64 s[10:11], 40, v14
	s_and_saveexec_b64 s[16:17], s[10:11]
	s_cbranch_execz .LBB142_590
.LBB142_1066:
	v_lshlrev_b32_e32 v32, 3, v25
	v_sub_u32_e32 v32, v31, v32
	v_lshl_add_u32 v32, v24, 3, v32
	ds_read_b64 v[32:33], v32 offset:18240
	ds_read_b64 v[34:35], v31 offset:16664
	s_waitcnt lgkmcnt(0)
	v_fma_f64 v[11:12], v[32:33], v[34:35], v[11:12]
	s_or_b64 exec, exec, s[16:17]
	v_cmp_gt_u32_e64 s[10:11], 32, v14
	s_and_saveexec_b64 s[16:17], s[10:11]
	s_cbranch_execz .LBB142_591
.LBB142_1067:
	ds_read_b64 v[32:33], v21 offset:18752
	ds_read_b64 v[34:35], v31 offset:16672
	s_waitcnt lgkmcnt(0)
	v_fma_f64 v[11:12], v[32:33], v[34:35], v[11:12]
	s_or_b64 exec, exec, s[16:17]
	v_cmp_gt_u32_e64 s[10:11], 24, v14
	s_and_saveexec_b64 s[16:17], s[10:11]
	s_cbranch_execz .LBB142_592
.LBB142_1068:
	v_lshlrev_b32_e32 v32, 3, v25
	v_sub_u32_e32 v32, v31, v32
	v_lshl_add_u32 v32, v24, 3, v32
	ds_read_b64 v[32:33], v32 offset:19264
	ds_read_b64 v[34:35], v31 offset:16680
	s_waitcnt lgkmcnt(0)
	v_fma_f64 v[11:12], v[32:33], v[34:35], v[11:12]
	s_or_b64 exec, exec, s[16:17]
	v_cmp_gt_u32_e64 s[10:11], 16, v14
	s_and_saveexec_b64 s[16:17], s[10:11]
	s_cbranch_execz .LBB142_593
.LBB142_1069:
	ds_read_b64 v[32:33], v21 offset:19776
	ds_read_b64 v[34:35], v31 offset:16688
	s_waitcnt lgkmcnt(0)
	v_fma_f64 v[11:12], v[32:33], v[34:35], v[11:12]
	s_or_b64 exec, exec, s[16:17]
	v_cmp_gt_u32_e64 s[10:11], 8, v14
	s_and_saveexec_b64 s[16:17], s[10:11]
	s_cbranch_execnz .LBB142_594
	s_branch .LBB142_595
.LBB142_1070:
	v_lshlrev_b32_e32 v32, 3, v20
	v_sub_u32_e32 v32, v31, v32
	v_lshl_add_u32 v32, v19, 3, v32
	ds_read_b64 v[32:33], v32 offset:21344
	ds_read_b64 v[34:35], v31 offset:20808
	s_waitcnt lgkmcnt(0)
	v_fma_f64 v[11:12], v[32:33], v[34:35], v[11:12]
	s_or_b64 exec, exec, s[16:17]
	v_cmp_gt_u32_e64 s[10:11], 8, v14
	s_and_saveexec_b64 s[16:17], s[10:11]
	s_cbranch_execz .LBB142_647
.LBB142_1071:
	ds_read_b64 v[32:33], v16 offset:21856
	ds_read_b64 v[34:35], v31 offset:20816
	s_waitcnt lgkmcnt(0)
	v_fma_f64 v[11:12], v[32:33], v[34:35], v[11:12]
	s_or_b64 exec, exec, s[16:17]
	v_cmp_gt_u32_e64 s[10:11], 4, v14
	s_and_saveexec_b64 s[16:17], s[10:11]
	s_cbranch_execnz .LBB142_648
	s_branch .LBB142_649
.LBB142_1072:
	v_lshlrev_b32_e32 v30, 3, v27
	v_lshl_add_u32 v30, v29, 3, v30
	ds_read_b64 v[32:33], v30 offset:22400
	ds_read_b64 v[34:35], v31 offset:16728
	s_waitcnt lgkmcnt(0)
	v_fma_f64 v[11:12], v[32:33], v[34:35], v[11:12]
	s_or_b64 exec, exec, s[16:17]
	v_cmp_gt_u32_e64 s[10:11], 64, v14
	s_and_saveexec_b64 s[16:17], s[10:11]
	s_cbranch_execz .LBB142_705
.LBB142_1073:
	ds_read_b64 v[32:33], v26 offset:22912
	ds_read_b64 v[34:35], v31 offset:16736
	s_waitcnt lgkmcnt(0)
	v_fma_f64 v[11:12], v[32:33], v[34:35], v[11:12]
	s_or_b64 exec, exec, s[16:17]
	v_cmp_gt_u32_e64 s[10:11], 48, v14
	s_and_saveexec_b64 s[16:17], s[10:11]
	s_cbranch_execz .LBB142_706
.LBB142_1074:
	v_lshlrev_b32_e32 v30, 3, v27
	v_lshl_add_u32 v29, v29, 3, v30
	ds_read_b64 v[29:30], v29 offset:23424
	ds_read_b64 v[32:33], v31 offset:16744
	s_waitcnt lgkmcnt(0)
	v_fma_f64 v[11:12], v[29:30], v[32:33], v[11:12]
	s_or_b64 exec, exec, s[16:17]
	v_cmp_gt_u32_e64 s[10:11], 32, v14
	s_and_saveexec_b64 s[16:17], s[10:11]
	s_cbranch_execz .LBB142_707
.LBB142_1075:
	ds_read_b64 v[29:30], v26 offset:23936
	ds_read_b64 v[31:32], v31 offset:16752
	s_waitcnt lgkmcnt(0)
	v_fma_f64 v[11:12], v[29:30], v[31:32], v[11:12]
	s_or_b64 exec, exec, s[16:17]
	v_cmp_gt_u32_e64 s[10:11], 16, v14
	s_and_saveexec_b64 s[16:17], s[10:11]
	s_cbranch_execnz .LBB142_708
	s_branch .LBB142_709
.LBB142_1076:
	v_lshlrev_b32_e32 v27, 3, v20
	v_sub_u32_e32 v27, v26, v27
	v_lshl_add_u32 v27, v19, 3, v27
	ds_read_b64 v[27:28], v27 offset:25504
	ds_read_b64 v[29:30], v26 offset:24968
	s_waitcnt lgkmcnt(0)
	v_fma_f64 v[11:12], v[27:28], v[29:30], v[11:12]
	s_or_b64 exec, exec, s[12:13]
	v_cmp_gt_u32_e64 s[8:9], 8, v14
	s_and_saveexec_b64 s[12:13], s[8:9]
	s_cbranch_execz .LBB142_793
.LBB142_1077:
	ds_read_b64 v[27:28], v16 offset:26016
	ds_read_b64 v[29:30], v26 offset:24976
	s_waitcnt lgkmcnt(0)
	v_fma_f64 v[11:12], v[27:28], v[29:30], v[11:12]
	s_or_b64 exec, exec, s[12:13]
	v_cmp_gt_u32_e64 s[8:9], 4, v14
	s_and_saveexec_b64 s[12:13], s[8:9]
	s_cbranch_execnz .LBB142_794
	s_branch .LBB142_795
.LBB142_1078:
	v_lshlrev_b32_e32 v27, 3, v25
	v_sub_u32_e32 v27, v26, v27
	v_lshl_add_u32 v27, v24, 3, v27
	ds_read_b64 v[27:28], v27 offset:25536
	ds_read_b64 v[29:30], v26 offset:24968
	s_waitcnt lgkmcnt(0)
	v_fma_f64 v[11:12], v[27:28], v[29:30], v[11:12]
	s_or_b64 exec, exec, s[12:13]
	v_cmp_gt_u32_e64 s[8:9], 48, v14
	s_and_saveexec_b64 s[12:13], s[8:9]
	s_cbranch_execz .LBB142_831
.LBB142_1079:
	v_lshlrev_b32_e32 v27, 3, v25
	v_sub_u32_e32 v27, v26, v27
	v_lshl_add_u32 v27, v24, 3, v27
	ds_read_b64 v[27:28], v27 offset:26048
	ds_read_b64 v[29:30], v26 offset:24976
	s_waitcnt lgkmcnt(0)
	v_fma_f64 v[11:12], v[27:28], v[29:30], v[11:12]
	s_or_b64 exec, exec, s[12:13]
	v_cmp_gt_u32_e64 s[8:9], 40, v14
	s_and_saveexec_b64 s[12:13], s[8:9]
	s_cbranch_execz .LBB142_832
.LBB142_1080:
	v_lshlrev_b32_e32 v27, 3, v25
	v_sub_u32_e32 v27, v26, v27
	v_lshl_add_u32 v27, v24, 3, v27
	ds_read_b64 v[27:28], v27 offset:26560
	ds_read_b64 v[29:30], v26 offset:24984
	s_waitcnt lgkmcnt(0)
	v_fma_f64 v[11:12], v[27:28], v[29:30], v[11:12]
	s_or_b64 exec, exec, s[12:13]
	v_cmp_gt_u32_e64 s[8:9], 32, v14
	s_and_saveexec_b64 s[12:13], s[8:9]
	s_cbranch_execz .LBB142_833
.LBB142_1081:
	ds_read_b64 v[27:28], v21 offset:27072
	ds_read_b64 v[29:30], v26 offset:24992
	s_waitcnt lgkmcnt(0)
	v_fma_f64 v[11:12], v[27:28], v[29:30], v[11:12]
	s_or_b64 exec, exec, s[12:13]
	v_cmp_gt_u32_e64 s[8:9], 24, v14
	s_and_saveexec_b64 s[12:13], s[8:9]
	s_cbranch_execz .LBB142_834
.LBB142_1082:
	v_lshlrev_b32_e32 v25, 3, v25
	v_sub_u32_e32 v25, v26, v25
	v_lshl_add_u32 v24, v24, 3, v25
	ds_read_b64 v[24:25], v24 offset:27584
	ds_read_b64 v[27:28], v26 offset:25000
	s_waitcnt lgkmcnt(0)
	v_fma_f64 v[11:12], v[24:25], v[27:28], v[11:12]
	s_or_b64 exec, exec, s[12:13]
	v_cmp_gt_u32_e64 s[8:9], 16, v14
	s_and_saveexec_b64 s[12:13], s[8:9]
	s_cbranch_execz .LBB142_835
.LBB142_1083:
	ds_read_b64 v[24:25], v21 offset:28096
	ds_read_b64 v[26:27], v26 offset:25008
	s_waitcnt lgkmcnt(0)
	v_fma_f64 v[11:12], v[24:25], v[26:27], v[11:12]
	s_or_b64 exec, exec, s[12:13]
	v_cmp_gt_u32_e64 s[8:9], 8, v14
	s_and_saveexec_b64 s[12:13], s[8:9]
	s_cbranch_execnz .LBB142_836
	s_branch .LBB142_837
.LBB142_1084:
	v_lshlrev_b32_e32 v20, 3, v20
	v_sub_u32_e32 v20, v21, v20
	v_lshl_add_u32 v19, v19, 3, v20
	ds_read_b64 v[19:20], v19 offset:29664
	ds_read_b64 v[22:23], v21 offset:29128
	s_waitcnt lgkmcnt(0)
	v_fma_f64 v[11:12], v[19:20], v[22:23], v[11:12]
	s_or_b64 exec, exec, s[12:13]
	v_cmp_gt_u32_e64 s[8:9], 8, v14
	s_and_saveexec_b64 s[12:13], s[8:9]
	s_cbranch_execz .LBB142_889
.LBB142_1085:
	ds_read_b64 v[19:20], v16 offset:30176
	ds_read_b64 v[21:22], v21 offset:29136
	s_waitcnt lgkmcnt(0)
	v_fma_f64 v[11:12], v[19:20], v[21:22], v[11:12]
	s_or_b64 exec, exec, s[12:13]
	v_cmp_gt_u32_e64 s[8:9], 4, v14
	s_and_saveexec_b64 s[12:13], s[8:9]
	s_cbranch_execnz .LBB142_890
	s_branch .LBB142_891
	.section	.rodata,"a",@progbits
	.p2align	6, 0x0
	.amdhsa_kernel _ZL19rocblas_trsv_deviceILi64ELi16ELb1ELb0ELb0ELb0EddPKPKdPKPdEviT7_lllT6_T8_lllPii
		.amdhsa_group_segment_fixed_size 41480
		.amdhsa_private_segment_fixed_size 0
		.amdhsa_kernarg_size 352
		.amdhsa_user_sgpr_count 6
		.amdhsa_user_sgpr_private_segment_buffer 1
		.amdhsa_user_sgpr_dispatch_ptr 0
		.amdhsa_user_sgpr_queue_ptr 0
		.amdhsa_user_sgpr_kernarg_segment_ptr 1
		.amdhsa_user_sgpr_dispatch_id 0
		.amdhsa_user_sgpr_flat_scratch_init 0
		.amdhsa_user_sgpr_private_segment_size 0
		.amdhsa_uses_dynamic_stack 0
		.amdhsa_system_sgpr_private_segment_wavefront_offset 0
		.amdhsa_system_sgpr_workgroup_id_x 1
		.amdhsa_system_sgpr_workgroup_id_y 0
		.amdhsa_system_sgpr_workgroup_id_z 1
		.amdhsa_system_sgpr_workgroup_info 0
		.amdhsa_system_vgpr_workitem_id 1
		.amdhsa_next_free_vgpr 49
		.amdhsa_next_free_sgpr 98
		.amdhsa_reserve_vcc 1
		.amdhsa_reserve_flat_scratch 0
		.amdhsa_float_round_mode_32 0
		.amdhsa_float_round_mode_16_64 0
		.amdhsa_float_denorm_mode_32 3
		.amdhsa_float_denorm_mode_16_64 3
		.amdhsa_dx10_clamp 1
		.amdhsa_ieee_mode 1
		.amdhsa_fp16_overflow 0
		.amdhsa_exception_fp_ieee_invalid_op 0
		.amdhsa_exception_fp_denorm_src 0
		.amdhsa_exception_fp_ieee_div_zero 0
		.amdhsa_exception_fp_ieee_overflow 0
		.amdhsa_exception_fp_ieee_underflow 0
		.amdhsa_exception_fp_ieee_inexact 0
		.amdhsa_exception_int_div_zero 0
	.end_amdhsa_kernel
	.section	.text._ZL19rocblas_trsv_deviceILi64ELi16ELb1ELb0ELb0ELb0EddPKPKdPKPdEviT7_lllT6_T8_lllPii,"axG",@progbits,_ZL19rocblas_trsv_deviceILi64ELi16ELb1ELb0ELb0ELb0EddPKPKdPKPdEviT7_lllT6_T8_lllPii,comdat
.Lfunc_end142:
	.size	_ZL19rocblas_trsv_deviceILi64ELi16ELb1ELb0ELb0ELb0EddPKPKdPKPdEviT7_lllT6_T8_lllPii, .Lfunc_end142-_ZL19rocblas_trsv_deviceILi64ELi16ELb1ELb0ELb0ELb0EddPKPKdPKPdEviT7_lllT6_T8_lllPii
                                        ; -- End function
	.set _ZL19rocblas_trsv_deviceILi64ELi16ELb1ELb0ELb0ELb0EddPKPKdPKPdEviT7_lllT6_T8_lllPii.num_vgpr, 42
	.set _ZL19rocblas_trsv_deviceILi64ELi16ELb1ELb0ELb0ELb0EddPKPKdPKPdEviT7_lllT6_T8_lllPii.num_agpr, 0
	.set _ZL19rocblas_trsv_deviceILi64ELi16ELb1ELb0ELb0ELb0EddPKPKdPKPdEviT7_lllT6_T8_lllPii.numbered_sgpr, 96
	.set _ZL19rocblas_trsv_deviceILi64ELi16ELb1ELb0ELb0ELb0EddPKPKdPKPdEviT7_lllT6_T8_lllPii.num_named_barrier, 0
	.set _ZL19rocblas_trsv_deviceILi64ELi16ELb1ELb0ELb0ELb0EddPKPKdPKPdEviT7_lllT6_T8_lllPii.private_seg_size, 0
	.set _ZL19rocblas_trsv_deviceILi64ELi16ELb1ELb0ELb0ELb0EddPKPKdPKPdEviT7_lllT6_T8_lllPii.uses_vcc, 1
	.set _ZL19rocblas_trsv_deviceILi64ELi16ELb1ELb0ELb0ELb0EddPKPKdPKPdEviT7_lllT6_T8_lllPii.uses_flat_scratch, 0
	.set _ZL19rocblas_trsv_deviceILi64ELi16ELb1ELb0ELb0ELb0EddPKPKdPKPdEviT7_lllT6_T8_lllPii.has_dyn_sized_stack, 0
	.set _ZL19rocblas_trsv_deviceILi64ELi16ELb1ELb0ELb0ELb0EddPKPKdPKPdEviT7_lllT6_T8_lllPii.has_recursion, 0
	.set _ZL19rocblas_trsv_deviceILi64ELi16ELb1ELb0ELb0ELb0EddPKPKdPKPdEviT7_lllT6_T8_lllPii.has_indirect_call, 0
	.section	.AMDGPU.csdata,"",@progbits
; Kernel info:
; codeLenInByte = 33568
; TotalNumSgprs: 100
; NumVgprs: 42
; ScratchSize: 0
; MemoryBound: 0
; FloatMode: 240
; IeeeMode: 1
; LDSByteSize: 41480 bytes/workgroup (compile time only)
; SGPRBlocks: 12
; VGPRBlocks: 12
; NumSGPRsForWavesPerEU: 102
; NumVGPRsForWavesPerEU: 49
; Occupancy: 4
; WaveLimiterHint : 1
; COMPUTE_PGM_RSRC2:SCRATCH_EN: 0
; COMPUTE_PGM_RSRC2:USER_SGPR: 6
; COMPUTE_PGM_RSRC2:TRAP_HANDLER: 0
; COMPUTE_PGM_RSRC2:TGID_X_EN: 1
; COMPUTE_PGM_RSRC2:TGID_Y_EN: 0
; COMPUTE_PGM_RSRC2:TGID_Z_EN: 1
; COMPUTE_PGM_RSRC2:TIDIG_COMP_CNT: 1
	.section	.text._ZL19rocblas_trsv_deviceILi64ELi16ELb1ELb1ELb0ELb0EddPKPKdPKPdEviT7_lllT6_T8_lllPii,"axG",@progbits,_ZL19rocblas_trsv_deviceILi64ELi16ELb1ELb1ELb0ELb0EddPKPKdPKPdEviT7_lllT6_T8_lllPii,comdat
	.globl	_ZL19rocblas_trsv_deviceILi64ELi16ELb1ELb1ELb0ELb0EddPKPKdPKPdEviT7_lllT6_T8_lllPii ; -- Begin function _ZL19rocblas_trsv_deviceILi64ELi16ELb1ELb1ELb0ELb0EddPKPKdPKPdEviT7_lllT6_T8_lllPii
	.p2align	8
	.type	_ZL19rocblas_trsv_deviceILi64ELi16ELb1ELb1ELb0ELb0EddPKPKdPKPdEviT7_lllT6_T8_lllPii,@function
_ZL19rocblas_trsv_deviceILi64ELi16ELb1ELb1ELb0ELb0EddPKPKdPKPdEviT7_lllT6_T8_lllPii: ; @_ZL19rocblas_trsv_deviceILi64ELi16ELb1ELb1ELb0ELb0EddPKPKdPKPdEviT7_lllT6_T8_lllPii
; %bb.0:
	s_load_dwordx4 s[0:3], s[4:5], 0x8
	s_mov_b32 s22, s7
	s_mov_b32 s23, 0
	s_lshl_b64 s[8:9], s[22:23], 3
	v_mov_b32_e32 v2, v1
	s_waitcnt lgkmcnt(0)
	s_add_u32 s0, s0, s8
	s_addc_u32 s1, s1, s9
	s_load_dwordx2 s[10:11], s[0:1], 0x0
	s_load_dword s34, s[4:5], 0x0
	s_load_dwordx2 s[36:37], s[4:5], 0x18
	s_load_dwordx8 s[24:31], s[4:5], 0x28
	s_lshl_b64 s[0:1], s[2:3], 3
	s_waitcnt lgkmcnt(0)
	s_add_u32 s91, s10, s0
	s_addc_u32 s94, s11, s1
	s_load_dword s7, s[4:5], 0x60
	s_add_u32 s0, s26, s8
	s_addc_u32 s1, s27, s9
	s_load_dwordx2 s[20:21], s[0:1], 0x0
	s_load_dword s39, s[4:5], 0x6c
	s_waitcnt lgkmcnt(0)
	s_add_i32 s7, s7, -1
	s_sub_i32 s95, s7, s6
	s_cmp_lg_u32 s6, 0
	s_cbranch_scc0 .LBB143_1056
; %bb.1:
	s_lshl_b32 s33, s95, 6
	v_add_u32_e32 v1, s33, v0
	v_ashrrev_i32_e32 v3, 31, v1
	v_mul_lo_u32 v5, s36, v3
	v_mul_lo_u32 v6, s37, v1
	v_mad_u64_u32 v[3:4], s[0:1], s36, v1, 0
	v_add3_u32 v11, v2, s33, 64
	v_ashrrev_i32_e32 v12, 31, v11
	v_add3_u32 v4, v4, v5, v6
	v_lshlrev_b64 v[3:4], 3, v[3:4]
	v_cmp_gt_i32_e32 vcc, s34, v1
	v_mov_b32_e32 v1, s94
	v_add_co_u32_e64 v5, s[0:1], s91, v3
	v_addc_co_u32_e64 v1, s[0:1], v1, v4, s[0:1]
	v_lshlrev_b64 v[3:4], 3, v[11:12]
	v_add_co_u32_e64 v12, s[0:1], v5, v3
	v_addc_co_u32_e64 v13, s[0:1], v1, v4, s[0:1]
	v_cmp_gt_i32_e64 s[0:1], s34, v11
	v_mov_b32_e32 v3, 0
	v_mov_b32_e32 v5, 0
	;; [unrolled: 1-line block ×4, first 2 shown]
	s_and_b64 s[2:3], s[0:1], vcc
	s_barrier
	s_and_saveexec_b64 s[0:1], s[2:3]
	s_cbranch_execz .LBB143_3
; %bb.2:
	flat_load_dwordx2 v[5:6], v[12:13]
.LBB143_3:
	s_or_b64 exec, exec, s[0:1]
	v_add_u32_e32 v1, 16, v11
	v_cmp_gt_i32_e64 s[0:1], s34, v1
	s_and_b64 s[2:3], s[0:1], vcc
	s_waitcnt vmcnt(0) lgkmcnt(0)
	s_barrier
	s_and_saveexec_b64 s[0:1], s[2:3]
	s_cbranch_execz .LBB143_5
; %bb.4:
	flat_load_dwordx2 v[3:4], v[12:13] offset:128
.LBB143_5:
	s_or_b64 exec, exec, s[0:1]
	v_add_u32_e32 v1, 32, v11
	v_cmp_gt_i32_e64 s[0:1], s34, v1
	v_mov_b32_e32 v7, 0
	v_mov_b32_e32 v9, 0
	;; [unrolled: 1-line block ×4, first 2 shown]
	s_and_b64 s[2:3], s[0:1], vcc
	s_waitcnt vmcnt(0) lgkmcnt(0)
	s_barrier
	s_and_saveexec_b64 s[0:1], s[2:3]
	s_cbranch_execz .LBB143_7
; %bb.6:
	flat_load_dwordx2 v[9:10], v[12:13] offset:256
.LBB143_7:
	s_or_b64 exec, exec, s[0:1]
	v_add_u32_e32 v1, 48, v11
	v_cmp_gt_i32_e64 s[0:1], s34, v1
	s_and_b64 s[2:3], s[0:1], vcc
	s_waitcnt vmcnt(0) lgkmcnt(0)
	s_barrier
	s_and_saveexec_b64 s[0:1], s[2:3]
	s_cbranch_execz .LBB143_9
; %bb.8:
	flat_load_dwordx2 v[7:8], v[12:13] offset:384
.LBB143_9:
	s_or_b64 exec, exec, s[0:1]
	s_branch .LBB143_11
.LBB143_10:
	s_lshl_b32 s33, s95, 6
                                        ; implicit-def: $vgpr5_vgpr6
                                        ; implicit-def: $vgpr3_vgpr4
                                        ; implicit-def: $vgpr9_vgpr10
                                        ; implicit-def: $vgpr7_vgpr8
.LBB143_11:
	s_ashr_i32 s35, s34, 31
	s_lshr_b32 s0, s35, 26
	s_add_i32 s0, s34, s0
	s_andn2_b32 s0, s0, 63
	s_sub_i32 s90, s34, s0
	s_add_i32 s0, s34, -1
	s_ashr_i32 s1, s0, 31
	s_lshr_b32 s1, s1, 26
	s_add_i32 s0, s0, s1
	s_ashr_i32 s0, s0, 6
	s_cmp_eq_u32 s0, s95
	s_cselect_b64 s[0:1], -1, 0
	s_cmp_lg_u32 s90, 0
	s_cselect_b64 s[2:3], -1, 0
	s_and_b64 s[26:27], s[2:3], s[0:1]
	s_cmp_lt_i32 s6, 5
	s_cselect_b64 s[2:3], -1, 0
	s_or_b64 s[0:1], s[2:3], s[26:27]
	s_ashr_i32 s38, s33, 31
	s_add_u32 s10, s36, 1
	v_mov_b32_e32 v1, 0
	v_mov_b32_e32 v11, s33
	v_mad_u64_u32 v[11:12], s[8:9], s10, v11, v[0:1]
	s_addc_u32 s11, s37, 0
	s_mul_i32 s8, s10, s38
	s_mul_i32 s11, s11, s33
	s_add_i32 s8, s8, s11
	s_mov_b64 s[12:13], -1
	v_lshlrev_b32_e32 v17, 6, v0
	v_add_u32_e32 v12, s8, v12
	s_and_b64 vcc, exec, s[26:27]
	v_cmp_le_u32_e64 s[8:9], v0, v2
	s_cbranch_vccnz .LBB143_33
; %bb.12:
	v_mad_u64_u32 v[15:16], s[10:11], s36, v2, v[11:12]
	v_mov_b32_e32 v1, v16
	v_mad_u64_u32 v[13:14], s[10:11], s37, v2, v[1:2]
	s_mov_b64 s[10:11], 0
	v_mov_b32_e32 v16, v13
                                        ; implicit-def: $vgpr13_vgpr14
	s_and_saveexec_b64 s[12:13], s[8:9]
	s_xor_b64 s[8:9], exec, s[12:13]
	s_cbranch_execnz .LBB143_1057
; %bb.13:
	s_andn2_saveexec_b64 s[8:9], s[8:9]
	s_cbranch_execnz .LBB143_1062
.LBB143_14:
	s_or_b64 exec, exec, s[8:9]
	s_and_saveexec_b64 s[8:9], s[10:11]
.LBB143_15:
	v_add_u32_e32 v1, v2, v17
	v_lshl_add_u32 v15, v2, 6, v0
	v_cndmask_b32_e64 v1, v15, v1, s[2:3]
	v_lshlrev_b32_e32 v1, 3, v1
	ds_write_b64 v1, v[13:14]
.LBB143_16:
	s_or_b64 exec, exec, s[8:9]
	v_add_u32_e32 v1, 16, v2
	v_mad_u64_u32 v[15:16], s[2:3], s36, v1, v[11:12]
	v_cmp_le_u32_e32 vcc, v0, v1
	s_mov_b64 s[8:9], 0
	v_mov_b32_e32 v13, v16
	v_mad_u64_u32 v[13:14], s[2:3], s37, v1, v[13:14]
	v_mov_b32_e32 v16, v13
                                        ; implicit-def: $vgpr13_vgpr14
	s_and_saveexec_b64 s[2:3], vcc
	s_xor_b64 s[2:3], exec, s[2:3]
	s_cbranch_execnz .LBB143_1063
; %bb.17:
	s_andn2_saveexec_b64 s[2:3], s[2:3]
	s_cbranch_execnz .LBB143_1068
.LBB143_18:
	s_or_b64 exec, exec, s[2:3]
	s_and_saveexec_b64 s[2:3], s[8:9]
.LBB143_19:
	v_add_u32_e32 v15, v1, v17
	v_lshl_add_u32 v1, v1, 6, v0
	v_cndmask_b32_e64 v1, v1, v15, s[0:1]
	v_lshlrev_b32_e32 v1, 3, v1
	ds_write_b64 v1, v[13:14]
.LBB143_20:
	s_or_b64 exec, exec, s[2:3]
	v_add_u32_e32 v1, 32, v2
	v_mad_u64_u32 v[15:16], s[2:3], s36, v1, v[11:12]
	v_cmp_le_u32_e32 vcc, v0, v1
	s_mov_b64 s[8:9], 0
	v_mov_b32_e32 v13, v16
	v_mad_u64_u32 v[13:14], s[2:3], s37, v1, v[13:14]
	v_mov_b32_e32 v16, v13
                                        ; implicit-def: $vgpr13_vgpr14
	s_and_saveexec_b64 s[2:3], vcc
	s_xor_b64 s[2:3], exec, s[2:3]
	s_cbranch_execnz .LBB143_1069
; %bb.21:
	s_andn2_saveexec_b64 s[2:3], s[2:3]
	s_cbranch_execnz .LBB143_1074
.LBB143_22:
	s_or_b64 exec, exec, s[2:3]
	s_and_saveexec_b64 s[2:3], s[8:9]
.LBB143_23:
	v_add_u32_e32 v15, v1, v17
	v_lshl_add_u32 v1, v1, 6, v0
	v_cndmask_b32_e64 v1, v1, v15, s[0:1]
	v_lshlrev_b32_e32 v1, 3, v1
	ds_write_b64 v1, v[13:14]
.LBB143_24:
	s_or_b64 exec, exec, s[2:3]
	v_add_u32_e32 v1, 48, v2
	v_mad_u64_u32 v[15:16], s[2:3], s36, v1, v[11:12]
	v_cmp_le_u32_e32 vcc, v0, v1
	s_mov_b64 s[10:11], 0
	v_mov_b32_e32 v13, v16
	v_mad_u64_u32 v[13:14], s[2:3], s37, v1, v[13:14]
	v_mov_b32_e32 v16, v13
                                        ; implicit-def: $vgpr13_vgpr14
	s_and_saveexec_b64 s[2:3], vcc
	s_xor_b64 s[2:3], exec, s[2:3]
	s_cbranch_execz .LBB143_30
; %bb.25:
	v_cmp_ne_u32_e32 vcc, v0, v1
	s_mov_b64 s[8:9], 0
	s_and_saveexec_b64 s[10:11], vcc
	s_xor_b64 s[10:11], exec, s[10:11]
; %bb.26:
	v_or_b32_e32 v13, v1, v0
	v_cmp_gt_u32_e32 vcc, 64, v13
	s_and_b64 s[8:9], vcc, exec
                                        ; implicit-def: $vgpr15_vgpr16
; %bb.27:
	s_or_saveexec_b64 s[10:11], s[10:11]
	v_mov_b32_e32 v13, 0
	v_mov_b32_e32 v14, 0
	s_xor_b64 exec, exec, s[10:11]
	s_cbranch_execz .LBB143_29
; %bb.28:
	v_lshlrev_b64 v[13:14], 3, v[15:16]
	v_mov_b32_e32 v15, s94
	v_add_co_u32_e32 v13, vcc, s91, v13
	v_addc_co_u32_e32 v14, vcc, v15, v14, vcc
	flat_load_dwordx2 v[13:14], v[13:14]
	s_or_b64 s[8:9], s[8:9], exec
	s_waitcnt vmcnt(0) lgkmcnt(0)
	v_div_scale_f64 v[15:16], s[12:13], v[13:14], v[13:14], 1.0
	v_div_scale_f64 v[22:23], vcc, 1.0, v[13:14], 1.0
	v_rcp_f64_e32 v[18:19], v[15:16]
	v_fma_f64 v[20:21], -v[15:16], v[18:19], 1.0
	v_fma_f64 v[18:19], v[18:19], v[20:21], v[18:19]
	v_fma_f64 v[20:21], -v[15:16], v[18:19], 1.0
	v_fma_f64 v[18:19], v[18:19], v[20:21], v[18:19]
	v_mul_f64 v[20:21], v[22:23], v[18:19]
	v_fma_f64 v[15:16], -v[15:16], v[20:21], v[22:23]
	v_div_fmas_f64 v[15:16], v[15:16], v[18:19], v[20:21]
	v_div_fixup_f64 v[13:14], v[15:16], v[13:14], 1.0
.LBB143_29:
	s_or_b64 exec, exec, s[10:11]
	s_and_b64 s[10:11], s[8:9], exec
                                        ; implicit-def: $vgpr15_vgpr16
.LBB143_30:
	s_or_saveexec_b64 s[2:3], s[2:3]
	v_add_u32_e32 v18, v1, v17
	v_lshl_add_u32 v1, v1, 6, v0
	s_xor_b64 exec, exec, s[2:3]
	s_cbranch_execz .LBB143_32
; %bb.31:
	v_lshlrev_b64 v[13:14], 3, v[15:16]
	v_mov_b32_e32 v15, s94
	v_add_co_u32_e32 v13, vcc, s91, v13
	v_addc_co_u32_e32 v14, vcc, v15, v14, vcc
	flat_load_dwordx2 v[13:14], v[13:14]
	s_or_b64 s[10:11], s[10:11], exec
	s_waitcnt vmcnt(0) lgkmcnt(0)
	v_xor_b32_e32 v14, 0x80000000, v14
.LBB143_32:
	s_or_b64 exec, exec, s[2:3]
	v_cndmask_b32_e64 v1, v1, v18, s[0:1]
	s_branch .LBB143_55
.LBB143_33:
	s_mov_b64 s[10:11], 0
                                        ; implicit-def: $vgpr13_vgpr14
                                        ; implicit-def: $vgpr1
	s_and_b64 vcc, exec, s[12:13]
	s_cbranch_vccz .LBB143_55
; %bb.34:
	v_mad_u64_u32 v[13:14], s[2:3], s36, v2, v[11:12]
	v_cmp_le_u32_e32 vcc, v0, v2
	v_cmp_gt_i32_e64 s[2:3], s90, v0
	v_mov_b32_e32 v1, v14
	v_mad_u64_u32 v[14:15], s[8:9], s37, v2, v[1:2]
	v_max_i32_e32 v1, v2, v0
	v_cmp_le_i32_e64 s[8:9], s90, v1
	s_or_b64 s[8:9], s[8:9], vcc
	s_mov_b64 s[12:13], 0
                                        ; implicit-def: $vgpr15_vgpr16
	s_and_saveexec_b64 s[14:15], s[8:9]
	s_xor_b64 s[8:9], exec, s[14:15]
	s_cbranch_execnz .LBB143_1075
; %bb.35:
	s_andn2_saveexec_b64 s[8:9], s[8:9]
	s_cbranch_execnz .LBB143_1080
.LBB143_36:
	s_or_b64 exec, exec, s[8:9]
	s_and_saveexec_b64 s[8:9], s[12:13]
.LBB143_37:
	v_lshlrev_b32_e32 v1, 3, v17
	v_lshl_add_u32 v1, v2, 3, v1
	ds_write_b64 v1, v[15:16]
.LBB143_38:
	s_or_b64 exec, exec, s[8:9]
	v_add_u32_e32 v1, 16, v2
	v_mad_u64_u32 v[13:14], s[8:9], s36, v1, v[11:12]
	v_cmp_gt_u32_e32 vcc, v0, v1
	s_mov_b64 s[12:13], 0
	v_mad_u64_u32 v[14:15], s[8:9], s37, v1, v[14:15]
	v_cmp_gt_i32_e64 s[8:9], s90, v1
	s_and_b64 s[8:9], vcc, s[8:9]
	s_and_b64 s[8:9], s[2:3], s[8:9]
	s_xor_b64 s[8:9], s[8:9], -1
                                        ; implicit-def: $vgpr15_vgpr16
	s_and_saveexec_b64 s[14:15], s[8:9]
	s_xor_b64 s[8:9], exec, s[14:15]
	s_cbranch_execnz .LBB143_1081
; %bb.39:
	s_andn2_saveexec_b64 s[8:9], s[8:9]
	s_cbranch_execnz .LBB143_1086
.LBB143_40:
	s_or_b64 exec, exec, s[8:9]
	s_and_saveexec_b64 s[8:9], s[12:13]
.LBB143_41:
	v_add_u32_e32 v13, v1, v17
	v_lshl_add_u32 v1, v1, 6, v0
	v_cndmask_b32_e64 v1, v1, v13, s[0:1]
	v_lshlrev_b32_e32 v1, 3, v1
	ds_write_b64 v1, v[15:16]
.LBB143_42:
	s_or_b64 exec, exec, s[8:9]
	v_add_u32_e32 v1, 32, v2
	v_mad_u64_u32 v[13:14], s[8:9], s36, v1, v[11:12]
	v_cmp_gt_u32_e32 vcc, v0, v1
	s_mov_b64 s[12:13], 0
	v_mad_u64_u32 v[14:15], s[8:9], s37, v1, v[14:15]
	v_cmp_gt_i32_e64 s[8:9], s90, v1
	s_and_b64 s[8:9], vcc, s[8:9]
	s_and_b64 s[8:9], s[2:3], s[8:9]
	s_xor_b64 s[8:9], s[8:9], -1
                                        ; implicit-def: $vgpr15_vgpr16
	s_and_saveexec_b64 s[14:15], s[8:9]
	s_xor_b64 s[8:9], exec, s[14:15]
	s_cbranch_execnz .LBB143_1087
; %bb.43:
	s_andn2_saveexec_b64 s[8:9], s[8:9]
	s_cbranch_execnz .LBB143_1092
.LBB143_44:
	s_or_b64 exec, exec, s[8:9]
	s_and_saveexec_b64 s[8:9], s[12:13]
.LBB143_45:
	v_add_u32_e32 v13, v1, v17
	v_lshl_add_u32 v1, v1, 6, v0
	v_cndmask_b32_e64 v1, v1, v13, s[0:1]
	v_lshlrev_b32_e32 v1, 3, v1
	ds_write_b64 v1, v[15:16]
.LBB143_46:
	s_or_b64 exec, exec, s[8:9]
	v_add_u32_e32 v1, 48, v2
	v_mad_u64_u32 v[11:12], s[8:9], s36, v1, v[11:12]
	v_cmp_gt_u32_e32 vcc, v0, v1
	v_mad_u64_u32 v[12:13], s[8:9], s37, v1, v[12:13]
	v_cmp_gt_i32_e64 s[8:9], s90, v1
	s_and_b64 s[8:9], vcc, s[8:9]
	s_and_b64 s[8:9], s[2:3], s[8:9]
	s_xor_b64 s[8:9], s[8:9], -1
                                        ; implicit-def: $vgpr13_vgpr14
	s_and_saveexec_b64 s[12:13], s[8:9]
	s_xor_b64 s[8:9], exec, s[12:13]
	s_cbranch_execz .LBB143_52
; %bb.47:
	v_cmp_ne_u32_e32 vcc, v0, v1
	s_xor_b64 s[2:3], s[2:3], -1
	s_or_b64 s[12:13], s[2:3], vcc
	s_mov_b64 s[2:3], s[10:11]
	s_and_saveexec_b64 s[14:15], s[12:13]
	s_xor_b64 s[12:13], exec, s[14:15]
; %bb.48:
	v_or_b32_e32 v11, v1, v0
	v_cmp_gt_u32_e32 vcc, 64, v11
	s_andn2_b64 s[2:3], s[10:11], exec
	s_and_b64 s[14:15], vcc, exec
	s_or_b64 s[2:3], s[2:3], s[14:15]
                                        ; implicit-def: $vgpr11_vgpr12
; %bb.49:
	s_or_saveexec_b64 s[12:13], s[12:13]
	v_mov_b32_e32 v13, 0
	v_mov_b32_e32 v14, 0
	s_xor_b64 exec, exec, s[12:13]
	s_cbranch_execz .LBB143_51
; %bb.50:
	v_lshlrev_b64 v[11:12], 3, v[11:12]
	v_mov_b32_e32 v13, s94
	v_add_co_u32_e32 v11, vcc, s91, v11
	v_addc_co_u32_e32 v12, vcc, v13, v12, vcc
	flat_load_dwordx2 v[11:12], v[11:12]
	s_or_b64 s[2:3], s[2:3], exec
	s_waitcnt vmcnt(0) lgkmcnt(0)
	v_div_scale_f64 v[13:14], s[14:15], v[11:12], v[11:12], 1.0
	v_div_scale_f64 v[20:21], vcc, 1.0, v[11:12], 1.0
	v_rcp_f64_e32 v[15:16], v[13:14]
	v_fma_f64 v[18:19], -v[13:14], v[15:16], 1.0
	v_fma_f64 v[15:16], v[15:16], v[18:19], v[15:16]
	v_fma_f64 v[18:19], -v[13:14], v[15:16], 1.0
	v_fma_f64 v[15:16], v[15:16], v[18:19], v[15:16]
	v_mul_f64 v[18:19], v[20:21], v[15:16]
	v_fma_f64 v[13:14], -v[13:14], v[18:19], v[20:21]
	v_div_fmas_f64 v[13:14], v[13:14], v[15:16], v[18:19]
	v_div_fixup_f64 v[13:14], v[13:14], v[11:12], 1.0
.LBB143_51:
	s_or_b64 exec, exec, s[12:13]
	s_andn2_b64 s[10:11], s[10:11], exec
	s_and_b64 s[2:3], s[2:3], exec
	s_or_b64 s[10:11], s[10:11], s[2:3]
                                        ; implicit-def: $vgpr11_vgpr12
.LBB143_52:
	s_or_saveexec_b64 s[2:3], s[8:9]
	v_add_u32_e32 v15, v1, v17
	v_lshl_add_u32 v1, v1, 6, v0
	s_xor_b64 exec, exec, s[2:3]
	s_cbranch_execz .LBB143_54
; %bb.53:
	v_lshlrev_b64 v[11:12], 3, v[11:12]
	v_mov_b32_e32 v13, s94
	v_add_co_u32_e32 v11, vcc, s91, v11
	v_addc_co_u32_e32 v12, vcc, v13, v12, vcc
	flat_load_dwordx2 v[13:14], v[11:12]
	s_or_b64 s[10:11], s[10:11], exec
	s_waitcnt vmcnt(0) lgkmcnt(0)
	v_xor_b32_e32 v14, 0x80000000, v14
.LBB143_54:
	s_or_b64 exec, exec, s[2:3]
	v_cndmask_b32_e64 v1, v1, v15, s[0:1]
.LBB143_55:
	s_xor_b64 s[0:1], s[0:1], -1
	s_and_saveexec_b64 s[2:3], s[10:11]
; %bb.56:
	v_lshlrev_b32_e32 v1, 3, v1
	ds_write_b64 v1, v[13:14]
; %bb.57:
	s_or_b64 exec, exec, s[2:3]
	v_cndmask_b32_e64 v1, 0, 1, s[0:1]
	v_cmp_ne_u32_e64 s[42:43], 1, v1
	s_andn2_b64 vcc, exec, s[0:1]
	s_waitcnt vmcnt(0) lgkmcnt(0)
	s_barrier
	s_cbranch_vccnz .LBB143_987
; %bb.58:
	v_or_b32_e32 v1, v0, v2
	v_cmp_eq_u32_e32 vcc, 0, v1
	s_and_saveexec_b64 s[0:1], vcc
	s_cbranch_execz .LBB143_60
; %bb.59:
	v_mov_b32_e32 v1, 0
	ds_read_b128 v[11:14], v1
	ds_read_b64 v[15:16], v1 offset:520
	s_waitcnt lgkmcnt(0)
	v_mul_f64 v[11:12], v[11:12], v[15:16]
	v_mul_f64 v[11:12], v[13:14], v[11:12]
	ds_write2_b64 v1, v[11:12], v[11:12] offset0:1 offset1:64
.LBB143_60:
	s_or_b64 exec, exec, s[0:1]
	v_lshl_add_u32 v14, v2, 6, v0
	v_and_b32_e32 v16, 1, v0
	v_lshrrev_b32_e32 v15, 1, v14
	v_lshlrev_b32_e32 v1, 3, v16
	v_mov_b32_e32 v11, 0
	v_cmp_lt_u32_e64 s[8:9], 3, v14
	v_cmp_gt_u32_e64 s[2:3], 4, v14
	v_mov_b32_e32 v12, 0
	v_lshl_or_b32 v1, v15, 9, v1
	s_waitcnt lgkmcnt(0)
	s_barrier
	s_and_saveexec_b64 s[0:1], s[2:3]
	s_cbranch_execz .LBB143_64
; %bb.61:
	v_mul_u32_u24_e32 v13, 0x208, v15
	ds_read_b64 v[11:12], v1 offset:16
	ds_read_b64 v[17:18], v13
	v_cmp_gt_u32_e64 s[10:11], 2, v14
	s_waitcnt lgkmcnt(0)
	v_fma_f64 v[11:12], v[11:12], v[17:18], 0
	s_and_saveexec_b64 s[12:13], s[10:11]
	s_cbranch_execz .LBB143_63
; %bb.62:
	v_lshlrev_b32_e32 v13, 3, v0
	v_mov_b32_e32 v19, 0
	ds_read_b64 v[17:18], v13 offset:528
	ds_read_b64 v[19:20], v19 offset:8
	s_waitcnt lgkmcnt(0)
	v_fma_f64 v[11:12], v[17:18], v[19:20], v[11:12]
.LBB143_63:
	s_or_b64 exec, exec, s[12:13]
	v_xor_b32_e32 v12, 0x80000000, v12
.LBB143_64:
                                        ; implicit-def: $vgpr42 : SGPR spill to VGPR lane
	v_writelane_b32 v42, s42, 0
	v_writelane_b32 v42, s43, 1
	;; [unrolled: 1-line block ×5, first 2 shown]
	s_or_b64 exec, exec, s[0:1]
	v_mov_b32_e32 v13, 0x8000
	v_cmp_eq_u32_e64 s[10:11], 0, v16
	s_xor_b64 s[0:1], s[8:9], -1
	v_lshl_add_u32 v13, v15, 3, v13
	s_and_b64 s[42:43], s[10:11], s[0:1]
	s_and_saveexec_b64 s[8:9], s[42:43]
	s_cbranch_execz .LBB143_66
; %bb.65:
	v_mov_b32_e32 v17, 0
	ds_read_b64 v[17:18], v17 offset:1040
	s_waitcnt lgkmcnt(0)
	v_mul_f64 v[11:12], v[11:12], v[17:18]
	ds_write_b64 v13, v[11:12]
.LBB143_66:
	s_or_b64 exec, exec, s[8:9]
	v_cmp_ne_u32_e64 s[8:9], 0, v16
	s_and_b64 s[40:41], s[8:9], s[0:1]
	s_waitcnt lgkmcnt(0)
	s_barrier
	s_and_saveexec_b64 s[0:1], s[40:41]
	s_cbranch_execz .LBB143_68
; %bb.67:
	v_mov_b32_e32 v16, 0
	ds_read_b64 v[16:17], v16 offset:1048
	ds_read_b64 v[18:19], v13
	s_waitcnt lgkmcnt(0)
	v_fma_f64 v[11:12], v[16:17], v[18:19], v[11:12]
.LBB143_68:
	s_or_b64 exec, exec, s[0:1]
	s_barrier
	s_and_saveexec_b64 s[0:1], s[40:41]
	s_cbranch_execz .LBB143_70
; %bb.69:
	v_mov_b32_e32 v16, 0
	ds_read_b64 v[16:17], v16 offset:1560
	s_waitcnt lgkmcnt(0)
	v_mul_f64 v[11:12], v[11:12], v[16:17]
	ds_write_b64 v13, v[11:12]
.LBB143_70:
	s_or_b64 exec, exec, s[0:1]
	s_waitcnt lgkmcnt(0)
	s_barrier
	s_barrier
	s_and_saveexec_b64 s[0:1], s[2:3]
; %bb.71:
	v_xor_b32_e32 v12, 0x80000000, v12
	ds_write_b64 v1, v[11:12] offset:16
; %bb.72:
	s_or_b64 exec, exec, s[0:1]
	v_cmp_eq_u32_e64 s[12:13], 0, v2
	v_cmp_gt_u32_e64 s[8:9], 2, v0
	s_and_b64 s[44:45], s[12:13], s[8:9]
	s_waitcnt lgkmcnt(0)
	s_barrier
	s_barrier
	s_and_saveexec_b64 s[0:1], s[44:45]
	s_cbranch_execz .LBB143_74
; %bb.73:
	v_lshlrev_b32_e32 v16, 3, v0
	s_movk_i32 s8, 0x1f8
	v_mad_u32_u24 v17, v0, s8, v16
	ds_read_b64 v[11:12], v17 offset:16
	s_waitcnt lgkmcnt(0)
	ds_write_b64 v16, v[11:12] offset:1024
	ds_read_b64 v[11:12], v17 offset:24
	s_waitcnt lgkmcnt(0)
	ds_write_b64 v16, v[11:12] offset:1536
.LBB143_74:
	s_or_b64 exec, exec, s[0:1]
	s_waitcnt lgkmcnt(0)
	s_barrier
	s_and_saveexec_b64 s[0:1], vcc
	s_cbranch_execz .LBB143_76
; %bb.75:
	v_mov_b32_e32 v20, 0
	ds_read_b128 v[16:19], v20 offset:1040
	ds_read_b64 v[11:12], v20 offset:1560
	s_waitcnt lgkmcnt(0)
	v_mul_f64 v[11:12], v[16:17], v[11:12]
	v_mul_f64 v[11:12], v[18:19], v[11:12]
	ds_write2_b64 v20, v[11:12], v[11:12] offset0:131 offset1:194
.LBB143_76:
	s_or_b64 exec, exec, s[0:1]
	v_and_b32_e32 v19, 3, v0
	v_lshrrev_b32_e32 v20, 2, v14
	v_lshlrev_b32_e32 v17, 3, v19
	v_mov_b32_e32 v11, 0
	v_cmp_lt_u32_e64 s[8:9], 15, v14
	v_cmp_gt_u32_e64 s[18:19], 16, v14
	v_mov_b32_e32 v12, 0
	v_lshl_or_b32 v16, v20, 9, v17
	s_waitcnt lgkmcnt(0)
	s_barrier
	s_and_saveexec_b64 s[0:1], s[18:19]
	s_cbranch_execz .LBB143_82
; %bb.77:
	v_mul_u32_u24_e32 v18, 0x208, v20
	ds_read_b64 v[11:12], v16 offset:32
	ds_read_b64 v[21:22], v18
	v_cmp_gt_u32_e64 s[10:11], 12, v14
	s_waitcnt lgkmcnt(0)
	v_fma_f64 v[11:12], v[11:12], v[21:22], 0
	s_and_saveexec_b64 s[14:15], s[10:11]
	s_cbranch_execnz .LBB143_1097
; %bb.78:
	s_or_b64 exec, exec, s[14:15]
	v_cmp_gt_u32_e64 s[10:11], 8, v14
	s_and_saveexec_b64 s[14:15], s[10:11]
	s_cbranch_execnz .LBB143_1098
.LBB143_79:
	s_or_b64 exec, exec, s[14:15]
	v_cmp_gt_u32_e64 s[10:11], 4, v14
	s_and_saveexec_b64 s[14:15], s[10:11]
	s_cbranch_execz .LBB143_81
.LBB143_80:
	v_lshlrev_b32_e32 v18, 3, v0
	v_mov_b32_e32 v23, 0
	ds_read_b64 v[21:22], v18 offset:1568
	ds_read_b64 v[23:24], v23 offset:24
	s_waitcnt lgkmcnt(0)
	v_fma_f64 v[11:12], v[21:22], v[23:24], v[11:12]
.LBB143_81:
	s_or_b64 exec, exec, s[14:15]
	v_xor_b32_e32 v12, 0x80000000, v12
.LBB143_82:
	s_or_b64 exec, exec, s[0:1]
	v_mov_b32_e32 v18, 0x8000
	v_cmp_eq_u32_e64 s[10:11], 0, v19
	s_xor_b64 s[0:1], s[8:9], -1
	v_lshl_add_u32 v18, v20, 3, v18
	s_and_b64 s[48:49], s[10:11], s[0:1]
	s_and_saveexec_b64 s[8:9], s[48:49]
	s_cbranch_execz .LBB143_84
; %bb.83:
	v_mov_b32_e32 v21, 0
	ds_read_b64 v[21:22], v21 offset:2080
	s_waitcnt lgkmcnt(0)
	v_mul_f64 v[11:12], v[11:12], v[21:22]
	ds_write_b64 v18, v[11:12]
.LBB143_84:
	s_or_b64 exec, exec, s[8:9]
	v_cmp_ne_u32_e64 s[8:9], 0, v19
	s_and_b64 s[50:51], s[8:9], s[0:1]
	s_waitcnt lgkmcnt(0)
	s_barrier
	s_and_saveexec_b64 s[8:9], s[50:51]
	s_cbranch_execz .LBB143_86
; %bb.85:
	ds_read_b64 v[21:22], v17 offset:2080
	ds_read_b64 v[23:24], v18
	s_waitcnt lgkmcnt(0)
	v_fma_f64 v[11:12], v[21:22], v[23:24], v[11:12]
.LBB143_86:
	s_or_b64 exec, exec, s[8:9]
	v_cmp_eq_u32_e64 s[8:9], 1, v19
	s_and_b64 s[52:53], s[8:9], s[0:1]
	s_barrier
	s_and_saveexec_b64 s[8:9], s[52:53]
	s_cbranch_execz .LBB143_88
; %bb.87:
	v_mov_b32_e32 v21, 0
	ds_read_b64 v[21:22], v21 offset:2600
	s_waitcnt lgkmcnt(0)
	v_mul_f64 v[11:12], v[11:12], v[21:22]
	ds_write_b64 v18, v[11:12]
.LBB143_88:
	s_or_b64 exec, exec, s[8:9]
	v_cmp_lt_u32_e64 s[8:9], 1, v19
	s_and_b64 s[54:55], s[8:9], s[0:1]
	s_waitcnt lgkmcnt(0)
	s_barrier
	s_and_saveexec_b64 s[8:9], s[54:55]
	s_cbranch_execz .LBB143_90
; %bb.89:
	ds_read_b64 v[21:22], v17 offset:2592
	ds_read_b64 v[23:24], v18
	s_waitcnt lgkmcnt(0)
	v_fma_f64 v[11:12], v[21:22], v[23:24], v[11:12]
.LBB143_90:
	s_or_b64 exec, exec, s[8:9]
	v_cmp_eq_u32_e64 s[8:9], 2, v19
	s_and_b64 s[56:57], s[8:9], s[0:1]
	s_barrier
	s_and_saveexec_b64 s[8:9], s[56:57]
	s_cbranch_execz .LBB143_92
; %bb.91:
	v_mov_b32_e32 v21, 0
	ds_read_b64 v[21:22], v21 offset:3120
	s_waitcnt lgkmcnt(0)
	v_mul_f64 v[11:12], v[11:12], v[21:22]
	ds_write_b64 v18, v[11:12]
.LBB143_92:
	s_or_b64 exec, exec, s[8:9]
	v_cmp_eq_u32_e64 s[8:9], 3, v19
	s_and_b64 s[46:47], s[8:9], s[0:1]
	s_waitcnt lgkmcnt(0)
	s_barrier
	s_and_saveexec_b64 s[0:1], s[46:47]
	s_cbranch_execz .LBB143_94
; %bb.93:
	v_mov_b32_e32 v21, 0
	ds_read_b64 v[21:22], v21 offset:3128
	ds_read_b64 v[23:24], v18
	s_waitcnt lgkmcnt(0)
	v_fma_f64 v[11:12], v[21:22], v[23:24], v[11:12]
.LBB143_94:
	s_or_b64 exec, exec, s[0:1]
	s_barrier
	s_and_saveexec_b64 s[0:1], s[46:47]
	s_cbranch_execz .LBB143_96
; %bb.95:
	v_mov_b32_e32 v21, 0
	ds_read_b64 v[21:22], v21 offset:3640
	s_waitcnt lgkmcnt(0)
	v_mul_f64 v[11:12], v[11:12], v[21:22]
	ds_write_b64 v18, v[11:12]
.LBB143_96:
	s_or_b64 exec, exec, s[0:1]
	s_waitcnt lgkmcnt(0)
	s_barrier
	s_barrier
	s_and_saveexec_b64 s[0:1], s[18:19]
; %bb.97:
	v_xor_b32_e32 v12, 0x80000000, v12
	ds_write_b64 v16, v[11:12] offset:32
; %bb.98:
	s_or_b64 exec, exec, s[0:1]
	v_cmp_gt_u32_e64 s[8:9], 4, v0
	s_and_b64 s[58:59], s[12:13], s[8:9]
	s_waitcnt lgkmcnt(0)
	s_barrier
	s_barrier
	s_and_saveexec_b64 s[0:1], s[58:59]
	s_cbranch_execz .LBB143_100
; %bb.99:
	v_lshlrev_b32_e32 v21, 9, v0
	ds_read_b64 v[11:12], v21 offset:32
	s_movk_i32 s8, 0xfe08
	v_mad_i32_i24 v22, v0, s8, v21
	s_waitcnt lgkmcnt(0)
	ds_write_b64 v22, v[11:12] offset:2048
	ds_read_b64 v[11:12], v21 offset:40
	s_waitcnt lgkmcnt(0)
	ds_write_b64 v22, v[11:12] offset:2560
	ds_read_b64 v[11:12], v21 offset:48
	;; [unrolled: 3-line block ×3, first 2 shown]
	s_waitcnt lgkmcnt(0)
	ds_write_b64 v22, v[11:12] offset:3584
.LBB143_100:
	s_or_b64 exec, exec, s[0:1]
	s_waitcnt lgkmcnt(0)
	s_barrier
	s_and_saveexec_b64 s[0:1], vcc
	s_cbranch_execz .LBB143_102
; %bb.101:
	v_mov_b32_e32 v11, 0
	ds_read_b128 v[21:24], v11 offset:2080
	ds_read_b64 v[11:12], v11 offset:2600
	s_movk_i32 s8, 0x800
	s_waitcnt lgkmcnt(0)
	v_mul_f64 v[11:12], v[21:22], v[11:12]
	v_add_u32_e64 v21, s8, 0
	v_mul_f64 v[11:12], v[23:24], v[11:12]
	ds_write2_b64 v21, v[11:12], v[11:12] offset0:5 offset1:68
.LBB143_102:
	s_or_b64 exec, exec, s[0:1]
	v_mov_b32_e32 v11, 0
	v_mov_b32_e32 v12, 0
	s_waitcnt lgkmcnt(0)
	s_barrier
	s_and_saveexec_b64 s[0:1], s[2:3]
	s_cbranch_execz .LBB143_106
; %bb.103:
	v_mul_u32_u24_e32 v21, 0x208, v15
	ds_read_b64 v[11:12], v1 offset:2096
	ds_read_b64 v[21:22], v21 offset:2080
	v_cmp_gt_u32_e64 s[8:9], 2, v14
	s_waitcnt lgkmcnt(0)
	v_fma_f64 v[11:12], v[11:12], v[21:22], 0
	s_and_saveexec_b64 s[10:11], s[8:9]
	s_cbranch_execz .LBB143_105
; %bb.104:
	v_lshlrev_b32_e32 v21, 3, v0
	v_mov_b32_e32 v23, 0
	ds_read_b64 v[21:22], v21 offset:2608
	ds_read_b64 v[23:24], v23 offset:2088
	s_waitcnt lgkmcnt(0)
	v_fma_f64 v[11:12], v[21:22], v[23:24], v[11:12]
.LBB143_105:
	s_or_b64 exec, exec, s[10:11]
	v_xor_b32_e32 v12, 0x80000000, v12
.LBB143_106:
	s_or_b64 exec, exec, s[0:1]
	s_and_saveexec_b64 s[0:1], s[42:43]
	s_cbranch_execz .LBB143_108
; %bb.107:
	v_mov_b32_e32 v21, 0
	ds_read_b64 v[21:22], v21 offset:3120
	s_waitcnt lgkmcnt(0)
	v_mul_f64 v[11:12], v[11:12], v[21:22]
	ds_write_b64 v13, v[11:12]
.LBB143_108:
	s_or_b64 exec, exec, s[0:1]
	s_waitcnt lgkmcnt(0)
	s_barrier
	s_and_saveexec_b64 s[0:1], s[40:41]
	s_cbranch_execz .LBB143_110
; %bb.109:
	v_mov_b32_e32 v21, 0
	ds_read_b64 v[21:22], v21 offset:3128
	ds_read_b64 v[23:24], v13
	s_waitcnt lgkmcnt(0)
	v_fma_f64 v[11:12], v[21:22], v[23:24], v[11:12]
.LBB143_110:
	s_or_b64 exec, exec, s[0:1]
	s_barrier
	s_and_saveexec_b64 s[0:1], s[40:41]
	s_cbranch_execz .LBB143_112
; %bb.111:
	v_mov_b32_e32 v21, 0
	ds_read_b64 v[21:22], v21 offset:3640
	s_waitcnt lgkmcnt(0)
	v_mul_f64 v[11:12], v[11:12], v[21:22]
	ds_write_b64 v13, v[11:12]
.LBB143_112:
	s_or_b64 exec, exec, s[0:1]
	s_waitcnt lgkmcnt(0)
	s_barrier
	s_barrier
	s_and_saveexec_b64 s[0:1], s[2:3]
; %bb.113:
	v_xor_b32_e32 v12, 0x80000000, v12
	ds_write_b64 v1, v[11:12] offset:2096
; %bb.114:
	s_or_b64 exec, exec, s[0:1]
	s_waitcnt lgkmcnt(0)
	s_barrier
	s_barrier
	s_and_saveexec_b64 s[0:1], s[44:45]
	s_cbranch_execz .LBB143_116
; %bb.115:
	v_lshlrev_b32_e32 v21, 3, v0
	s_movk_i32 s8, 0x1f8
	v_mad_u32_u24 v22, v0, s8, v21
	ds_read_b64 v[11:12], v22 offset:2096
	s_waitcnt lgkmcnt(0)
	ds_write_b64 v21, v[11:12] offset:3104
	ds_read_b64 v[11:12], v22 offset:2104
	s_waitcnt lgkmcnt(0)
	ds_write_b64 v21, v[11:12] offset:3616
.LBB143_116:
	s_or_b64 exec, exec, s[0:1]
	s_waitcnt lgkmcnt(0)
	s_barrier
	s_and_saveexec_b64 s[0:1], vcc
	s_cbranch_execz .LBB143_118
; %bb.117:
	v_mov_b32_e32 v11, 0
	ds_read_b128 v[21:24], v11 offset:3120
	ds_read_b64 v[11:12], v11 offset:3640
	s_movk_i32 s8, 0x800
	s_waitcnt lgkmcnt(0)
	v_mul_f64 v[11:12], v[21:22], v[11:12]
	v_add_u32_e64 v21, s8, 0
	v_mul_f64 v[11:12], v[23:24], v[11:12]
	ds_write2_b64 v21, v[11:12], v[11:12] offset0:135 offset1:198
.LBB143_118:
	s_or_b64 exec, exec, s[0:1]
	v_and_b32_e32 v24, 7, v0
	v_lshrrev_b32_e32 v25, 3, v14
	v_lshlrev_b32_e32 v22, 3, v24
	v_mov_b32_e32 v11, 0
	v_cmp_lt_u32_e64 s[10:11], 63, v14
	v_cmp_gt_u32_e64 s[8:9], 64, v14
	v_mov_b32_e32 v12, 0
	v_lshl_or_b32 v21, v25, 9, v22
	s_waitcnt lgkmcnt(0)
	s_barrier
	s_and_saveexec_b64 s[0:1], s[8:9]
	s_cbranch_execz .LBB143_128
; %bb.119:
	v_mul_u32_u24_e32 v23, 0x208, v25
	ds_read_b64 v[11:12], v21 offset:64
	ds_read_b64 v[26:27], v23
	v_cmp_gt_u32_e64 s[14:15], 56, v14
	s_waitcnt lgkmcnt(0)
	v_fma_f64 v[11:12], v[11:12], v[26:27], 0
	s_and_saveexec_b64 s[16:17], s[14:15]
	s_cbranch_execnz .LBB143_1099
; %bb.120:
	s_or_b64 exec, exec, s[16:17]
	v_cmp_gt_u32_e64 s[14:15], 48, v14
	s_and_saveexec_b64 s[16:17], s[14:15]
	s_cbranch_execnz .LBB143_1100
.LBB143_121:
	s_or_b64 exec, exec, s[16:17]
	v_cmp_gt_u32_e64 s[14:15], 40, v14
	s_and_saveexec_b64 s[16:17], s[14:15]
	s_cbranch_execnz .LBB143_1101
.LBB143_122:
	s_or_b64 exec, exec, s[16:17]
	v_cmp_gt_u32_e64 s[14:15], 32, v14
	s_and_saveexec_b64 s[16:17], s[14:15]
	s_cbranch_execnz .LBB143_1102
.LBB143_123:
	s_or_b64 exec, exec, s[16:17]
	v_cmp_gt_u32_e64 s[14:15], 24, v14
	s_and_saveexec_b64 s[16:17], s[14:15]
	s_cbranch_execnz .LBB143_1103
.LBB143_124:
	s_or_b64 exec, exec, s[16:17]
	v_cmp_gt_u32_e64 s[14:15], 16, v14
	s_and_saveexec_b64 s[16:17], s[14:15]
	s_cbranch_execnz .LBB143_1104
.LBB143_125:
	s_or_b64 exec, exec, s[16:17]
	v_cmp_gt_u32_e64 s[14:15], 8, v14
	s_and_saveexec_b64 s[16:17], s[14:15]
	s_cbranch_execz .LBB143_127
.LBB143_126:
	v_lshlrev_b32_e32 v23, 3, v0
	v_mov_b32_e32 v28, 0
	ds_read_b64 v[26:27], v23 offset:3648
	ds_read_b64 v[28:29], v28 offset:56
	s_waitcnt lgkmcnt(0)
	v_fma_f64 v[11:12], v[26:27], v[28:29], v[11:12]
.LBB143_127:
	s_or_b64 exec, exec, s[16:17]
	v_xor_b32_e32 v12, 0x80000000, v12
.LBB143_128:
	s_or_b64 exec, exec, s[0:1]
	v_mov_b32_e32 v23, 0x8000
	v_cmp_eq_u32_e64 s[14:15], 0, v24
	s_xor_b64 s[0:1], s[10:11], -1
	v_lshl_add_u32 v23, v25, 3, v23
	s_and_b64 s[60:61], s[14:15], s[0:1]
	s_and_saveexec_b64 s[10:11], s[60:61]
	s_cbranch_execz .LBB143_130
; %bb.129:
	v_mov_b32_e32 v26, 0
	ds_read_b64 v[26:27], v26 offset:4160
	s_waitcnt lgkmcnt(0)
	v_mul_f64 v[11:12], v[11:12], v[26:27]
	ds_write_b64 v23, v[11:12]
.LBB143_130:
	s_or_b64 exec, exec, s[10:11]
	v_cmp_ne_u32_e64 s[10:11], 0, v24
	s_and_b64 s[62:63], s[10:11], s[0:1]
	s_waitcnt lgkmcnt(0)
	s_barrier
	s_and_saveexec_b64 s[10:11], s[62:63]
	s_cbranch_execz .LBB143_132
; %bb.131:
	ds_read_b64 v[26:27], v22 offset:4160
	ds_read_b64 v[28:29], v23
	s_waitcnt lgkmcnt(0)
	v_fma_f64 v[11:12], v[26:27], v[28:29], v[11:12]
.LBB143_132:
	s_or_b64 exec, exec, s[10:11]
	v_cmp_eq_u32_e64 s[10:11], 1, v24
	s_and_b64 s[64:65], s[10:11], s[0:1]
	s_barrier
	s_and_saveexec_b64 s[10:11], s[64:65]
	s_cbranch_execz .LBB143_134
; %bb.133:
	v_mov_b32_e32 v26, 0
	ds_read_b64 v[26:27], v26 offset:4680
	s_waitcnt lgkmcnt(0)
	v_mul_f64 v[11:12], v[11:12], v[26:27]
	ds_write_b64 v23, v[11:12]
.LBB143_134:
	s_or_b64 exec, exec, s[10:11]
	v_cmp_lt_u32_e64 s[10:11], 1, v24
	s_and_b64 s[66:67], s[10:11], s[0:1]
	s_waitcnt lgkmcnt(0)
	s_barrier
	s_and_saveexec_b64 s[10:11], s[66:67]
	s_cbranch_execz .LBB143_136
; %bb.135:
	ds_read_b64 v[26:27], v22 offset:4672
	ds_read_b64 v[28:29], v23
	s_waitcnt lgkmcnt(0)
	v_fma_f64 v[11:12], v[26:27], v[28:29], v[11:12]
.LBB143_136:
	s_or_b64 exec, exec, s[10:11]
	v_cmp_eq_u32_e64 s[10:11], 2, v24
	s_and_b64 s[68:69], s[10:11], s[0:1]
	s_barrier
	s_and_saveexec_b64 s[10:11], s[68:69]
	s_cbranch_execz .LBB143_138
; %bb.137:
	v_mov_b32_e32 v26, 0
	ds_read_b64 v[26:27], v26 offset:5200
	s_waitcnt lgkmcnt(0)
	v_mul_f64 v[11:12], v[11:12], v[26:27]
	ds_write_b64 v23, v[11:12]
.LBB143_138:
	s_or_b64 exec, exec, s[10:11]
	v_cmp_lt_u32_e64 s[10:11], 2, v24
	;; [unrolled: 26-line block ×5, first 2 shown]
	s_and_b64 s[84:85], s[10:11], s[0:1]
	s_waitcnt lgkmcnt(0)
	s_barrier
	s_and_saveexec_b64 s[10:11], s[84:85]
	s_cbranch_execz .LBB143_152
; %bb.151:
	ds_read_b64 v[26:27], v22 offset:6720
	ds_read_b64 v[28:29], v23
	s_waitcnt lgkmcnt(0)
	v_fma_f64 v[11:12], v[26:27], v[28:29], v[11:12]
.LBB143_152:
	s_or_b64 exec, exec, s[10:11]
	v_cmp_eq_u32_e64 s[10:11], 6, v24
	s_and_b64 s[86:87], s[10:11], s[0:1]
	s_barrier
	s_and_saveexec_b64 s[10:11], s[86:87]
	s_cbranch_execz .LBB143_154
; %bb.153:
	v_mov_b32_e32 v26, 0
	ds_read_b64 v[26:27], v26 offset:7280
	s_waitcnt lgkmcnt(0)
	v_mul_f64 v[11:12], v[11:12], v[26:27]
	ds_write_b64 v23, v[11:12]
.LBB143_154:
	s_or_b64 exec, exec, s[10:11]
	v_cmp_eq_u32_e64 s[10:11], 7, v24
	s_and_b64 s[70:71], s[10:11], s[0:1]
	s_waitcnt lgkmcnt(0)
	s_barrier
	s_and_saveexec_b64 s[0:1], s[70:71]
	s_cbranch_execz .LBB143_156
; %bb.155:
	v_mov_b32_e32 v26, 0
	ds_read_b64 v[26:27], v26 offset:7288
	ds_read_b64 v[28:29], v23
	s_waitcnt lgkmcnt(0)
	v_fma_f64 v[11:12], v[26:27], v[28:29], v[11:12]
.LBB143_156:
	s_or_b64 exec, exec, s[0:1]
	s_barrier
	s_and_saveexec_b64 s[0:1], s[70:71]
	s_cbranch_execz .LBB143_158
; %bb.157:
	v_mov_b32_e32 v26, 0
	ds_read_b64 v[26:27], v26 offset:7800
	s_waitcnt lgkmcnt(0)
	v_mul_f64 v[11:12], v[11:12], v[26:27]
	ds_write_b64 v23, v[11:12]
.LBB143_158:
	s_or_b64 exec, exec, s[0:1]
	s_waitcnt lgkmcnt(0)
	s_barrier
	s_barrier
	s_and_saveexec_b64 s[0:1], s[8:9]
; %bb.159:
	v_xor_b32_e32 v12, 0x80000000, v12
	ds_write_b64 v21, v[11:12] offset:64
; %bb.160:
	s_or_b64 exec, exec, s[0:1]
	v_cmp_gt_u32_e64 s[10:11], 8, v0
	s_and_b64 s[88:89], s[12:13], s[10:11]
	s_waitcnt lgkmcnt(0)
	s_barrier
	s_barrier
	s_and_saveexec_b64 s[0:1], s[88:89]
	s_cbranch_execz .LBB143_162
; %bb.161:
	v_lshlrev_b32_e32 v26, 9, v0
	ds_read_b64 v[11:12], v26 offset:64
	s_movk_i32 s10, 0xfe08
	v_mad_i32_i24 v27, v0, s10, v26
	s_waitcnt lgkmcnt(0)
	ds_write_b64 v27, v[11:12] offset:4096
	ds_read_b64 v[11:12], v26 offset:72
	s_waitcnt lgkmcnt(0)
	ds_write_b64 v27, v[11:12] offset:4608
	ds_read_b64 v[11:12], v26 offset:80
	;; [unrolled: 3-line block ×7, first 2 shown]
	s_waitcnt lgkmcnt(0)
	ds_write_b64 v27, v[11:12] offset:7680
.LBB143_162:
	s_or_b64 exec, exec, s[0:1]
	s_waitcnt lgkmcnt(0)
	s_barrier
	s_and_saveexec_b64 s[0:1], vcc
	s_cbranch_execz .LBB143_164
; %bb.163:
	v_mov_b32_e32 v11, 0
	ds_read_b128 v[26:29], v11 offset:4160
	ds_read_b64 v[11:12], v11 offset:4680
	s_movk_i32 s10, 0x1000
	s_waitcnt lgkmcnt(0)
	v_mul_f64 v[11:12], v[26:27], v[11:12]
	v_add_u32_e64 v26, s10, 0
	v_mul_f64 v[11:12], v[28:29], v[11:12]
	ds_write2_b64 v26, v[11:12], v[11:12] offset0:9 offset1:72
.LBB143_164:
	s_or_b64 exec, exec, s[0:1]
	v_mov_b32_e32 v11, 0
	v_mov_b32_e32 v12, 0
	s_waitcnt lgkmcnt(0)
	s_barrier
	s_and_saveexec_b64 s[0:1], s[2:3]
	s_cbranch_execz .LBB143_168
; %bb.165:
	v_mul_u32_u24_e32 v26, 0x208, v15
	ds_read_b64 v[11:12], v1 offset:4176
	ds_read_b64 v[26:27], v26 offset:4160
	v_cmp_gt_u32_e64 s[10:11], 2, v14
	s_waitcnt lgkmcnt(0)
	v_fma_f64 v[11:12], v[11:12], v[26:27], 0
	s_and_saveexec_b64 s[14:15], s[10:11]
	s_cbranch_execz .LBB143_167
; %bb.166:
	v_lshlrev_b32_e32 v26, 3, v0
	v_mov_b32_e32 v28, 0
	ds_read_b64 v[26:27], v26 offset:4688
	ds_read_b64 v[28:29], v28 offset:4168
	s_waitcnt lgkmcnt(0)
	v_fma_f64 v[11:12], v[26:27], v[28:29], v[11:12]
.LBB143_167:
	s_or_b64 exec, exec, s[14:15]
	v_xor_b32_e32 v12, 0x80000000, v12
.LBB143_168:
	s_or_b64 exec, exec, s[0:1]
	s_and_saveexec_b64 s[0:1], s[42:43]
	s_cbranch_execz .LBB143_170
; %bb.169:
	v_mov_b32_e32 v26, 0
	ds_read_b64 v[26:27], v26 offset:5200
	s_waitcnt lgkmcnt(0)
	v_mul_f64 v[11:12], v[11:12], v[26:27]
	ds_write_b64 v13, v[11:12]
.LBB143_170:
	s_or_b64 exec, exec, s[0:1]
	s_waitcnt lgkmcnt(0)
	s_barrier
	s_and_saveexec_b64 s[0:1], s[40:41]
	s_cbranch_execz .LBB143_172
; %bb.171:
	v_mov_b32_e32 v26, 0
	ds_read_b64 v[26:27], v26 offset:5208
	ds_read_b64 v[28:29], v13
	s_waitcnt lgkmcnt(0)
	v_fma_f64 v[11:12], v[26:27], v[28:29], v[11:12]
.LBB143_172:
	s_or_b64 exec, exec, s[0:1]
	s_barrier
	s_and_saveexec_b64 s[0:1], s[40:41]
	s_cbranch_execz .LBB143_174
; %bb.173:
	v_mov_b32_e32 v26, 0
	ds_read_b64 v[26:27], v26 offset:5720
	s_waitcnt lgkmcnt(0)
	v_mul_f64 v[11:12], v[11:12], v[26:27]
	ds_write_b64 v13, v[11:12]
.LBB143_174:
	s_or_b64 exec, exec, s[0:1]
	s_waitcnt lgkmcnt(0)
	s_barrier
	s_barrier
	s_and_saveexec_b64 s[0:1], s[2:3]
; %bb.175:
	v_xor_b32_e32 v12, 0x80000000, v12
	ds_write_b64 v1, v[11:12] offset:4176
; %bb.176:
	s_or_b64 exec, exec, s[0:1]
	s_waitcnt lgkmcnt(0)
	s_barrier
	s_barrier
	s_and_saveexec_b64 s[0:1], s[44:45]
	s_cbranch_execz .LBB143_178
; %bb.177:
	v_lshlrev_b32_e32 v26, 3, v0
	s_movk_i32 s10, 0x1f8
	v_mad_u32_u24 v27, v0, s10, v26
	ds_read_b64 v[11:12], v27 offset:4176
	s_waitcnt lgkmcnt(0)
	ds_write_b64 v26, v[11:12] offset:5184
	ds_read_b64 v[11:12], v27 offset:4184
	s_waitcnt lgkmcnt(0)
	ds_write_b64 v26, v[11:12] offset:5696
.LBB143_178:
	s_or_b64 exec, exec, s[0:1]
	s_waitcnt lgkmcnt(0)
	s_barrier
	s_and_saveexec_b64 s[0:1], vcc
	s_cbranch_execz .LBB143_180
; %bb.179:
	v_mov_b32_e32 v11, 0
	ds_read_b128 v[26:29], v11 offset:5200
	ds_read_b64 v[11:12], v11 offset:5720
	s_movk_i32 s10, 0x1000
	s_waitcnt lgkmcnt(0)
	v_mul_f64 v[11:12], v[26:27], v[11:12]
	v_add_u32_e64 v26, s10, 0
	v_mul_f64 v[11:12], v[28:29], v[11:12]
	ds_write2_b64 v26, v[11:12], v[11:12] offset0:139 offset1:202
.LBB143_180:
	s_or_b64 exec, exec, s[0:1]
	v_mov_b32_e32 v11, 0
	v_mov_b32_e32 v12, 0
	s_waitcnt lgkmcnt(0)
	s_barrier
	s_and_saveexec_b64 s[0:1], s[18:19]
	s_cbranch_execz .LBB143_186
; %bb.181:
	v_mul_u32_u24_e32 v26, 0x208, v20
	ds_read_b64 v[11:12], v16 offset:4192
	ds_read_b64 v[27:28], v26 offset:4160
	v_cmp_gt_u32_e64 s[10:11], 12, v14
	s_waitcnt lgkmcnt(0)
	v_fma_f64 v[11:12], v[11:12], v[27:28], 0
	s_and_saveexec_b64 s[14:15], s[10:11]
	s_cbranch_execnz .LBB143_1105
; %bb.182:
	s_or_b64 exec, exec, s[14:15]
	v_cmp_gt_u32_e64 s[10:11], 8, v14
	s_and_saveexec_b64 s[14:15], s[10:11]
	s_cbranch_execnz .LBB143_1106
.LBB143_183:
	s_or_b64 exec, exec, s[14:15]
	v_cmp_gt_u32_e64 s[10:11], 4, v14
	s_and_saveexec_b64 s[14:15], s[10:11]
	s_cbranch_execz .LBB143_185
.LBB143_184:
	v_lshlrev_b32_e32 v26, 3, v0
	v_mov_b32_e32 v28, 0
	ds_read_b64 v[26:27], v26 offset:5728
	ds_read_b64 v[28:29], v28 offset:4184
	s_waitcnt lgkmcnt(0)
	v_fma_f64 v[11:12], v[26:27], v[28:29], v[11:12]
.LBB143_185:
	s_or_b64 exec, exec, s[14:15]
	v_xor_b32_e32 v12, 0x80000000, v12
.LBB143_186:
	s_or_b64 exec, exec, s[0:1]
	s_and_saveexec_b64 s[0:1], s[48:49]
	s_cbranch_execz .LBB143_188
; %bb.187:
	v_mov_b32_e32 v26, 0
	ds_read_b64 v[26:27], v26 offset:6240
	s_waitcnt lgkmcnt(0)
	v_mul_f64 v[11:12], v[11:12], v[26:27]
	ds_write_b64 v18, v[11:12]
.LBB143_188:
	s_or_b64 exec, exec, s[0:1]
	s_waitcnt lgkmcnt(0)
	s_barrier
	s_and_saveexec_b64 s[0:1], s[50:51]
	s_cbranch_execz .LBB143_190
; %bb.189:
	ds_read_b64 v[26:27], v17 offset:6240
	ds_read_b64 v[28:29], v18
	s_waitcnt lgkmcnt(0)
	v_fma_f64 v[11:12], v[26:27], v[28:29], v[11:12]
.LBB143_190:
	s_or_b64 exec, exec, s[0:1]
	s_barrier
	s_and_saveexec_b64 s[0:1], s[52:53]
	s_cbranch_execz .LBB143_192
; %bb.191:
	v_mov_b32_e32 v26, 0
	ds_read_b64 v[26:27], v26 offset:6760
	s_waitcnt lgkmcnt(0)
	v_mul_f64 v[11:12], v[11:12], v[26:27]
	ds_write_b64 v18, v[11:12]
.LBB143_192:
	s_or_b64 exec, exec, s[0:1]
	s_waitcnt lgkmcnt(0)
	s_barrier
	s_and_saveexec_b64 s[0:1], s[54:55]
	s_cbranch_execz .LBB143_194
; %bb.193:
	ds_read_b64 v[26:27], v17 offset:6752
	ds_read_b64 v[28:29], v18
	s_waitcnt lgkmcnt(0)
	v_fma_f64 v[11:12], v[26:27], v[28:29], v[11:12]
.LBB143_194:
	s_or_b64 exec, exec, s[0:1]
	s_barrier
	s_and_saveexec_b64 s[0:1], s[56:57]
	s_cbranch_execz .LBB143_196
; %bb.195:
	v_mov_b32_e32 v26, 0
	ds_read_b64 v[26:27], v26 offset:7280
	s_waitcnt lgkmcnt(0)
	v_mul_f64 v[11:12], v[11:12], v[26:27]
	ds_write_b64 v18, v[11:12]
.LBB143_196:
	s_or_b64 exec, exec, s[0:1]
	s_waitcnt lgkmcnt(0)
	s_barrier
	s_and_saveexec_b64 s[0:1], s[46:47]
	s_cbranch_execz .LBB143_198
; %bb.197:
	v_mov_b32_e32 v26, 0
	ds_read_b64 v[26:27], v26 offset:7288
	ds_read_b64 v[28:29], v18
	s_waitcnt lgkmcnt(0)
	v_fma_f64 v[11:12], v[26:27], v[28:29], v[11:12]
.LBB143_198:
	s_or_b64 exec, exec, s[0:1]
	s_barrier
	s_and_saveexec_b64 s[0:1], s[46:47]
	s_cbranch_execz .LBB143_200
; %bb.199:
	v_mov_b32_e32 v26, 0
	ds_read_b64 v[26:27], v26 offset:7800
	s_waitcnt lgkmcnt(0)
	v_mul_f64 v[11:12], v[11:12], v[26:27]
	ds_write_b64 v18, v[11:12]
.LBB143_200:
	s_or_b64 exec, exec, s[0:1]
	s_waitcnt lgkmcnt(0)
	s_barrier
	s_barrier
	s_and_saveexec_b64 s[0:1], s[18:19]
; %bb.201:
	v_xor_b32_e32 v12, 0x80000000, v12
	ds_write_b64 v16, v[11:12] offset:4192
; %bb.202:
	s_or_b64 exec, exec, s[0:1]
	s_waitcnt lgkmcnt(0)
	s_barrier
	s_barrier
	s_and_saveexec_b64 s[0:1], s[58:59]
	s_cbranch_execz .LBB143_204
; %bb.203:
	v_lshlrev_b32_e32 v26, 9, v0
	ds_read_b64 v[11:12], v26 offset:4192
	s_movk_i32 s10, 0xfe08
	v_mad_i32_i24 v27, v0, s10, v26
	s_waitcnt lgkmcnt(0)
	ds_write_b64 v27, v[11:12] offset:6208
	ds_read_b64 v[11:12], v26 offset:4200
	s_waitcnt lgkmcnt(0)
	ds_write_b64 v27, v[11:12] offset:6720
	ds_read_b64 v[11:12], v26 offset:4208
	;; [unrolled: 3-line block ×3, first 2 shown]
	s_waitcnt lgkmcnt(0)
	ds_write_b64 v27, v[11:12] offset:7744
.LBB143_204:
	s_or_b64 exec, exec, s[0:1]
	s_waitcnt lgkmcnt(0)
	s_barrier
	s_and_saveexec_b64 s[0:1], vcc
	s_cbranch_execz .LBB143_206
; %bb.205:
	v_mov_b32_e32 v11, 0
	ds_read_b128 v[26:29], v11 offset:6240
	ds_read_b64 v[11:12], v11 offset:6760
	s_movk_i32 s10, 0x1800
	s_waitcnt lgkmcnt(0)
	v_mul_f64 v[11:12], v[26:27], v[11:12]
	v_add_u32_e64 v26, s10, 0
	v_mul_f64 v[11:12], v[28:29], v[11:12]
	ds_write2_b64 v26, v[11:12], v[11:12] offset0:13 offset1:76
.LBB143_206:
	s_or_b64 exec, exec, s[0:1]
	v_mov_b32_e32 v11, 0
	v_mov_b32_e32 v12, 0
	s_waitcnt lgkmcnt(0)
	s_barrier
	s_and_saveexec_b64 s[0:1], s[2:3]
	s_cbranch_execz .LBB143_210
; %bb.207:
	v_mul_u32_u24_e32 v26, 0x208, v15
	ds_read_b64 v[11:12], v1 offset:6256
	ds_read_b64 v[26:27], v26 offset:6240
	v_cmp_gt_u32_e64 s[10:11], 2, v14
	s_waitcnt lgkmcnt(0)
	v_fma_f64 v[11:12], v[11:12], v[26:27], 0
	s_and_saveexec_b64 s[14:15], s[10:11]
	s_cbranch_execz .LBB143_209
; %bb.208:
	v_lshlrev_b32_e32 v26, 3, v0
	v_mov_b32_e32 v28, 0
	ds_read_b64 v[26:27], v26 offset:6768
	ds_read_b64 v[28:29], v28 offset:6248
	s_waitcnt lgkmcnt(0)
	v_fma_f64 v[11:12], v[26:27], v[28:29], v[11:12]
.LBB143_209:
	s_or_b64 exec, exec, s[14:15]
	v_xor_b32_e32 v12, 0x80000000, v12
.LBB143_210:
	s_or_b64 exec, exec, s[0:1]
	s_and_saveexec_b64 s[0:1], s[42:43]
	s_cbranch_execz .LBB143_212
; %bb.211:
	v_mov_b32_e32 v26, 0
	ds_read_b64 v[26:27], v26 offset:7280
	s_waitcnt lgkmcnt(0)
	v_mul_f64 v[11:12], v[11:12], v[26:27]
	ds_write_b64 v13, v[11:12]
.LBB143_212:
	s_or_b64 exec, exec, s[0:1]
	s_waitcnt lgkmcnt(0)
	s_barrier
	s_and_saveexec_b64 s[0:1], s[40:41]
	s_cbranch_execz .LBB143_214
; %bb.213:
	v_mov_b32_e32 v26, 0
	ds_read_b64 v[26:27], v26 offset:7288
	ds_read_b64 v[28:29], v13
	s_waitcnt lgkmcnt(0)
	v_fma_f64 v[11:12], v[26:27], v[28:29], v[11:12]
.LBB143_214:
	s_or_b64 exec, exec, s[0:1]
	s_barrier
	s_and_saveexec_b64 s[0:1], s[40:41]
	s_cbranch_execz .LBB143_216
; %bb.215:
	v_mov_b32_e32 v26, 0
	ds_read_b64 v[26:27], v26 offset:7800
	s_waitcnt lgkmcnt(0)
	v_mul_f64 v[11:12], v[11:12], v[26:27]
	ds_write_b64 v13, v[11:12]
.LBB143_216:
	s_or_b64 exec, exec, s[0:1]
	s_waitcnt lgkmcnt(0)
	s_barrier
	s_barrier
	s_and_saveexec_b64 s[0:1], s[2:3]
; %bb.217:
	v_xor_b32_e32 v12, 0x80000000, v12
	ds_write_b64 v1, v[11:12] offset:6256
; %bb.218:
	s_or_b64 exec, exec, s[0:1]
	s_waitcnt lgkmcnt(0)
	s_barrier
	s_barrier
	s_and_saveexec_b64 s[0:1], s[44:45]
	s_cbranch_execz .LBB143_220
; %bb.219:
	v_lshlrev_b32_e32 v26, 3, v0
	s_movk_i32 s10, 0x1f8
	v_mad_u32_u24 v27, v0, s10, v26
	ds_read_b64 v[11:12], v27 offset:6256
	s_waitcnt lgkmcnt(0)
	ds_write_b64 v26, v[11:12] offset:7264
	ds_read_b64 v[11:12], v27 offset:6264
	s_waitcnt lgkmcnt(0)
	ds_write_b64 v26, v[11:12] offset:7776
.LBB143_220:
	s_or_b64 exec, exec, s[0:1]
	s_waitcnt lgkmcnt(0)
	s_barrier
	s_and_saveexec_b64 s[0:1], vcc
	s_cbranch_execz .LBB143_222
; %bb.221:
	v_mov_b32_e32 v11, 0
	ds_read_b128 v[26:29], v11 offset:7280
	ds_read_b64 v[11:12], v11 offset:7800
	s_movk_i32 s10, 0x1800
	s_waitcnt lgkmcnt(0)
	v_mul_f64 v[11:12], v[26:27], v[11:12]
	v_add_u32_e64 v26, s10, 0
	v_mul_f64 v[11:12], v[28:29], v[11:12]
	ds_write2_b64 v26, v[11:12], v[11:12] offset0:143 offset1:206
.LBB143_222:
	s_or_b64 exec, exec, s[0:1]
	v_lshrrev_b32_e32 v30, 4, v14
	v_and_b32_e32 v27, 15, v0
	s_movk_i32 s0, 0xff
	v_lshlrev_b32_e32 v29, 6, v30
	v_cmp_lt_u32_e64 s[14:15], s0, v14
	s_movk_i32 s0, 0x100
	v_or_b32_e32 v26, v29, v27
	v_mov_b32_e32 v11, 0
	v_cmp_gt_u32_e64 s[10:11], s0, v14
	v_mov_b32_e32 v12, 0
	v_lshlrev_b32_e32 v26, 3, v26
	s_waitcnt lgkmcnt(0)
	s_barrier
	s_and_saveexec_b64 s[0:1], s[10:11]
	s_cbranch_execz .LBB143_250
; %bb.223:
	v_mul_u32_u24_e32 v28, 0x208, v30
	ds_read_b64 v[11:12], v26 offset:128
	ds_read_b64 v[31:32], v28
	s_movk_i32 s16, 0xf0
	v_cmp_gt_u32_e64 s[16:17], s16, v14
	s_waitcnt lgkmcnt(0)
	v_fma_f64 v[11:12], v[11:12], v[31:32], 0
	s_and_saveexec_b64 s[20:21], s[16:17]
	s_cbranch_execz .LBB143_225
; %bb.224:
	v_lshlrev_b32_e32 v31, 3, v30
	v_sub_u32_e32 v31, v28, v31
	v_lshl_add_u32 v31, v27, 3, v31
	ds_read_b64 v[31:32], v31 offset:640
	ds_read_b64 v[33:34], v28 offset:8
	s_waitcnt lgkmcnt(0)
	v_fma_f64 v[11:12], v[31:32], v[33:34], v[11:12]
.LBB143_225:
	s_or_b64 exec, exec, s[20:21]
	s_movk_i32 s16, 0xe0
	v_cmp_gt_u32_e64 s[16:17], s16, v14
	s_and_saveexec_b64 s[20:21], s[16:17]
	s_cbranch_execz .LBB143_227
; %bb.226:
	v_lshlrev_b32_e32 v31, 3, v30
	v_sub_u32_e32 v31, v28, v31
	v_lshl_add_u32 v31, v27, 3, v31
	ds_read_b64 v[31:32], v31 offset:1152
	ds_read_b64 v[33:34], v28 offset:16
	s_waitcnt lgkmcnt(0)
	v_fma_f64 v[11:12], v[31:32], v[33:34], v[11:12]
.LBB143_227:
	s_or_b64 exec, exec, s[20:21]
	s_movk_i32 s16, 0xd0
	v_cmp_gt_u32_e64 s[16:17], s16, v14
	;; [unrolled: 14-line block ×7, first 2 shown]
	s_and_saveexec_b64 s[20:21], s[16:17]
	s_cbranch_execz .LBB143_239
; %bb.238:
	ds_read_b64 v[31:32], v26 offset:4224
	ds_read_b64 v[33:34], v28 offset:64
	s_waitcnt lgkmcnt(0)
	v_fma_f64 v[11:12], v[31:32], v[33:34], v[11:12]
.LBB143_239:
	s_or_b64 exec, exec, s[20:21]
	s_movk_i32 s16, 0x70
	v_cmp_gt_u32_e64 s[16:17], s16, v14
	s_and_saveexec_b64 s[20:21], s[16:17]
	s_cbranch_execz .LBB143_241
; %bb.240:
	v_lshlrev_b32_e32 v31, 3, v30
	v_sub_u32_e32 v31, v28, v31
	v_lshl_add_u32 v31, v27, 3, v31
	ds_read_b64 v[31:32], v31 offset:4736
	ds_read_b64 v[33:34], v28 offset:72
	s_waitcnt lgkmcnt(0)
	v_fma_f64 v[11:12], v[31:32], v[33:34], v[11:12]
.LBB143_241:
	s_or_b64 exec, exec, s[20:21]
	s_movk_i32 s16, 0x60
	v_cmp_gt_u32_e64 s[16:17], s16, v14
	s_and_saveexec_b64 s[20:21], s[16:17]
	s_cbranch_execz .LBB143_243
; %bb.242:
	v_lshlrev_b32_e32 v31, 3, v27
	v_lshl_add_u32 v31, v29, 3, v31
	ds_read_b64 v[31:32], v31 offset:5248
	ds_read_b64 v[33:34], v28 offset:80
	s_waitcnt lgkmcnt(0)
	v_fma_f64 v[11:12], v[31:32], v[33:34], v[11:12]
.LBB143_243:
	s_or_b64 exec, exec, s[20:21]
	s_movk_i32 s16, 0x50
	v_cmp_gt_u32_e64 s[16:17], s16, v14
	s_and_saveexec_b64 s[20:21], s[16:17]
	s_cbranch_execnz .LBB143_1107
; %bb.244:
	s_or_b64 exec, exec, s[20:21]
	v_cmp_gt_u32_e64 s[16:17], 64, v14
	s_and_saveexec_b64 s[20:21], s[16:17]
	s_cbranch_execnz .LBB143_1108
.LBB143_245:
	s_or_b64 exec, exec, s[20:21]
	v_cmp_gt_u32_e64 s[16:17], 48, v14
	s_and_saveexec_b64 s[20:21], s[16:17]
	s_cbranch_execnz .LBB143_1109
.LBB143_246:
	s_or_b64 exec, exec, s[20:21]
	v_cmp_gt_u32_e64 s[16:17], 32, v14
	s_and_saveexec_b64 s[20:21], s[16:17]
	s_cbranch_execnz .LBB143_1110
.LBB143_247:
	s_or_b64 exec, exec, s[20:21]
	v_cmp_gt_u32_e64 s[16:17], 16, v14
	s_and_saveexec_b64 s[20:21], s[16:17]
	s_cbranch_execz .LBB143_249
.LBB143_248:
	v_lshlrev_b32_e32 v28, 3, v0
	v_mov_b32_e32 v33, 0
	ds_read_b64 v[31:32], v28 offset:7808
	ds_read_b64 v[33:34], v33 offset:120
	s_waitcnt lgkmcnt(0)
	v_fma_f64 v[11:12], v[31:32], v[33:34], v[11:12]
.LBB143_249:
	s_or_b64 exec, exec, s[20:21]
	v_xor_b32_e32 v12, 0x80000000, v12
.LBB143_250:
	s_or_b64 exec, exec, s[0:1]
	v_mov_b32_e32 v28, 0x8000
	v_lshl_add_u32 v28, v30, 3, v28
	v_cmp_eq_u32_e64 s[16:17], 0, v27
	s_xor_b64 s[20:21], s[14:15], -1
	s_and_b64 s[14:15], s[16:17], s[20:21]
	s_mov_b64 s[0:1], exec
	v_writelane_b32 v42, s14, 5
	v_writelane_b32 v42, s15, 6
	s_and_b64 s[14:15], s[0:1], s[14:15]
	s_mov_b64 exec, s[14:15]
	s_cbranch_execz .LBB143_252
; %bb.251:
	v_mov_b32_e32 v31, 0
	ds_read_b64 v[31:32], v31 offset:8320
	s_waitcnt lgkmcnt(0)
	v_mul_f64 v[11:12], v[11:12], v[31:32]
	ds_write_b64 v28, v[11:12]
.LBB143_252:
	s_or_b64 exec, exec, s[0:1]
	v_cmp_ne_u32_e64 s[14:15], 0, v27
	s_waitcnt lgkmcnt(0)
	s_barrier
	s_and_b64 s[14:15], s[14:15], s[20:21]
	s_mov_b64 s[0:1], exec
	v_writelane_b32 v42, s14, 7
	v_writelane_b32 v42, s15, 8
	s_and_b64 s[14:15], s[0:1], s[14:15]
	s_mov_b64 exec, s[14:15]
	s_cbranch_execz .LBB143_254
; %bb.253:
	v_lshlrev_b32_e32 v31, 3, v27
	ds_read_b64 v[31:32], v31 offset:8320
	ds_read_b64 v[33:34], v28
	s_waitcnt lgkmcnt(0)
	v_fma_f64 v[11:12], v[31:32], v[33:34], v[11:12]
.LBB143_254:
	s_or_b64 exec, exec, s[0:1]
	v_cmp_eq_u32_e64 s[14:15], 1, v27
	s_barrier
	s_and_b64 s[14:15], s[14:15], s[20:21]
	s_mov_b64 s[0:1], exec
	v_writelane_b32 v42, s14, 9
	v_writelane_b32 v42, s15, 10
	s_and_b64 s[14:15], s[0:1], s[14:15]
	s_mov_b64 exec, s[14:15]
	s_cbranch_execz .LBB143_256
; %bb.255:
	v_mov_b32_e32 v31, 0
	ds_read_b64 v[31:32], v31 offset:8840
	s_waitcnt lgkmcnt(0)
	v_mul_f64 v[11:12], v[11:12], v[31:32]
	ds_write_b64 v28, v[11:12]
.LBB143_256:
	s_or_b64 exec, exec, s[0:1]
	v_cmp_lt_u32_e64 s[14:15], 1, v27
	s_waitcnt lgkmcnt(0)
	s_barrier
	s_and_b64 s[14:15], s[14:15], s[20:21]
	s_mov_b64 s[0:1], exec
	v_writelane_b32 v42, s14, 11
	v_writelane_b32 v42, s15, 12
	s_and_b64 s[14:15], s[0:1], s[14:15]
	s_mov_b64 exec, s[14:15]
	s_cbranch_execz .LBB143_258
; %bb.257:
	v_lshlrev_b32_e32 v31, 3, v27
	ds_read_b64 v[31:32], v31 offset:8832
	ds_read_b64 v[33:34], v28
	s_waitcnt lgkmcnt(0)
	v_fma_f64 v[11:12], v[31:32], v[33:34], v[11:12]
.LBB143_258:
	s_or_b64 exec, exec, s[0:1]
	v_cmp_eq_u32_e64 s[14:15], 2, v27
	s_barrier
	s_and_b64 s[14:15], s[14:15], s[20:21]
	s_mov_b64 s[0:1], exec
	v_writelane_b32 v42, s14, 13
	v_writelane_b32 v42, s15, 14
	s_and_b64 s[14:15], s[0:1], s[14:15]
	s_mov_b64 exec, s[14:15]
	s_cbranch_execz .LBB143_260
; %bb.259:
	v_mov_b32_e32 v31, 0
	ds_read_b64 v[31:32], v31 offset:9360
	s_waitcnt lgkmcnt(0)
	v_mul_f64 v[11:12], v[11:12], v[31:32]
	ds_write_b64 v28, v[11:12]
.LBB143_260:
	s_or_b64 exec, exec, s[0:1]
	v_cmp_lt_u32_e64 s[14:15], 2, v27
	;; [unrolled: 35-line block ×13, first 2 shown]
	s_waitcnt lgkmcnt(0)
	s_barrier
	s_and_b64 s[14:15], s[14:15], s[20:21]
	s_mov_b64 s[0:1], exec
	v_writelane_b32 v42, s14, 59
	v_writelane_b32 v42, s15, 60
	s_and_b64 s[14:15], s[0:1], s[14:15]
	s_mov_b64 exec, s[14:15]
	s_cbranch_execz .LBB143_306
; %bb.305:
	v_lshlrev_b32_e32 v31, 3, v27
	ds_read_b64 v[31:32], v31 offset:14976
	ds_read_b64 v[33:34], v28
	s_waitcnt lgkmcnt(0)
	v_fma_f64 v[11:12], v[31:32], v[33:34], v[11:12]
.LBB143_306:
	s_or_b64 exec, exec, s[0:1]
	v_cmp_eq_u32_e64 s[14:15], 14, v27
	s_barrier
	s_and_b64 s[14:15], s[14:15], s[20:21]
	s_mov_b64 s[0:1], exec
	v_writelane_b32 v42, s14, 61
	v_writelane_b32 v42, s15, 62
	s_and_b64 s[14:15], s[0:1], s[14:15]
	s_mov_b64 exec, s[14:15]
	s_cbranch_execz .LBB143_308
; %bb.307:
	v_mov_b32_e32 v31, 0
	ds_read_b64 v[31:32], v31 offset:15600
	s_waitcnt lgkmcnt(0)
	v_mul_f64 v[11:12], v[11:12], v[31:32]
	ds_write_b64 v28, v[11:12]
.LBB143_308:
	s_or_b64 exec, exec, s[0:1]
	v_cmp_eq_u32_e64 s[14:15], 15, v27
	s_and_b64 s[92:93], s[14:15], s[20:21]
	s_waitcnt lgkmcnt(0)
	s_barrier
	s_and_saveexec_b64 s[0:1], s[92:93]
	s_cbranch_execz .LBB143_310
; %bb.309:
	v_mov_b32_e32 v31, 0
	ds_read_b64 v[31:32], v31 offset:15608
	ds_read_b64 v[33:34], v28
	s_waitcnt lgkmcnt(0)
	v_fma_f64 v[11:12], v[31:32], v[33:34], v[11:12]
.LBB143_310:
	s_or_b64 exec, exec, s[0:1]
	s_barrier
	s_and_saveexec_b64 s[0:1], s[92:93]
	s_cbranch_execz .LBB143_312
; %bb.311:
	v_mov_b32_e32 v31, 0
	ds_read_b64 v[31:32], v31 offset:16120
	s_waitcnt lgkmcnt(0)
	v_mul_f64 v[11:12], v[11:12], v[31:32]
	ds_write_b64 v28, v[11:12]
.LBB143_312:
	s_or_b64 exec, exec, s[0:1]
	s_waitcnt lgkmcnt(0)
	s_barrier
	s_barrier
	s_and_saveexec_b64 s[0:1], s[10:11]
; %bb.313:
	v_xor_b32_e32 v12, 0x80000000, v12
	ds_write_b64 v26, v[11:12] offset:128
; %bb.314:
	s_or_b64 exec, exec, s[0:1]
	v_cmp_gt_u32_e64 s[14:15], 16, v0
	s_waitcnt lgkmcnt(0)
	s_barrier
	s_barrier
	s_and_b64 s[14:15], s[12:13], s[14:15]
	s_mov_b64 s[0:1], exec
                                        ; implicit-def: $vgpr41 : SGPR spill to VGPR lane
	v_writelane_b32 v42, s14, 63
	v_writelane_b32 v41, s15, 0
	s_and_b64 s[14:15], s[0:1], s[14:15]
	s_mov_b64 exec, s[14:15]
	s_cbranch_execz .LBB143_316
; %bb.315:
	v_lshlrev_b32_e32 v31, 9, v0
	ds_read_b64 v[11:12], v31 offset:128
	s_movk_i32 s14, 0xfe08
	v_mad_i32_i24 v32, v0, s14, v31
	s_waitcnt lgkmcnt(0)
	ds_write_b64 v32, v[11:12] offset:8192
	ds_read_b64 v[11:12], v31 offset:136
	s_waitcnt lgkmcnt(0)
	ds_write_b64 v32, v[11:12] offset:8704
	ds_read_b64 v[11:12], v31 offset:144
	;; [unrolled: 3-line block ×15, first 2 shown]
	s_waitcnt lgkmcnt(0)
	ds_write_b64 v32, v[11:12] offset:15872
.LBB143_316:
	s_or_b64 exec, exec, s[0:1]
	s_waitcnt lgkmcnt(0)
	s_barrier
	s_and_saveexec_b64 s[0:1], vcc
	s_cbranch_execz .LBB143_318
; %bb.317:
	v_mov_b32_e32 v11, 0
	ds_read_b128 v[31:34], v11 offset:8320
	ds_read_b64 v[11:12], v11 offset:8840
	s_movk_i32 s14, 0x2000
	s_waitcnt lgkmcnt(0)
	v_mul_f64 v[11:12], v[31:32], v[11:12]
	v_add_u32_e64 v31, s14, 0
	v_mul_f64 v[11:12], v[33:34], v[11:12]
	ds_write2_b64 v31, v[11:12], v[11:12] offset0:17 offset1:80
.LBB143_318:
	s_or_b64 exec, exec, s[0:1]
	v_mov_b32_e32 v11, 0
	v_mov_b32_e32 v12, 0
	s_waitcnt lgkmcnt(0)
	s_barrier
	s_and_saveexec_b64 s[0:1], s[2:3]
	s_cbranch_execz .LBB143_322
; %bb.319:
	v_mul_u32_u24_e32 v31, 0x208, v15
	ds_read_b64 v[11:12], v1 offset:8336
	ds_read_b64 v[31:32], v31 offset:8320
	v_cmp_gt_u32_e64 s[14:15], 2, v14
	s_waitcnt lgkmcnt(0)
	v_fma_f64 v[11:12], v[11:12], v[31:32], 0
	s_and_saveexec_b64 s[16:17], s[14:15]
	s_cbranch_execz .LBB143_321
; %bb.320:
	v_lshlrev_b32_e32 v31, 3, v0
	v_mov_b32_e32 v33, 0
	ds_read_b64 v[31:32], v31 offset:8848
	ds_read_b64 v[33:34], v33 offset:8328
	s_waitcnt lgkmcnt(0)
	v_fma_f64 v[11:12], v[31:32], v[33:34], v[11:12]
.LBB143_321:
	s_or_b64 exec, exec, s[16:17]
	v_xor_b32_e32 v12, 0x80000000, v12
.LBB143_322:
	s_or_b64 exec, exec, s[0:1]
	s_and_saveexec_b64 s[0:1], s[42:43]
	s_cbranch_execz .LBB143_324
; %bb.323:
	v_mov_b32_e32 v31, 0
	ds_read_b64 v[31:32], v31 offset:9360
	s_waitcnt lgkmcnt(0)
	v_mul_f64 v[11:12], v[11:12], v[31:32]
	ds_write_b64 v13, v[11:12]
.LBB143_324:
	s_or_b64 exec, exec, s[0:1]
	s_waitcnt lgkmcnt(0)
	s_barrier
	s_and_saveexec_b64 s[0:1], s[40:41]
	s_cbranch_execz .LBB143_326
; %bb.325:
	v_mov_b32_e32 v31, 0
	ds_read_b64 v[31:32], v31 offset:9368
	ds_read_b64 v[33:34], v13
	s_waitcnt lgkmcnt(0)
	v_fma_f64 v[11:12], v[31:32], v[33:34], v[11:12]
.LBB143_326:
	s_or_b64 exec, exec, s[0:1]
	s_barrier
	s_and_saveexec_b64 s[0:1], s[40:41]
	s_cbranch_execz .LBB143_328
; %bb.327:
	v_mov_b32_e32 v31, 0
	ds_read_b64 v[31:32], v31 offset:9880
	s_waitcnt lgkmcnt(0)
	v_mul_f64 v[11:12], v[11:12], v[31:32]
	ds_write_b64 v13, v[11:12]
.LBB143_328:
	s_or_b64 exec, exec, s[0:1]
	s_waitcnt lgkmcnt(0)
	s_barrier
	s_barrier
	s_and_saveexec_b64 s[0:1], s[2:3]
; %bb.329:
	v_xor_b32_e32 v12, 0x80000000, v12
	ds_write_b64 v1, v[11:12] offset:8336
; %bb.330:
	s_or_b64 exec, exec, s[0:1]
	s_waitcnt lgkmcnt(0)
	s_barrier
	s_barrier
	s_and_saveexec_b64 s[0:1], s[44:45]
	s_cbranch_execz .LBB143_332
; %bb.331:
	v_lshlrev_b32_e32 v31, 3, v0
	s_movk_i32 s14, 0x1f8
	v_mad_u32_u24 v32, v0, s14, v31
	ds_read_b64 v[11:12], v32 offset:8336
	s_waitcnt lgkmcnt(0)
	ds_write_b64 v31, v[11:12] offset:9344
	ds_read_b64 v[11:12], v32 offset:8344
	s_waitcnt lgkmcnt(0)
	ds_write_b64 v31, v[11:12] offset:9856
.LBB143_332:
	s_or_b64 exec, exec, s[0:1]
	s_waitcnt lgkmcnt(0)
	s_barrier
	s_and_saveexec_b64 s[0:1], vcc
	s_cbranch_execz .LBB143_334
; %bb.333:
	v_mov_b32_e32 v11, 0
	ds_read_b128 v[31:34], v11 offset:9360
	ds_read_b64 v[11:12], v11 offset:9880
	s_movk_i32 s14, 0x2000
	s_waitcnt lgkmcnt(0)
	v_mul_f64 v[11:12], v[31:32], v[11:12]
	v_add_u32_e64 v31, s14, 0
	v_mul_f64 v[11:12], v[33:34], v[11:12]
	ds_write2_b64 v31, v[11:12], v[11:12] offset0:147 offset1:210
.LBB143_334:
	s_or_b64 exec, exec, s[0:1]
	v_mov_b32_e32 v11, 0
	v_mov_b32_e32 v12, 0
	s_waitcnt lgkmcnt(0)
	s_barrier
	s_and_saveexec_b64 s[0:1], s[18:19]
	s_cbranch_execz .LBB143_340
; %bb.335:
	v_mul_u32_u24_e32 v31, 0x208, v20
	ds_read_b64 v[11:12], v16 offset:8352
	ds_read_b64 v[32:33], v31 offset:8320
	v_cmp_gt_u32_e64 s[14:15], 12, v14
	s_waitcnt lgkmcnt(0)
	v_fma_f64 v[11:12], v[11:12], v[32:33], 0
	s_and_saveexec_b64 s[16:17], s[14:15]
	s_cbranch_execnz .LBB143_1111
; %bb.336:
	s_or_b64 exec, exec, s[16:17]
	v_cmp_gt_u32_e64 s[14:15], 8, v14
	s_and_saveexec_b64 s[16:17], s[14:15]
	s_cbranch_execnz .LBB143_1112
.LBB143_337:
	s_or_b64 exec, exec, s[16:17]
	v_cmp_gt_u32_e64 s[14:15], 4, v14
	s_and_saveexec_b64 s[16:17], s[14:15]
	s_cbranch_execz .LBB143_339
.LBB143_338:
	v_lshlrev_b32_e32 v31, 3, v0
	v_mov_b32_e32 v33, 0
	ds_read_b64 v[31:32], v31 offset:9888
	ds_read_b64 v[33:34], v33 offset:8344
	s_waitcnt lgkmcnt(0)
	v_fma_f64 v[11:12], v[31:32], v[33:34], v[11:12]
.LBB143_339:
	s_or_b64 exec, exec, s[16:17]
	v_xor_b32_e32 v12, 0x80000000, v12
.LBB143_340:
	s_or_b64 exec, exec, s[0:1]
	s_and_saveexec_b64 s[0:1], s[48:49]
	s_cbranch_execz .LBB143_342
; %bb.341:
	v_mov_b32_e32 v31, 0
	ds_read_b64 v[31:32], v31 offset:10400
	s_waitcnt lgkmcnt(0)
	v_mul_f64 v[11:12], v[11:12], v[31:32]
	ds_write_b64 v18, v[11:12]
.LBB143_342:
	s_or_b64 exec, exec, s[0:1]
	s_waitcnt lgkmcnt(0)
	s_barrier
	s_and_saveexec_b64 s[0:1], s[50:51]
	s_cbranch_execz .LBB143_344
; %bb.343:
	ds_read_b64 v[31:32], v17 offset:10400
	ds_read_b64 v[33:34], v18
	s_waitcnt lgkmcnt(0)
	v_fma_f64 v[11:12], v[31:32], v[33:34], v[11:12]
.LBB143_344:
	s_or_b64 exec, exec, s[0:1]
	s_barrier
	s_and_saveexec_b64 s[0:1], s[52:53]
	s_cbranch_execz .LBB143_346
; %bb.345:
	v_mov_b32_e32 v31, 0
	ds_read_b64 v[31:32], v31 offset:10920
	s_waitcnt lgkmcnt(0)
	v_mul_f64 v[11:12], v[11:12], v[31:32]
	ds_write_b64 v18, v[11:12]
.LBB143_346:
	s_or_b64 exec, exec, s[0:1]
	s_waitcnt lgkmcnt(0)
	s_barrier
	s_and_saveexec_b64 s[0:1], s[54:55]
	s_cbranch_execz .LBB143_348
; %bb.347:
	ds_read_b64 v[31:32], v17 offset:10912
	ds_read_b64 v[33:34], v18
	s_waitcnt lgkmcnt(0)
	v_fma_f64 v[11:12], v[31:32], v[33:34], v[11:12]
.LBB143_348:
	s_or_b64 exec, exec, s[0:1]
	s_barrier
	s_and_saveexec_b64 s[0:1], s[56:57]
	s_cbranch_execz .LBB143_350
; %bb.349:
	v_mov_b32_e32 v31, 0
	ds_read_b64 v[31:32], v31 offset:11440
	s_waitcnt lgkmcnt(0)
	v_mul_f64 v[11:12], v[11:12], v[31:32]
	ds_write_b64 v18, v[11:12]
.LBB143_350:
	s_or_b64 exec, exec, s[0:1]
	s_waitcnt lgkmcnt(0)
	s_barrier
	s_and_saveexec_b64 s[0:1], s[46:47]
	s_cbranch_execz .LBB143_352
; %bb.351:
	v_mov_b32_e32 v31, 0
	ds_read_b64 v[31:32], v31 offset:11448
	ds_read_b64 v[33:34], v18
	s_waitcnt lgkmcnt(0)
	v_fma_f64 v[11:12], v[31:32], v[33:34], v[11:12]
.LBB143_352:
	s_or_b64 exec, exec, s[0:1]
	s_barrier
	s_and_saveexec_b64 s[0:1], s[46:47]
	s_cbranch_execz .LBB143_354
; %bb.353:
	v_mov_b32_e32 v31, 0
	ds_read_b64 v[31:32], v31 offset:11960
	s_waitcnt lgkmcnt(0)
	v_mul_f64 v[11:12], v[11:12], v[31:32]
	ds_write_b64 v18, v[11:12]
.LBB143_354:
	s_or_b64 exec, exec, s[0:1]
	s_waitcnt lgkmcnt(0)
	s_barrier
	s_barrier
	s_and_saveexec_b64 s[0:1], s[18:19]
; %bb.355:
	v_xor_b32_e32 v12, 0x80000000, v12
	ds_write_b64 v16, v[11:12] offset:8352
; %bb.356:
	s_or_b64 exec, exec, s[0:1]
	s_waitcnt lgkmcnt(0)
	s_barrier
	s_barrier
	s_and_saveexec_b64 s[0:1], s[58:59]
	s_cbranch_execz .LBB143_358
; %bb.357:
	v_lshlrev_b32_e32 v31, 9, v0
	ds_read_b64 v[11:12], v31 offset:8352
	s_movk_i32 s14, 0xfe08
	v_mad_i32_i24 v32, v0, s14, v31
	s_waitcnt lgkmcnt(0)
	ds_write_b64 v32, v[11:12] offset:10368
	ds_read_b64 v[11:12], v31 offset:8360
	s_waitcnt lgkmcnt(0)
	ds_write_b64 v32, v[11:12] offset:10880
	ds_read_b64 v[11:12], v31 offset:8368
	;; [unrolled: 3-line block ×3, first 2 shown]
	s_waitcnt lgkmcnt(0)
	ds_write_b64 v32, v[11:12] offset:11904
.LBB143_358:
	s_or_b64 exec, exec, s[0:1]
	s_waitcnt lgkmcnt(0)
	s_barrier
	s_and_saveexec_b64 s[0:1], vcc
	s_cbranch_execz .LBB143_360
; %bb.359:
	v_mov_b32_e32 v11, 0
	ds_read_b128 v[31:34], v11 offset:10400
	ds_read_b64 v[11:12], v11 offset:10920
	s_movk_i32 s14, 0x2800
	s_waitcnt lgkmcnt(0)
	v_mul_f64 v[11:12], v[31:32], v[11:12]
	v_add_u32_e64 v31, s14, 0
	v_mul_f64 v[11:12], v[33:34], v[11:12]
	ds_write2_b64 v31, v[11:12], v[11:12] offset0:21 offset1:84
.LBB143_360:
	s_or_b64 exec, exec, s[0:1]
	v_mov_b32_e32 v11, 0
	v_mov_b32_e32 v12, 0
	s_waitcnt lgkmcnt(0)
	s_barrier
	s_and_saveexec_b64 s[0:1], s[2:3]
	s_cbranch_execz .LBB143_364
; %bb.361:
	v_mul_u32_u24_e32 v31, 0x208, v15
	ds_read_b64 v[11:12], v1 offset:10416
	ds_read_b64 v[31:32], v31 offset:10400
	v_cmp_gt_u32_e64 s[14:15], 2, v14
	s_waitcnt lgkmcnt(0)
	v_fma_f64 v[11:12], v[11:12], v[31:32], 0
	s_and_saveexec_b64 s[16:17], s[14:15]
	s_cbranch_execz .LBB143_363
; %bb.362:
	v_lshlrev_b32_e32 v31, 3, v0
	v_mov_b32_e32 v33, 0
	ds_read_b64 v[31:32], v31 offset:10928
	ds_read_b64 v[33:34], v33 offset:10408
	s_waitcnt lgkmcnt(0)
	v_fma_f64 v[11:12], v[31:32], v[33:34], v[11:12]
.LBB143_363:
	s_or_b64 exec, exec, s[16:17]
	v_xor_b32_e32 v12, 0x80000000, v12
.LBB143_364:
	s_or_b64 exec, exec, s[0:1]
	s_and_saveexec_b64 s[0:1], s[42:43]
	s_cbranch_execz .LBB143_366
; %bb.365:
	v_mov_b32_e32 v31, 0
	ds_read_b64 v[31:32], v31 offset:11440
	s_waitcnt lgkmcnt(0)
	v_mul_f64 v[11:12], v[11:12], v[31:32]
	ds_write_b64 v13, v[11:12]
.LBB143_366:
	s_or_b64 exec, exec, s[0:1]
	s_waitcnt lgkmcnt(0)
	s_barrier
	s_and_saveexec_b64 s[0:1], s[40:41]
	s_cbranch_execz .LBB143_368
; %bb.367:
	v_mov_b32_e32 v31, 0
	ds_read_b64 v[31:32], v31 offset:11448
	ds_read_b64 v[33:34], v13
	s_waitcnt lgkmcnt(0)
	v_fma_f64 v[11:12], v[31:32], v[33:34], v[11:12]
.LBB143_368:
	s_or_b64 exec, exec, s[0:1]
	s_barrier
	s_and_saveexec_b64 s[0:1], s[40:41]
	s_cbranch_execz .LBB143_370
; %bb.369:
	v_mov_b32_e32 v31, 0
	ds_read_b64 v[31:32], v31 offset:11960
	s_waitcnt lgkmcnt(0)
	v_mul_f64 v[11:12], v[11:12], v[31:32]
	ds_write_b64 v13, v[11:12]
.LBB143_370:
	s_or_b64 exec, exec, s[0:1]
	s_waitcnt lgkmcnt(0)
	s_barrier
	s_barrier
	s_and_saveexec_b64 s[0:1], s[2:3]
; %bb.371:
	v_xor_b32_e32 v12, 0x80000000, v12
	ds_write_b64 v1, v[11:12] offset:10416
; %bb.372:
	s_or_b64 exec, exec, s[0:1]
	s_waitcnt lgkmcnt(0)
	s_barrier
	s_barrier
	s_and_saveexec_b64 s[0:1], s[44:45]
	s_cbranch_execz .LBB143_374
; %bb.373:
	v_lshlrev_b32_e32 v31, 3, v0
	s_movk_i32 s14, 0x1f8
	v_mad_u32_u24 v32, v0, s14, v31
	ds_read_b64 v[11:12], v32 offset:10416
	s_waitcnt lgkmcnt(0)
	ds_write_b64 v31, v[11:12] offset:11424
	ds_read_b64 v[11:12], v32 offset:10424
	s_waitcnt lgkmcnt(0)
	ds_write_b64 v31, v[11:12] offset:11936
.LBB143_374:
	s_or_b64 exec, exec, s[0:1]
	s_waitcnt lgkmcnt(0)
	s_barrier
	s_and_saveexec_b64 s[0:1], vcc
	s_cbranch_execz .LBB143_376
; %bb.375:
	v_mov_b32_e32 v11, 0
	ds_read_b128 v[31:34], v11 offset:11440
	ds_read_b64 v[11:12], v11 offset:11960
	s_movk_i32 s14, 0x2800
	s_waitcnt lgkmcnt(0)
	v_mul_f64 v[11:12], v[31:32], v[11:12]
	v_add_u32_e64 v31, s14, 0
	v_mul_f64 v[11:12], v[33:34], v[11:12]
	ds_write2_b64 v31, v[11:12], v[11:12] offset0:151 offset1:214
.LBB143_376:
	s_or_b64 exec, exec, s[0:1]
	v_mov_b32_e32 v11, 0
	v_mov_b32_e32 v12, 0
	s_waitcnt lgkmcnt(0)
	s_barrier
	s_and_saveexec_b64 s[0:1], s[8:9]
	s_cbranch_execz .LBB143_386
; %bb.377:
	v_mul_u32_u24_e32 v31, 0x208, v25
	ds_read_b64 v[11:12], v21 offset:8384
	ds_read_b64 v[32:33], v31 offset:8320
	v_cmp_gt_u32_e64 s[14:15], 56, v14
	s_waitcnt lgkmcnt(0)
	v_fma_f64 v[11:12], v[11:12], v[32:33], 0
	s_and_saveexec_b64 s[16:17], s[14:15]
	s_cbranch_execnz .LBB143_1113
; %bb.378:
	s_or_b64 exec, exec, s[16:17]
	v_cmp_gt_u32_e64 s[14:15], 48, v14
	s_and_saveexec_b64 s[16:17], s[14:15]
	s_cbranch_execnz .LBB143_1114
.LBB143_379:
	s_or_b64 exec, exec, s[16:17]
	v_cmp_gt_u32_e64 s[14:15], 40, v14
	s_and_saveexec_b64 s[16:17], s[14:15]
	s_cbranch_execnz .LBB143_1115
.LBB143_380:
	s_or_b64 exec, exec, s[16:17]
	v_cmp_gt_u32_e64 s[14:15], 32, v14
	s_and_saveexec_b64 s[16:17], s[14:15]
	s_cbranch_execnz .LBB143_1116
.LBB143_381:
	s_or_b64 exec, exec, s[16:17]
	v_cmp_gt_u32_e64 s[14:15], 24, v14
	s_and_saveexec_b64 s[16:17], s[14:15]
	s_cbranch_execnz .LBB143_1117
.LBB143_382:
	s_or_b64 exec, exec, s[16:17]
	v_cmp_gt_u32_e64 s[14:15], 16, v14
	s_and_saveexec_b64 s[16:17], s[14:15]
	s_cbranch_execnz .LBB143_1118
.LBB143_383:
	s_or_b64 exec, exec, s[16:17]
	v_cmp_gt_u32_e64 s[14:15], 8, v14
	s_and_saveexec_b64 s[16:17], s[14:15]
	s_cbranch_execz .LBB143_385
.LBB143_384:
	v_lshlrev_b32_e32 v31, 3, v0
	v_mov_b32_e32 v33, 0
	ds_read_b64 v[31:32], v31 offset:11968
	ds_read_b64 v[33:34], v33 offset:8376
	s_waitcnt lgkmcnt(0)
	v_fma_f64 v[11:12], v[31:32], v[33:34], v[11:12]
.LBB143_385:
	s_or_b64 exec, exec, s[16:17]
	v_xor_b32_e32 v12, 0x80000000, v12
.LBB143_386:
	s_or_b64 exec, exec, s[0:1]
	s_and_saveexec_b64 s[0:1], s[60:61]
	s_cbranch_execz .LBB143_388
; %bb.387:
	v_mov_b32_e32 v31, 0
	ds_read_b64 v[31:32], v31 offset:12480
	s_waitcnt lgkmcnt(0)
	v_mul_f64 v[11:12], v[11:12], v[31:32]
	ds_write_b64 v23, v[11:12]
.LBB143_388:
	s_or_b64 exec, exec, s[0:1]
	s_waitcnt lgkmcnt(0)
	s_barrier
	s_and_saveexec_b64 s[0:1], s[62:63]
	s_cbranch_execz .LBB143_390
; %bb.389:
	ds_read_b64 v[31:32], v22 offset:12480
	ds_read_b64 v[33:34], v23
	s_waitcnt lgkmcnt(0)
	v_fma_f64 v[11:12], v[31:32], v[33:34], v[11:12]
.LBB143_390:
	s_or_b64 exec, exec, s[0:1]
	s_barrier
	s_and_saveexec_b64 s[0:1], s[64:65]
	s_cbranch_execz .LBB143_392
; %bb.391:
	v_mov_b32_e32 v31, 0
	ds_read_b64 v[31:32], v31 offset:13000
	s_waitcnt lgkmcnt(0)
	v_mul_f64 v[11:12], v[11:12], v[31:32]
	ds_write_b64 v23, v[11:12]
.LBB143_392:
	s_or_b64 exec, exec, s[0:1]
	s_waitcnt lgkmcnt(0)
	s_barrier
	s_and_saveexec_b64 s[0:1], s[66:67]
	s_cbranch_execz .LBB143_394
; %bb.393:
	ds_read_b64 v[31:32], v22 offset:12992
	ds_read_b64 v[33:34], v23
	s_waitcnt lgkmcnt(0)
	v_fma_f64 v[11:12], v[31:32], v[33:34], v[11:12]
.LBB143_394:
	s_or_b64 exec, exec, s[0:1]
	s_barrier
	;; [unrolled: 22-line block ×6, first 2 shown]
	s_and_saveexec_b64 s[0:1], s[86:87]
	s_cbranch_execz .LBB143_412
; %bb.411:
	v_mov_b32_e32 v31, 0
	ds_read_b64 v[31:32], v31 offset:15600
	s_waitcnt lgkmcnt(0)
	v_mul_f64 v[11:12], v[11:12], v[31:32]
	ds_write_b64 v23, v[11:12]
.LBB143_412:
	s_or_b64 exec, exec, s[0:1]
	s_waitcnt lgkmcnt(0)
	s_barrier
	s_and_saveexec_b64 s[0:1], s[70:71]
	s_cbranch_execz .LBB143_414
; %bb.413:
	v_mov_b32_e32 v31, 0
	ds_read_b64 v[31:32], v31 offset:15608
	ds_read_b64 v[33:34], v23
	s_waitcnt lgkmcnt(0)
	v_fma_f64 v[11:12], v[31:32], v[33:34], v[11:12]
.LBB143_414:
	s_or_b64 exec, exec, s[0:1]
	s_barrier
	s_and_saveexec_b64 s[0:1], s[70:71]
	s_cbranch_execz .LBB143_416
; %bb.415:
	v_mov_b32_e32 v31, 0
	ds_read_b64 v[31:32], v31 offset:16120
	s_waitcnt lgkmcnt(0)
	v_mul_f64 v[11:12], v[11:12], v[31:32]
	ds_write_b64 v23, v[11:12]
.LBB143_416:
	s_or_b64 exec, exec, s[0:1]
	s_waitcnt lgkmcnt(0)
	s_barrier
	s_barrier
	s_and_saveexec_b64 s[0:1], s[8:9]
; %bb.417:
	v_xor_b32_e32 v12, 0x80000000, v12
	ds_write_b64 v21, v[11:12] offset:8384
; %bb.418:
	s_or_b64 exec, exec, s[0:1]
	s_waitcnt lgkmcnt(0)
	s_barrier
	s_barrier
	s_and_saveexec_b64 s[0:1], s[88:89]
	s_cbranch_execz .LBB143_420
; %bb.419:
	v_lshlrev_b32_e32 v31, 9, v0
	ds_read_b64 v[11:12], v31 offset:8384
	s_movk_i32 s14, 0xfe08
	v_mad_i32_i24 v32, v0, s14, v31
	s_waitcnt lgkmcnt(0)
	ds_write_b64 v32, v[11:12] offset:12416
	ds_read_b64 v[11:12], v31 offset:8392
	s_waitcnt lgkmcnt(0)
	ds_write_b64 v32, v[11:12] offset:12928
	ds_read_b64 v[11:12], v31 offset:8400
	;; [unrolled: 3-line block ×7, first 2 shown]
	s_waitcnt lgkmcnt(0)
	ds_write_b64 v32, v[11:12] offset:16000
.LBB143_420:
	s_or_b64 exec, exec, s[0:1]
	s_waitcnt lgkmcnt(0)
	s_barrier
	s_and_saveexec_b64 s[0:1], vcc
	s_cbranch_execz .LBB143_422
; %bb.421:
	v_mov_b32_e32 v11, 0
	ds_read_b128 v[31:34], v11 offset:12480
	ds_read_b64 v[11:12], v11 offset:13000
	s_movk_i32 s14, 0x3000
	s_waitcnt lgkmcnt(0)
	v_mul_f64 v[11:12], v[31:32], v[11:12]
	v_add_u32_e64 v31, s14, 0
	v_mul_f64 v[11:12], v[33:34], v[11:12]
	ds_write2_b64 v31, v[11:12], v[11:12] offset0:25 offset1:88
.LBB143_422:
	s_or_b64 exec, exec, s[0:1]
	v_mov_b32_e32 v11, 0
	v_mov_b32_e32 v12, 0
	s_waitcnt lgkmcnt(0)
	s_barrier
	s_and_saveexec_b64 s[0:1], s[2:3]
	s_cbranch_execz .LBB143_426
; %bb.423:
	v_mul_u32_u24_e32 v31, 0x208, v15
	ds_read_b64 v[11:12], v1 offset:12496
	ds_read_b64 v[31:32], v31 offset:12480
	v_cmp_gt_u32_e64 s[14:15], 2, v14
	s_waitcnt lgkmcnt(0)
	v_fma_f64 v[11:12], v[11:12], v[31:32], 0
	s_and_saveexec_b64 s[16:17], s[14:15]
	s_cbranch_execz .LBB143_425
; %bb.424:
	v_lshlrev_b32_e32 v31, 3, v0
	v_mov_b32_e32 v33, 0
	ds_read_b64 v[31:32], v31 offset:13008
	ds_read_b64 v[33:34], v33 offset:12488
	s_waitcnt lgkmcnt(0)
	v_fma_f64 v[11:12], v[31:32], v[33:34], v[11:12]
.LBB143_425:
	s_or_b64 exec, exec, s[16:17]
	v_xor_b32_e32 v12, 0x80000000, v12
.LBB143_426:
	s_or_b64 exec, exec, s[0:1]
	s_and_saveexec_b64 s[0:1], s[42:43]
	s_cbranch_execz .LBB143_428
; %bb.427:
	v_mov_b32_e32 v31, 0
	ds_read_b64 v[31:32], v31 offset:13520
	s_waitcnt lgkmcnt(0)
	v_mul_f64 v[11:12], v[11:12], v[31:32]
	ds_write_b64 v13, v[11:12]
.LBB143_428:
	s_or_b64 exec, exec, s[0:1]
	s_waitcnt lgkmcnt(0)
	s_barrier
	s_and_saveexec_b64 s[0:1], s[40:41]
	s_cbranch_execz .LBB143_430
; %bb.429:
	v_mov_b32_e32 v31, 0
	ds_read_b64 v[31:32], v31 offset:13528
	ds_read_b64 v[33:34], v13
	s_waitcnt lgkmcnt(0)
	v_fma_f64 v[11:12], v[31:32], v[33:34], v[11:12]
.LBB143_430:
	s_or_b64 exec, exec, s[0:1]
	s_barrier
	s_and_saveexec_b64 s[0:1], s[40:41]
	s_cbranch_execz .LBB143_432
; %bb.431:
	v_mov_b32_e32 v31, 0
	ds_read_b64 v[31:32], v31 offset:14040
	s_waitcnt lgkmcnt(0)
	v_mul_f64 v[11:12], v[11:12], v[31:32]
	ds_write_b64 v13, v[11:12]
.LBB143_432:
	s_or_b64 exec, exec, s[0:1]
	s_waitcnt lgkmcnt(0)
	s_barrier
	s_barrier
	s_and_saveexec_b64 s[0:1], s[2:3]
; %bb.433:
	v_xor_b32_e32 v12, 0x80000000, v12
	ds_write_b64 v1, v[11:12] offset:12496
; %bb.434:
	s_or_b64 exec, exec, s[0:1]
	s_waitcnt lgkmcnt(0)
	s_barrier
	s_barrier
	s_and_saveexec_b64 s[0:1], s[44:45]
	s_cbranch_execz .LBB143_436
; %bb.435:
	v_lshlrev_b32_e32 v31, 3, v0
	s_movk_i32 s14, 0x1f8
	v_mad_u32_u24 v32, v0, s14, v31
	ds_read_b64 v[11:12], v32 offset:12496
	s_waitcnt lgkmcnt(0)
	ds_write_b64 v31, v[11:12] offset:13504
	ds_read_b64 v[11:12], v32 offset:12504
	s_waitcnt lgkmcnt(0)
	ds_write_b64 v31, v[11:12] offset:14016
.LBB143_436:
	s_or_b64 exec, exec, s[0:1]
	s_waitcnt lgkmcnt(0)
	s_barrier
	s_and_saveexec_b64 s[0:1], vcc
	s_cbranch_execz .LBB143_438
; %bb.437:
	v_mov_b32_e32 v11, 0
	ds_read_b128 v[31:34], v11 offset:13520
	ds_read_b64 v[11:12], v11 offset:14040
	s_movk_i32 s14, 0x3000
	s_waitcnt lgkmcnt(0)
	v_mul_f64 v[11:12], v[31:32], v[11:12]
	v_add_u32_e64 v31, s14, 0
	v_mul_f64 v[11:12], v[33:34], v[11:12]
	ds_write2_b64 v31, v[11:12], v[11:12] offset0:155 offset1:218
.LBB143_438:
	s_or_b64 exec, exec, s[0:1]
	v_mov_b32_e32 v11, 0
	v_mov_b32_e32 v12, 0
	s_waitcnt lgkmcnt(0)
	s_barrier
	s_and_saveexec_b64 s[0:1], s[18:19]
	s_cbranch_execz .LBB143_444
; %bb.439:
	v_mul_u32_u24_e32 v31, 0x208, v20
	ds_read_b64 v[11:12], v16 offset:12512
	ds_read_b64 v[32:33], v31 offset:12480
	v_cmp_gt_u32_e64 s[14:15], 12, v14
	s_waitcnt lgkmcnt(0)
	v_fma_f64 v[11:12], v[11:12], v[32:33], 0
	s_and_saveexec_b64 s[16:17], s[14:15]
	s_cbranch_execnz .LBB143_1119
; %bb.440:
	s_or_b64 exec, exec, s[16:17]
	v_cmp_gt_u32_e64 s[14:15], 8, v14
	s_and_saveexec_b64 s[16:17], s[14:15]
	s_cbranch_execnz .LBB143_1120
.LBB143_441:
	s_or_b64 exec, exec, s[16:17]
	v_cmp_gt_u32_e64 s[14:15], 4, v14
	s_and_saveexec_b64 s[16:17], s[14:15]
	s_cbranch_execz .LBB143_443
.LBB143_442:
	v_lshlrev_b32_e32 v31, 3, v0
	v_mov_b32_e32 v33, 0
	ds_read_b64 v[31:32], v31 offset:14048
	ds_read_b64 v[33:34], v33 offset:12504
	s_waitcnt lgkmcnt(0)
	v_fma_f64 v[11:12], v[31:32], v[33:34], v[11:12]
.LBB143_443:
	s_or_b64 exec, exec, s[16:17]
	v_xor_b32_e32 v12, 0x80000000, v12
.LBB143_444:
	s_or_b64 exec, exec, s[0:1]
	s_and_saveexec_b64 s[0:1], s[48:49]
	s_cbranch_execz .LBB143_446
; %bb.445:
	v_mov_b32_e32 v31, 0
	ds_read_b64 v[31:32], v31 offset:14560
	s_waitcnt lgkmcnt(0)
	v_mul_f64 v[11:12], v[11:12], v[31:32]
	ds_write_b64 v18, v[11:12]
.LBB143_446:
	s_or_b64 exec, exec, s[0:1]
	s_waitcnt lgkmcnt(0)
	s_barrier
	s_and_saveexec_b64 s[0:1], s[50:51]
	s_cbranch_execz .LBB143_448
; %bb.447:
	ds_read_b64 v[31:32], v17 offset:14560
	ds_read_b64 v[33:34], v18
	s_waitcnt lgkmcnt(0)
	v_fma_f64 v[11:12], v[31:32], v[33:34], v[11:12]
.LBB143_448:
	s_or_b64 exec, exec, s[0:1]
	s_barrier
	s_and_saveexec_b64 s[0:1], s[52:53]
	s_cbranch_execz .LBB143_450
; %bb.449:
	v_mov_b32_e32 v31, 0
	ds_read_b64 v[31:32], v31 offset:15080
	s_waitcnt lgkmcnt(0)
	v_mul_f64 v[11:12], v[11:12], v[31:32]
	ds_write_b64 v18, v[11:12]
.LBB143_450:
	s_or_b64 exec, exec, s[0:1]
	s_waitcnt lgkmcnt(0)
	s_barrier
	s_and_saveexec_b64 s[0:1], s[54:55]
	s_cbranch_execz .LBB143_452
; %bb.451:
	ds_read_b64 v[31:32], v17 offset:15072
	ds_read_b64 v[33:34], v18
	s_waitcnt lgkmcnt(0)
	v_fma_f64 v[11:12], v[31:32], v[33:34], v[11:12]
.LBB143_452:
	s_or_b64 exec, exec, s[0:1]
	s_barrier
	s_and_saveexec_b64 s[0:1], s[56:57]
	s_cbranch_execz .LBB143_454
; %bb.453:
	v_mov_b32_e32 v31, 0
	ds_read_b64 v[31:32], v31 offset:15600
	s_waitcnt lgkmcnt(0)
	v_mul_f64 v[11:12], v[11:12], v[31:32]
	ds_write_b64 v18, v[11:12]
.LBB143_454:
	s_or_b64 exec, exec, s[0:1]
	s_waitcnt lgkmcnt(0)
	s_barrier
	s_and_saveexec_b64 s[0:1], s[46:47]
	s_cbranch_execz .LBB143_456
; %bb.455:
	v_mov_b32_e32 v31, 0
	ds_read_b64 v[31:32], v31 offset:15608
	ds_read_b64 v[33:34], v18
	s_waitcnt lgkmcnt(0)
	v_fma_f64 v[11:12], v[31:32], v[33:34], v[11:12]
.LBB143_456:
	s_or_b64 exec, exec, s[0:1]
	s_barrier
	s_and_saveexec_b64 s[0:1], s[46:47]
	s_cbranch_execz .LBB143_458
; %bb.457:
	v_mov_b32_e32 v31, 0
	ds_read_b64 v[31:32], v31 offset:16120
	s_waitcnt lgkmcnt(0)
	v_mul_f64 v[11:12], v[11:12], v[31:32]
	ds_write_b64 v18, v[11:12]
.LBB143_458:
	s_or_b64 exec, exec, s[0:1]
	s_waitcnt lgkmcnt(0)
	s_barrier
	s_barrier
	s_and_saveexec_b64 s[0:1], s[18:19]
; %bb.459:
	v_xor_b32_e32 v12, 0x80000000, v12
	ds_write_b64 v16, v[11:12] offset:12512
; %bb.460:
	s_or_b64 exec, exec, s[0:1]
	s_waitcnt lgkmcnt(0)
	s_barrier
	s_barrier
	s_and_saveexec_b64 s[0:1], s[58:59]
	s_cbranch_execz .LBB143_462
; %bb.461:
	v_lshlrev_b32_e32 v31, 9, v0
	ds_read_b64 v[11:12], v31 offset:12512
	s_movk_i32 s14, 0xfe08
	v_mad_i32_i24 v32, v0, s14, v31
	s_waitcnt lgkmcnt(0)
	ds_write_b64 v32, v[11:12] offset:14528
	ds_read_b64 v[11:12], v31 offset:12520
	s_waitcnt lgkmcnt(0)
	ds_write_b64 v32, v[11:12] offset:15040
	ds_read_b64 v[11:12], v31 offset:12528
	;; [unrolled: 3-line block ×3, first 2 shown]
	s_waitcnt lgkmcnt(0)
	ds_write_b64 v32, v[11:12] offset:16064
.LBB143_462:
	s_or_b64 exec, exec, s[0:1]
	s_waitcnt lgkmcnt(0)
	s_barrier
	s_and_saveexec_b64 s[0:1], vcc
	s_cbranch_execz .LBB143_464
; %bb.463:
	v_mov_b32_e32 v11, 0
	ds_read_b128 v[31:34], v11 offset:14560
	ds_read_b64 v[11:12], v11 offset:15080
	s_movk_i32 s14, 0x3800
	s_waitcnt lgkmcnt(0)
	v_mul_f64 v[11:12], v[31:32], v[11:12]
	v_add_u32_e64 v31, s14, 0
	v_mul_f64 v[11:12], v[33:34], v[11:12]
	ds_write2_b64 v31, v[11:12], v[11:12] offset0:29 offset1:92
.LBB143_464:
	s_or_b64 exec, exec, s[0:1]
	v_mov_b32_e32 v11, 0
	v_mov_b32_e32 v12, 0
	s_waitcnt lgkmcnt(0)
	s_barrier
	s_and_saveexec_b64 s[0:1], s[2:3]
	s_cbranch_execz .LBB143_468
; %bb.465:
	v_mul_u32_u24_e32 v31, 0x208, v15
	ds_read_b64 v[11:12], v1 offset:14576
	ds_read_b64 v[31:32], v31 offset:14560
	v_cmp_gt_u32_e64 s[14:15], 2, v14
	s_waitcnt lgkmcnt(0)
	v_fma_f64 v[11:12], v[11:12], v[31:32], 0
	s_and_saveexec_b64 s[16:17], s[14:15]
	s_cbranch_execz .LBB143_467
; %bb.466:
	v_lshlrev_b32_e32 v31, 3, v0
	v_mov_b32_e32 v33, 0
	ds_read_b64 v[31:32], v31 offset:15088
	ds_read_b64 v[33:34], v33 offset:14568
	s_waitcnt lgkmcnt(0)
	v_fma_f64 v[11:12], v[31:32], v[33:34], v[11:12]
.LBB143_467:
	s_or_b64 exec, exec, s[16:17]
	v_xor_b32_e32 v12, 0x80000000, v12
.LBB143_468:
	s_or_b64 exec, exec, s[0:1]
	s_and_saveexec_b64 s[0:1], s[42:43]
	s_cbranch_execz .LBB143_470
; %bb.469:
	v_mov_b32_e32 v31, 0
	ds_read_b64 v[31:32], v31 offset:15600
	s_waitcnt lgkmcnt(0)
	v_mul_f64 v[11:12], v[11:12], v[31:32]
	ds_write_b64 v13, v[11:12]
.LBB143_470:
	s_or_b64 exec, exec, s[0:1]
	s_waitcnt lgkmcnt(0)
	s_barrier
	s_and_saveexec_b64 s[0:1], s[40:41]
	s_cbranch_execz .LBB143_472
; %bb.471:
	v_mov_b32_e32 v31, 0
	ds_read_b64 v[31:32], v31 offset:15608
	ds_read_b64 v[33:34], v13
	s_waitcnt lgkmcnt(0)
	v_fma_f64 v[11:12], v[31:32], v[33:34], v[11:12]
.LBB143_472:
	s_or_b64 exec, exec, s[0:1]
	s_barrier
	s_and_saveexec_b64 s[0:1], s[40:41]
	s_cbranch_execz .LBB143_474
; %bb.473:
	v_mov_b32_e32 v31, 0
	ds_read_b64 v[31:32], v31 offset:16120
	s_waitcnt lgkmcnt(0)
	v_mul_f64 v[11:12], v[11:12], v[31:32]
	ds_write_b64 v13, v[11:12]
.LBB143_474:
	s_or_b64 exec, exec, s[0:1]
	s_waitcnt lgkmcnt(0)
	s_barrier
	s_barrier
	s_and_saveexec_b64 s[0:1], s[2:3]
; %bb.475:
	v_xor_b32_e32 v12, 0x80000000, v12
	ds_write_b64 v1, v[11:12] offset:14576
; %bb.476:
	s_or_b64 exec, exec, s[0:1]
	s_waitcnt lgkmcnt(0)
	s_barrier
	s_barrier
	s_and_saveexec_b64 s[0:1], s[44:45]
	s_cbranch_execz .LBB143_478
; %bb.477:
	v_lshlrev_b32_e32 v31, 3, v0
	s_movk_i32 s14, 0x1f8
	v_mad_u32_u24 v32, v0, s14, v31
	ds_read_b64 v[11:12], v32 offset:14576
	s_waitcnt lgkmcnt(0)
	ds_write_b64 v31, v[11:12] offset:15584
	ds_read_b64 v[11:12], v32 offset:14584
	s_waitcnt lgkmcnt(0)
	ds_write_b64 v31, v[11:12] offset:16096
.LBB143_478:
	s_or_b64 exec, exec, s[0:1]
	s_waitcnt lgkmcnt(0)
	s_barrier
	s_and_saveexec_b64 s[0:1], vcc
	s_cbranch_execz .LBB143_480
; %bb.479:
	v_mov_b32_e32 v11, 0
	ds_read_b128 v[31:34], v11 offset:15600
	ds_read_b64 v[11:12], v11 offset:16120
	s_movk_i32 s14, 0x3800
	s_waitcnt lgkmcnt(0)
	v_mul_f64 v[11:12], v[31:32], v[11:12]
	v_add_u32_e64 v31, s14, 0
	v_mul_f64 v[11:12], v[33:34], v[11:12]
	ds_write2_b64 v31, v[11:12], v[11:12] offset0:159 offset1:222
.LBB143_480:
	s_or_b64 exec, exec, s[0:1]
	v_and_b32_e32 v32, 31, v0
	v_lshrrev_b32_e32 v33, 5, v14
	s_movk_i32 s0, 0x3ff
	v_lshlrev_b32_e32 v11, 3, v32
	v_cmp_lt_u32_e64 s[16:17], s0, v14
	s_movk_i32 s0, 0x400
	v_lshl_or_b32 v31, v33, 9, v11
	v_mov_b32_e32 v11, 0
	v_cmp_gt_u32_e64 s[14:15], s0, v14
	v_mov_b32_e32 v12, 0
	s_waitcnt lgkmcnt(0)
	s_barrier
	s_and_saveexec_b64 s[0:1], s[14:15]
	s_cbranch_execz .LBB143_542
; %bb.481:
	v_mul_u32_u24_e32 v34, 0x208, v33
	ds_read_b64 v[11:12], v31 offset:256
	ds_read_b64 v[35:36], v34
	s_movk_i32 s20, 0x3e0
	v_cmp_gt_u32_e64 s[20:21], s20, v14
	s_waitcnt lgkmcnt(0)
	v_fma_f64 v[11:12], v[11:12], v[35:36], 0
	s_and_saveexec_b64 s[38:39], s[20:21]
	s_cbranch_execz .LBB143_483
; %bb.482:
	ds_read_b64 v[35:36], v31 offset:768
	ds_read_b64 v[37:38], v34 offset:8
	s_waitcnt lgkmcnt(0)
	v_fma_f64 v[11:12], v[35:36], v[37:38], v[11:12]
.LBB143_483:
	s_or_b64 exec, exec, s[38:39]
	s_movk_i32 s20, 0x3c0
	v_cmp_gt_u32_e64 s[20:21], s20, v14
	s_and_saveexec_b64 s[38:39], s[20:21]
	s_cbranch_execz .LBB143_485
; %bb.484:
	ds_read_b64 v[35:36], v31 offset:1280
	ds_read_b64 v[37:38], v34 offset:16
	s_waitcnt lgkmcnt(0)
	v_fma_f64 v[11:12], v[35:36], v[37:38], v[11:12]
.LBB143_485:
	s_or_b64 exec, exec, s[38:39]
	s_movk_i32 s20, 0x3a0
	v_cmp_gt_u32_e64 s[20:21], s20, v14
	;; [unrolled: 11-line block ×28, first 2 shown]
	s_and_saveexec_b64 s[38:39], s[20:21]
	s_cbranch_execnz .LBB143_1121
; %bb.538:
	s_or_b64 exec, exec, s[38:39]
	v_cmp_gt_u32_e64 s[20:21], 64, v14
	s_and_saveexec_b64 s[38:39], s[20:21]
	s_cbranch_execnz .LBB143_1122
.LBB143_539:
	s_or_b64 exec, exec, s[38:39]
	v_cmp_gt_u32_e64 s[20:21], 32, v14
	s_and_saveexec_b64 s[38:39], s[20:21]
	s_cbranch_execz .LBB143_541
.LBB143_540:
	v_lshlrev_b32_e32 v34, 3, v0
	v_mov_b32_e32 v36, 0
	ds_read_b64 v[34:35], v34 offset:16128
	ds_read_b64 v[36:37], v36 offset:248
	s_waitcnt lgkmcnt(0)
	v_fma_f64 v[11:12], v[34:35], v[36:37], v[11:12]
.LBB143_541:
	s_or_b64 exec, exec, s[38:39]
	v_xor_b32_e32 v12, 0x80000000, v12
.LBB143_542:
	s_or_b64 exec, exec, s[0:1]
	v_mov_b32_e32 v34, 0x8000
	v_lshl_or_b32 v33, v33, 3, v34
	v_mul_u32_u24_e32 v34, 0x208, v32
	v_lshlrev_b32_e32 v35, 9, v32
	v_sub_u32_e32 v35, v34, v35
	v_add_u32_e32 v35, 0x4100, v35
	s_mov_b32 s20, 0
	s_xor_b64 s[0:1], s[16:17], -1
	v_mov_b32_e32 v36, v32
	s_branch .LBB143_544
.LBB143_543:                            ;   in Loop: Header=BB143_544 Depth=1
	s_or_b64 exec, exec, s[16:17]
	s_add_i32 s20, s20, 4
	v_add_u32_e32 v35, 0x800, v35
	s_cmp_eq_u32 s20, 32
	v_add_u32_e32 v36, -4, v36
	s_barrier
	s_cbranch_scc1 .LBB143_560
.LBB143_544:                            ; =>This Inner Loop Header: Depth=1
	v_cmp_eq_u32_e64 s[16:17], 0, v36
	s_and_b64 s[38:39], s[0:1], s[16:17]
	s_and_saveexec_b64 s[16:17], s[38:39]
	s_cbranch_execz .LBB143_546
; %bb.545:                              ;   in Loop: Header=BB143_544 Depth=1
	ds_read_b64 v[37:38], v34 offset:16640
	s_waitcnt lgkmcnt(0)
	v_mul_f64 v[11:12], v[11:12], v[37:38]
	ds_write_b64 v33, v[11:12]
.LBB143_546:                            ;   in Loop: Header=BB143_544 Depth=1
	s_or_b64 exec, exec, s[16:17]
	v_cmp_lt_u32_e64 s[16:17], s20, v32
	s_and_b64 s[38:39], s[0:1], s[16:17]
	s_waitcnt lgkmcnt(0)
	s_barrier
	s_and_saveexec_b64 s[16:17], s[38:39]
	s_cbranch_execz .LBB143_548
; %bb.547:                              ;   in Loop: Header=BB143_544 Depth=1
	ds_read_b64 v[37:38], v35
	ds_read_b64 v[39:40], v33
	s_waitcnt lgkmcnt(0)
	v_fma_f64 v[11:12], v[37:38], v[39:40], v[11:12]
.LBB143_548:                            ;   in Loop: Header=BB143_544 Depth=1
	s_or_b64 exec, exec, s[16:17]
	s_or_b32 s21, s20, 1
	v_cmp_eq_u32_e64 s[16:17], s21, v32
	s_and_b64 s[38:39], s[0:1], s[16:17]
	s_barrier
	s_and_saveexec_b64 s[16:17], s[38:39]
	s_cbranch_execz .LBB143_550
; %bb.549:                              ;   in Loop: Header=BB143_544 Depth=1
	ds_read_b64 v[37:38], v34 offset:16640
	s_waitcnt lgkmcnt(0)
	v_mul_f64 v[11:12], v[11:12], v[37:38]
	ds_write_b64 v33, v[11:12]
.LBB143_550:                            ;   in Loop: Header=BB143_544 Depth=1
	s_or_b64 exec, exec, s[16:17]
	v_cmp_lt_u32_e64 s[16:17], s21, v32
	s_and_b64 s[38:39], s[0:1], s[16:17]
	s_waitcnt lgkmcnt(0)
	s_barrier
	s_and_saveexec_b64 s[16:17], s[38:39]
	s_cbranch_execz .LBB143_552
; %bb.551:                              ;   in Loop: Header=BB143_544 Depth=1
	ds_read_b64 v[37:38], v35 offset:512
	ds_read_b64 v[39:40], v33
	s_waitcnt lgkmcnt(0)
	v_fma_f64 v[11:12], v[37:38], v[39:40], v[11:12]
.LBB143_552:                            ;   in Loop: Header=BB143_544 Depth=1
	s_or_b64 exec, exec, s[16:17]
	s_or_b32 s21, s20, 2
	v_cmp_eq_u32_e64 s[16:17], s21, v32
	s_and_b64 s[38:39], s[0:1], s[16:17]
	s_barrier
	s_and_saveexec_b64 s[16:17], s[38:39]
	s_cbranch_execz .LBB143_554
; %bb.553:                              ;   in Loop: Header=BB143_544 Depth=1
	ds_read_b64 v[37:38], v34 offset:16640
	s_waitcnt lgkmcnt(0)
	v_mul_f64 v[11:12], v[11:12], v[37:38]
	ds_write_b64 v33, v[11:12]
.LBB143_554:                            ;   in Loop: Header=BB143_544 Depth=1
	s_or_b64 exec, exec, s[16:17]
	v_cmp_lt_u32_e64 s[16:17], s21, v32
	s_and_b64 s[38:39], s[0:1], s[16:17]
	s_waitcnt lgkmcnt(0)
	s_barrier
	s_and_saveexec_b64 s[16:17], s[38:39]
	s_cbranch_execz .LBB143_556
; %bb.555:                              ;   in Loop: Header=BB143_544 Depth=1
	ds_read_b64 v[37:38], v35 offset:1024
	ds_read_b64 v[39:40], v33
	s_waitcnt lgkmcnt(0)
	v_fma_f64 v[11:12], v[37:38], v[39:40], v[11:12]
.LBB143_556:                            ;   in Loop: Header=BB143_544 Depth=1
	s_or_b64 exec, exec, s[16:17]
	s_or_b32 s21, s20, 3
	v_cmp_eq_u32_e64 s[16:17], s21, v32
	s_and_b64 s[38:39], s[0:1], s[16:17]
	s_barrier
	s_and_saveexec_b64 s[16:17], s[38:39]
	s_cbranch_execz .LBB143_558
; %bb.557:                              ;   in Loop: Header=BB143_544 Depth=1
	ds_read_b64 v[37:38], v34 offset:16640
	s_waitcnt lgkmcnt(0)
	v_mul_f64 v[11:12], v[11:12], v[37:38]
	ds_write_b64 v33, v[11:12]
.LBB143_558:                            ;   in Loop: Header=BB143_544 Depth=1
	s_or_b64 exec, exec, s[16:17]
	v_cmp_lt_u32_e64 s[16:17], s21, v32
	s_and_b64 s[38:39], s[0:1], s[16:17]
	s_waitcnt lgkmcnt(0)
	s_barrier
	s_and_saveexec_b64 s[16:17], s[38:39]
	s_cbranch_execz .LBB143_543
; %bb.559:                              ;   in Loop: Header=BB143_544 Depth=1
	ds_read_b64 v[37:38], v35 offset:1536
	ds_read_b64 v[39:40], v33
	s_waitcnt lgkmcnt(0)
	v_fma_f64 v[11:12], v[37:38], v[39:40], v[11:12]
	s_branch .LBB143_543
.LBB143_560:
	s_and_saveexec_b64 s[0:1], s[14:15]
; %bb.561:
	v_xor_b32_e32 v12, 0x80000000, v12
	ds_write_b64 v31, v[11:12] offset:256
; %bb.562:
	s_or_b64 exec, exec, s[0:1]
	v_cmp_gt_u32_e64 s[14:15], 32, v0
	s_and_b64 s[12:13], s[12:13], s[14:15]
	s_waitcnt lgkmcnt(0)
	s_barrier
	s_barrier
	s_and_saveexec_b64 s[0:1], s[12:13]
	s_cbranch_execz .LBB143_564
; %bb.563:
	v_lshlrev_b32_e32 v31, 9, v0
	ds_read_b64 v[11:12], v31 offset:256
	s_movk_i32 s12, 0xfe08
	v_mad_i32_i24 v32, v0, s12, v31
	s_waitcnt lgkmcnt(0)
	ds_write_b64 v32, v[11:12] offset:16384
	ds_read_b64 v[11:12], v31 offset:264
	s_waitcnt lgkmcnt(0)
	ds_write_b64 v32, v[11:12] offset:16896
	ds_read_b64 v[11:12], v31 offset:272
	s_waitcnt lgkmcnt(0)
	ds_write_b64 v32, v[11:12] offset:17408
	ds_read_b64 v[11:12], v31 offset:280
	s_waitcnt lgkmcnt(0)
	ds_write_b64 v32, v[11:12] offset:17920
	ds_read_b64 v[11:12], v31 offset:288
	s_waitcnt lgkmcnt(0)
	ds_write_b64 v32, v[11:12] offset:18432
	ds_read_b64 v[11:12], v31 offset:296
	s_waitcnt lgkmcnt(0)
	ds_write_b64 v32, v[11:12] offset:18944
	ds_read_b64 v[11:12], v31 offset:304
	s_waitcnt lgkmcnt(0)
	ds_write_b64 v32, v[11:12] offset:19456
	ds_read_b64 v[11:12], v31 offset:312
	s_waitcnt lgkmcnt(0)
	ds_write_b64 v32, v[11:12] offset:19968
	ds_read_b64 v[11:12], v31 offset:320
	s_waitcnt lgkmcnt(0)
	ds_write_b64 v32, v[11:12] offset:20480
	ds_read_b64 v[11:12], v31 offset:328
	s_waitcnt lgkmcnt(0)
	ds_write_b64 v32, v[11:12] offset:20992
	ds_read_b64 v[11:12], v31 offset:336
	s_waitcnt lgkmcnt(0)
	ds_write_b64 v32, v[11:12] offset:21504
	ds_read_b64 v[11:12], v31 offset:344
	s_waitcnt lgkmcnt(0)
	ds_write_b64 v32, v[11:12] offset:22016
	ds_read_b64 v[11:12], v31 offset:352
	s_waitcnt lgkmcnt(0)
	ds_write_b64 v32, v[11:12] offset:22528
	ds_read_b64 v[11:12], v31 offset:360
	s_waitcnt lgkmcnt(0)
	ds_write_b64 v32, v[11:12] offset:23040
	ds_read_b64 v[11:12], v31 offset:368
	s_waitcnt lgkmcnt(0)
	ds_write_b64 v32, v[11:12] offset:23552
	ds_read_b64 v[11:12], v31 offset:376
	s_waitcnt lgkmcnt(0)
	ds_write_b64 v32, v[11:12] offset:24064
	ds_read_b64 v[11:12], v31 offset:384
	s_waitcnt lgkmcnt(0)
	ds_write_b64 v32, v[11:12] offset:24576
	ds_read_b64 v[11:12], v31 offset:392
	s_waitcnt lgkmcnt(0)
	ds_write_b64 v32, v[11:12] offset:25088
	ds_read_b64 v[11:12], v31 offset:400
	s_waitcnt lgkmcnt(0)
	ds_write_b64 v32, v[11:12] offset:25600
	ds_read_b64 v[11:12], v31 offset:408
	s_waitcnt lgkmcnt(0)
	ds_write_b64 v32, v[11:12] offset:26112
	ds_read_b64 v[11:12], v31 offset:416
	s_waitcnt lgkmcnt(0)
	ds_write_b64 v32, v[11:12] offset:26624
	ds_read_b64 v[11:12], v31 offset:424
	s_waitcnt lgkmcnt(0)
	ds_write_b64 v32, v[11:12] offset:27136
	ds_read_b64 v[11:12], v31 offset:432
	s_waitcnt lgkmcnt(0)
	ds_write_b64 v32, v[11:12] offset:27648
	ds_read_b64 v[11:12], v31 offset:440
	s_waitcnt lgkmcnt(0)
	ds_write_b64 v32, v[11:12] offset:28160
	ds_read_b64 v[11:12], v31 offset:448
	s_waitcnt lgkmcnt(0)
	ds_write_b64 v32, v[11:12] offset:28672
	ds_read_b64 v[11:12], v31 offset:456
	s_waitcnt lgkmcnt(0)
	ds_write_b64 v32, v[11:12] offset:29184
	ds_read_b64 v[11:12], v31 offset:464
	s_waitcnt lgkmcnt(0)
	ds_write_b64 v32, v[11:12] offset:29696
	ds_read_b64 v[11:12], v31 offset:472
	s_waitcnt lgkmcnt(0)
	ds_write_b64 v32, v[11:12] offset:30208
	ds_read_b64 v[11:12], v31 offset:480
	s_waitcnt lgkmcnt(0)
	ds_write_b64 v32, v[11:12] offset:30720
	ds_read_b64 v[11:12], v31 offset:488
	s_waitcnt lgkmcnt(0)
	ds_write_b64 v32, v[11:12] offset:31232
	ds_read_b64 v[11:12], v31 offset:496
	s_waitcnt lgkmcnt(0)
	ds_write_b64 v32, v[11:12] offset:31744
	ds_read_b64 v[11:12], v31 offset:504
	s_waitcnt lgkmcnt(0)
	ds_write_b64 v32, v[11:12] offset:32256
.LBB143_564:
	s_or_b64 exec, exec, s[0:1]
	s_waitcnt lgkmcnt(0)
	s_barrier
	s_and_saveexec_b64 s[0:1], vcc
	s_cbranch_execz .LBB143_566
; %bb.565:
	v_mov_b32_e32 v11, 0
	ds_read_b128 v[31:34], v11 offset:16640
	ds_read_b64 v[11:12], v11 offset:17160
	s_movk_i32 s12, 0x4000
	s_waitcnt lgkmcnt(0)
	v_mul_f64 v[11:12], v[31:32], v[11:12]
	v_add_u32_e64 v31, s12, 0
	v_mul_f64 v[11:12], v[33:34], v[11:12]
	ds_write2_b64 v31, v[11:12], v[11:12] offset0:33 offset1:96
.LBB143_566:
	s_or_b64 exec, exec, s[0:1]
	v_mov_b32_e32 v11, 0
	v_mov_b32_e32 v12, 0
	s_waitcnt lgkmcnt(0)
	s_barrier
	s_and_saveexec_b64 s[0:1], s[2:3]
	s_cbranch_execz .LBB143_570
; %bb.567:
	v_mul_u32_u24_e32 v31, 0x208, v15
	ds_read_b64 v[11:12], v1 offset:16656
	ds_read_b64 v[31:32], v31 offset:16640
	v_cmp_gt_u32_e64 s[12:13], 2, v14
	s_waitcnt lgkmcnt(0)
	v_fma_f64 v[11:12], v[11:12], v[31:32], 0
	s_and_saveexec_b64 s[14:15], s[12:13]
	s_cbranch_execz .LBB143_569
; %bb.568:
	v_lshlrev_b32_e32 v31, 3, v0
	v_mov_b32_e32 v33, 0
	ds_read_b64 v[31:32], v31 offset:17168
	ds_read_b64 v[33:34], v33 offset:16648
	s_waitcnt lgkmcnt(0)
	v_fma_f64 v[11:12], v[31:32], v[33:34], v[11:12]
.LBB143_569:
	s_or_b64 exec, exec, s[14:15]
	v_xor_b32_e32 v12, 0x80000000, v12
.LBB143_570:
	s_or_b64 exec, exec, s[0:1]
	s_and_saveexec_b64 s[0:1], s[42:43]
	s_cbranch_execz .LBB143_572
; %bb.571:
	v_mov_b32_e32 v31, 0
	ds_read_b64 v[31:32], v31 offset:17680
	s_waitcnt lgkmcnt(0)
	v_mul_f64 v[11:12], v[11:12], v[31:32]
	ds_write_b64 v13, v[11:12]
.LBB143_572:
	s_or_b64 exec, exec, s[0:1]
	s_waitcnt lgkmcnt(0)
	s_barrier
	s_and_saveexec_b64 s[0:1], s[40:41]
	s_cbranch_execz .LBB143_574
; %bb.573:
	v_mov_b32_e32 v31, 0
	ds_read_b64 v[31:32], v31 offset:17688
	ds_read_b64 v[33:34], v13
	s_waitcnt lgkmcnt(0)
	v_fma_f64 v[11:12], v[31:32], v[33:34], v[11:12]
.LBB143_574:
	s_or_b64 exec, exec, s[0:1]
	s_barrier
	s_and_saveexec_b64 s[0:1], s[40:41]
	s_cbranch_execz .LBB143_576
; %bb.575:
	v_mov_b32_e32 v31, 0
	ds_read_b64 v[31:32], v31 offset:18200
	s_waitcnt lgkmcnt(0)
	v_mul_f64 v[11:12], v[11:12], v[31:32]
	ds_write_b64 v13, v[11:12]
.LBB143_576:
	s_or_b64 exec, exec, s[0:1]
	s_waitcnt lgkmcnt(0)
	s_barrier
	s_barrier
	s_and_saveexec_b64 s[0:1], s[2:3]
; %bb.577:
	v_xor_b32_e32 v12, 0x80000000, v12
	ds_write_b64 v1, v[11:12] offset:16656
; %bb.578:
	s_or_b64 exec, exec, s[0:1]
	s_waitcnt lgkmcnt(0)
	s_barrier
	s_barrier
	s_and_saveexec_b64 s[0:1], s[44:45]
	s_cbranch_execz .LBB143_580
; %bb.579:
	v_lshlrev_b32_e32 v31, 3, v0
	s_movk_i32 s12, 0x1f8
	v_mad_u32_u24 v32, v0, s12, v31
	ds_read_b64 v[11:12], v32 offset:16656
	s_waitcnt lgkmcnt(0)
	ds_write_b64 v31, v[11:12] offset:17664
	ds_read_b64 v[11:12], v32 offset:16664
	s_waitcnt lgkmcnt(0)
	ds_write_b64 v31, v[11:12] offset:18176
.LBB143_580:
	s_or_b64 exec, exec, s[0:1]
	s_waitcnt lgkmcnt(0)
	s_barrier
	s_and_saveexec_b64 s[0:1], vcc
	s_cbranch_execz .LBB143_582
; %bb.581:
	v_mov_b32_e32 v11, 0
	ds_read_b128 v[31:34], v11 offset:17680
	ds_read_b64 v[11:12], v11 offset:18200
	s_movk_i32 s12, 0x4000
	s_waitcnt lgkmcnt(0)
	v_mul_f64 v[11:12], v[31:32], v[11:12]
	v_add_u32_e64 v31, s12, 0
	v_mul_f64 v[11:12], v[33:34], v[11:12]
	ds_write2_b64 v31, v[11:12], v[11:12] offset0:163 offset1:226
.LBB143_582:
	s_or_b64 exec, exec, s[0:1]
	v_mov_b32_e32 v11, 0
	v_mov_b32_e32 v12, 0
	s_waitcnt lgkmcnt(0)
	s_barrier
	s_and_saveexec_b64 s[0:1], s[18:19]
	s_cbranch_execz .LBB143_588
; %bb.583:
	v_mul_u32_u24_e32 v31, 0x208, v20
	ds_read_b64 v[11:12], v16 offset:16672
	ds_read_b64 v[32:33], v31 offset:16640
	v_cmp_gt_u32_e64 s[12:13], 12, v14
	s_waitcnt lgkmcnt(0)
	v_fma_f64 v[11:12], v[11:12], v[32:33], 0
	s_and_saveexec_b64 s[14:15], s[12:13]
	s_cbranch_execnz .LBB143_1123
; %bb.584:
	s_or_b64 exec, exec, s[14:15]
	v_cmp_gt_u32_e64 s[12:13], 8, v14
	s_and_saveexec_b64 s[14:15], s[12:13]
	s_cbranch_execnz .LBB143_1124
.LBB143_585:
	s_or_b64 exec, exec, s[14:15]
	v_cmp_gt_u32_e64 s[12:13], 4, v14
	s_and_saveexec_b64 s[14:15], s[12:13]
	s_cbranch_execz .LBB143_587
.LBB143_586:
	v_lshlrev_b32_e32 v31, 3, v0
	v_mov_b32_e32 v33, 0
	ds_read_b64 v[31:32], v31 offset:18208
	ds_read_b64 v[33:34], v33 offset:16664
	s_waitcnt lgkmcnt(0)
	v_fma_f64 v[11:12], v[31:32], v[33:34], v[11:12]
.LBB143_587:
	s_or_b64 exec, exec, s[14:15]
	v_xor_b32_e32 v12, 0x80000000, v12
.LBB143_588:
	s_or_b64 exec, exec, s[0:1]
	s_and_saveexec_b64 s[0:1], s[48:49]
	s_cbranch_execz .LBB143_590
; %bb.589:
	v_mov_b32_e32 v31, 0
	ds_read_b64 v[31:32], v31 offset:18720
	s_waitcnt lgkmcnt(0)
	v_mul_f64 v[11:12], v[11:12], v[31:32]
	ds_write_b64 v18, v[11:12]
.LBB143_590:
	s_or_b64 exec, exec, s[0:1]
	s_waitcnt lgkmcnt(0)
	s_barrier
	s_and_saveexec_b64 s[0:1], s[50:51]
	s_cbranch_execz .LBB143_592
; %bb.591:
	ds_read_b64 v[31:32], v17 offset:18720
	ds_read_b64 v[33:34], v18
	s_waitcnt lgkmcnt(0)
	v_fma_f64 v[11:12], v[31:32], v[33:34], v[11:12]
.LBB143_592:
	s_or_b64 exec, exec, s[0:1]
	s_barrier
	s_and_saveexec_b64 s[0:1], s[52:53]
	s_cbranch_execz .LBB143_594
; %bb.593:
	v_mov_b32_e32 v31, 0
	ds_read_b64 v[31:32], v31 offset:19240
	s_waitcnt lgkmcnt(0)
	v_mul_f64 v[11:12], v[11:12], v[31:32]
	ds_write_b64 v18, v[11:12]
.LBB143_594:
	s_or_b64 exec, exec, s[0:1]
	s_waitcnt lgkmcnt(0)
	s_barrier
	s_and_saveexec_b64 s[0:1], s[54:55]
	s_cbranch_execz .LBB143_596
; %bb.595:
	ds_read_b64 v[31:32], v17 offset:19232
	ds_read_b64 v[33:34], v18
	s_waitcnt lgkmcnt(0)
	v_fma_f64 v[11:12], v[31:32], v[33:34], v[11:12]
.LBB143_596:
	s_or_b64 exec, exec, s[0:1]
	s_barrier
	s_and_saveexec_b64 s[0:1], s[56:57]
	s_cbranch_execz .LBB143_598
; %bb.597:
	v_mov_b32_e32 v31, 0
	ds_read_b64 v[31:32], v31 offset:19760
	s_waitcnt lgkmcnt(0)
	v_mul_f64 v[11:12], v[11:12], v[31:32]
	ds_write_b64 v18, v[11:12]
.LBB143_598:
	s_or_b64 exec, exec, s[0:1]
	s_waitcnt lgkmcnt(0)
	s_barrier
	s_and_saveexec_b64 s[0:1], s[46:47]
	s_cbranch_execz .LBB143_600
; %bb.599:
	v_mov_b32_e32 v31, 0
	ds_read_b64 v[31:32], v31 offset:19768
	ds_read_b64 v[33:34], v18
	s_waitcnt lgkmcnt(0)
	v_fma_f64 v[11:12], v[31:32], v[33:34], v[11:12]
.LBB143_600:
	s_or_b64 exec, exec, s[0:1]
	s_barrier
	s_and_saveexec_b64 s[0:1], s[46:47]
	s_cbranch_execz .LBB143_602
; %bb.601:
	v_mov_b32_e32 v31, 0
	ds_read_b64 v[31:32], v31 offset:20280
	s_waitcnt lgkmcnt(0)
	v_mul_f64 v[11:12], v[11:12], v[31:32]
	ds_write_b64 v18, v[11:12]
.LBB143_602:
	s_or_b64 exec, exec, s[0:1]
	s_waitcnt lgkmcnt(0)
	s_barrier
	s_barrier
	s_and_saveexec_b64 s[0:1], s[18:19]
; %bb.603:
	v_xor_b32_e32 v12, 0x80000000, v12
	ds_write_b64 v16, v[11:12] offset:16672
; %bb.604:
	s_or_b64 exec, exec, s[0:1]
	s_waitcnt lgkmcnt(0)
	s_barrier
	s_barrier
	s_and_saveexec_b64 s[0:1], s[58:59]
	s_cbranch_execz .LBB143_606
; %bb.605:
	v_lshlrev_b32_e32 v31, 9, v0
	ds_read_b64 v[11:12], v31 offset:16672
	s_movk_i32 s12, 0xfe08
	v_mad_i32_i24 v32, v0, s12, v31
	s_waitcnt lgkmcnt(0)
	ds_write_b64 v32, v[11:12] offset:18688
	ds_read_b64 v[11:12], v31 offset:16680
	s_waitcnt lgkmcnt(0)
	ds_write_b64 v32, v[11:12] offset:19200
	ds_read_b64 v[11:12], v31 offset:16688
	;; [unrolled: 3-line block ×3, first 2 shown]
	s_waitcnt lgkmcnt(0)
	ds_write_b64 v32, v[11:12] offset:20224
.LBB143_606:
	s_or_b64 exec, exec, s[0:1]
	s_waitcnt lgkmcnt(0)
	s_barrier
	s_and_saveexec_b64 s[0:1], vcc
	s_cbranch_execz .LBB143_608
; %bb.607:
	v_mov_b32_e32 v11, 0
	ds_read_b128 v[31:34], v11 offset:18720
	ds_read_b64 v[11:12], v11 offset:19240
	s_movk_i32 s12, 0x4800
	s_waitcnt lgkmcnt(0)
	v_mul_f64 v[11:12], v[31:32], v[11:12]
	v_add_u32_e64 v31, s12, 0
	v_mul_f64 v[11:12], v[33:34], v[11:12]
	ds_write2_b64 v31, v[11:12], v[11:12] offset0:37 offset1:100
.LBB143_608:
	s_or_b64 exec, exec, s[0:1]
	v_mov_b32_e32 v11, 0
	v_mov_b32_e32 v12, 0
	s_waitcnt lgkmcnt(0)
	s_barrier
	s_and_saveexec_b64 s[0:1], s[2:3]
	s_cbranch_execz .LBB143_612
; %bb.609:
	v_mul_u32_u24_e32 v31, 0x208, v15
	ds_read_b64 v[11:12], v1 offset:18736
	ds_read_b64 v[31:32], v31 offset:18720
	v_cmp_gt_u32_e64 s[12:13], 2, v14
	s_waitcnt lgkmcnt(0)
	v_fma_f64 v[11:12], v[11:12], v[31:32], 0
	s_and_saveexec_b64 s[14:15], s[12:13]
	s_cbranch_execz .LBB143_611
; %bb.610:
	v_lshlrev_b32_e32 v31, 3, v0
	v_mov_b32_e32 v33, 0
	ds_read_b64 v[31:32], v31 offset:19248
	ds_read_b64 v[33:34], v33 offset:18728
	s_waitcnt lgkmcnt(0)
	v_fma_f64 v[11:12], v[31:32], v[33:34], v[11:12]
.LBB143_611:
	s_or_b64 exec, exec, s[14:15]
	v_xor_b32_e32 v12, 0x80000000, v12
.LBB143_612:
	s_or_b64 exec, exec, s[0:1]
	s_and_saveexec_b64 s[0:1], s[42:43]
	s_cbranch_execz .LBB143_614
; %bb.613:
	v_mov_b32_e32 v31, 0
	ds_read_b64 v[31:32], v31 offset:19760
	s_waitcnt lgkmcnt(0)
	v_mul_f64 v[11:12], v[11:12], v[31:32]
	ds_write_b64 v13, v[11:12]
.LBB143_614:
	s_or_b64 exec, exec, s[0:1]
	s_waitcnt lgkmcnt(0)
	s_barrier
	s_and_saveexec_b64 s[0:1], s[40:41]
	s_cbranch_execz .LBB143_616
; %bb.615:
	v_mov_b32_e32 v31, 0
	ds_read_b64 v[31:32], v31 offset:19768
	ds_read_b64 v[33:34], v13
	s_waitcnt lgkmcnt(0)
	v_fma_f64 v[11:12], v[31:32], v[33:34], v[11:12]
.LBB143_616:
	s_or_b64 exec, exec, s[0:1]
	s_barrier
	s_and_saveexec_b64 s[0:1], s[40:41]
	s_cbranch_execz .LBB143_618
; %bb.617:
	v_mov_b32_e32 v31, 0
	ds_read_b64 v[31:32], v31 offset:20280
	s_waitcnt lgkmcnt(0)
	v_mul_f64 v[11:12], v[11:12], v[31:32]
	ds_write_b64 v13, v[11:12]
.LBB143_618:
	s_or_b64 exec, exec, s[0:1]
	s_waitcnt lgkmcnt(0)
	s_barrier
	s_barrier
	s_and_saveexec_b64 s[0:1], s[2:3]
; %bb.619:
	v_xor_b32_e32 v12, 0x80000000, v12
	ds_write_b64 v1, v[11:12] offset:18736
; %bb.620:
	s_or_b64 exec, exec, s[0:1]
	s_waitcnt lgkmcnt(0)
	s_barrier
	s_barrier
	s_and_saveexec_b64 s[0:1], s[44:45]
	s_cbranch_execz .LBB143_622
; %bb.621:
	v_lshlrev_b32_e32 v31, 3, v0
	s_movk_i32 s12, 0x1f8
	v_mad_u32_u24 v32, v0, s12, v31
	ds_read_b64 v[11:12], v32 offset:18736
	s_waitcnt lgkmcnt(0)
	ds_write_b64 v31, v[11:12] offset:19744
	ds_read_b64 v[11:12], v32 offset:18744
	s_waitcnt lgkmcnt(0)
	ds_write_b64 v31, v[11:12] offset:20256
.LBB143_622:
	s_or_b64 exec, exec, s[0:1]
	s_waitcnt lgkmcnt(0)
	s_barrier
	s_and_saveexec_b64 s[0:1], vcc
	s_cbranch_execz .LBB143_624
; %bb.623:
	v_mov_b32_e32 v11, 0
	ds_read_b128 v[31:34], v11 offset:19760
	ds_read_b64 v[11:12], v11 offset:20280
	s_movk_i32 s12, 0x4800
	s_waitcnt lgkmcnt(0)
	v_mul_f64 v[11:12], v[31:32], v[11:12]
	v_add_u32_e64 v31, s12, 0
	v_mul_f64 v[11:12], v[33:34], v[11:12]
	ds_write2_b64 v31, v[11:12], v[11:12] offset0:167 offset1:230
.LBB143_624:
	s_or_b64 exec, exec, s[0:1]
	v_mov_b32_e32 v11, 0
	v_mov_b32_e32 v12, 0
	s_waitcnt lgkmcnt(0)
	s_barrier
	s_and_saveexec_b64 s[0:1], s[8:9]
	s_cbranch_execz .LBB143_634
; %bb.625:
	v_mul_u32_u24_e32 v31, 0x208, v25
	ds_read_b64 v[11:12], v21 offset:16704
	ds_read_b64 v[32:33], v31 offset:16640
	v_cmp_gt_u32_e64 s[12:13], 56, v14
	s_waitcnt lgkmcnt(0)
	v_fma_f64 v[11:12], v[11:12], v[32:33], 0
	s_and_saveexec_b64 s[14:15], s[12:13]
	s_cbranch_execnz .LBB143_1125
; %bb.626:
	s_or_b64 exec, exec, s[14:15]
	v_cmp_gt_u32_e64 s[12:13], 48, v14
	s_and_saveexec_b64 s[14:15], s[12:13]
	s_cbranch_execnz .LBB143_1126
.LBB143_627:
	s_or_b64 exec, exec, s[14:15]
	v_cmp_gt_u32_e64 s[12:13], 40, v14
	s_and_saveexec_b64 s[14:15], s[12:13]
	s_cbranch_execnz .LBB143_1127
.LBB143_628:
	s_or_b64 exec, exec, s[14:15]
	v_cmp_gt_u32_e64 s[12:13], 32, v14
	s_and_saveexec_b64 s[14:15], s[12:13]
	s_cbranch_execnz .LBB143_1128
.LBB143_629:
	s_or_b64 exec, exec, s[14:15]
	v_cmp_gt_u32_e64 s[12:13], 24, v14
	s_and_saveexec_b64 s[14:15], s[12:13]
	s_cbranch_execnz .LBB143_1129
.LBB143_630:
	s_or_b64 exec, exec, s[14:15]
	v_cmp_gt_u32_e64 s[12:13], 16, v14
	s_and_saveexec_b64 s[14:15], s[12:13]
	s_cbranch_execnz .LBB143_1130
.LBB143_631:
	s_or_b64 exec, exec, s[14:15]
	v_cmp_gt_u32_e64 s[12:13], 8, v14
	s_and_saveexec_b64 s[14:15], s[12:13]
	s_cbranch_execz .LBB143_633
.LBB143_632:
	v_lshlrev_b32_e32 v31, 3, v0
	v_mov_b32_e32 v33, 0
	ds_read_b64 v[31:32], v31 offset:20288
	ds_read_b64 v[33:34], v33 offset:16696
	s_waitcnt lgkmcnt(0)
	v_fma_f64 v[11:12], v[31:32], v[33:34], v[11:12]
.LBB143_633:
	s_or_b64 exec, exec, s[14:15]
	v_xor_b32_e32 v12, 0x80000000, v12
.LBB143_634:
	s_or_b64 exec, exec, s[0:1]
	s_and_saveexec_b64 s[0:1], s[60:61]
	s_cbranch_execz .LBB143_636
; %bb.635:
	v_mov_b32_e32 v31, 0
	ds_read_b64 v[31:32], v31 offset:20800
	s_waitcnt lgkmcnt(0)
	v_mul_f64 v[11:12], v[11:12], v[31:32]
	ds_write_b64 v23, v[11:12]
.LBB143_636:
	s_or_b64 exec, exec, s[0:1]
	s_waitcnt lgkmcnt(0)
	s_barrier
	s_and_saveexec_b64 s[0:1], s[62:63]
	s_cbranch_execz .LBB143_638
; %bb.637:
	ds_read_b64 v[31:32], v22 offset:20800
	ds_read_b64 v[33:34], v23
	s_waitcnt lgkmcnt(0)
	v_fma_f64 v[11:12], v[31:32], v[33:34], v[11:12]
.LBB143_638:
	s_or_b64 exec, exec, s[0:1]
	s_barrier
	s_and_saveexec_b64 s[0:1], s[64:65]
	s_cbranch_execz .LBB143_640
; %bb.639:
	v_mov_b32_e32 v31, 0
	ds_read_b64 v[31:32], v31 offset:21320
	s_waitcnt lgkmcnt(0)
	v_mul_f64 v[11:12], v[11:12], v[31:32]
	ds_write_b64 v23, v[11:12]
.LBB143_640:
	s_or_b64 exec, exec, s[0:1]
	s_waitcnt lgkmcnt(0)
	s_barrier
	s_and_saveexec_b64 s[0:1], s[66:67]
	s_cbranch_execz .LBB143_642
; %bb.641:
	ds_read_b64 v[31:32], v22 offset:21312
	ds_read_b64 v[33:34], v23
	s_waitcnt lgkmcnt(0)
	v_fma_f64 v[11:12], v[31:32], v[33:34], v[11:12]
.LBB143_642:
	s_or_b64 exec, exec, s[0:1]
	s_barrier
	;; [unrolled: 22-line block ×6, first 2 shown]
	s_and_saveexec_b64 s[0:1], s[86:87]
	s_cbranch_execz .LBB143_660
; %bb.659:
	v_mov_b32_e32 v31, 0
	ds_read_b64 v[31:32], v31 offset:23920
	s_waitcnt lgkmcnt(0)
	v_mul_f64 v[11:12], v[11:12], v[31:32]
	ds_write_b64 v23, v[11:12]
.LBB143_660:
	s_or_b64 exec, exec, s[0:1]
	s_waitcnt lgkmcnt(0)
	s_barrier
	s_and_saveexec_b64 s[0:1], s[70:71]
	s_cbranch_execz .LBB143_662
; %bb.661:
	v_mov_b32_e32 v31, 0
	ds_read_b64 v[31:32], v31 offset:23928
	ds_read_b64 v[33:34], v23
	s_waitcnt lgkmcnt(0)
	v_fma_f64 v[11:12], v[31:32], v[33:34], v[11:12]
.LBB143_662:
	s_or_b64 exec, exec, s[0:1]
	s_barrier
	s_and_saveexec_b64 s[0:1], s[70:71]
	s_cbranch_execz .LBB143_664
; %bb.663:
	v_mov_b32_e32 v31, 0
	ds_read_b64 v[31:32], v31 offset:24440
	s_waitcnt lgkmcnt(0)
	v_mul_f64 v[11:12], v[11:12], v[31:32]
	ds_write_b64 v23, v[11:12]
.LBB143_664:
	s_or_b64 exec, exec, s[0:1]
	s_waitcnt lgkmcnt(0)
	s_barrier
	s_barrier
	s_and_saveexec_b64 s[0:1], s[8:9]
; %bb.665:
	v_xor_b32_e32 v12, 0x80000000, v12
	ds_write_b64 v21, v[11:12] offset:16704
; %bb.666:
	s_or_b64 exec, exec, s[0:1]
	s_waitcnt lgkmcnt(0)
	s_barrier
	s_barrier
	s_and_saveexec_b64 s[0:1], s[88:89]
	s_cbranch_execz .LBB143_668
; %bb.667:
	v_lshlrev_b32_e32 v31, 9, v0
	ds_read_b64 v[11:12], v31 offset:16704
	s_movk_i32 s12, 0xfe08
	v_mad_i32_i24 v32, v0, s12, v31
	s_waitcnt lgkmcnt(0)
	ds_write_b64 v32, v[11:12] offset:20736
	ds_read_b64 v[11:12], v31 offset:16712
	s_waitcnt lgkmcnt(0)
	ds_write_b64 v32, v[11:12] offset:21248
	ds_read_b64 v[11:12], v31 offset:16720
	;; [unrolled: 3-line block ×7, first 2 shown]
	s_waitcnt lgkmcnt(0)
	ds_write_b64 v32, v[11:12] offset:24320
.LBB143_668:
	s_or_b64 exec, exec, s[0:1]
	s_waitcnt lgkmcnt(0)
	s_barrier
	s_and_saveexec_b64 s[0:1], vcc
	s_cbranch_execz .LBB143_670
; %bb.669:
	v_mov_b32_e32 v11, 0
	ds_read_b128 v[31:34], v11 offset:20800
	ds_read_b64 v[11:12], v11 offset:21320
	s_movk_i32 s12, 0x5000
	s_waitcnt lgkmcnt(0)
	v_mul_f64 v[11:12], v[31:32], v[11:12]
	v_add_u32_e64 v31, s12, 0
	v_mul_f64 v[11:12], v[33:34], v[11:12]
	ds_write2_b64 v31, v[11:12], v[11:12] offset0:41 offset1:104
.LBB143_670:
	s_or_b64 exec, exec, s[0:1]
	v_mov_b32_e32 v11, 0
	v_mov_b32_e32 v12, 0
	s_waitcnt lgkmcnt(0)
	s_barrier
	s_and_saveexec_b64 s[0:1], s[2:3]
	s_cbranch_execz .LBB143_674
; %bb.671:
	v_mul_u32_u24_e32 v31, 0x208, v15
	ds_read_b64 v[11:12], v1 offset:20816
	ds_read_b64 v[31:32], v31 offset:20800
	v_cmp_gt_u32_e64 s[12:13], 2, v14
	s_waitcnt lgkmcnt(0)
	v_fma_f64 v[11:12], v[11:12], v[31:32], 0
	s_and_saveexec_b64 s[14:15], s[12:13]
	s_cbranch_execz .LBB143_673
; %bb.672:
	v_lshlrev_b32_e32 v31, 3, v0
	v_mov_b32_e32 v33, 0
	ds_read_b64 v[31:32], v31 offset:21328
	ds_read_b64 v[33:34], v33 offset:20808
	s_waitcnt lgkmcnt(0)
	v_fma_f64 v[11:12], v[31:32], v[33:34], v[11:12]
.LBB143_673:
	s_or_b64 exec, exec, s[14:15]
	v_xor_b32_e32 v12, 0x80000000, v12
.LBB143_674:
	s_or_b64 exec, exec, s[0:1]
	s_and_saveexec_b64 s[0:1], s[42:43]
	s_cbranch_execz .LBB143_676
; %bb.675:
	v_mov_b32_e32 v31, 0
	ds_read_b64 v[31:32], v31 offset:21840
	s_waitcnt lgkmcnt(0)
	v_mul_f64 v[11:12], v[11:12], v[31:32]
	ds_write_b64 v13, v[11:12]
.LBB143_676:
	s_or_b64 exec, exec, s[0:1]
	s_waitcnt lgkmcnt(0)
	s_barrier
	s_and_saveexec_b64 s[0:1], s[40:41]
	s_cbranch_execz .LBB143_678
; %bb.677:
	v_mov_b32_e32 v31, 0
	ds_read_b64 v[31:32], v31 offset:21848
	ds_read_b64 v[33:34], v13
	s_waitcnt lgkmcnt(0)
	v_fma_f64 v[11:12], v[31:32], v[33:34], v[11:12]
.LBB143_678:
	s_or_b64 exec, exec, s[0:1]
	s_barrier
	s_and_saveexec_b64 s[0:1], s[40:41]
	s_cbranch_execz .LBB143_680
; %bb.679:
	v_mov_b32_e32 v31, 0
	ds_read_b64 v[31:32], v31 offset:22360
	s_waitcnt lgkmcnt(0)
	v_mul_f64 v[11:12], v[11:12], v[31:32]
	ds_write_b64 v13, v[11:12]
.LBB143_680:
	s_or_b64 exec, exec, s[0:1]
	s_waitcnt lgkmcnt(0)
	s_barrier
	s_barrier
	s_and_saveexec_b64 s[0:1], s[2:3]
; %bb.681:
	v_xor_b32_e32 v12, 0x80000000, v12
	ds_write_b64 v1, v[11:12] offset:20816
; %bb.682:
	s_or_b64 exec, exec, s[0:1]
	s_waitcnt lgkmcnt(0)
	s_barrier
	s_barrier
	s_and_saveexec_b64 s[0:1], s[44:45]
	s_cbranch_execz .LBB143_684
; %bb.683:
	v_lshlrev_b32_e32 v31, 3, v0
	s_movk_i32 s12, 0x1f8
	v_mad_u32_u24 v32, v0, s12, v31
	ds_read_b64 v[11:12], v32 offset:20816
	s_waitcnt lgkmcnt(0)
	ds_write_b64 v31, v[11:12] offset:21824
	ds_read_b64 v[11:12], v32 offset:20824
	s_waitcnt lgkmcnt(0)
	ds_write_b64 v31, v[11:12] offset:22336
.LBB143_684:
	s_or_b64 exec, exec, s[0:1]
	s_waitcnt lgkmcnt(0)
	s_barrier
	s_and_saveexec_b64 s[0:1], vcc
	s_cbranch_execz .LBB143_686
; %bb.685:
	v_mov_b32_e32 v11, 0
	ds_read_b128 v[31:34], v11 offset:21840
	ds_read_b64 v[11:12], v11 offset:22360
	s_movk_i32 s12, 0x5000
	s_waitcnt lgkmcnt(0)
	v_mul_f64 v[11:12], v[31:32], v[11:12]
	v_add_u32_e64 v31, s12, 0
	v_mul_f64 v[11:12], v[33:34], v[11:12]
	ds_write2_b64 v31, v[11:12], v[11:12] offset0:171 offset1:234
.LBB143_686:
	s_or_b64 exec, exec, s[0:1]
	v_mov_b32_e32 v11, 0
	v_mov_b32_e32 v12, 0
	s_waitcnt lgkmcnt(0)
	s_barrier
	s_and_saveexec_b64 s[0:1], s[18:19]
	s_cbranch_execz .LBB143_692
; %bb.687:
	v_mul_u32_u24_e32 v31, 0x208, v20
	ds_read_b64 v[11:12], v16 offset:20832
	ds_read_b64 v[32:33], v31 offset:20800
	v_cmp_gt_u32_e64 s[12:13], 12, v14
	s_waitcnt lgkmcnt(0)
	v_fma_f64 v[11:12], v[11:12], v[32:33], 0
	s_and_saveexec_b64 s[14:15], s[12:13]
	s_cbranch_execnz .LBB143_1131
; %bb.688:
	s_or_b64 exec, exec, s[14:15]
	v_cmp_gt_u32_e64 s[12:13], 8, v14
	s_and_saveexec_b64 s[14:15], s[12:13]
	s_cbranch_execnz .LBB143_1132
.LBB143_689:
	s_or_b64 exec, exec, s[14:15]
	v_cmp_gt_u32_e64 s[12:13], 4, v14
	s_and_saveexec_b64 s[14:15], s[12:13]
	s_cbranch_execz .LBB143_691
.LBB143_690:
	v_lshlrev_b32_e32 v31, 3, v0
	v_mov_b32_e32 v33, 0
	ds_read_b64 v[31:32], v31 offset:22368
	ds_read_b64 v[33:34], v33 offset:20824
	s_waitcnt lgkmcnt(0)
	v_fma_f64 v[11:12], v[31:32], v[33:34], v[11:12]
.LBB143_691:
	s_or_b64 exec, exec, s[14:15]
	v_xor_b32_e32 v12, 0x80000000, v12
.LBB143_692:
	s_or_b64 exec, exec, s[0:1]
	s_and_saveexec_b64 s[0:1], s[48:49]
	s_cbranch_execz .LBB143_694
; %bb.693:
	v_mov_b32_e32 v31, 0
	ds_read_b64 v[31:32], v31 offset:22880
	s_waitcnt lgkmcnt(0)
	v_mul_f64 v[11:12], v[11:12], v[31:32]
	ds_write_b64 v18, v[11:12]
.LBB143_694:
	s_or_b64 exec, exec, s[0:1]
	s_waitcnt lgkmcnt(0)
	s_barrier
	s_and_saveexec_b64 s[0:1], s[50:51]
	s_cbranch_execz .LBB143_696
; %bb.695:
	ds_read_b64 v[31:32], v17 offset:22880
	ds_read_b64 v[33:34], v18
	s_waitcnt lgkmcnt(0)
	v_fma_f64 v[11:12], v[31:32], v[33:34], v[11:12]
.LBB143_696:
	s_or_b64 exec, exec, s[0:1]
	s_barrier
	s_and_saveexec_b64 s[0:1], s[52:53]
	s_cbranch_execz .LBB143_698
; %bb.697:
	v_mov_b32_e32 v31, 0
	ds_read_b64 v[31:32], v31 offset:23400
	s_waitcnt lgkmcnt(0)
	v_mul_f64 v[11:12], v[11:12], v[31:32]
	ds_write_b64 v18, v[11:12]
.LBB143_698:
	s_or_b64 exec, exec, s[0:1]
	s_waitcnt lgkmcnt(0)
	s_barrier
	s_and_saveexec_b64 s[0:1], s[54:55]
	s_cbranch_execz .LBB143_700
; %bb.699:
	ds_read_b64 v[31:32], v17 offset:23392
	ds_read_b64 v[33:34], v18
	s_waitcnt lgkmcnt(0)
	v_fma_f64 v[11:12], v[31:32], v[33:34], v[11:12]
.LBB143_700:
	s_or_b64 exec, exec, s[0:1]
	s_barrier
	s_and_saveexec_b64 s[0:1], s[56:57]
	s_cbranch_execz .LBB143_702
; %bb.701:
	v_mov_b32_e32 v31, 0
	ds_read_b64 v[31:32], v31 offset:23920
	s_waitcnt lgkmcnt(0)
	v_mul_f64 v[11:12], v[11:12], v[31:32]
	ds_write_b64 v18, v[11:12]
.LBB143_702:
	s_or_b64 exec, exec, s[0:1]
	s_waitcnt lgkmcnt(0)
	s_barrier
	s_and_saveexec_b64 s[0:1], s[46:47]
	s_cbranch_execz .LBB143_704
; %bb.703:
	v_mov_b32_e32 v31, 0
	ds_read_b64 v[31:32], v31 offset:23928
	ds_read_b64 v[33:34], v18
	s_waitcnt lgkmcnt(0)
	v_fma_f64 v[11:12], v[31:32], v[33:34], v[11:12]
.LBB143_704:
	s_or_b64 exec, exec, s[0:1]
	s_barrier
	s_and_saveexec_b64 s[0:1], s[46:47]
	s_cbranch_execz .LBB143_706
; %bb.705:
	v_mov_b32_e32 v31, 0
	ds_read_b64 v[31:32], v31 offset:24440
	s_waitcnt lgkmcnt(0)
	v_mul_f64 v[11:12], v[11:12], v[31:32]
	ds_write_b64 v18, v[11:12]
.LBB143_706:
	s_or_b64 exec, exec, s[0:1]
	s_waitcnt lgkmcnt(0)
	s_barrier
	s_barrier
	s_and_saveexec_b64 s[0:1], s[18:19]
; %bb.707:
	v_xor_b32_e32 v12, 0x80000000, v12
	ds_write_b64 v16, v[11:12] offset:20832
; %bb.708:
	s_or_b64 exec, exec, s[0:1]
	s_waitcnt lgkmcnt(0)
	s_barrier
	s_barrier
	s_and_saveexec_b64 s[0:1], s[58:59]
	s_cbranch_execz .LBB143_710
; %bb.709:
	v_lshlrev_b32_e32 v31, 9, v0
	ds_read_b64 v[11:12], v31 offset:20832
	s_movk_i32 s12, 0xfe08
	v_mad_i32_i24 v32, v0, s12, v31
	s_waitcnt lgkmcnt(0)
	ds_write_b64 v32, v[11:12] offset:22848
	ds_read_b64 v[11:12], v31 offset:20840
	s_waitcnt lgkmcnt(0)
	ds_write_b64 v32, v[11:12] offset:23360
	ds_read_b64 v[11:12], v31 offset:20848
	;; [unrolled: 3-line block ×3, first 2 shown]
	s_waitcnt lgkmcnt(0)
	ds_write_b64 v32, v[11:12] offset:24384
.LBB143_710:
	s_or_b64 exec, exec, s[0:1]
	s_waitcnt lgkmcnt(0)
	s_barrier
	s_and_saveexec_b64 s[0:1], vcc
	s_cbranch_execz .LBB143_712
; %bb.711:
	v_mov_b32_e32 v11, 0
	ds_read_b128 v[31:34], v11 offset:22880
	ds_read_b64 v[11:12], v11 offset:23400
	s_movk_i32 s12, 0x5800
	s_waitcnt lgkmcnt(0)
	v_mul_f64 v[11:12], v[31:32], v[11:12]
	v_add_u32_e64 v31, s12, 0
	v_mul_f64 v[11:12], v[33:34], v[11:12]
	ds_write2_b64 v31, v[11:12], v[11:12] offset0:45 offset1:108
.LBB143_712:
	s_or_b64 exec, exec, s[0:1]
	v_mov_b32_e32 v11, 0
	v_mov_b32_e32 v12, 0
	s_waitcnt lgkmcnt(0)
	s_barrier
	s_and_saveexec_b64 s[0:1], s[2:3]
	s_cbranch_execz .LBB143_716
; %bb.713:
	v_mul_u32_u24_e32 v31, 0x208, v15
	ds_read_b64 v[11:12], v1 offset:22896
	ds_read_b64 v[31:32], v31 offset:22880
	v_cmp_gt_u32_e64 s[12:13], 2, v14
	s_waitcnt lgkmcnt(0)
	v_fma_f64 v[11:12], v[11:12], v[31:32], 0
	s_and_saveexec_b64 s[14:15], s[12:13]
	s_cbranch_execz .LBB143_715
; %bb.714:
	v_lshlrev_b32_e32 v31, 3, v0
	v_mov_b32_e32 v33, 0
	ds_read_b64 v[31:32], v31 offset:23408
	ds_read_b64 v[33:34], v33 offset:22888
	s_waitcnt lgkmcnt(0)
	v_fma_f64 v[11:12], v[31:32], v[33:34], v[11:12]
.LBB143_715:
	s_or_b64 exec, exec, s[14:15]
	v_xor_b32_e32 v12, 0x80000000, v12
.LBB143_716:
	s_or_b64 exec, exec, s[0:1]
	s_and_saveexec_b64 s[0:1], s[42:43]
	s_cbranch_execz .LBB143_718
; %bb.717:
	v_mov_b32_e32 v31, 0
	ds_read_b64 v[31:32], v31 offset:23920
	s_waitcnt lgkmcnt(0)
	v_mul_f64 v[11:12], v[11:12], v[31:32]
	ds_write_b64 v13, v[11:12]
.LBB143_718:
	s_or_b64 exec, exec, s[0:1]
	s_waitcnt lgkmcnt(0)
	s_barrier
	s_and_saveexec_b64 s[0:1], s[40:41]
	s_cbranch_execz .LBB143_720
; %bb.719:
	v_mov_b32_e32 v31, 0
	ds_read_b64 v[31:32], v31 offset:23928
	ds_read_b64 v[33:34], v13
	s_waitcnt lgkmcnt(0)
	v_fma_f64 v[11:12], v[31:32], v[33:34], v[11:12]
.LBB143_720:
	s_or_b64 exec, exec, s[0:1]
	s_barrier
	s_and_saveexec_b64 s[0:1], s[40:41]
	s_cbranch_execz .LBB143_722
; %bb.721:
	v_mov_b32_e32 v31, 0
	ds_read_b64 v[31:32], v31 offset:24440
	s_waitcnt lgkmcnt(0)
	v_mul_f64 v[11:12], v[11:12], v[31:32]
	ds_write_b64 v13, v[11:12]
.LBB143_722:
	s_or_b64 exec, exec, s[0:1]
	s_waitcnt lgkmcnt(0)
	s_barrier
	s_barrier
	s_and_saveexec_b64 s[0:1], s[2:3]
; %bb.723:
	v_xor_b32_e32 v12, 0x80000000, v12
	ds_write_b64 v1, v[11:12] offset:22896
; %bb.724:
	s_or_b64 exec, exec, s[0:1]
	s_waitcnt lgkmcnt(0)
	s_barrier
	s_barrier
	s_and_saveexec_b64 s[0:1], s[44:45]
	s_cbranch_execz .LBB143_726
; %bb.725:
	v_lshlrev_b32_e32 v31, 3, v0
	s_movk_i32 s12, 0x1f8
	v_mad_u32_u24 v32, v0, s12, v31
	ds_read_b64 v[11:12], v32 offset:22896
	s_waitcnt lgkmcnt(0)
	ds_write_b64 v31, v[11:12] offset:23904
	ds_read_b64 v[11:12], v32 offset:22904
	s_waitcnt lgkmcnt(0)
	ds_write_b64 v31, v[11:12] offset:24416
.LBB143_726:
	s_or_b64 exec, exec, s[0:1]
	s_waitcnt lgkmcnt(0)
	s_barrier
	s_and_saveexec_b64 s[0:1], vcc
	s_cbranch_execz .LBB143_728
; %bb.727:
	v_mov_b32_e32 v11, 0
	ds_read_b128 v[31:34], v11 offset:23920
	ds_read_b64 v[11:12], v11 offset:24440
	s_movk_i32 s12, 0x5800
	s_waitcnt lgkmcnt(0)
	v_mul_f64 v[11:12], v[31:32], v[11:12]
	v_add_u32_e64 v31, s12, 0
	v_mul_f64 v[11:12], v[33:34], v[11:12]
	ds_write2_b64 v31, v[11:12], v[11:12] offset0:175 offset1:238
.LBB143_728:
	s_or_b64 exec, exec, s[0:1]
	v_mov_b32_e32 v11, 0
	v_mov_b32_e32 v12, 0
	s_waitcnt lgkmcnt(0)
	s_barrier
	s_and_saveexec_b64 s[0:1], s[10:11]
	s_cbranch_execz .LBB143_756
; %bb.729:
	v_mul_u32_u24_e32 v31, 0x208, v30
	ds_read_b64 v[11:12], v26 offset:16768
	ds_read_b64 v[32:33], v31 offset:16640
	s_movk_i32 s12, 0xf0
	v_cmp_gt_u32_e64 s[12:13], s12, v14
	s_waitcnt lgkmcnt(0)
	v_fma_f64 v[11:12], v[11:12], v[32:33], 0
	s_and_saveexec_b64 s[14:15], s[12:13]
	s_cbranch_execz .LBB143_731
; %bb.730:
	v_lshlrev_b32_e32 v32, 3, v30
	v_sub_u32_e32 v32, v31, v32
	v_lshl_add_u32 v32, v27, 3, v32
	ds_read_b64 v[32:33], v32 offset:17280
	ds_read_b64 v[34:35], v31 offset:16648
	s_waitcnt lgkmcnt(0)
	v_fma_f64 v[11:12], v[32:33], v[34:35], v[11:12]
.LBB143_731:
	s_or_b64 exec, exec, s[14:15]
	s_movk_i32 s12, 0xe0
	v_cmp_gt_u32_e64 s[12:13], s12, v14
	s_and_saveexec_b64 s[14:15], s[12:13]
	s_cbranch_execz .LBB143_733
; %bb.732:
	v_lshlrev_b32_e32 v32, 3, v30
	v_sub_u32_e32 v32, v31, v32
	v_lshl_add_u32 v32, v27, 3, v32
	ds_read_b64 v[32:33], v32 offset:17792
	ds_read_b64 v[34:35], v31 offset:16656
	s_waitcnt lgkmcnt(0)
	v_fma_f64 v[11:12], v[32:33], v[34:35], v[11:12]
.LBB143_733:
	s_or_b64 exec, exec, s[14:15]
	s_movk_i32 s12, 0xd0
	v_cmp_gt_u32_e64 s[12:13], s12, v14
	s_and_saveexec_b64 s[14:15], s[12:13]
	s_cbranch_execz .LBB143_735
; %bb.734:
	v_lshlrev_b32_e32 v32, 3, v30
	v_sub_u32_e32 v32, v31, v32
	v_lshl_add_u32 v32, v27, 3, v32
	ds_read_b64 v[32:33], v32 offset:18304
	ds_read_b64 v[34:35], v31 offset:16664
	s_waitcnt lgkmcnt(0)
	v_fma_f64 v[11:12], v[32:33], v[34:35], v[11:12]
.LBB143_735:
	s_or_b64 exec, exec, s[14:15]
	s_movk_i32 s12, 0xc0
	v_cmp_gt_u32_e64 s[12:13], s12, v14
	s_and_saveexec_b64 s[14:15], s[12:13]
	s_cbranch_execz .LBB143_737
; %bb.736:
	v_lshlrev_b32_e32 v32, 3, v30
	v_sub_u32_e32 v32, v31, v32
	v_lshl_add_u32 v32, v27, 3, v32
	ds_read_b64 v[32:33], v32 offset:18816
	ds_read_b64 v[34:35], v31 offset:16672
	s_waitcnt lgkmcnt(0)
	v_fma_f64 v[11:12], v[32:33], v[34:35], v[11:12]
.LBB143_737:
	s_or_b64 exec, exec, s[14:15]
	s_movk_i32 s12, 0xb0
	v_cmp_gt_u32_e64 s[12:13], s12, v14
	s_and_saveexec_b64 s[14:15], s[12:13]
	s_cbranch_execz .LBB143_739
; %bb.738:
	v_lshlrev_b32_e32 v32, 3, v30
	v_sub_u32_e32 v32, v31, v32
	v_lshl_add_u32 v32, v27, 3, v32
	ds_read_b64 v[32:33], v32 offset:19328
	ds_read_b64 v[34:35], v31 offset:16680
	s_waitcnt lgkmcnt(0)
	v_fma_f64 v[11:12], v[32:33], v[34:35], v[11:12]
.LBB143_739:
	s_or_b64 exec, exec, s[14:15]
	s_movk_i32 s12, 0xa0
	v_cmp_gt_u32_e64 s[12:13], s12, v14
	s_and_saveexec_b64 s[14:15], s[12:13]
	s_cbranch_execz .LBB143_741
; %bb.740:
	v_lshlrev_b32_e32 v32, 3, v30
	v_sub_u32_e32 v32, v31, v32
	v_lshl_add_u32 v32, v27, 3, v32
	ds_read_b64 v[32:33], v32 offset:19840
	ds_read_b64 v[34:35], v31 offset:16688
	s_waitcnt lgkmcnt(0)
	v_fma_f64 v[11:12], v[32:33], v[34:35], v[11:12]
.LBB143_741:
	s_or_b64 exec, exec, s[14:15]
	s_movk_i32 s12, 0x90
	v_cmp_gt_u32_e64 s[12:13], s12, v14
	s_and_saveexec_b64 s[14:15], s[12:13]
	s_cbranch_execz .LBB143_743
; %bb.742:
	v_lshlrev_b32_e32 v30, 3, v30
	v_sub_u32_e32 v30, v31, v30
	v_lshl_add_u32 v30, v27, 3, v30
	ds_read_b64 v[32:33], v30 offset:20352
	ds_read_b64 v[34:35], v31 offset:16696
	s_waitcnt lgkmcnt(0)
	v_fma_f64 v[11:12], v[32:33], v[34:35], v[11:12]
.LBB143_743:
	s_or_b64 exec, exec, s[14:15]
	s_movk_i32 s12, 0x80
	v_cmp_gt_u32_e64 s[12:13], s12, v14
	s_and_saveexec_b64 s[14:15], s[12:13]
	s_cbranch_execz .LBB143_745
; %bb.744:
	ds_read_b64 v[32:33], v26 offset:20864
	ds_read_b64 v[34:35], v31 offset:16704
	s_waitcnt lgkmcnt(0)
	v_fma_f64 v[11:12], v[32:33], v[34:35], v[11:12]
.LBB143_745:
	s_or_b64 exec, exec, s[14:15]
	s_movk_i32 s12, 0x70
	v_cmp_gt_u32_e64 s[12:13], s12, v14
	s_and_saveexec_b64 s[14:15], s[12:13]
	s_cbranch_execz .LBB143_747
; %bb.746:
	v_lshlrev_b32_e32 v30, 3, v27
	v_lshl_add_u32 v30, v29, 3, v30
	ds_read_b64 v[32:33], v30 offset:21376
	ds_read_b64 v[34:35], v31 offset:16712
	s_waitcnt lgkmcnt(0)
	v_fma_f64 v[11:12], v[32:33], v[34:35], v[11:12]
.LBB143_747:
	s_or_b64 exec, exec, s[14:15]
	s_movk_i32 s12, 0x60
	v_cmp_gt_u32_e64 s[12:13], s12, v14
	s_and_saveexec_b64 s[14:15], s[12:13]
	s_cbranch_execz .LBB143_749
; %bb.748:
	v_lshlrev_b32_e32 v30, 3, v27
	v_lshl_add_u32 v30, v29, 3, v30
	ds_read_b64 v[32:33], v30 offset:21888
	ds_read_b64 v[34:35], v31 offset:16720
	s_waitcnt lgkmcnt(0)
	v_fma_f64 v[11:12], v[32:33], v[34:35], v[11:12]
.LBB143_749:
	s_or_b64 exec, exec, s[14:15]
	s_movk_i32 s12, 0x50
	v_cmp_gt_u32_e64 s[12:13], s12, v14
	s_and_saveexec_b64 s[14:15], s[12:13]
	s_cbranch_execnz .LBB143_1133
; %bb.750:
	s_or_b64 exec, exec, s[14:15]
	v_cmp_gt_u32_e64 s[12:13], 64, v14
	s_and_saveexec_b64 s[14:15], s[12:13]
	s_cbranch_execnz .LBB143_1134
.LBB143_751:
	s_or_b64 exec, exec, s[14:15]
	v_cmp_gt_u32_e64 s[12:13], 48, v14
	s_and_saveexec_b64 s[14:15], s[12:13]
	s_cbranch_execnz .LBB143_1135
.LBB143_752:
	s_or_b64 exec, exec, s[14:15]
	v_cmp_gt_u32_e64 s[12:13], 32, v14
	s_and_saveexec_b64 s[14:15], s[12:13]
	s_cbranch_execnz .LBB143_1136
.LBB143_753:
	s_or_b64 exec, exec, s[14:15]
	v_cmp_gt_u32_e64 s[12:13], 16, v14
	s_and_saveexec_b64 s[14:15], s[12:13]
	s_cbranch_execz .LBB143_755
.LBB143_754:
	v_lshlrev_b32_e32 v29, 3, v0
	v_mov_b32_e32 v31, 0
	ds_read_b64 v[29:30], v29 offset:24448
	ds_read_b64 v[31:32], v31 offset:16760
	s_waitcnt lgkmcnt(0)
	v_fma_f64 v[11:12], v[29:30], v[31:32], v[11:12]
.LBB143_755:
	s_or_b64 exec, exec, s[14:15]
	v_xor_b32_e32 v12, 0x80000000, v12
.LBB143_756:
	s_or_b64 exec, exec, s[0:1]
	s_mov_b64 s[0:1], exec
	v_readlane_b32 s12, v42, 5
	v_readlane_b32 s13, v42, 6
	s_and_b64 s[12:13], s[0:1], s[12:13]
	s_mov_b64 exec, s[12:13]
	s_cbranch_execz .LBB143_758
; %bb.757:
	v_mov_b32_e32 v29, 0
	ds_read_b64 v[29:30], v29 offset:24960
	s_waitcnt lgkmcnt(0)
	v_mul_f64 v[11:12], v[11:12], v[29:30]
	ds_write_b64 v28, v[11:12]
.LBB143_758:
	s_or_b64 exec, exec, s[0:1]
	s_waitcnt lgkmcnt(0)
	s_barrier
	s_mov_b64 s[0:1], exec
	v_readlane_b32 s12, v42, 7
	v_readlane_b32 s13, v42, 8
	s_and_b64 s[12:13], s[0:1], s[12:13]
	s_mov_b64 exec, s[12:13]
	s_cbranch_execz .LBB143_760
; %bb.759:
	v_lshlrev_b32_e32 v29, 3, v27
	ds_read_b64 v[29:30], v29 offset:24960
	ds_read_b64 v[31:32], v28
	s_waitcnt lgkmcnt(0)
	v_fma_f64 v[11:12], v[29:30], v[31:32], v[11:12]
.LBB143_760:
	s_or_b64 exec, exec, s[0:1]
	s_barrier
	s_mov_b64 s[0:1], exec
	v_readlane_b32 s12, v42, 9
	v_readlane_b32 s13, v42, 10
	s_and_b64 s[12:13], s[0:1], s[12:13]
	s_mov_b64 exec, s[12:13]
	s_cbranch_execz .LBB143_762
; %bb.761:
	v_mov_b32_e32 v29, 0
	ds_read_b64 v[29:30], v29 offset:25480
	s_waitcnt lgkmcnt(0)
	v_mul_f64 v[11:12], v[11:12], v[29:30]
	ds_write_b64 v28, v[11:12]
.LBB143_762:
	s_or_b64 exec, exec, s[0:1]
	s_waitcnt lgkmcnt(0)
	s_barrier
	s_mov_b64 s[0:1], exec
	v_readlane_b32 s12, v42, 11
	v_readlane_b32 s13, v42, 12
	s_and_b64 s[12:13], s[0:1], s[12:13]
	s_mov_b64 exec, s[12:13]
	s_cbranch_execz .LBB143_764
; %bb.763:
	v_lshlrev_b32_e32 v29, 3, v27
	ds_read_b64 v[29:30], v29 offset:25472
	ds_read_b64 v[31:32], v28
	s_waitcnt lgkmcnt(0)
	v_fma_f64 v[11:12], v[29:30], v[31:32], v[11:12]
.LBB143_764:
	s_or_b64 exec, exec, s[0:1]
	s_barrier
	;; [unrolled: 31-line block ×14, first 2 shown]
	s_mov_b64 s[0:1], exec
	v_readlane_b32 s12, v42, 61
	v_readlane_b32 s13, v42, 62
	s_and_b64 s[12:13], s[0:1], s[12:13]
	s_mov_b64 exec, s[12:13]
	s_cbranch_execz .LBB143_814
; %bb.813:
	v_mov_b32_e32 v27, 0
	ds_read_b64 v[29:30], v27 offset:32240
	s_waitcnt lgkmcnt(0)
	v_mul_f64 v[11:12], v[11:12], v[29:30]
	ds_write_b64 v28, v[11:12]
.LBB143_814:
	s_or_b64 exec, exec, s[0:1]
	s_waitcnt lgkmcnt(0)
	s_barrier
	s_and_saveexec_b64 s[0:1], s[92:93]
	s_cbranch_execz .LBB143_816
; %bb.815:
	v_mov_b32_e32 v27, 0
	ds_read_b64 v[29:30], v27 offset:32248
	ds_read_b64 v[31:32], v28
	s_waitcnt lgkmcnt(0)
	v_fma_f64 v[11:12], v[29:30], v[31:32], v[11:12]
.LBB143_816:
	s_or_b64 exec, exec, s[0:1]
	s_barrier
	s_and_saveexec_b64 s[0:1], s[92:93]
	s_cbranch_execz .LBB143_818
; %bb.817:
	v_mov_b32_e32 v27, 0
	ds_read_b64 v[29:30], v27 offset:32760
	s_waitcnt lgkmcnt(0)
	v_mul_f64 v[11:12], v[11:12], v[29:30]
	ds_write_b64 v28, v[11:12]
.LBB143_818:
	s_or_b64 exec, exec, s[0:1]
	s_waitcnt lgkmcnt(0)
	s_barrier
	s_barrier
	s_and_saveexec_b64 s[0:1], s[10:11]
; %bb.819:
	v_xor_b32_e32 v12, 0x80000000, v12
	ds_write_b64 v26, v[11:12] offset:16768
; %bb.820:
	s_or_b64 exec, exec, s[0:1]
	s_waitcnt lgkmcnt(0)
	s_barrier
	s_barrier
	s_mov_b64 s[0:1], exec
	v_readlane_b32 s10, v42, 63
	v_readlane_b32 s11, v41, 0
	s_and_b64 s[10:11], s[0:1], s[10:11]
	s_mov_b64 exec, s[10:11]
	s_cbranch_execz .LBB143_822
; %bb.821:
	v_lshlrev_b32_e32 v26, 9, v0
	ds_read_b64 v[11:12], v26 offset:16768
	s_movk_i32 s10, 0xfe08
	v_mad_i32_i24 v27, v0, s10, v26
	s_waitcnt lgkmcnt(0)
	ds_write_b64 v27, v[11:12] offset:24832
	ds_read_b64 v[11:12], v26 offset:16776
	s_waitcnt lgkmcnt(0)
	ds_write_b64 v27, v[11:12] offset:25344
	ds_read_b64 v[11:12], v26 offset:16784
	;; [unrolled: 3-line block ×15, first 2 shown]
	s_waitcnt lgkmcnt(0)
	ds_write_b64 v27, v[11:12] offset:32512
.LBB143_822:
	s_or_b64 exec, exec, s[0:1]
	s_waitcnt lgkmcnt(0)
	s_barrier
	s_and_saveexec_b64 s[0:1], vcc
	s_cbranch_execz .LBB143_824
; %bb.823:
	v_mov_b32_e32 v11, 0
	ds_read_b128 v[26:29], v11 offset:24960
	ds_read_b64 v[11:12], v11 offset:25480
	s_movk_i32 s10, 0x6000
	s_waitcnt lgkmcnt(0)
	v_mul_f64 v[11:12], v[26:27], v[11:12]
	v_add_u32_e64 v26, s10, 0
	v_mul_f64 v[11:12], v[28:29], v[11:12]
	ds_write2_b64 v26, v[11:12], v[11:12] offset0:49 offset1:112
.LBB143_824:
	s_or_b64 exec, exec, s[0:1]
	v_mov_b32_e32 v11, 0
	v_mov_b32_e32 v12, 0
	s_waitcnt lgkmcnt(0)
	s_barrier
	s_and_saveexec_b64 s[0:1], s[2:3]
	s_cbranch_execz .LBB143_828
; %bb.825:
	v_mul_u32_u24_e32 v26, 0x208, v15
	ds_read_b64 v[11:12], v1 offset:24976
	ds_read_b64 v[26:27], v26 offset:24960
	v_cmp_gt_u32_e64 s[10:11], 2, v14
	s_waitcnt lgkmcnt(0)
	v_fma_f64 v[11:12], v[11:12], v[26:27], 0
	s_and_saveexec_b64 s[12:13], s[10:11]
	s_cbranch_execz .LBB143_827
; %bb.826:
	v_lshlrev_b32_e32 v26, 3, v0
	v_mov_b32_e32 v28, 0
	ds_read_b64 v[26:27], v26 offset:25488
	ds_read_b64 v[28:29], v28 offset:24968
	s_waitcnt lgkmcnt(0)
	v_fma_f64 v[11:12], v[26:27], v[28:29], v[11:12]
.LBB143_827:
	s_or_b64 exec, exec, s[12:13]
	v_xor_b32_e32 v12, 0x80000000, v12
.LBB143_828:
	s_or_b64 exec, exec, s[0:1]
	s_and_saveexec_b64 s[0:1], s[42:43]
	s_cbranch_execz .LBB143_830
; %bb.829:
	v_mov_b32_e32 v26, 0
	ds_read_b64 v[26:27], v26 offset:26000
	s_waitcnt lgkmcnt(0)
	v_mul_f64 v[11:12], v[11:12], v[26:27]
	ds_write_b64 v13, v[11:12]
.LBB143_830:
	s_or_b64 exec, exec, s[0:1]
	s_waitcnt lgkmcnt(0)
	s_barrier
	s_and_saveexec_b64 s[0:1], s[40:41]
	s_cbranch_execz .LBB143_832
; %bb.831:
	v_mov_b32_e32 v26, 0
	ds_read_b64 v[26:27], v26 offset:26008
	ds_read_b64 v[28:29], v13
	s_waitcnt lgkmcnt(0)
	v_fma_f64 v[11:12], v[26:27], v[28:29], v[11:12]
.LBB143_832:
	s_or_b64 exec, exec, s[0:1]
	s_barrier
	s_and_saveexec_b64 s[0:1], s[40:41]
	s_cbranch_execz .LBB143_834
; %bb.833:
	v_mov_b32_e32 v26, 0
	ds_read_b64 v[26:27], v26 offset:26520
	s_waitcnt lgkmcnt(0)
	v_mul_f64 v[11:12], v[11:12], v[26:27]
	ds_write_b64 v13, v[11:12]
.LBB143_834:
	s_or_b64 exec, exec, s[0:1]
	s_waitcnt lgkmcnt(0)
	s_barrier
	s_barrier
	s_and_saveexec_b64 s[0:1], s[2:3]
; %bb.835:
	v_xor_b32_e32 v12, 0x80000000, v12
	ds_write_b64 v1, v[11:12] offset:24976
; %bb.836:
	s_or_b64 exec, exec, s[0:1]
	s_waitcnt lgkmcnt(0)
	s_barrier
	s_barrier
	s_and_saveexec_b64 s[0:1], s[44:45]
	s_cbranch_execz .LBB143_838
; %bb.837:
	v_lshlrev_b32_e32 v26, 3, v0
	s_movk_i32 s10, 0x1f8
	v_mad_u32_u24 v27, v0, s10, v26
	ds_read_b64 v[11:12], v27 offset:24976
	s_waitcnt lgkmcnt(0)
	ds_write_b64 v26, v[11:12] offset:25984
	ds_read_b64 v[11:12], v27 offset:24984
	s_waitcnt lgkmcnt(0)
	ds_write_b64 v26, v[11:12] offset:26496
.LBB143_838:
	s_or_b64 exec, exec, s[0:1]
	s_waitcnt lgkmcnt(0)
	s_barrier
	s_and_saveexec_b64 s[0:1], vcc
	s_cbranch_execz .LBB143_840
; %bb.839:
	v_mov_b32_e32 v11, 0
	ds_read_b128 v[26:29], v11 offset:26000
	ds_read_b64 v[11:12], v11 offset:26520
	s_movk_i32 s10, 0x6000
	s_waitcnt lgkmcnt(0)
	v_mul_f64 v[11:12], v[26:27], v[11:12]
	v_add_u32_e64 v26, s10, 0
	v_mul_f64 v[11:12], v[28:29], v[11:12]
	ds_write2_b64 v26, v[11:12], v[11:12] offset0:179 offset1:242
.LBB143_840:
	s_or_b64 exec, exec, s[0:1]
	v_mov_b32_e32 v11, 0
	v_mov_b32_e32 v12, 0
	s_waitcnt lgkmcnt(0)
	s_barrier
	s_and_saveexec_b64 s[0:1], s[18:19]
	s_cbranch_execz .LBB143_846
; %bb.841:
	v_mul_u32_u24_e32 v26, 0x208, v20
	ds_read_b64 v[11:12], v16 offset:24992
	ds_read_b64 v[27:28], v26 offset:24960
	v_cmp_gt_u32_e64 s[10:11], 12, v14
	s_waitcnt lgkmcnt(0)
	v_fma_f64 v[11:12], v[11:12], v[27:28], 0
	s_and_saveexec_b64 s[12:13], s[10:11]
	s_cbranch_execnz .LBB143_1137
; %bb.842:
	s_or_b64 exec, exec, s[12:13]
	v_cmp_gt_u32_e64 s[10:11], 8, v14
	s_and_saveexec_b64 s[12:13], s[10:11]
	s_cbranch_execnz .LBB143_1138
.LBB143_843:
	s_or_b64 exec, exec, s[12:13]
	v_cmp_gt_u32_e64 s[10:11], 4, v14
	s_and_saveexec_b64 s[12:13], s[10:11]
	s_cbranch_execz .LBB143_845
.LBB143_844:
	v_lshlrev_b32_e32 v26, 3, v0
	v_mov_b32_e32 v28, 0
	ds_read_b64 v[26:27], v26 offset:26528
	ds_read_b64 v[28:29], v28 offset:24984
	s_waitcnt lgkmcnt(0)
	v_fma_f64 v[11:12], v[26:27], v[28:29], v[11:12]
.LBB143_845:
	s_or_b64 exec, exec, s[12:13]
	v_xor_b32_e32 v12, 0x80000000, v12
.LBB143_846:
	s_or_b64 exec, exec, s[0:1]
	s_and_saveexec_b64 s[0:1], s[48:49]
	s_cbranch_execz .LBB143_848
; %bb.847:
	v_mov_b32_e32 v26, 0
	ds_read_b64 v[26:27], v26 offset:27040
	s_waitcnt lgkmcnt(0)
	v_mul_f64 v[11:12], v[11:12], v[26:27]
	ds_write_b64 v18, v[11:12]
.LBB143_848:
	s_or_b64 exec, exec, s[0:1]
	s_waitcnt lgkmcnt(0)
	s_barrier
	s_and_saveexec_b64 s[0:1], s[50:51]
	s_cbranch_execz .LBB143_850
; %bb.849:
	ds_read_b64 v[26:27], v17 offset:27040
	ds_read_b64 v[28:29], v18
	s_waitcnt lgkmcnt(0)
	v_fma_f64 v[11:12], v[26:27], v[28:29], v[11:12]
.LBB143_850:
	s_or_b64 exec, exec, s[0:1]
	s_barrier
	s_and_saveexec_b64 s[0:1], s[52:53]
	s_cbranch_execz .LBB143_852
; %bb.851:
	v_mov_b32_e32 v26, 0
	ds_read_b64 v[26:27], v26 offset:27560
	s_waitcnt lgkmcnt(0)
	v_mul_f64 v[11:12], v[11:12], v[26:27]
	ds_write_b64 v18, v[11:12]
.LBB143_852:
	s_or_b64 exec, exec, s[0:1]
	s_waitcnt lgkmcnt(0)
	s_barrier
	s_and_saveexec_b64 s[0:1], s[54:55]
	s_cbranch_execz .LBB143_854
; %bb.853:
	ds_read_b64 v[26:27], v17 offset:27552
	ds_read_b64 v[28:29], v18
	s_waitcnt lgkmcnt(0)
	v_fma_f64 v[11:12], v[26:27], v[28:29], v[11:12]
.LBB143_854:
	s_or_b64 exec, exec, s[0:1]
	s_barrier
	s_and_saveexec_b64 s[0:1], s[56:57]
	s_cbranch_execz .LBB143_856
; %bb.855:
	v_mov_b32_e32 v26, 0
	ds_read_b64 v[26:27], v26 offset:28080
	s_waitcnt lgkmcnt(0)
	v_mul_f64 v[11:12], v[11:12], v[26:27]
	ds_write_b64 v18, v[11:12]
.LBB143_856:
	s_or_b64 exec, exec, s[0:1]
	s_waitcnt lgkmcnt(0)
	s_barrier
	s_and_saveexec_b64 s[0:1], s[46:47]
	s_cbranch_execz .LBB143_858
; %bb.857:
	v_mov_b32_e32 v26, 0
	ds_read_b64 v[26:27], v26 offset:28088
	ds_read_b64 v[28:29], v18
	s_waitcnt lgkmcnt(0)
	v_fma_f64 v[11:12], v[26:27], v[28:29], v[11:12]
.LBB143_858:
	s_or_b64 exec, exec, s[0:1]
	s_barrier
	s_and_saveexec_b64 s[0:1], s[46:47]
	s_cbranch_execz .LBB143_860
; %bb.859:
	v_mov_b32_e32 v26, 0
	ds_read_b64 v[26:27], v26 offset:28600
	s_waitcnt lgkmcnt(0)
	v_mul_f64 v[11:12], v[11:12], v[26:27]
	ds_write_b64 v18, v[11:12]
.LBB143_860:
	s_or_b64 exec, exec, s[0:1]
	s_waitcnt lgkmcnt(0)
	s_barrier
	s_barrier
	s_and_saveexec_b64 s[0:1], s[18:19]
; %bb.861:
	v_xor_b32_e32 v12, 0x80000000, v12
	ds_write_b64 v16, v[11:12] offset:24992
; %bb.862:
	s_or_b64 exec, exec, s[0:1]
	s_waitcnt lgkmcnt(0)
	s_barrier
	s_barrier
	s_and_saveexec_b64 s[0:1], s[58:59]
	s_cbranch_execz .LBB143_864
; %bb.863:
	v_lshlrev_b32_e32 v26, 9, v0
	ds_read_b64 v[11:12], v26 offset:24992
	s_movk_i32 s10, 0xfe08
	v_mad_i32_i24 v27, v0, s10, v26
	s_waitcnt lgkmcnt(0)
	ds_write_b64 v27, v[11:12] offset:27008
	ds_read_b64 v[11:12], v26 offset:25000
	s_waitcnt lgkmcnt(0)
	ds_write_b64 v27, v[11:12] offset:27520
	ds_read_b64 v[11:12], v26 offset:25008
	;; [unrolled: 3-line block ×3, first 2 shown]
	s_waitcnt lgkmcnt(0)
	ds_write_b64 v27, v[11:12] offset:28544
.LBB143_864:
	s_or_b64 exec, exec, s[0:1]
	s_waitcnt lgkmcnt(0)
	s_barrier
	s_and_saveexec_b64 s[0:1], vcc
	s_cbranch_execz .LBB143_866
; %bb.865:
	v_mov_b32_e32 v11, 0
	ds_read_b128 v[26:29], v11 offset:27040
	ds_read_b64 v[11:12], v11 offset:27560
	s_movk_i32 s10, 0x6800
	s_waitcnt lgkmcnt(0)
	v_mul_f64 v[11:12], v[26:27], v[11:12]
	v_add_u32_e64 v26, s10, 0
	v_mul_f64 v[11:12], v[28:29], v[11:12]
	ds_write2_b64 v26, v[11:12], v[11:12] offset0:53 offset1:116
.LBB143_866:
	s_or_b64 exec, exec, s[0:1]
	v_mov_b32_e32 v11, 0
	v_mov_b32_e32 v12, 0
	s_waitcnt lgkmcnt(0)
	s_barrier
	s_and_saveexec_b64 s[0:1], s[2:3]
	s_cbranch_execz .LBB143_870
; %bb.867:
	v_mul_u32_u24_e32 v26, 0x208, v15
	ds_read_b64 v[11:12], v1 offset:27056
	ds_read_b64 v[26:27], v26 offset:27040
	v_cmp_gt_u32_e64 s[10:11], 2, v14
	s_waitcnt lgkmcnt(0)
	v_fma_f64 v[11:12], v[11:12], v[26:27], 0
	s_and_saveexec_b64 s[12:13], s[10:11]
	s_cbranch_execz .LBB143_869
; %bb.868:
	v_lshlrev_b32_e32 v26, 3, v0
	v_mov_b32_e32 v28, 0
	ds_read_b64 v[26:27], v26 offset:27568
	ds_read_b64 v[28:29], v28 offset:27048
	s_waitcnt lgkmcnt(0)
	v_fma_f64 v[11:12], v[26:27], v[28:29], v[11:12]
.LBB143_869:
	s_or_b64 exec, exec, s[12:13]
	v_xor_b32_e32 v12, 0x80000000, v12
.LBB143_870:
	s_or_b64 exec, exec, s[0:1]
	s_and_saveexec_b64 s[0:1], s[42:43]
	s_cbranch_execz .LBB143_872
; %bb.871:
	v_mov_b32_e32 v26, 0
	ds_read_b64 v[26:27], v26 offset:28080
	s_waitcnt lgkmcnt(0)
	v_mul_f64 v[11:12], v[11:12], v[26:27]
	ds_write_b64 v13, v[11:12]
.LBB143_872:
	s_or_b64 exec, exec, s[0:1]
	s_waitcnt lgkmcnt(0)
	s_barrier
	s_and_saveexec_b64 s[0:1], s[40:41]
	s_cbranch_execz .LBB143_874
; %bb.873:
	v_mov_b32_e32 v26, 0
	ds_read_b64 v[26:27], v26 offset:28088
	ds_read_b64 v[28:29], v13
	s_waitcnt lgkmcnt(0)
	v_fma_f64 v[11:12], v[26:27], v[28:29], v[11:12]
.LBB143_874:
	s_or_b64 exec, exec, s[0:1]
	s_barrier
	s_and_saveexec_b64 s[0:1], s[40:41]
	s_cbranch_execz .LBB143_876
; %bb.875:
	v_mov_b32_e32 v26, 0
	ds_read_b64 v[26:27], v26 offset:28600
	s_waitcnt lgkmcnt(0)
	v_mul_f64 v[11:12], v[11:12], v[26:27]
	ds_write_b64 v13, v[11:12]
.LBB143_876:
	s_or_b64 exec, exec, s[0:1]
	s_waitcnt lgkmcnt(0)
	s_barrier
	s_barrier
	s_and_saveexec_b64 s[0:1], s[2:3]
; %bb.877:
	v_xor_b32_e32 v12, 0x80000000, v12
	ds_write_b64 v1, v[11:12] offset:27056
; %bb.878:
	s_or_b64 exec, exec, s[0:1]
	s_waitcnt lgkmcnt(0)
	s_barrier
	s_barrier
	s_and_saveexec_b64 s[0:1], s[44:45]
	s_cbranch_execz .LBB143_880
; %bb.879:
	v_lshlrev_b32_e32 v26, 3, v0
	s_movk_i32 s10, 0x1f8
	v_mad_u32_u24 v27, v0, s10, v26
	ds_read_b64 v[11:12], v27 offset:27056
	s_waitcnt lgkmcnt(0)
	ds_write_b64 v26, v[11:12] offset:28064
	ds_read_b64 v[11:12], v27 offset:27064
	s_waitcnt lgkmcnt(0)
	ds_write_b64 v26, v[11:12] offset:28576
.LBB143_880:
	s_or_b64 exec, exec, s[0:1]
	s_waitcnt lgkmcnt(0)
	s_barrier
	s_and_saveexec_b64 s[0:1], vcc
	s_cbranch_execz .LBB143_882
; %bb.881:
	v_mov_b32_e32 v11, 0
	ds_read_b128 v[26:29], v11 offset:28080
	ds_read_b64 v[11:12], v11 offset:28600
	s_movk_i32 s10, 0x6800
	s_waitcnt lgkmcnt(0)
	v_mul_f64 v[11:12], v[26:27], v[11:12]
	v_add_u32_e64 v26, s10, 0
	v_mul_f64 v[11:12], v[28:29], v[11:12]
	ds_write2_b64 v26, v[11:12], v[11:12] offset0:183 offset1:246
.LBB143_882:
	s_or_b64 exec, exec, s[0:1]
	v_mov_b32_e32 v11, 0
	v_mov_b32_e32 v12, 0
	s_waitcnt lgkmcnt(0)
	s_barrier
	s_and_saveexec_b64 s[0:1], s[8:9]
	s_cbranch_execz .LBB143_892
; %bb.883:
	v_mul_u32_u24_e32 v26, 0x208, v25
	ds_read_b64 v[11:12], v21 offset:25024
	ds_read_b64 v[27:28], v26 offset:24960
	v_cmp_gt_u32_e64 s[10:11], 56, v14
	s_waitcnt lgkmcnt(0)
	v_fma_f64 v[11:12], v[11:12], v[27:28], 0
	s_and_saveexec_b64 s[12:13], s[10:11]
	s_cbranch_execnz .LBB143_1139
; %bb.884:
	s_or_b64 exec, exec, s[12:13]
	v_cmp_gt_u32_e64 s[10:11], 48, v14
	s_and_saveexec_b64 s[12:13], s[10:11]
	s_cbranch_execnz .LBB143_1140
.LBB143_885:
	s_or_b64 exec, exec, s[12:13]
	v_cmp_gt_u32_e64 s[10:11], 40, v14
	s_and_saveexec_b64 s[12:13], s[10:11]
	s_cbranch_execnz .LBB143_1141
.LBB143_886:
	s_or_b64 exec, exec, s[12:13]
	v_cmp_gt_u32_e64 s[10:11], 32, v14
	s_and_saveexec_b64 s[12:13], s[10:11]
	s_cbranch_execnz .LBB143_1142
.LBB143_887:
	s_or_b64 exec, exec, s[12:13]
	v_cmp_gt_u32_e64 s[10:11], 24, v14
	s_and_saveexec_b64 s[12:13], s[10:11]
	s_cbranch_execnz .LBB143_1143
.LBB143_888:
	s_or_b64 exec, exec, s[12:13]
	v_cmp_gt_u32_e64 s[10:11], 16, v14
	s_and_saveexec_b64 s[12:13], s[10:11]
	s_cbranch_execnz .LBB143_1144
.LBB143_889:
	s_or_b64 exec, exec, s[12:13]
	v_cmp_gt_u32_e64 s[10:11], 8, v14
	s_and_saveexec_b64 s[12:13], s[10:11]
	s_cbranch_execz .LBB143_891
.LBB143_890:
	v_lshlrev_b32_e32 v24, 3, v0
	v_mov_b32_e32 v26, 0
	ds_read_b64 v[24:25], v24 offset:28608
	ds_read_b64 v[26:27], v26 offset:25016
	s_waitcnt lgkmcnt(0)
	v_fma_f64 v[11:12], v[24:25], v[26:27], v[11:12]
.LBB143_891:
	s_or_b64 exec, exec, s[12:13]
	v_xor_b32_e32 v12, 0x80000000, v12
.LBB143_892:
	s_or_b64 exec, exec, s[0:1]
	s_and_saveexec_b64 s[0:1], s[60:61]
	s_cbranch_execz .LBB143_894
; %bb.893:
	v_mov_b32_e32 v24, 0
	ds_read_b64 v[24:25], v24 offset:29120
	s_waitcnt lgkmcnt(0)
	v_mul_f64 v[11:12], v[11:12], v[24:25]
	ds_write_b64 v23, v[11:12]
.LBB143_894:
	s_or_b64 exec, exec, s[0:1]
	s_waitcnt lgkmcnt(0)
	s_barrier
	s_and_saveexec_b64 s[0:1], s[62:63]
	s_cbranch_execz .LBB143_896
; %bb.895:
	ds_read_b64 v[24:25], v22 offset:29120
	ds_read_b64 v[26:27], v23
	s_waitcnt lgkmcnt(0)
	v_fma_f64 v[11:12], v[24:25], v[26:27], v[11:12]
.LBB143_896:
	s_or_b64 exec, exec, s[0:1]
	s_barrier
	s_and_saveexec_b64 s[0:1], s[64:65]
	s_cbranch_execz .LBB143_898
; %bb.897:
	v_mov_b32_e32 v24, 0
	ds_read_b64 v[24:25], v24 offset:29640
	s_waitcnt lgkmcnt(0)
	v_mul_f64 v[11:12], v[11:12], v[24:25]
	ds_write_b64 v23, v[11:12]
.LBB143_898:
	s_or_b64 exec, exec, s[0:1]
	s_waitcnt lgkmcnt(0)
	s_barrier
	s_and_saveexec_b64 s[0:1], s[66:67]
	s_cbranch_execz .LBB143_900
; %bb.899:
	ds_read_b64 v[24:25], v22 offset:29632
	ds_read_b64 v[26:27], v23
	s_waitcnt lgkmcnt(0)
	v_fma_f64 v[11:12], v[24:25], v[26:27], v[11:12]
.LBB143_900:
	s_or_b64 exec, exec, s[0:1]
	s_barrier
	;; [unrolled: 22-line block ×6, first 2 shown]
	s_and_saveexec_b64 s[0:1], s[86:87]
	s_cbranch_execz .LBB143_918
; %bb.917:
	v_mov_b32_e32 v22, 0
	ds_read_b64 v[24:25], v22 offset:32240
	s_waitcnt lgkmcnt(0)
	v_mul_f64 v[11:12], v[11:12], v[24:25]
	ds_write_b64 v23, v[11:12]
.LBB143_918:
	s_or_b64 exec, exec, s[0:1]
	s_waitcnt lgkmcnt(0)
	s_barrier
	s_and_saveexec_b64 s[0:1], s[70:71]
	s_cbranch_execz .LBB143_920
; %bb.919:
	v_mov_b32_e32 v22, 0
	ds_read_b64 v[24:25], v22 offset:32248
	ds_read_b64 v[26:27], v23
	s_waitcnt lgkmcnt(0)
	v_fma_f64 v[11:12], v[24:25], v[26:27], v[11:12]
.LBB143_920:
	s_or_b64 exec, exec, s[0:1]
	s_barrier
	s_and_saveexec_b64 s[0:1], s[70:71]
	s_cbranch_execz .LBB143_922
; %bb.921:
	v_mov_b32_e32 v22, 0
	ds_read_b64 v[24:25], v22 offset:32760
	s_waitcnt lgkmcnt(0)
	v_mul_f64 v[11:12], v[11:12], v[24:25]
	ds_write_b64 v23, v[11:12]
.LBB143_922:
	s_or_b64 exec, exec, s[0:1]
	s_waitcnt lgkmcnt(0)
	s_barrier
	s_barrier
	s_and_saveexec_b64 s[0:1], s[8:9]
; %bb.923:
	v_xor_b32_e32 v12, 0x80000000, v12
	ds_write_b64 v21, v[11:12] offset:25024
; %bb.924:
	s_or_b64 exec, exec, s[0:1]
	s_waitcnt lgkmcnt(0)
	s_barrier
	s_barrier
	s_and_saveexec_b64 s[0:1], s[88:89]
	s_cbranch_execz .LBB143_926
; %bb.925:
	v_lshlrev_b32_e32 v21, 9, v0
	ds_read_b64 v[11:12], v21 offset:25024
	s_movk_i32 s8, 0xfe08
	v_mad_i32_i24 v22, v0, s8, v21
	s_waitcnt lgkmcnt(0)
	ds_write_b64 v22, v[11:12] offset:29056
	ds_read_b64 v[11:12], v21 offset:25032
	s_waitcnt lgkmcnt(0)
	ds_write_b64 v22, v[11:12] offset:29568
	ds_read_b64 v[11:12], v21 offset:25040
	;; [unrolled: 3-line block ×7, first 2 shown]
	s_waitcnt lgkmcnt(0)
	ds_write_b64 v22, v[11:12] offset:32640
.LBB143_926:
	s_or_b64 exec, exec, s[0:1]
	s_waitcnt lgkmcnt(0)
	s_barrier
	s_and_saveexec_b64 s[0:1], vcc
	s_cbranch_execz .LBB143_928
; %bb.927:
	v_mov_b32_e32 v11, 0
	ds_read_b128 v[21:24], v11 offset:29120
	ds_read_b64 v[11:12], v11 offset:29640
	s_movk_i32 s8, 0x7000
	s_waitcnt lgkmcnt(0)
	v_mul_f64 v[11:12], v[21:22], v[11:12]
	v_add_u32_e64 v21, s8, 0
	v_mul_f64 v[11:12], v[23:24], v[11:12]
	ds_write2_b64 v21, v[11:12], v[11:12] offset0:57 offset1:120
.LBB143_928:
	s_or_b64 exec, exec, s[0:1]
	v_mov_b32_e32 v11, 0
	v_mov_b32_e32 v12, 0
	s_waitcnt lgkmcnt(0)
	s_barrier
	s_and_saveexec_b64 s[0:1], s[2:3]
	s_cbranch_execz .LBB143_932
; %bb.929:
	v_mul_u32_u24_e32 v21, 0x208, v15
	ds_read_b64 v[11:12], v1 offset:29136
	ds_read_b64 v[21:22], v21 offset:29120
	v_cmp_gt_u32_e64 s[8:9], 2, v14
	s_waitcnt lgkmcnt(0)
	v_fma_f64 v[11:12], v[11:12], v[21:22], 0
	s_and_saveexec_b64 s[10:11], s[8:9]
	s_cbranch_execz .LBB143_931
; %bb.930:
	v_lshlrev_b32_e32 v21, 3, v0
	v_mov_b32_e32 v23, 0
	ds_read_b64 v[21:22], v21 offset:29648
	ds_read_b64 v[23:24], v23 offset:29128
	s_waitcnt lgkmcnt(0)
	v_fma_f64 v[11:12], v[21:22], v[23:24], v[11:12]
.LBB143_931:
	s_or_b64 exec, exec, s[10:11]
	v_xor_b32_e32 v12, 0x80000000, v12
.LBB143_932:
	s_or_b64 exec, exec, s[0:1]
	s_and_saveexec_b64 s[0:1], s[42:43]
	s_cbranch_execz .LBB143_934
; %bb.933:
	v_mov_b32_e32 v21, 0
	ds_read_b64 v[21:22], v21 offset:30160
	s_waitcnt lgkmcnt(0)
	v_mul_f64 v[11:12], v[11:12], v[21:22]
	ds_write_b64 v13, v[11:12]
.LBB143_934:
	s_or_b64 exec, exec, s[0:1]
	s_waitcnt lgkmcnt(0)
	s_barrier
	s_and_saveexec_b64 s[0:1], s[40:41]
	s_cbranch_execz .LBB143_936
; %bb.935:
	v_mov_b32_e32 v21, 0
	ds_read_b64 v[21:22], v21 offset:30168
	ds_read_b64 v[23:24], v13
	s_waitcnt lgkmcnt(0)
	v_fma_f64 v[11:12], v[21:22], v[23:24], v[11:12]
.LBB143_936:
	s_or_b64 exec, exec, s[0:1]
	s_barrier
	s_and_saveexec_b64 s[0:1], s[40:41]
	s_cbranch_execz .LBB143_938
; %bb.937:
	v_mov_b32_e32 v21, 0
	ds_read_b64 v[21:22], v21 offset:30680
	s_waitcnt lgkmcnt(0)
	v_mul_f64 v[11:12], v[11:12], v[21:22]
	ds_write_b64 v13, v[11:12]
.LBB143_938:
	s_or_b64 exec, exec, s[0:1]
	s_waitcnt lgkmcnt(0)
	s_barrier
	s_barrier
	s_and_saveexec_b64 s[0:1], s[2:3]
; %bb.939:
	v_xor_b32_e32 v12, 0x80000000, v12
	ds_write_b64 v1, v[11:12] offset:29136
; %bb.940:
	s_or_b64 exec, exec, s[0:1]
	s_waitcnt lgkmcnt(0)
	s_barrier
	s_barrier
	s_and_saveexec_b64 s[0:1], s[44:45]
	s_cbranch_execz .LBB143_942
; %bb.941:
	v_lshlrev_b32_e32 v21, 3, v0
	s_movk_i32 s8, 0x1f8
	v_mad_u32_u24 v22, v0, s8, v21
	ds_read_b64 v[11:12], v22 offset:29136
	s_waitcnt lgkmcnt(0)
	ds_write_b64 v21, v[11:12] offset:30144
	ds_read_b64 v[11:12], v22 offset:29144
	s_waitcnt lgkmcnt(0)
	ds_write_b64 v21, v[11:12] offset:30656
.LBB143_942:
	s_or_b64 exec, exec, s[0:1]
	s_waitcnt lgkmcnt(0)
	s_barrier
	s_and_saveexec_b64 s[0:1], vcc
	s_cbranch_execz .LBB143_944
; %bb.943:
	v_mov_b32_e32 v11, 0
	ds_read_b128 v[21:24], v11 offset:30160
	ds_read_b64 v[11:12], v11 offset:30680
	s_movk_i32 s8, 0x7000
	s_waitcnt lgkmcnt(0)
	v_mul_f64 v[11:12], v[21:22], v[11:12]
	v_add_u32_e64 v21, s8, 0
	v_mul_f64 v[11:12], v[23:24], v[11:12]
	ds_write2_b64 v21, v[11:12], v[11:12] offset0:187 offset1:250
.LBB143_944:
	s_or_b64 exec, exec, s[0:1]
	v_mov_b32_e32 v11, 0
	v_mov_b32_e32 v12, 0
	s_waitcnt lgkmcnt(0)
	s_barrier
	s_and_saveexec_b64 s[0:1], s[18:19]
	s_cbranch_execz .LBB143_950
; %bb.945:
	v_mul_u32_u24_e32 v21, 0x208, v20
	ds_read_b64 v[11:12], v16 offset:29152
	ds_read_b64 v[22:23], v21 offset:29120
	v_cmp_gt_u32_e64 s[8:9], 12, v14
	s_waitcnt lgkmcnt(0)
	v_fma_f64 v[11:12], v[11:12], v[22:23], 0
	s_and_saveexec_b64 s[10:11], s[8:9]
	s_cbranch_execnz .LBB143_1145
; %bb.946:
	s_or_b64 exec, exec, s[10:11]
	v_cmp_gt_u32_e64 s[8:9], 8, v14
	s_and_saveexec_b64 s[10:11], s[8:9]
	s_cbranch_execnz .LBB143_1146
.LBB143_947:
	s_or_b64 exec, exec, s[10:11]
	v_cmp_gt_u32_e64 s[8:9], 4, v14
	s_and_saveexec_b64 s[10:11], s[8:9]
	s_cbranch_execz .LBB143_949
.LBB143_948:
	v_lshlrev_b32_e32 v19, 3, v0
	v_mov_b32_e32 v21, 0
	ds_read_b64 v[19:20], v19 offset:30688
	ds_read_b64 v[21:22], v21 offset:29144
	s_waitcnt lgkmcnt(0)
	v_fma_f64 v[11:12], v[19:20], v[21:22], v[11:12]
.LBB143_949:
	s_or_b64 exec, exec, s[10:11]
	v_xor_b32_e32 v12, 0x80000000, v12
.LBB143_950:
	s_or_b64 exec, exec, s[0:1]
	s_and_saveexec_b64 s[0:1], s[48:49]
	s_cbranch_execz .LBB143_952
; %bb.951:
	v_mov_b32_e32 v19, 0
	ds_read_b64 v[19:20], v19 offset:31200
	s_waitcnt lgkmcnt(0)
	v_mul_f64 v[11:12], v[11:12], v[19:20]
	ds_write_b64 v18, v[11:12]
.LBB143_952:
	s_or_b64 exec, exec, s[0:1]
	s_waitcnt lgkmcnt(0)
	s_barrier
	s_and_saveexec_b64 s[0:1], s[50:51]
	s_cbranch_execz .LBB143_954
; %bb.953:
	ds_read_b64 v[19:20], v17 offset:31200
	ds_read_b64 v[21:22], v18
	s_waitcnt lgkmcnt(0)
	v_fma_f64 v[11:12], v[19:20], v[21:22], v[11:12]
.LBB143_954:
	s_or_b64 exec, exec, s[0:1]
	s_barrier
	s_and_saveexec_b64 s[0:1], s[52:53]
	s_cbranch_execz .LBB143_956
; %bb.955:
	v_mov_b32_e32 v19, 0
	ds_read_b64 v[19:20], v19 offset:31720
	s_waitcnt lgkmcnt(0)
	v_mul_f64 v[11:12], v[11:12], v[19:20]
	ds_write_b64 v18, v[11:12]
.LBB143_956:
	s_or_b64 exec, exec, s[0:1]
	s_waitcnt lgkmcnt(0)
	s_barrier
	s_and_saveexec_b64 s[0:1], s[54:55]
	s_cbranch_execz .LBB143_958
; %bb.957:
	ds_read_b64 v[19:20], v17 offset:31712
	ds_read_b64 v[21:22], v18
	s_waitcnt lgkmcnt(0)
	v_fma_f64 v[11:12], v[19:20], v[21:22], v[11:12]
.LBB143_958:
	s_or_b64 exec, exec, s[0:1]
	s_barrier
	s_and_saveexec_b64 s[0:1], s[56:57]
	s_cbranch_execz .LBB143_960
; %bb.959:
	v_mov_b32_e32 v17, 0
	ds_read_b64 v[19:20], v17 offset:32240
	s_waitcnt lgkmcnt(0)
	v_mul_f64 v[11:12], v[11:12], v[19:20]
	ds_write_b64 v18, v[11:12]
.LBB143_960:
	s_or_b64 exec, exec, s[0:1]
	s_waitcnt lgkmcnt(0)
	s_barrier
	s_and_saveexec_b64 s[0:1], s[46:47]
	s_cbranch_execz .LBB143_962
; %bb.961:
	v_mov_b32_e32 v17, 0
	ds_read_b64 v[19:20], v17 offset:32248
	ds_read_b64 v[21:22], v18
	s_waitcnt lgkmcnt(0)
	v_fma_f64 v[11:12], v[19:20], v[21:22], v[11:12]
.LBB143_962:
	s_or_b64 exec, exec, s[0:1]
	s_barrier
	s_and_saveexec_b64 s[0:1], s[46:47]
	s_cbranch_execz .LBB143_964
; %bb.963:
	v_mov_b32_e32 v17, 0
	ds_read_b64 v[19:20], v17 offset:32760
	s_waitcnt lgkmcnt(0)
	v_mul_f64 v[11:12], v[11:12], v[19:20]
	ds_write_b64 v18, v[11:12]
.LBB143_964:
	s_or_b64 exec, exec, s[0:1]
	s_waitcnt lgkmcnt(0)
	s_barrier
	s_barrier
	s_and_saveexec_b64 s[0:1], s[18:19]
; %bb.965:
	v_xor_b32_e32 v12, 0x80000000, v12
	ds_write_b64 v16, v[11:12] offset:29152
; %bb.966:
	s_or_b64 exec, exec, s[0:1]
	s_waitcnt lgkmcnt(0)
	s_barrier
	s_barrier
	s_and_saveexec_b64 s[0:1], s[58:59]
	s_cbranch_execz .LBB143_968
; %bb.967:
	v_lshlrev_b32_e32 v16, 9, v0
	ds_read_b64 v[11:12], v16 offset:29152
	s_movk_i32 s8, 0xfe08
	v_mad_i32_i24 v17, v0, s8, v16
	s_waitcnt lgkmcnt(0)
	ds_write_b64 v17, v[11:12] offset:31168
	ds_read_b64 v[11:12], v16 offset:29160
	s_waitcnt lgkmcnt(0)
	ds_write_b64 v17, v[11:12] offset:31680
	ds_read_b64 v[11:12], v16 offset:29168
	;; [unrolled: 3-line block ×3, first 2 shown]
	s_waitcnt lgkmcnt(0)
	ds_write_b64 v17, v[11:12] offset:32704
.LBB143_968:
	s_or_b64 exec, exec, s[0:1]
	s_waitcnt lgkmcnt(0)
	s_barrier
	s_and_saveexec_b64 s[0:1], vcc
	s_cbranch_execz .LBB143_970
; %bb.969:
	v_mov_b32_e32 v11, 0
	ds_read_b128 v[16:19], v11 offset:31200
	ds_read_b64 v[11:12], v11 offset:31720
	s_movk_i32 s8, 0x7800
	s_waitcnt lgkmcnt(0)
	v_mul_f64 v[11:12], v[16:17], v[11:12]
	v_add_u32_e64 v16, s8, 0
	v_mul_f64 v[11:12], v[18:19], v[11:12]
	ds_write2_b64 v16, v[11:12], v[11:12] offset0:61 offset1:124
.LBB143_970:
	s_or_b64 exec, exec, s[0:1]
	v_mov_b32_e32 v11, 0
	v_mov_b32_e32 v12, 0
	s_waitcnt lgkmcnt(0)
	s_barrier
	s_and_saveexec_b64 s[0:1], s[2:3]
	s_cbranch_execz .LBB143_974
; %bb.971:
	v_mul_u32_u24_e32 v15, 0x208, v15
	ds_read_b64 v[11:12], v1 offset:31216
	ds_read_b64 v[15:16], v15 offset:31200
	v_cmp_gt_u32_e64 s[8:9], 2, v14
	s_waitcnt lgkmcnt(0)
	v_fma_f64 v[11:12], v[11:12], v[15:16], 0
	s_and_saveexec_b64 s[10:11], s[8:9]
	s_cbranch_execz .LBB143_973
; %bb.972:
	v_lshlrev_b32_e32 v14, 3, v0
	v_mov_b32_e32 v16, 0
	ds_read_b64 v[14:15], v14 offset:31728
	ds_read_b64 v[16:17], v16 offset:31208
	s_waitcnt lgkmcnt(0)
	v_fma_f64 v[11:12], v[14:15], v[16:17], v[11:12]
.LBB143_973:
	s_or_b64 exec, exec, s[10:11]
	v_xor_b32_e32 v12, 0x80000000, v12
.LBB143_974:
	s_or_b64 exec, exec, s[0:1]
	s_and_saveexec_b64 s[0:1], s[42:43]
	s_cbranch_execz .LBB143_976
; %bb.975:
	v_mov_b32_e32 v14, 0
	ds_read_b64 v[14:15], v14 offset:32240
	s_waitcnt lgkmcnt(0)
	v_mul_f64 v[11:12], v[11:12], v[14:15]
	ds_write_b64 v13, v[11:12]
.LBB143_976:
	s_or_b64 exec, exec, s[0:1]
	s_waitcnt lgkmcnt(0)
	s_barrier
	s_and_saveexec_b64 s[0:1], s[40:41]
	s_load_dword s39, s[4:5], 0x6c
	v_readlane_b32 s20, v42, 2
	v_readlane_b32 s42, v42, 0
	;; [unrolled: 1-line block ×5, first 2 shown]
	s_cbranch_execz .LBB143_978
; %bb.977:
	v_mov_b32_e32 v14, 0
	ds_read_b64 v[14:15], v14 offset:32248
	ds_read_b64 v[16:17], v13
	s_waitcnt lgkmcnt(0)
	v_fma_f64 v[11:12], v[14:15], v[16:17], v[11:12]
.LBB143_978:
	s_or_b64 exec, exec, s[0:1]
	s_waitcnt lgkmcnt(0)
	s_barrier
	s_and_saveexec_b64 s[0:1], s[40:41]
	s_cbranch_execz .LBB143_980
; %bb.979:
	v_mov_b32_e32 v14, 0
	ds_read_b64 v[14:15], v14 offset:32760
	s_waitcnt lgkmcnt(0)
	v_mul_f64 v[11:12], v[11:12], v[14:15]
	ds_write_b64 v13, v[11:12]
.LBB143_980:
	s_or_b64 exec, exec, s[0:1]
	s_waitcnt lgkmcnt(0)
	s_barrier
	s_barrier
	s_and_saveexec_b64 s[0:1], s[2:3]
; %bb.981:
	v_xor_b32_e32 v12, 0x80000000, v12
	ds_write_b64 v1, v[11:12] offset:31216
; %bb.982:
	s_or_b64 exec, exec, s[0:1]
	s_waitcnt lgkmcnt(0)
	s_barrier
	s_barrier
	s_and_saveexec_b64 s[0:1], s[44:45]
	s_cbranch_execz .LBB143_984
; %bb.983:
	v_lshlrev_b32_e32 v1, 3, v0
	s_movk_i32 s2, 0x1f8
	v_mad_u32_u24 v13, v0, s2, v1
	ds_read_b64 v[11:12], v13 offset:31216
	s_waitcnt lgkmcnt(0)
	ds_write_b64 v1, v[11:12] offset:32224
	ds_read_b64 v[11:12], v13 offset:31224
	s_waitcnt lgkmcnt(0)
	ds_write_b64 v1, v[11:12] offset:32736
.LBB143_984:
	s_or_b64 exec, exec, s[0:1]
	s_waitcnt lgkmcnt(0)
	s_barrier
	s_and_saveexec_b64 s[0:1], vcc
	s_cbranch_execz .LBB143_986
; %bb.985:
	v_mov_b32_e32 v1, 0
	ds_read_b128 v[11:14], v1 offset:32240
	ds_read_b64 v[15:16], v1 offset:32760
	s_movk_i32 s2, 0x7800
	v_add_u32_e64 v1, s2, 0
	s_waitcnt lgkmcnt(0)
	v_mul_f64 v[11:12], v[11:12], v[15:16]
	v_mul_f64 v[11:12], v[13:14], v[11:12]
	ds_write2_b64 v1, v[11:12], v[11:12] offset0:191 offset1:254
.LBB143_986:
	s_or_b64 exec, exec, s[0:1]
.LBB143_987:
	s_lshl_b64 s[0:1], s[28:29], 3
	s_add_u32 s20, s20, s0
	v_cmp_le_i32_e32 vcc, s90, v0
	s_addc_u32 s21, s21, s1
	s_and_b64 s[14:15], vcc, s[26:27]
	v_cmp_eq_u32_e64 s[2:3], 0, v2
	s_xor_b64 s[0:1], s[14:15], -1
	v_mov_b32_e32 v11, 0
	s_and_b64 s[8:9], s[2:3], s[0:1]
	v_mov_b32_e32 v12, 0
	v_add_u32_e32 v13, s33, v0
	s_waitcnt lgkmcnt(0)
	s_barrier
	s_and_saveexec_b64 s[0:1], s[8:9]
	s_cbranch_execz .LBB143_989
; %bb.988:
	v_ashrrev_i32_e32 v1, 31, v13
	v_mul_lo_u32 v14, s31, v13
	v_mad_u64_u32 v[11:12], s[8:9], s30, v13, 0
	v_mul_lo_u32 v1, s30, v1
	v_add3_u32 v12, v12, v1, v14
	v_lshlrev_b64 v[11:12], 3, v[11:12]
	v_mov_b32_e32 v1, s21
	v_add_co_u32_e32 v11, vcc, s20, v11
	v_addc_co_u32_e32 v12, vcc, v1, v12, vcc
	flat_load_dwordx2 v[11:12], v[11:12]
	s_waitcnt vmcnt(0) lgkmcnt(0)
	v_mul_f64 v[11:12], v[11:12], -s[24:25]
.LBB143_989:
	s_or_b64 exec, exec, s[0:1]
	s_load_dwordx2 s[0:1], s[4:5], 0x50
	s_and_b32 s4, 0xffff, s39
	v_mad_u32_u24 v18, v2, s4, v0
	v_mov_b32_e32 v1, 0
	s_cmp_lt_i32 s6, 1
	v_cmp_eq_u32_e64 s[4:5], 0, v18
	s_cbranch_scc1 .LBB143_1015
; %bb.990:
	v_ashrrev_i32_e32 v16, 31, v13
	v_mul_lo_u32 v17, s37, v13
	v_mad_u64_u32 v[14:15], s[8:9], s36, v13, 0
	v_mul_lo_u32 v16, s36, v16
	s_lshl_b64 s[8:9], s[22:23], 2
	s_waitcnt lgkmcnt(0)
	s_add_u32 s16, s0, s8
	s_addc_u32 s17, s1, s9
	v_add3_u32 v15, v15, v16, v17
	v_cmp_gt_i32_e64 s[8:9], s34, v13
	v_lshlrev_b64 v[13:14], 3, v[14:15]
	v_mov_b32_e32 v16, 0xa000
	v_mov_b32_e32 v15, s94
	v_add_co_u32_e32 v21, vcc, s91, v13
	s_mov_b32 s24, 0
	v_cmp_gt_u32_e64 s[12:13], 64, v18
	v_lshl_add_u32 v19, v18, 3, v16
	v_lshl_or_b32 v20, v2, 3, v16
	s_add_i32 s95, s95, 1
	v_addc_co_u32_e32 v22, vcc, v15, v14, vcc
	v_mov_b32_e32 v23, -1
	s_branch .LBB143_993
.LBB143_991:                            ;   in Loop: Header=BB143_993 Depth=1
	ds_read_b64 v[13:14], v20 offset:384
	s_waitcnt vmcnt(0) lgkmcnt(0)
	v_fma_f64 v[11:12], v[15:16], v[13:14], v[11:12]
.LBB143_992:                            ;   in Loop: Header=BB143_993 Depth=1
	s_or_b64 exec, exec, s[18:19]
	s_add_i32 s24, s24, 1
	s_cmp_eq_u32 s24, s6
	s_cbranch_scc1 .LBB143_1015
.LBB143_993:                            ; =>This Loop Header: Depth=1
                                        ;     Child Loop BB143_995 Depth 2
	v_cmp_gt_i32_e32 vcc, s24, v23
	s_and_b64 s[18:19], s[4:5], vcc
	s_and_saveexec_b64 s[10:11], s[18:19]
	s_cbranch_execz .LBB143_996
; %bb.994:                              ;   in Loop: Header=BB143_993 Depth=1
	global_load_dword v23, v1, s[16:17]
	s_waitcnt vmcnt(0)
	v_cmp_le_i32_e32 vcc, s24, v23
	s_cbranch_vccnz .LBB143_996
.LBB143_995:                            ;   Parent Loop BB143_993 Depth=1
                                        ; =>  This Inner Loop Header: Depth=2
	buffer_wbinvl1_vol
	global_load_dword v23, v1, s[16:17]
	s_waitcnt vmcnt(0)
	v_cmp_gt_i32_e32 vcc, s24, v23
	s_cbranch_vccnz .LBB143_995
.LBB143_996:                            ;   in Loop: Header=BB143_993 Depth=1
	s_or_b64 exec, exec, s[10:11]
	s_sub_i32 s25, s7, s24
	s_lshl_b32 s28, s25, 6
	buffer_wbinvl1_vol
	s_barrier
	s_and_saveexec_b64 s[10:11], s[12:13]
	s_cbranch_execz .LBB143_1000
; %bb.997:                              ;   in Loop: Header=BB143_993 Depth=1
	s_ashr_i32 s18, s28, 31
	v_mov_b32_e32 v14, s18
	v_or_b32_e32 v13, s28, v18
	v_cmp_gt_i64_e32 vcc, s[34:35], v[13:14]
	v_mov_b32_e32 v15, 0
	v_mov_b32_e32 v16, 0
	s_and_saveexec_b64 s[18:19], vcc
	s_cbranch_execz .LBB143_999
; %bb.998:                              ;   in Loop: Header=BB143_993 Depth=1
	v_mul_lo_u32 v15, v14, s30
	v_mul_lo_u32 v16, v13, s31
	v_mad_u64_u32 v[13:14], s[36:37], v13, s30, 0
	v_add3_u32 v14, v14, v16, v15
	v_lshlrev_b64 v[13:14], 3, v[13:14]
	v_mov_b32_e32 v15, s21
	v_add_co_u32_e32 v13, vcc, s20, v13
	v_addc_co_u32_e32 v14, vcc, v15, v14, vcc
	flat_load_dwordx2 v[15:16], v[13:14]
.LBB143_999:                            ;   in Loop: Header=BB143_993 Depth=1
	s_or_b64 exec, exec, s[18:19]
	s_waitcnt vmcnt(0) lgkmcnt(0)
	ds_write_b64 v19, v[15:16]
.LBB143_1000:                           ;   in Loop: Header=BB143_993 Depth=1
	s_or_b64 exec, exec, s[10:11]
	v_add_u32_e32 v15, s28, v2
	v_ashrrev_i32_e32 v16, 31, v15
	v_lshlrev_b64 v[13:14], 3, v[15:16]
	s_cmp_lg_u32 s25, s95
	v_add_co_u32_e32 v13, vcc, v21, v13
	s_cselect_b64 s[10:11], -1, 0
	v_addc_co_u32_e32 v14, vcc, v22, v14, vcc
	v_cmp_gt_i32_e32 vcc, s34, v15
	v_cndmask_b32_e64 v16, 0, 1, s[10:11]
	s_and_b64 s[28:29], vcc, s[8:9]
	v_cmp_ne_u32_e64 s[10:11], 1, v16
	s_waitcnt lgkmcnt(0)
	s_barrier
	s_and_saveexec_b64 s[18:19], s[28:29]
	s_cbranch_execz .LBB143_1004
; %bb.1001:                             ;   in Loop: Header=BB143_993 Depth=1
	v_mov_b32_e32 v17, v6
	s_and_b64 vcc, exec, s[10:11]
	v_mov_b32_e32 v16, v5
	s_cbranch_vccnz .LBB143_1003
; %bb.1002:                             ;   in Loop: Header=BB143_993 Depth=1
	flat_load_dwordx2 v[16:17], v[13:14]
.LBB143_1003:                           ;   in Loop: Header=BB143_993 Depth=1
	ds_read_b64 v[24:25], v20
	s_waitcnt vmcnt(0) lgkmcnt(0)
	v_fma_f64 v[11:12], v[16:17], v[24:25], v[11:12]
.LBB143_1004:                           ;   in Loop: Header=BB143_993 Depth=1
	s_or_b64 exec, exec, s[18:19]
	v_add_u32_e32 v16, 16, v15
	v_cmp_gt_i32_e32 vcc, s34, v16
	s_and_b64 s[28:29], vcc, s[8:9]
	s_and_saveexec_b64 s[18:19], s[28:29]
	s_cbranch_execz .LBB143_1008
; %bb.1005:                             ;   in Loop: Header=BB143_993 Depth=1
	v_mov_b32_e32 v17, v4
	s_and_b64 vcc, exec, s[10:11]
	v_mov_b32_e32 v16, v3
	s_cbranch_vccnz .LBB143_1007
; %bb.1006:                             ;   in Loop: Header=BB143_993 Depth=1
	flat_load_dwordx2 v[16:17], v[13:14] offset:128
.LBB143_1007:                           ;   in Loop: Header=BB143_993 Depth=1
	ds_read_b64 v[24:25], v20 offset:128
	s_waitcnt vmcnt(0) lgkmcnt(0)
	v_fma_f64 v[11:12], v[16:17], v[24:25], v[11:12]
.LBB143_1008:                           ;   in Loop: Header=BB143_993 Depth=1
	s_or_b64 exec, exec, s[18:19]
	v_add_u32_e32 v16, 32, v15
	v_cmp_gt_i32_e32 vcc, s34, v16
	s_and_b64 s[28:29], vcc, s[8:9]
	s_and_saveexec_b64 s[18:19], s[28:29]
	s_cbranch_execz .LBB143_1012
; %bb.1009:                             ;   in Loop: Header=BB143_993 Depth=1
	v_mov_b32_e32 v17, v10
	s_and_b64 vcc, exec, s[10:11]
	v_mov_b32_e32 v16, v9
	s_cbranch_vccnz .LBB143_1011
; %bb.1010:                             ;   in Loop: Header=BB143_993 Depth=1
	flat_load_dwordx2 v[16:17], v[13:14] offset:256
.LBB143_1011:                           ;   in Loop: Header=BB143_993 Depth=1
	ds_read_b64 v[24:25], v20 offset:256
	s_waitcnt vmcnt(0) lgkmcnt(0)
	v_fma_f64 v[11:12], v[16:17], v[24:25], v[11:12]
.LBB143_1012:                           ;   in Loop: Header=BB143_993 Depth=1
	s_or_b64 exec, exec, s[18:19]
	v_add_u32_e32 v15, 48, v15
	v_cmp_gt_i32_e32 vcc, s34, v15
	s_and_b64 s[28:29], vcc, s[8:9]
	s_and_saveexec_b64 s[18:19], s[28:29]
	s_cbranch_execz .LBB143_992
; %bb.1013:                             ;   in Loop: Header=BB143_993 Depth=1
	v_mov_b32_e32 v16, v8
	s_and_b64 vcc, exec, s[10:11]
	v_mov_b32_e32 v15, v7
	s_cbranch_vccnz .LBB143_991
; %bb.1014:                             ;   in Loop: Header=BB143_993 Depth=1
	flat_load_dwordx2 v[15:16], v[13:14] offset:384
	s_branch .LBB143_991
.LBB143_1015:
	v_lshl_add_u32 v1, v2, 6, v0
	s_xor_b64 s[4:5], s[26:27], -1
	v_lshlrev_b32_e32 v1, 3, v1
	ds_write_b64 v1, v[11:12] offset:32768
	s_waitcnt lgkmcnt(0)
	s_barrier
	s_and_saveexec_b64 s[6:7], s[2:3]
	s_cbranch_execz .LBB143_1017
; %bb.1016:
	v_lshlrev_b32_e32 v15, 3, v0
	ds_read2st64_b64 v[3:6], v15 offset0:65 offset1:66
	ds_read_b64 v[13:14], v15 offset:40448
	s_waitcnt lgkmcnt(1)
	v_add_f64 v[3:4], v[11:12], v[3:4]
	v_add_f64 v[11:12], v[3:4], v[5:6]
	ds_read2st64_b64 v[3:6], v15 offset0:67 offset1:68
	ds_read2st64_b64 v[7:10], v15 offset0:69 offset1:70
	s_waitcnt lgkmcnt(1)
	v_add_f64 v[3:4], v[11:12], v[3:4]
	v_add_f64 v[3:4], v[3:4], v[5:6]
	s_waitcnt lgkmcnt(0)
	v_add_f64 v[3:4], v[3:4], v[7:8]
	v_add_f64 v[11:12], v[3:4], v[9:10]
	ds_read2st64_b64 v[3:6], v15 offset0:71 offset1:72
	ds_read2st64_b64 v[7:10], v15 offset0:73 offset1:74
	s_waitcnt lgkmcnt(1)
	v_add_f64 v[3:4], v[11:12], v[3:4]
	v_add_f64 v[3:4], v[3:4], v[5:6]
	;; [unrolled: 8-line block ×3, first 2 shown]
	s_waitcnt lgkmcnt(0)
	v_add_f64 v[3:4], v[3:4], v[7:8]
	v_add_f64 v[3:4], v[3:4], v[9:10]
	;; [unrolled: 1-line block ×3, first 2 shown]
	v_xor_b32_e32 v4, 0x80000000, v4
	v_cndmask_b32_e64 v12, v4, 0, s[14:15]
	v_cndmask_b32_e64 v11, v3, 0, s[14:15]
.LBB143_1017:
	s_or_b64 exec, exec, s[6:7]
	s_and_b64 vcc, exec, s[42:43]
	s_cbranch_vccnz .LBB143_1030
; %bb.1018:
	v_mov_b32_e32 v3, 0xa000
	v_lshl_or_b32 v5, v2, 3, v3
	s_and_saveexec_b64 s[6:7], s[2:3]
; %bb.1019:
	v_lshl_add_u32 v3, v0, 3, v5
	ds_write_b64 v3, v[11:12]
; %bb.1020:
	s_or_b64 exec, exec, s[6:7]
	v_mov_b32_e32 v3, 0
	v_mov_b32_e32 v4, 0
	v_cmp_le_u32_e32 vcc, v0, v2
	s_waitcnt lgkmcnt(0)
	s_barrier
	s_and_saveexec_b64 s[6:7], vcc
	s_cbranch_execz .LBB143_1022
; %bb.1021:
	ds_read_b64 v[3:4], v1
	ds_read_b64 v[6:7], v5
	s_waitcnt lgkmcnt(0)
	v_fma_f64 v[3:4], v[3:4], v[6:7], 0
.LBB143_1022:
	s_or_b64 exec, exec, s[6:7]
	v_add_u32_e32 v6, 16, v2
	v_cmp_le_u32_e32 vcc, v0, v6
	s_and_saveexec_b64 s[6:7], vcc
	s_cbranch_execz .LBB143_1024
; %bb.1023:
	ds_read_b64 v[6:7], v1 offset:8192
	ds_read_b64 v[8:9], v5 offset:128
	s_waitcnt lgkmcnt(0)
	v_fma_f64 v[3:4], v[6:7], v[8:9], v[3:4]
.LBB143_1024:
	s_or_b64 exec, exec, s[6:7]
	v_add_u32_e32 v6, 32, v2
	v_cmp_le_u32_e32 vcc, v0, v6
	s_and_saveexec_b64 s[6:7], vcc
	s_cbranch_execz .LBB143_1026
; %bb.1025:
	ds_read_b64 v[6:7], v1 offset:16384
	ds_read_b64 v[8:9], v5 offset:256
	s_waitcnt lgkmcnt(0)
	v_fma_f64 v[3:4], v[6:7], v[8:9], v[3:4]
.LBB143_1026:
	s_or_b64 exec, exec, s[6:7]
	v_add_u32_e32 v2, 48, v2
	v_add_u32_e32 v6, 0x8000, v1
	v_cmp_le_u32_e32 vcc, v0, v2
	s_and_saveexec_b64 s[6:7], vcc
	s_cbranch_execz .LBB143_1028
; %bb.1027:
	ds_read_b64 v[1:2], v1 offset:24576
	ds_read_b64 v[7:8], v5 offset:384
	s_waitcnt lgkmcnt(0)
	v_fma_f64 v[3:4], v[1:2], v[7:8], v[3:4]
.LBB143_1028:
	s_or_b64 exec, exec, s[6:7]
	s_mov_b64 s[8:9], 0
	s_mov_b64 s[6:7], 0
	ds_write_b64 v6, v[3:4]
	s_waitcnt lgkmcnt(0)
	s_barrier
                                        ; implicit-def: $vgpr1_vgpr2
	s_and_saveexec_b64 s[10:11], s[2:3]
	s_cbranch_execz .LBB143_1093
; %bb.1029:
	v_lshlrev_b32_e32 v15, 3, v0
	ds_read2st64_b64 v[5:8], v15 offset0:65 offset1:66
	ds_read_b64 v[9:10], v15 offset:40448
	s_mov_b64 s[6:7], exec
	s_waitcnt lgkmcnt(1)
	v_add_f64 v[1:2], v[3:4], v[5:6]
	v_add_f64 v[13:14], v[7:8], v[1:2]
	ds_read2st64_b64 v[1:4], v15 offset0:67 offset1:68
	ds_read2st64_b64 v[5:8], v15 offset0:69 offset1:70
	s_waitcnt lgkmcnt(1)
	v_add_f64 v[1:2], v[1:2], v[13:14]
	v_add_f64 v[1:2], v[3:4], v[1:2]
	s_waitcnt lgkmcnt(0)
	v_add_f64 v[1:2], v[5:6], v[1:2]
	v_add_f64 v[13:14], v[7:8], v[1:2]
	ds_read2st64_b64 v[1:4], v15 offset0:71 offset1:72
	ds_read2st64_b64 v[5:8], v15 offset0:73 offset1:74
	s_waitcnt lgkmcnt(1)
	v_add_f64 v[1:2], v[1:2], v[13:14]
	v_add_f64 v[1:2], v[3:4], v[1:2]
	;; [unrolled: 8-line block ×3, first 2 shown]
	s_waitcnt lgkmcnt(0)
	v_add_f64 v[1:2], v[5:6], v[1:2]
	v_add_f64 v[1:2], v[7:8], v[1:2]
	;; [unrolled: 1-line block ×3, first 2 shown]
	s_or_b64 exec, exec, s[10:11]
	s_and_b64 vcc, exec, s[8:9]
	s_cbranch_vccnz .LBB143_1031
	s_branch .LBB143_1094
.LBB143_1030:
	s_mov_b64 s[6:7], 0
                                        ; implicit-def: $vgpr1_vgpr2
	s_cbranch_execz .LBB143_1094
.LBB143_1031:
	s_movk_i32 s8, 0x208
	v_lshlrev_b32_e32 v2, 9, v0
	v_mov_b32_e32 v3, 0x7800
	v_mul_u32_u24_e32 v1, 0x208, v0
	v_sub_u32_e32 v2, 0, v2
	v_mad_u32_u24 v3, v0, s8, v3
	s_mov_b32 s10, 63
	s_movk_i32 s11, 0x8200
	v_mov_b32_e32 v4, 0
	s_branch .LBB143_1033
.LBB143_1032:                           ;   in Loop: Header=BB143_1033 Depth=1
	s_or_b64 exec, exec, s[8:9]
	s_add_i32 s10, s10, -4
	s_cmp_lg_u32 s12, 0
	v_add_u32_e32 v2, 0xfffff800, v2
	s_barrier
	s_cbranch_scc0 .LBB143_1049
.LBB143_1033:                           ; =>This Inner Loop Header: Depth=1
	v_cmp_eq_u32_e32 vcc, s11, v2
	s_and_b64 s[12:13], s[2:3], vcc
	s_and_saveexec_b64 s[8:9], s[12:13]
	s_cbranch_execz .LBB143_1035
; %bb.1034:                             ;   in Loop: Header=BB143_1033 Depth=1
	ds_read_b64 v[5:6], v1
	s_waitcnt lgkmcnt(0)
	v_mul_f64 v[11:12], v[11:12], v[5:6]
	ds_write_b64 v4, v[11:12] offset:41472
.LBB143_1035:                           ;   in Loop: Header=BB143_1033 Depth=1
	s_or_b64 exec, exec, s[8:9]
	v_cmp_gt_u32_e32 vcc, s10, v0
	s_and_b64 s[12:13], s[2:3], vcc
	v_add_u32_e32 v5, v3, v2
	s_waitcnt lgkmcnt(0)
	s_barrier
	s_and_saveexec_b64 s[8:9], s[12:13]
	s_cbranch_execz .LBB143_1037
; %bb.1036:                             ;   in Loop: Header=BB143_1033 Depth=1
	ds_read_b64 v[6:7], v5 offset:1536
	ds_read_b64 v[8:9], v4 offset:41472
	s_waitcnt lgkmcnt(0)
	v_fma_f64 v[11:12], v[6:7], v[8:9], v[11:12]
.LBB143_1037:                           ;   in Loop: Header=BB143_1033 Depth=1
	s_or_b64 exec, exec, s[8:9]
	s_add_i32 s12, s10, -1
	v_cmp_eq_u32_e32 vcc, s12, v0
	s_and_b64 s[14:15], s[2:3], vcc
	s_barrier
	s_and_saveexec_b64 s[8:9], s[14:15]
	s_cbranch_execz .LBB143_1039
; %bb.1038:                             ;   in Loop: Header=BB143_1033 Depth=1
	ds_read_b64 v[6:7], v1
	s_waitcnt lgkmcnt(0)
	v_mul_f64 v[11:12], v[11:12], v[6:7]
	ds_write_b64 v4, v[11:12] offset:41472
.LBB143_1039:                           ;   in Loop: Header=BB143_1033 Depth=1
	s_or_b64 exec, exec, s[8:9]
	v_cmp_gt_u32_e32 vcc, s12, v0
	s_and_b64 s[12:13], s[2:3], vcc
	s_waitcnt lgkmcnt(0)
	s_barrier
	s_and_saveexec_b64 s[8:9], s[12:13]
	s_cbranch_execz .LBB143_1041
; %bb.1040:                             ;   in Loop: Header=BB143_1033 Depth=1
	ds_read_b64 v[6:7], v5 offset:1024
	ds_read_b64 v[8:9], v4 offset:41472
	s_waitcnt lgkmcnt(0)
	v_fma_f64 v[11:12], v[6:7], v[8:9], v[11:12]
.LBB143_1041:                           ;   in Loop: Header=BB143_1033 Depth=1
	s_or_b64 exec, exec, s[8:9]
	s_add_i32 s12, s10, -2
	v_cmp_eq_u32_e32 vcc, s12, v0
	s_and_b64 s[14:15], s[2:3], vcc
	s_barrier
	s_and_saveexec_b64 s[8:9], s[14:15]
	s_cbranch_execz .LBB143_1043
; %bb.1042:                             ;   in Loop: Header=BB143_1033 Depth=1
	ds_read_b64 v[6:7], v1
	s_waitcnt lgkmcnt(0)
	v_mul_f64 v[11:12], v[11:12], v[6:7]
	ds_write_b64 v4, v[11:12] offset:41472
.LBB143_1043:                           ;   in Loop: Header=BB143_1033 Depth=1
	s_or_b64 exec, exec, s[8:9]
	v_cmp_gt_u32_e32 vcc, s12, v0
	s_and_b64 s[12:13], s[2:3], vcc
	;; [unrolled: 26-line block ×3, first 2 shown]
	s_waitcnt lgkmcnt(0)
	s_barrier
	s_and_saveexec_b64 s[8:9], s[14:15]
	s_cbranch_execz .LBB143_1032
; %bb.1048:                             ;   in Loop: Header=BB143_1033 Depth=1
	ds_read_b64 v[5:6], v5
	ds_read_b64 v[7:8], v4 offset:41472
	s_waitcnt lgkmcnt(0)
	v_fma_f64 v[11:12], v[5:6], v[7:8], v[11:12]
	s_branch .LBB143_1032
.LBB143_1049:
	s_mov_b64 s[8:9], -1
	s_and_b64 vcc, exec, s[4:5]
	s_cbranch_vccnz .LBB143_1095
; %bb.1050:
	s_andn2_b64 vcc, exec, s[8:9]
	s_cbranch_vccz .LBB143_1096
.LBB143_1051:
	s_and_saveexec_b64 s[2:3], s[6:7]
	s_cbranch_execz .LBB143_1053
.LBB143_1052:
	v_mov_b32_e32 v0, s38
	v_add_co_u32_e32 v1, vcc, s33, v18
	v_addc_co_u32_e32 v0, vcc, 0, v0, vcc
	v_mul_lo_u32 v2, v0, s30
	v_mul_lo_u32 v3, v1, s31
	v_mad_u64_u32 v[0:1], s[4:5], v1, s30, 0
	v_add3_u32 v1, v1, v3, v2
	v_lshlrev_b64 v[0:1], 3, v[0:1]
	v_mov_b32_e32 v2, s21
	v_add_co_u32_e32 v0, vcc, s20, v0
	v_addc_co_u32_e32 v1, vcc, v2, v1, vcc
	flat_store_dwordx2 v[0:1], v[11:12]
.LBB143_1053:
	s_or_b64 exec, exec, s[2:3]
	v_cmp_eq_u32_e32 vcc, 0, v18
	s_waitcnt vmcnt(0) lgkmcnt(0)
	buffer_wbinvl1_vol
	s_barrier
	s_and_saveexec_b64 s[2:3], vcc
	s_cbranch_execz .LBB143_1055
; %bb.1054:
	s_lshl_b64 s[4:5], s[22:23], 2
	s_add_u32 s0, s0, s4
	s_addc_u32 s1, s1, s5
	v_mov_b32_e32 v0, 0
	global_load_dword v1, v0, s[0:1]
	s_waitcnt vmcnt(0)
	v_add_u32_e32 v1, 1, v1
	global_store_dword v0, v1, s[0:1]
.LBB143_1055:
	s_or_b64 exec, exec, s[2:3]
	s_waitcnt vmcnt(0)
	buffer_wbinvl1_vol
	s_endpgm
.LBB143_1056:
                                        ; implicit-def: $vgpr7_vgpr8
                                        ; implicit-def: $vgpr9_vgpr10
                                        ; implicit-def: $vgpr3_vgpr4
                                        ; implicit-def: $vgpr5_vgpr6
                                        ; implicit-def: $sgpr33
	s_cbranch_execnz .LBB143_10
	s_branch .LBB143_11
.LBB143_1057:
	v_cmp_ne_u32_e32 vcc, v0, v2
	s_and_saveexec_b64 s[12:13], vcc
	s_xor_b64 s[12:13], exec, s[12:13]
; %bb.1058:
	v_or_b32_e32 v1, v2, v0
	v_cmp_gt_u32_e32 vcc, 64, v1
	s_and_b64 s[10:11], vcc, exec
                                        ; implicit-def: $vgpr15_vgpr16
; %bb.1059:
	s_or_saveexec_b64 s[12:13], s[12:13]
	v_mov_b32_e32 v13, 0
	v_mov_b32_e32 v14, 0
	s_xor_b64 exec, exec, s[12:13]
	s_cbranch_execz .LBB143_1061
; %bb.1060:
	v_lshlrev_b64 v[13:14], 3, v[15:16]
	v_mov_b32_e32 v1, s94
	v_add_co_u32_e32 v13, vcc, s91, v13
	v_addc_co_u32_e32 v14, vcc, v1, v14, vcc
	flat_load_dwordx2 v[13:14], v[13:14]
	s_or_b64 s[10:11], s[10:11], exec
	s_waitcnt vmcnt(0) lgkmcnt(0)
	v_div_scale_f64 v[15:16], s[14:15], v[13:14], v[13:14], 1.0
	v_div_scale_f64 v[22:23], vcc, 1.0, v[13:14], 1.0
	v_rcp_f64_e32 v[18:19], v[15:16]
	v_fma_f64 v[20:21], -v[15:16], v[18:19], 1.0
	v_fma_f64 v[18:19], v[18:19], v[20:21], v[18:19]
	v_fma_f64 v[20:21], -v[15:16], v[18:19], 1.0
	v_fma_f64 v[18:19], v[18:19], v[20:21], v[18:19]
	v_mul_f64 v[20:21], v[22:23], v[18:19]
	v_fma_f64 v[15:16], -v[15:16], v[20:21], v[22:23]
	v_div_fmas_f64 v[15:16], v[15:16], v[18:19], v[20:21]
	v_div_fixup_f64 v[13:14], v[15:16], v[13:14], 1.0
.LBB143_1061:
	s_or_b64 exec, exec, s[12:13]
	s_and_b64 s[10:11], s[10:11], exec
                                        ; implicit-def: $vgpr15_vgpr16
	s_andn2_saveexec_b64 s[8:9], s[8:9]
	s_cbranch_execz .LBB143_14
.LBB143_1062:
	v_lshlrev_b64 v[13:14], 3, v[15:16]
	v_mov_b32_e32 v1, s94
	v_add_co_u32_e32 v13, vcc, s91, v13
	v_addc_co_u32_e32 v14, vcc, v1, v14, vcc
	flat_load_dwordx2 v[13:14], v[13:14]
	s_or_b64 s[10:11], s[10:11], exec
	s_waitcnt vmcnt(0) lgkmcnt(0)
	v_xor_b32_e32 v14, 0x80000000, v14
	s_or_b64 exec, exec, s[8:9]
	s_and_saveexec_b64 s[8:9], s[10:11]
	s_cbranch_execnz .LBB143_15
	s_branch .LBB143_16
.LBB143_1063:
	v_cmp_ne_u32_e32 vcc, v0, v1
	s_and_saveexec_b64 s[10:11], vcc
	s_xor_b64 s[10:11], exec, s[10:11]
; %bb.1064:
	v_or_b32_e32 v13, v1, v0
	v_cmp_gt_u32_e32 vcc, 64, v13
	s_and_b64 s[8:9], vcc, exec
                                        ; implicit-def: $vgpr15_vgpr16
; %bb.1065:
	s_or_saveexec_b64 s[10:11], s[10:11]
	v_mov_b32_e32 v13, 0
	v_mov_b32_e32 v14, 0
	s_xor_b64 exec, exec, s[10:11]
	s_cbranch_execz .LBB143_1067
; %bb.1066:
	v_lshlrev_b64 v[13:14], 3, v[15:16]
	v_mov_b32_e32 v15, s94
	v_add_co_u32_e32 v13, vcc, s91, v13
	v_addc_co_u32_e32 v14, vcc, v15, v14, vcc
	flat_load_dwordx2 v[13:14], v[13:14]
	s_or_b64 s[8:9], s[8:9], exec
	s_waitcnt vmcnt(0) lgkmcnt(0)
	v_div_scale_f64 v[15:16], s[12:13], v[13:14], v[13:14], 1.0
	v_div_scale_f64 v[22:23], vcc, 1.0, v[13:14], 1.0
	v_rcp_f64_e32 v[18:19], v[15:16]
	v_fma_f64 v[20:21], -v[15:16], v[18:19], 1.0
	v_fma_f64 v[18:19], v[18:19], v[20:21], v[18:19]
	v_fma_f64 v[20:21], -v[15:16], v[18:19], 1.0
	v_fma_f64 v[18:19], v[18:19], v[20:21], v[18:19]
	v_mul_f64 v[20:21], v[22:23], v[18:19]
	v_fma_f64 v[15:16], -v[15:16], v[20:21], v[22:23]
	v_div_fmas_f64 v[15:16], v[15:16], v[18:19], v[20:21]
	v_div_fixup_f64 v[13:14], v[15:16], v[13:14], 1.0
.LBB143_1067:
	s_or_b64 exec, exec, s[10:11]
	s_and_b64 s[8:9], s[8:9], exec
                                        ; implicit-def: $vgpr15_vgpr16
	s_andn2_saveexec_b64 s[2:3], s[2:3]
	s_cbranch_execz .LBB143_18
.LBB143_1068:
	v_lshlrev_b64 v[13:14], 3, v[15:16]
	v_mov_b32_e32 v15, s94
	v_add_co_u32_e32 v13, vcc, s91, v13
	v_addc_co_u32_e32 v14, vcc, v15, v14, vcc
	flat_load_dwordx2 v[13:14], v[13:14]
	s_or_b64 s[8:9], s[8:9], exec
	s_waitcnt vmcnt(0) lgkmcnt(0)
	v_xor_b32_e32 v14, 0x80000000, v14
	s_or_b64 exec, exec, s[2:3]
	s_and_saveexec_b64 s[2:3], s[8:9]
	s_cbranch_execnz .LBB143_19
	s_branch .LBB143_20
.LBB143_1069:
	v_cmp_ne_u32_e32 vcc, v0, v1
	s_and_saveexec_b64 s[10:11], vcc
	s_xor_b64 s[10:11], exec, s[10:11]
; %bb.1070:
	v_or_b32_e32 v13, v1, v0
	v_cmp_gt_u32_e32 vcc, 64, v13
	s_and_b64 s[8:9], vcc, exec
                                        ; implicit-def: $vgpr15_vgpr16
; %bb.1071:
	s_or_saveexec_b64 s[10:11], s[10:11]
	v_mov_b32_e32 v13, 0
	v_mov_b32_e32 v14, 0
	s_xor_b64 exec, exec, s[10:11]
	s_cbranch_execz .LBB143_1073
; %bb.1072:
	v_lshlrev_b64 v[13:14], 3, v[15:16]
	v_mov_b32_e32 v15, s94
	v_add_co_u32_e32 v13, vcc, s91, v13
	v_addc_co_u32_e32 v14, vcc, v15, v14, vcc
	flat_load_dwordx2 v[13:14], v[13:14]
	s_or_b64 s[8:9], s[8:9], exec
	s_waitcnt vmcnt(0) lgkmcnt(0)
	v_div_scale_f64 v[15:16], s[12:13], v[13:14], v[13:14], 1.0
	v_div_scale_f64 v[22:23], vcc, 1.0, v[13:14], 1.0
	v_rcp_f64_e32 v[18:19], v[15:16]
	v_fma_f64 v[20:21], -v[15:16], v[18:19], 1.0
	v_fma_f64 v[18:19], v[18:19], v[20:21], v[18:19]
	v_fma_f64 v[20:21], -v[15:16], v[18:19], 1.0
	v_fma_f64 v[18:19], v[18:19], v[20:21], v[18:19]
	v_mul_f64 v[20:21], v[22:23], v[18:19]
	v_fma_f64 v[15:16], -v[15:16], v[20:21], v[22:23]
	v_div_fmas_f64 v[15:16], v[15:16], v[18:19], v[20:21]
	v_div_fixup_f64 v[13:14], v[15:16], v[13:14], 1.0
.LBB143_1073:
	s_or_b64 exec, exec, s[10:11]
	s_and_b64 s[8:9], s[8:9], exec
                                        ; implicit-def: $vgpr15_vgpr16
	s_andn2_saveexec_b64 s[2:3], s[2:3]
	s_cbranch_execz .LBB143_22
.LBB143_1074:
	v_lshlrev_b64 v[13:14], 3, v[15:16]
	v_mov_b32_e32 v15, s94
	v_add_co_u32_e32 v13, vcc, s91, v13
	v_addc_co_u32_e32 v14, vcc, v15, v14, vcc
	flat_load_dwordx2 v[13:14], v[13:14]
	s_or_b64 s[8:9], s[8:9], exec
	s_waitcnt vmcnt(0) lgkmcnt(0)
	v_xor_b32_e32 v14, 0x80000000, v14
	s_or_b64 exec, exec, s[2:3]
	s_and_saveexec_b64 s[2:3], s[8:9]
	s_cbranch_execnz .LBB143_23
	s_branch .LBB143_24
.LBB143_1075:
	v_cmp_ne_u32_e32 vcc, v0, v2
	s_xor_b64 s[12:13], s[2:3], -1
	s_or_b64 s[14:15], s[12:13], vcc
	s_mov_b64 s[12:13], 0
	s_and_saveexec_b64 s[16:17], s[14:15]
	s_xor_b64 s[14:15], exec, s[16:17]
; %bb.1076:
	v_or_b32_e32 v1, v2, v0
	v_cmp_gt_u32_e32 vcc, 64, v1
	s_and_b64 s[12:13], vcc, exec
                                        ; implicit-def: $vgpr13_vgpr14
; %bb.1077:
	s_or_saveexec_b64 s[14:15], s[14:15]
	v_mov_b32_e32 v15, 0
	v_mov_b32_e32 v16, 0
	s_xor_b64 exec, exec, s[14:15]
	s_cbranch_execz .LBB143_1079
; %bb.1078:
	v_lshlrev_b64 v[13:14], 3, v[13:14]
	v_mov_b32_e32 v1, s94
	v_add_co_u32_e32 v13, vcc, s91, v13
	v_addc_co_u32_e32 v14, vcc, v1, v14, vcc
	flat_load_dwordx2 v[13:14], v[13:14]
	s_or_b64 s[12:13], s[12:13], exec
	s_waitcnt vmcnt(0) lgkmcnt(0)
	v_div_scale_f64 v[15:16], s[16:17], v[13:14], v[13:14], 1.0
	v_div_scale_f64 v[22:23], vcc, 1.0, v[13:14], 1.0
	v_rcp_f64_e32 v[18:19], v[15:16]
	v_fma_f64 v[20:21], -v[15:16], v[18:19], 1.0
	v_fma_f64 v[18:19], v[18:19], v[20:21], v[18:19]
	v_fma_f64 v[20:21], -v[15:16], v[18:19], 1.0
	v_fma_f64 v[18:19], v[18:19], v[20:21], v[18:19]
	v_mul_f64 v[20:21], v[22:23], v[18:19]
	v_fma_f64 v[15:16], -v[15:16], v[20:21], v[22:23]
	v_div_fmas_f64 v[15:16], v[15:16], v[18:19], v[20:21]
	v_div_fixup_f64 v[15:16], v[15:16], v[13:14], 1.0
.LBB143_1079:
	s_or_b64 exec, exec, s[14:15]
	s_and_b64 s[12:13], s[12:13], exec
                                        ; implicit-def: $vgpr13_vgpr14
	s_andn2_saveexec_b64 s[8:9], s[8:9]
	s_cbranch_execz .LBB143_36
.LBB143_1080:
	v_lshlrev_b64 v[13:14], 3, v[13:14]
	v_mov_b32_e32 v1, s94
	v_add_co_u32_e32 v13, vcc, s91, v13
	v_addc_co_u32_e32 v14, vcc, v1, v14, vcc
	flat_load_dwordx2 v[15:16], v[13:14]
	s_or_b64 s[12:13], s[12:13], exec
	s_waitcnt vmcnt(0) lgkmcnt(0)
	v_xor_b32_e32 v16, 0x80000000, v16
	s_or_b64 exec, exec, s[8:9]
	s_and_saveexec_b64 s[8:9], s[12:13]
	s_cbranch_execnz .LBB143_37
	s_branch .LBB143_38
.LBB143_1081:
	v_cmp_ne_u32_e32 vcc, v0, v1
	s_xor_b64 s[12:13], s[2:3], -1
	s_or_b64 s[14:15], s[12:13], vcc
	s_mov_b64 s[12:13], 0
	s_and_saveexec_b64 s[16:17], s[14:15]
	s_xor_b64 s[14:15], exec, s[16:17]
; %bb.1082:
	v_or_b32_e32 v13, v1, v0
	v_cmp_gt_u32_e32 vcc, 64, v13
	s_and_b64 s[12:13], vcc, exec
                                        ; implicit-def: $vgpr13_vgpr14
; %bb.1083:
	s_or_saveexec_b64 s[14:15], s[14:15]
	v_mov_b32_e32 v15, 0
	v_mov_b32_e32 v16, 0
	s_xor_b64 exec, exec, s[14:15]
	s_cbranch_execz .LBB143_1085
; %bb.1084:
	v_lshlrev_b64 v[13:14], 3, v[13:14]
	v_mov_b32_e32 v15, s94
	v_add_co_u32_e32 v13, vcc, s91, v13
	v_addc_co_u32_e32 v14, vcc, v15, v14, vcc
	flat_load_dwordx2 v[13:14], v[13:14]
	s_or_b64 s[12:13], s[12:13], exec
	s_waitcnt vmcnt(0) lgkmcnt(0)
	v_div_scale_f64 v[15:16], s[16:17], v[13:14], v[13:14], 1.0
	v_div_scale_f64 v[22:23], vcc, 1.0, v[13:14], 1.0
	v_rcp_f64_e32 v[18:19], v[15:16]
	v_fma_f64 v[20:21], -v[15:16], v[18:19], 1.0
	v_fma_f64 v[18:19], v[18:19], v[20:21], v[18:19]
	v_fma_f64 v[20:21], -v[15:16], v[18:19], 1.0
	v_fma_f64 v[18:19], v[18:19], v[20:21], v[18:19]
	v_mul_f64 v[20:21], v[22:23], v[18:19]
	v_fma_f64 v[15:16], -v[15:16], v[20:21], v[22:23]
	v_div_fmas_f64 v[15:16], v[15:16], v[18:19], v[20:21]
	v_div_fixup_f64 v[15:16], v[15:16], v[13:14], 1.0
.LBB143_1085:
	s_or_b64 exec, exec, s[14:15]
	s_and_b64 s[12:13], s[12:13], exec
                                        ; implicit-def: $vgpr13_vgpr14
	s_andn2_saveexec_b64 s[8:9], s[8:9]
	s_cbranch_execz .LBB143_40
.LBB143_1086:
	v_lshlrev_b64 v[13:14], 3, v[13:14]
	v_mov_b32_e32 v15, s94
	v_add_co_u32_e32 v13, vcc, s91, v13
	v_addc_co_u32_e32 v14, vcc, v15, v14, vcc
	flat_load_dwordx2 v[15:16], v[13:14]
	s_or_b64 s[12:13], s[12:13], exec
	s_waitcnt vmcnt(0) lgkmcnt(0)
	v_xor_b32_e32 v16, 0x80000000, v16
	s_or_b64 exec, exec, s[8:9]
	s_and_saveexec_b64 s[8:9], s[12:13]
	s_cbranch_execnz .LBB143_41
	s_branch .LBB143_42
.LBB143_1087:
	v_cmp_ne_u32_e32 vcc, v0, v1
	s_xor_b64 s[12:13], s[2:3], -1
	s_or_b64 s[14:15], s[12:13], vcc
	s_mov_b64 s[12:13], 0
	s_and_saveexec_b64 s[16:17], s[14:15]
	s_xor_b64 s[14:15], exec, s[16:17]
; %bb.1088:
	v_or_b32_e32 v13, v1, v0
	v_cmp_gt_u32_e32 vcc, 64, v13
	s_and_b64 s[12:13], vcc, exec
                                        ; implicit-def: $vgpr13_vgpr14
; %bb.1089:
	s_or_saveexec_b64 s[14:15], s[14:15]
	v_mov_b32_e32 v15, 0
	v_mov_b32_e32 v16, 0
	s_xor_b64 exec, exec, s[14:15]
	s_cbranch_execz .LBB143_1091
; %bb.1090:
	v_lshlrev_b64 v[13:14], 3, v[13:14]
	v_mov_b32_e32 v15, s94
	v_add_co_u32_e32 v13, vcc, s91, v13
	v_addc_co_u32_e32 v14, vcc, v15, v14, vcc
	flat_load_dwordx2 v[13:14], v[13:14]
	s_or_b64 s[12:13], s[12:13], exec
	s_waitcnt vmcnt(0) lgkmcnt(0)
	v_div_scale_f64 v[15:16], s[16:17], v[13:14], v[13:14], 1.0
	v_div_scale_f64 v[22:23], vcc, 1.0, v[13:14], 1.0
	v_rcp_f64_e32 v[18:19], v[15:16]
	v_fma_f64 v[20:21], -v[15:16], v[18:19], 1.0
	v_fma_f64 v[18:19], v[18:19], v[20:21], v[18:19]
	v_fma_f64 v[20:21], -v[15:16], v[18:19], 1.0
	v_fma_f64 v[18:19], v[18:19], v[20:21], v[18:19]
	v_mul_f64 v[20:21], v[22:23], v[18:19]
	v_fma_f64 v[15:16], -v[15:16], v[20:21], v[22:23]
	v_div_fmas_f64 v[15:16], v[15:16], v[18:19], v[20:21]
	v_div_fixup_f64 v[15:16], v[15:16], v[13:14], 1.0
.LBB143_1091:
	s_or_b64 exec, exec, s[14:15]
	s_and_b64 s[12:13], s[12:13], exec
                                        ; implicit-def: $vgpr13_vgpr14
	s_andn2_saveexec_b64 s[8:9], s[8:9]
	s_cbranch_execz .LBB143_44
.LBB143_1092:
	v_lshlrev_b64 v[13:14], 3, v[13:14]
	v_mov_b32_e32 v15, s94
	v_add_co_u32_e32 v13, vcc, s91, v13
	v_addc_co_u32_e32 v14, vcc, v15, v14, vcc
	flat_load_dwordx2 v[15:16], v[13:14]
	s_or_b64 s[12:13], s[12:13], exec
	s_waitcnt vmcnt(0) lgkmcnt(0)
	v_xor_b32_e32 v16, 0x80000000, v16
	s_or_b64 exec, exec, s[8:9]
	s_and_saveexec_b64 s[8:9], s[12:13]
	s_cbranch_execnz .LBB143_45
	s_branch .LBB143_46
.LBB143_1093:
	s_or_b64 exec, exec, s[10:11]
	s_and_b64 vcc, exec, s[8:9]
	s_cbranch_vccnz .LBB143_1031
.LBB143_1094:
	v_mov_b32_e32 v12, v2
	v_mov_b32_e32 v11, v1
	s_and_saveexec_b64 s[2:3], s[6:7]
	s_cbranch_execnz .LBB143_1052
	s_branch .LBB143_1053
.LBB143_1095:
	s_andn2_b64 s[4:5], s[6:7], exec
	s_and_b64 s[6:7], s[2:3], exec
	s_or_b64 s[6:7], s[4:5], s[6:7]
	s_cbranch_execnz .LBB143_1051
.LBB143_1096:
	v_cmp_gt_i32_e32 vcc, s90, v0
	s_and_b64 s[2:3], s[2:3], vcc
	s_andn2_b64 s[4:5], s[6:7], exec
	s_and_b64 s[2:3], s[2:3], exec
	s_or_b64 s[6:7], s[4:5], s[2:3]
	s_and_saveexec_b64 s[2:3], s[6:7]
	s_cbranch_execnz .LBB143_1052
	s_branch .LBB143_1053
.LBB143_1097:
	v_lshlrev_b32_e32 v21, 3, v20
	v_sub_u32_e32 v21, v18, v21
	v_lshl_add_u32 v21, v19, 3, v21
	ds_read_b64 v[21:22], v21 offset:544
	ds_read_b64 v[23:24], v18 offset:8
	s_waitcnt lgkmcnt(0)
	v_fma_f64 v[11:12], v[21:22], v[23:24], v[11:12]
	s_or_b64 exec, exec, s[14:15]
	v_cmp_gt_u32_e64 s[10:11], 8, v14
	s_and_saveexec_b64 s[14:15], s[10:11]
	s_cbranch_execz .LBB143_79
.LBB143_1098:
	ds_read_b64 v[21:22], v16 offset:1056
	ds_read_b64 v[23:24], v18 offset:16
	s_waitcnt lgkmcnt(0)
	v_fma_f64 v[11:12], v[21:22], v[23:24], v[11:12]
	s_or_b64 exec, exec, s[14:15]
	v_cmp_gt_u32_e64 s[10:11], 4, v14
	s_and_saveexec_b64 s[14:15], s[10:11]
	s_cbranch_execnz .LBB143_80
	s_branch .LBB143_81
.LBB143_1099:
	v_lshlrev_b32_e32 v26, 3, v25
	v_sub_u32_e32 v26, v23, v26
	v_lshl_add_u32 v26, v24, 3, v26
	ds_read_b64 v[26:27], v26 offset:576
	ds_read_b64 v[28:29], v23 offset:8
	s_waitcnt lgkmcnt(0)
	v_fma_f64 v[11:12], v[26:27], v[28:29], v[11:12]
	s_or_b64 exec, exec, s[16:17]
	v_cmp_gt_u32_e64 s[14:15], 48, v14
	s_and_saveexec_b64 s[16:17], s[14:15]
	s_cbranch_execz .LBB143_121
.LBB143_1100:
	v_lshlrev_b32_e32 v26, 3, v25
	v_sub_u32_e32 v26, v23, v26
	v_lshl_add_u32 v26, v24, 3, v26
	ds_read_b64 v[26:27], v26 offset:1088
	ds_read_b64 v[28:29], v23 offset:16
	s_waitcnt lgkmcnt(0)
	v_fma_f64 v[11:12], v[26:27], v[28:29], v[11:12]
	s_or_b64 exec, exec, s[16:17]
	v_cmp_gt_u32_e64 s[14:15], 40, v14
	s_and_saveexec_b64 s[16:17], s[14:15]
	s_cbranch_execz .LBB143_122
.LBB143_1101:
	v_lshlrev_b32_e32 v26, 3, v25
	v_sub_u32_e32 v26, v23, v26
	v_lshl_add_u32 v26, v24, 3, v26
	ds_read_b64 v[26:27], v26 offset:1600
	ds_read_b64 v[28:29], v23 offset:24
	s_waitcnt lgkmcnt(0)
	v_fma_f64 v[11:12], v[26:27], v[28:29], v[11:12]
	s_or_b64 exec, exec, s[16:17]
	v_cmp_gt_u32_e64 s[14:15], 32, v14
	s_and_saveexec_b64 s[16:17], s[14:15]
	s_cbranch_execz .LBB143_123
.LBB143_1102:
	ds_read_b64 v[26:27], v21 offset:2112
	ds_read_b64 v[28:29], v23 offset:32
	s_waitcnt lgkmcnt(0)
	v_fma_f64 v[11:12], v[26:27], v[28:29], v[11:12]
	s_or_b64 exec, exec, s[16:17]
	v_cmp_gt_u32_e64 s[14:15], 24, v14
	s_and_saveexec_b64 s[16:17], s[14:15]
	s_cbranch_execz .LBB143_124
.LBB143_1103:
	v_lshlrev_b32_e32 v26, 3, v25
	v_sub_u32_e32 v26, v23, v26
	v_lshl_add_u32 v26, v24, 3, v26
	ds_read_b64 v[26:27], v26 offset:2624
	ds_read_b64 v[28:29], v23 offset:40
	s_waitcnt lgkmcnt(0)
	v_fma_f64 v[11:12], v[26:27], v[28:29], v[11:12]
	s_or_b64 exec, exec, s[16:17]
	v_cmp_gt_u32_e64 s[14:15], 16, v14
	s_and_saveexec_b64 s[16:17], s[14:15]
	s_cbranch_execz .LBB143_125
.LBB143_1104:
	ds_read_b64 v[26:27], v21 offset:3136
	ds_read_b64 v[28:29], v23 offset:48
	s_waitcnt lgkmcnt(0)
	v_fma_f64 v[11:12], v[26:27], v[28:29], v[11:12]
	s_or_b64 exec, exec, s[16:17]
	v_cmp_gt_u32_e64 s[14:15], 8, v14
	s_and_saveexec_b64 s[16:17], s[14:15]
	s_cbranch_execnz .LBB143_126
	s_branch .LBB143_127
.LBB143_1105:
	v_lshlrev_b32_e32 v27, 3, v20
	v_sub_u32_e32 v27, v26, v27
	v_lshl_add_u32 v27, v19, 3, v27
	ds_read_b64 v[27:28], v27 offset:4704
	ds_read_b64 v[29:30], v26 offset:4168
	s_waitcnt lgkmcnt(0)
	v_fma_f64 v[11:12], v[27:28], v[29:30], v[11:12]
	s_or_b64 exec, exec, s[14:15]
	v_cmp_gt_u32_e64 s[10:11], 8, v14
	s_and_saveexec_b64 s[14:15], s[10:11]
	s_cbranch_execz .LBB143_183
.LBB143_1106:
	ds_read_b64 v[27:28], v16 offset:5216
	ds_read_b64 v[29:30], v26 offset:4176
	s_waitcnt lgkmcnt(0)
	v_fma_f64 v[11:12], v[27:28], v[29:30], v[11:12]
	s_or_b64 exec, exec, s[14:15]
	v_cmp_gt_u32_e64 s[10:11], 4, v14
	s_and_saveexec_b64 s[14:15], s[10:11]
	s_cbranch_execnz .LBB143_184
	s_branch .LBB143_185
.LBB143_1107:
	v_lshlrev_b32_e32 v31, 3, v27
	v_lshl_add_u32 v31, v29, 3, v31
	ds_read_b64 v[31:32], v31 offset:5760
	ds_read_b64 v[33:34], v28 offset:88
	s_waitcnt lgkmcnt(0)
	v_fma_f64 v[11:12], v[31:32], v[33:34], v[11:12]
	s_or_b64 exec, exec, s[20:21]
	v_cmp_gt_u32_e64 s[16:17], 64, v14
	s_and_saveexec_b64 s[20:21], s[16:17]
	s_cbranch_execz .LBB143_245
.LBB143_1108:
	ds_read_b64 v[31:32], v26 offset:6272
	ds_read_b64 v[33:34], v28 offset:96
	s_waitcnt lgkmcnt(0)
	v_fma_f64 v[11:12], v[31:32], v[33:34], v[11:12]
	s_or_b64 exec, exec, s[20:21]
	v_cmp_gt_u32_e64 s[16:17], 48, v14
	s_and_saveexec_b64 s[20:21], s[16:17]
	s_cbranch_execz .LBB143_246
.LBB143_1109:
	v_lshlrev_b32_e32 v31, 3, v27
	v_lshl_add_u32 v31, v29, 3, v31
	ds_read_b64 v[31:32], v31 offset:6784
	ds_read_b64 v[33:34], v28 offset:104
	s_waitcnt lgkmcnt(0)
	v_fma_f64 v[11:12], v[31:32], v[33:34], v[11:12]
	s_or_b64 exec, exec, s[20:21]
	v_cmp_gt_u32_e64 s[16:17], 32, v14
	s_and_saveexec_b64 s[20:21], s[16:17]
	s_cbranch_execz .LBB143_247
.LBB143_1110:
	ds_read_b64 v[31:32], v26 offset:7296
	ds_read_b64 v[33:34], v28 offset:112
	s_waitcnt lgkmcnt(0)
	v_fma_f64 v[11:12], v[31:32], v[33:34], v[11:12]
	s_or_b64 exec, exec, s[20:21]
	v_cmp_gt_u32_e64 s[16:17], 16, v14
	s_and_saveexec_b64 s[20:21], s[16:17]
	s_cbranch_execnz .LBB143_248
	s_branch .LBB143_249
.LBB143_1111:
	v_lshlrev_b32_e32 v32, 3, v20
	v_sub_u32_e32 v32, v31, v32
	v_lshl_add_u32 v32, v19, 3, v32
	ds_read_b64 v[32:33], v32 offset:8864
	ds_read_b64 v[34:35], v31 offset:8328
	s_waitcnt lgkmcnt(0)
	v_fma_f64 v[11:12], v[32:33], v[34:35], v[11:12]
	s_or_b64 exec, exec, s[16:17]
	v_cmp_gt_u32_e64 s[14:15], 8, v14
	s_and_saveexec_b64 s[16:17], s[14:15]
	s_cbranch_execz .LBB143_337
.LBB143_1112:
	ds_read_b64 v[32:33], v16 offset:9376
	ds_read_b64 v[34:35], v31 offset:8336
	s_waitcnt lgkmcnt(0)
	v_fma_f64 v[11:12], v[32:33], v[34:35], v[11:12]
	s_or_b64 exec, exec, s[16:17]
	v_cmp_gt_u32_e64 s[14:15], 4, v14
	s_and_saveexec_b64 s[16:17], s[14:15]
	s_cbranch_execnz .LBB143_338
	s_branch .LBB143_339
.LBB143_1113:
	v_lshlrev_b32_e32 v32, 3, v25
	v_sub_u32_e32 v32, v31, v32
	v_lshl_add_u32 v32, v24, 3, v32
	ds_read_b64 v[32:33], v32 offset:8896
	ds_read_b64 v[34:35], v31 offset:8328
	s_waitcnt lgkmcnt(0)
	v_fma_f64 v[11:12], v[32:33], v[34:35], v[11:12]
	s_or_b64 exec, exec, s[16:17]
	v_cmp_gt_u32_e64 s[14:15], 48, v14
	s_and_saveexec_b64 s[16:17], s[14:15]
	s_cbranch_execz .LBB143_379
.LBB143_1114:
	v_lshlrev_b32_e32 v32, 3, v25
	v_sub_u32_e32 v32, v31, v32
	v_lshl_add_u32 v32, v24, 3, v32
	ds_read_b64 v[32:33], v32 offset:9408
	ds_read_b64 v[34:35], v31 offset:8336
	s_waitcnt lgkmcnt(0)
	v_fma_f64 v[11:12], v[32:33], v[34:35], v[11:12]
	s_or_b64 exec, exec, s[16:17]
	v_cmp_gt_u32_e64 s[14:15], 40, v14
	s_and_saveexec_b64 s[16:17], s[14:15]
	s_cbranch_execz .LBB143_380
.LBB143_1115:
	v_lshlrev_b32_e32 v32, 3, v25
	v_sub_u32_e32 v32, v31, v32
	v_lshl_add_u32 v32, v24, 3, v32
	ds_read_b64 v[32:33], v32 offset:9920
	ds_read_b64 v[34:35], v31 offset:8344
	s_waitcnt lgkmcnt(0)
	v_fma_f64 v[11:12], v[32:33], v[34:35], v[11:12]
	s_or_b64 exec, exec, s[16:17]
	v_cmp_gt_u32_e64 s[14:15], 32, v14
	s_and_saveexec_b64 s[16:17], s[14:15]
	s_cbranch_execz .LBB143_381
.LBB143_1116:
	ds_read_b64 v[32:33], v21 offset:10432
	ds_read_b64 v[34:35], v31 offset:8352
	s_waitcnt lgkmcnt(0)
	v_fma_f64 v[11:12], v[32:33], v[34:35], v[11:12]
	s_or_b64 exec, exec, s[16:17]
	v_cmp_gt_u32_e64 s[14:15], 24, v14
	s_and_saveexec_b64 s[16:17], s[14:15]
	s_cbranch_execz .LBB143_382
.LBB143_1117:
	v_lshlrev_b32_e32 v32, 3, v25
	v_sub_u32_e32 v32, v31, v32
	v_lshl_add_u32 v32, v24, 3, v32
	ds_read_b64 v[32:33], v32 offset:10944
	ds_read_b64 v[34:35], v31 offset:8360
	s_waitcnt lgkmcnt(0)
	v_fma_f64 v[11:12], v[32:33], v[34:35], v[11:12]
	s_or_b64 exec, exec, s[16:17]
	v_cmp_gt_u32_e64 s[14:15], 16, v14
	s_and_saveexec_b64 s[16:17], s[14:15]
	s_cbranch_execz .LBB143_383
.LBB143_1118:
	ds_read_b64 v[32:33], v21 offset:11456
	ds_read_b64 v[34:35], v31 offset:8368
	s_waitcnt lgkmcnt(0)
	v_fma_f64 v[11:12], v[32:33], v[34:35], v[11:12]
	s_or_b64 exec, exec, s[16:17]
	v_cmp_gt_u32_e64 s[14:15], 8, v14
	s_and_saveexec_b64 s[16:17], s[14:15]
	s_cbranch_execnz .LBB143_384
	s_branch .LBB143_385
.LBB143_1119:
	v_lshlrev_b32_e32 v32, 3, v20
	v_sub_u32_e32 v32, v31, v32
	v_lshl_add_u32 v32, v19, 3, v32
	ds_read_b64 v[32:33], v32 offset:13024
	ds_read_b64 v[34:35], v31 offset:12488
	s_waitcnt lgkmcnt(0)
	v_fma_f64 v[11:12], v[32:33], v[34:35], v[11:12]
	s_or_b64 exec, exec, s[16:17]
	v_cmp_gt_u32_e64 s[14:15], 8, v14
	s_and_saveexec_b64 s[16:17], s[14:15]
	s_cbranch_execz .LBB143_441
.LBB143_1120:
	ds_read_b64 v[32:33], v16 offset:13536
	ds_read_b64 v[34:35], v31 offset:12496
	s_waitcnt lgkmcnt(0)
	v_fma_f64 v[11:12], v[32:33], v[34:35], v[11:12]
	s_or_b64 exec, exec, s[16:17]
	v_cmp_gt_u32_e64 s[14:15], 4, v14
	s_and_saveexec_b64 s[16:17], s[14:15]
	s_cbranch_execnz .LBB143_442
	s_branch .LBB143_443
.LBB143_1121:
	ds_read_b64 v[35:36], v31 offset:15104
	ds_read_b64 v[37:38], v34 offset:232
	s_waitcnt lgkmcnt(0)
	v_fma_f64 v[11:12], v[35:36], v[37:38], v[11:12]
	s_or_b64 exec, exec, s[38:39]
	v_cmp_gt_u32_e64 s[20:21], 64, v14
	s_and_saveexec_b64 s[38:39], s[20:21]
	s_cbranch_execz .LBB143_539
.LBB143_1122:
	ds_read_b64 v[35:36], v31 offset:15616
	ds_read_b64 v[37:38], v34 offset:240
	s_waitcnt lgkmcnt(0)
	v_fma_f64 v[11:12], v[35:36], v[37:38], v[11:12]
	s_or_b64 exec, exec, s[38:39]
	v_cmp_gt_u32_e64 s[20:21], 32, v14
	s_and_saveexec_b64 s[38:39], s[20:21]
	s_cbranch_execnz .LBB143_540
	s_branch .LBB143_541
.LBB143_1123:
	v_lshlrev_b32_e32 v32, 3, v20
	v_sub_u32_e32 v32, v31, v32
	v_lshl_add_u32 v32, v19, 3, v32
	ds_read_b64 v[32:33], v32 offset:17184
	ds_read_b64 v[34:35], v31 offset:16648
	s_waitcnt lgkmcnt(0)
	v_fma_f64 v[11:12], v[32:33], v[34:35], v[11:12]
	s_or_b64 exec, exec, s[14:15]
	v_cmp_gt_u32_e64 s[12:13], 8, v14
	s_and_saveexec_b64 s[14:15], s[12:13]
	s_cbranch_execz .LBB143_585
.LBB143_1124:
	ds_read_b64 v[32:33], v16 offset:17696
	ds_read_b64 v[34:35], v31 offset:16656
	s_waitcnt lgkmcnt(0)
	v_fma_f64 v[11:12], v[32:33], v[34:35], v[11:12]
	s_or_b64 exec, exec, s[14:15]
	v_cmp_gt_u32_e64 s[12:13], 4, v14
	s_and_saveexec_b64 s[14:15], s[12:13]
	s_cbranch_execnz .LBB143_586
	s_branch .LBB143_587
.LBB143_1125:
	v_lshlrev_b32_e32 v32, 3, v25
	v_sub_u32_e32 v32, v31, v32
	v_lshl_add_u32 v32, v24, 3, v32
	ds_read_b64 v[32:33], v32 offset:17216
	ds_read_b64 v[34:35], v31 offset:16648
	s_waitcnt lgkmcnt(0)
	v_fma_f64 v[11:12], v[32:33], v[34:35], v[11:12]
	s_or_b64 exec, exec, s[14:15]
	v_cmp_gt_u32_e64 s[12:13], 48, v14
	s_and_saveexec_b64 s[14:15], s[12:13]
	s_cbranch_execz .LBB143_627
.LBB143_1126:
	v_lshlrev_b32_e32 v32, 3, v25
	v_sub_u32_e32 v32, v31, v32
	v_lshl_add_u32 v32, v24, 3, v32
	ds_read_b64 v[32:33], v32 offset:17728
	ds_read_b64 v[34:35], v31 offset:16656
	s_waitcnt lgkmcnt(0)
	v_fma_f64 v[11:12], v[32:33], v[34:35], v[11:12]
	s_or_b64 exec, exec, s[14:15]
	v_cmp_gt_u32_e64 s[12:13], 40, v14
	s_and_saveexec_b64 s[14:15], s[12:13]
	s_cbranch_execz .LBB143_628
.LBB143_1127:
	v_lshlrev_b32_e32 v32, 3, v25
	v_sub_u32_e32 v32, v31, v32
	v_lshl_add_u32 v32, v24, 3, v32
	ds_read_b64 v[32:33], v32 offset:18240
	ds_read_b64 v[34:35], v31 offset:16664
	s_waitcnt lgkmcnt(0)
	v_fma_f64 v[11:12], v[32:33], v[34:35], v[11:12]
	s_or_b64 exec, exec, s[14:15]
	v_cmp_gt_u32_e64 s[12:13], 32, v14
	s_and_saveexec_b64 s[14:15], s[12:13]
	s_cbranch_execz .LBB143_629
.LBB143_1128:
	ds_read_b64 v[32:33], v21 offset:18752
	ds_read_b64 v[34:35], v31 offset:16672
	s_waitcnt lgkmcnt(0)
	v_fma_f64 v[11:12], v[32:33], v[34:35], v[11:12]
	s_or_b64 exec, exec, s[14:15]
	v_cmp_gt_u32_e64 s[12:13], 24, v14
	s_and_saveexec_b64 s[14:15], s[12:13]
	s_cbranch_execz .LBB143_630
.LBB143_1129:
	v_lshlrev_b32_e32 v32, 3, v25
	v_sub_u32_e32 v32, v31, v32
	v_lshl_add_u32 v32, v24, 3, v32
	ds_read_b64 v[32:33], v32 offset:19264
	ds_read_b64 v[34:35], v31 offset:16680
	s_waitcnt lgkmcnt(0)
	v_fma_f64 v[11:12], v[32:33], v[34:35], v[11:12]
	s_or_b64 exec, exec, s[14:15]
	v_cmp_gt_u32_e64 s[12:13], 16, v14
	s_and_saveexec_b64 s[14:15], s[12:13]
	s_cbranch_execz .LBB143_631
.LBB143_1130:
	ds_read_b64 v[32:33], v21 offset:19776
	ds_read_b64 v[34:35], v31 offset:16688
	s_waitcnt lgkmcnt(0)
	v_fma_f64 v[11:12], v[32:33], v[34:35], v[11:12]
	s_or_b64 exec, exec, s[14:15]
	v_cmp_gt_u32_e64 s[12:13], 8, v14
	s_and_saveexec_b64 s[14:15], s[12:13]
	s_cbranch_execnz .LBB143_632
	s_branch .LBB143_633
.LBB143_1131:
	v_lshlrev_b32_e32 v32, 3, v20
	v_sub_u32_e32 v32, v31, v32
	v_lshl_add_u32 v32, v19, 3, v32
	ds_read_b64 v[32:33], v32 offset:21344
	ds_read_b64 v[34:35], v31 offset:20808
	s_waitcnt lgkmcnt(0)
	v_fma_f64 v[11:12], v[32:33], v[34:35], v[11:12]
	s_or_b64 exec, exec, s[14:15]
	v_cmp_gt_u32_e64 s[12:13], 8, v14
	s_and_saveexec_b64 s[14:15], s[12:13]
	s_cbranch_execz .LBB143_689
.LBB143_1132:
	ds_read_b64 v[32:33], v16 offset:21856
	ds_read_b64 v[34:35], v31 offset:20816
	s_waitcnt lgkmcnt(0)
	v_fma_f64 v[11:12], v[32:33], v[34:35], v[11:12]
	s_or_b64 exec, exec, s[14:15]
	v_cmp_gt_u32_e64 s[12:13], 4, v14
	s_and_saveexec_b64 s[14:15], s[12:13]
	s_cbranch_execnz .LBB143_690
	s_branch .LBB143_691
.LBB143_1133:
	v_lshlrev_b32_e32 v30, 3, v27
	v_lshl_add_u32 v30, v29, 3, v30
	ds_read_b64 v[32:33], v30 offset:22400
	ds_read_b64 v[34:35], v31 offset:16728
	s_waitcnt lgkmcnt(0)
	v_fma_f64 v[11:12], v[32:33], v[34:35], v[11:12]
	s_or_b64 exec, exec, s[14:15]
	v_cmp_gt_u32_e64 s[12:13], 64, v14
	s_and_saveexec_b64 s[14:15], s[12:13]
	s_cbranch_execz .LBB143_751
.LBB143_1134:
	ds_read_b64 v[32:33], v26 offset:22912
	ds_read_b64 v[34:35], v31 offset:16736
	s_waitcnt lgkmcnt(0)
	v_fma_f64 v[11:12], v[32:33], v[34:35], v[11:12]
	s_or_b64 exec, exec, s[14:15]
	v_cmp_gt_u32_e64 s[12:13], 48, v14
	s_and_saveexec_b64 s[14:15], s[12:13]
	s_cbranch_execz .LBB143_752
.LBB143_1135:
	v_lshlrev_b32_e32 v30, 3, v27
	v_lshl_add_u32 v29, v29, 3, v30
	ds_read_b64 v[29:30], v29 offset:23424
	ds_read_b64 v[32:33], v31 offset:16744
	s_waitcnt lgkmcnt(0)
	v_fma_f64 v[11:12], v[29:30], v[32:33], v[11:12]
	s_or_b64 exec, exec, s[14:15]
	v_cmp_gt_u32_e64 s[12:13], 32, v14
	s_and_saveexec_b64 s[14:15], s[12:13]
	s_cbranch_execz .LBB143_753
.LBB143_1136:
	ds_read_b64 v[29:30], v26 offset:23936
	ds_read_b64 v[31:32], v31 offset:16752
	s_waitcnt lgkmcnt(0)
	v_fma_f64 v[11:12], v[29:30], v[31:32], v[11:12]
	s_or_b64 exec, exec, s[14:15]
	v_cmp_gt_u32_e64 s[12:13], 16, v14
	s_and_saveexec_b64 s[14:15], s[12:13]
	s_cbranch_execnz .LBB143_754
	s_branch .LBB143_755
.LBB143_1137:
	v_lshlrev_b32_e32 v27, 3, v20
	v_sub_u32_e32 v27, v26, v27
	v_lshl_add_u32 v27, v19, 3, v27
	ds_read_b64 v[27:28], v27 offset:25504
	ds_read_b64 v[29:30], v26 offset:24968
	s_waitcnt lgkmcnt(0)
	v_fma_f64 v[11:12], v[27:28], v[29:30], v[11:12]
	s_or_b64 exec, exec, s[12:13]
	v_cmp_gt_u32_e64 s[10:11], 8, v14
	s_and_saveexec_b64 s[12:13], s[10:11]
	s_cbranch_execz .LBB143_843
.LBB143_1138:
	ds_read_b64 v[27:28], v16 offset:26016
	ds_read_b64 v[29:30], v26 offset:24976
	s_waitcnt lgkmcnt(0)
	v_fma_f64 v[11:12], v[27:28], v[29:30], v[11:12]
	s_or_b64 exec, exec, s[12:13]
	v_cmp_gt_u32_e64 s[10:11], 4, v14
	s_and_saveexec_b64 s[12:13], s[10:11]
	s_cbranch_execnz .LBB143_844
	s_branch .LBB143_845
.LBB143_1139:
	v_lshlrev_b32_e32 v27, 3, v25
	v_sub_u32_e32 v27, v26, v27
	v_lshl_add_u32 v27, v24, 3, v27
	ds_read_b64 v[27:28], v27 offset:25536
	ds_read_b64 v[29:30], v26 offset:24968
	s_waitcnt lgkmcnt(0)
	v_fma_f64 v[11:12], v[27:28], v[29:30], v[11:12]
	s_or_b64 exec, exec, s[12:13]
	v_cmp_gt_u32_e64 s[10:11], 48, v14
	s_and_saveexec_b64 s[12:13], s[10:11]
	s_cbranch_execz .LBB143_885
.LBB143_1140:
	v_lshlrev_b32_e32 v27, 3, v25
	v_sub_u32_e32 v27, v26, v27
	v_lshl_add_u32 v27, v24, 3, v27
	ds_read_b64 v[27:28], v27 offset:26048
	ds_read_b64 v[29:30], v26 offset:24976
	s_waitcnt lgkmcnt(0)
	v_fma_f64 v[11:12], v[27:28], v[29:30], v[11:12]
	s_or_b64 exec, exec, s[12:13]
	v_cmp_gt_u32_e64 s[10:11], 40, v14
	s_and_saveexec_b64 s[12:13], s[10:11]
	s_cbranch_execz .LBB143_886
.LBB143_1141:
	v_lshlrev_b32_e32 v27, 3, v25
	v_sub_u32_e32 v27, v26, v27
	v_lshl_add_u32 v27, v24, 3, v27
	ds_read_b64 v[27:28], v27 offset:26560
	ds_read_b64 v[29:30], v26 offset:24984
	s_waitcnt lgkmcnt(0)
	v_fma_f64 v[11:12], v[27:28], v[29:30], v[11:12]
	s_or_b64 exec, exec, s[12:13]
	v_cmp_gt_u32_e64 s[10:11], 32, v14
	s_and_saveexec_b64 s[12:13], s[10:11]
	s_cbranch_execz .LBB143_887
.LBB143_1142:
	ds_read_b64 v[27:28], v21 offset:27072
	ds_read_b64 v[29:30], v26 offset:24992
	s_waitcnt lgkmcnt(0)
	v_fma_f64 v[11:12], v[27:28], v[29:30], v[11:12]
	s_or_b64 exec, exec, s[12:13]
	v_cmp_gt_u32_e64 s[10:11], 24, v14
	s_and_saveexec_b64 s[12:13], s[10:11]
	s_cbranch_execz .LBB143_888
.LBB143_1143:
	v_lshlrev_b32_e32 v25, 3, v25
	v_sub_u32_e32 v25, v26, v25
	v_lshl_add_u32 v24, v24, 3, v25
	ds_read_b64 v[24:25], v24 offset:27584
	ds_read_b64 v[27:28], v26 offset:25000
	s_waitcnt lgkmcnt(0)
	v_fma_f64 v[11:12], v[24:25], v[27:28], v[11:12]
	s_or_b64 exec, exec, s[12:13]
	v_cmp_gt_u32_e64 s[10:11], 16, v14
	s_and_saveexec_b64 s[12:13], s[10:11]
	s_cbranch_execz .LBB143_889
.LBB143_1144:
	ds_read_b64 v[24:25], v21 offset:28096
	ds_read_b64 v[26:27], v26 offset:25008
	s_waitcnt lgkmcnt(0)
	v_fma_f64 v[11:12], v[24:25], v[26:27], v[11:12]
	s_or_b64 exec, exec, s[12:13]
	v_cmp_gt_u32_e64 s[10:11], 8, v14
	s_and_saveexec_b64 s[12:13], s[10:11]
	s_cbranch_execnz .LBB143_890
	s_branch .LBB143_891
.LBB143_1145:
	v_lshlrev_b32_e32 v20, 3, v20
	v_sub_u32_e32 v20, v21, v20
	v_lshl_add_u32 v19, v19, 3, v20
	ds_read_b64 v[19:20], v19 offset:29664
	ds_read_b64 v[22:23], v21 offset:29128
	s_waitcnt lgkmcnt(0)
	v_fma_f64 v[11:12], v[19:20], v[22:23], v[11:12]
	s_or_b64 exec, exec, s[10:11]
	v_cmp_gt_u32_e64 s[8:9], 8, v14
	s_and_saveexec_b64 s[10:11], s[8:9]
	s_cbranch_execz .LBB143_947
.LBB143_1146:
	ds_read_b64 v[19:20], v16 offset:30176
	ds_read_b64 v[21:22], v21 offset:29136
	s_waitcnt lgkmcnt(0)
	v_fma_f64 v[11:12], v[19:20], v[21:22], v[11:12]
	s_or_b64 exec, exec, s[10:11]
	v_cmp_gt_u32_e64 s[8:9], 4, v14
	s_and_saveexec_b64 s[10:11], s[8:9]
	s_cbranch_execnz .LBB143_948
	s_branch .LBB143_949
	.section	.rodata,"a",@progbits
	.p2align	6, 0x0
	.amdhsa_kernel _ZL19rocblas_trsv_deviceILi64ELi16ELb1ELb1ELb0ELb0EddPKPKdPKPdEviT7_lllT6_T8_lllPii
		.amdhsa_group_segment_fixed_size 41480
		.amdhsa_private_segment_fixed_size 0
		.amdhsa_kernarg_size 352
		.amdhsa_user_sgpr_count 6
		.amdhsa_user_sgpr_private_segment_buffer 1
		.amdhsa_user_sgpr_dispatch_ptr 0
		.amdhsa_user_sgpr_queue_ptr 0
		.amdhsa_user_sgpr_kernarg_segment_ptr 1
		.amdhsa_user_sgpr_dispatch_id 0
		.amdhsa_user_sgpr_flat_scratch_init 0
		.amdhsa_user_sgpr_private_segment_size 0
		.amdhsa_uses_dynamic_stack 0
		.amdhsa_system_sgpr_private_segment_wavefront_offset 0
		.amdhsa_system_sgpr_workgroup_id_x 1
		.amdhsa_system_sgpr_workgroup_id_y 0
		.amdhsa_system_sgpr_workgroup_id_z 1
		.amdhsa_system_sgpr_workgroup_info 0
		.amdhsa_system_vgpr_workitem_id 1
		.amdhsa_next_free_vgpr 49
		.amdhsa_next_free_sgpr 98
		.amdhsa_reserve_vcc 1
		.amdhsa_reserve_flat_scratch 0
		.amdhsa_float_round_mode_32 0
		.amdhsa_float_round_mode_16_64 0
		.amdhsa_float_denorm_mode_32 3
		.amdhsa_float_denorm_mode_16_64 3
		.amdhsa_dx10_clamp 1
		.amdhsa_ieee_mode 1
		.amdhsa_fp16_overflow 0
		.amdhsa_exception_fp_ieee_invalid_op 0
		.amdhsa_exception_fp_denorm_src 0
		.amdhsa_exception_fp_ieee_div_zero 0
		.amdhsa_exception_fp_ieee_overflow 0
		.amdhsa_exception_fp_ieee_underflow 0
		.amdhsa_exception_fp_ieee_inexact 0
		.amdhsa_exception_int_div_zero 0
	.end_amdhsa_kernel
	.section	.text._ZL19rocblas_trsv_deviceILi64ELi16ELb1ELb1ELb0ELb0EddPKPKdPKPdEviT7_lllT6_T8_lllPii,"axG",@progbits,_ZL19rocblas_trsv_deviceILi64ELi16ELb1ELb1ELb0ELb0EddPKPKdPKPdEviT7_lllT6_T8_lllPii,comdat
.Lfunc_end143:
	.size	_ZL19rocblas_trsv_deviceILi64ELi16ELb1ELb1ELb0ELb0EddPKPKdPKPdEviT7_lllT6_T8_lllPii, .Lfunc_end143-_ZL19rocblas_trsv_deviceILi64ELi16ELb1ELb1ELb0ELb0EddPKPKdPKPdEviT7_lllT6_T8_lllPii
                                        ; -- End function
	.set _ZL19rocblas_trsv_deviceILi64ELi16ELb1ELb1ELb0ELb0EddPKPKdPKPdEviT7_lllT6_T8_lllPii.num_vgpr, 43
	.set _ZL19rocblas_trsv_deviceILi64ELi16ELb1ELb1ELb0ELb0EddPKPKdPKPdEviT7_lllT6_T8_lllPii.num_agpr, 0
	.set _ZL19rocblas_trsv_deviceILi64ELi16ELb1ELb1ELb0ELb0EddPKPKdPKPdEviT7_lllT6_T8_lllPii.numbered_sgpr, 96
	.set _ZL19rocblas_trsv_deviceILi64ELi16ELb1ELb1ELb0ELb0EddPKPKdPKPdEviT7_lllT6_T8_lllPii.num_named_barrier, 0
	.set _ZL19rocblas_trsv_deviceILi64ELi16ELb1ELb1ELb0ELb0EddPKPKdPKPdEviT7_lllT6_T8_lllPii.private_seg_size, 0
	.set _ZL19rocblas_trsv_deviceILi64ELi16ELb1ELb1ELb0ELb0EddPKPKdPKPdEviT7_lllT6_T8_lllPii.uses_vcc, 1
	.set _ZL19rocblas_trsv_deviceILi64ELi16ELb1ELb1ELb0ELb0EddPKPKdPKPdEviT7_lllT6_T8_lllPii.uses_flat_scratch, 0
	.set _ZL19rocblas_trsv_deviceILi64ELi16ELb1ELb1ELb0ELb0EddPKPKdPKPdEviT7_lllT6_T8_lllPii.has_dyn_sized_stack, 0
	.set _ZL19rocblas_trsv_deviceILi64ELi16ELb1ELb1ELb0ELb0EddPKPKdPKPdEviT7_lllT6_T8_lllPii.has_recursion, 0
	.set _ZL19rocblas_trsv_deviceILi64ELi16ELb1ELb1ELb0ELb0EddPKPKdPKPdEviT7_lllT6_T8_lllPii.has_indirect_call, 0
	.section	.AMDGPU.csdata,"",@progbits
; Kernel info:
; codeLenInByte = 38644
; TotalNumSgprs: 100
; NumVgprs: 43
; ScratchSize: 0
; MemoryBound: 0
; FloatMode: 240
; IeeeMode: 1
; LDSByteSize: 41480 bytes/workgroup (compile time only)
; SGPRBlocks: 12
; VGPRBlocks: 12
; NumSGPRsForWavesPerEU: 102
; NumVGPRsForWavesPerEU: 49
; Occupancy: 4
; WaveLimiterHint : 1
; COMPUTE_PGM_RSRC2:SCRATCH_EN: 0
; COMPUTE_PGM_RSRC2:USER_SGPR: 6
; COMPUTE_PGM_RSRC2:TRAP_HANDLER: 0
; COMPUTE_PGM_RSRC2:TGID_X_EN: 1
; COMPUTE_PGM_RSRC2:TGID_Y_EN: 0
; COMPUTE_PGM_RSRC2:TGID_Z_EN: 1
; COMPUTE_PGM_RSRC2:TIDIG_COMP_CNT: 1
	.section	.text._ZL19rocblas_trsv_deviceILi64ELi16ELb1ELb1ELb1ELb0EddPKPKdPKPdEviT7_lllT6_T8_lllPii,"axG",@progbits,_ZL19rocblas_trsv_deviceILi64ELi16ELb1ELb1ELb1ELb0EddPKPKdPKPdEviT7_lllT6_T8_lllPii,comdat
	.globl	_ZL19rocblas_trsv_deviceILi64ELi16ELb1ELb1ELb1ELb0EddPKPKdPKPdEviT7_lllT6_T8_lllPii ; -- Begin function _ZL19rocblas_trsv_deviceILi64ELi16ELb1ELb1ELb1ELb0EddPKPKdPKPdEviT7_lllT6_T8_lllPii
	.p2align	8
	.type	_ZL19rocblas_trsv_deviceILi64ELi16ELb1ELb1ELb1ELb0EddPKPKdPKPdEviT7_lllT6_T8_lllPii,@function
_ZL19rocblas_trsv_deviceILi64ELi16ELb1ELb1ELb1ELb0EddPKPKdPKPdEviT7_lllT6_T8_lllPii: ; @_ZL19rocblas_trsv_deviceILi64ELi16ELb1ELb1ELb1ELb0EddPKPKdPKPdEviT7_lllT6_T8_lllPii
; %bb.0:
	s_load_dwordx4 s[0:3], s[4:5], 0x8
	s_mov_b32 s22, s7
	s_mov_b32 s23, 0
	s_lshl_b64 s[8:9], s[22:23], 3
	v_mov_b32_e32 v2, v1
	s_waitcnt lgkmcnt(0)
	s_add_u32 s0, s0, s8
	s_addc_u32 s1, s1, s9
	s_load_dwordx2 s[10:11], s[0:1], 0x0
	s_load_dword s34, s[4:5], 0x0
	s_load_dwordx2 s[36:37], s[4:5], 0x18
	s_load_dwordx8 s[24:31], s[4:5], 0x28
	s_lshl_b64 s[0:1], s[2:3], 3
	s_waitcnt lgkmcnt(0)
	s_add_u32 s91, s10, s0
	s_addc_u32 s94, s11, s1
	s_load_dword s7, s[4:5], 0x60
	s_add_u32 s0, s26, s8
	s_addc_u32 s1, s27, s9
	s_load_dwordx2 s[20:21], s[0:1], 0x0
	s_load_dword s39, s[4:5], 0x6c
	s_waitcnt lgkmcnt(0)
	s_add_i32 s7, s7, -1
	s_sub_i32 s95, s7, s6
	s_cmp_lg_u32 s6, 0
	s_cbranch_scc0 .LBB144_1056
; %bb.1:
	s_lshl_b32 s33, s95, 6
	v_add_u32_e32 v1, s33, v0
	v_ashrrev_i32_e32 v3, 31, v1
	v_mul_lo_u32 v5, s36, v3
	v_mul_lo_u32 v6, s37, v1
	v_mad_u64_u32 v[3:4], s[0:1], s36, v1, 0
	v_add3_u32 v11, v2, s33, 64
	v_ashrrev_i32_e32 v12, 31, v11
	v_add3_u32 v4, v4, v5, v6
	v_lshlrev_b64 v[3:4], 3, v[3:4]
	v_cmp_gt_i32_e32 vcc, s34, v1
	v_mov_b32_e32 v1, s94
	v_add_co_u32_e64 v5, s[0:1], s91, v3
	v_addc_co_u32_e64 v1, s[0:1], v1, v4, s[0:1]
	v_lshlrev_b64 v[3:4], 3, v[11:12]
	v_add_co_u32_e64 v12, s[0:1], v5, v3
	v_addc_co_u32_e64 v13, s[0:1], v1, v4, s[0:1]
	v_cmp_gt_i32_e64 s[0:1], s34, v11
	v_mov_b32_e32 v3, 0
	v_mov_b32_e32 v5, 0
	v_mov_b32_e32 v4, 0
	v_mov_b32_e32 v6, 0
	s_and_b64 s[2:3], s[0:1], vcc
	s_barrier
	s_and_saveexec_b64 s[0:1], s[2:3]
	s_cbranch_execz .LBB144_3
; %bb.2:
	flat_load_dwordx2 v[5:6], v[12:13]
.LBB144_3:
	s_or_b64 exec, exec, s[0:1]
	v_add_u32_e32 v1, 16, v11
	v_cmp_gt_i32_e64 s[0:1], s34, v1
	s_and_b64 s[2:3], s[0:1], vcc
	s_waitcnt vmcnt(0) lgkmcnt(0)
	s_barrier
	s_and_saveexec_b64 s[0:1], s[2:3]
	s_cbranch_execz .LBB144_5
; %bb.4:
	flat_load_dwordx2 v[3:4], v[12:13] offset:128
.LBB144_5:
	s_or_b64 exec, exec, s[0:1]
	v_add_u32_e32 v1, 32, v11
	v_cmp_gt_i32_e64 s[0:1], s34, v1
	v_mov_b32_e32 v7, 0
	v_mov_b32_e32 v9, 0
	;; [unrolled: 1-line block ×4, first 2 shown]
	s_and_b64 s[2:3], s[0:1], vcc
	s_waitcnt vmcnt(0) lgkmcnt(0)
	s_barrier
	s_and_saveexec_b64 s[0:1], s[2:3]
	s_cbranch_execz .LBB144_7
; %bb.6:
	flat_load_dwordx2 v[9:10], v[12:13] offset:256
.LBB144_7:
	s_or_b64 exec, exec, s[0:1]
	v_add_u32_e32 v1, 48, v11
	v_cmp_gt_i32_e64 s[0:1], s34, v1
	s_and_b64 s[2:3], s[0:1], vcc
	s_waitcnt vmcnt(0) lgkmcnt(0)
	s_barrier
	s_and_saveexec_b64 s[0:1], s[2:3]
	s_cbranch_execz .LBB144_9
; %bb.8:
	flat_load_dwordx2 v[7:8], v[12:13] offset:384
.LBB144_9:
	s_or_b64 exec, exec, s[0:1]
	s_branch .LBB144_11
.LBB144_10:
	s_lshl_b32 s33, s95, 6
                                        ; implicit-def: $vgpr5_vgpr6
                                        ; implicit-def: $vgpr3_vgpr4
                                        ; implicit-def: $vgpr9_vgpr10
                                        ; implicit-def: $vgpr7_vgpr8
.LBB144_11:
	s_ashr_i32 s35, s34, 31
	s_lshr_b32 s0, s35, 26
	s_add_i32 s0, s34, s0
	s_andn2_b32 s0, s0, 63
	s_sub_i32 s90, s34, s0
	s_add_i32 s0, s34, -1
	s_ashr_i32 s1, s0, 31
	s_lshr_b32 s1, s1, 26
	s_add_i32 s0, s0, s1
	s_ashr_i32 s0, s0, 6
	s_cmp_eq_u32 s0, s95
	s_cselect_b64 s[0:1], -1, 0
	s_cmp_lg_u32 s90, 0
	s_cselect_b64 s[2:3], -1, 0
	s_and_b64 s[26:27], s[2:3], s[0:1]
	s_cmp_lt_i32 s6, 5
	s_cselect_b64 s[2:3], -1, 0
	s_or_b64 s[0:1], s[2:3], s[26:27]
	s_ashr_i32 s38, s33, 31
	s_add_u32 s10, s36, 1
	v_mov_b32_e32 v1, 0
	v_mov_b32_e32 v11, s33
	v_mad_u64_u32 v[11:12], s[8:9], s10, v11, v[0:1]
	s_addc_u32 s11, s37, 0
	s_mul_i32 s8, s10, s38
	s_mul_i32 s11, s11, s33
	s_add_i32 s8, s8, s11
	s_mov_b64 s[12:13], -1
	v_lshlrev_b32_e32 v17, 6, v0
	v_add_u32_e32 v12, s8, v12
	s_and_b64 vcc, exec, s[26:27]
	v_cmp_le_u32_e64 s[8:9], v0, v2
	s_cbranch_vccnz .LBB144_33
; %bb.12:
	v_mad_u64_u32 v[15:16], s[10:11], s36, v2, v[11:12]
	v_mov_b32_e32 v1, v16
	v_mad_u64_u32 v[13:14], s[10:11], s37, v2, v[1:2]
	s_mov_b64 s[10:11], 0
	v_mov_b32_e32 v16, v13
                                        ; implicit-def: $vgpr13_vgpr14
	s_and_saveexec_b64 s[12:13], s[8:9]
	s_xor_b64 s[8:9], exec, s[12:13]
	s_cbranch_execnz .LBB144_1057
; %bb.13:
	s_andn2_saveexec_b64 s[8:9], s[8:9]
	s_cbranch_execnz .LBB144_1062
.LBB144_14:
	s_or_b64 exec, exec, s[8:9]
	s_and_saveexec_b64 s[8:9], s[10:11]
.LBB144_15:
	v_add_u32_e32 v1, v2, v17
	v_lshl_add_u32 v15, v2, 6, v0
	v_cndmask_b32_e64 v1, v15, v1, s[2:3]
	v_lshlrev_b32_e32 v1, 3, v1
	ds_write_b64 v1, v[13:14]
.LBB144_16:
	s_or_b64 exec, exec, s[8:9]
	v_add_u32_e32 v1, 16, v2
	v_mad_u64_u32 v[15:16], s[2:3], s36, v1, v[11:12]
	v_cmp_le_u32_e32 vcc, v0, v1
	s_mov_b64 s[8:9], 0
	v_mov_b32_e32 v13, v16
	v_mad_u64_u32 v[13:14], s[2:3], s37, v1, v[13:14]
	v_mov_b32_e32 v16, v13
                                        ; implicit-def: $vgpr13_vgpr14
	s_and_saveexec_b64 s[2:3], vcc
	s_xor_b64 s[2:3], exec, s[2:3]
	s_cbranch_execnz .LBB144_1063
; %bb.17:
	s_andn2_saveexec_b64 s[2:3], s[2:3]
	s_cbranch_execnz .LBB144_1068
.LBB144_18:
	s_or_b64 exec, exec, s[2:3]
	s_and_saveexec_b64 s[2:3], s[8:9]
.LBB144_19:
	v_add_u32_e32 v15, v1, v17
	v_lshl_add_u32 v1, v1, 6, v0
	v_cndmask_b32_e64 v1, v1, v15, s[0:1]
	v_lshlrev_b32_e32 v1, 3, v1
	ds_write_b64 v1, v[13:14]
.LBB144_20:
	s_or_b64 exec, exec, s[2:3]
	v_add_u32_e32 v1, 32, v2
	v_mad_u64_u32 v[15:16], s[2:3], s36, v1, v[11:12]
	v_cmp_le_u32_e32 vcc, v0, v1
	s_mov_b64 s[8:9], 0
	v_mov_b32_e32 v13, v16
	v_mad_u64_u32 v[13:14], s[2:3], s37, v1, v[13:14]
	v_mov_b32_e32 v16, v13
                                        ; implicit-def: $vgpr13_vgpr14
	s_and_saveexec_b64 s[2:3], vcc
	s_xor_b64 s[2:3], exec, s[2:3]
	s_cbranch_execnz .LBB144_1069
; %bb.21:
	s_andn2_saveexec_b64 s[2:3], s[2:3]
	s_cbranch_execnz .LBB144_1074
.LBB144_22:
	s_or_b64 exec, exec, s[2:3]
	s_and_saveexec_b64 s[2:3], s[8:9]
.LBB144_23:
	v_add_u32_e32 v15, v1, v17
	v_lshl_add_u32 v1, v1, 6, v0
	v_cndmask_b32_e64 v1, v1, v15, s[0:1]
	v_lshlrev_b32_e32 v1, 3, v1
	ds_write_b64 v1, v[13:14]
.LBB144_24:
	s_or_b64 exec, exec, s[2:3]
	v_add_u32_e32 v1, 48, v2
	v_mad_u64_u32 v[15:16], s[2:3], s36, v1, v[11:12]
	v_cmp_le_u32_e32 vcc, v0, v1
	s_mov_b64 s[10:11], 0
	v_mov_b32_e32 v13, v16
	v_mad_u64_u32 v[13:14], s[2:3], s37, v1, v[13:14]
	v_mov_b32_e32 v16, v13
                                        ; implicit-def: $vgpr13_vgpr14
	s_and_saveexec_b64 s[2:3], vcc
	s_xor_b64 s[2:3], exec, s[2:3]
	s_cbranch_execz .LBB144_30
; %bb.25:
	v_cmp_ne_u32_e32 vcc, v0, v1
	s_mov_b64 s[8:9], 0
	s_and_saveexec_b64 s[10:11], vcc
	s_xor_b64 s[10:11], exec, s[10:11]
; %bb.26:
	v_or_b32_e32 v13, v1, v0
	v_cmp_gt_u32_e32 vcc, 64, v13
	s_and_b64 s[8:9], vcc, exec
                                        ; implicit-def: $vgpr15_vgpr16
; %bb.27:
	s_or_saveexec_b64 s[10:11], s[10:11]
	v_mov_b32_e32 v13, 0
	v_mov_b32_e32 v14, 0
	s_xor_b64 exec, exec, s[10:11]
	s_cbranch_execz .LBB144_29
; %bb.28:
	v_lshlrev_b64 v[13:14], 3, v[15:16]
	v_mov_b32_e32 v15, s94
	v_add_co_u32_e32 v13, vcc, s91, v13
	v_addc_co_u32_e32 v14, vcc, v15, v14, vcc
	flat_load_dwordx2 v[13:14], v[13:14]
	s_or_b64 s[8:9], s[8:9], exec
	s_waitcnt vmcnt(0) lgkmcnt(0)
	v_div_scale_f64 v[15:16], s[12:13], v[13:14], v[13:14], 1.0
	v_div_scale_f64 v[22:23], vcc, 1.0, v[13:14], 1.0
	v_rcp_f64_e32 v[18:19], v[15:16]
	v_fma_f64 v[20:21], -v[15:16], v[18:19], 1.0
	v_fma_f64 v[18:19], v[18:19], v[20:21], v[18:19]
	v_fma_f64 v[20:21], -v[15:16], v[18:19], 1.0
	v_fma_f64 v[18:19], v[18:19], v[20:21], v[18:19]
	v_mul_f64 v[20:21], v[22:23], v[18:19]
	v_fma_f64 v[15:16], -v[15:16], v[20:21], v[22:23]
	v_div_fmas_f64 v[15:16], v[15:16], v[18:19], v[20:21]
	v_div_fixup_f64 v[13:14], v[15:16], v[13:14], 1.0
.LBB144_29:
	s_or_b64 exec, exec, s[10:11]
	s_and_b64 s[10:11], s[8:9], exec
                                        ; implicit-def: $vgpr15_vgpr16
.LBB144_30:
	s_or_saveexec_b64 s[2:3], s[2:3]
	v_add_u32_e32 v18, v1, v17
	v_lshl_add_u32 v1, v1, 6, v0
	s_xor_b64 exec, exec, s[2:3]
	s_cbranch_execz .LBB144_32
; %bb.31:
	v_lshlrev_b64 v[13:14], 3, v[15:16]
	v_mov_b32_e32 v15, s94
	v_add_co_u32_e32 v13, vcc, s91, v13
	v_addc_co_u32_e32 v14, vcc, v15, v14, vcc
	flat_load_dwordx2 v[13:14], v[13:14]
	s_or_b64 s[10:11], s[10:11], exec
	s_waitcnt vmcnt(0) lgkmcnt(0)
	v_xor_b32_e32 v14, 0x80000000, v14
.LBB144_32:
	s_or_b64 exec, exec, s[2:3]
	v_cndmask_b32_e64 v1, v1, v18, s[0:1]
	s_branch .LBB144_55
.LBB144_33:
	s_mov_b64 s[10:11], 0
                                        ; implicit-def: $vgpr13_vgpr14
                                        ; implicit-def: $vgpr1
	s_and_b64 vcc, exec, s[12:13]
	s_cbranch_vccz .LBB144_55
; %bb.34:
	v_mad_u64_u32 v[13:14], s[2:3], s36, v2, v[11:12]
	v_cmp_le_u32_e32 vcc, v0, v2
	v_cmp_gt_i32_e64 s[2:3], s90, v0
	v_mov_b32_e32 v1, v14
	v_mad_u64_u32 v[14:15], s[8:9], s37, v2, v[1:2]
	v_max_i32_e32 v1, v2, v0
	v_cmp_le_i32_e64 s[8:9], s90, v1
	s_or_b64 s[8:9], s[8:9], vcc
	s_mov_b64 s[12:13], 0
                                        ; implicit-def: $vgpr15_vgpr16
	s_and_saveexec_b64 s[14:15], s[8:9]
	s_xor_b64 s[8:9], exec, s[14:15]
	s_cbranch_execnz .LBB144_1075
; %bb.35:
	s_andn2_saveexec_b64 s[8:9], s[8:9]
	s_cbranch_execnz .LBB144_1080
.LBB144_36:
	s_or_b64 exec, exec, s[8:9]
	s_and_saveexec_b64 s[8:9], s[12:13]
.LBB144_37:
	v_lshlrev_b32_e32 v1, 3, v17
	v_lshl_add_u32 v1, v2, 3, v1
	ds_write_b64 v1, v[15:16]
.LBB144_38:
	s_or_b64 exec, exec, s[8:9]
	v_add_u32_e32 v1, 16, v2
	v_mad_u64_u32 v[13:14], s[8:9], s36, v1, v[11:12]
	v_cmp_gt_u32_e32 vcc, v0, v1
	s_mov_b64 s[12:13], 0
	v_mad_u64_u32 v[14:15], s[8:9], s37, v1, v[14:15]
	v_cmp_gt_i32_e64 s[8:9], s90, v1
	s_and_b64 s[8:9], vcc, s[8:9]
	s_and_b64 s[8:9], s[2:3], s[8:9]
	s_xor_b64 s[8:9], s[8:9], -1
                                        ; implicit-def: $vgpr15_vgpr16
	s_and_saveexec_b64 s[14:15], s[8:9]
	s_xor_b64 s[8:9], exec, s[14:15]
	s_cbranch_execnz .LBB144_1081
; %bb.39:
	s_andn2_saveexec_b64 s[8:9], s[8:9]
	s_cbranch_execnz .LBB144_1086
.LBB144_40:
	s_or_b64 exec, exec, s[8:9]
	s_and_saveexec_b64 s[8:9], s[12:13]
.LBB144_41:
	v_add_u32_e32 v13, v1, v17
	v_lshl_add_u32 v1, v1, 6, v0
	v_cndmask_b32_e64 v1, v1, v13, s[0:1]
	v_lshlrev_b32_e32 v1, 3, v1
	ds_write_b64 v1, v[15:16]
.LBB144_42:
	s_or_b64 exec, exec, s[8:9]
	v_add_u32_e32 v1, 32, v2
	v_mad_u64_u32 v[13:14], s[8:9], s36, v1, v[11:12]
	v_cmp_gt_u32_e32 vcc, v0, v1
	s_mov_b64 s[12:13], 0
	v_mad_u64_u32 v[14:15], s[8:9], s37, v1, v[14:15]
	v_cmp_gt_i32_e64 s[8:9], s90, v1
	s_and_b64 s[8:9], vcc, s[8:9]
	s_and_b64 s[8:9], s[2:3], s[8:9]
	s_xor_b64 s[8:9], s[8:9], -1
                                        ; implicit-def: $vgpr15_vgpr16
	s_and_saveexec_b64 s[14:15], s[8:9]
	s_xor_b64 s[8:9], exec, s[14:15]
	s_cbranch_execnz .LBB144_1087
; %bb.43:
	s_andn2_saveexec_b64 s[8:9], s[8:9]
	s_cbranch_execnz .LBB144_1092
.LBB144_44:
	s_or_b64 exec, exec, s[8:9]
	s_and_saveexec_b64 s[8:9], s[12:13]
.LBB144_45:
	v_add_u32_e32 v13, v1, v17
	v_lshl_add_u32 v1, v1, 6, v0
	v_cndmask_b32_e64 v1, v1, v13, s[0:1]
	v_lshlrev_b32_e32 v1, 3, v1
	ds_write_b64 v1, v[15:16]
.LBB144_46:
	s_or_b64 exec, exec, s[8:9]
	v_add_u32_e32 v1, 48, v2
	v_mad_u64_u32 v[11:12], s[8:9], s36, v1, v[11:12]
	v_cmp_gt_u32_e32 vcc, v0, v1
	v_mad_u64_u32 v[12:13], s[8:9], s37, v1, v[12:13]
	v_cmp_gt_i32_e64 s[8:9], s90, v1
	s_and_b64 s[8:9], vcc, s[8:9]
	s_and_b64 s[8:9], s[2:3], s[8:9]
	s_xor_b64 s[8:9], s[8:9], -1
                                        ; implicit-def: $vgpr13_vgpr14
	s_and_saveexec_b64 s[12:13], s[8:9]
	s_xor_b64 s[8:9], exec, s[12:13]
	s_cbranch_execz .LBB144_52
; %bb.47:
	v_cmp_ne_u32_e32 vcc, v0, v1
	s_xor_b64 s[2:3], s[2:3], -1
	s_or_b64 s[12:13], s[2:3], vcc
	s_mov_b64 s[2:3], s[10:11]
	s_and_saveexec_b64 s[14:15], s[12:13]
	s_xor_b64 s[12:13], exec, s[14:15]
; %bb.48:
	v_or_b32_e32 v11, v1, v0
	v_cmp_gt_u32_e32 vcc, 64, v11
	s_andn2_b64 s[2:3], s[10:11], exec
	s_and_b64 s[14:15], vcc, exec
	s_or_b64 s[2:3], s[2:3], s[14:15]
                                        ; implicit-def: $vgpr11_vgpr12
; %bb.49:
	s_or_saveexec_b64 s[12:13], s[12:13]
	v_mov_b32_e32 v13, 0
	v_mov_b32_e32 v14, 0
	s_xor_b64 exec, exec, s[12:13]
	s_cbranch_execz .LBB144_51
; %bb.50:
	v_lshlrev_b64 v[11:12], 3, v[11:12]
	v_mov_b32_e32 v13, s94
	v_add_co_u32_e32 v11, vcc, s91, v11
	v_addc_co_u32_e32 v12, vcc, v13, v12, vcc
	flat_load_dwordx2 v[11:12], v[11:12]
	s_or_b64 s[2:3], s[2:3], exec
	s_waitcnt vmcnt(0) lgkmcnt(0)
	v_div_scale_f64 v[13:14], s[14:15], v[11:12], v[11:12], 1.0
	v_div_scale_f64 v[20:21], vcc, 1.0, v[11:12], 1.0
	v_rcp_f64_e32 v[15:16], v[13:14]
	v_fma_f64 v[18:19], -v[13:14], v[15:16], 1.0
	v_fma_f64 v[15:16], v[15:16], v[18:19], v[15:16]
	v_fma_f64 v[18:19], -v[13:14], v[15:16], 1.0
	v_fma_f64 v[15:16], v[15:16], v[18:19], v[15:16]
	v_mul_f64 v[18:19], v[20:21], v[15:16]
	v_fma_f64 v[13:14], -v[13:14], v[18:19], v[20:21]
	v_div_fmas_f64 v[13:14], v[13:14], v[15:16], v[18:19]
	v_div_fixup_f64 v[13:14], v[13:14], v[11:12], 1.0
.LBB144_51:
	s_or_b64 exec, exec, s[12:13]
	s_andn2_b64 s[10:11], s[10:11], exec
	s_and_b64 s[2:3], s[2:3], exec
	s_or_b64 s[10:11], s[10:11], s[2:3]
                                        ; implicit-def: $vgpr11_vgpr12
.LBB144_52:
	s_or_saveexec_b64 s[2:3], s[8:9]
	v_add_u32_e32 v15, v1, v17
	v_lshl_add_u32 v1, v1, 6, v0
	s_xor_b64 exec, exec, s[2:3]
	s_cbranch_execz .LBB144_54
; %bb.53:
	v_lshlrev_b64 v[11:12], 3, v[11:12]
	v_mov_b32_e32 v13, s94
	v_add_co_u32_e32 v11, vcc, s91, v11
	v_addc_co_u32_e32 v12, vcc, v13, v12, vcc
	flat_load_dwordx2 v[13:14], v[11:12]
	s_or_b64 s[10:11], s[10:11], exec
	s_waitcnt vmcnt(0) lgkmcnt(0)
	v_xor_b32_e32 v14, 0x80000000, v14
.LBB144_54:
	s_or_b64 exec, exec, s[2:3]
	v_cndmask_b32_e64 v1, v1, v15, s[0:1]
.LBB144_55:
	s_xor_b64 s[0:1], s[0:1], -1
	s_and_saveexec_b64 s[2:3], s[10:11]
; %bb.56:
	v_lshlrev_b32_e32 v1, 3, v1
	ds_write_b64 v1, v[13:14]
; %bb.57:
	s_or_b64 exec, exec, s[2:3]
	v_cndmask_b32_e64 v1, 0, 1, s[0:1]
	v_cmp_ne_u32_e64 s[42:43], 1, v1
	s_andn2_b64 vcc, exec, s[0:1]
	s_waitcnt vmcnt(0) lgkmcnt(0)
	s_barrier
	s_cbranch_vccnz .LBB144_987
; %bb.58:
	v_or_b32_e32 v1, v0, v2
	v_cmp_eq_u32_e32 vcc, 0, v1
	s_and_saveexec_b64 s[0:1], vcc
	s_cbranch_execz .LBB144_60
; %bb.59:
	v_mov_b32_e32 v1, 0
	ds_read_b128 v[11:14], v1
	ds_read_b64 v[15:16], v1 offset:520
	s_waitcnt lgkmcnt(0)
	v_mul_f64 v[11:12], v[11:12], v[15:16]
	v_mul_f64 v[11:12], v[13:14], v[11:12]
	ds_write2_b64 v1, v[11:12], v[11:12] offset0:1 offset1:64
.LBB144_60:
	s_or_b64 exec, exec, s[0:1]
	v_lshl_add_u32 v14, v2, 6, v0
	v_and_b32_e32 v16, 1, v0
	v_lshrrev_b32_e32 v15, 1, v14
	v_lshlrev_b32_e32 v1, 3, v16
	v_mov_b32_e32 v11, 0
	v_cmp_lt_u32_e64 s[8:9], 3, v14
	v_cmp_gt_u32_e64 s[2:3], 4, v14
	v_mov_b32_e32 v12, 0
	v_lshl_or_b32 v1, v15, 9, v1
	s_waitcnt lgkmcnt(0)
	s_barrier
	s_and_saveexec_b64 s[0:1], s[2:3]
	s_cbranch_execz .LBB144_64
; %bb.61:
	v_mul_u32_u24_e32 v13, 0x208, v15
	ds_read_b64 v[11:12], v1 offset:16
	ds_read_b64 v[17:18], v13
	v_cmp_gt_u32_e64 s[10:11], 2, v14
	s_waitcnt lgkmcnt(0)
	v_fma_f64 v[11:12], v[11:12], v[17:18], 0
	s_and_saveexec_b64 s[12:13], s[10:11]
	s_cbranch_execz .LBB144_63
; %bb.62:
	v_lshlrev_b32_e32 v13, 3, v0
	v_mov_b32_e32 v19, 0
	ds_read_b64 v[17:18], v13 offset:528
	ds_read_b64 v[19:20], v19 offset:8
	s_waitcnt lgkmcnt(0)
	v_fma_f64 v[11:12], v[17:18], v[19:20], v[11:12]
.LBB144_63:
	s_or_b64 exec, exec, s[12:13]
	v_xor_b32_e32 v12, 0x80000000, v12
.LBB144_64:
                                        ; implicit-def: $vgpr42 : SGPR spill to VGPR lane
	v_writelane_b32 v42, s42, 0
	v_writelane_b32 v42, s43, 1
	;; [unrolled: 1-line block ×5, first 2 shown]
	s_or_b64 exec, exec, s[0:1]
	v_mov_b32_e32 v13, 0x8000
	v_cmp_eq_u32_e64 s[10:11], 0, v16
	s_xor_b64 s[0:1], s[8:9], -1
	v_lshl_add_u32 v13, v15, 3, v13
	s_and_b64 s[42:43], s[10:11], s[0:1]
	s_and_saveexec_b64 s[8:9], s[42:43]
	s_cbranch_execz .LBB144_66
; %bb.65:
	v_mov_b32_e32 v17, 0
	ds_read_b64 v[17:18], v17 offset:1040
	s_waitcnt lgkmcnt(0)
	v_mul_f64 v[11:12], v[11:12], v[17:18]
	ds_write_b64 v13, v[11:12]
.LBB144_66:
	s_or_b64 exec, exec, s[8:9]
	v_cmp_ne_u32_e64 s[8:9], 0, v16
	s_and_b64 s[40:41], s[8:9], s[0:1]
	s_waitcnt lgkmcnt(0)
	s_barrier
	s_and_saveexec_b64 s[0:1], s[40:41]
	s_cbranch_execz .LBB144_68
; %bb.67:
	v_mov_b32_e32 v16, 0
	ds_read_b64 v[16:17], v16 offset:1048
	ds_read_b64 v[18:19], v13
	s_waitcnt lgkmcnt(0)
	v_fma_f64 v[11:12], v[16:17], v[18:19], v[11:12]
.LBB144_68:
	s_or_b64 exec, exec, s[0:1]
	s_barrier
	s_and_saveexec_b64 s[0:1], s[40:41]
	s_cbranch_execz .LBB144_70
; %bb.69:
	v_mov_b32_e32 v16, 0
	ds_read_b64 v[16:17], v16 offset:1560
	s_waitcnt lgkmcnt(0)
	v_mul_f64 v[11:12], v[11:12], v[16:17]
	ds_write_b64 v13, v[11:12]
.LBB144_70:
	s_or_b64 exec, exec, s[0:1]
	s_waitcnt lgkmcnt(0)
	s_barrier
	s_barrier
	s_and_saveexec_b64 s[0:1], s[2:3]
; %bb.71:
	v_xor_b32_e32 v12, 0x80000000, v12
	ds_write_b64 v1, v[11:12] offset:16
; %bb.72:
	s_or_b64 exec, exec, s[0:1]
	v_cmp_eq_u32_e64 s[12:13], 0, v2
	v_cmp_gt_u32_e64 s[8:9], 2, v0
	s_and_b64 s[44:45], s[12:13], s[8:9]
	s_waitcnt lgkmcnt(0)
	s_barrier
	s_barrier
	s_and_saveexec_b64 s[0:1], s[44:45]
	s_cbranch_execz .LBB144_74
; %bb.73:
	v_lshlrev_b32_e32 v16, 3, v0
	s_movk_i32 s8, 0x1f8
	v_mad_u32_u24 v17, v0, s8, v16
	ds_read_b64 v[11:12], v17 offset:16
	s_waitcnt lgkmcnt(0)
	ds_write_b64 v16, v[11:12] offset:1024
	ds_read_b64 v[11:12], v17 offset:24
	s_waitcnt lgkmcnt(0)
	ds_write_b64 v16, v[11:12] offset:1536
.LBB144_74:
	s_or_b64 exec, exec, s[0:1]
	s_waitcnt lgkmcnt(0)
	s_barrier
	s_and_saveexec_b64 s[0:1], vcc
	s_cbranch_execz .LBB144_76
; %bb.75:
	v_mov_b32_e32 v20, 0
	ds_read_b128 v[16:19], v20 offset:1040
	ds_read_b64 v[11:12], v20 offset:1560
	s_waitcnt lgkmcnt(0)
	v_mul_f64 v[11:12], v[16:17], v[11:12]
	v_mul_f64 v[11:12], v[18:19], v[11:12]
	ds_write2_b64 v20, v[11:12], v[11:12] offset0:131 offset1:194
.LBB144_76:
	s_or_b64 exec, exec, s[0:1]
	v_and_b32_e32 v19, 3, v0
	v_lshrrev_b32_e32 v20, 2, v14
	v_lshlrev_b32_e32 v17, 3, v19
	v_mov_b32_e32 v11, 0
	v_cmp_lt_u32_e64 s[8:9], 15, v14
	v_cmp_gt_u32_e64 s[18:19], 16, v14
	v_mov_b32_e32 v12, 0
	v_lshl_or_b32 v16, v20, 9, v17
	s_waitcnt lgkmcnt(0)
	s_barrier
	s_and_saveexec_b64 s[0:1], s[18:19]
	s_cbranch_execz .LBB144_82
; %bb.77:
	v_mul_u32_u24_e32 v18, 0x208, v20
	ds_read_b64 v[11:12], v16 offset:32
	ds_read_b64 v[21:22], v18
	v_cmp_gt_u32_e64 s[10:11], 12, v14
	s_waitcnt lgkmcnt(0)
	v_fma_f64 v[11:12], v[11:12], v[21:22], 0
	s_and_saveexec_b64 s[14:15], s[10:11]
	s_cbranch_execnz .LBB144_1097
; %bb.78:
	s_or_b64 exec, exec, s[14:15]
	v_cmp_gt_u32_e64 s[10:11], 8, v14
	s_and_saveexec_b64 s[14:15], s[10:11]
	s_cbranch_execnz .LBB144_1098
.LBB144_79:
	s_or_b64 exec, exec, s[14:15]
	v_cmp_gt_u32_e64 s[10:11], 4, v14
	s_and_saveexec_b64 s[14:15], s[10:11]
	s_cbranch_execz .LBB144_81
.LBB144_80:
	v_lshlrev_b32_e32 v18, 3, v0
	v_mov_b32_e32 v23, 0
	ds_read_b64 v[21:22], v18 offset:1568
	ds_read_b64 v[23:24], v23 offset:24
	s_waitcnt lgkmcnt(0)
	v_fma_f64 v[11:12], v[21:22], v[23:24], v[11:12]
.LBB144_81:
	s_or_b64 exec, exec, s[14:15]
	v_xor_b32_e32 v12, 0x80000000, v12
.LBB144_82:
	s_or_b64 exec, exec, s[0:1]
	v_mov_b32_e32 v18, 0x8000
	v_cmp_eq_u32_e64 s[10:11], 0, v19
	s_xor_b64 s[0:1], s[8:9], -1
	v_lshl_add_u32 v18, v20, 3, v18
	s_and_b64 s[48:49], s[10:11], s[0:1]
	s_and_saveexec_b64 s[8:9], s[48:49]
	s_cbranch_execz .LBB144_84
; %bb.83:
	v_mov_b32_e32 v21, 0
	ds_read_b64 v[21:22], v21 offset:2080
	s_waitcnt lgkmcnt(0)
	v_mul_f64 v[11:12], v[11:12], v[21:22]
	ds_write_b64 v18, v[11:12]
.LBB144_84:
	s_or_b64 exec, exec, s[8:9]
	v_cmp_ne_u32_e64 s[8:9], 0, v19
	s_and_b64 s[50:51], s[8:9], s[0:1]
	s_waitcnt lgkmcnt(0)
	s_barrier
	s_and_saveexec_b64 s[8:9], s[50:51]
	s_cbranch_execz .LBB144_86
; %bb.85:
	ds_read_b64 v[21:22], v17 offset:2080
	ds_read_b64 v[23:24], v18
	s_waitcnt lgkmcnt(0)
	v_fma_f64 v[11:12], v[21:22], v[23:24], v[11:12]
.LBB144_86:
	s_or_b64 exec, exec, s[8:9]
	v_cmp_eq_u32_e64 s[8:9], 1, v19
	s_and_b64 s[52:53], s[8:9], s[0:1]
	s_barrier
	s_and_saveexec_b64 s[8:9], s[52:53]
	s_cbranch_execz .LBB144_88
; %bb.87:
	v_mov_b32_e32 v21, 0
	ds_read_b64 v[21:22], v21 offset:2600
	s_waitcnt lgkmcnt(0)
	v_mul_f64 v[11:12], v[11:12], v[21:22]
	ds_write_b64 v18, v[11:12]
.LBB144_88:
	s_or_b64 exec, exec, s[8:9]
	v_cmp_lt_u32_e64 s[8:9], 1, v19
	s_and_b64 s[54:55], s[8:9], s[0:1]
	s_waitcnt lgkmcnt(0)
	s_barrier
	s_and_saveexec_b64 s[8:9], s[54:55]
	s_cbranch_execz .LBB144_90
; %bb.89:
	ds_read_b64 v[21:22], v17 offset:2592
	ds_read_b64 v[23:24], v18
	s_waitcnt lgkmcnt(0)
	v_fma_f64 v[11:12], v[21:22], v[23:24], v[11:12]
.LBB144_90:
	s_or_b64 exec, exec, s[8:9]
	v_cmp_eq_u32_e64 s[8:9], 2, v19
	s_and_b64 s[56:57], s[8:9], s[0:1]
	s_barrier
	s_and_saveexec_b64 s[8:9], s[56:57]
	s_cbranch_execz .LBB144_92
; %bb.91:
	v_mov_b32_e32 v21, 0
	ds_read_b64 v[21:22], v21 offset:3120
	s_waitcnt lgkmcnt(0)
	v_mul_f64 v[11:12], v[11:12], v[21:22]
	ds_write_b64 v18, v[11:12]
.LBB144_92:
	s_or_b64 exec, exec, s[8:9]
	v_cmp_eq_u32_e64 s[8:9], 3, v19
	s_and_b64 s[46:47], s[8:9], s[0:1]
	s_waitcnt lgkmcnt(0)
	s_barrier
	s_and_saveexec_b64 s[0:1], s[46:47]
	s_cbranch_execz .LBB144_94
; %bb.93:
	v_mov_b32_e32 v21, 0
	ds_read_b64 v[21:22], v21 offset:3128
	ds_read_b64 v[23:24], v18
	s_waitcnt lgkmcnt(0)
	v_fma_f64 v[11:12], v[21:22], v[23:24], v[11:12]
.LBB144_94:
	s_or_b64 exec, exec, s[0:1]
	s_barrier
	s_and_saveexec_b64 s[0:1], s[46:47]
	s_cbranch_execz .LBB144_96
; %bb.95:
	v_mov_b32_e32 v21, 0
	ds_read_b64 v[21:22], v21 offset:3640
	s_waitcnt lgkmcnt(0)
	v_mul_f64 v[11:12], v[11:12], v[21:22]
	ds_write_b64 v18, v[11:12]
.LBB144_96:
	s_or_b64 exec, exec, s[0:1]
	s_waitcnt lgkmcnt(0)
	s_barrier
	s_barrier
	s_and_saveexec_b64 s[0:1], s[18:19]
; %bb.97:
	v_xor_b32_e32 v12, 0x80000000, v12
	ds_write_b64 v16, v[11:12] offset:32
; %bb.98:
	s_or_b64 exec, exec, s[0:1]
	v_cmp_gt_u32_e64 s[8:9], 4, v0
	s_and_b64 s[58:59], s[12:13], s[8:9]
	s_waitcnt lgkmcnt(0)
	s_barrier
	s_barrier
	s_and_saveexec_b64 s[0:1], s[58:59]
	s_cbranch_execz .LBB144_100
; %bb.99:
	v_lshlrev_b32_e32 v21, 9, v0
	ds_read_b64 v[11:12], v21 offset:32
	s_movk_i32 s8, 0xfe08
	v_mad_i32_i24 v22, v0, s8, v21
	s_waitcnt lgkmcnt(0)
	ds_write_b64 v22, v[11:12] offset:2048
	ds_read_b64 v[11:12], v21 offset:40
	s_waitcnt lgkmcnt(0)
	ds_write_b64 v22, v[11:12] offset:2560
	ds_read_b64 v[11:12], v21 offset:48
	;; [unrolled: 3-line block ×3, first 2 shown]
	s_waitcnt lgkmcnt(0)
	ds_write_b64 v22, v[11:12] offset:3584
.LBB144_100:
	s_or_b64 exec, exec, s[0:1]
	s_waitcnt lgkmcnt(0)
	s_barrier
	s_and_saveexec_b64 s[0:1], vcc
	s_cbranch_execz .LBB144_102
; %bb.101:
	v_mov_b32_e32 v11, 0
	ds_read_b128 v[21:24], v11 offset:2080
	ds_read_b64 v[11:12], v11 offset:2600
	s_movk_i32 s8, 0x800
	s_waitcnt lgkmcnt(0)
	v_mul_f64 v[11:12], v[21:22], v[11:12]
	v_add_u32_e64 v21, s8, 0
	v_mul_f64 v[11:12], v[23:24], v[11:12]
	ds_write2_b64 v21, v[11:12], v[11:12] offset0:5 offset1:68
.LBB144_102:
	s_or_b64 exec, exec, s[0:1]
	v_mov_b32_e32 v11, 0
	v_mov_b32_e32 v12, 0
	s_waitcnt lgkmcnt(0)
	s_barrier
	s_and_saveexec_b64 s[0:1], s[2:3]
	s_cbranch_execz .LBB144_106
; %bb.103:
	v_mul_u32_u24_e32 v21, 0x208, v15
	ds_read_b64 v[11:12], v1 offset:2096
	ds_read_b64 v[21:22], v21 offset:2080
	v_cmp_gt_u32_e64 s[8:9], 2, v14
	s_waitcnt lgkmcnt(0)
	v_fma_f64 v[11:12], v[11:12], v[21:22], 0
	s_and_saveexec_b64 s[10:11], s[8:9]
	s_cbranch_execz .LBB144_105
; %bb.104:
	v_lshlrev_b32_e32 v21, 3, v0
	v_mov_b32_e32 v23, 0
	ds_read_b64 v[21:22], v21 offset:2608
	ds_read_b64 v[23:24], v23 offset:2088
	s_waitcnt lgkmcnt(0)
	v_fma_f64 v[11:12], v[21:22], v[23:24], v[11:12]
.LBB144_105:
	s_or_b64 exec, exec, s[10:11]
	v_xor_b32_e32 v12, 0x80000000, v12
.LBB144_106:
	s_or_b64 exec, exec, s[0:1]
	s_and_saveexec_b64 s[0:1], s[42:43]
	s_cbranch_execz .LBB144_108
; %bb.107:
	v_mov_b32_e32 v21, 0
	ds_read_b64 v[21:22], v21 offset:3120
	s_waitcnt lgkmcnt(0)
	v_mul_f64 v[11:12], v[11:12], v[21:22]
	ds_write_b64 v13, v[11:12]
.LBB144_108:
	s_or_b64 exec, exec, s[0:1]
	s_waitcnt lgkmcnt(0)
	s_barrier
	s_and_saveexec_b64 s[0:1], s[40:41]
	s_cbranch_execz .LBB144_110
; %bb.109:
	v_mov_b32_e32 v21, 0
	ds_read_b64 v[21:22], v21 offset:3128
	ds_read_b64 v[23:24], v13
	s_waitcnt lgkmcnt(0)
	v_fma_f64 v[11:12], v[21:22], v[23:24], v[11:12]
.LBB144_110:
	s_or_b64 exec, exec, s[0:1]
	s_barrier
	s_and_saveexec_b64 s[0:1], s[40:41]
	s_cbranch_execz .LBB144_112
; %bb.111:
	v_mov_b32_e32 v21, 0
	ds_read_b64 v[21:22], v21 offset:3640
	s_waitcnt lgkmcnt(0)
	v_mul_f64 v[11:12], v[11:12], v[21:22]
	ds_write_b64 v13, v[11:12]
.LBB144_112:
	s_or_b64 exec, exec, s[0:1]
	s_waitcnt lgkmcnt(0)
	s_barrier
	s_barrier
	s_and_saveexec_b64 s[0:1], s[2:3]
; %bb.113:
	v_xor_b32_e32 v12, 0x80000000, v12
	ds_write_b64 v1, v[11:12] offset:2096
; %bb.114:
	s_or_b64 exec, exec, s[0:1]
	s_waitcnt lgkmcnt(0)
	s_barrier
	s_barrier
	s_and_saveexec_b64 s[0:1], s[44:45]
	s_cbranch_execz .LBB144_116
; %bb.115:
	v_lshlrev_b32_e32 v21, 3, v0
	s_movk_i32 s8, 0x1f8
	v_mad_u32_u24 v22, v0, s8, v21
	ds_read_b64 v[11:12], v22 offset:2096
	s_waitcnt lgkmcnt(0)
	ds_write_b64 v21, v[11:12] offset:3104
	ds_read_b64 v[11:12], v22 offset:2104
	s_waitcnt lgkmcnt(0)
	ds_write_b64 v21, v[11:12] offset:3616
.LBB144_116:
	s_or_b64 exec, exec, s[0:1]
	s_waitcnt lgkmcnt(0)
	s_barrier
	s_and_saveexec_b64 s[0:1], vcc
	s_cbranch_execz .LBB144_118
; %bb.117:
	v_mov_b32_e32 v11, 0
	ds_read_b128 v[21:24], v11 offset:3120
	ds_read_b64 v[11:12], v11 offset:3640
	s_movk_i32 s8, 0x800
	s_waitcnt lgkmcnt(0)
	v_mul_f64 v[11:12], v[21:22], v[11:12]
	v_add_u32_e64 v21, s8, 0
	v_mul_f64 v[11:12], v[23:24], v[11:12]
	ds_write2_b64 v21, v[11:12], v[11:12] offset0:135 offset1:198
.LBB144_118:
	s_or_b64 exec, exec, s[0:1]
	v_and_b32_e32 v24, 7, v0
	v_lshrrev_b32_e32 v25, 3, v14
	v_lshlrev_b32_e32 v22, 3, v24
	v_mov_b32_e32 v11, 0
	v_cmp_lt_u32_e64 s[10:11], 63, v14
	v_cmp_gt_u32_e64 s[8:9], 64, v14
	v_mov_b32_e32 v12, 0
	v_lshl_or_b32 v21, v25, 9, v22
	s_waitcnt lgkmcnt(0)
	s_barrier
	s_and_saveexec_b64 s[0:1], s[8:9]
	s_cbranch_execz .LBB144_128
; %bb.119:
	v_mul_u32_u24_e32 v23, 0x208, v25
	ds_read_b64 v[11:12], v21 offset:64
	ds_read_b64 v[26:27], v23
	v_cmp_gt_u32_e64 s[14:15], 56, v14
	s_waitcnt lgkmcnt(0)
	v_fma_f64 v[11:12], v[11:12], v[26:27], 0
	s_and_saveexec_b64 s[16:17], s[14:15]
	s_cbranch_execnz .LBB144_1099
; %bb.120:
	s_or_b64 exec, exec, s[16:17]
	v_cmp_gt_u32_e64 s[14:15], 48, v14
	s_and_saveexec_b64 s[16:17], s[14:15]
	s_cbranch_execnz .LBB144_1100
.LBB144_121:
	s_or_b64 exec, exec, s[16:17]
	v_cmp_gt_u32_e64 s[14:15], 40, v14
	s_and_saveexec_b64 s[16:17], s[14:15]
	s_cbranch_execnz .LBB144_1101
.LBB144_122:
	s_or_b64 exec, exec, s[16:17]
	v_cmp_gt_u32_e64 s[14:15], 32, v14
	s_and_saveexec_b64 s[16:17], s[14:15]
	s_cbranch_execnz .LBB144_1102
.LBB144_123:
	s_or_b64 exec, exec, s[16:17]
	v_cmp_gt_u32_e64 s[14:15], 24, v14
	s_and_saveexec_b64 s[16:17], s[14:15]
	s_cbranch_execnz .LBB144_1103
.LBB144_124:
	s_or_b64 exec, exec, s[16:17]
	v_cmp_gt_u32_e64 s[14:15], 16, v14
	s_and_saveexec_b64 s[16:17], s[14:15]
	s_cbranch_execnz .LBB144_1104
.LBB144_125:
	s_or_b64 exec, exec, s[16:17]
	v_cmp_gt_u32_e64 s[14:15], 8, v14
	s_and_saveexec_b64 s[16:17], s[14:15]
	s_cbranch_execz .LBB144_127
.LBB144_126:
	v_lshlrev_b32_e32 v23, 3, v0
	v_mov_b32_e32 v28, 0
	ds_read_b64 v[26:27], v23 offset:3648
	ds_read_b64 v[28:29], v28 offset:56
	s_waitcnt lgkmcnt(0)
	v_fma_f64 v[11:12], v[26:27], v[28:29], v[11:12]
.LBB144_127:
	s_or_b64 exec, exec, s[16:17]
	v_xor_b32_e32 v12, 0x80000000, v12
.LBB144_128:
	s_or_b64 exec, exec, s[0:1]
	v_mov_b32_e32 v23, 0x8000
	v_cmp_eq_u32_e64 s[14:15], 0, v24
	s_xor_b64 s[0:1], s[10:11], -1
	v_lshl_add_u32 v23, v25, 3, v23
	s_and_b64 s[60:61], s[14:15], s[0:1]
	s_and_saveexec_b64 s[10:11], s[60:61]
	s_cbranch_execz .LBB144_130
; %bb.129:
	v_mov_b32_e32 v26, 0
	ds_read_b64 v[26:27], v26 offset:4160
	s_waitcnt lgkmcnt(0)
	v_mul_f64 v[11:12], v[11:12], v[26:27]
	ds_write_b64 v23, v[11:12]
.LBB144_130:
	s_or_b64 exec, exec, s[10:11]
	v_cmp_ne_u32_e64 s[10:11], 0, v24
	s_and_b64 s[62:63], s[10:11], s[0:1]
	s_waitcnt lgkmcnt(0)
	s_barrier
	s_and_saveexec_b64 s[10:11], s[62:63]
	s_cbranch_execz .LBB144_132
; %bb.131:
	ds_read_b64 v[26:27], v22 offset:4160
	ds_read_b64 v[28:29], v23
	s_waitcnt lgkmcnt(0)
	v_fma_f64 v[11:12], v[26:27], v[28:29], v[11:12]
.LBB144_132:
	s_or_b64 exec, exec, s[10:11]
	v_cmp_eq_u32_e64 s[10:11], 1, v24
	s_and_b64 s[64:65], s[10:11], s[0:1]
	s_barrier
	s_and_saveexec_b64 s[10:11], s[64:65]
	s_cbranch_execz .LBB144_134
; %bb.133:
	v_mov_b32_e32 v26, 0
	ds_read_b64 v[26:27], v26 offset:4680
	s_waitcnt lgkmcnt(0)
	v_mul_f64 v[11:12], v[11:12], v[26:27]
	ds_write_b64 v23, v[11:12]
.LBB144_134:
	s_or_b64 exec, exec, s[10:11]
	v_cmp_lt_u32_e64 s[10:11], 1, v24
	s_and_b64 s[66:67], s[10:11], s[0:1]
	s_waitcnt lgkmcnt(0)
	s_barrier
	s_and_saveexec_b64 s[10:11], s[66:67]
	s_cbranch_execz .LBB144_136
; %bb.135:
	ds_read_b64 v[26:27], v22 offset:4672
	ds_read_b64 v[28:29], v23
	s_waitcnt lgkmcnt(0)
	v_fma_f64 v[11:12], v[26:27], v[28:29], v[11:12]
.LBB144_136:
	s_or_b64 exec, exec, s[10:11]
	v_cmp_eq_u32_e64 s[10:11], 2, v24
	s_and_b64 s[68:69], s[10:11], s[0:1]
	s_barrier
	s_and_saveexec_b64 s[10:11], s[68:69]
	s_cbranch_execz .LBB144_138
; %bb.137:
	v_mov_b32_e32 v26, 0
	ds_read_b64 v[26:27], v26 offset:5200
	s_waitcnt lgkmcnt(0)
	v_mul_f64 v[11:12], v[11:12], v[26:27]
	ds_write_b64 v23, v[11:12]
.LBB144_138:
	s_or_b64 exec, exec, s[10:11]
	v_cmp_lt_u32_e64 s[10:11], 2, v24
	;; [unrolled: 26-line block ×5, first 2 shown]
	s_and_b64 s[84:85], s[10:11], s[0:1]
	s_waitcnt lgkmcnt(0)
	s_barrier
	s_and_saveexec_b64 s[10:11], s[84:85]
	s_cbranch_execz .LBB144_152
; %bb.151:
	ds_read_b64 v[26:27], v22 offset:6720
	ds_read_b64 v[28:29], v23
	s_waitcnt lgkmcnt(0)
	v_fma_f64 v[11:12], v[26:27], v[28:29], v[11:12]
.LBB144_152:
	s_or_b64 exec, exec, s[10:11]
	v_cmp_eq_u32_e64 s[10:11], 6, v24
	s_and_b64 s[86:87], s[10:11], s[0:1]
	s_barrier
	s_and_saveexec_b64 s[10:11], s[86:87]
	s_cbranch_execz .LBB144_154
; %bb.153:
	v_mov_b32_e32 v26, 0
	ds_read_b64 v[26:27], v26 offset:7280
	s_waitcnt lgkmcnt(0)
	v_mul_f64 v[11:12], v[11:12], v[26:27]
	ds_write_b64 v23, v[11:12]
.LBB144_154:
	s_or_b64 exec, exec, s[10:11]
	v_cmp_eq_u32_e64 s[10:11], 7, v24
	s_and_b64 s[70:71], s[10:11], s[0:1]
	s_waitcnt lgkmcnt(0)
	s_barrier
	s_and_saveexec_b64 s[0:1], s[70:71]
	s_cbranch_execz .LBB144_156
; %bb.155:
	v_mov_b32_e32 v26, 0
	ds_read_b64 v[26:27], v26 offset:7288
	ds_read_b64 v[28:29], v23
	s_waitcnt lgkmcnt(0)
	v_fma_f64 v[11:12], v[26:27], v[28:29], v[11:12]
.LBB144_156:
	s_or_b64 exec, exec, s[0:1]
	s_barrier
	s_and_saveexec_b64 s[0:1], s[70:71]
	s_cbranch_execz .LBB144_158
; %bb.157:
	v_mov_b32_e32 v26, 0
	ds_read_b64 v[26:27], v26 offset:7800
	s_waitcnt lgkmcnt(0)
	v_mul_f64 v[11:12], v[11:12], v[26:27]
	ds_write_b64 v23, v[11:12]
.LBB144_158:
	s_or_b64 exec, exec, s[0:1]
	s_waitcnt lgkmcnt(0)
	s_barrier
	s_barrier
	s_and_saveexec_b64 s[0:1], s[8:9]
; %bb.159:
	v_xor_b32_e32 v12, 0x80000000, v12
	ds_write_b64 v21, v[11:12] offset:64
; %bb.160:
	s_or_b64 exec, exec, s[0:1]
	v_cmp_gt_u32_e64 s[10:11], 8, v0
	s_and_b64 s[88:89], s[12:13], s[10:11]
	s_waitcnt lgkmcnt(0)
	s_barrier
	s_barrier
	s_and_saveexec_b64 s[0:1], s[88:89]
	s_cbranch_execz .LBB144_162
; %bb.161:
	v_lshlrev_b32_e32 v26, 9, v0
	ds_read_b64 v[11:12], v26 offset:64
	s_movk_i32 s10, 0xfe08
	v_mad_i32_i24 v27, v0, s10, v26
	s_waitcnt lgkmcnt(0)
	ds_write_b64 v27, v[11:12] offset:4096
	ds_read_b64 v[11:12], v26 offset:72
	s_waitcnt lgkmcnt(0)
	ds_write_b64 v27, v[11:12] offset:4608
	ds_read_b64 v[11:12], v26 offset:80
	;; [unrolled: 3-line block ×7, first 2 shown]
	s_waitcnt lgkmcnt(0)
	ds_write_b64 v27, v[11:12] offset:7680
.LBB144_162:
	s_or_b64 exec, exec, s[0:1]
	s_waitcnt lgkmcnt(0)
	s_barrier
	s_and_saveexec_b64 s[0:1], vcc
	s_cbranch_execz .LBB144_164
; %bb.163:
	v_mov_b32_e32 v11, 0
	ds_read_b128 v[26:29], v11 offset:4160
	ds_read_b64 v[11:12], v11 offset:4680
	s_movk_i32 s10, 0x1000
	s_waitcnt lgkmcnt(0)
	v_mul_f64 v[11:12], v[26:27], v[11:12]
	v_add_u32_e64 v26, s10, 0
	v_mul_f64 v[11:12], v[28:29], v[11:12]
	ds_write2_b64 v26, v[11:12], v[11:12] offset0:9 offset1:72
.LBB144_164:
	s_or_b64 exec, exec, s[0:1]
	v_mov_b32_e32 v11, 0
	v_mov_b32_e32 v12, 0
	s_waitcnt lgkmcnt(0)
	s_barrier
	s_and_saveexec_b64 s[0:1], s[2:3]
	s_cbranch_execz .LBB144_168
; %bb.165:
	v_mul_u32_u24_e32 v26, 0x208, v15
	ds_read_b64 v[11:12], v1 offset:4176
	ds_read_b64 v[26:27], v26 offset:4160
	v_cmp_gt_u32_e64 s[10:11], 2, v14
	s_waitcnt lgkmcnt(0)
	v_fma_f64 v[11:12], v[11:12], v[26:27], 0
	s_and_saveexec_b64 s[14:15], s[10:11]
	s_cbranch_execz .LBB144_167
; %bb.166:
	v_lshlrev_b32_e32 v26, 3, v0
	v_mov_b32_e32 v28, 0
	ds_read_b64 v[26:27], v26 offset:4688
	ds_read_b64 v[28:29], v28 offset:4168
	s_waitcnt lgkmcnt(0)
	v_fma_f64 v[11:12], v[26:27], v[28:29], v[11:12]
.LBB144_167:
	s_or_b64 exec, exec, s[14:15]
	v_xor_b32_e32 v12, 0x80000000, v12
.LBB144_168:
	s_or_b64 exec, exec, s[0:1]
	s_and_saveexec_b64 s[0:1], s[42:43]
	s_cbranch_execz .LBB144_170
; %bb.169:
	v_mov_b32_e32 v26, 0
	ds_read_b64 v[26:27], v26 offset:5200
	s_waitcnt lgkmcnt(0)
	v_mul_f64 v[11:12], v[11:12], v[26:27]
	ds_write_b64 v13, v[11:12]
.LBB144_170:
	s_or_b64 exec, exec, s[0:1]
	s_waitcnt lgkmcnt(0)
	s_barrier
	s_and_saveexec_b64 s[0:1], s[40:41]
	s_cbranch_execz .LBB144_172
; %bb.171:
	v_mov_b32_e32 v26, 0
	ds_read_b64 v[26:27], v26 offset:5208
	ds_read_b64 v[28:29], v13
	s_waitcnt lgkmcnt(0)
	v_fma_f64 v[11:12], v[26:27], v[28:29], v[11:12]
.LBB144_172:
	s_or_b64 exec, exec, s[0:1]
	s_barrier
	s_and_saveexec_b64 s[0:1], s[40:41]
	s_cbranch_execz .LBB144_174
; %bb.173:
	v_mov_b32_e32 v26, 0
	ds_read_b64 v[26:27], v26 offset:5720
	s_waitcnt lgkmcnt(0)
	v_mul_f64 v[11:12], v[11:12], v[26:27]
	ds_write_b64 v13, v[11:12]
.LBB144_174:
	s_or_b64 exec, exec, s[0:1]
	s_waitcnt lgkmcnt(0)
	s_barrier
	s_barrier
	s_and_saveexec_b64 s[0:1], s[2:3]
; %bb.175:
	v_xor_b32_e32 v12, 0x80000000, v12
	ds_write_b64 v1, v[11:12] offset:4176
; %bb.176:
	s_or_b64 exec, exec, s[0:1]
	s_waitcnt lgkmcnt(0)
	s_barrier
	s_barrier
	s_and_saveexec_b64 s[0:1], s[44:45]
	s_cbranch_execz .LBB144_178
; %bb.177:
	v_lshlrev_b32_e32 v26, 3, v0
	s_movk_i32 s10, 0x1f8
	v_mad_u32_u24 v27, v0, s10, v26
	ds_read_b64 v[11:12], v27 offset:4176
	s_waitcnt lgkmcnt(0)
	ds_write_b64 v26, v[11:12] offset:5184
	ds_read_b64 v[11:12], v27 offset:4184
	s_waitcnt lgkmcnt(0)
	ds_write_b64 v26, v[11:12] offset:5696
.LBB144_178:
	s_or_b64 exec, exec, s[0:1]
	s_waitcnt lgkmcnt(0)
	s_barrier
	s_and_saveexec_b64 s[0:1], vcc
	s_cbranch_execz .LBB144_180
; %bb.179:
	v_mov_b32_e32 v11, 0
	ds_read_b128 v[26:29], v11 offset:5200
	ds_read_b64 v[11:12], v11 offset:5720
	s_movk_i32 s10, 0x1000
	s_waitcnt lgkmcnt(0)
	v_mul_f64 v[11:12], v[26:27], v[11:12]
	v_add_u32_e64 v26, s10, 0
	v_mul_f64 v[11:12], v[28:29], v[11:12]
	ds_write2_b64 v26, v[11:12], v[11:12] offset0:139 offset1:202
.LBB144_180:
	s_or_b64 exec, exec, s[0:1]
	v_mov_b32_e32 v11, 0
	v_mov_b32_e32 v12, 0
	s_waitcnt lgkmcnt(0)
	s_barrier
	s_and_saveexec_b64 s[0:1], s[18:19]
	s_cbranch_execz .LBB144_186
; %bb.181:
	v_mul_u32_u24_e32 v26, 0x208, v20
	ds_read_b64 v[11:12], v16 offset:4192
	ds_read_b64 v[27:28], v26 offset:4160
	v_cmp_gt_u32_e64 s[10:11], 12, v14
	s_waitcnt lgkmcnt(0)
	v_fma_f64 v[11:12], v[11:12], v[27:28], 0
	s_and_saveexec_b64 s[14:15], s[10:11]
	s_cbranch_execnz .LBB144_1105
; %bb.182:
	s_or_b64 exec, exec, s[14:15]
	v_cmp_gt_u32_e64 s[10:11], 8, v14
	s_and_saveexec_b64 s[14:15], s[10:11]
	s_cbranch_execnz .LBB144_1106
.LBB144_183:
	s_or_b64 exec, exec, s[14:15]
	v_cmp_gt_u32_e64 s[10:11], 4, v14
	s_and_saveexec_b64 s[14:15], s[10:11]
	s_cbranch_execz .LBB144_185
.LBB144_184:
	v_lshlrev_b32_e32 v26, 3, v0
	v_mov_b32_e32 v28, 0
	ds_read_b64 v[26:27], v26 offset:5728
	ds_read_b64 v[28:29], v28 offset:4184
	s_waitcnt lgkmcnt(0)
	v_fma_f64 v[11:12], v[26:27], v[28:29], v[11:12]
.LBB144_185:
	s_or_b64 exec, exec, s[14:15]
	v_xor_b32_e32 v12, 0x80000000, v12
.LBB144_186:
	s_or_b64 exec, exec, s[0:1]
	s_and_saveexec_b64 s[0:1], s[48:49]
	s_cbranch_execz .LBB144_188
; %bb.187:
	v_mov_b32_e32 v26, 0
	ds_read_b64 v[26:27], v26 offset:6240
	s_waitcnt lgkmcnt(0)
	v_mul_f64 v[11:12], v[11:12], v[26:27]
	ds_write_b64 v18, v[11:12]
.LBB144_188:
	s_or_b64 exec, exec, s[0:1]
	s_waitcnt lgkmcnt(0)
	s_barrier
	s_and_saveexec_b64 s[0:1], s[50:51]
	s_cbranch_execz .LBB144_190
; %bb.189:
	ds_read_b64 v[26:27], v17 offset:6240
	ds_read_b64 v[28:29], v18
	s_waitcnt lgkmcnt(0)
	v_fma_f64 v[11:12], v[26:27], v[28:29], v[11:12]
.LBB144_190:
	s_or_b64 exec, exec, s[0:1]
	s_barrier
	s_and_saveexec_b64 s[0:1], s[52:53]
	s_cbranch_execz .LBB144_192
; %bb.191:
	v_mov_b32_e32 v26, 0
	ds_read_b64 v[26:27], v26 offset:6760
	s_waitcnt lgkmcnt(0)
	v_mul_f64 v[11:12], v[11:12], v[26:27]
	ds_write_b64 v18, v[11:12]
.LBB144_192:
	s_or_b64 exec, exec, s[0:1]
	s_waitcnt lgkmcnt(0)
	s_barrier
	s_and_saveexec_b64 s[0:1], s[54:55]
	s_cbranch_execz .LBB144_194
; %bb.193:
	ds_read_b64 v[26:27], v17 offset:6752
	ds_read_b64 v[28:29], v18
	s_waitcnt lgkmcnt(0)
	v_fma_f64 v[11:12], v[26:27], v[28:29], v[11:12]
.LBB144_194:
	s_or_b64 exec, exec, s[0:1]
	s_barrier
	s_and_saveexec_b64 s[0:1], s[56:57]
	s_cbranch_execz .LBB144_196
; %bb.195:
	v_mov_b32_e32 v26, 0
	ds_read_b64 v[26:27], v26 offset:7280
	s_waitcnt lgkmcnt(0)
	v_mul_f64 v[11:12], v[11:12], v[26:27]
	ds_write_b64 v18, v[11:12]
.LBB144_196:
	s_or_b64 exec, exec, s[0:1]
	s_waitcnt lgkmcnt(0)
	s_barrier
	s_and_saveexec_b64 s[0:1], s[46:47]
	s_cbranch_execz .LBB144_198
; %bb.197:
	v_mov_b32_e32 v26, 0
	ds_read_b64 v[26:27], v26 offset:7288
	ds_read_b64 v[28:29], v18
	s_waitcnt lgkmcnt(0)
	v_fma_f64 v[11:12], v[26:27], v[28:29], v[11:12]
.LBB144_198:
	s_or_b64 exec, exec, s[0:1]
	s_barrier
	s_and_saveexec_b64 s[0:1], s[46:47]
	s_cbranch_execz .LBB144_200
; %bb.199:
	v_mov_b32_e32 v26, 0
	ds_read_b64 v[26:27], v26 offset:7800
	s_waitcnt lgkmcnt(0)
	v_mul_f64 v[11:12], v[11:12], v[26:27]
	ds_write_b64 v18, v[11:12]
.LBB144_200:
	s_or_b64 exec, exec, s[0:1]
	s_waitcnt lgkmcnt(0)
	s_barrier
	s_barrier
	s_and_saveexec_b64 s[0:1], s[18:19]
; %bb.201:
	v_xor_b32_e32 v12, 0x80000000, v12
	ds_write_b64 v16, v[11:12] offset:4192
; %bb.202:
	s_or_b64 exec, exec, s[0:1]
	s_waitcnt lgkmcnt(0)
	s_barrier
	s_barrier
	s_and_saveexec_b64 s[0:1], s[58:59]
	s_cbranch_execz .LBB144_204
; %bb.203:
	v_lshlrev_b32_e32 v26, 9, v0
	ds_read_b64 v[11:12], v26 offset:4192
	s_movk_i32 s10, 0xfe08
	v_mad_i32_i24 v27, v0, s10, v26
	s_waitcnt lgkmcnt(0)
	ds_write_b64 v27, v[11:12] offset:6208
	ds_read_b64 v[11:12], v26 offset:4200
	s_waitcnt lgkmcnt(0)
	ds_write_b64 v27, v[11:12] offset:6720
	ds_read_b64 v[11:12], v26 offset:4208
	;; [unrolled: 3-line block ×3, first 2 shown]
	s_waitcnt lgkmcnt(0)
	ds_write_b64 v27, v[11:12] offset:7744
.LBB144_204:
	s_or_b64 exec, exec, s[0:1]
	s_waitcnt lgkmcnt(0)
	s_barrier
	s_and_saveexec_b64 s[0:1], vcc
	s_cbranch_execz .LBB144_206
; %bb.205:
	v_mov_b32_e32 v11, 0
	ds_read_b128 v[26:29], v11 offset:6240
	ds_read_b64 v[11:12], v11 offset:6760
	s_movk_i32 s10, 0x1800
	s_waitcnt lgkmcnt(0)
	v_mul_f64 v[11:12], v[26:27], v[11:12]
	v_add_u32_e64 v26, s10, 0
	v_mul_f64 v[11:12], v[28:29], v[11:12]
	ds_write2_b64 v26, v[11:12], v[11:12] offset0:13 offset1:76
.LBB144_206:
	s_or_b64 exec, exec, s[0:1]
	v_mov_b32_e32 v11, 0
	v_mov_b32_e32 v12, 0
	s_waitcnt lgkmcnt(0)
	s_barrier
	s_and_saveexec_b64 s[0:1], s[2:3]
	s_cbranch_execz .LBB144_210
; %bb.207:
	v_mul_u32_u24_e32 v26, 0x208, v15
	ds_read_b64 v[11:12], v1 offset:6256
	ds_read_b64 v[26:27], v26 offset:6240
	v_cmp_gt_u32_e64 s[10:11], 2, v14
	s_waitcnt lgkmcnt(0)
	v_fma_f64 v[11:12], v[11:12], v[26:27], 0
	s_and_saveexec_b64 s[14:15], s[10:11]
	s_cbranch_execz .LBB144_209
; %bb.208:
	v_lshlrev_b32_e32 v26, 3, v0
	v_mov_b32_e32 v28, 0
	ds_read_b64 v[26:27], v26 offset:6768
	ds_read_b64 v[28:29], v28 offset:6248
	s_waitcnt lgkmcnt(0)
	v_fma_f64 v[11:12], v[26:27], v[28:29], v[11:12]
.LBB144_209:
	s_or_b64 exec, exec, s[14:15]
	v_xor_b32_e32 v12, 0x80000000, v12
.LBB144_210:
	s_or_b64 exec, exec, s[0:1]
	s_and_saveexec_b64 s[0:1], s[42:43]
	s_cbranch_execz .LBB144_212
; %bb.211:
	v_mov_b32_e32 v26, 0
	ds_read_b64 v[26:27], v26 offset:7280
	s_waitcnt lgkmcnt(0)
	v_mul_f64 v[11:12], v[11:12], v[26:27]
	ds_write_b64 v13, v[11:12]
.LBB144_212:
	s_or_b64 exec, exec, s[0:1]
	s_waitcnt lgkmcnt(0)
	s_barrier
	s_and_saveexec_b64 s[0:1], s[40:41]
	s_cbranch_execz .LBB144_214
; %bb.213:
	v_mov_b32_e32 v26, 0
	ds_read_b64 v[26:27], v26 offset:7288
	ds_read_b64 v[28:29], v13
	s_waitcnt lgkmcnt(0)
	v_fma_f64 v[11:12], v[26:27], v[28:29], v[11:12]
.LBB144_214:
	s_or_b64 exec, exec, s[0:1]
	s_barrier
	s_and_saveexec_b64 s[0:1], s[40:41]
	s_cbranch_execz .LBB144_216
; %bb.215:
	v_mov_b32_e32 v26, 0
	ds_read_b64 v[26:27], v26 offset:7800
	s_waitcnt lgkmcnt(0)
	v_mul_f64 v[11:12], v[11:12], v[26:27]
	ds_write_b64 v13, v[11:12]
.LBB144_216:
	s_or_b64 exec, exec, s[0:1]
	s_waitcnt lgkmcnt(0)
	s_barrier
	s_barrier
	s_and_saveexec_b64 s[0:1], s[2:3]
; %bb.217:
	v_xor_b32_e32 v12, 0x80000000, v12
	ds_write_b64 v1, v[11:12] offset:6256
; %bb.218:
	s_or_b64 exec, exec, s[0:1]
	s_waitcnt lgkmcnt(0)
	s_barrier
	s_barrier
	s_and_saveexec_b64 s[0:1], s[44:45]
	s_cbranch_execz .LBB144_220
; %bb.219:
	v_lshlrev_b32_e32 v26, 3, v0
	s_movk_i32 s10, 0x1f8
	v_mad_u32_u24 v27, v0, s10, v26
	ds_read_b64 v[11:12], v27 offset:6256
	s_waitcnt lgkmcnt(0)
	ds_write_b64 v26, v[11:12] offset:7264
	ds_read_b64 v[11:12], v27 offset:6264
	s_waitcnt lgkmcnt(0)
	ds_write_b64 v26, v[11:12] offset:7776
.LBB144_220:
	s_or_b64 exec, exec, s[0:1]
	s_waitcnt lgkmcnt(0)
	s_barrier
	s_and_saveexec_b64 s[0:1], vcc
	s_cbranch_execz .LBB144_222
; %bb.221:
	v_mov_b32_e32 v11, 0
	ds_read_b128 v[26:29], v11 offset:7280
	ds_read_b64 v[11:12], v11 offset:7800
	s_movk_i32 s10, 0x1800
	s_waitcnt lgkmcnt(0)
	v_mul_f64 v[11:12], v[26:27], v[11:12]
	v_add_u32_e64 v26, s10, 0
	v_mul_f64 v[11:12], v[28:29], v[11:12]
	ds_write2_b64 v26, v[11:12], v[11:12] offset0:143 offset1:206
.LBB144_222:
	s_or_b64 exec, exec, s[0:1]
	v_lshrrev_b32_e32 v30, 4, v14
	v_and_b32_e32 v27, 15, v0
	s_movk_i32 s0, 0xff
	v_lshlrev_b32_e32 v29, 6, v30
	v_cmp_lt_u32_e64 s[14:15], s0, v14
	s_movk_i32 s0, 0x100
	v_or_b32_e32 v26, v29, v27
	v_mov_b32_e32 v11, 0
	v_cmp_gt_u32_e64 s[10:11], s0, v14
	v_mov_b32_e32 v12, 0
	v_lshlrev_b32_e32 v26, 3, v26
	s_waitcnt lgkmcnt(0)
	s_barrier
	s_and_saveexec_b64 s[0:1], s[10:11]
	s_cbranch_execz .LBB144_250
; %bb.223:
	v_mul_u32_u24_e32 v28, 0x208, v30
	ds_read_b64 v[11:12], v26 offset:128
	ds_read_b64 v[31:32], v28
	s_movk_i32 s16, 0xf0
	v_cmp_gt_u32_e64 s[16:17], s16, v14
	s_waitcnt lgkmcnt(0)
	v_fma_f64 v[11:12], v[11:12], v[31:32], 0
	s_and_saveexec_b64 s[20:21], s[16:17]
	s_cbranch_execz .LBB144_225
; %bb.224:
	v_lshlrev_b32_e32 v31, 3, v30
	v_sub_u32_e32 v31, v28, v31
	v_lshl_add_u32 v31, v27, 3, v31
	ds_read_b64 v[31:32], v31 offset:640
	ds_read_b64 v[33:34], v28 offset:8
	s_waitcnt lgkmcnt(0)
	v_fma_f64 v[11:12], v[31:32], v[33:34], v[11:12]
.LBB144_225:
	s_or_b64 exec, exec, s[20:21]
	s_movk_i32 s16, 0xe0
	v_cmp_gt_u32_e64 s[16:17], s16, v14
	s_and_saveexec_b64 s[20:21], s[16:17]
	s_cbranch_execz .LBB144_227
; %bb.226:
	v_lshlrev_b32_e32 v31, 3, v30
	v_sub_u32_e32 v31, v28, v31
	v_lshl_add_u32 v31, v27, 3, v31
	ds_read_b64 v[31:32], v31 offset:1152
	ds_read_b64 v[33:34], v28 offset:16
	s_waitcnt lgkmcnt(0)
	v_fma_f64 v[11:12], v[31:32], v[33:34], v[11:12]
.LBB144_227:
	s_or_b64 exec, exec, s[20:21]
	s_movk_i32 s16, 0xd0
	v_cmp_gt_u32_e64 s[16:17], s16, v14
	;; [unrolled: 14-line block ×7, first 2 shown]
	s_and_saveexec_b64 s[20:21], s[16:17]
	s_cbranch_execz .LBB144_239
; %bb.238:
	ds_read_b64 v[31:32], v26 offset:4224
	ds_read_b64 v[33:34], v28 offset:64
	s_waitcnt lgkmcnt(0)
	v_fma_f64 v[11:12], v[31:32], v[33:34], v[11:12]
.LBB144_239:
	s_or_b64 exec, exec, s[20:21]
	s_movk_i32 s16, 0x70
	v_cmp_gt_u32_e64 s[16:17], s16, v14
	s_and_saveexec_b64 s[20:21], s[16:17]
	s_cbranch_execz .LBB144_241
; %bb.240:
	v_lshlrev_b32_e32 v31, 3, v30
	v_sub_u32_e32 v31, v28, v31
	v_lshl_add_u32 v31, v27, 3, v31
	ds_read_b64 v[31:32], v31 offset:4736
	ds_read_b64 v[33:34], v28 offset:72
	s_waitcnt lgkmcnt(0)
	v_fma_f64 v[11:12], v[31:32], v[33:34], v[11:12]
.LBB144_241:
	s_or_b64 exec, exec, s[20:21]
	s_movk_i32 s16, 0x60
	v_cmp_gt_u32_e64 s[16:17], s16, v14
	s_and_saveexec_b64 s[20:21], s[16:17]
	s_cbranch_execz .LBB144_243
; %bb.242:
	v_lshlrev_b32_e32 v31, 3, v27
	v_lshl_add_u32 v31, v29, 3, v31
	ds_read_b64 v[31:32], v31 offset:5248
	ds_read_b64 v[33:34], v28 offset:80
	s_waitcnt lgkmcnt(0)
	v_fma_f64 v[11:12], v[31:32], v[33:34], v[11:12]
.LBB144_243:
	s_or_b64 exec, exec, s[20:21]
	s_movk_i32 s16, 0x50
	v_cmp_gt_u32_e64 s[16:17], s16, v14
	s_and_saveexec_b64 s[20:21], s[16:17]
	s_cbranch_execnz .LBB144_1107
; %bb.244:
	s_or_b64 exec, exec, s[20:21]
	v_cmp_gt_u32_e64 s[16:17], 64, v14
	s_and_saveexec_b64 s[20:21], s[16:17]
	s_cbranch_execnz .LBB144_1108
.LBB144_245:
	s_or_b64 exec, exec, s[20:21]
	v_cmp_gt_u32_e64 s[16:17], 48, v14
	s_and_saveexec_b64 s[20:21], s[16:17]
	s_cbranch_execnz .LBB144_1109
.LBB144_246:
	s_or_b64 exec, exec, s[20:21]
	v_cmp_gt_u32_e64 s[16:17], 32, v14
	s_and_saveexec_b64 s[20:21], s[16:17]
	s_cbranch_execnz .LBB144_1110
.LBB144_247:
	s_or_b64 exec, exec, s[20:21]
	v_cmp_gt_u32_e64 s[16:17], 16, v14
	s_and_saveexec_b64 s[20:21], s[16:17]
	s_cbranch_execz .LBB144_249
.LBB144_248:
	v_lshlrev_b32_e32 v28, 3, v0
	v_mov_b32_e32 v33, 0
	ds_read_b64 v[31:32], v28 offset:7808
	ds_read_b64 v[33:34], v33 offset:120
	s_waitcnt lgkmcnt(0)
	v_fma_f64 v[11:12], v[31:32], v[33:34], v[11:12]
.LBB144_249:
	s_or_b64 exec, exec, s[20:21]
	v_xor_b32_e32 v12, 0x80000000, v12
.LBB144_250:
	s_or_b64 exec, exec, s[0:1]
	v_mov_b32_e32 v28, 0x8000
	v_lshl_add_u32 v28, v30, 3, v28
	v_cmp_eq_u32_e64 s[16:17], 0, v27
	s_xor_b64 s[20:21], s[14:15], -1
	s_and_b64 s[14:15], s[16:17], s[20:21]
	s_mov_b64 s[0:1], exec
	v_writelane_b32 v42, s14, 5
	v_writelane_b32 v42, s15, 6
	s_and_b64 s[14:15], s[0:1], s[14:15]
	s_mov_b64 exec, s[14:15]
	s_cbranch_execz .LBB144_252
; %bb.251:
	v_mov_b32_e32 v31, 0
	ds_read_b64 v[31:32], v31 offset:8320
	s_waitcnt lgkmcnt(0)
	v_mul_f64 v[11:12], v[11:12], v[31:32]
	ds_write_b64 v28, v[11:12]
.LBB144_252:
	s_or_b64 exec, exec, s[0:1]
	v_cmp_ne_u32_e64 s[14:15], 0, v27
	s_waitcnt lgkmcnt(0)
	s_barrier
	s_and_b64 s[14:15], s[14:15], s[20:21]
	s_mov_b64 s[0:1], exec
	v_writelane_b32 v42, s14, 7
	v_writelane_b32 v42, s15, 8
	s_and_b64 s[14:15], s[0:1], s[14:15]
	s_mov_b64 exec, s[14:15]
	s_cbranch_execz .LBB144_254
; %bb.253:
	v_lshlrev_b32_e32 v31, 3, v27
	ds_read_b64 v[31:32], v31 offset:8320
	ds_read_b64 v[33:34], v28
	s_waitcnt lgkmcnt(0)
	v_fma_f64 v[11:12], v[31:32], v[33:34], v[11:12]
.LBB144_254:
	s_or_b64 exec, exec, s[0:1]
	v_cmp_eq_u32_e64 s[14:15], 1, v27
	s_barrier
	s_and_b64 s[14:15], s[14:15], s[20:21]
	s_mov_b64 s[0:1], exec
	v_writelane_b32 v42, s14, 9
	v_writelane_b32 v42, s15, 10
	s_and_b64 s[14:15], s[0:1], s[14:15]
	s_mov_b64 exec, s[14:15]
	s_cbranch_execz .LBB144_256
; %bb.255:
	v_mov_b32_e32 v31, 0
	ds_read_b64 v[31:32], v31 offset:8840
	s_waitcnt lgkmcnt(0)
	v_mul_f64 v[11:12], v[11:12], v[31:32]
	ds_write_b64 v28, v[11:12]
.LBB144_256:
	s_or_b64 exec, exec, s[0:1]
	v_cmp_lt_u32_e64 s[14:15], 1, v27
	s_waitcnt lgkmcnt(0)
	s_barrier
	s_and_b64 s[14:15], s[14:15], s[20:21]
	s_mov_b64 s[0:1], exec
	v_writelane_b32 v42, s14, 11
	v_writelane_b32 v42, s15, 12
	s_and_b64 s[14:15], s[0:1], s[14:15]
	s_mov_b64 exec, s[14:15]
	s_cbranch_execz .LBB144_258
; %bb.257:
	v_lshlrev_b32_e32 v31, 3, v27
	ds_read_b64 v[31:32], v31 offset:8832
	ds_read_b64 v[33:34], v28
	s_waitcnt lgkmcnt(0)
	v_fma_f64 v[11:12], v[31:32], v[33:34], v[11:12]
.LBB144_258:
	s_or_b64 exec, exec, s[0:1]
	v_cmp_eq_u32_e64 s[14:15], 2, v27
	s_barrier
	s_and_b64 s[14:15], s[14:15], s[20:21]
	s_mov_b64 s[0:1], exec
	v_writelane_b32 v42, s14, 13
	v_writelane_b32 v42, s15, 14
	s_and_b64 s[14:15], s[0:1], s[14:15]
	s_mov_b64 exec, s[14:15]
	s_cbranch_execz .LBB144_260
; %bb.259:
	v_mov_b32_e32 v31, 0
	ds_read_b64 v[31:32], v31 offset:9360
	s_waitcnt lgkmcnt(0)
	v_mul_f64 v[11:12], v[11:12], v[31:32]
	ds_write_b64 v28, v[11:12]
.LBB144_260:
	s_or_b64 exec, exec, s[0:1]
	v_cmp_lt_u32_e64 s[14:15], 2, v27
	;; [unrolled: 35-line block ×13, first 2 shown]
	s_waitcnt lgkmcnt(0)
	s_barrier
	s_and_b64 s[14:15], s[14:15], s[20:21]
	s_mov_b64 s[0:1], exec
	v_writelane_b32 v42, s14, 59
	v_writelane_b32 v42, s15, 60
	s_and_b64 s[14:15], s[0:1], s[14:15]
	s_mov_b64 exec, s[14:15]
	s_cbranch_execz .LBB144_306
; %bb.305:
	v_lshlrev_b32_e32 v31, 3, v27
	ds_read_b64 v[31:32], v31 offset:14976
	ds_read_b64 v[33:34], v28
	s_waitcnt lgkmcnt(0)
	v_fma_f64 v[11:12], v[31:32], v[33:34], v[11:12]
.LBB144_306:
	s_or_b64 exec, exec, s[0:1]
	v_cmp_eq_u32_e64 s[14:15], 14, v27
	s_barrier
	s_and_b64 s[14:15], s[14:15], s[20:21]
	s_mov_b64 s[0:1], exec
	v_writelane_b32 v42, s14, 61
	v_writelane_b32 v42, s15, 62
	s_and_b64 s[14:15], s[0:1], s[14:15]
	s_mov_b64 exec, s[14:15]
	s_cbranch_execz .LBB144_308
; %bb.307:
	v_mov_b32_e32 v31, 0
	ds_read_b64 v[31:32], v31 offset:15600
	s_waitcnt lgkmcnt(0)
	v_mul_f64 v[11:12], v[11:12], v[31:32]
	ds_write_b64 v28, v[11:12]
.LBB144_308:
	s_or_b64 exec, exec, s[0:1]
	v_cmp_eq_u32_e64 s[14:15], 15, v27
	s_and_b64 s[92:93], s[14:15], s[20:21]
	s_waitcnt lgkmcnt(0)
	s_barrier
	s_and_saveexec_b64 s[0:1], s[92:93]
	s_cbranch_execz .LBB144_310
; %bb.309:
	v_mov_b32_e32 v31, 0
	ds_read_b64 v[31:32], v31 offset:15608
	ds_read_b64 v[33:34], v28
	s_waitcnt lgkmcnt(0)
	v_fma_f64 v[11:12], v[31:32], v[33:34], v[11:12]
.LBB144_310:
	s_or_b64 exec, exec, s[0:1]
	s_barrier
	s_and_saveexec_b64 s[0:1], s[92:93]
	s_cbranch_execz .LBB144_312
; %bb.311:
	v_mov_b32_e32 v31, 0
	ds_read_b64 v[31:32], v31 offset:16120
	s_waitcnt lgkmcnt(0)
	v_mul_f64 v[11:12], v[11:12], v[31:32]
	ds_write_b64 v28, v[11:12]
.LBB144_312:
	s_or_b64 exec, exec, s[0:1]
	s_waitcnt lgkmcnt(0)
	s_barrier
	s_barrier
	s_and_saveexec_b64 s[0:1], s[10:11]
; %bb.313:
	v_xor_b32_e32 v12, 0x80000000, v12
	ds_write_b64 v26, v[11:12] offset:128
; %bb.314:
	s_or_b64 exec, exec, s[0:1]
	v_cmp_gt_u32_e64 s[14:15], 16, v0
	s_waitcnt lgkmcnt(0)
	s_barrier
	s_barrier
	s_and_b64 s[14:15], s[12:13], s[14:15]
	s_mov_b64 s[0:1], exec
                                        ; implicit-def: $vgpr41 : SGPR spill to VGPR lane
	v_writelane_b32 v42, s14, 63
	v_writelane_b32 v41, s15, 0
	s_and_b64 s[14:15], s[0:1], s[14:15]
	s_mov_b64 exec, s[14:15]
	s_cbranch_execz .LBB144_316
; %bb.315:
	v_lshlrev_b32_e32 v31, 9, v0
	ds_read_b64 v[11:12], v31 offset:128
	s_movk_i32 s14, 0xfe08
	v_mad_i32_i24 v32, v0, s14, v31
	s_waitcnt lgkmcnt(0)
	ds_write_b64 v32, v[11:12] offset:8192
	ds_read_b64 v[11:12], v31 offset:136
	s_waitcnt lgkmcnt(0)
	ds_write_b64 v32, v[11:12] offset:8704
	ds_read_b64 v[11:12], v31 offset:144
	;; [unrolled: 3-line block ×15, first 2 shown]
	s_waitcnt lgkmcnt(0)
	ds_write_b64 v32, v[11:12] offset:15872
.LBB144_316:
	s_or_b64 exec, exec, s[0:1]
	s_waitcnt lgkmcnt(0)
	s_barrier
	s_and_saveexec_b64 s[0:1], vcc
	s_cbranch_execz .LBB144_318
; %bb.317:
	v_mov_b32_e32 v11, 0
	ds_read_b128 v[31:34], v11 offset:8320
	ds_read_b64 v[11:12], v11 offset:8840
	s_movk_i32 s14, 0x2000
	s_waitcnt lgkmcnt(0)
	v_mul_f64 v[11:12], v[31:32], v[11:12]
	v_add_u32_e64 v31, s14, 0
	v_mul_f64 v[11:12], v[33:34], v[11:12]
	ds_write2_b64 v31, v[11:12], v[11:12] offset0:17 offset1:80
.LBB144_318:
	s_or_b64 exec, exec, s[0:1]
	v_mov_b32_e32 v11, 0
	v_mov_b32_e32 v12, 0
	s_waitcnt lgkmcnt(0)
	s_barrier
	s_and_saveexec_b64 s[0:1], s[2:3]
	s_cbranch_execz .LBB144_322
; %bb.319:
	v_mul_u32_u24_e32 v31, 0x208, v15
	ds_read_b64 v[11:12], v1 offset:8336
	ds_read_b64 v[31:32], v31 offset:8320
	v_cmp_gt_u32_e64 s[14:15], 2, v14
	s_waitcnt lgkmcnt(0)
	v_fma_f64 v[11:12], v[11:12], v[31:32], 0
	s_and_saveexec_b64 s[16:17], s[14:15]
	s_cbranch_execz .LBB144_321
; %bb.320:
	v_lshlrev_b32_e32 v31, 3, v0
	v_mov_b32_e32 v33, 0
	ds_read_b64 v[31:32], v31 offset:8848
	ds_read_b64 v[33:34], v33 offset:8328
	s_waitcnt lgkmcnt(0)
	v_fma_f64 v[11:12], v[31:32], v[33:34], v[11:12]
.LBB144_321:
	s_or_b64 exec, exec, s[16:17]
	v_xor_b32_e32 v12, 0x80000000, v12
.LBB144_322:
	s_or_b64 exec, exec, s[0:1]
	s_and_saveexec_b64 s[0:1], s[42:43]
	s_cbranch_execz .LBB144_324
; %bb.323:
	v_mov_b32_e32 v31, 0
	ds_read_b64 v[31:32], v31 offset:9360
	s_waitcnt lgkmcnt(0)
	v_mul_f64 v[11:12], v[11:12], v[31:32]
	ds_write_b64 v13, v[11:12]
.LBB144_324:
	s_or_b64 exec, exec, s[0:1]
	s_waitcnt lgkmcnt(0)
	s_barrier
	s_and_saveexec_b64 s[0:1], s[40:41]
	s_cbranch_execz .LBB144_326
; %bb.325:
	v_mov_b32_e32 v31, 0
	ds_read_b64 v[31:32], v31 offset:9368
	ds_read_b64 v[33:34], v13
	s_waitcnt lgkmcnt(0)
	v_fma_f64 v[11:12], v[31:32], v[33:34], v[11:12]
.LBB144_326:
	s_or_b64 exec, exec, s[0:1]
	s_barrier
	s_and_saveexec_b64 s[0:1], s[40:41]
	s_cbranch_execz .LBB144_328
; %bb.327:
	v_mov_b32_e32 v31, 0
	ds_read_b64 v[31:32], v31 offset:9880
	s_waitcnt lgkmcnt(0)
	v_mul_f64 v[11:12], v[11:12], v[31:32]
	ds_write_b64 v13, v[11:12]
.LBB144_328:
	s_or_b64 exec, exec, s[0:1]
	s_waitcnt lgkmcnt(0)
	s_barrier
	s_barrier
	s_and_saveexec_b64 s[0:1], s[2:3]
; %bb.329:
	v_xor_b32_e32 v12, 0x80000000, v12
	ds_write_b64 v1, v[11:12] offset:8336
; %bb.330:
	s_or_b64 exec, exec, s[0:1]
	s_waitcnt lgkmcnt(0)
	s_barrier
	s_barrier
	s_and_saveexec_b64 s[0:1], s[44:45]
	s_cbranch_execz .LBB144_332
; %bb.331:
	v_lshlrev_b32_e32 v31, 3, v0
	s_movk_i32 s14, 0x1f8
	v_mad_u32_u24 v32, v0, s14, v31
	ds_read_b64 v[11:12], v32 offset:8336
	s_waitcnt lgkmcnt(0)
	ds_write_b64 v31, v[11:12] offset:9344
	ds_read_b64 v[11:12], v32 offset:8344
	s_waitcnt lgkmcnt(0)
	ds_write_b64 v31, v[11:12] offset:9856
.LBB144_332:
	s_or_b64 exec, exec, s[0:1]
	s_waitcnt lgkmcnt(0)
	s_barrier
	s_and_saveexec_b64 s[0:1], vcc
	s_cbranch_execz .LBB144_334
; %bb.333:
	v_mov_b32_e32 v11, 0
	ds_read_b128 v[31:34], v11 offset:9360
	ds_read_b64 v[11:12], v11 offset:9880
	s_movk_i32 s14, 0x2000
	s_waitcnt lgkmcnt(0)
	v_mul_f64 v[11:12], v[31:32], v[11:12]
	v_add_u32_e64 v31, s14, 0
	v_mul_f64 v[11:12], v[33:34], v[11:12]
	ds_write2_b64 v31, v[11:12], v[11:12] offset0:147 offset1:210
.LBB144_334:
	s_or_b64 exec, exec, s[0:1]
	v_mov_b32_e32 v11, 0
	v_mov_b32_e32 v12, 0
	s_waitcnt lgkmcnt(0)
	s_barrier
	s_and_saveexec_b64 s[0:1], s[18:19]
	s_cbranch_execz .LBB144_340
; %bb.335:
	v_mul_u32_u24_e32 v31, 0x208, v20
	ds_read_b64 v[11:12], v16 offset:8352
	ds_read_b64 v[32:33], v31 offset:8320
	v_cmp_gt_u32_e64 s[14:15], 12, v14
	s_waitcnt lgkmcnt(0)
	v_fma_f64 v[11:12], v[11:12], v[32:33], 0
	s_and_saveexec_b64 s[16:17], s[14:15]
	s_cbranch_execnz .LBB144_1111
; %bb.336:
	s_or_b64 exec, exec, s[16:17]
	v_cmp_gt_u32_e64 s[14:15], 8, v14
	s_and_saveexec_b64 s[16:17], s[14:15]
	s_cbranch_execnz .LBB144_1112
.LBB144_337:
	s_or_b64 exec, exec, s[16:17]
	v_cmp_gt_u32_e64 s[14:15], 4, v14
	s_and_saveexec_b64 s[16:17], s[14:15]
	s_cbranch_execz .LBB144_339
.LBB144_338:
	v_lshlrev_b32_e32 v31, 3, v0
	v_mov_b32_e32 v33, 0
	ds_read_b64 v[31:32], v31 offset:9888
	ds_read_b64 v[33:34], v33 offset:8344
	s_waitcnt lgkmcnt(0)
	v_fma_f64 v[11:12], v[31:32], v[33:34], v[11:12]
.LBB144_339:
	s_or_b64 exec, exec, s[16:17]
	v_xor_b32_e32 v12, 0x80000000, v12
.LBB144_340:
	s_or_b64 exec, exec, s[0:1]
	s_and_saveexec_b64 s[0:1], s[48:49]
	s_cbranch_execz .LBB144_342
; %bb.341:
	v_mov_b32_e32 v31, 0
	ds_read_b64 v[31:32], v31 offset:10400
	s_waitcnt lgkmcnt(0)
	v_mul_f64 v[11:12], v[11:12], v[31:32]
	ds_write_b64 v18, v[11:12]
.LBB144_342:
	s_or_b64 exec, exec, s[0:1]
	s_waitcnt lgkmcnt(0)
	s_barrier
	s_and_saveexec_b64 s[0:1], s[50:51]
	s_cbranch_execz .LBB144_344
; %bb.343:
	ds_read_b64 v[31:32], v17 offset:10400
	ds_read_b64 v[33:34], v18
	s_waitcnt lgkmcnt(0)
	v_fma_f64 v[11:12], v[31:32], v[33:34], v[11:12]
.LBB144_344:
	s_or_b64 exec, exec, s[0:1]
	s_barrier
	s_and_saveexec_b64 s[0:1], s[52:53]
	s_cbranch_execz .LBB144_346
; %bb.345:
	v_mov_b32_e32 v31, 0
	ds_read_b64 v[31:32], v31 offset:10920
	s_waitcnt lgkmcnt(0)
	v_mul_f64 v[11:12], v[11:12], v[31:32]
	ds_write_b64 v18, v[11:12]
.LBB144_346:
	s_or_b64 exec, exec, s[0:1]
	s_waitcnt lgkmcnt(0)
	s_barrier
	s_and_saveexec_b64 s[0:1], s[54:55]
	s_cbranch_execz .LBB144_348
; %bb.347:
	ds_read_b64 v[31:32], v17 offset:10912
	ds_read_b64 v[33:34], v18
	s_waitcnt lgkmcnt(0)
	v_fma_f64 v[11:12], v[31:32], v[33:34], v[11:12]
.LBB144_348:
	s_or_b64 exec, exec, s[0:1]
	s_barrier
	s_and_saveexec_b64 s[0:1], s[56:57]
	s_cbranch_execz .LBB144_350
; %bb.349:
	v_mov_b32_e32 v31, 0
	ds_read_b64 v[31:32], v31 offset:11440
	s_waitcnt lgkmcnt(0)
	v_mul_f64 v[11:12], v[11:12], v[31:32]
	ds_write_b64 v18, v[11:12]
.LBB144_350:
	s_or_b64 exec, exec, s[0:1]
	s_waitcnt lgkmcnt(0)
	s_barrier
	s_and_saveexec_b64 s[0:1], s[46:47]
	s_cbranch_execz .LBB144_352
; %bb.351:
	v_mov_b32_e32 v31, 0
	ds_read_b64 v[31:32], v31 offset:11448
	ds_read_b64 v[33:34], v18
	s_waitcnt lgkmcnt(0)
	v_fma_f64 v[11:12], v[31:32], v[33:34], v[11:12]
.LBB144_352:
	s_or_b64 exec, exec, s[0:1]
	s_barrier
	s_and_saveexec_b64 s[0:1], s[46:47]
	s_cbranch_execz .LBB144_354
; %bb.353:
	v_mov_b32_e32 v31, 0
	ds_read_b64 v[31:32], v31 offset:11960
	s_waitcnt lgkmcnt(0)
	v_mul_f64 v[11:12], v[11:12], v[31:32]
	ds_write_b64 v18, v[11:12]
.LBB144_354:
	s_or_b64 exec, exec, s[0:1]
	s_waitcnt lgkmcnt(0)
	s_barrier
	s_barrier
	s_and_saveexec_b64 s[0:1], s[18:19]
; %bb.355:
	v_xor_b32_e32 v12, 0x80000000, v12
	ds_write_b64 v16, v[11:12] offset:8352
; %bb.356:
	s_or_b64 exec, exec, s[0:1]
	s_waitcnt lgkmcnt(0)
	s_barrier
	s_barrier
	s_and_saveexec_b64 s[0:1], s[58:59]
	s_cbranch_execz .LBB144_358
; %bb.357:
	v_lshlrev_b32_e32 v31, 9, v0
	ds_read_b64 v[11:12], v31 offset:8352
	s_movk_i32 s14, 0xfe08
	v_mad_i32_i24 v32, v0, s14, v31
	s_waitcnt lgkmcnt(0)
	ds_write_b64 v32, v[11:12] offset:10368
	ds_read_b64 v[11:12], v31 offset:8360
	s_waitcnt lgkmcnt(0)
	ds_write_b64 v32, v[11:12] offset:10880
	ds_read_b64 v[11:12], v31 offset:8368
	;; [unrolled: 3-line block ×3, first 2 shown]
	s_waitcnt lgkmcnt(0)
	ds_write_b64 v32, v[11:12] offset:11904
.LBB144_358:
	s_or_b64 exec, exec, s[0:1]
	s_waitcnt lgkmcnt(0)
	s_barrier
	s_and_saveexec_b64 s[0:1], vcc
	s_cbranch_execz .LBB144_360
; %bb.359:
	v_mov_b32_e32 v11, 0
	ds_read_b128 v[31:34], v11 offset:10400
	ds_read_b64 v[11:12], v11 offset:10920
	s_movk_i32 s14, 0x2800
	s_waitcnt lgkmcnt(0)
	v_mul_f64 v[11:12], v[31:32], v[11:12]
	v_add_u32_e64 v31, s14, 0
	v_mul_f64 v[11:12], v[33:34], v[11:12]
	ds_write2_b64 v31, v[11:12], v[11:12] offset0:21 offset1:84
.LBB144_360:
	s_or_b64 exec, exec, s[0:1]
	v_mov_b32_e32 v11, 0
	v_mov_b32_e32 v12, 0
	s_waitcnt lgkmcnt(0)
	s_barrier
	s_and_saveexec_b64 s[0:1], s[2:3]
	s_cbranch_execz .LBB144_364
; %bb.361:
	v_mul_u32_u24_e32 v31, 0x208, v15
	ds_read_b64 v[11:12], v1 offset:10416
	ds_read_b64 v[31:32], v31 offset:10400
	v_cmp_gt_u32_e64 s[14:15], 2, v14
	s_waitcnt lgkmcnt(0)
	v_fma_f64 v[11:12], v[11:12], v[31:32], 0
	s_and_saveexec_b64 s[16:17], s[14:15]
	s_cbranch_execz .LBB144_363
; %bb.362:
	v_lshlrev_b32_e32 v31, 3, v0
	v_mov_b32_e32 v33, 0
	ds_read_b64 v[31:32], v31 offset:10928
	ds_read_b64 v[33:34], v33 offset:10408
	s_waitcnt lgkmcnt(0)
	v_fma_f64 v[11:12], v[31:32], v[33:34], v[11:12]
.LBB144_363:
	s_or_b64 exec, exec, s[16:17]
	v_xor_b32_e32 v12, 0x80000000, v12
.LBB144_364:
	s_or_b64 exec, exec, s[0:1]
	s_and_saveexec_b64 s[0:1], s[42:43]
	s_cbranch_execz .LBB144_366
; %bb.365:
	v_mov_b32_e32 v31, 0
	ds_read_b64 v[31:32], v31 offset:11440
	s_waitcnt lgkmcnt(0)
	v_mul_f64 v[11:12], v[11:12], v[31:32]
	ds_write_b64 v13, v[11:12]
.LBB144_366:
	s_or_b64 exec, exec, s[0:1]
	s_waitcnt lgkmcnt(0)
	s_barrier
	s_and_saveexec_b64 s[0:1], s[40:41]
	s_cbranch_execz .LBB144_368
; %bb.367:
	v_mov_b32_e32 v31, 0
	ds_read_b64 v[31:32], v31 offset:11448
	ds_read_b64 v[33:34], v13
	s_waitcnt lgkmcnt(0)
	v_fma_f64 v[11:12], v[31:32], v[33:34], v[11:12]
.LBB144_368:
	s_or_b64 exec, exec, s[0:1]
	s_barrier
	s_and_saveexec_b64 s[0:1], s[40:41]
	s_cbranch_execz .LBB144_370
; %bb.369:
	v_mov_b32_e32 v31, 0
	ds_read_b64 v[31:32], v31 offset:11960
	s_waitcnt lgkmcnt(0)
	v_mul_f64 v[11:12], v[11:12], v[31:32]
	ds_write_b64 v13, v[11:12]
.LBB144_370:
	s_or_b64 exec, exec, s[0:1]
	s_waitcnt lgkmcnt(0)
	s_barrier
	s_barrier
	s_and_saveexec_b64 s[0:1], s[2:3]
; %bb.371:
	v_xor_b32_e32 v12, 0x80000000, v12
	ds_write_b64 v1, v[11:12] offset:10416
; %bb.372:
	s_or_b64 exec, exec, s[0:1]
	s_waitcnt lgkmcnt(0)
	s_barrier
	s_barrier
	s_and_saveexec_b64 s[0:1], s[44:45]
	s_cbranch_execz .LBB144_374
; %bb.373:
	v_lshlrev_b32_e32 v31, 3, v0
	s_movk_i32 s14, 0x1f8
	v_mad_u32_u24 v32, v0, s14, v31
	ds_read_b64 v[11:12], v32 offset:10416
	s_waitcnt lgkmcnt(0)
	ds_write_b64 v31, v[11:12] offset:11424
	ds_read_b64 v[11:12], v32 offset:10424
	s_waitcnt lgkmcnt(0)
	ds_write_b64 v31, v[11:12] offset:11936
.LBB144_374:
	s_or_b64 exec, exec, s[0:1]
	s_waitcnt lgkmcnt(0)
	s_barrier
	s_and_saveexec_b64 s[0:1], vcc
	s_cbranch_execz .LBB144_376
; %bb.375:
	v_mov_b32_e32 v11, 0
	ds_read_b128 v[31:34], v11 offset:11440
	ds_read_b64 v[11:12], v11 offset:11960
	s_movk_i32 s14, 0x2800
	s_waitcnt lgkmcnt(0)
	v_mul_f64 v[11:12], v[31:32], v[11:12]
	v_add_u32_e64 v31, s14, 0
	v_mul_f64 v[11:12], v[33:34], v[11:12]
	ds_write2_b64 v31, v[11:12], v[11:12] offset0:151 offset1:214
.LBB144_376:
	s_or_b64 exec, exec, s[0:1]
	v_mov_b32_e32 v11, 0
	v_mov_b32_e32 v12, 0
	s_waitcnt lgkmcnt(0)
	s_barrier
	s_and_saveexec_b64 s[0:1], s[8:9]
	s_cbranch_execz .LBB144_386
; %bb.377:
	v_mul_u32_u24_e32 v31, 0x208, v25
	ds_read_b64 v[11:12], v21 offset:8384
	ds_read_b64 v[32:33], v31 offset:8320
	v_cmp_gt_u32_e64 s[14:15], 56, v14
	s_waitcnt lgkmcnt(0)
	v_fma_f64 v[11:12], v[11:12], v[32:33], 0
	s_and_saveexec_b64 s[16:17], s[14:15]
	s_cbranch_execnz .LBB144_1113
; %bb.378:
	s_or_b64 exec, exec, s[16:17]
	v_cmp_gt_u32_e64 s[14:15], 48, v14
	s_and_saveexec_b64 s[16:17], s[14:15]
	s_cbranch_execnz .LBB144_1114
.LBB144_379:
	s_or_b64 exec, exec, s[16:17]
	v_cmp_gt_u32_e64 s[14:15], 40, v14
	s_and_saveexec_b64 s[16:17], s[14:15]
	s_cbranch_execnz .LBB144_1115
.LBB144_380:
	s_or_b64 exec, exec, s[16:17]
	v_cmp_gt_u32_e64 s[14:15], 32, v14
	s_and_saveexec_b64 s[16:17], s[14:15]
	s_cbranch_execnz .LBB144_1116
.LBB144_381:
	s_or_b64 exec, exec, s[16:17]
	v_cmp_gt_u32_e64 s[14:15], 24, v14
	s_and_saveexec_b64 s[16:17], s[14:15]
	s_cbranch_execnz .LBB144_1117
.LBB144_382:
	s_or_b64 exec, exec, s[16:17]
	v_cmp_gt_u32_e64 s[14:15], 16, v14
	s_and_saveexec_b64 s[16:17], s[14:15]
	s_cbranch_execnz .LBB144_1118
.LBB144_383:
	s_or_b64 exec, exec, s[16:17]
	v_cmp_gt_u32_e64 s[14:15], 8, v14
	s_and_saveexec_b64 s[16:17], s[14:15]
	s_cbranch_execz .LBB144_385
.LBB144_384:
	v_lshlrev_b32_e32 v31, 3, v0
	v_mov_b32_e32 v33, 0
	ds_read_b64 v[31:32], v31 offset:11968
	ds_read_b64 v[33:34], v33 offset:8376
	s_waitcnt lgkmcnt(0)
	v_fma_f64 v[11:12], v[31:32], v[33:34], v[11:12]
.LBB144_385:
	s_or_b64 exec, exec, s[16:17]
	v_xor_b32_e32 v12, 0x80000000, v12
.LBB144_386:
	s_or_b64 exec, exec, s[0:1]
	s_and_saveexec_b64 s[0:1], s[60:61]
	s_cbranch_execz .LBB144_388
; %bb.387:
	v_mov_b32_e32 v31, 0
	ds_read_b64 v[31:32], v31 offset:12480
	s_waitcnt lgkmcnt(0)
	v_mul_f64 v[11:12], v[11:12], v[31:32]
	ds_write_b64 v23, v[11:12]
.LBB144_388:
	s_or_b64 exec, exec, s[0:1]
	s_waitcnt lgkmcnt(0)
	s_barrier
	s_and_saveexec_b64 s[0:1], s[62:63]
	s_cbranch_execz .LBB144_390
; %bb.389:
	ds_read_b64 v[31:32], v22 offset:12480
	ds_read_b64 v[33:34], v23
	s_waitcnt lgkmcnt(0)
	v_fma_f64 v[11:12], v[31:32], v[33:34], v[11:12]
.LBB144_390:
	s_or_b64 exec, exec, s[0:1]
	s_barrier
	s_and_saveexec_b64 s[0:1], s[64:65]
	s_cbranch_execz .LBB144_392
; %bb.391:
	v_mov_b32_e32 v31, 0
	ds_read_b64 v[31:32], v31 offset:13000
	s_waitcnt lgkmcnt(0)
	v_mul_f64 v[11:12], v[11:12], v[31:32]
	ds_write_b64 v23, v[11:12]
.LBB144_392:
	s_or_b64 exec, exec, s[0:1]
	s_waitcnt lgkmcnt(0)
	s_barrier
	s_and_saveexec_b64 s[0:1], s[66:67]
	s_cbranch_execz .LBB144_394
; %bb.393:
	ds_read_b64 v[31:32], v22 offset:12992
	ds_read_b64 v[33:34], v23
	s_waitcnt lgkmcnt(0)
	v_fma_f64 v[11:12], v[31:32], v[33:34], v[11:12]
.LBB144_394:
	s_or_b64 exec, exec, s[0:1]
	s_barrier
	;; [unrolled: 22-line block ×6, first 2 shown]
	s_and_saveexec_b64 s[0:1], s[86:87]
	s_cbranch_execz .LBB144_412
; %bb.411:
	v_mov_b32_e32 v31, 0
	ds_read_b64 v[31:32], v31 offset:15600
	s_waitcnt lgkmcnt(0)
	v_mul_f64 v[11:12], v[11:12], v[31:32]
	ds_write_b64 v23, v[11:12]
.LBB144_412:
	s_or_b64 exec, exec, s[0:1]
	s_waitcnt lgkmcnt(0)
	s_barrier
	s_and_saveexec_b64 s[0:1], s[70:71]
	s_cbranch_execz .LBB144_414
; %bb.413:
	v_mov_b32_e32 v31, 0
	ds_read_b64 v[31:32], v31 offset:15608
	ds_read_b64 v[33:34], v23
	s_waitcnt lgkmcnt(0)
	v_fma_f64 v[11:12], v[31:32], v[33:34], v[11:12]
.LBB144_414:
	s_or_b64 exec, exec, s[0:1]
	s_barrier
	s_and_saveexec_b64 s[0:1], s[70:71]
	s_cbranch_execz .LBB144_416
; %bb.415:
	v_mov_b32_e32 v31, 0
	ds_read_b64 v[31:32], v31 offset:16120
	s_waitcnt lgkmcnt(0)
	v_mul_f64 v[11:12], v[11:12], v[31:32]
	ds_write_b64 v23, v[11:12]
.LBB144_416:
	s_or_b64 exec, exec, s[0:1]
	s_waitcnt lgkmcnt(0)
	s_barrier
	s_barrier
	s_and_saveexec_b64 s[0:1], s[8:9]
; %bb.417:
	v_xor_b32_e32 v12, 0x80000000, v12
	ds_write_b64 v21, v[11:12] offset:8384
; %bb.418:
	s_or_b64 exec, exec, s[0:1]
	s_waitcnt lgkmcnt(0)
	s_barrier
	s_barrier
	s_and_saveexec_b64 s[0:1], s[88:89]
	s_cbranch_execz .LBB144_420
; %bb.419:
	v_lshlrev_b32_e32 v31, 9, v0
	ds_read_b64 v[11:12], v31 offset:8384
	s_movk_i32 s14, 0xfe08
	v_mad_i32_i24 v32, v0, s14, v31
	s_waitcnt lgkmcnt(0)
	ds_write_b64 v32, v[11:12] offset:12416
	ds_read_b64 v[11:12], v31 offset:8392
	s_waitcnt lgkmcnt(0)
	ds_write_b64 v32, v[11:12] offset:12928
	ds_read_b64 v[11:12], v31 offset:8400
	;; [unrolled: 3-line block ×7, first 2 shown]
	s_waitcnt lgkmcnt(0)
	ds_write_b64 v32, v[11:12] offset:16000
.LBB144_420:
	s_or_b64 exec, exec, s[0:1]
	s_waitcnt lgkmcnt(0)
	s_barrier
	s_and_saveexec_b64 s[0:1], vcc
	s_cbranch_execz .LBB144_422
; %bb.421:
	v_mov_b32_e32 v11, 0
	ds_read_b128 v[31:34], v11 offset:12480
	ds_read_b64 v[11:12], v11 offset:13000
	s_movk_i32 s14, 0x3000
	s_waitcnt lgkmcnt(0)
	v_mul_f64 v[11:12], v[31:32], v[11:12]
	v_add_u32_e64 v31, s14, 0
	v_mul_f64 v[11:12], v[33:34], v[11:12]
	ds_write2_b64 v31, v[11:12], v[11:12] offset0:25 offset1:88
.LBB144_422:
	s_or_b64 exec, exec, s[0:1]
	v_mov_b32_e32 v11, 0
	v_mov_b32_e32 v12, 0
	s_waitcnt lgkmcnt(0)
	s_barrier
	s_and_saveexec_b64 s[0:1], s[2:3]
	s_cbranch_execz .LBB144_426
; %bb.423:
	v_mul_u32_u24_e32 v31, 0x208, v15
	ds_read_b64 v[11:12], v1 offset:12496
	ds_read_b64 v[31:32], v31 offset:12480
	v_cmp_gt_u32_e64 s[14:15], 2, v14
	s_waitcnt lgkmcnt(0)
	v_fma_f64 v[11:12], v[11:12], v[31:32], 0
	s_and_saveexec_b64 s[16:17], s[14:15]
	s_cbranch_execz .LBB144_425
; %bb.424:
	v_lshlrev_b32_e32 v31, 3, v0
	v_mov_b32_e32 v33, 0
	ds_read_b64 v[31:32], v31 offset:13008
	ds_read_b64 v[33:34], v33 offset:12488
	s_waitcnt lgkmcnt(0)
	v_fma_f64 v[11:12], v[31:32], v[33:34], v[11:12]
.LBB144_425:
	s_or_b64 exec, exec, s[16:17]
	v_xor_b32_e32 v12, 0x80000000, v12
.LBB144_426:
	s_or_b64 exec, exec, s[0:1]
	s_and_saveexec_b64 s[0:1], s[42:43]
	s_cbranch_execz .LBB144_428
; %bb.427:
	v_mov_b32_e32 v31, 0
	ds_read_b64 v[31:32], v31 offset:13520
	s_waitcnt lgkmcnt(0)
	v_mul_f64 v[11:12], v[11:12], v[31:32]
	ds_write_b64 v13, v[11:12]
.LBB144_428:
	s_or_b64 exec, exec, s[0:1]
	s_waitcnt lgkmcnt(0)
	s_barrier
	s_and_saveexec_b64 s[0:1], s[40:41]
	s_cbranch_execz .LBB144_430
; %bb.429:
	v_mov_b32_e32 v31, 0
	ds_read_b64 v[31:32], v31 offset:13528
	ds_read_b64 v[33:34], v13
	s_waitcnt lgkmcnt(0)
	v_fma_f64 v[11:12], v[31:32], v[33:34], v[11:12]
.LBB144_430:
	s_or_b64 exec, exec, s[0:1]
	s_barrier
	s_and_saveexec_b64 s[0:1], s[40:41]
	s_cbranch_execz .LBB144_432
; %bb.431:
	v_mov_b32_e32 v31, 0
	ds_read_b64 v[31:32], v31 offset:14040
	s_waitcnt lgkmcnt(0)
	v_mul_f64 v[11:12], v[11:12], v[31:32]
	ds_write_b64 v13, v[11:12]
.LBB144_432:
	s_or_b64 exec, exec, s[0:1]
	s_waitcnt lgkmcnt(0)
	s_barrier
	s_barrier
	s_and_saveexec_b64 s[0:1], s[2:3]
; %bb.433:
	v_xor_b32_e32 v12, 0x80000000, v12
	ds_write_b64 v1, v[11:12] offset:12496
; %bb.434:
	s_or_b64 exec, exec, s[0:1]
	s_waitcnt lgkmcnt(0)
	s_barrier
	s_barrier
	s_and_saveexec_b64 s[0:1], s[44:45]
	s_cbranch_execz .LBB144_436
; %bb.435:
	v_lshlrev_b32_e32 v31, 3, v0
	s_movk_i32 s14, 0x1f8
	v_mad_u32_u24 v32, v0, s14, v31
	ds_read_b64 v[11:12], v32 offset:12496
	s_waitcnt lgkmcnt(0)
	ds_write_b64 v31, v[11:12] offset:13504
	ds_read_b64 v[11:12], v32 offset:12504
	s_waitcnt lgkmcnt(0)
	ds_write_b64 v31, v[11:12] offset:14016
.LBB144_436:
	s_or_b64 exec, exec, s[0:1]
	s_waitcnt lgkmcnt(0)
	s_barrier
	s_and_saveexec_b64 s[0:1], vcc
	s_cbranch_execz .LBB144_438
; %bb.437:
	v_mov_b32_e32 v11, 0
	ds_read_b128 v[31:34], v11 offset:13520
	ds_read_b64 v[11:12], v11 offset:14040
	s_movk_i32 s14, 0x3000
	s_waitcnt lgkmcnt(0)
	v_mul_f64 v[11:12], v[31:32], v[11:12]
	v_add_u32_e64 v31, s14, 0
	v_mul_f64 v[11:12], v[33:34], v[11:12]
	ds_write2_b64 v31, v[11:12], v[11:12] offset0:155 offset1:218
.LBB144_438:
	s_or_b64 exec, exec, s[0:1]
	v_mov_b32_e32 v11, 0
	v_mov_b32_e32 v12, 0
	s_waitcnt lgkmcnt(0)
	s_barrier
	s_and_saveexec_b64 s[0:1], s[18:19]
	s_cbranch_execz .LBB144_444
; %bb.439:
	v_mul_u32_u24_e32 v31, 0x208, v20
	ds_read_b64 v[11:12], v16 offset:12512
	ds_read_b64 v[32:33], v31 offset:12480
	v_cmp_gt_u32_e64 s[14:15], 12, v14
	s_waitcnt lgkmcnt(0)
	v_fma_f64 v[11:12], v[11:12], v[32:33], 0
	s_and_saveexec_b64 s[16:17], s[14:15]
	s_cbranch_execnz .LBB144_1119
; %bb.440:
	s_or_b64 exec, exec, s[16:17]
	v_cmp_gt_u32_e64 s[14:15], 8, v14
	s_and_saveexec_b64 s[16:17], s[14:15]
	s_cbranch_execnz .LBB144_1120
.LBB144_441:
	s_or_b64 exec, exec, s[16:17]
	v_cmp_gt_u32_e64 s[14:15], 4, v14
	s_and_saveexec_b64 s[16:17], s[14:15]
	s_cbranch_execz .LBB144_443
.LBB144_442:
	v_lshlrev_b32_e32 v31, 3, v0
	v_mov_b32_e32 v33, 0
	ds_read_b64 v[31:32], v31 offset:14048
	ds_read_b64 v[33:34], v33 offset:12504
	s_waitcnt lgkmcnt(0)
	v_fma_f64 v[11:12], v[31:32], v[33:34], v[11:12]
.LBB144_443:
	s_or_b64 exec, exec, s[16:17]
	v_xor_b32_e32 v12, 0x80000000, v12
.LBB144_444:
	s_or_b64 exec, exec, s[0:1]
	s_and_saveexec_b64 s[0:1], s[48:49]
	s_cbranch_execz .LBB144_446
; %bb.445:
	v_mov_b32_e32 v31, 0
	ds_read_b64 v[31:32], v31 offset:14560
	s_waitcnt lgkmcnt(0)
	v_mul_f64 v[11:12], v[11:12], v[31:32]
	ds_write_b64 v18, v[11:12]
.LBB144_446:
	s_or_b64 exec, exec, s[0:1]
	s_waitcnt lgkmcnt(0)
	s_barrier
	s_and_saveexec_b64 s[0:1], s[50:51]
	s_cbranch_execz .LBB144_448
; %bb.447:
	ds_read_b64 v[31:32], v17 offset:14560
	ds_read_b64 v[33:34], v18
	s_waitcnt lgkmcnt(0)
	v_fma_f64 v[11:12], v[31:32], v[33:34], v[11:12]
.LBB144_448:
	s_or_b64 exec, exec, s[0:1]
	s_barrier
	s_and_saveexec_b64 s[0:1], s[52:53]
	s_cbranch_execz .LBB144_450
; %bb.449:
	v_mov_b32_e32 v31, 0
	ds_read_b64 v[31:32], v31 offset:15080
	s_waitcnt lgkmcnt(0)
	v_mul_f64 v[11:12], v[11:12], v[31:32]
	ds_write_b64 v18, v[11:12]
.LBB144_450:
	s_or_b64 exec, exec, s[0:1]
	s_waitcnt lgkmcnt(0)
	s_barrier
	s_and_saveexec_b64 s[0:1], s[54:55]
	s_cbranch_execz .LBB144_452
; %bb.451:
	ds_read_b64 v[31:32], v17 offset:15072
	ds_read_b64 v[33:34], v18
	s_waitcnt lgkmcnt(0)
	v_fma_f64 v[11:12], v[31:32], v[33:34], v[11:12]
.LBB144_452:
	s_or_b64 exec, exec, s[0:1]
	s_barrier
	s_and_saveexec_b64 s[0:1], s[56:57]
	s_cbranch_execz .LBB144_454
; %bb.453:
	v_mov_b32_e32 v31, 0
	ds_read_b64 v[31:32], v31 offset:15600
	s_waitcnt lgkmcnt(0)
	v_mul_f64 v[11:12], v[11:12], v[31:32]
	ds_write_b64 v18, v[11:12]
.LBB144_454:
	s_or_b64 exec, exec, s[0:1]
	s_waitcnt lgkmcnt(0)
	s_barrier
	s_and_saveexec_b64 s[0:1], s[46:47]
	s_cbranch_execz .LBB144_456
; %bb.455:
	v_mov_b32_e32 v31, 0
	ds_read_b64 v[31:32], v31 offset:15608
	ds_read_b64 v[33:34], v18
	s_waitcnt lgkmcnt(0)
	v_fma_f64 v[11:12], v[31:32], v[33:34], v[11:12]
.LBB144_456:
	s_or_b64 exec, exec, s[0:1]
	s_barrier
	s_and_saveexec_b64 s[0:1], s[46:47]
	s_cbranch_execz .LBB144_458
; %bb.457:
	v_mov_b32_e32 v31, 0
	ds_read_b64 v[31:32], v31 offset:16120
	s_waitcnt lgkmcnt(0)
	v_mul_f64 v[11:12], v[11:12], v[31:32]
	ds_write_b64 v18, v[11:12]
.LBB144_458:
	s_or_b64 exec, exec, s[0:1]
	s_waitcnt lgkmcnt(0)
	s_barrier
	s_barrier
	s_and_saveexec_b64 s[0:1], s[18:19]
; %bb.459:
	v_xor_b32_e32 v12, 0x80000000, v12
	ds_write_b64 v16, v[11:12] offset:12512
; %bb.460:
	s_or_b64 exec, exec, s[0:1]
	s_waitcnt lgkmcnt(0)
	s_barrier
	s_barrier
	s_and_saveexec_b64 s[0:1], s[58:59]
	s_cbranch_execz .LBB144_462
; %bb.461:
	v_lshlrev_b32_e32 v31, 9, v0
	ds_read_b64 v[11:12], v31 offset:12512
	s_movk_i32 s14, 0xfe08
	v_mad_i32_i24 v32, v0, s14, v31
	s_waitcnt lgkmcnt(0)
	ds_write_b64 v32, v[11:12] offset:14528
	ds_read_b64 v[11:12], v31 offset:12520
	s_waitcnt lgkmcnt(0)
	ds_write_b64 v32, v[11:12] offset:15040
	ds_read_b64 v[11:12], v31 offset:12528
	;; [unrolled: 3-line block ×3, first 2 shown]
	s_waitcnt lgkmcnt(0)
	ds_write_b64 v32, v[11:12] offset:16064
.LBB144_462:
	s_or_b64 exec, exec, s[0:1]
	s_waitcnt lgkmcnt(0)
	s_barrier
	s_and_saveexec_b64 s[0:1], vcc
	s_cbranch_execz .LBB144_464
; %bb.463:
	v_mov_b32_e32 v11, 0
	ds_read_b128 v[31:34], v11 offset:14560
	ds_read_b64 v[11:12], v11 offset:15080
	s_movk_i32 s14, 0x3800
	s_waitcnt lgkmcnt(0)
	v_mul_f64 v[11:12], v[31:32], v[11:12]
	v_add_u32_e64 v31, s14, 0
	v_mul_f64 v[11:12], v[33:34], v[11:12]
	ds_write2_b64 v31, v[11:12], v[11:12] offset0:29 offset1:92
.LBB144_464:
	s_or_b64 exec, exec, s[0:1]
	v_mov_b32_e32 v11, 0
	v_mov_b32_e32 v12, 0
	s_waitcnt lgkmcnt(0)
	s_barrier
	s_and_saveexec_b64 s[0:1], s[2:3]
	s_cbranch_execz .LBB144_468
; %bb.465:
	v_mul_u32_u24_e32 v31, 0x208, v15
	ds_read_b64 v[11:12], v1 offset:14576
	ds_read_b64 v[31:32], v31 offset:14560
	v_cmp_gt_u32_e64 s[14:15], 2, v14
	s_waitcnt lgkmcnt(0)
	v_fma_f64 v[11:12], v[11:12], v[31:32], 0
	s_and_saveexec_b64 s[16:17], s[14:15]
	s_cbranch_execz .LBB144_467
; %bb.466:
	v_lshlrev_b32_e32 v31, 3, v0
	v_mov_b32_e32 v33, 0
	ds_read_b64 v[31:32], v31 offset:15088
	ds_read_b64 v[33:34], v33 offset:14568
	s_waitcnt lgkmcnt(0)
	v_fma_f64 v[11:12], v[31:32], v[33:34], v[11:12]
.LBB144_467:
	s_or_b64 exec, exec, s[16:17]
	v_xor_b32_e32 v12, 0x80000000, v12
.LBB144_468:
	s_or_b64 exec, exec, s[0:1]
	s_and_saveexec_b64 s[0:1], s[42:43]
	s_cbranch_execz .LBB144_470
; %bb.469:
	v_mov_b32_e32 v31, 0
	ds_read_b64 v[31:32], v31 offset:15600
	s_waitcnt lgkmcnt(0)
	v_mul_f64 v[11:12], v[11:12], v[31:32]
	ds_write_b64 v13, v[11:12]
.LBB144_470:
	s_or_b64 exec, exec, s[0:1]
	s_waitcnt lgkmcnt(0)
	s_barrier
	s_and_saveexec_b64 s[0:1], s[40:41]
	s_cbranch_execz .LBB144_472
; %bb.471:
	v_mov_b32_e32 v31, 0
	ds_read_b64 v[31:32], v31 offset:15608
	ds_read_b64 v[33:34], v13
	s_waitcnt lgkmcnt(0)
	v_fma_f64 v[11:12], v[31:32], v[33:34], v[11:12]
.LBB144_472:
	s_or_b64 exec, exec, s[0:1]
	s_barrier
	s_and_saveexec_b64 s[0:1], s[40:41]
	s_cbranch_execz .LBB144_474
; %bb.473:
	v_mov_b32_e32 v31, 0
	ds_read_b64 v[31:32], v31 offset:16120
	s_waitcnt lgkmcnt(0)
	v_mul_f64 v[11:12], v[11:12], v[31:32]
	ds_write_b64 v13, v[11:12]
.LBB144_474:
	s_or_b64 exec, exec, s[0:1]
	s_waitcnt lgkmcnt(0)
	s_barrier
	s_barrier
	s_and_saveexec_b64 s[0:1], s[2:3]
; %bb.475:
	v_xor_b32_e32 v12, 0x80000000, v12
	ds_write_b64 v1, v[11:12] offset:14576
; %bb.476:
	s_or_b64 exec, exec, s[0:1]
	s_waitcnt lgkmcnt(0)
	s_barrier
	s_barrier
	s_and_saveexec_b64 s[0:1], s[44:45]
	s_cbranch_execz .LBB144_478
; %bb.477:
	v_lshlrev_b32_e32 v31, 3, v0
	s_movk_i32 s14, 0x1f8
	v_mad_u32_u24 v32, v0, s14, v31
	ds_read_b64 v[11:12], v32 offset:14576
	s_waitcnt lgkmcnt(0)
	ds_write_b64 v31, v[11:12] offset:15584
	ds_read_b64 v[11:12], v32 offset:14584
	s_waitcnt lgkmcnt(0)
	ds_write_b64 v31, v[11:12] offset:16096
.LBB144_478:
	s_or_b64 exec, exec, s[0:1]
	s_waitcnt lgkmcnt(0)
	s_barrier
	s_and_saveexec_b64 s[0:1], vcc
	s_cbranch_execz .LBB144_480
; %bb.479:
	v_mov_b32_e32 v11, 0
	ds_read_b128 v[31:34], v11 offset:15600
	ds_read_b64 v[11:12], v11 offset:16120
	s_movk_i32 s14, 0x3800
	s_waitcnt lgkmcnt(0)
	v_mul_f64 v[11:12], v[31:32], v[11:12]
	v_add_u32_e64 v31, s14, 0
	v_mul_f64 v[11:12], v[33:34], v[11:12]
	ds_write2_b64 v31, v[11:12], v[11:12] offset0:159 offset1:222
.LBB144_480:
	s_or_b64 exec, exec, s[0:1]
	v_and_b32_e32 v32, 31, v0
	v_lshrrev_b32_e32 v33, 5, v14
	s_movk_i32 s0, 0x3ff
	v_lshlrev_b32_e32 v11, 3, v32
	v_cmp_lt_u32_e64 s[16:17], s0, v14
	s_movk_i32 s0, 0x400
	v_lshl_or_b32 v31, v33, 9, v11
	v_mov_b32_e32 v11, 0
	v_cmp_gt_u32_e64 s[14:15], s0, v14
	v_mov_b32_e32 v12, 0
	s_waitcnt lgkmcnt(0)
	s_barrier
	s_and_saveexec_b64 s[0:1], s[14:15]
	s_cbranch_execz .LBB144_542
; %bb.481:
	v_mul_u32_u24_e32 v34, 0x208, v33
	ds_read_b64 v[11:12], v31 offset:256
	ds_read_b64 v[35:36], v34
	s_movk_i32 s20, 0x3e0
	v_cmp_gt_u32_e64 s[20:21], s20, v14
	s_waitcnt lgkmcnt(0)
	v_fma_f64 v[11:12], v[11:12], v[35:36], 0
	s_and_saveexec_b64 s[38:39], s[20:21]
	s_cbranch_execz .LBB144_483
; %bb.482:
	ds_read_b64 v[35:36], v31 offset:768
	ds_read_b64 v[37:38], v34 offset:8
	s_waitcnt lgkmcnt(0)
	v_fma_f64 v[11:12], v[35:36], v[37:38], v[11:12]
.LBB144_483:
	s_or_b64 exec, exec, s[38:39]
	s_movk_i32 s20, 0x3c0
	v_cmp_gt_u32_e64 s[20:21], s20, v14
	s_and_saveexec_b64 s[38:39], s[20:21]
	s_cbranch_execz .LBB144_485
; %bb.484:
	ds_read_b64 v[35:36], v31 offset:1280
	ds_read_b64 v[37:38], v34 offset:16
	s_waitcnt lgkmcnt(0)
	v_fma_f64 v[11:12], v[35:36], v[37:38], v[11:12]
.LBB144_485:
	s_or_b64 exec, exec, s[38:39]
	s_movk_i32 s20, 0x3a0
	v_cmp_gt_u32_e64 s[20:21], s20, v14
	;; [unrolled: 11-line block ×28, first 2 shown]
	s_and_saveexec_b64 s[38:39], s[20:21]
	s_cbranch_execnz .LBB144_1121
; %bb.538:
	s_or_b64 exec, exec, s[38:39]
	v_cmp_gt_u32_e64 s[20:21], 64, v14
	s_and_saveexec_b64 s[38:39], s[20:21]
	s_cbranch_execnz .LBB144_1122
.LBB144_539:
	s_or_b64 exec, exec, s[38:39]
	v_cmp_gt_u32_e64 s[20:21], 32, v14
	s_and_saveexec_b64 s[38:39], s[20:21]
	s_cbranch_execz .LBB144_541
.LBB144_540:
	v_lshlrev_b32_e32 v34, 3, v0
	v_mov_b32_e32 v36, 0
	ds_read_b64 v[34:35], v34 offset:16128
	ds_read_b64 v[36:37], v36 offset:248
	s_waitcnt lgkmcnt(0)
	v_fma_f64 v[11:12], v[34:35], v[36:37], v[11:12]
.LBB144_541:
	s_or_b64 exec, exec, s[38:39]
	v_xor_b32_e32 v12, 0x80000000, v12
.LBB144_542:
	s_or_b64 exec, exec, s[0:1]
	v_mov_b32_e32 v34, 0x8000
	v_lshl_or_b32 v33, v33, 3, v34
	v_mul_u32_u24_e32 v34, 0x208, v32
	v_lshlrev_b32_e32 v35, 9, v32
	v_sub_u32_e32 v35, v34, v35
	v_add_u32_e32 v35, 0x4100, v35
	s_mov_b32 s20, 0
	s_xor_b64 s[0:1], s[16:17], -1
	v_mov_b32_e32 v36, v32
	s_branch .LBB144_544
.LBB144_543:                            ;   in Loop: Header=BB144_544 Depth=1
	s_or_b64 exec, exec, s[16:17]
	s_add_i32 s20, s20, 4
	v_add_u32_e32 v35, 0x800, v35
	s_cmp_eq_u32 s20, 32
	v_add_u32_e32 v36, -4, v36
	s_barrier
	s_cbranch_scc1 .LBB144_560
.LBB144_544:                            ; =>This Inner Loop Header: Depth=1
	v_cmp_eq_u32_e64 s[16:17], 0, v36
	s_and_b64 s[38:39], s[0:1], s[16:17]
	s_and_saveexec_b64 s[16:17], s[38:39]
	s_cbranch_execz .LBB144_546
; %bb.545:                              ;   in Loop: Header=BB144_544 Depth=1
	ds_read_b64 v[37:38], v34 offset:16640
	s_waitcnt lgkmcnt(0)
	v_mul_f64 v[11:12], v[11:12], v[37:38]
	ds_write_b64 v33, v[11:12]
.LBB144_546:                            ;   in Loop: Header=BB144_544 Depth=1
	s_or_b64 exec, exec, s[16:17]
	v_cmp_lt_u32_e64 s[16:17], s20, v32
	s_and_b64 s[38:39], s[0:1], s[16:17]
	s_waitcnt lgkmcnt(0)
	s_barrier
	s_and_saveexec_b64 s[16:17], s[38:39]
	s_cbranch_execz .LBB144_548
; %bb.547:                              ;   in Loop: Header=BB144_544 Depth=1
	ds_read_b64 v[37:38], v35
	ds_read_b64 v[39:40], v33
	s_waitcnt lgkmcnt(0)
	v_fma_f64 v[11:12], v[37:38], v[39:40], v[11:12]
.LBB144_548:                            ;   in Loop: Header=BB144_544 Depth=1
	s_or_b64 exec, exec, s[16:17]
	s_or_b32 s21, s20, 1
	v_cmp_eq_u32_e64 s[16:17], s21, v32
	s_and_b64 s[38:39], s[0:1], s[16:17]
	s_barrier
	s_and_saveexec_b64 s[16:17], s[38:39]
	s_cbranch_execz .LBB144_550
; %bb.549:                              ;   in Loop: Header=BB144_544 Depth=1
	ds_read_b64 v[37:38], v34 offset:16640
	s_waitcnt lgkmcnt(0)
	v_mul_f64 v[11:12], v[11:12], v[37:38]
	ds_write_b64 v33, v[11:12]
.LBB144_550:                            ;   in Loop: Header=BB144_544 Depth=1
	s_or_b64 exec, exec, s[16:17]
	v_cmp_lt_u32_e64 s[16:17], s21, v32
	s_and_b64 s[38:39], s[0:1], s[16:17]
	s_waitcnt lgkmcnt(0)
	s_barrier
	s_and_saveexec_b64 s[16:17], s[38:39]
	s_cbranch_execz .LBB144_552
; %bb.551:                              ;   in Loop: Header=BB144_544 Depth=1
	ds_read_b64 v[37:38], v35 offset:512
	ds_read_b64 v[39:40], v33
	s_waitcnt lgkmcnt(0)
	v_fma_f64 v[11:12], v[37:38], v[39:40], v[11:12]
.LBB144_552:                            ;   in Loop: Header=BB144_544 Depth=1
	s_or_b64 exec, exec, s[16:17]
	s_or_b32 s21, s20, 2
	v_cmp_eq_u32_e64 s[16:17], s21, v32
	s_and_b64 s[38:39], s[0:1], s[16:17]
	s_barrier
	s_and_saveexec_b64 s[16:17], s[38:39]
	s_cbranch_execz .LBB144_554
; %bb.553:                              ;   in Loop: Header=BB144_544 Depth=1
	ds_read_b64 v[37:38], v34 offset:16640
	s_waitcnt lgkmcnt(0)
	v_mul_f64 v[11:12], v[11:12], v[37:38]
	ds_write_b64 v33, v[11:12]
.LBB144_554:                            ;   in Loop: Header=BB144_544 Depth=1
	s_or_b64 exec, exec, s[16:17]
	v_cmp_lt_u32_e64 s[16:17], s21, v32
	s_and_b64 s[38:39], s[0:1], s[16:17]
	s_waitcnt lgkmcnt(0)
	s_barrier
	s_and_saveexec_b64 s[16:17], s[38:39]
	s_cbranch_execz .LBB144_556
; %bb.555:                              ;   in Loop: Header=BB144_544 Depth=1
	ds_read_b64 v[37:38], v35 offset:1024
	ds_read_b64 v[39:40], v33
	s_waitcnt lgkmcnt(0)
	v_fma_f64 v[11:12], v[37:38], v[39:40], v[11:12]
.LBB144_556:                            ;   in Loop: Header=BB144_544 Depth=1
	s_or_b64 exec, exec, s[16:17]
	s_or_b32 s21, s20, 3
	v_cmp_eq_u32_e64 s[16:17], s21, v32
	s_and_b64 s[38:39], s[0:1], s[16:17]
	s_barrier
	s_and_saveexec_b64 s[16:17], s[38:39]
	s_cbranch_execz .LBB144_558
; %bb.557:                              ;   in Loop: Header=BB144_544 Depth=1
	ds_read_b64 v[37:38], v34 offset:16640
	s_waitcnt lgkmcnt(0)
	v_mul_f64 v[11:12], v[11:12], v[37:38]
	ds_write_b64 v33, v[11:12]
.LBB144_558:                            ;   in Loop: Header=BB144_544 Depth=1
	s_or_b64 exec, exec, s[16:17]
	v_cmp_lt_u32_e64 s[16:17], s21, v32
	s_and_b64 s[38:39], s[0:1], s[16:17]
	s_waitcnt lgkmcnt(0)
	s_barrier
	s_and_saveexec_b64 s[16:17], s[38:39]
	s_cbranch_execz .LBB144_543
; %bb.559:                              ;   in Loop: Header=BB144_544 Depth=1
	ds_read_b64 v[37:38], v35 offset:1536
	ds_read_b64 v[39:40], v33
	s_waitcnt lgkmcnt(0)
	v_fma_f64 v[11:12], v[37:38], v[39:40], v[11:12]
	s_branch .LBB144_543
.LBB144_560:
	s_and_saveexec_b64 s[0:1], s[14:15]
; %bb.561:
	v_xor_b32_e32 v12, 0x80000000, v12
	ds_write_b64 v31, v[11:12] offset:256
; %bb.562:
	s_or_b64 exec, exec, s[0:1]
	v_cmp_gt_u32_e64 s[14:15], 32, v0
	s_and_b64 s[12:13], s[12:13], s[14:15]
	s_waitcnt lgkmcnt(0)
	s_barrier
	s_barrier
	s_and_saveexec_b64 s[0:1], s[12:13]
	s_cbranch_execz .LBB144_564
; %bb.563:
	v_lshlrev_b32_e32 v31, 9, v0
	ds_read_b64 v[11:12], v31 offset:256
	s_movk_i32 s12, 0xfe08
	v_mad_i32_i24 v32, v0, s12, v31
	s_waitcnt lgkmcnt(0)
	ds_write_b64 v32, v[11:12] offset:16384
	ds_read_b64 v[11:12], v31 offset:264
	s_waitcnt lgkmcnt(0)
	ds_write_b64 v32, v[11:12] offset:16896
	ds_read_b64 v[11:12], v31 offset:272
	s_waitcnt lgkmcnt(0)
	ds_write_b64 v32, v[11:12] offset:17408
	ds_read_b64 v[11:12], v31 offset:280
	s_waitcnt lgkmcnt(0)
	ds_write_b64 v32, v[11:12] offset:17920
	ds_read_b64 v[11:12], v31 offset:288
	s_waitcnt lgkmcnt(0)
	ds_write_b64 v32, v[11:12] offset:18432
	ds_read_b64 v[11:12], v31 offset:296
	s_waitcnt lgkmcnt(0)
	ds_write_b64 v32, v[11:12] offset:18944
	ds_read_b64 v[11:12], v31 offset:304
	s_waitcnt lgkmcnt(0)
	ds_write_b64 v32, v[11:12] offset:19456
	ds_read_b64 v[11:12], v31 offset:312
	s_waitcnt lgkmcnt(0)
	ds_write_b64 v32, v[11:12] offset:19968
	ds_read_b64 v[11:12], v31 offset:320
	s_waitcnt lgkmcnt(0)
	ds_write_b64 v32, v[11:12] offset:20480
	ds_read_b64 v[11:12], v31 offset:328
	s_waitcnt lgkmcnt(0)
	ds_write_b64 v32, v[11:12] offset:20992
	ds_read_b64 v[11:12], v31 offset:336
	s_waitcnt lgkmcnt(0)
	ds_write_b64 v32, v[11:12] offset:21504
	ds_read_b64 v[11:12], v31 offset:344
	s_waitcnt lgkmcnt(0)
	ds_write_b64 v32, v[11:12] offset:22016
	ds_read_b64 v[11:12], v31 offset:352
	s_waitcnt lgkmcnt(0)
	ds_write_b64 v32, v[11:12] offset:22528
	ds_read_b64 v[11:12], v31 offset:360
	s_waitcnt lgkmcnt(0)
	ds_write_b64 v32, v[11:12] offset:23040
	ds_read_b64 v[11:12], v31 offset:368
	s_waitcnt lgkmcnt(0)
	ds_write_b64 v32, v[11:12] offset:23552
	ds_read_b64 v[11:12], v31 offset:376
	s_waitcnt lgkmcnt(0)
	ds_write_b64 v32, v[11:12] offset:24064
	ds_read_b64 v[11:12], v31 offset:384
	s_waitcnt lgkmcnt(0)
	ds_write_b64 v32, v[11:12] offset:24576
	ds_read_b64 v[11:12], v31 offset:392
	s_waitcnt lgkmcnt(0)
	ds_write_b64 v32, v[11:12] offset:25088
	ds_read_b64 v[11:12], v31 offset:400
	s_waitcnt lgkmcnt(0)
	ds_write_b64 v32, v[11:12] offset:25600
	ds_read_b64 v[11:12], v31 offset:408
	s_waitcnt lgkmcnt(0)
	ds_write_b64 v32, v[11:12] offset:26112
	ds_read_b64 v[11:12], v31 offset:416
	s_waitcnt lgkmcnt(0)
	ds_write_b64 v32, v[11:12] offset:26624
	ds_read_b64 v[11:12], v31 offset:424
	s_waitcnt lgkmcnt(0)
	ds_write_b64 v32, v[11:12] offset:27136
	ds_read_b64 v[11:12], v31 offset:432
	s_waitcnt lgkmcnt(0)
	ds_write_b64 v32, v[11:12] offset:27648
	ds_read_b64 v[11:12], v31 offset:440
	s_waitcnt lgkmcnt(0)
	ds_write_b64 v32, v[11:12] offset:28160
	ds_read_b64 v[11:12], v31 offset:448
	s_waitcnt lgkmcnt(0)
	ds_write_b64 v32, v[11:12] offset:28672
	ds_read_b64 v[11:12], v31 offset:456
	s_waitcnt lgkmcnt(0)
	ds_write_b64 v32, v[11:12] offset:29184
	ds_read_b64 v[11:12], v31 offset:464
	s_waitcnt lgkmcnt(0)
	ds_write_b64 v32, v[11:12] offset:29696
	ds_read_b64 v[11:12], v31 offset:472
	s_waitcnt lgkmcnt(0)
	ds_write_b64 v32, v[11:12] offset:30208
	ds_read_b64 v[11:12], v31 offset:480
	s_waitcnt lgkmcnt(0)
	ds_write_b64 v32, v[11:12] offset:30720
	ds_read_b64 v[11:12], v31 offset:488
	s_waitcnt lgkmcnt(0)
	ds_write_b64 v32, v[11:12] offset:31232
	ds_read_b64 v[11:12], v31 offset:496
	s_waitcnt lgkmcnt(0)
	ds_write_b64 v32, v[11:12] offset:31744
	ds_read_b64 v[11:12], v31 offset:504
	s_waitcnt lgkmcnt(0)
	ds_write_b64 v32, v[11:12] offset:32256
.LBB144_564:
	s_or_b64 exec, exec, s[0:1]
	s_waitcnt lgkmcnt(0)
	s_barrier
	s_and_saveexec_b64 s[0:1], vcc
	s_cbranch_execz .LBB144_566
; %bb.565:
	v_mov_b32_e32 v11, 0
	ds_read_b128 v[31:34], v11 offset:16640
	ds_read_b64 v[11:12], v11 offset:17160
	s_movk_i32 s12, 0x4000
	s_waitcnt lgkmcnt(0)
	v_mul_f64 v[11:12], v[31:32], v[11:12]
	v_add_u32_e64 v31, s12, 0
	v_mul_f64 v[11:12], v[33:34], v[11:12]
	ds_write2_b64 v31, v[11:12], v[11:12] offset0:33 offset1:96
.LBB144_566:
	s_or_b64 exec, exec, s[0:1]
	v_mov_b32_e32 v11, 0
	v_mov_b32_e32 v12, 0
	s_waitcnt lgkmcnt(0)
	s_barrier
	s_and_saveexec_b64 s[0:1], s[2:3]
	s_cbranch_execz .LBB144_570
; %bb.567:
	v_mul_u32_u24_e32 v31, 0x208, v15
	ds_read_b64 v[11:12], v1 offset:16656
	ds_read_b64 v[31:32], v31 offset:16640
	v_cmp_gt_u32_e64 s[12:13], 2, v14
	s_waitcnt lgkmcnt(0)
	v_fma_f64 v[11:12], v[11:12], v[31:32], 0
	s_and_saveexec_b64 s[14:15], s[12:13]
	s_cbranch_execz .LBB144_569
; %bb.568:
	v_lshlrev_b32_e32 v31, 3, v0
	v_mov_b32_e32 v33, 0
	ds_read_b64 v[31:32], v31 offset:17168
	ds_read_b64 v[33:34], v33 offset:16648
	s_waitcnt lgkmcnt(0)
	v_fma_f64 v[11:12], v[31:32], v[33:34], v[11:12]
.LBB144_569:
	s_or_b64 exec, exec, s[14:15]
	v_xor_b32_e32 v12, 0x80000000, v12
.LBB144_570:
	s_or_b64 exec, exec, s[0:1]
	s_and_saveexec_b64 s[0:1], s[42:43]
	s_cbranch_execz .LBB144_572
; %bb.571:
	v_mov_b32_e32 v31, 0
	ds_read_b64 v[31:32], v31 offset:17680
	s_waitcnt lgkmcnt(0)
	v_mul_f64 v[11:12], v[11:12], v[31:32]
	ds_write_b64 v13, v[11:12]
.LBB144_572:
	s_or_b64 exec, exec, s[0:1]
	s_waitcnt lgkmcnt(0)
	s_barrier
	s_and_saveexec_b64 s[0:1], s[40:41]
	s_cbranch_execz .LBB144_574
; %bb.573:
	v_mov_b32_e32 v31, 0
	ds_read_b64 v[31:32], v31 offset:17688
	ds_read_b64 v[33:34], v13
	s_waitcnt lgkmcnt(0)
	v_fma_f64 v[11:12], v[31:32], v[33:34], v[11:12]
.LBB144_574:
	s_or_b64 exec, exec, s[0:1]
	s_barrier
	s_and_saveexec_b64 s[0:1], s[40:41]
	s_cbranch_execz .LBB144_576
; %bb.575:
	v_mov_b32_e32 v31, 0
	ds_read_b64 v[31:32], v31 offset:18200
	s_waitcnt lgkmcnt(0)
	v_mul_f64 v[11:12], v[11:12], v[31:32]
	ds_write_b64 v13, v[11:12]
.LBB144_576:
	s_or_b64 exec, exec, s[0:1]
	s_waitcnt lgkmcnt(0)
	s_barrier
	s_barrier
	s_and_saveexec_b64 s[0:1], s[2:3]
; %bb.577:
	v_xor_b32_e32 v12, 0x80000000, v12
	ds_write_b64 v1, v[11:12] offset:16656
; %bb.578:
	s_or_b64 exec, exec, s[0:1]
	s_waitcnt lgkmcnt(0)
	s_barrier
	s_barrier
	s_and_saveexec_b64 s[0:1], s[44:45]
	s_cbranch_execz .LBB144_580
; %bb.579:
	v_lshlrev_b32_e32 v31, 3, v0
	s_movk_i32 s12, 0x1f8
	v_mad_u32_u24 v32, v0, s12, v31
	ds_read_b64 v[11:12], v32 offset:16656
	s_waitcnt lgkmcnt(0)
	ds_write_b64 v31, v[11:12] offset:17664
	ds_read_b64 v[11:12], v32 offset:16664
	s_waitcnt lgkmcnt(0)
	ds_write_b64 v31, v[11:12] offset:18176
.LBB144_580:
	s_or_b64 exec, exec, s[0:1]
	s_waitcnt lgkmcnt(0)
	s_barrier
	s_and_saveexec_b64 s[0:1], vcc
	s_cbranch_execz .LBB144_582
; %bb.581:
	v_mov_b32_e32 v11, 0
	ds_read_b128 v[31:34], v11 offset:17680
	ds_read_b64 v[11:12], v11 offset:18200
	s_movk_i32 s12, 0x4000
	s_waitcnt lgkmcnt(0)
	v_mul_f64 v[11:12], v[31:32], v[11:12]
	v_add_u32_e64 v31, s12, 0
	v_mul_f64 v[11:12], v[33:34], v[11:12]
	ds_write2_b64 v31, v[11:12], v[11:12] offset0:163 offset1:226
.LBB144_582:
	s_or_b64 exec, exec, s[0:1]
	v_mov_b32_e32 v11, 0
	v_mov_b32_e32 v12, 0
	s_waitcnt lgkmcnt(0)
	s_barrier
	s_and_saveexec_b64 s[0:1], s[18:19]
	s_cbranch_execz .LBB144_588
; %bb.583:
	v_mul_u32_u24_e32 v31, 0x208, v20
	ds_read_b64 v[11:12], v16 offset:16672
	ds_read_b64 v[32:33], v31 offset:16640
	v_cmp_gt_u32_e64 s[12:13], 12, v14
	s_waitcnt lgkmcnt(0)
	v_fma_f64 v[11:12], v[11:12], v[32:33], 0
	s_and_saveexec_b64 s[14:15], s[12:13]
	s_cbranch_execnz .LBB144_1123
; %bb.584:
	s_or_b64 exec, exec, s[14:15]
	v_cmp_gt_u32_e64 s[12:13], 8, v14
	s_and_saveexec_b64 s[14:15], s[12:13]
	s_cbranch_execnz .LBB144_1124
.LBB144_585:
	s_or_b64 exec, exec, s[14:15]
	v_cmp_gt_u32_e64 s[12:13], 4, v14
	s_and_saveexec_b64 s[14:15], s[12:13]
	s_cbranch_execz .LBB144_587
.LBB144_586:
	v_lshlrev_b32_e32 v31, 3, v0
	v_mov_b32_e32 v33, 0
	ds_read_b64 v[31:32], v31 offset:18208
	ds_read_b64 v[33:34], v33 offset:16664
	s_waitcnt lgkmcnt(0)
	v_fma_f64 v[11:12], v[31:32], v[33:34], v[11:12]
.LBB144_587:
	s_or_b64 exec, exec, s[14:15]
	v_xor_b32_e32 v12, 0x80000000, v12
.LBB144_588:
	s_or_b64 exec, exec, s[0:1]
	s_and_saveexec_b64 s[0:1], s[48:49]
	s_cbranch_execz .LBB144_590
; %bb.589:
	v_mov_b32_e32 v31, 0
	ds_read_b64 v[31:32], v31 offset:18720
	s_waitcnt lgkmcnt(0)
	v_mul_f64 v[11:12], v[11:12], v[31:32]
	ds_write_b64 v18, v[11:12]
.LBB144_590:
	s_or_b64 exec, exec, s[0:1]
	s_waitcnt lgkmcnt(0)
	s_barrier
	s_and_saveexec_b64 s[0:1], s[50:51]
	s_cbranch_execz .LBB144_592
; %bb.591:
	ds_read_b64 v[31:32], v17 offset:18720
	ds_read_b64 v[33:34], v18
	s_waitcnt lgkmcnt(0)
	v_fma_f64 v[11:12], v[31:32], v[33:34], v[11:12]
.LBB144_592:
	s_or_b64 exec, exec, s[0:1]
	s_barrier
	s_and_saveexec_b64 s[0:1], s[52:53]
	s_cbranch_execz .LBB144_594
; %bb.593:
	v_mov_b32_e32 v31, 0
	ds_read_b64 v[31:32], v31 offset:19240
	s_waitcnt lgkmcnt(0)
	v_mul_f64 v[11:12], v[11:12], v[31:32]
	ds_write_b64 v18, v[11:12]
.LBB144_594:
	s_or_b64 exec, exec, s[0:1]
	s_waitcnt lgkmcnt(0)
	s_barrier
	s_and_saveexec_b64 s[0:1], s[54:55]
	s_cbranch_execz .LBB144_596
; %bb.595:
	ds_read_b64 v[31:32], v17 offset:19232
	ds_read_b64 v[33:34], v18
	s_waitcnt lgkmcnt(0)
	v_fma_f64 v[11:12], v[31:32], v[33:34], v[11:12]
.LBB144_596:
	s_or_b64 exec, exec, s[0:1]
	s_barrier
	s_and_saveexec_b64 s[0:1], s[56:57]
	s_cbranch_execz .LBB144_598
; %bb.597:
	v_mov_b32_e32 v31, 0
	ds_read_b64 v[31:32], v31 offset:19760
	s_waitcnt lgkmcnt(0)
	v_mul_f64 v[11:12], v[11:12], v[31:32]
	ds_write_b64 v18, v[11:12]
.LBB144_598:
	s_or_b64 exec, exec, s[0:1]
	s_waitcnt lgkmcnt(0)
	s_barrier
	s_and_saveexec_b64 s[0:1], s[46:47]
	s_cbranch_execz .LBB144_600
; %bb.599:
	v_mov_b32_e32 v31, 0
	ds_read_b64 v[31:32], v31 offset:19768
	ds_read_b64 v[33:34], v18
	s_waitcnt lgkmcnt(0)
	v_fma_f64 v[11:12], v[31:32], v[33:34], v[11:12]
.LBB144_600:
	s_or_b64 exec, exec, s[0:1]
	s_barrier
	s_and_saveexec_b64 s[0:1], s[46:47]
	s_cbranch_execz .LBB144_602
; %bb.601:
	v_mov_b32_e32 v31, 0
	ds_read_b64 v[31:32], v31 offset:20280
	s_waitcnt lgkmcnt(0)
	v_mul_f64 v[11:12], v[11:12], v[31:32]
	ds_write_b64 v18, v[11:12]
.LBB144_602:
	s_or_b64 exec, exec, s[0:1]
	s_waitcnt lgkmcnt(0)
	s_barrier
	s_barrier
	s_and_saveexec_b64 s[0:1], s[18:19]
; %bb.603:
	v_xor_b32_e32 v12, 0x80000000, v12
	ds_write_b64 v16, v[11:12] offset:16672
; %bb.604:
	s_or_b64 exec, exec, s[0:1]
	s_waitcnt lgkmcnt(0)
	s_barrier
	s_barrier
	s_and_saveexec_b64 s[0:1], s[58:59]
	s_cbranch_execz .LBB144_606
; %bb.605:
	v_lshlrev_b32_e32 v31, 9, v0
	ds_read_b64 v[11:12], v31 offset:16672
	s_movk_i32 s12, 0xfe08
	v_mad_i32_i24 v32, v0, s12, v31
	s_waitcnt lgkmcnt(0)
	ds_write_b64 v32, v[11:12] offset:18688
	ds_read_b64 v[11:12], v31 offset:16680
	s_waitcnt lgkmcnt(0)
	ds_write_b64 v32, v[11:12] offset:19200
	ds_read_b64 v[11:12], v31 offset:16688
	s_waitcnt lgkmcnt(0)
	ds_write_b64 v32, v[11:12] offset:19712
	ds_read_b64 v[11:12], v31 offset:16696
	s_waitcnt lgkmcnt(0)
	ds_write_b64 v32, v[11:12] offset:20224
.LBB144_606:
	s_or_b64 exec, exec, s[0:1]
	s_waitcnt lgkmcnt(0)
	s_barrier
	s_and_saveexec_b64 s[0:1], vcc
	s_cbranch_execz .LBB144_608
; %bb.607:
	v_mov_b32_e32 v11, 0
	ds_read_b128 v[31:34], v11 offset:18720
	ds_read_b64 v[11:12], v11 offset:19240
	s_movk_i32 s12, 0x4800
	s_waitcnt lgkmcnt(0)
	v_mul_f64 v[11:12], v[31:32], v[11:12]
	v_add_u32_e64 v31, s12, 0
	v_mul_f64 v[11:12], v[33:34], v[11:12]
	ds_write2_b64 v31, v[11:12], v[11:12] offset0:37 offset1:100
.LBB144_608:
	s_or_b64 exec, exec, s[0:1]
	v_mov_b32_e32 v11, 0
	v_mov_b32_e32 v12, 0
	s_waitcnt lgkmcnt(0)
	s_barrier
	s_and_saveexec_b64 s[0:1], s[2:3]
	s_cbranch_execz .LBB144_612
; %bb.609:
	v_mul_u32_u24_e32 v31, 0x208, v15
	ds_read_b64 v[11:12], v1 offset:18736
	ds_read_b64 v[31:32], v31 offset:18720
	v_cmp_gt_u32_e64 s[12:13], 2, v14
	s_waitcnt lgkmcnt(0)
	v_fma_f64 v[11:12], v[11:12], v[31:32], 0
	s_and_saveexec_b64 s[14:15], s[12:13]
	s_cbranch_execz .LBB144_611
; %bb.610:
	v_lshlrev_b32_e32 v31, 3, v0
	v_mov_b32_e32 v33, 0
	ds_read_b64 v[31:32], v31 offset:19248
	ds_read_b64 v[33:34], v33 offset:18728
	s_waitcnt lgkmcnt(0)
	v_fma_f64 v[11:12], v[31:32], v[33:34], v[11:12]
.LBB144_611:
	s_or_b64 exec, exec, s[14:15]
	v_xor_b32_e32 v12, 0x80000000, v12
.LBB144_612:
	s_or_b64 exec, exec, s[0:1]
	s_and_saveexec_b64 s[0:1], s[42:43]
	s_cbranch_execz .LBB144_614
; %bb.613:
	v_mov_b32_e32 v31, 0
	ds_read_b64 v[31:32], v31 offset:19760
	s_waitcnt lgkmcnt(0)
	v_mul_f64 v[11:12], v[11:12], v[31:32]
	ds_write_b64 v13, v[11:12]
.LBB144_614:
	s_or_b64 exec, exec, s[0:1]
	s_waitcnt lgkmcnt(0)
	s_barrier
	s_and_saveexec_b64 s[0:1], s[40:41]
	s_cbranch_execz .LBB144_616
; %bb.615:
	v_mov_b32_e32 v31, 0
	ds_read_b64 v[31:32], v31 offset:19768
	ds_read_b64 v[33:34], v13
	s_waitcnt lgkmcnt(0)
	v_fma_f64 v[11:12], v[31:32], v[33:34], v[11:12]
.LBB144_616:
	s_or_b64 exec, exec, s[0:1]
	s_barrier
	s_and_saveexec_b64 s[0:1], s[40:41]
	s_cbranch_execz .LBB144_618
; %bb.617:
	v_mov_b32_e32 v31, 0
	ds_read_b64 v[31:32], v31 offset:20280
	s_waitcnt lgkmcnt(0)
	v_mul_f64 v[11:12], v[11:12], v[31:32]
	ds_write_b64 v13, v[11:12]
.LBB144_618:
	s_or_b64 exec, exec, s[0:1]
	s_waitcnt lgkmcnt(0)
	s_barrier
	s_barrier
	s_and_saveexec_b64 s[0:1], s[2:3]
; %bb.619:
	v_xor_b32_e32 v12, 0x80000000, v12
	ds_write_b64 v1, v[11:12] offset:18736
; %bb.620:
	s_or_b64 exec, exec, s[0:1]
	s_waitcnt lgkmcnt(0)
	s_barrier
	s_barrier
	s_and_saveexec_b64 s[0:1], s[44:45]
	s_cbranch_execz .LBB144_622
; %bb.621:
	v_lshlrev_b32_e32 v31, 3, v0
	s_movk_i32 s12, 0x1f8
	v_mad_u32_u24 v32, v0, s12, v31
	ds_read_b64 v[11:12], v32 offset:18736
	s_waitcnt lgkmcnt(0)
	ds_write_b64 v31, v[11:12] offset:19744
	ds_read_b64 v[11:12], v32 offset:18744
	s_waitcnt lgkmcnt(0)
	ds_write_b64 v31, v[11:12] offset:20256
.LBB144_622:
	s_or_b64 exec, exec, s[0:1]
	s_waitcnt lgkmcnt(0)
	s_barrier
	s_and_saveexec_b64 s[0:1], vcc
	s_cbranch_execz .LBB144_624
; %bb.623:
	v_mov_b32_e32 v11, 0
	ds_read_b128 v[31:34], v11 offset:19760
	ds_read_b64 v[11:12], v11 offset:20280
	s_movk_i32 s12, 0x4800
	s_waitcnt lgkmcnt(0)
	v_mul_f64 v[11:12], v[31:32], v[11:12]
	v_add_u32_e64 v31, s12, 0
	v_mul_f64 v[11:12], v[33:34], v[11:12]
	ds_write2_b64 v31, v[11:12], v[11:12] offset0:167 offset1:230
.LBB144_624:
	s_or_b64 exec, exec, s[0:1]
	v_mov_b32_e32 v11, 0
	v_mov_b32_e32 v12, 0
	s_waitcnt lgkmcnt(0)
	s_barrier
	s_and_saveexec_b64 s[0:1], s[8:9]
	s_cbranch_execz .LBB144_634
; %bb.625:
	v_mul_u32_u24_e32 v31, 0x208, v25
	ds_read_b64 v[11:12], v21 offset:16704
	ds_read_b64 v[32:33], v31 offset:16640
	v_cmp_gt_u32_e64 s[12:13], 56, v14
	s_waitcnt lgkmcnt(0)
	v_fma_f64 v[11:12], v[11:12], v[32:33], 0
	s_and_saveexec_b64 s[14:15], s[12:13]
	s_cbranch_execnz .LBB144_1125
; %bb.626:
	s_or_b64 exec, exec, s[14:15]
	v_cmp_gt_u32_e64 s[12:13], 48, v14
	s_and_saveexec_b64 s[14:15], s[12:13]
	s_cbranch_execnz .LBB144_1126
.LBB144_627:
	s_or_b64 exec, exec, s[14:15]
	v_cmp_gt_u32_e64 s[12:13], 40, v14
	s_and_saveexec_b64 s[14:15], s[12:13]
	s_cbranch_execnz .LBB144_1127
.LBB144_628:
	s_or_b64 exec, exec, s[14:15]
	v_cmp_gt_u32_e64 s[12:13], 32, v14
	s_and_saveexec_b64 s[14:15], s[12:13]
	s_cbranch_execnz .LBB144_1128
.LBB144_629:
	s_or_b64 exec, exec, s[14:15]
	v_cmp_gt_u32_e64 s[12:13], 24, v14
	s_and_saveexec_b64 s[14:15], s[12:13]
	s_cbranch_execnz .LBB144_1129
.LBB144_630:
	s_or_b64 exec, exec, s[14:15]
	v_cmp_gt_u32_e64 s[12:13], 16, v14
	s_and_saveexec_b64 s[14:15], s[12:13]
	s_cbranch_execnz .LBB144_1130
.LBB144_631:
	s_or_b64 exec, exec, s[14:15]
	v_cmp_gt_u32_e64 s[12:13], 8, v14
	s_and_saveexec_b64 s[14:15], s[12:13]
	s_cbranch_execz .LBB144_633
.LBB144_632:
	v_lshlrev_b32_e32 v31, 3, v0
	v_mov_b32_e32 v33, 0
	ds_read_b64 v[31:32], v31 offset:20288
	ds_read_b64 v[33:34], v33 offset:16696
	s_waitcnt lgkmcnt(0)
	v_fma_f64 v[11:12], v[31:32], v[33:34], v[11:12]
.LBB144_633:
	s_or_b64 exec, exec, s[14:15]
	v_xor_b32_e32 v12, 0x80000000, v12
.LBB144_634:
	s_or_b64 exec, exec, s[0:1]
	s_and_saveexec_b64 s[0:1], s[60:61]
	s_cbranch_execz .LBB144_636
; %bb.635:
	v_mov_b32_e32 v31, 0
	ds_read_b64 v[31:32], v31 offset:20800
	s_waitcnt lgkmcnt(0)
	v_mul_f64 v[11:12], v[11:12], v[31:32]
	ds_write_b64 v23, v[11:12]
.LBB144_636:
	s_or_b64 exec, exec, s[0:1]
	s_waitcnt lgkmcnt(0)
	s_barrier
	s_and_saveexec_b64 s[0:1], s[62:63]
	s_cbranch_execz .LBB144_638
; %bb.637:
	ds_read_b64 v[31:32], v22 offset:20800
	ds_read_b64 v[33:34], v23
	s_waitcnt lgkmcnt(0)
	v_fma_f64 v[11:12], v[31:32], v[33:34], v[11:12]
.LBB144_638:
	s_or_b64 exec, exec, s[0:1]
	s_barrier
	s_and_saveexec_b64 s[0:1], s[64:65]
	s_cbranch_execz .LBB144_640
; %bb.639:
	v_mov_b32_e32 v31, 0
	ds_read_b64 v[31:32], v31 offset:21320
	s_waitcnt lgkmcnt(0)
	v_mul_f64 v[11:12], v[11:12], v[31:32]
	ds_write_b64 v23, v[11:12]
.LBB144_640:
	s_or_b64 exec, exec, s[0:1]
	s_waitcnt lgkmcnt(0)
	s_barrier
	s_and_saveexec_b64 s[0:1], s[66:67]
	s_cbranch_execz .LBB144_642
; %bb.641:
	ds_read_b64 v[31:32], v22 offset:21312
	ds_read_b64 v[33:34], v23
	s_waitcnt lgkmcnt(0)
	v_fma_f64 v[11:12], v[31:32], v[33:34], v[11:12]
.LBB144_642:
	s_or_b64 exec, exec, s[0:1]
	s_barrier
	s_and_saveexec_b64 s[0:1], s[68:69]
	s_cbranch_execz .LBB144_644
; %bb.643:
	v_mov_b32_e32 v31, 0
	ds_read_b64 v[31:32], v31 offset:21840
	s_waitcnt lgkmcnt(0)
	v_mul_f64 v[11:12], v[11:12], v[31:32]
	ds_write_b64 v23, v[11:12]
.LBB144_644:
	s_or_b64 exec, exec, s[0:1]
	s_waitcnt lgkmcnt(0)
	s_barrier
	s_and_saveexec_b64 s[0:1], s[72:73]
	s_cbranch_execz .LBB144_646
; %bb.645:
	ds_read_b64 v[31:32], v22 offset:21824
	ds_read_b64 v[33:34], v23
	s_waitcnt lgkmcnt(0)
	v_fma_f64 v[11:12], v[31:32], v[33:34], v[11:12]
.LBB144_646:
	s_or_b64 exec, exec, s[0:1]
	s_barrier
	s_and_saveexec_b64 s[0:1], s[74:75]
	s_cbranch_execz .LBB144_648
; %bb.647:
	v_mov_b32_e32 v31, 0
	ds_read_b64 v[31:32], v31 offset:22360
	s_waitcnt lgkmcnt(0)
	v_mul_f64 v[11:12], v[11:12], v[31:32]
	ds_write_b64 v23, v[11:12]
.LBB144_648:
	s_or_b64 exec, exec, s[0:1]
	s_waitcnt lgkmcnt(0)
	s_barrier
	s_and_saveexec_b64 s[0:1], s[76:77]
	s_cbranch_execz .LBB144_650
; %bb.649:
	ds_read_b64 v[31:32], v22 offset:22336
	ds_read_b64 v[33:34], v23
	s_waitcnt lgkmcnt(0)
	v_fma_f64 v[11:12], v[31:32], v[33:34], v[11:12]
.LBB144_650:
	s_or_b64 exec, exec, s[0:1]
	s_barrier
	s_and_saveexec_b64 s[0:1], s[78:79]
	s_cbranch_execz .LBB144_652
; %bb.651:
	v_mov_b32_e32 v31, 0
	ds_read_b64 v[31:32], v31 offset:22880
	s_waitcnt lgkmcnt(0)
	v_mul_f64 v[11:12], v[11:12], v[31:32]
	ds_write_b64 v23, v[11:12]
.LBB144_652:
	s_or_b64 exec, exec, s[0:1]
	s_waitcnt lgkmcnt(0)
	s_barrier
	s_and_saveexec_b64 s[0:1], s[80:81]
	s_cbranch_execz .LBB144_654
; %bb.653:
	ds_read_b64 v[31:32], v22 offset:22848
	ds_read_b64 v[33:34], v23
	s_waitcnt lgkmcnt(0)
	v_fma_f64 v[11:12], v[31:32], v[33:34], v[11:12]
.LBB144_654:
	s_or_b64 exec, exec, s[0:1]
	s_barrier
	s_and_saveexec_b64 s[0:1], s[82:83]
	s_cbranch_execz .LBB144_656
; %bb.655:
	v_mov_b32_e32 v31, 0
	ds_read_b64 v[31:32], v31 offset:23400
	s_waitcnt lgkmcnt(0)
	v_mul_f64 v[11:12], v[11:12], v[31:32]
	ds_write_b64 v23, v[11:12]
.LBB144_656:
	s_or_b64 exec, exec, s[0:1]
	s_waitcnt lgkmcnt(0)
	s_barrier
	s_and_saveexec_b64 s[0:1], s[84:85]
	s_cbranch_execz .LBB144_658
; %bb.657:
	ds_read_b64 v[31:32], v22 offset:23360
	ds_read_b64 v[33:34], v23
	s_waitcnt lgkmcnt(0)
	v_fma_f64 v[11:12], v[31:32], v[33:34], v[11:12]
.LBB144_658:
	s_or_b64 exec, exec, s[0:1]
	s_barrier
	s_and_saveexec_b64 s[0:1], s[86:87]
	s_cbranch_execz .LBB144_660
; %bb.659:
	v_mov_b32_e32 v31, 0
	ds_read_b64 v[31:32], v31 offset:23920
	s_waitcnt lgkmcnt(0)
	v_mul_f64 v[11:12], v[11:12], v[31:32]
	ds_write_b64 v23, v[11:12]
.LBB144_660:
	s_or_b64 exec, exec, s[0:1]
	s_waitcnt lgkmcnt(0)
	s_barrier
	s_and_saveexec_b64 s[0:1], s[70:71]
	s_cbranch_execz .LBB144_662
; %bb.661:
	v_mov_b32_e32 v31, 0
	ds_read_b64 v[31:32], v31 offset:23928
	ds_read_b64 v[33:34], v23
	s_waitcnt lgkmcnt(0)
	v_fma_f64 v[11:12], v[31:32], v[33:34], v[11:12]
.LBB144_662:
	s_or_b64 exec, exec, s[0:1]
	s_barrier
	s_and_saveexec_b64 s[0:1], s[70:71]
	s_cbranch_execz .LBB144_664
; %bb.663:
	v_mov_b32_e32 v31, 0
	ds_read_b64 v[31:32], v31 offset:24440
	s_waitcnt lgkmcnt(0)
	v_mul_f64 v[11:12], v[11:12], v[31:32]
	ds_write_b64 v23, v[11:12]
.LBB144_664:
	s_or_b64 exec, exec, s[0:1]
	s_waitcnt lgkmcnt(0)
	s_barrier
	s_barrier
	s_and_saveexec_b64 s[0:1], s[8:9]
; %bb.665:
	v_xor_b32_e32 v12, 0x80000000, v12
	ds_write_b64 v21, v[11:12] offset:16704
; %bb.666:
	s_or_b64 exec, exec, s[0:1]
	s_waitcnt lgkmcnt(0)
	s_barrier
	s_barrier
	s_and_saveexec_b64 s[0:1], s[88:89]
	s_cbranch_execz .LBB144_668
; %bb.667:
	v_lshlrev_b32_e32 v31, 9, v0
	ds_read_b64 v[11:12], v31 offset:16704
	s_movk_i32 s12, 0xfe08
	v_mad_i32_i24 v32, v0, s12, v31
	s_waitcnt lgkmcnt(0)
	ds_write_b64 v32, v[11:12] offset:20736
	ds_read_b64 v[11:12], v31 offset:16712
	s_waitcnt lgkmcnt(0)
	ds_write_b64 v32, v[11:12] offset:21248
	ds_read_b64 v[11:12], v31 offset:16720
	s_waitcnt lgkmcnt(0)
	ds_write_b64 v32, v[11:12] offset:21760
	ds_read_b64 v[11:12], v31 offset:16728
	s_waitcnt lgkmcnt(0)
	ds_write_b64 v32, v[11:12] offset:22272
	ds_read_b64 v[11:12], v31 offset:16736
	s_waitcnt lgkmcnt(0)
	ds_write_b64 v32, v[11:12] offset:22784
	ds_read_b64 v[11:12], v31 offset:16744
	s_waitcnt lgkmcnt(0)
	ds_write_b64 v32, v[11:12] offset:23296
	ds_read_b64 v[11:12], v31 offset:16752
	s_waitcnt lgkmcnt(0)
	ds_write_b64 v32, v[11:12] offset:23808
	ds_read_b64 v[11:12], v31 offset:16760
	s_waitcnt lgkmcnt(0)
	ds_write_b64 v32, v[11:12] offset:24320
.LBB144_668:
	s_or_b64 exec, exec, s[0:1]
	s_waitcnt lgkmcnt(0)
	s_barrier
	s_and_saveexec_b64 s[0:1], vcc
	s_cbranch_execz .LBB144_670
; %bb.669:
	v_mov_b32_e32 v11, 0
	ds_read_b128 v[31:34], v11 offset:20800
	ds_read_b64 v[11:12], v11 offset:21320
	s_movk_i32 s12, 0x5000
	s_waitcnt lgkmcnt(0)
	v_mul_f64 v[11:12], v[31:32], v[11:12]
	v_add_u32_e64 v31, s12, 0
	v_mul_f64 v[11:12], v[33:34], v[11:12]
	ds_write2_b64 v31, v[11:12], v[11:12] offset0:41 offset1:104
.LBB144_670:
	s_or_b64 exec, exec, s[0:1]
	v_mov_b32_e32 v11, 0
	v_mov_b32_e32 v12, 0
	s_waitcnt lgkmcnt(0)
	s_barrier
	s_and_saveexec_b64 s[0:1], s[2:3]
	s_cbranch_execz .LBB144_674
; %bb.671:
	v_mul_u32_u24_e32 v31, 0x208, v15
	ds_read_b64 v[11:12], v1 offset:20816
	ds_read_b64 v[31:32], v31 offset:20800
	v_cmp_gt_u32_e64 s[12:13], 2, v14
	s_waitcnt lgkmcnt(0)
	v_fma_f64 v[11:12], v[11:12], v[31:32], 0
	s_and_saveexec_b64 s[14:15], s[12:13]
	s_cbranch_execz .LBB144_673
; %bb.672:
	v_lshlrev_b32_e32 v31, 3, v0
	v_mov_b32_e32 v33, 0
	ds_read_b64 v[31:32], v31 offset:21328
	ds_read_b64 v[33:34], v33 offset:20808
	s_waitcnt lgkmcnt(0)
	v_fma_f64 v[11:12], v[31:32], v[33:34], v[11:12]
.LBB144_673:
	s_or_b64 exec, exec, s[14:15]
	v_xor_b32_e32 v12, 0x80000000, v12
.LBB144_674:
	s_or_b64 exec, exec, s[0:1]
	s_and_saveexec_b64 s[0:1], s[42:43]
	s_cbranch_execz .LBB144_676
; %bb.675:
	v_mov_b32_e32 v31, 0
	ds_read_b64 v[31:32], v31 offset:21840
	s_waitcnt lgkmcnt(0)
	v_mul_f64 v[11:12], v[11:12], v[31:32]
	ds_write_b64 v13, v[11:12]
.LBB144_676:
	s_or_b64 exec, exec, s[0:1]
	s_waitcnt lgkmcnt(0)
	s_barrier
	s_and_saveexec_b64 s[0:1], s[40:41]
	s_cbranch_execz .LBB144_678
; %bb.677:
	v_mov_b32_e32 v31, 0
	ds_read_b64 v[31:32], v31 offset:21848
	ds_read_b64 v[33:34], v13
	s_waitcnt lgkmcnt(0)
	v_fma_f64 v[11:12], v[31:32], v[33:34], v[11:12]
.LBB144_678:
	s_or_b64 exec, exec, s[0:1]
	s_barrier
	s_and_saveexec_b64 s[0:1], s[40:41]
	s_cbranch_execz .LBB144_680
; %bb.679:
	v_mov_b32_e32 v31, 0
	ds_read_b64 v[31:32], v31 offset:22360
	s_waitcnt lgkmcnt(0)
	v_mul_f64 v[11:12], v[11:12], v[31:32]
	ds_write_b64 v13, v[11:12]
.LBB144_680:
	s_or_b64 exec, exec, s[0:1]
	s_waitcnt lgkmcnt(0)
	s_barrier
	s_barrier
	s_and_saveexec_b64 s[0:1], s[2:3]
; %bb.681:
	v_xor_b32_e32 v12, 0x80000000, v12
	ds_write_b64 v1, v[11:12] offset:20816
; %bb.682:
	s_or_b64 exec, exec, s[0:1]
	s_waitcnt lgkmcnt(0)
	s_barrier
	s_barrier
	s_and_saveexec_b64 s[0:1], s[44:45]
	s_cbranch_execz .LBB144_684
; %bb.683:
	v_lshlrev_b32_e32 v31, 3, v0
	s_movk_i32 s12, 0x1f8
	v_mad_u32_u24 v32, v0, s12, v31
	ds_read_b64 v[11:12], v32 offset:20816
	s_waitcnt lgkmcnt(0)
	ds_write_b64 v31, v[11:12] offset:21824
	ds_read_b64 v[11:12], v32 offset:20824
	s_waitcnt lgkmcnt(0)
	ds_write_b64 v31, v[11:12] offset:22336
.LBB144_684:
	s_or_b64 exec, exec, s[0:1]
	s_waitcnt lgkmcnt(0)
	s_barrier
	s_and_saveexec_b64 s[0:1], vcc
	s_cbranch_execz .LBB144_686
; %bb.685:
	v_mov_b32_e32 v11, 0
	ds_read_b128 v[31:34], v11 offset:21840
	ds_read_b64 v[11:12], v11 offset:22360
	s_movk_i32 s12, 0x5000
	s_waitcnt lgkmcnt(0)
	v_mul_f64 v[11:12], v[31:32], v[11:12]
	v_add_u32_e64 v31, s12, 0
	v_mul_f64 v[11:12], v[33:34], v[11:12]
	ds_write2_b64 v31, v[11:12], v[11:12] offset0:171 offset1:234
.LBB144_686:
	s_or_b64 exec, exec, s[0:1]
	v_mov_b32_e32 v11, 0
	v_mov_b32_e32 v12, 0
	s_waitcnt lgkmcnt(0)
	s_barrier
	s_and_saveexec_b64 s[0:1], s[18:19]
	s_cbranch_execz .LBB144_692
; %bb.687:
	v_mul_u32_u24_e32 v31, 0x208, v20
	ds_read_b64 v[11:12], v16 offset:20832
	ds_read_b64 v[32:33], v31 offset:20800
	v_cmp_gt_u32_e64 s[12:13], 12, v14
	s_waitcnt lgkmcnt(0)
	v_fma_f64 v[11:12], v[11:12], v[32:33], 0
	s_and_saveexec_b64 s[14:15], s[12:13]
	s_cbranch_execnz .LBB144_1131
; %bb.688:
	s_or_b64 exec, exec, s[14:15]
	v_cmp_gt_u32_e64 s[12:13], 8, v14
	s_and_saveexec_b64 s[14:15], s[12:13]
	s_cbranch_execnz .LBB144_1132
.LBB144_689:
	s_or_b64 exec, exec, s[14:15]
	v_cmp_gt_u32_e64 s[12:13], 4, v14
	s_and_saveexec_b64 s[14:15], s[12:13]
	s_cbranch_execz .LBB144_691
.LBB144_690:
	v_lshlrev_b32_e32 v31, 3, v0
	v_mov_b32_e32 v33, 0
	ds_read_b64 v[31:32], v31 offset:22368
	ds_read_b64 v[33:34], v33 offset:20824
	s_waitcnt lgkmcnt(0)
	v_fma_f64 v[11:12], v[31:32], v[33:34], v[11:12]
.LBB144_691:
	s_or_b64 exec, exec, s[14:15]
	v_xor_b32_e32 v12, 0x80000000, v12
.LBB144_692:
	s_or_b64 exec, exec, s[0:1]
	s_and_saveexec_b64 s[0:1], s[48:49]
	s_cbranch_execz .LBB144_694
; %bb.693:
	v_mov_b32_e32 v31, 0
	ds_read_b64 v[31:32], v31 offset:22880
	s_waitcnt lgkmcnt(0)
	v_mul_f64 v[11:12], v[11:12], v[31:32]
	ds_write_b64 v18, v[11:12]
.LBB144_694:
	s_or_b64 exec, exec, s[0:1]
	s_waitcnt lgkmcnt(0)
	s_barrier
	s_and_saveexec_b64 s[0:1], s[50:51]
	s_cbranch_execz .LBB144_696
; %bb.695:
	ds_read_b64 v[31:32], v17 offset:22880
	ds_read_b64 v[33:34], v18
	s_waitcnt lgkmcnt(0)
	v_fma_f64 v[11:12], v[31:32], v[33:34], v[11:12]
.LBB144_696:
	s_or_b64 exec, exec, s[0:1]
	s_barrier
	s_and_saveexec_b64 s[0:1], s[52:53]
	s_cbranch_execz .LBB144_698
; %bb.697:
	v_mov_b32_e32 v31, 0
	ds_read_b64 v[31:32], v31 offset:23400
	s_waitcnt lgkmcnt(0)
	v_mul_f64 v[11:12], v[11:12], v[31:32]
	ds_write_b64 v18, v[11:12]
.LBB144_698:
	s_or_b64 exec, exec, s[0:1]
	s_waitcnt lgkmcnt(0)
	s_barrier
	s_and_saveexec_b64 s[0:1], s[54:55]
	s_cbranch_execz .LBB144_700
; %bb.699:
	ds_read_b64 v[31:32], v17 offset:23392
	ds_read_b64 v[33:34], v18
	s_waitcnt lgkmcnt(0)
	v_fma_f64 v[11:12], v[31:32], v[33:34], v[11:12]
.LBB144_700:
	s_or_b64 exec, exec, s[0:1]
	s_barrier
	s_and_saveexec_b64 s[0:1], s[56:57]
	s_cbranch_execz .LBB144_702
; %bb.701:
	v_mov_b32_e32 v31, 0
	ds_read_b64 v[31:32], v31 offset:23920
	s_waitcnt lgkmcnt(0)
	v_mul_f64 v[11:12], v[11:12], v[31:32]
	ds_write_b64 v18, v[11:12]
.LBB144_702:
	s_or_b64 exec, exec, s[0:1]
	s_waitcnt lgkmcnt(0)
	s_barrier
	s_and_saveexec_b64 s[0:1], s[46:47]
	s_cbranch_execz .LBB144_704
; %bb.703:
	v_mov_b32_e32 v31, 0
	ds_read_b64 v[31:32], v31 offset:23928
	ds_read_b64 v[33:34], v18
	s_waitcnt lgkmcnt(0)
	v_fma_f64 v[11:12], v[31:32], v[33:34], v[11:12]
.LBB144_704:
	s_or_b64 exec, exec, s[0:1]
	s_barrier
	s_and_saveexec_b64 s[0:1], s[46:47]
	s_cbranch_execz .LBB144_706
; %bb.705:
	v_mov_b32_e32 v31, 0
	ds_read_b64 v[31:32], v31 offset:24440
	s_waitcnt lgkmcnt(0)
	v_mul_f64 v[11:12], v[11:12], v[31:32]
	ds_write_b64 v18, v[11:12]
.LBB144_706:
	s_or_b64 exec, exec, s[0:1]
	s_waitcnt lgkmcnt(0)
	s_barrier
	s_barrier
	s_and_saveexec_b64 s[0:1], s[18:19]
; %bb.707:
	v_xor_b32_e32 v12, 0x80000000, v12
	ds_write_b64 v16, v[11:12] offset:20832
; %bb.708:
	s_or_b64 exec, exec, s[0:1]
	s_waitcnt lgkmcnt(0)
	s_barrier
	s_barrier
	s_and_saveexec_b64 s[0:1], s[58:59]
	s_cbranch_execz .LBB144_710
; %bb.709:
	v_lshlrev_b32_e32 v31, 9, v0
	ds_read_b64 v[11:12], v31 offset:20832
	s_movk_i32 s12, 0xfe08
	v_mad_i32_i24 v32, v0, s12, v31
	s_waitcnt lgkmcnt(0)
	ds_write_b64 v32, v[11:12] offset:22848
	ds_read_b64 v[11:12], v31 offset:20840
	s_waitcnt lgkmcnt(0)
	ds_write_b64 v32, v[11:12] offset:23360
	ds_read_b64 v[11:12], v31 offset:20848
	;; [unrolled: 3-line block ×3, first 2 shown]
	s_waitcnt lgkmcnt(0)
	ds_write_b64 v32, v[11:12] offset:24384
.LBB144_710:
	s_or_b64 exec, exec, s[0:1]
	s_waitcnt lgkmcnt(0)
	s_barrier
	s_and_saveexec_b64 s[0:1], vcc
	s_cbranch_execz .LBB144_712
; %bb.711:
	v_mov_b32_e32 v11, 0
	ds_read_b128 v[31:34], v11 offset:22880
	ds_read_b64 v[11:12], v11 offset:23400
	s_movk_i32 s12, 0x5800
	s_waitcnt lgkmcnt(0)
	v_mul_f64 v[11:12], v[31:32], v[11:12]
	v_add_u32_e64 v31, s12, 0
	v_mul_f64 v[11:12], v[33:34], v[11:12]
	ds_write2_b64 v31, v[11:12], v[11:12] offset0:45 offset1:108
.LBB144_712:
	s_or_b64 exec, exec, s[0:1]
	v_mov_b32_e32 v11, 0
	v_mov_b32_e32 v12, 0
	s_waitcnt lgkmcnt(0)
	s_barrier
	s_and_saveexec_b64 s[0:1], s[2:3]
	s_cbranch_execz .LBB144_716
; %bb.713:
	v_mul_u32_u24_e32 v31, 0x208, v15
	ds_read_b64 v[11:12], v1 offset:22896
	ds_read_b64 v[31:32], v31 offset:22880
	v_cmp_gt_u32_e64 s[12:13], 2, v14
	s_waitcnt lgkmcnt(0)
	v_fma_f64 v[11:12], v[11:12], v[31:32], 0
	s_and_saveexec_b64 s[14:15], s[12:13]
	s_cbranch_execz .LBB144_715
; %bb.714:
	v_lshlrev_b32_e32 v31, 3, v0
	v_mov_b32_e32 v33, 0
	ds_read_b64 v[31:32], v31 offset:23408
	ds_read_b64 v[33:34], v33 offset:22888
	s_waitcnt lgkmcnt(0)
	v_fma_f64 v[11:12], v[31:32], v[33:34], v[11:12]
.LBB144_715:
	s_or_b64 exec, exec, s[14:15]
	v_xor_b32_e32 v12, 0x80000000, v12
.LBB144_716:
	s_or_b64 exec, exec, s[0:1]
	s_and_saveexec_b64 s[0:1], s[42:43]
	s_cbranch_execz .LBB144_718
; %bb.717:
	v_mov_b32_e32 v31, 0
	ds_read_b64 v[31:32], v31 offset:23920
	s_waitcnt lgkmcnt(0)
	v_mul_f64 v[11:12], v[11:12], v[31:32]
	ds_write_b64 v13, v[11:12]
.LBB144_718:
	s_or_b64 exec, exec, s[0:1]
	s_waitcnt lgkmcnt(0)
	s_barrier
	s_and_saveexec_b64 s[0:1], s[40:41]
	s_cbranch_execz .LBB144_720
; %bb.719:
	v_mov_b32_e32 v31, 0
	ds_read_b64 v[31:32], v31 offset:23928
	ds_read_b64 v[33:34], v13
	s_waitcnt lgkmcnt(0)
	v_fma_f64 v[11:12], v[31:32], v[33:34], v[11:12]
.LBB144_720:
	s_or_b64 exec, exec, s[0:1]
	s_barrier
	s_and_saveexec_b64 s[0:1], s[40:41]
	s_cbranch_execz .LBB144_722
; %bb.721:
	v_mov_b32_e32 v31, 0
	ds_read_b64 v[31:32], v31 offset:24440
	s_waitcnt lgkmcnt(0)
	v_mul_f64 v[11:12], v[11:12], v[31:32]
	ds_write_b64 v13, v[11:12]
.LBB144_722:
	s_or_b64 exec, exec, s[0:1]
	s_waitcnt lgkmcnt(0)
	s_barrier
	s_barrier
	s_and_saveexec_b64 s[0:1], s[2:3]
; %bb.723:
	v_xor_b32_e32 v12, 0x80000000, v12
	ds_write_b64 v1, v[11:12] offset:22896
; %bb.724:
	s_or_b64 exec, exec, s[0:1]
	s_waitcnt lgkmcnt(0)
	s_barrier
	s_barrier
	s_and_saveexec_b64 s[0:1], s[44:45]
	s_cbranch_execz .LBB144_726
; %bb.725:
	v_lshlrev_b32_e32 v31, 3, v0
	s_movk_i32 s12, 0x1f8
	v_mad_u32_u24 v32, v0, s12, v31
	ds_read_b64 v[11:12], v32 offset:22896
	s_waitcnt lgkmcnt(0)
	ds_write_b64 v31, v[11:12] offset:23904
	ds_read_b64 v[11:12], v32 offset:22904
	s_waitcnt lgkmcnt(0)
	ds_write_b64 v31, v[11:12] offset:24416
.LBB144_726:
	s_or_b64 exec, exec, s[0:1]
	s_waitcnt lgkmcnt(0)
	s_barrier
	s_and_saveexec_b64 s[0:1], vcc
	s_cbranch_execz .LBB144_728
; %bb.727:
	v_mov_b32_e32 v11, 0
	ds_read_b128 v[31:34], v11 offset:23920
	ds_read_b64 v[11:12], v11 offset:24440
	s_movk_i32 s12, 0x5800
	s_waitcnt lgkmcnt(0)
	v_mul_f64 v[11:12], v[31:32], v[11:12]
	v_add_u32_e64 v31, s12, 0
	v_mul_f64 v[11:12], v[33:34], v[11:12]
	ds_write2_b64 v31, v[11:12], v[11:12] offset0:175 offset1:238
.LBB144_728:
	s_or_b64 exec, exec, s[0:1]
	v_mov_b32_e32 v11, 0
	v_mov_b32_e32 v12, 0
	s_waitcnt lgkmcnt(0)
	s_barrier
	s_and_saveexec_b64 s[0:1], s[10:11]
	s_cbranch_execz .LBB144_756
; %bb.729:
	v_mul_u32_u24_e32 v31, 0x208, v30
	ds_read_b64 v[11:12], v26 offset:16768
	ds_read_b64 v[32:33], v31 offset:16640
	s_movk_i32 s12, 0xf0
	v_cmp_gt_u32_e64 s[12:13], s12, v14
	s_waitcnt lgkmcnt(0)
	v_fma_f64 v[11:12], v[11:12], v[32:33], 0
	s_and_saveexec_b64 s[14:15], s[12:13]
	s_cbranch_execz .LBB144_731
; %bb.730:
	v_lshlrev_b32_e32 v32, 3, v30
	v_sub_u32_e32 v32, v31, v32
	v_lshl_add_u32 v32, v27, 3, v32
	ds_read_b64 v[32:33], v32 offset:17280
	ds_read_b64 v[34:35], v31 offset:16648
	s_waitcnt lgkmcnt(0)
	v_fma_f64 v[11:12], v[32:33], v[34:35], v[11:12]
.LBB144_731:
	s_or_b64 exec, exec, s[14:15]
	s_movk_i32 s12, 0xe0
	v_cmp_gt_u32_e64 s[12:13], s12, v14
	s_and_saveexec_b64 s[14:15], s[12:13]
	s_cbranch_execz .LBB144_733
; %bb.732:
	v_lshlrev_b32_e32 v32, 3, v30
	v_sub_u32_e32 v32, v31, v32
	v_lshl_add_u32 v32, v27, 3, v32
	ds_read_b64 v[32:33], v32 offset:17792
	ds_read_b64 v[34:35], v31 offset:16656
	s_waitcnt lgkmcnt(0)
	v_fma_f64 v[11:12], v[32:33], v[34:35], v[11:12]
.LBB144_733:
	s_or_b64 exec, exec, s[14:15]
	s_movk_i32 s12, 0xd0
	v_cmp_gt_u32_e64 s[12:13], s12, v14
	;; [unrolled: 14-line block ×7, first 2 shown]
	s_and_saveexec_b64 s[14:15], s[12:13]
	s_cbranch_execz .LBB144_745
; %bb.744:
	ds_read_b64 v[32:33], v26 offset:20864
	ds_read_b64 v[34:35], v31 offset:16704
	s_waitcnt lgkmcnt(0)
	v_fma_f64 v[11:12], v[32:33], v[34:35], v[11:12]
.LBB144_745:
	s_or_b64 exec, exec, s[14:15]
	s_movk_i32 s12, 0x70
	v_cmp_gt_u32_e64 s[12:13], s12, v14
	s_and_saveexec_b64 s[14:15], s[12:13]
	s_cbranch_execz .LBB144_747
; %bb.746:
	v_lshlrev_b32_e32 v30, 3, v27
	v_lshl_add_u32 v30, v29, 3, v30
	ds_read_b64 v[32:33], v30 offset:21376
	ds_read_b64 v[34:35], v31 offset:16712
	s_waitcnt lgkmcnt(0)
	v_fma_f64 v[11:12], v[32:33], v[34:35], v[11:12]
.LBB144_747:
	s_or_b64 exec, exec, s[14:15]
	s_movk_i32 s12, 0x60
	v_cmp_gt_u32_e64 s[12:13], s12, v14
	s_and_saveexec_b64 s[14:15], s[12:13]
	s_cbranch_execz .LBB144_749
; %bb.748:
	v_lshlrev_b32_e32 v30, 3, v27
	v_lshl_add_u32 v30, v29, 3, v30
	ds_read_b64 v[32:33], v30 offset:21888
	ds_read_b64 v[34:35], v31 offset:16720
	s_waitcnt lgkmcnt(0)
	v_fma_f64 v[11:12], v[32:33], v[34:35], v[11:12]
.LBB144_749:
	s_or_b64 exec, exec, s[14:15]
	s_movk_i32 s12, 0x50
	v_cmp_gt_u32_e64 s[12:13], s12, v14
	s_and_saveexec_b64 s[14:15], s[12:13]
	s_cbranch_execnz .LBB144_1133
; %bb.750:
	s_or_b64 exec, exec, s[14:15]
	v_cmp_gt_u32_e64 s[12:13], 64, v14
	s_and_saveexec_b64 s[14:15], s[12:13]
	s_cbranch_execnz .LBB144_1134
.LBB144_751:
	s_or_b64 exec, exec, s[14:15]
	v_cmp_gt_u32_e64 s[12:13], 48, v14
	s_and_saveexec_b64 s[14:15], s[12:13]
	s_cbranch_execnz .LBB144_1135
.LBB144_752:
	s_or_b64 exec, exec, s[14:15]
	v_cmp_gt_u32_e64 s[12:13], 32, v14
	s_and_saveexec_b64 s[14:15], s[12:13]
	s_cbranch_execnz .LBB144_1136
.LBB144_753:
	s_or_b64 exec, exec, s[14:15]
	v_cmp_gt_u32_e64 s[12:13], 16, v14
	s_and_saveexec_b64 s[14:15], s[12:13]
	s_cbranch_execz .LBB144_755
.LBB144_754:
	v_lshlrev_b32_e32 v29, 3, v0
	v_mov_b32_e32 v31, 0
	ds_read_b64 v[29:30], v29 offset:24448
	ds_read_b64 v[31:32], v31 offset:16760
	s_waitcnt lgkmcnt(0)
	v_fma_f64 v[11:12], v[29:30], v[31:32], v[11:12]
.LBB144_755:
	s_or_b64 exec, exec, s[14:15]
	v_xor_b32_e32 v12, 0x80000000, v12
.LBB144_756:
	s_or_b64 exec, exec, s[0:1]
	s_mov_b64 s[0:1], exec
	v_readlane_b32 s12, v42, 5
	v_readlane_b32 s13, v42, 6
	s_and_b64 s[12:13], s[0:1], s[12:13]
	s_mov_b64 exec, s[12:13]
	s_cbranch_execz .LBB144_758
; %bb.757:
	v_mov_b32_e32 v29, 0
	ds_read_b64 v[29:30], v29 offset:24960
	s_waitcnt lgkmcnt(0)
	v_mul_f64 v[11:12], v[11:12], v[29:30]
	ds_write_b64 v28, v[11:12]
.LBB144_758:
	s_or_b64 exec, exec, s[0:1]
	s_waitcnt lgkmcnt(0)
	s_barrier
	s_mov_b64 s[0:1], exec
	v_readlane_b32 s12, v42, 7
	v_readlane_b32 s13, v42, 8
	s_and_b64 s[12:13], s[0:1], s[12:13]
	s_mov_b64 exec, s[12:13]
	s_cbranch_execz .LBB144_760
; %bb.759:
	v_lshlrev_b32_e32 v29, 3, v27
	ds_read_b64 v[29:30], v29 offset:24960
	ds_read_b64 v[31:32], v28
	s_waitcnt lgkmcnt(0)
	v_fma_f64 v[11:12], v[29:30], v[31:32], v[11:12]
.LBB144_760:
	s_or_b64 exec, exec, s[0:1]
	s_barrier
	s_mov_b64 s[0:1], exec
	v_readlane_b32 s12, v42, 9
	v_readlane_b32 s13, v42, 10
	s_and_b64 s[12:13], s[0:1], s[12:13]
	s_mov_b64 exec, s[12:13]
	s_cbranch_execz .LBB144_762
; %bb.761:
	v_mov_b32_e32 v29, 0
	ds_read_b64 v[29:30], v29 offset:25480
	s_waitcnt lgkmcnt(0)
	v_mul_f64 v[11:12], v[11:12], v[29:30]
	ds_write_b64 v28, v[11:12]
.LBB144_762:
	s_or_b64 exec, exec, s[0:1]
	s_waitcnt lgkmcnt(0)
	s_barrier
	s_mov_b64 s[0:1], exec
	v_readlane_b32 s12, v42, 11
	v_readlane_b32 s13, v42, 12
	s_and_b64 s[12:13], s[0:1], s[12:13]
	s_mov_b64 exec, s[12:13]
	s_cbranch_execz .LBB144_764
; %bb.763:
	v_lshlrev_b32_e32 v29, 3, v27
	ds_read_b64 v[29:30], v29 offset:25472
	ds_read_b64 v[31:32], v28
	s_waitcnt lgkmcnt(0)
	v_fma_f64 v[11:12], v[29:30], v[31:32], v[11:12]
.LBB144_764:
	s_or_b64 exec, exec, s[0:1]
	s_barrier
	;; [unrolled: 31-line block ×14, first 2 shown]
	s_mov_b64 s[0:1], exec
	v_readlane_b32 s12, v42, 61
	v_readlane_b32 s13, v42, 62
	s_and_b64 s[12:13], s[0:1], s[12:13]
	s_mov_b64 exec, s[12:13]
	s_cbranch_execz .LBB144_814
; %bb.813:
	v_mov_b32_e32 v27, 0
	ds_read_b64 v[29:30], v27 offset:32240
	s_waitcnt lgkmcnt(0)
	v_mul_f64 v[11:12], v[11:12], v[29:30]
	ds_write_b64 v28, v[11:12]
.LBB144_814:
	s_or_b64 exec, exec, s[0:1]
	s_waitcnt lgkmcnt(0)
	s_barrier
	s_and_saveexec_b64 s[0:1], s[92:93]
	s_cbranch_execz .LBB144_816
; %bb.815:
	v_mov_b32_e32 v27, 0
	ds_read_b64 v[29:30], v27 offset:32248
	ds_read_b64 v[31:32], v28
	s_waitcnt lgkmcnt(0)
	v_fma_f64 v[11:12], v[29:30], v[31:32], v[11:12]
.LBB144_816:
	s_or_b64 exec, exec, s[0:1]
	s_barrier
	s_and_saveexec_b64 s[0:1], s[92:93]
	s_cbranch_execz .LBB144_818
; %bb.817:
	v_mov_b32_e32 v27, 0
	ds_read_b64 v[29:30], v27 offset:32760
	s_waitcnt lgkmcnt(0)
	v_mul_f64 v[11:12], v[11:12], v[29:30]
	ds_write_b64 v28, v[11:12]
.LBB144_818:
	s_or_b64 exec, exec, s[0:1]
	s_waitcnt lgkmcnt(0)
	s_barrier
	s_barrier
	s_and_saveexec_b64 s[0:1], s[10:11]
; %bb.819:
	v_xor_b32_e32 v12, 0x80000000, v12
	ds_write_b64 v26, v[11:12] offset:16768
; %bb.820:
	s_or_b64 exec, exec, s[0:1]
	s_waitcnt lgkmcnt(0)
	s_barrier
	s_barrier
	s_mov_b64 s[0:1], exec
	v_readlane_b32 s10, v42, 63
	v_readlane_b32 s11, v41, 0
	s_and_b64 s[10:11], s[0:1], s[10:11]
	s_mov_b64 exec, s[10:11]
	s_cbranch_execz .LBB144_822
; %bb.821:
	v_lshlrev_b32_e32 v26, 9, v0
	ds_read_b64 v[11:12], v26 offset:16768
	s_movk_i32 s10, 0xfe08
	v_mad_i32_i24 v27, v0, s10, v26
	s_waitcnt lgkmcnt(0)
	ds_write_b64 v27, v[11:12] offset:24832
	ds_read_b64 v[11:12], v26 offset:16776
	s_waitcnt lgkmcnt(0)
	ds_write_b64 v27, v[11:12] offset:25344
	ds_read_b64 v[11:12], v26 offset:16784
	;; [unrolled: 3-line block ×15, first 2 shown]
	s_waitcnt lgkmcnt(0)
	ds_write_b64 v27, v[11:12] offset:32512
.LBB144_822:
	s_or_b64 exec, exec, s[0:1]
	s_waitcnt lgkmcnt(0)
	s_barrier
	s_and_saveexec_b64 s[0:1], vcc
	s_cbranch_execz .LBB144_824
; %bb.823:
	v_mov_b32_e32 v11, 0
	ds_read_b128 v[26:29], v11 offset:24960
	ds_read_b64 v[11:12], v11 offset:25480
	s_movk_i32 s10, 0x6000
	s_waitcnt lgkmcnt(0)
	v_mul_f64 v[11:12], v[26:27], v[11:12]
	v_add_u32_e64 v26, s10, 0
	v_mul_f64 v[11:12], v[28:29], v[11:12]
	ds_write2_b64 v26, v[11:12], v[11:12] offset0:49 offset1:112
.LBB144_824:
	s_or_b64 exec, exec, s[0:1]
	v_mov_b32_e32 v11, 0
	v_mov_b32_e32 v12, 0
	s_waitcnt lgkmcnt(0)
	s_barrier
	s_and_saveexec_b64 s[0:1], s[2:3]
	s_cbranch_execz .LBB144_828
; %bb.825:
	v_mul_u32_u24_e32 v26, 0x208, v15
	ds_read_b64 v[11:12], v1 offset:24976
	ds_read_b64 v[26:27], v26 offset:24960
	v_cmp_gt_u32_e64 s[10:11], 2, v14
	s_waitcnt lgkmcnt(0)
	v_fma_f64 v[11:12], v[11:12], v[26:27], 0
	s_and_saveexec_b64 s[12:13], s[10:11]
	s_cbranch_execz .LBB144_827
; %bb.826:
	v_lshlrev_b32_e32 v26, 3, v0
	v_mov_b32_e32 v28, 0
	ds_read_b64 v[26:27], v26 offset:25488
	ds_read_b64 v[28:29], v28 offset:24968
	s_waitcnt lgkmcnt(0)
	v_fma_f64 v[11:12], v[26:27], v[28:29], v[11:12]
.LBB144_827:
	s_or_b64 exec, exec, s[12:13]
	v_xor_b32_e32 v12, 0x80000000, v12
.LBB144_828:
	s_or_b64 exec, exec, s[0:1]
	s_and_saveexec_b64 s[0:1], s[42:43]
	s_cbranch_execz .LBB144_830
; %bb.829:
	v_mov_b32_e32 v26, 0
	ds_read_b64 v[26:27], v26 offset:26000
	s_waitcnt lgkmcnt(0)
	v_mul_f64 v[11:12], v[11:12], v[26:27]
	ds_write_b64 v13, v[11:12]
.LBB144_830:
	s_or_b64 exec, exec, s[0:1]
	s_waitcnt lgkmcnt(0)
	s_barrier
	s_and_saveexec_b64 s[0:1], s[40:41]
	s_cbranch_execz .LBB144_832
; %bb.831:
	v_mov_b32_e32 v26, 0
	ds_read_b64 v[26:27], v26 offset:26008
	ds_read_b64 v[28:29], v13
	s_waitcnt lgkmcnt(0)
	v_fma_f64 v[11:12], v[26:27], v[28:29], v[11:12]
.LBB144_832:
	s_or_b64 exec, exec, s[0:1]
	s_barrier
	s_and_saveexec_b64 s[0:1], s[40:41]
	s_cbranch_execz .LBB144_834
; %bb.833:
	v_mov_b32_e32 v26, 0
	ds_read_b64 v[26:27], v26 offset:26520
	s_waitcnt lgkmcnt(0)
	v_mul_f64 v[11:12], v[11:12], v[26:27]
	ds_write_b64 v13, v[11:12]
.LBB144_834:
	s_or_b64 exec, exec, s[0:1]
	s_waitcnt lgkmcnt(0)
	s_barrier
	s_barrier
	s_and_saveexec_b64 s[0:1], s[2:3]
; %bb.835:
	v_xor_b32_e32 v12, 0x80000000, v12
	ds_write_b64 v1, v[11:12] offset:24976
; %bb.836:
	s_or_b64 exec, exec, s[0:1]
	s_waitcnt lgkmcnt(0)
	s_barrier
	s_barrier
	s_and_saveexec_b64 s[0:1], s[44:45]
	s_cbranch_execz .LBB144_838
; %bb.837:
	v_lshlrev_b32_e32 v26, 3, v0
	s_movk_i32 s10, 0x1f8
	v_mad_u32_u24 v27, v0, s10, v26
	ds_read_b64 v[11:12], v27 offset:24976
	s_waitcnt lgkmcnt(0)
	ds_write_b64 v26, v[11:12] offset:25984
	ds_read_b64 v[11:12], v27 offset:24984
	s_waitcnt lgkmcnt(0)
	ds_write_b64 v26, v[11:12] offset:26496
.LBB144_838:
	s_or_b64 exec, exec, s[0:1]
	s_waitcnt lgkmcnt(0)
	s_barrier
	s_and_saveexec_b64 s[0:1], vcc
	s_cbranch_execz .LBB144_840
; %bb.839:
	v_mov_b32_e32 v11, 0
	ds_read_b128 v[26:29], v11 offset:26000
	ds_read_b64 v[11:12], v11 offset:26520
	s_movk_i32 s10, 0x6000
	s_waitcnt lgkmcnt(0)
	v_mul_f64 v[11:12], v[26:27], v[11:12]
	v_add_u32_e64 v26, s10, 0
	v_mul_f64 v[11:12], v[28:29], v[11:12]
	ds_write2_b64 v26, v[11:12], v[11:12] offset0:179 offset1:242
.LBB144_840:
	s_or_b64 exec, exec, s[0:1]
	v_mov_b32_e32 v11, 0
	v_mov_b32_e32 v12, 0
	s_waitcnt lgkmcnt(0)
	s_barrier
	s_and_saveexec_b64 s[0:1], s[18:19]
	s_cbranch_execz .LBB144_846
; %bb.841:
	v_mul_u32_u24_e32 v26, 0x208, v20
	ds_read_b64 v[11:12], v16 offset:24992
	ds_read_b64 v[27:28], v26 offset:24960
	v_cmp_gt_u32_e64 s[10:11], 12, v14
	s_waitcnt lgkmcnt(0)
	v_fma_f64 v[11:12], v[11:12], v[27:28], 0
	s_and_saveexec_b64 s[12:13], s[10:11]
	s_cbranch_execnz .LBB144_1137
; %bb.842:
	s_or_b64 exec, exec, s[12:13]
	v_cmp_gt_u32_e64 s[10:11], 8, v14
	s_and_saveexec_b64 s[12:13], s[10:11]
	s_cbranch_execnz .LBB144_1138
.LBB144_843:
	s_or_b64 exec, exec, s[12:13]
	v_cmp_gt_u32_e64 s[10:11], 4, v14
	s_and_saveexec_b64 s[12:13], s[10:11]
	s_cbranch_execz .LBB144_845
.LBB144_844:
	v_lshlrev_b32_e32 v26, 3, v0
	v_mov_b32_e32 v28, 0
	ds_read_b64 v[26:27], v26 offset:26528
	ds_read_b64 v[28:29], v28 offset:24984
	s_waitcnt lgkmcnt(0)
	v_fma_f64 v[11:12], v[26:27], v[28:29], v[11:12]
.LBB144_845:
	s_or_b64 exec, exec, s[12:13]
	v_xor_b32_e32 v12, 0x80000000, v12
.LBB144_846:
	s_or_b64 exec, exec, s[0:1]
	s_and_saveexec_b64 s[0:1], s[48:49]
	s_cbranch_execz .LBB144_848
; %bb.847:
	v_mov_b32_e32 v26, 0
	ds_read_b64 v[26:27], v26 offset:27040
	s_waitcnt lgkmcnt(0)
	v_mul_f64 v[11:12], v[11:12], v[26:27]
	ds_write_b64 v18, v[11:12]
.LBB144_848:
	s_or_b64 exec, exec, s[0:1]
	s_waitcnt lgkmcnt(0)
	s_barrier
	s_and_saveexec_b64 s[0:1], s[50:51]
	s_cbranch_execz .LBB144_850
; %bb.849:
	ds_read_b64 v[26:27], v17 offset:27040
	ds_read_b64 v[28:29], v18
	s_waitcnt lgkmcnt(0)
	v_fma_f64 v[11:12], v[26:27], v[28:29], v[11:12]
.LBB144_850:
	s_or_b64 exec, exec, s[0:1]
	s_barrier
	s_and_saveexec_b64 s[0:1], s[52:53]
	s_cbranch_execz .LBB144_852
; %bb.851:
	v_mov_b32_e32 v26, 0
	ds_read_b64 v[26:27], v26 offset:27560
	s_waitcnt lgkmcnt(0)
	v_mul_f64 v[11:12], v[11:12], v[26:27]
	ds_write_b64 v18, v[11:12]
.LBB144_852:
	s_or_b64 exec, exec, s[0:1]
	s_waitcnt lgkmcnt(0)
	s_barrier
	s_and_saveexec_b64 s[0:1], s[54:55]
	s_cbranch_execz .LBB144_854
; %bb.853:
	ds_read_b64 v[26:27], v17 offset:27552
	ds_read_b64 v[28:29], v18
	s_waitcnt lgkmcnt(0)
	v_fma_f64 v[11:12], v[26:27], v[28:29], v[11:12]
.LBB144_854:
	s_or_b64 exec, exec, s[0:1]
	s_barrier
	s_and_saveexec_b64 s[0:1], s[56:57]
	s_cbranch_execz .LBB144_856
; %bb.855:
	v_mov_b32_e32 v26, 0
	ds_read_b64 v[26:27], v26 offset:28080
	s_waitcnt lgkmcnt(0)
	v_mul_f64 v[11:12], v[11:12], v[26:27]
	ds_write_b64 v18, v[11:12]
.LBB144_856:
	s_or_b64 exec, exec, s[0:1]
	s_waitcnt lgkmcnt(0)
	s_barrier
	s_and_saveexec_b64 s[0:1], s[46:47]
	s_cbranch_execz .LBB144_858
; %bb.857:
	v_mov_b32_e32 v26, 0
	ds_read_b64 v[26:27], v26 offset:28088
	ds_read_b64 v[28:29], v18
	s_waitcnt lgkmcnt(0)
	v_fma_f64 v[11:12], v[26:27], v[28:29], v[11:12]
.LBB144_858:
	s_or_b64 exec, exec, s[0:1]
	s_barrier
	s_and_saveexec_b64 s[0:1], s[46:47]
	s_cbranch_execz .LBB144_860
; %bb.859:
	v_mov_b32_e32 v26, 0
	ds_read_b64 v[26:27], v26 offset:28600
	s_waitcnt lgkmcnt(0)
	v_mul_f64 v[11:12], v[11:12], v[26:27]
	ds_write_b64 v18, v[11:12]
.LBB144_860:
	s_or_b64 exec, exec, s[0:1]
	s_waitcnt lgkmcnt(0)
	s_barrier
	s_barrier
	s_and_saveexec_b64 s[0:1], s[18:19]
; %bb.861:
	v_xor_b32_e32 v12, 0x80000000, v12
	ds_write_b64 v16, v[11:12] offset:24992
; %bb.862:
	s_or_b64 exec, exec, s[0:1]
	s_waitcnt lgkmcnt(0)
	s_barrier
	s_barrier
	s_and_saveexec_b64 s[0:1], s[58:59]
	s_cbranch_execz .LBB144_864
; %bb.863:
	v_lshlrev_b32_e32 v26, 9, v0
	ds_read_b64 v[11:12], v26 offset:24992
	s_movk_i32 s10, 0xfe08
	v_mad_i32_i24 v27, v0, s10, v26
	s_waitcnt lgkmcnt(0)
	ds_write_b64 v27, v[11:12] offset:27008
	ds_read_b64 v[11:12], v26 offset:25000
	s_waitcnt lgkmcnt(0)
	ds_write_b64 v27, v[11:12] offset:27520
	ds_read_b64 v[11:12], v26 offset:25008
	;; [unrolled: 3-line block ×3, first 2 shown]
	s_waitcnt lgkmcnt(0)
	ds_write_b64 v27, v[11:12] offset:28544
.LBB144_864:
	s_or_b64 exec, exec, s[0:1]
	s_waitcnt lgkmcnt(0)
	s_barrier
	s_and_saveexec_b64 s[0:1], vcc
	s_cbranch_execz .LBB144_866
; %bb.865:
	v_mov_b32_e32 v11, 0
	ds_read_b128 v[26:29], v11 offset:27040
	ds_read_b64 v[11:12], v11 offset:27560
	s_movk_i32 s10, 0x6800
	s_waitcnt lgkmcnt(0)
	v_mul_f64 v[11:12], v[26:27], v[11:12]
	v_add_u32_e64 v26, s10, 0
	v_mul_f64 v[11:12], v[28:29], v[11:12]
	ds_write2_b64 v26, v[11:12], v[11:12] offset0:53 offset1:116
.LBB144_866:
	s_or_b64 exec, exec, s[0:1]
	v_mov_b32_e32 v11, 0
	v_mov_b32_e32 v12, 0
	s_waitcnt lgkmcnt(0)
	s_barrier
	s_and_saveexec_b64 s[0:1], s[2:3]
	s_cbranch_execz .LBB144_870
; %bb.867:
	v_mul_u32_u24_e32 v26, 0x208, v15
	ds_read_b64 v[11:12], v1 offset:27056
	ds_read_b64 v[26:27], v26 offset:27040
	v_cmp_gt_u32_e64 s[10:11], 2, v14
	s_waitcnt lgkmcnt(0)
	v_fma_f64 v[11:12], v[11:12], v[26:27], 0
	s_and_saveexec_b64 s[12:13], s[10:11]
	s_cbranch_execz .LBB144_869
; %bb.868:
	v_lshlrev_b32_e32 v26, 3, v0
	v_mov_b32_e32 v28, 0
	ds_read_b64 v[26:27], v26 offset:27568
	ds_read_b64 v[28:29], v28 offset:27048
	s_waitcnt lgkmcnt(0)
	v_fma_f64 v[11:12], v[26:27], v[28:29], v[11:12]
.LBB144_869:
	s_or_b64 exec, exec, s[12:13]
	v_xor_b32_e32 v12, 0x80000000, v12
.LBB144_870:
	s_or_b64 exec, exec, s[0:1]
	s_and_saveexec_b64 s[0:1], s[42:43]
	s_cbranch_execz .LBB144_872
; %bb.871:
	v_mov_b32_e32 v26, 0
	ds_read_b64 v[26:27], v26 offset:28080
	s_waitcnt lgkmcnt(0)
	v_mul_f64 v[11:12], v[11:12], v[26:27]
	ds_write_b64 v13, v[11:12]
.LBB144_872:
	s_or_b64 exec, exec, s[0:1]
	s_waitcnt lgkmcnt(0)
	s_barrier
	s_and_saveexec_b64 s[0:1], s[40:41]
	s_cbranch_execz .LBB144_874
; %bb.873:
	v_mov_b32_e32 v26, 0
	ds_read_b64 v[26:27], v26 offset:28088
	ds_read_b64 v[28:29], v13
	s_waitcnt lgkmcnt(0)
	v_fma_f64 v[11:12], v[26:27], v[28:29], v[11:12]
.LBB144_874:
	s_or_b64 exec, exec, s[0:1]
	s_barrier
	s_and_saveexec_b64 s[0:1], s[40:41]
	s_cbranch_execz .LBB144_876
; %bb.875:
	v_mov_b32_e32 v26, 0
	ds_read_b64 v[26:27], v26 offset:28600
	s_waitcnt lgkmcnt(0)
	v_mul_f64 v[11:12], v[11:12], v[26:27]
	ds_write_b64 v13, v[11:12]
.LBB144_876:
	s_or_b64 exec, exec, s[0:1]
	s_waitcnt lgkmcnt(0)
	s_barrier
	s_barrier
	s_and_saveexec_b64 s[0:1], s[2:3]
; %bb.877:
	v_xor_b32_e32 v12, 0x80000000, v12
	ds_write_b64 v1, v[11:12] offset:27056
; %bb.878:
	s_or_b64 exec, exec, s[0:1]
	s_waitcnt lgkmcnt(0)
	s_barrier
	s_barrier
	s_and_saveexec_b64 s[0:1], s[44:45]
	s_cbranch_execz .LBB144_880
; %bb.879:
	v_lshlrev_b32_e32 v26, 3, v0
	s_movk_i32 s10, 0x1f8
	v_mad_u32_u24 v27, v0, s10, v26
	ds_read_b64 v[11:12], v27 offset:27056
	s_waitcnt lgkmcnt(0)
	ds_write_b64 v26, v[11:12] offset:28064
	ds_read_b64 v[11:12], v27 offset:27064
	s_waitcnt lgkmcnt(0)
	ds_write_b64 v26, v[11:12] offset:28576
.LBB144_880:
	s_or_b64 exec, exec, s[0:1]
	s_waitcnt lgkmcnt(0)
	s_barrier
	s_and_saveexec_b64 s[0:1], vcc
	s_cbranch_execz .LBB144_882
; %bb.881:
	v_mov_b32_e32 v11, 0
	ds_read_b128 v[26:29], v11 offset:28080
	ds_read_b64 v[11:12], v11 offset:28600
	s_movk_i32 s10, 0x6800
	s_waitcnt lgkmcnt(0)
	v_mul_f64 v[11:12], v[26:27], v[11:12]
	v_add_u32_e64 v26, s10, 0
	v_mul_f64 v[11:12], v[28:29], v[11:12]
	ds_write2_b64 v26, v[11:12], v[11:12] offset0:183 offset1:246
.LBB144_882:
	s_or_b64 exec, exec, s[0:1]
	v_mov_b32_e32 v11, 0
	v_mov_b32_e32 v12, 0
	s_waitcnt lgkmcnt(0)
	s_barrier
	s_and_saveexec_b64 s[0:1], s[8:9]
	s_cbranch_execz .LBB144_892
; %bb.883:
	v_mul_u32_u24_e32 v26, 0x208, v25
	ds_read_b64 v[11:12], v21 offset:25024
	ds_read_b64 v[27:28], v26 offset:24960
	v_cmp_gt_u32_e64 s[10:11], 56, v14
	s_waitcnt lgkmcnt(0)
	v_fma_f64 v[11:12], v[11:12], v[27:28], 0
	s_and_saveexec_b64 s[12:13], s[10:11]
	s_cbranch_execnz .LBB144_1139
; %bb.884:
	s_or_b64 exec, exec, s[12:13]
	v_cmp_gt_u32_e64 s[10:11], 48, v14
	s_and_saveexec_b64 s[12:13], s[10:11]
	s_cbranch_execnz .LBB144_1140
.LBB144_885:
	s_or_b64 exec, exec, s[12:13]
	v_cmp_gt_u32_e64 s[10:11], 40, v14
	s_and_saveexec_b64 s[12:13], s[10:11]
	s_cbranch_execnz .LBB144_1141
.LBB144_886:
	s_or_b64 exec, exec, s[12:13]
	v_cmp_gt_u32_e64 s[10:11], 32, v14
	s_and_saveexec_b64 s[12:13], s[10:11]
	s_cbranch_execnz .LBB144_1142
.LBB144_887:
	s_or_b64 exec, exec, s[12:13]
	v_cmp_gt_u32_e64 s[10:11], 24, v14
	s_and_saveexec_b64 s[12:13], s[10:11]
	s_cbranch_execnz .LBB144_1143
.LBB144_888:
	s_or_b64 exec, exec, s[12:13]
	v_cmp_gt_u32_e64 s[10:11], 16, v14
	s_and_saveexec_b64 s[12:13], s[10:11]
	s_cbranch_execnz .LBB144_1144
.LBB144_889:
	s_or_b64 exec, exec, s[12:13]
	v_cmp_gt_u32_e64 s[10:11], 8, v14
	s_and_saveexec_b64 s[12:13], s[10:11]
	s_cbranch_execz .LBB144_891
.LBB144_890:
	v_lshlrev_b32_e32 v24, 3, v0
	v_mov_b32_e32 v26, 0
	ds_read_b64 v[24:25], v24 offset:28608
	ds_read_b64 v[26:27], v26 offset:25016
	s_waitcnt lgkmcnt(0)
	v_fma_f64 v[11:12], v[24:25], v[26:27], v[11:12]
.LBB144_891:
	s_or_b64 exec, exec, s[12:13]
	v_xor_b32_e32 v12, 0x80000000, v12
.LBB144_892:
	s_or_b64 exec, exec, s[0:1]
	s_and_saveexec_b64 s[0:1], s[60:61]
	s_cbranch_execz .LBB144_894
; %bb.893:
	v_mov_b32_e32 v24, 0
	ds_read_b64 v[24:25], v24 offset:29120
	s_waitcnt lgkmcnt(0)
	v_mul_f64 v[11:12], v[11:12], v[24:25]
	ds_write_b64 v23, v[11:12]
.LBB144_894:
	s_or_b64 exec, exec, s[0:1]
	s_waitcnt lgkmcnt(0)
	s_barrier
	s_and_saveexec_b64 s[0:1], s[62:63]
	s_cbranch_execz .LBB144_896
; %bb.895:
	ds_read_b64 v[24:25], v22 offset:29120
	ds_read_b64 v[26:27], v23
	s_waitcnt lgkmcnt(0)
	v_fma_f64 v[11:12], v[24:25], v[26:27], v[11:12]
.LBB144_896:
	s_or_b64 exec, exec, s[0:1]
	s_barrier
	s_and_saveexec_b64 s[0:1], s[64:65]
	s_cbranch_execz .LBB144_898
; %bb.897:
	v_mov_b32_e32 v24, 0
	ds_read_b64 v[24:25], v24 offset:29640
	s_waitcnt lgkmcnt(0)
	v_mul_f64 v[11:12], v[11:12], v[24:25]
	ds_write_b64 v23, v[11:12]
.LBB144_898:
	s_or_b64 exec, exec, s[0:1]
	s_waitcnt lgkmcnt(0)
	s_barrier
	s_and_saveexec_b64 s[0:1], s[66:67]
	s_cbranch_execz .LBB144_900
; %bb.899:
	ds_read_b64 v[24:25], v22 offset:29632
	ds_read_b64 v[26:27], v23
	s_waitcnt lgkmcnt(0)
	v_fma_f64 v[11:12], v[24:25], v[26:27], v[11:12]
.LBB144_900:
	s_or_b64 exec, exec, s[0:1]
	s_barrier
	;; [unrolled: 22-line block ×6, first 2 shown]
	s_and_saveexec_b64 s[0:1], s[86:87]
	s_cbranch_execz .LBB144_918
; %bb.917:
	v_mov_b32_e32 v22, 0
	ds_read_b64 v[24:25], v22 offset:32240
	s_waitcnt lgkmcnt(0)
	v_mul_f64 v[11:12], v[11:12], v[24:25]
	ds_write_b64 v23, v[11:12]
.LBB144_918:
	s_or_b64 exec, exec, s[0:1]
	s_waitcnt lgkmcnt(0)
	s_barrier
	s_and_saveexec_b64 s[0:1], s[70:71]
	s_cbranch_execz .LBB144_920
; %bb.919:
	v_mov_b32_e32 v22, 0
	ds_read_b64 v[24:25], v22 offset:32248
	ds_read_b64 v[26:27], v23
	s_waitcnt lgkmcnt(0)
	v_fma_f64 v[11:12], v[24:25], v[26:27], v[11:12]
.LBB144_920:
	s_or_b64 exec, exec, s[0:1]
	s_barrier
	s_and_saveexec_b64 s[0:1], s[70:71]
	s_cbranch_execz .LBB144_922
; %bb.921:
	v_mov_b32_e32 v22, 0
	ds_read_b64 v[24:25], v22 offset:32760
	s_waitcnt lgkmcnt(0)
	v_mul_f64 v[11:12], v[11:12], v[24:25]
	ds_write_b64 v23, v[11:12]
.LBB144_922:
	s_or_b64 exec, exec, s[0:1]
	s_waitcnt lgkmcnt(0)
	s_barrier
	s_barrier
	s_and_saveexec_b64 s[0:1], s[8:9]
; %bb.923:
	v_xor_b32_e32 v12, 0x80000000, v12
	ds_write_b64 v21, v[11:12] offset:25024
; %bb.924:
	s_or_b64 exec, exec, s[0:1]
	s_waitcnt lgkmcnt(0)
	s_barrier
	s_barrier
	s_and_saveexec_b64 s[0:1], s[88:89]
	s_cbranch_execz .LBB144_926
; %bb.925:
	v_lshlrev_b32_e32 v21, 9, v0
	ds_read_b64 v[11:12], v21 offset:25024
	s_movk_i32 s8, 0xfe08
	v_mad_i32_i24 v22, v0, s8, v21
	s_waitcnt lgkmcnt(0)
	ds_write_b64 v22, v[11:12] offset:29056
	ds_read_b64 v[11:12], v21 offset:25032
	s_waitcnt lgkmcnt(0)
	ds_write_b64 v22, v[11:12] offset:29568
	ds_read_b64 v[11:12], v21 offset:25040
	;; [unrolled: 3-line block ×7, first 2 shown]
	s_waitcnt lgkmcnt(0)
	ds_write_b64 v22, v[11:12] offset:32640
.LBB144_926:
	s_or_b64 exec, exec, s[0:1]
	s_waitcnt lgkmcnt(0)
	s_barrier
	s_and_saveexec_b64 s[0:1], vcc
	s_cbranch_execz .LBB144_928
; %bb.927:
	v_mov_b32_e32 v11, 0
	ds_read_b128 v[21:24], v11 offset:29120
	ds_read_b64 v[11:12], v11 offset:29640
	s_movk_i32 s8, 0x7000
	s_waitcnt lgkmcnt(0)
	v_mul_f64 v[11:12], v[21:22], v[11:12]
	v_add_u32_e64 v21, s8, 0
	v_mul_f64 v[11:12], v[23:24], v[11:12]
	ds_write2_b64 v21, v[11:12], v[11:12] offset0:57 offset1:120
.LBB144_928:
	s_or_b64 exec, exec, s[0:1]
	v_mov_b32_e32 v11, 0
	v_mov_b32_e32 v12, 0
	s_waitcnt lgkmcnt(0)
	s_barrier
	s_and_saveexec_b64 s[0:1], s[2:3]
	s_cbranch_execz .LBB144_932
; %bb.929:
	v_mul_u32_u24_e32 v21, 0x208, v15
	ds_read_b64 v[11:12], v1 offset:29136
	ds_read_b64 v[21:22], v21 offset:29120
	v_cmp_gt_u32_e64 s[8:9], 2, v14
	s_waitcnt lgkmcnt(0)
	v_fma_f64 v[11:12], v[11:12], v[21:22], 0
	s_and_saveexec_b64 s[10:11], s[8:9]
	s_cbranch_execz .LBB144_931
; %bb.930:
	v_lshlrev_b32_e32 v21, 3, v0
	v_mov_b32_e32 v23, 0
	ds_read_b64 v[21:22], v21 offset:29648
	ds_read_b64 v[23:24], v23 offset:29128
	s_waitcnt lgkmcnt(0)
	v_fma_f64 v[11:12], v[21:22], v[23:24], v[11:12]
.LBB144_931:
	s_or_b64 exec, exec, s[10:11]
	v_xor_b32_e32 v12, 0x80000000, v12
.LBB144_932:
	s_or_b64 exec, exec, s[0:1]
	s_and_saveexec_b64 s[0:1], s[42:43]
	s_cbranch_execz .LBB144_934
; %bb.933:
	v_mov_b32_e32 v21, 0
	ds_read_b64 v[21:22], v21 offset:30160
	s_waitcnt lgkmcnt(0)
	v_mul_f64 v[11:12], v[11:12], v[21:22]
	ds_write_b64 v13, v[11:12]
.LBB144_934:
	s_or_b64 exec, exec, s[0:1]
	s_waitcnt lgkmcnt(0)
	s_barrier
	s_and_saveexec_b64 s[0:1], s[40:41]
	s_cbranch_execz .LBB144_936
; %bb.935:
	v_mov_b32_e32 v21, 0
	ds_read_b64 v[21:22], v21 offset:30168
	ds_read_b64 v[23:24], v13
	s_waitcnt lgkmcnt(0)
	v_fma_f64 v[11:12], v[21:22], v[23:24], v[11:12]
.LBB144_936:
	s_or_b64 exec, exec, s[0:1]
	s_barrier
	s_and_saveexec_b64 s[0:1], s[40:41]
	s_cbranch_execz .LBB144_938
; %bb.937:
	v_mov_b32_e32 v21, 0
	ds_read_b64 v[21:22], v21 offset:30680
	s_waitcnt lgkmcnt(0)
	v_mul_f64 v[11:12], v[11:12], v[21:22]
	ds_write_b64 v13, v[11:12]
.LBB144_938:
	s_or_b64 exec, exec, s[0:1]
	s_waitcnt lgkmcnt(0)
	s_barrier
	s_barrier
	s_and_saveexec_b64 s[0:1], s[2:3]
; %bb.939:
	v_xor_b32_e32 v12, 0x80000000, v12
	ds_write_b64 v1, v[11:12] offset:29136
; %bb.940:
	s_or_b64 exec, exec, s[0:1]
	s_waitcnt lgkmcnt(0)
	s_barrier
	s_barrier
	s_and_saveexec_b64 s[0:1], s[44:45]
	s_cbranch_execz .LBB144_942
; %bb.941:
	v_lshlrev_b32_e32 v21, 3, v0
	s_movk_i32 s8, 0x1f8
	v_mad_u32_u24 v22, v0, s8, v21
	ds_read_b64 v[11:12], v22 offset:29136
	s_waitcnt lgkmcnt(0)
	ds_write_b64 v21, v[11:12] offset:30144
	ds_read_b64 v[11:12], v22 offset:29144
	s_waitcnt lgkmcnt(0)
	ds_write_b64 v21, v[11:12] offset:30656
.LBB144_942:
	s_or_b64 exec, exec, s[0:1]
	s_waitcnt lgkmcnt(0)
	s_barrier
	s_and_saveexec_b64 s[0:1], vcc
	s_cbranch_execz .LBB144_944
; %bb.943:
	v_mov_b32_e32 v11, 0
	ds_read_b128 v[21:24], v11 offset:30160
	ds_read_b64 v[11:12], v11 offset:30680
	s_movk_i32 s8, 0x7000
	s_waitcnt lgkmcnt(0)
	v_mul_f64 v[11:12], v[21:22], v[11:12]
	v_add_u32_e64 v21, s8, 0
	v_mul_f64 v[11:12], v[23:24], v[11:12]
	ds_write2_b64 v21, v[11:12], v[11:12] offset0:187 offset1:250
.LBB144_944:
	s_or_b64 exec, exec, s[0:1]
	v_mov_b32_e32 v11, 0
	v_mov_b32_e32 v12, 0
	s_waitcnt lgkmcnt(0)
	s_barrier
	s_and_saveexec_b64 s[0:1], s[18:19]
	s_cbranch_execz .LBB144_950
; %bb.945:
	v_mul_u32_u24_e32 v21, 0x208, v20
	ds_read_b64 v[11:12], v16 offset:29152
	ds_read_b64 v[22:23], v21 offset:29120
	v_cmp_gt_u32_e64 s[8:9], 12, v14
	s_waitcnt lgkmcnt(0)
	v_fma_f64 v[11:12], v[11:12], v[22:23], 0
	s_and_saveexec_b64 s[10:11], s[8:9]
	s_cbranch_execnz .LBB144_1145
; %bb.946:
	s_or_b64 exec, exec, s[10:11]
	v_cmp_gt_u32_e64 s[8:9], 8, v14
	s_and_saveexec_b64 s[10:11], s[8:9]
	s_cbranch_execnz .LBB144_1146
.LBB144_947:
	s_or_b64 exec, exec, s[10:11]
	v_cmp_gt_u32_e64 s[8:9], 4, v14
	s_and_saveexec_b64 s[10:11], s[8:9]
	s_cbranch_execz .LBB144_949
.LBB144_948:
	v_lshlrev_b32_e32 v19, 3, v0
	v_mov_b32_e32 v21, 0
	ds_read_b64 v[19:20], v19 offset:30688
	ds_read_b64 v[21:22], v21 offset:29144
	s_waitcnt lgkmcnt(0)
	v_fma_f64 v[11:12], v[19:20], v[21:22], v[11:12]
.LBB144_949:
	s_or_b64 exec, exec, s[10:11]
	v_xor_b32_e32 v12, 0x80000000, v12
.LBB144_950:
	s_or_b64 exec, exec, s[0:1]
	s_and_saveexec_b64 s[0:1], s[48:49]
	s_cbranch_execz .LBB144_952
; %bb.951:
	v_mov_b32_e32 v19, 0
	ds_read_b64 v[19:20], v19 offset:31200
	s_waitcnt lgkmcnt(0)
	v_mul_f64 v[11:12], v[11:12], v[19:20]
	ds_write_b64 v18, v[11:12]
.LBB144_952:
	s_or_b64 exec, exec, s[0:1]
	s_waitcnt lgkmcnt(0)
	s_barrier
	s_and_saveexec_b64 s[0:1], s[50:51]
	s_cbranch_execz .LBB144_954
; %bb.953:
	ds_read_b64 v[19:20], v17 offset:31200
	ds_read_b64 v[21:22], v18
	s_waitcnt lgkmcnt(0)
	v_fma_f64 v[11:12], v[19:20], v[21:22], v[11:12]
.LBB144_954:
	s_or_b64 exec, exec, s[0:1]
	s_barrier
	s_and_saveexec_b64 s[0:1], s[52:53]
	s_cbranch_execz .LBB144_956
; %bb.955:
	v_mov_b32_e32 v19, 0
	ds_read_b64 v[19:20], v19 offset:31720
	s_waitcnt lgkmcnt(0)
	v_mul_f64 v[11:12], v[11:12], v[19:20]
	ds_write_b64 v18, v[11:12]
.LBB144_956:
	s_or_b64 exec, exec, s[0:1]
	s_waitcnt lgkmcnt(0)
	s_barrier
	s_and_saveexec_b64 s[0:1], s[54:55]
	s_cbranch_execz .LBB144_958
; %bb.957:
	ds_read_b64 v[19:20], v17 offset:31712
	ds_read_b64 v[21:22], v18
	s_waitcnt lgkmcnt(0)
	v_fma_f64 v[11:12], v[19:20], v[21:22], v[11:12]
.LBB144_958:
	s_or_b64 exec, exec, s[0:1]
	s_barrier
	s_and_saveexec_b64 s[0:1], s[56:57]
	s_cbranch_execz .LBB144_960
; %bb.959:
	v_mov_b32_e32 v17, 0
	ds_read_b64 v[19:20], v17 offset:32240
	s_waitcnt lgkmcnt(0)
	v_mul_f64 v[11:12], v[11:12], v[19:20]
	ds_write_b64 v18, v[11:12]
.LBB144_960:
	s_or_b64 exec, exec, s[0:1]
	s_waitcnt lgkmcnt(0)
	s_barrier
	s_and_saveexec_b64 s[0:1], s[46:47]
	s_cbranch_execz .LBB144_962
; %bb.961:
	v_mov_b32_e32 v17, 0
	ds_read_b64 v[19:20], v17 offset:32248
	ds_read_b64 v[21:22], v18
	s_waitcnt lgkmcnt(0)
	v_fma_f64 v[11:12], v[19:20], v[21:22], v[11:12]
.LBB144_962:
	s_or_b64 exec, exec, s[0:1]
	s_barrier
	s_and_saveexec_b64 s[0:1], s[46:47]
	s_cbranch_execz .LBB144_964
; %bb.963:
	v_mov_b32_e32 v17, 0
	ds_read_b64 v[19:20], v17 offset:32760
	s_waitcnt lgkmcnt(0)
	v_mul_f64 v[11:12], v[11:12], v[19:20]
	ds_write_b64 v18, v[11:12]
.LBB144_964:
	s_or_b64 exec, exec, s[0:1]
	s_waitcnt lgkmcnt(0)
	s_barrier
	s_barrier
	s_and_saveexec_b64 s[0:1], s[18:19]
; %bb.965:
	v_xor_b32_e32 v12, 0x80000000, v12
	ds_write_b64 v16, v[11:12] offset:29152
; %bb.966:
	s_or_b64 exec, exec, s[0:1]
	s_waitcnt lgkmcnt(0)
	s_barrier
	s_barrier
	s_and_saveexec_b64 s[0:1], s[58:59]
	s_cbranch_execz .LBB144_968
; %bb.967:
	v_lshlrev_b32_e32 v16, 9, v0
	ds_read_b64 v[11:12], v16 offset:29152
	s_movk_i32 s8, 0xfe08
	v_mad_i32_i24 v17, v0, s8, v16
	s_waitcnt lgkmcnt(0)
	ds_write_b64 v17, v[11:12] offset:31168
	ds_read_b64 v[11:12], v16 offset:29160
	s_waitcnt lgkmcnt(0)
	ds_write_b64 v17, v[11:12] offset:31680
	ds_read_b64 v[11:12], v16 offset:29168
	;; [unrolled: 3-line block ×3, first 2 shown]
	s_waitcnt lgkmcnt(0)
	ds_write_b64 v17, v[11:12] offset:32704
.LBB144_968:
	s_or_b64 exec, exec, s[0:1]
	s_waitcnt lgkmcnt(0)
	s_barrier
	s_and_saveexec_b64 s[0:1], vcc
	s_cbranch_execz .LBB144_970
; %bb.969:
	v_mov_b32_e32 v11, 0
	ds_read_b128 v[16:19], v11 offset:31200
	ds_read_b64 v[11:12], v11 offset:31720
	s_movk_i32 s8, 0x7800
	s_waitcnt lgkmcnt(0)
	v_mul_f64 v[11:12], v[16:17], v[11:12]
	v_add_u32_e64 v16, s8, 0
	v_mul_f64 v[11:12], v[18:19], v[11:12]
	ds_write2_b64 v16, v[11:12], v[11:12] offset0:61 offset1:124
.LBB144_970:
	s_or_b64 exec, exec, s[0:1]
	v_mov_b32_e32 v11, 0
	v_mov_b32_e32 v12, 0
	s_waitcnt lgkmcnt(0)
	s_barrier
	s_and_saveexec_b64 s[0:1], s[2:3]
	s_cbranch_execz .LBB144_974
; %bb.971:
	v_mul_u32_u24_e32 v15, 0x208, v15
	ds_read_b64 v[11:12], v1 offset:31216
	ds_read_b64 v[15:16], v15 offset:31200
	v_cmp_gt_u32_e64 s[8:9], 2, v14
	s_waitcnt lgkmcnt(0)
	v_fma_f64 v[11:12], v[11:12], v[15:16], 0
	s_and_saveexec_b64 s[10:11], s[8:9]
	s_cbranch_execz .LBB144_973
; %bb.972:
	v_lshlrev_b32_e32 v14, 3, v0
	v_mov_b32_e32 v16, 0
	ds_read_b64 v[14:15], v14 offset:31728
	ds_read_b64 v[16:17], v16 offset:31208
	s_waitcnt lgkmcnt(0)
	v_fma_f64 v[11:12], v[14:15], v[16:17], v[11:12]
.LBB144_973:
	s_or_b64 exec, exec, s[10:11]
	v_xor_b32_e32 v12, 0x80000000, v12
.LBB144_974:
	s_or_b64 exec, exec, s[0:1]
	s_and_saveexec_b64 s[0:1], s[42:43]
	s_cbranch_execz .LBB144_976
; %bb.975:
	v_mov_b32_e32 v14, 0
	ds_read_b64 v[14:15], v14 offset:32240
	s_waitcnt lgkmcnt(0)
	v_mul_f64 v[11:12], v[11:12], v[14:15]
	ds_write_b64 v13, v[11:12]
.LBB144_976:
	s_or_b64 exec, exec, s[0:1]
	s_waitcnt lgkmcnt(0)
	s_barrier
	s_and_saveexec_b64 s[0:1], s[40:41]
	s_load_dword s39, s[4:5], 0x6c
	v_readlane_b32 s20, v42, 2
	v_readlane_b32 s42, v42, 0
	;; [unrolled: 1-line block ×5, first 2 shown]
	s_cbranch_execz .LBB144_978
; %bb.977:
	v_mov_b32_e32 v14, 0
	ds_read_b64 v[14:15], v14 offset:32248
	ds_read_b64 v[16:17], v13
	s_waitcnt lgkmcnt(0)
	v_fma_f64 v[11:12], v[14:15], v[16:17], v[11:12]
.LBB144_978:
	s_or_b64 exec, exec, s[0:1]
	s_waitcnt lgkmcnt(0)
	s_barrier
	s_and_saveexec_b64 s[0:1], s[40:41]
	s_cbranch_execz .LBB144_980
; %bb.979:
	v_mov_b32_e32 v14, 0
	ds_read_b64 v[14:15], v14 offset:32760
	s_waitcnt lgkmcnt(0)
	v_mul_f64 v[11:12], v[11:12], v[14:15]
	ds_write_b64 v13, v[11:12]
.LBB144_980:
	s_or_b64 exec, exec, s[0:1]
	s_waitcnt lgkmcnt(0)
	s_barrier
	s_barrier
	s_and_saveexec_b64 s[0:1], s[2:3]
; %bb.981:
	v_xor_b32_e32 v12, 0x80000000, v12
	ds_write_b64 v1, v[11:12] offset:31216
; %bb.982:
	s_or_b64 exec, exec, s[0:1]
	s_waitcnt lgkmcnt(0)
	s_barrier
	s_barrier
	s_and_saveexec_b64 s[0:1], s[44:45]
	s_cbranch_execz .LBB144_984
; %bb.983:
	v_lshlrev_b32_e32 v1, 3, v0
	s_movk_i32 s2, 0x1f8
	v_mad_u32_u24 v13, v0, s2, v1
	ds_read_b64 v[11:12], v13 offset:31216
	s_waitcnt lgkmcnt(0)
	ds_write_b64 v1, v[11:12] offset:32224
	ds_read_b64 v[11:12], v13 offset:31224
	s_waitcnt lgkmcnt(0)
	ds_write_b64 v1, v[11:12] offset:32736
.LBB144_984:
	s_or_b64 exec, exec, s[0:1]
	s_waitcnt lgkmcnt(0)
	s_barrier
	s_and_saveexec_b64 s[0:1], vcc
	s_cbranch_execz .LBB144_986
; %bb.985:
	v_mov_b32_e32 v1, 0
	ds_read_b128 v[11:14], v1 offset:32240
	ds_read_b64 v[15:16], v1 offset:32760
	s_movk_i32 s2, 0x7800
	v_add_u32_e64 v1, s2, 0
	s_waitcnt lgkmcnt(0)
	v_mul_f64 v[11:12], v[11:12], v[15:16]
	v_mul_f64 v[11:12], v[13:14], v[11:12]
	ds_write2_b64 v1, v[11:12], v[11:12] offset0:191 offset1:254
.LBB144_986:
	s_or_b64 exec, exec, s[0:1]
.LBB144_987:
	s_lshl_b64 s[0:1], s[28:29], 3
	s_add_u32 s20, s20, s0
	v_cmp_le_i32_e32 vcc, s90, v0
	s_addc_u32 s21, s21, s1
	s_and_b64 s[14:15], vcc, s[26:27]
	v_cmp_eq_u32_e64 s[2:3], 0, v2
	s_xor_b64 s[0:1], s[14:15], -1
	v_mov_b32_e32 v11, 0
	s_and_b64 s[8:9], s[2:3], s[0:1]
	v_mov_b32_e32 v12, 0
	v_add_u32_e32 v13, s33, v0
	s_waitcnt lgkmcnt(0)
	s_barrier
	s_and_saveexec_b64 s[0:1], s[8:9]
	s_cbranch_execz .LBB144_989
; %bb.988:
	v_ashrrev_i32_e32 v1, 31, v13
	v_mul_lo_u32 v14, s31, v13
	v_mad_u64_u32 v[11:12], s[8:9], s30, v13, 0
	v_mul_lo_u32 v1, s30, v1
	v_add3_u32 v12, v12, v1, v14
	v_lshlrev_b64 v[11:12], 3, v[11:12]
	v_mov_b32_e32 v1, s21
	v_add_co_u32_e32 v11, vcc, s20, v11
	v_addc_co_u32_e32 v12, vcc, v1, v12, vcc
	flat_load_dwordx2 v[11:12], v[11:12]
	s_waitcnt vmcnt(0) lgkmcnt(0)
	v_mul_f64 v[11:12], v[11:12], -s[24:25]
.LBB144_989:
	s_or_b64 exec, exec, s[0:1]
	s_load_dwordx2 s[0:1], s[4:5], 0x50
	s_and_b32 s4, 0xffff, s39
	v_mad_u32_u24 v18, v2, s4, v0
	v_mov_b32_e32 v1, 0
	s_cmp_lt_i32 s6, 1
	v_cmp_eq_u32_e64 s[4:5], 0, v18
	s_cbranch_scc1 .LBB144_1015
; %bb.990:
	v_ashrrev_i32_e32 v16, 31, v13
	v_mul_lo_u32 v17, s37, v13
	v_mad_u64_u32 v[14:15], s[8:9], s36, v13, 0
	v_mul_lo_u32 v16, s36, v16
	s_lshl_b64 s[8:9], s[22:23], 2
	s_waitcnt lgkmcnt(0)
	s_add_u32 s16, s0, s8
	s_addc_u32 s17, s1, s9
	v_add3_u32 v15, v15, v16, v17
	v_cmp_gt_i32_e64 s[8:9], s34, v13
	v_lshlrev_b64 v[13:14], 3, v[14:15]
	v_mov_b32_e32 v16, 0xa000
	v_mov_b32_e32 v15, s94
	v_add_co_u32_e32 v21, vcc, s91, v13
	s_mov_b32 s24, 0
	v_cmp_gt_u32_e64 s[12:13], 64, v18
	v_lshl_add_u32 v19, v18, 3, v16
	v_lshl_or_b32 v20, v2, 3, v16
	s_add_i32 s95, s95, 1
	v_addc_co_u32_e32 v22, vcc, v15, v14, vcc
	v_mov_b32_e32 v23, -1
	s_branch .LBB144_993
.LBB144_991:                            ;   in Loop: Header=BB144_993 Depth=1
	ds_read_b64 v[13:14], v20 offset:384
	s_waitcnt vmcnt(0) lgkmcnt(0)
	v_fma_f64 v[11:12], v[15:16], v[13:14], v[11:12]
.LBB144_992:                            ;   in Loop: Header=BB144_993 Depth=1
	s_or_b64 exec, exec, s[18:19]
	s_add_i32 s24, s24, 1
	s_cmp_eq_u32 s24, s6
	s_cbranch_scc1 .LBB144_1015
.LBB144_993:                            ; =>This Loop Header: Depth=1
                                        ;     Child Loop BB144_995 Depth 2
	v_cmp_gt_i32_e32 vcc, s24, v23
	s_and_b64 s[18:19], s[4:5], vcc
	s_and_saveexec_b64 s[10:11], s[18:19]
	s_cbranch_execz .LBB144_996
; %bb.994:                              ;   in Loop: Header=BB144_993 Depth=1
	global_load_dword v23, v1, s[16:17]
	s_waitcnt vmcnt(0)
	v_cmp_le_i32_e32 vcc, s24, v23
	s_cbranch_vccnz .LBB144_996
.LBB144_995:                            ;   Parent Loop BB144_993 Depth=1
                                        ; =>  This Inner Loop Header: Depth=2
	buffer_wbinvl1_vol
	global_load_dword v23, v1, s[16:17]
	s_waitcnt vmcnt(0)
	v_cmp_gt_i32_e32 vcc, s24, v23
	s_cbranch_vccnz .LBB144_995
.LBB144_996:                            ;   in Loop: Header=BB144_993 Depth=1
	s_or_b64 exec, exec, s[10:11]
	s_sub_i32 s25, s7, s24
	s_lshl_b32 s28, s25, 6
	buffer_wbinvl1_vol
	s_barrier
	s_and_saveexec_b64 s[10:11], s[12:13]
	s_cbranch_execz .LBB144_1000
; %bb.997:                              ;   in Loop: Header=BB144_993 Depth=1
	s_ashr_i32 s18, s28, 31
	v_mov_b32_e32 v14, s18
	v_or_b32_e32 v13, s28, v18
	v_cmp_gt_i64_e32 vcc, s[34:35], v[13:14]
	v_mov_b32_e32 v15, 0
	v_mov_b32_e32 v16, 0
	s_and_saveexec_b64 s[18:19], vcc
	s_cbranch_execz .LBB144_999
; %bb.998:                              ;   in Loop: Header=BB144_993 Depth=1
	v_mul_lo_u32 v15, v14, s30
	v_mul_lo_u32 v16, v13, s31
	v_mad_u64_u32 v[13:14], s[36:37], v13, s30, 0
	v_add3_u32 v14, v14, v16, v15
	v_lshlrev_b64 v[13:14], 3, v[13:14]
	v_mov_b32_e32 v15, s21
	v_add_co_u32_e32 v13, vcc, s20, v13
	v_addc_co_u32_e32 v14, vcc, v15, v14, vcc
	flat_load_dwordx2 v[15:16], v[13:14]
.LBB144_999:                            ;   in Loop: Header=BB144_993 Depth=1
	s_or_b64 exec, exec, s[18:19]
	s_waitcnt vmcnt(0) lgkmcnt(0)
	ds_write_b64 v19, v[15:16]
.LBB144_1000:                           ;   in Loop: Header=BB144_993 Depth=1
	s_or_b64 exec, exec, s[10:11]
	v_add_u32_e32 v15, s28, v2
	v_ashrrev_i32_e32 v16, 31, v15
	v_lshlrev_b64 v[13:14], 3, v[15:16]
	s_cmp_lg_u32 s25, s95
	v_add_co_u32_e32 v13, vcc, v21, v13
	s_cselect_b64 s[10:11], -1, 0
	v_addc_co_u32_e32 v14, vcc, v22, v14, vcc
	v_cmp_gt_i32_e32 vcc, s34, v15
	v_cndmask_b32_e64 v16, 0, 1, s[10:11]
	s_and_b64 s[28:29], vcc, s[8:9]
	v_cmp_ne_u32_e64 s[10:11], 1, v16
	s_waitcnt lgkmcnt(0)
	s_barrier
	s_and_saveexec_b64 s[18:19], s[28:29]
	s_cbranch_execz .LBB144_1004
; %bb.1001:                             ;   in Loop: Header=BB144_993 Depth=1
	v_mov_b32_e32 v17, v6
	s_and_b64 vcc, exec, s[10:11]
	v_mov_b32_e32 v16, v5
	s_cbranch_vccnz .LBB144_1003
; %bb.1002:                             ;   in Loop: Header=BB144_993 Depth=1
	flat_load_dwordx2 v[16:17], v[13:14]
.LBB144_1003:                           ;   in Loop: Header=BB144_993 Depth=1
	ds_read_b64 v[24:25], v20
	s_waitcnt vmcnt(0) lgkmcnt(0)
	v_fma_f64 v[11:12], v[16:17], v[24:25], v[11:12]
.LBB144_1004:                           ;   in Loop: Header=BB144_993 Depth=1
	s_or_b64 exec, exec, s[18:19]
	v_add_u32_e32 v16, 16, v15
	v_cmp_gt_i32_e32 vcc, s34, v16
	s_and_b64 s[28:29], vcc, s[8:9]
	s_and_saveexec_b64 s[18:19], s[28:29]
	s_cbranch_execz .LBB144_1008
; %bb.1005:                             ;   in Loop: Header=BB144_993 Depth=1
	v_mov_b32_e32 v17, v4
	s_and_b64 vcc, exec, s[10:11]
	v_mov_b32_e32 v16, v3
	s_cbranch_vccnz .LBB144_1007
; %bb.1006:                             ;   in Loop: Header=BB144_993 Depth=1
	flat_load_dwordx2 v[16:17], v[13:14] offset:128
.LBB144_1007:                           ;   in Loop: Header=BB144_993 Depth=1
	ds_read_b64 v[24:25], v20 offset:128
	s_waitcnt vmcnt(0) lgkmcnt(0)
	v_fma_f64 v[11:12], v[16:17], v[24:25], v[11:12]
.LBB144_1008:                           ;   in Loop: Header=BB144_993 Depth=1
	s_or_b64 exec, exec, s[18:19]
	v_add_u32_e32 v16, 32, v15
	v_cmp_gt_i32_e32 vcc, s34, v16
	s_and_b64 s[28:29], vcc, s[8:9]
	s_and_saveexec_b64 s[18:19], s[28:29]
	s_cbranch_execz .LBB144_1012
; %bb.1009:                             ;   in Loop: Header=BB144_993 Depth=1
	v_mov_b32_e32 v17, v10
	s_and_b64 vcc, exec, s[10:11]
	v_mov_b32_e32 v16, v9
	s_cbranch_vccnz .LBB144_1011
; %bb.1010:                             ;   in Loop: Header=BB144_993 Depth=1
	flat_load_dwordx2 v[16:17], v[13:14] offset:256
.LBB144_1011:                           ;   in Loop: Header=BB144_993 Depth=1
	ds_read_b64 v[24:25], v20 offset:256
	s_waitcnt vmcnt(0) lgkmcnt(0)
	v_fma_f64 v[11:12], v[16:17], v[24:25], v[11:12]
.LBB144_1012:                           ;   in Loop: Header=BB144_993 Depth=1
	s_or_b64 exec, exec, s[18:19]
	v_add_u32_e32 v15, 48, v15
	v_cmp_gt_i32_e32 vcc, s34, v15
	s_and_b64 s[28:29], vcc, s[8:9]
	s_and_saveexec_b64 s[18:19], s[28:29]
	s_cbranch_execz .LBB144_992
; %bb.1013:                             ;   in Loop: Header=BB144_993 Depth=1
	v_mov_b32_e32 v16, v8
	s_and_b64 vcc, exec, s[10:11]
	v_mov_b32_e32 v15, v7
	s_cbranch_vccnz .LBB144_991
; %bb.1014:                             ;   in Loop: Header=BB144_993 Depth=1
	flat_load_dwordx2 v[15:16], v[13:14] offset:384
	s_branch .LBB144_991
.LBB144_1015:
	v_lshl_add_u32 v1, v2, 6, v0
	s_xor_b64 s[4:5], s[26:27], -1
	v_lshlrev_b32_e32 v1, 3, v1
	ds_write_b64 v1, v[11:12] offset:32768
	s_waitcnt lgkmcnt(0)
	s_barrier
	s_and_saveexec_b64 s[6:7], s[2:3]
	s_cbranch_execz .LBB144_1017
; %bb.1016:
	v_lshlrev_b32_e32 v15, 3, v0
	ds_read2st64_b64 v[3:6], v15 offset0:65 offset1:66
	ds_read_b64 v[13:14], v15 offset:40448
	s_waitcnt lgkmcnt(1)
	v_add_f64 v[3:4], v[11:12], v[3:4]
	v_add_f64 v[11:12], v[3:4], v[5:6]
	ds_read2st64_b64 v[3:6], v15 offset0:67 offset1:68
	ds_read2st64_b64 v[7:10], v15 offset0:69 offset1:70
	s_waitcnt lgkmcnt(1)
	v_add_f64 v[3:4], v[11:12], v[3:4]
	v_add_f64 v[3:4], v[3:4], v[5:6]
	s_waitcnt lgkmcnt(0)
	v_add_f64 v[3:4], v[3:4], v[7:8]
	v_add_f64 v[11:12], v[3:4], v[9:10]
	ds_read2st64_b64 v[3:6], v15 offset0:71 offset1:72
	ds_read2st64_b64 v[7:10], v15 offset0:73 offset1:74
	s_waitcnt lgkmcnt(1)
	v_add_f64 v[3:4], v[11:12], v[3:4]
	v_add_f64 v[3:4], v[3:4], v[5:6]
	;; [unrolled: 8-line block ×3, first 2 shown]
	s_waitcnt lgkmcnt(0)
	v_add_f64 v[3:4], v[3:4], v[7:8]
	v_add_f64 v[3:4], v[3:4], v[9:10]
	v_add_f64 v[3:4], v[3:4], v[13:14]
	v_xor_b32_e32 v4, 0x80000000, v4
	v_cndmask_b32_e64 v12, v4, 0, s[14:15]
	v_cndmask_b32_e64 v11, v3, 0, s[14:15]
.LBB144_1017:
	s_or_b64 exec, exec, s[6:7]
	s_and_b64 vcc, exec, s[42:43]
	s_cbranch_vccnz .LBB144_1030
; %bb.1018:
	v_mov_b32_e32 v3, 0xa000
	v_lshl_or_b32 v5, v2, 3, v3
	s_and_saveexec_b64 s[6:7], s[2:3]
; %bb.1019:
	v_lshl_add_u32 v3, v0, 3, v5
	ds_write_b64 v3, v[11:12]
; %bb.1020:
	s_or_b64 exec, exec, s[6:7]
	v_mov_b32_e32 v3, 0
	v_mov_b32_e32 v4, 0
	v_cmp_le_u32_e32 vcc, v0, v2
	s_waitcnt lgkmcnt(0)
	s_barrier
	s_and_saveexec_b64 s[6:7], vcc
	s_cbranch_execz .LBB144_1022
; %bb.1021:
	ds_read_b64 v[3:4], v1
	ds_read_b64 v[6:7], v5
	s_waitcnt lgkmcnt(0)
	v_fma_f64 v[3:4], v[3:4], v[6:7], 0
.LBB144_1022:
	s_or_b64 exec, exec, s[6:7]
	v_add_u32_e32 v6, 16, v2
	v_cmp_le_u32_e32 vcc, v0, v6
	s_and_saveexec_b64 s[6:7], vcc
	s_cbranch_execz .LBB144_1024
; %bb.1023:
	ds_read_b64 v[6:7], v1 offset:8192
	ds_read_b64 v[8:9], v5 offset:128
	s_waitcnt lgkmcnt(0)
	v_fma_f64 v[3:4], v[6:7], v[8:9], v[3:4]
.LBB144_1024:
	s_or_b64 exec, exec, s[6:7]
	v_add_u32_e32 v6, 32, v2
	v_cmp_le_u32_e32 vcc, v0, v6
	s_and_saveexec_b64 s[6:7], vcc
	s_cbranch_execz .LBB144_1026
; %bb.1025:
	ds_read_b64 v[6:7], v1 offset:16384
	ds_read_b64 v[8:9], v5 offset:256
	s_waitcnt lgkmcnt(0)
	v_fma_f64 v[3:4], v[6:7], v[8:9], v[3:4]
.LBB144_1026:
	s_or_b64 exec, exec, s[6:7]
	v_add_u32_e32 v2, 48, v2
	v_add_u32_e32 v6, 0x8000, v1
	v_cmp_le_u32_e32 vcc, v0, v2
	s_and_saveexec_b64 s[6:7], vcc
	s_cbranch_execz .LBB144_1028
; %bb.1027:
	ds_read_b64 v[1:2], v1 offset:24576
	ds_read_b64 v[7:8], v5 offset:384
	s_waitcnt lgkmcnt(0)
	v_fma_f64 v[3:4], v[1:2], v[7:8], v[3:4]
.LBB144_1028:
	s_or_b64 exec, exec, s[6:7]
	s_mov_b64 s[8:9], 0
	s_mov_b64 s[6:7], 0
	ds_write_b64 v6, v[3:4]
	s_waitcnt lgkmcnt(0)
	s_barrier
                                        ; implicit-def: $vgpr1_vgpr2
	s_and_saveexec_b64 s[10:11], s[2:3]
	s_cbranch_execz .LBB144_1093
; %bb.1029:
	v_lshlrev_b32_e32 v15, 3, v0
	ds_read2st64_b64 v[5:8], v15 offset0:65 offset1:66
	ds_read_b64 v[9:10], v15 offset:40448
	s_mov_b64 s[6:7], exec
	s_waitcnt lgkmcnt(1)
	v_add_f64 v[1:2], v[3:4], v[5:6]
	v_add_f64 v[13:14], v[7:8], v[1:2]
	ds_read2st64_b64 v[1:4], v15 offset0:67 offset1:68
	ds_read2st64_b64 v[5:8], v15 offset0:69 offset1:70
	s_waitcnt lgkmcnt(1)
	v_add_f64 v[1:2], v[1:2], v[13:14]
	v_add_f64 v[1:2], v[3:4], v[1:2]
	s_waitcnt lgkmcnt(0)
	v_add_f64 v[1:2], v[5:6], v[1:2]
	v_add_f64 v[13:14], v[7:8], v[1:2]
	ds_read2st64_b64 v[1:4], v15 offset0:71 offset1:72
	ds_read2st64_b64 v[5:8], v15 offset0:73 offset1:74
	s_waitcnt lgkmcnt(1)
	v_add_f64 v[1:2], v[1:2], v[13:14]
	v_add_f64 v[1:2], v[3:4], v[1:2]
	;; [unrolled: 8-line block ×3, first 2 shown]
	s_waitcnt lgkmcnt(0)
	v_add_f64 v[1:2], v[5:6], v[1:2]
	v_add_f64 v[1:2], v[7:8], v[1:2]
	;; [unrolled: 1-line block ×3, first 2 shown]
	s_or_b64 exec, exec, s[10:11]
	s_and_b64 vcc, exec, s[8:9]
	s_cbranch_vccnz .LBB144_1031
	s_branch .LBB144_1094
.LBB144_1030:
	s_mov_b64 s[6:7], 0
                                        ; implicit-def: $vgpr1_vgpr2
	s_cbranch_execz .LBB144_1094
.LBB144_1031:
	s_movk_i32 s8, 0x208
	v_lshlrev_b32_e32 v2, 9, v0
	v_mov_b32_e32 v3, 0x7800
	v_mul_u32_u24_e32 v1, 0x208, v0
	v_sub_u32_e32 v2, 0, v2
	v_mad_u32_u24 v3, v0, s8, v3
	s_mov_b32 s10, 63
	s_movk_i32 s11, 0x8200
	v_mov_b32_e32 v4, 0
	s_branch .LBB144_1033
.LBB144_1032:                           ;   in Loop: Header=BB144_1033 Depth=1
	s_or_b64 exec, exec, s[8:9]
	s_add_i32 s10, s10, -4
	s_cmp_lg_u32 s12, 0
	v_add_u32_e32 v2, 0xfffff800, v2
	s_barrier
	s_cbranch_scc0 .LBB144_1049
.LBB144_1033:                           ; =>This Inner Loop Header: Depth=1
	v_cmp_eq_u32_e32 vcc, s11, v2
	s_and_b64 s[12:13], s[2:3], vcc
	s_and_saveexec_b64 s[8:9], s[12:13]
	s_cbranch_execz .LBB144_1035
; %bb.1034:                             ;   in Loop: Header=BB144_1033 Depth=1
	ds_read_b64 v[5:6], v1
	s_waitcnt lgkmcnt(0)
	v_mul_f64 v[11:12], v[11:12], v[5:6]
	ds_write_b64 v4, v[11:12] offset:41472
.LBB144_1035:                           ;   in Loop: Header=BB144_1033 Depth=1
	s_or_b64 exec, exec, s[8:9]
	v_cmp_gt_u32_e32 vcc, s10, v0
	s_and_b64 s[12:13], s[2:3], vcc
	v_add_u32_e32 v5, v3, v2
	s_waitcnt lgkmcnt(0)
	s_barrier
	s_and_saveexec_b64 s[8:9], s[12:13]
	s_cbranch_execz .LBB144_1037
; %bb.1036:                             ;   in Loop: Header=BB144_1033 Depth=1
	ds_read_b64 v[6:7], v5 offset:1536
	ds_read_b64 v[8:9], v4 offset:41472
	s_waitcnt lgkmcnt(0)
	v_fma_f64 v[11:12], v[6:7], v[8:9], v[11:12]
.LBB144_1037:                           ;   in Loop: Header=BB144_1033 Depth=1
	s_or_b64 exec, exec, s[8:9]
	s_add_i32 s12, s10, -1
	v_cmp_eq_u32_e32 vcc, s12, v0
	s_and_b64 s[14:15], s[2:3], vcc
	s_barrier
	s_and_saveexec_b64 s[8:9], s[14:15]
	s_cbranch_execz .LBB144_1039
; %bb.1038:                             ;   in Loop: Header=BB144_1033 Depth=1
	ds_read_b64 v[6:7], v1
	s_waitcnt lgkmcnt(0)
	v_mul_f64 v[11:12], v[11:12], v[6:7]
	ds_write_b64 v4, v[11:12] offset:41472
.LBB144_1039:                           ;   in Loop: Header=BB144_1033 Depth=1
	s_or_b64 exec, exec, s[8:9]
	v_cmp_gt_u32_e32 vcc, s12, v0
	s_and_b64 s[12:13], s[2:3], vcc
	s_waitcnt lgkmcnt(0)
	s_barrier
	s_and_saveexec_b64 s[8:9], s[12:13]
	s_cbranch_execz .LBB144_1041
; %bb.1040:                             ;   in Loop: Header=BB144_1033 Depth=1
	ds_read_b64 v[6:7], v5 offset:1024
	ds_read_b64 v[8:9], v4 offset:41472
	s_waitcnt lgkmcnt(0)
	v_fma_f64 v[11:12], v[6:7], v[8:9], v[11:12]
.LBB144_1041:                           ;   in Loop: Header=BB144_1033 Depth=1
	s_or_b64 exec, exec, s[8:9]
	s_add_i32 s12, s10, -2
	v_cmp_eq_u32_e32 vcc, s12, v0
	s_and_b64 s[14:15], s[2:3], vcc
	s_barrier
	s_and_saveexec_b64 s[8:9], s[14:15]
	s_cbranch_execz .LBB144_1043
; %bb.1042:                             ;   in Loop: Header=BB144_1033 Depth=1
	ds_read_b64 v[6:7], v1
	s_waitcnt lgkmcnt(0)
	v_mul_f64 v[11:12], v[11:12], v[6:7]
	ds_write_b64 v4, v[11:12] offset:41472
.LBB144_1043:                           ;   in Loop: Header=BB144_1033 Depth=1
	s_or_b64 exec, exec, s[8:9]
	v_cmp_gt_u32_e32 vcc, s12, v0
	s_and_b64 s[12:13], s[2:3], vcc
	;; [unrolled: 26-line block ×3, first 2 shown]
	s_waitcnt lgkmcnt(0)
	s_barrier
	s_and_saveexec_b64 s[8:9], s[14:15]
	s_cbranch_execz .LBB144_1032
; %bb.1048:                             ;   in Loop: Header=BB144_1033 Depth=1
	ds_read_b64 v[5:6], v5
	ds_read_b64 v[7:8], v4 offset:41472
	s_waitcnt lgkmcnt(0)
	v_fma_f64 v[11:12], v[5:6], v[7:8], v[11:12]
	s_branch .LBB144_1032
.LBB144_1049:
	s_mov_b64 s[8:9], -1
	s_and_b64 vcc, exec, s[4:5]
	s_cbranch_vccnz .LBB144_1095
; %bb.1050:
	s_andn2_b64 vcc, exec, s[8:9]
	s_cbranch_vccz .LBB144_1096
.LBB144_1051:
	s_and_saveexec_b64 s[2:3], s[6:7]
	s_cbranch_execz .LBB144_1053
.LBB144_1052:
	v_mov_b32_e32 v0, s38
	v_add_co_u32_e32 v1, vcc, s33, v18
	v_addc_co_u32_e32 v0, vcc, 0, v0, vcc
	v_mul_lo_u32 v2, v0, s30
	v_mul_lo_u32 v3, v1, s31
	v_mad_u64_u32 v[0:1], s[4:5], v1, s30, 0
	v_add3_u32 v1, v1, v3, v2
	v_lshlrev_b64 v[0:1], 3, v[0:1]
	v_mov_b32_e32 v2, s21
	v_add_co_u32_e32 v0, vcc, s20, v0
	v_addc_co_u32_e32 v1, vcc, v2, v1, vcc
	flat_store_dwordx2 v[0:1], v[11:12]
.LBB144_1053:
	s_or_b64 exec, exec, s[2:3]
	v_cmp_eq_u32_e32 vcc, 0, v18
	s_waitcnt vmcnt(0) lgkmcnt(0)
	buffer_wbinvl1_vol
	s_barrier
	s_and_saveexec_b64 s[2:3], vcc
	s_cbranch_execz .LBB144_1055
; %bb.1054:
	s_lshl_b64 s[4:5], s[22:23], 2
	s_add_u32 s0, s0, s4
	s_addc_u32 s1, s1, s5
	v_mov_b32_e32 v0, 0
	global_load_dword v1, v0, s[0:1]
	s_waitcnt vmcnt(0)
	v_add_u32_e32 v1, 1, v1
	global_store_dword v0, v1, s[0:1]
.LBB144_1055:
	s_or_b64 exec, exec, s[2:3]
	s_waitcnt vmcnt(0)
	buffer_wbinvl1_vol
	s_endpgm
.LBB144_1056:
                                        ; implicit-def: $vgpr7_vgpr8
                                        ; implicit-def: $vgpr9_vgpr10
                                        ; implicit-def: $vgpr3_vgpr4
                                        ; implicit-def: $vgpr5_vgpr6
                                        ; implicit-def: $sgpr33
	s_cbranch_execnz .LBB144_10
	s_branch .LBB144_11
.LBB144_1057:
	v_cmp_ne_u32_e32 vcc, v0, v2
	s_and_saveexec_b64 s[12:13], vcc
	s_xor_b64 s[12:13], exec, s[12:13]
; %bb.1058:
	v_or_b32_e32 v1, v2, v0
	v_cmp_gt_u32_e32 vcc, 64, v1
	s_and_b64 s[10:11], vcc, exec
                                        ; implicit-def: $vgpr15_vgpr16
; %bb.1059:
	s_or_saveexec_b64 s[12:13], s[12:13]
	v_mov_b32_e32 v13, 0
	v_mov_b32_e32 v14, 0
	s_xor_b64 exec, exec, s[12:13]
	s_cbranch_execz .LBB144_1061
; %bb.1060:
	v_lshlrev_b64 v[13:14], 3, v[15:16]
	v_mov_b32_e32 v1, s94
	v_add_co_u32_e32 v13, vcc, s91, v13
	v_addc_co_u32_e32 v14, vcc, v1, v14, vcc
	flat_load_dwordx2 v[13:14], v[13:14]
	s_or_b64 s[10:11], s[10:11], exec
	s_waitcnt vmcnt(0) lgkmcnt(0)
	v_div_scale_f64 v[15:16], s[14:15], v[13:14], v[13:14], 1.0
	v_div_scale_f64 v[22:23], vcc, 1.0, v[13:14], 1.0
	v_rcp_f64_e32 v[18:19], v[15:16]
	v_fma_f64 v[20:21], -v[15:16], v[18:19], 1.0
	v_fma_f64 v[18:19], v[18:19], v[20:21], v[18:19]
	v_fma_f64 v[20:21], -v[15:16], v[18:19], 1.0
	v_fma_f64 v[18:19], v[18:19], v[20:21], v[18:19]
	v_mul_f64 v[20:21], v[22:23], v[18:19]
	v_fma_f64 v[15:16], -v[15:16], v[20:21], v[22:23]
	v_div_fmas_f64 v[15:16], v[15:16], v[18:19], v[20:21]
	v_div_fixup_f64 v[13:14], v[15:16], v[13:14], 1.0
.LBB144_1061:
	s_or_b64 exec, exec, s[12:13]
	s_and_b64 s[10:11], s[10:11], exec
                                        ; implicit-def: $vgpr15_vgpr16
	s_andn2_saveexec_b64 s[8:9], s[8:9]
	s_cbranch_execz .LBB144_14
.LBB144_1062:
	v_lshlrev_b64 v[13:14], 3, v[15:16]
	v_mov_b32_e32 v1, s94
	v_add_co_u32_e32 v13, vcc, s91, v13
	v_addc_co_u32_e32 v14, vcc, v1, v14, vcc
	flat_load_dwordx2 v[13:14], v[13:14]
	s_or_b64 s[10:11], s[10:11], exec
	s_waitcnt vmcnt(0) lgkmcnt(0)
	v_xor_b32_e32 v14, 0x80000000, v14
	s_or_b64 exec, exec, s[8:9]
	s_and_saveexec_b64 s[8:9], s[10:11]
	s_cbranch_execnz .LBB144_15
	s_branch .LBB144_16
.LBB144_1063:
	v_cmp_ne_u32_e32 vcc, v0, v1
	s_and_saveexec_b64 s[10:11], vcc
	s_xor_b64 s[10:11], exec, s[10:11]
; %bb.1064:
	v_or_b32_e32 v13, v1, v0
	v_cmp_gt_u32_e32 vcc, 64, v13
	s_and_b64 s[8:9], vcc, exec
                                        ; implicit-def: $vgpr15_vgpr16
; %bb.1065:
	s_or_saveexec_b64 s[10:11], s[10:11]
	v_mov_b32_e32 v13, 0
	v_mov_b32_e32 v14, 0
	s_xor_b64 exec, exec, s[10:11]
	s_cbranch_execz .LBB144_1067
; %bb.1066:
	v_lshlrev_b64 v[13:14], 3, v[15:16]
	v_mov_b32_e32 v15, s94
	v_add_co_u32_e32 v13, vcc, s91, v13
	v_addc_co_u32_e32 v14, vcc, v15, v14, vcc
	flat_load_dwordx2 v[13:14], v[13:14]
	s_or_b64 s[8:9], s[8:9], exec
	s_waitcnt vmcnt(0) lgkmcnt(0)
	v_div_scale_f64 v[15:16], s[12:13], v[13:14], v[13:14], 1.0
	v_div_scale_f64 v[22:23], vcc, 1.0, v[13:14], 1.0
	v_rcp_f64_e32 v[18:19], v[15:16]
	v_fma_f64 v[20:21], -v[15:16], v[18:19], 1.0
	v_fma_f64 v[18:19], v[18:19], v[20:21], v[18:19]
	v_fma_f64 v[20:21], -v[15:16], v[18:19], 1.0
	v_fma_f64 v[18:19], v[18:19], v[20:21], v[18:19]
	v_mul_f64 v[20:21], v[22:23], v[18:19]
	v_fma_f64 v[15:16], -v[15:16], v[20:21], v[22:23]
	v_div_fmas_f64 v[15:16], v[15:16], v[18:19], v[20:21]
	v_div_fixup_f64 v[13:14], v[15:16], v[13:14], 1.0
.LBB144_1067:
	s_or_b64 exec, exec, s[10:11]
	s_and_b64 s[8:9], s[8:9], exec
                                        ; implicit-def: $vgpr15_vgpr16
	s_andn2_saveexec_b64 s[2:3], s[2:3]
	s_cbranch_execz .LBB144_18
.LBB144_1068:
	v_lshlrev_b64 v[13:14], 3, v[15:16]
	v_mov_b32_e32 v15, s94
	v_add_co_u32_e32 v13, vcc, s91, v13
	v_addc_co_u32_e32 v14, vcc, v15, v14, vcc
	flat_load_dwordx2 v[13:14], v[13:14]
	s_or_b64 s[8:9], s[8:9], exec
	s_waitcnt vmcnt(0) lgkmcnt(0)
	v_xor_b32_e32 v14, 0x80000000, v14
	s_or_b64 exec, exec, s[2:3]
	s_and_saveexec_b64 s[2:3], s[8:9]
	s_cbranch_execnz .LBB144_19
	s_branch .LBB144_20
.LBB144_1069:
	v_cmp_ne_u32_e32 vcc, v0, v1
	s_and_saveexec_b64 s[10:11], vcc
	s_xor_b64 s[10:11], exec, s[10:11]
; %bb.1070:
	v_or_b32_e32 v13, v1, v0
	v_cmp_gt_u32_e32 vcc, 64, v13
	s_and_b64 s[8:9], vcc, exec
                                        ; implicit-def: $vgpr15_vgpr16
; %bb.1071:
	s_or_saveexec_b64 s[10:11], s[10:11]
	v_mov_b32_e32 v13, 0
	v_mov_b32_e32 v14, 0
	s_xor_b64 exec, exec, s[10:11]
	s_cbranch_execz .LBB144_1073
; %bb.1072:
	v_lshlrev_b64 v[13:14], 3, v[15:16]
	v_mov_b32_e32 v15, s94
	v_add_co_u32_e32 v13, vcc, s91, v13
	v_addc_co_u32_e32 v14, vcc, v15, v14, vcc
	flat_load_dwordx2 v[13:14], v[13:14]
	s_or_b64 s[8:9], s[8:9], exec
	s_waitcnt vmcnt(0) lgkmcnt(0)
	v_div_scale_f64 v[15:16], s[12:13], v[13:14], v[13:14], 1.0
	v_div_scale_f64 v[22:23], vcc, 1.0, v[13:14], 1.0
	v_rcp_f64_e32 v[18:19], v[15:16]
	v_fma_f64 v[20:21], -v[15:16], v[18:19], 1.0
	v_fma_f64 v[18:19], v[18:19], v[20:21], v[18:19]
	v_fma_f64 v[20:21], -v[15:16], v[18:19], 1.0
	v_fma_f64 v[18:19], v[18:19], v[20:21], v[18:19]
	v_mul_f64 v[20:21], v[22:23], v[18:19]
	v_fma_f64 v[15:16], -v[15:16], v[20:21], v[22:23]
	v_div_fmas_f64 v[15:16], v[15:16], v[18:19], v[20:21]
	v_div_fixup_f64 v[13:14], v[15:16], v[13:14], 1.0
.LBB144_1073:
	s_or_b64 exec, exec, s[10:11]
	s_and_b64 s[8:9], s[8:9], exec
                                        ; implicit-def: $vgpr15_vgpr16
	s_andn2_saveexec_b64 s[2:3], s[2:3]
	s_cbranch_execz .LBB144_22
.LBB144_1074:
	v_lshlrev_b64 v[13:14], 3, v[15:16]
	v_mov_b32_e32 v15, s94
	v_add_co_u32_e32 v13, vcc, s91, v13
	v_addc_co_u32_e32 v14, vcc, v15, v14, vcc
	flat_load_dwordx2 v[13:14], v[13:14]
	s_or_b64 s[8:9], s[8:9], exec
	s_waitcnt vmcnt(0) lgkmcnt(0)
	v_xor_b32_e32 v14, 0x80000000, v14
	s_or_b64 exec, exec, s[2:3]
	s_and_saveexec_b64 s[2:3], s[8:9]
	s_cbranch_execnz .LBB144_23
	s_branch .LBB144_24
.LBB144_1075:
	v_cmp_ne_u32_e32 vcc, v0, v2
	s_xor_b64 s[12:13], s[2:3], -1
	s_or_b64 s[14:15], s[12:13], vcc
	s_mov_b64 s[12:13], 0
	s_and_saveexec_b64 s[16:17], s[14:15]
	s_xor_b64 s[14:15], exec, s[16:17]
; %bb.1076:
	v_or_b32_e32 v1, v2, v0
	v_cmp_gt_u32_e32 vcc, 64, v1
	s_and_b64 s[12:13], vcc, exec
                                        ; implicit-def: $vgpr13_vgpr14
; %bb.1077:
	s_or_saveexec_b64 s[14:15], s[14:15]
	v_mov_b32_e32 v15, 0
	v_mov_b32_e32 v16, 0
	s_xor_b64 exec, exec, s[14:15]
	s_cbranch_execz .LBB144_1079
; %bb.1078:
	v_lshlrev_b64 v[13:14], 3, v[13:14]
	v_mov_b32_e32 v1, s94
	v_add_co_u32_e32 v13, vcc, s91, v13
	v_addc_co_u32_e32 v14, vcc, v1, v14, vcc
	flat_load_dwordx2 v[13:14], v[13:14]
	s_or_b64 s[12:13], s[12:13], exec
	s_waitcnt vmcnt(0) lgkmcnt(0)
	v_div_scale_f64 v[15:16], s[16:17], v[13:14], v[13:14], 1.0
	v_div_scale_f64 v[22:23], vcc, 1.0, v[13:14], 1.0
	v_rcp_f64_e32 v[18:19], v[15:16]
	v_fma_f64 v[20:21], -v[15:16], v[18:19], 1.0
	v_fma_f64 v[18:19], v[18:19], v[20:21], v[18:19]
	v_fma_f64 v[20:21], -v[15:16], v[18:19], 1.0
	v_fma_f64 v[18:19], v[18:19], v[20:21], v[18:19]
	v_mul_f64 v[20:21], v[22:23], v[18:19]
	v_fma_f64 v[15:16], -v[15:16], v[20:21], v[22:23]
	v_div_fmas_f64 v[15:16], v[15:16], v[18:19], v[20:21]
	v_div_fixup_f64 v[15:16], v[15:16], v[13:14], 1.0
.LBB144_1079:
	s_or_b64 exec, exec, s[14:15]
	s_and_b64 s[12:13], s[12:13], exec
                                        ; implicit-def: $vgpr13_vgpr14
	s_andn2_saveexec_b64 s[8:9], s[8:9]
	s_cbranch_execz .LBB144_36
.LBB144_1080:
	v_lshlrev_b64 v[13:14], 3, v[13:14]
	v_mov_b32_e32 v1, s94
	v_add_co_u32_e32 v13, vcc, s91, v13
	v_addc_co_u32_e32 v14, vcc, v1, v14, vcc
	flat_load_dwordx2 v[15:16], v[13:14]
	s_or_b64 s[12:13], s[12:13], exec
	s_waitcnt vmcnt(0) lgkmcnt(0)
	v_xor_b32_e32 v16, 0x80000000, v16
	s_or_b64 exec, exec, s[8:9]
	s_and_saveexec_b64 s[8:9], s[12:13]
	s_cbranch_execnz .LBB144_37
	s_branch .LBB144_38
.LBB144_1081:
	v_cmp_ne_u32_e32 vcc, v0, v1
	s_xor_b64 s[12:13], s[2:3], -1
	s_or_b64 s[14:15], s[12:13], vcc
	s_mov_b64 s[12:13], 0
	s_and_saveexec_b64 s[16:17], s[14:15]
	s_xor_b64 s[14:15], exec, s[16:17]
; %bb.1082:
	v_or_b32_e32 v13, v1, v0
	v_cmp_gt_u32_e32 vcc, 64, v13
	s_and_b64 s[12:13], vcc, exec
                                        ; implicit-def: $vgpr13_vgpr14
; %bb.1083:
	s_or_saveexec_b64 s[14:15], s[14:15]
	v_mov_b32_e32 v15, 0
	v_mov_b32_e32 v16, 0
	s_xor_b64 exec, exec, s[14:15]
	s_cbranch_execz .LBB144_1085
; %bb.1084:
	v_lshlrev_b64 v[13:14], 3, v[13:14]
	v_mov_b32_e32 v15, s94
	v_add_co_u32_e32 v13, vcc, s91, v13
	v_addc_co_u32_e32 v14, vcc, v15, v14, vcc
	flat_load_dwordx2 v[13:14], v[13:14]
	s_or_b64 s[12:13], s[12:13], exec
	s_waitcnt vmcnt(0) lgkmcnt(0)
	v_div_scale_f64 v[15:16], s[16:17], v[13:14], v[13:14], 1.0
	v_div_scale_f64 v[22:23], vcc, 1.0, v[13:14], 1.0
	v_rcp_f64_e32 v[18:19], v[15:16]
	v_fma_f64 v[20:21], -v[15:16], v[18:19], 1.0
	v_fma_f64 v[18:19], v[18:19], v[20:21], v[18:19]
	v_fma_f64 v[20:21], -v[15:16], v[18:19], 1.0
	v_fma_f64 v[18:19], v[18:19], v[20:21], v[18:19]
	v_mul_f64 v[20:21], v[22:23], v[18:19]
	v_fma_f64 v[15:16], -v[15:16], v[20:21], v[22:23]
	v_div_fmas_f64 v[15:16], v[15:16], v[18:19], v[20:21]
	v_div_fixup_f64 v[15:16], v[15:16], v[13:14], 1.0
.LBB144_1085:
	s_or_b64 exec, exec, s[14:15]
	s_and_b64 s[12:13], s[12:13], exec
                                        ; implicit-def: $vgpr13_vgpr14
	s_andn2_saveexec_b64 s[8:9], s[8:9]
	s_cbranch_execz .LBB144_40
.LBB144_1086:
	v_lshlrev_b64 v[13:14], 3, v[13:14]
	v_mov_b32_e32 v15, s94
	v_add_co_u32_e32 v13, vcc, s91, v13
	v_addc_co_u32_e32 v14, vcc, v15, v14, vcc
	flat_load_dwordx2 v[15:16], v[13:14]
	s_or_b64 s[12:13], s[12:13], exec
	s_waitcnt vmcnt(0) lgkmcnt(0)
	v_xor_b32_e32 v16, 0x80000000, v16
	s_or_b64 exec, exec, s[8:9]
	s_and_saveexec_b64 s[8:9], s[12:13]
	s_cbranch_execnz .LBB144_41
	s_branch .LBB144_42
.LBB144_1087:
	v_cmp_ne_u32_e32 vcc, v0, v1
	s_xor_b64 s[12:13], s[2:3], -1
	s_or_b64 s[14:15], s[12:13], vcc
	s_mov_b64 s[12:13], 0
	s_and_saveexec_b64 s[16:17], s[14:15]
	s_xor_b64 s[14:15], exec, s[16:17]
; %bb.1088:
	v_or_b32_e32 v13, v1, v0
	v_cmp_gt_u32_e32 vcc, 64, v13
	s_and_b64 s[12:13], vcc, exec
                                        ; implicit-def: $vgpr13_vgpr14
; %bb.1089:
	s_or_saveexec_b64 s[14:15], s[14:15]
	v_mov_b32_e32 v15, 0
	v_mov_b32_e32 v16, 0
	s_xor_b64 exec, exec, s[14:15]
	s_cbranch_execz .LBB144_1091
; %bb.1090:
	v_lshlrev_b64 v[13:14], 3, v[13:14]
	v_mov_b32_e32 v15, s94
	v_add_co_u32_e32 v13, vcc, s91, v13
	v_addc_co_u32_e32 v14, vcc, v15, v14, vcc
	flat_load_dwordx2 v[13:14], v[13:14]
	s_or_b64 s[12:13], s[12:13], exec
	s_waitcnt vmcnt(0) lgkmcnt(0)
	v_div_scale_f64 v[15:16], s[16:17], v[13:14], v[13:14], 1.0
	v_div_scale_f64 v[22:23], vcc, 1.0, v[13:14], 1.0
	v_rcp_f64_e32 v[18:19], v[15:16]
	v_fma_f64 v[20:21], -v[15:16], v[18:19], 1.0
	v_fma_f64 v[18:19], v[18:19], v[20:21], v[18:19]
	v_fma_f64 v[20:21], -v[15:16], v[18:19], 1.0
	v_fma_f64 v[18:19], v[18:19], v[20:21], v[18:19]
	v_mul_f64 v[20:21], v[22:23], v[18:19]
	v_fma_f64 v[15:16], -v[15:16], v[20:21], v[22:23]
	v_div_fmas_f64 v[15:16], v[15:16], v[18:19], v[20:21]
	v_div_fixup_f64 v[15:16], v[15:16], v[13:14], 1.0
.LBB144_1091:
	s_or_b64 exec, exec, s[14:15]
	s_and_b64 s[12:13], s[12:13], exec
                                        ; implicit-def: $vgpr13_vgpr14
	s_andn2_saveexec_b64 s[8:9], s[8:9]
	s_cbranch_execz .LBB144_44
.LBB144_1092:
	v_lshlrev_b64 v[13:14], 3, v[13:14]
	v_mov_b32_e32 v15, s94
	v_add_co_u32_e32 v13, vcc, s91, v13
	v_addc_co_u32_e32 v14, vcc, v15, v14, vcc
	flat_load_dwordx2 v[15:16], v[13:14]
	s_or_b64 s[12:13], s[12:13], exec
	s_waitcnt vmcnt(0) lgkmcnt(0)
	v_xor_b32_e32 v16, 0x80000000, v16
	s_or_b64 exec, exec, s[8:9]
	s_and_saveexec_b64 s[8:9], s[12:13]
	s_cbranch_execnz .LBB144_45
	s_branch .LBB144_46
.LBB144_1093:
	s_or_b64 exec, exec, s[10:11]
	s_and_b64 vcc, exec, s[8:9]
	s_cbranch_vccnz .LBB144_1031
.LBB144_1094:
	v_mov_b32_e32 v12, v2
	v_mov_b32_e32 v11, v1
	s_and_saveexec_b64 s[2:3], s[6:7]
	s_cbranch_execnz .LBB144_1052
	s_branch .LBB144_1053
.LBB144_1095:
	s_andn2_b64 s[4:5], s[6:7], exec
	s_and_b64 s[6:7], s[2:3], exec
	s_or_b64 s[6:7], s[4:5], s[6:7]
	s_cbranch_execnz .LBB144_1051
.LBB144_1096:
	v_cmp_gt_i32_e32 vcc, s90, v0
	s_and_b64 s[2:3], s[2:3], vcc
	s_andn2_b64 s[4:5], s[6:7], exec
	s_and_b64 s[2:3], s[2:3], exec
	s_or_b64 s[6:7], s[4:5], s[2:3]
	s_and_saveexec_b64 s[2:3], s[6:7]
	s_cbranch_execnz .LBB144_1052
	s_branch .LBB144_1053
.LBB144_1097:
	v_lshlrev_b32_e32 v21, 3, v20
	v_sub_u32_e32 v21, v18, v21
	v_lshl_add_u32 v21, v19, 3, v21
	ds_read_b64 v[21:22], v21 offset:544
	ds_read_b64 v[23:24], v18 offset:8
	s_waitcnt lgkmcnt(0)
	v_fma_f64 v[11:12], v[21:22], v[23:24], v[11:12]
	s_or_b64 exec, exec, s[14:15]
	v_cmp_gt_u32_e64 s[10:11], 8, v14
	s_and_saveexec_b64 s[14:15], s[10:11]
	s_cbranch_execz .LBB144_79
.LBB144_1098:
	ds_read_b64 v[21:22], v16 offset:1056
	ds_read_b64 v[23:24], v18 offset:16
	s_waitcnt lgkmcnt(0)
	v_fma_f64 v[11:12], v[21:22], v[23:24], v[11:12]
	s_or_b64 exec, exec, s[14:15]
	v_cmp_gt_u32_e64 s[10:11], 4, v14
	s_and_saveexec_b64 s[14:15], s[10:11]
	s_cbranch_execnz .LBB144_80
	s_branch .LBB144_81
.LBB144_1099:
	v_lshlrev_b32_e32 v26, 3, v25
	v_sub_u32_e32 v26, v23, v26
	v_lshl_add_u32 v26, v24, 3, v26
	ds_read_b64 v[26:27], v26 offset:576
	ds_read_b64 v[28:29], v23 offset:8
	s_waitcnt lgkmcnt(0)
	v_fma_f64 v[11:12], v[26:27], v[28:29], v[11:12]
	s_or_b64 exec, exec, s[16:17]
	v_cmp_gt_u32_e64 s[14:15], 48, v14
	s_and_saveexec_b64 s[16:17], s[14:15]
	s_cbranch_execz .LBB144_121
.LBB144_1100:
	v_lshlrev_b32_e32 v26, 3, v25
	v_sub_u32_e32 v26, v23, v26
	v_lshl_add_u32 v26, v24, 3, v26
	ds_read_b64 v[26:27], v26 offset:1088
	ds_read_b64 v[28:29], v23 offset:16
	s_waitcnt lgkmcnt(0)
	v_fma_f64 v[11:12], v[26:27], v[28:29], v[11:12]
	s_or_b64 exec, exec, s[16:17]
	v_cmp_gt_u32_e64 s[14:15], 40, v14
	s_and_saveexec_b64 s[16:17], s[14:15]
	s_cbranch_execz .LBB144_122
.LBB144_1101:
	v_lshlrev_b32_e32 v26, 3, v25
	v_sub_u32_e32 v26, v23, v26
	v_lshl_add_u32 v26, v24, 3, v26
	ds_read_b64 v[26:27], v26 offset:1600
	ds_read_b64 v[28:29], v23 offset:24
	s_waitcnt lgkmcnt(0)
	v_fma_f64 v[11:12], v[26:27], v[28:29], v[11:12]
	s_or_b64 exec, exec, s[16:17]
	v_cmp_gt_u32_e64 s[14:15], 32, v14
	s_and_saveexec_b64 s[16:17], s[14:15]
	s_cbranch_execz .LBB144_123
.LBB144_1102:
	ds_read_b64 v[26:27], v21 offset:2112
	ds_read_b64 v[28:29], v23 offset:32
	s_waitcnt lgkmcnt(0)
	v_fma_f64 v[11:12], v[26:27], v[28:29], v[11:12]
	s_or_b64 exec, exec, s[16:17]
	v_cmp_gt_u32_e64 s[14:15], 24, v14
	s_and_saveexec_b64 s[16:17], s[14:15]
	s_cbranch_execz .LBB144_124
.LBB144_1103:
	v_lshlrev_b32_e32 v26, 3, v25
	v_sub_u32_e32 v26, v23, v26
	v_lshl_add_u32 v26, v24, 3, v26
	ds_read_b64 v[26:27], v26 offset:2624
	ds_read_b64 v[28:29], v23 offset:40
	s_waitcnt lgkmcnt(0)
	v_fma_f64 v[11:12], v[26:27], v[28:29], v[11:12]
	s_or_b64 exec, exec, s[16:17]
	v_cmp_gt_u32_e64 s[14:15], 16, v14
	s_and_saveexec_b64 s[16:17], s[14:15]
	s_cbranch_execz .LBB144_125
.LBB144_1104:
	ds_read_b64 v[26:27], v21 offset:3136
	ds_read_b64 v[28:29], v23 offset:48
	s_waitcnt lgkmcnt(0)
	v_fma_f64 v[11:12], v[26:27], v[28:29], v[11:12]
	s_or_b64 exec, exec, s[16:17]
	v_cmp_gt_u32_e64 s[14:15], 8, v14
	s_and_saveexec_b64 s[16:17], s[14:15]
	s_cbranch_execnz .LBB144_126
	s_branch .LBB144_127
.LBB144_1105:
	v_lshlrev_b32_e32 v27, 3, v20
	v_sub_u32_e32 v27, v26, v27
	v_lshl_add_u32 v27, v19, 3, v27
	ds_read_b64 v[27:28], v27 offset:4704
	ds_read_b64 v[29:30], v26 offset:4168
	s_waitcnt lgkmcnt(0)
	v_fma_f64 v[11:12], v[27:28], v[29:30], v[11:12]
	s_or_b64 exec, exec, s[14:15]
	v_cmp_gt_u32_e64 s[10:11], 8, v14
	s_and_saveexec_b64 s[14:15], s[10:11]
	s_cbranch_execz .LBB144_183
.LBB144_1106:
	ds_read_b64 v[27:28], v16 offset:5216
	ds_read_b64 v[29:30], v26 offset:4176
	s_waitcnt lgkmcnt(0)
	v_fma_f64 v[11:12], v[27:28], v[29:30], v[11:12]
	s_or_b64 exec, exec, s[14:15]
	v_cmp_gt_u32_e64 s[10:11], 4, v14
	s_and_saveexec_b64 s[14:15], s[10:11]
	s_cbranch_execnz .LBB144_184
	s_branch .LBB144_185
.LBB144_1107:
	v_lshlrev_b32_e32 v31, 3, v27
	v_lshl_add_u32 v31, v29, 3, v31
	ds_read_b64 v[31:32], v31 offset:5760
	ds_read_b64 v[33:34], v28 offset:88
	s_waitcnt lgkmcnt(0)
	v_fma_f64 v[11:12], v[31:32], v[33:34], v[11:12]
	s_or_b64 exec, exec, s[20:21]
	v_cmp_gt_u32_e64 s[16:17], 64, v14
	s_and_saveexec_b64 s[20:21], s[16:17]
	s_cbranch_execz .LBB144_245
.LBB144_1108:
	ds_read_b64 v[31:32], v26 offset:6272
	ds_read_b64 v[33:34], v28 offset:96
	s_waitcnt lgkmcnt(0)
	v_fma_f64 v[11:12], v[31:32], v[33:34], v[11:12]
	s_or_b64 exec, exec, s[20:21]
	v_cmp_gt_u32_e64 s[16:17], 48, v14
	s_and_saveexec_b64 s[20:21], s[16:17]
	s_cbranch_execz .LBB144_246
.LBB144_1109:
	v_lshlrev_b32_e32 v31, 3, v27
	v_lshl_add_u32 v31, v29, 3, v31
	ds_read_b64 v[31:32], v31 offset:6784
	ds_read_b64 v[33:34], v28 offset:104
	s_waitcnt lgkmcnt(0)
	v_fma_f64 v[11:12], v[31:32], v[33:34], v[11:12]
	s_or_b64 exec, exec, s[20:21]
	v_cmp_gt_u32_e64 s[16:17], 32, v14
	s_and_saveexec_b64 s[20:21], s[16:17]
	s_cbranch_execz .LBB144_247
.LBB144_1110:
	ds_read_b64 v[31:32], v26 offset:7296
	ds_read_b64 v[33:34], v28 offset:112
	s_waitcnt lgkmcnt(0)
	v_fma_f64 v[11:12], v[31:32], v[33:34], v[11:12]
	s_or_b64 exec, exec, s[20:21]
	v_cmp_gt_u32_e64 s[16:17], 16, v14
	s_and_saveexec_b64 s[20:21], s[16:17]
	s_cbranch_execnz .LBB144_248
	s_branch .LBB144_249
.LBB144_1111:
	v_lshlrev_b32_e32 v32, 3, v20
	v_sub_u32_e32 v32, v31, v32
	v_lshl_add_u32 v32, v19, 3, v32
	ds_read_b64 v[32:33], v32 offset:8864
	ds_read_b64 v[34:35], v31 offset:8328
	s_waitcnt lgkmcnt(0)
	v_fma_f64 v[11:12], v[32:33], v[34:35], v[11:12]
	s_or_b64 exec, exec, s[16:17]
	v_cmp_gt_u32_e64 s[14:15], 8, v14
	s_and_saveexec_b64 s[16:17], s[14:15]
	s_cbranch_execz .LBB144_337
.LBB144_1112:
	ds_read_b64 v[32:33], v16 offset:9376
	ds_read_b64 v[34:35], v31 offset:8336
	s_waitcnt lgkmcnt(0)
	v_fma_f64 v[11:12], v[32:33], v[34:35], v[11:12]
	s_or_b64 exec, exec, s[16:17]
	v_cmp_gt_u32_e64 s[14:15], 4, v14
	s_and_saveexec_b64 s[16:17], s[14:15]
	s_cbranch_execnz .LBB144_338
	s_branch .LBB144_339
.LBB144_1113:
	v_lshlrev_b32_e32 v32, 3, v25
	v_sub_u32_e32 v32, v31, v32
	v_lshl_add_u32 v32, v24, 3, v32
	ds_read_b64 v[32:33], v32 offset:8896
	ds_read_b64 v[34:35], v31 offset:8328
	s_waitcnt lgkmcnt(0)
	v_fma_f64 v[11:12], v[32:33], v[34:35], v[11:12]
	s_or_b64 exec, exec, s[16:17]
	v_cmp_gt_u32_e64 s[14:15], 48, v14
	s_and_saveexec_b64 s[16:17], s[14:15]
	s_cbranch_execz .LBB144_379
.LBB144_1114:
	v_lshlrev_b32_e32 v32, 3, v25
	v_sub_u32_e32 v32, v31, v32
	v_lshl_add_u32 v32, v24, 3, v32
	ds_read_b64 v[32:33], v32 offset:9408
	ds_read_b64 v[34:35], v31 offset:8336
	s_waitcnt lgkmcnt(0)
	v_fma_f64 v[11:12], v[32:33], v[34:35], v[11:12]
	s_or_b64 exec, exec, s[16:17]
	v_cmp_gt_u32_e64 s[14:15], 40, v14
	s_and_saveexec_b64 s[16:17], s[14:15]
	s_cbranch_execz .LBB144_380
.LBB144_1115:
	v_lshlrev_b32_e32 v32, 3, v25
	v_sub_u32_e32 v32, v31, v32
	v_lshl_add_u32 v32, v24, 3, v32
	ds_read_b64 v[32:33], v32 offset:9920
	ds_read_b64 v[34:35], v31 offset:8344
	s_waitcnt lgkmcnt(0)
	v_fma_f64 v[11:12], v[32:33], v[34:35], v[11:12]
	s_or_b64 exec, exec, s[16:17]
	v_cmp_gt_u32_e64 s[14:15], 32, v14
	s_and_saveexec_b64 s[16:17], s[14:15]
	s_cbranch_execz .LBB144_381
.LBB144_1116:
	ds_read_b64 v[32:33], v21 offset:10432
	ds_read_b64 v[34:35], v31 offset:8352
	s_waitcnt lgkmcnt(0)
	v_fma_f64 v[11:12], v[32:33], v[34:35], v[11:12]
	s_or_b64 exec, exec, s[16:17]
	v_cmp_gt_u32_e64 s[14:15], 24, v14
	s_and_saveexec_b64 s[16:17], s[14:15]
	s_cbranch_execz .LBB144_382
.LBB144_1117:
	v_lshlrev_b32_e32 v32, 3, v25
	v_sub_u32_e32 v32, v31, v32
	v_lshl_add_u32 v32, v24, 3, v32
	ds_read_b64 v[32:33], v32 offset:10944
	ds_read_b64 v[34:35], v31 offset:8360
	s_waitcnt lgkmcnt(0)
	v_fma_f64 v[11:12], v[32:33], v[34:35], v[11:12]
	s_or_b64 exec, exec, s[16:17]
	v_cmp_gt_u32_e64 s[14:15], 16, v14
	s_and_saveexec_b64 s[16:17], s[14:15]
	s_cbranch_execz .LBB144_383
.LBB144_1118:
	ds_read_b64 v[32:33], v21 offset:11456
	ds_read_b64 v[34:35], v31 offset:8368
	s_waitcnt lgkmcnt(0)
	v_fma_f64 v[11:12], v[32:33], v[34:35], v[11:12]
	s_or_b64 exec, exec, s[16:17]
	v_cmp_gt_u32_e64 s[14:15], 8, v14
	s_and_saveexec_b64 s[16:17], s[14:15]
	s_cbranch_execnz .LBB144_384
	s_branch .LBB144_385
.LBB144_1119:
	v_lshlrev_b32_e32 v32, 3, v20
	v_sub_u32_e32 v32, v31, v32
	v_lshl_add_u32 v32, v19, 3, v32
	ds_read_b64 v[32:33], v32 offset:13024
	ds_read_b64 v[34:35], v31 offset:12488
	s_waitcnt lgkmcnt(0)
	v_fma_f64 v[11:12], v[32:33], v[34:35], v[11:12]
	s_or_b64 exec, exec, s[16:17]
	v_cmp_gt_u32_e64 s[14:15], 8, v14
	s_and_saveexec_b64 s[16:17], s[14:15]
	s_cbranch_execz .LBB144_441
.LBB144_1120:
	ds_read_b64 v[32:33], v16 offset:13536
	ds_read_b64 v[34:35], v31 offset:12496
	s_waitcnt lgkmcnt(0)
	v_fma_f64 v[11:12], v[32:33], v[34:35], v[11:12]
	s_or_b64 exec, exec, s[16:17]
	v_cmp_gt_u32_e64 s[14:15], 4, v14
	s_and_saveexec_b64 s[16:17], s[14:15]
	s_cbranch_execnz .LBB144_442
	s_branch .LBB144_443
.LBB144_1121:
	ds_read_b64 v[35:36], v31 offset:15104
	ds_read_b64 v[37:38], v34 offset:232
	s_waitcnt lgkmcnt(0)
	v_fma_f64 v[11:12], v[35:36], v[37:38], v[11:12]
	s_or_b64 exec, exec, s[38:39]
	v_cmp_gt_u32_e64 s[20:21], 64, v14
	s_and_saveexec_b64 s[38:39], s[20:21]
	s_cbranch_execz .LBB144_539
.LBB144_1122:
	ds_read_b64 v[35:36], v31 offset:15616
	ds_read_b64 v[37:38], v34 offset:240
	s_waitcnt lgkmcnt(0)
	v_fma_f64 v[11:12], v[35:36], v[37:38], v[11:12]
	s_or_b64 exec, exec, s[38:39]
	v_cmp_gt_u32_e64 s[20:21], 32, v14
	s_and_saveexec_b64 s[38:39], s[20:21]
	s_cbranch_execnz .LBB144_540
	s_branch .LBB144_541
.LBB144_1123:
	v_lshlrev_b32_e32 v32, 3, v20
	v_sub_u32_e32 v32, v31, v32
	v_lshl_add_u32 v32, v19, 3, v32
	ds_read_b64 v[32:33], v32 offset:17184
	ds_read_b64 v[34:35], v31 offset:16648
	s_waitcnt lgkmcnt(0)
	v_fma_f64 v[11:12], v[32:33], v[34:35], v[11:12]
	s_or_b64 exec, exec, s[14:15]
	v_cmp_gt_u32_e64 s[12:13], 8, v14
	s_and_saveexec_b64 s[14:15], s[12:13]
	s_cbranch_execz .LBB144_585
.LBB144_1124:
	ds_read_b64 v[32:33], v16 offset:17696
	ds_read_b64 v[34:35], v31 offset:16656
	s_waitcnt lgkmcnt(0)
	v_fma_f64 v[11:12], v[32:33], v[34:35], v[11:12]
	s_or_b64 exec, exec, s[14:15]
	v_cmp_gt_u32_e64 s[12:13], 4, v14
	s_and_saveexec_b64 s[14:15], s[12:13]
	s_cbranch_execnz .LBB144_586
	s_branch .LBB144_587
.LBB144_1125:
	v_lshlrev_b32_e32 v32, 3, v25
	v_sub_u32_e32 v32, v31, v32
	v_lshl_add_u32 v32, v24, 3, v32
	ds_read_b64 v[32:33], v32 offset:17216
	ds_read_b64 v[34:35], v31 offset:16648
	s_waitcnt lgkmcnt(0)
	v_fma_f64 v[11:12], v[32:33], v[34:35], v[11:12]
	s_or_b64 exec, exec, s[14:15]
	v_cmp_gt_u32_e64 s[12:13], 48, v14
	s_and_saveexec_b64 s[14:15], s[12:13]
	s_cbranch_execz .LBB144_627
.LBB144_1126:
	v_lshlrev_b32_e32 v32, 3, v25
	v_sub_u32_e32 v32, v31, v32
	v_lshl_add_u32 v32, v24, 3, v32
	ds_read_b64 v[32:33], v32 offset:17728
	ds_read_b64 v[34:35], v31 offset:16656
	s_waitcnt lgkmcnt(0)
	v_fma_f64 v[11:12], v[32:33], v[34:35], v[11:12]
	s_or_b64 exec, exec, s[14:15]
	v_cmp_gt_u32_e64 s[12:13], 40, v14
	s_and_saveexec_b64 s[14:15], s[12:13]
	s_cbranch_execz .LBB144_628
.LBB144_1127:
	v_lshlrev_b32_e32 v32, 3, v25
	v_sub_u32_e32 v32, v31, v32
	v_lshl_add_u32 v32, v24, 3, v32
	ds_read_b64 v[32:33], v32 offset:18240
	ds_read_b64 v[34:35], v31 offset:16664
	s_waitcnt lgkmcnt(0)
	v_fma_f64 v[11:12], v[32:33], v[34:35], v[11:12]
	s_or_b64 exec, exec, s[14:15]
	v_cmp_gt_u32_e64 s[12:13], 32, v14
	s_and_saveexec_b64 s[14:15], s[12:13]
	s_cbranch_execz .LBB144_629
.LBB144_1128:
	ds_read_b64 v[32:33], v21 offset:18752
	ds_read_b64 v[34:35], v31 offset:16672
	s_waitcnt lgkmcnt(0)
	v_fma_f64 v[11:12], v[32:33], v[34:35], v[11:12]
	s_or_b64 exec, exec, s[14:15]
	v_cmp_gt_u32_e64 s[12:13], 24, v14
	s_and_saveexec_b64 s[14:15], s[12:13]
	s_cbranch_execz .LBB144_630
.LBB144_1129:
	v_lshlrev_b32_e32 v32, 3, v25
	v_sub_u32_e32 v32, v31, v32
	v_lshl_add_u32 v32, v24, 3, v32
	ds_read_b64 v[32:33], v32 offset:19264
	ds_read_b64 v[34:35], v31 offset:16680
	s_waitcnt lgkmcnt(0)
	v_fma_f64 v[11:12], v[32:33], v[34:35], v[11:12]
	s_or_b64 exec, exec, s[14:15]
	v_cmp_gt_u32_e64 s[12:13], 16, v14
	s_and_saveexec_b64 s[14:15], s[12:13]
	s_cbranch_execz .LBB144_631
.LBB144_1130:
	ds_read_b64 v[32:33], v21 offset:19776
	ds_read_b64 v[34:35], v31 offset:16688
	s_waitcnt lgkmcnt(0)
	v_fma_f64 v[11:12], v[32:33], v[34:35], v[11:12]
	s_or_b64 exec, exec, s[14:15]
	v_cmp_gt_u32_e64 s[12:13], 8, v14
	s_and_saveexec_b64 s[14:15], s[12:13]
	s_cbranch_execnz .LBB144_632
	s_branch .LBB144_633
.LBB144_1131:
	v_lshlrev_b32_e32 v32, 3, v20
	v_sub_u32_e32 v32, v31, v32
	v_lshl_add_u32 v32, v19, 3, v32
	ds_read_b64 v[32:33], v32 offset:21344
	ds_read_b64 v[34:35], v31 offset:20808
	s_waitcnt lgkmcnt(0)
	v_fma_f64 v[11:12], v[32:33], v[34:35], v[11:12]
	s_or_b64 exec, exec, s[14:15]
	v_cmp_gt_u32_e64 s[12:13], 8, v14
	s_and_saveexec_b64 s[14:15], s[12:13]
	s_cbranch_execz .LBB144_689
.LBB144_1132:
	ds_read_b64 v[32:33], v16 offset:21856
	ds_read_b64 v[34:35], v31 offset:20816
	s_waitcnt lgkmcnt(0)
	v_fma_f64 v[11:12], v[32:33], v[34:35], v[11:12]
	s_or_b64 exec, exec, s[14:15]
	v_cmp_gt_u32_e64 s[12:13], 4, v14
	s_and_saveexec_b64 s[14:15], s[12:13]
	s_cbranch_execnz .LBB144_690
	s_branch .LBB144_691
.LBB144_1133:
	v_lshlrev_b32_e32 v30, 3, v27
	v_lshl_add_u32 v30, v29, 3, v30
	ds_read_b64 v[32:33], v30 offset:22400
	ds_read_b64 v[34:35], v31 offset:16728
	s_waitcnt lgkmcnt(0)
	v_fma_f64 v[11:12], v[32:33], v[34:35], v[11:12]
	s_or_b64 exec, exec, s[14:15]
	v_cmp_gt_u32_e64 s[12:13], 64, v14
	s_and_saveexec_b64 s[14:15], s[12:13]
	s_cbranch_execz .LBB144_751
.LBB144_1134:
	ds_read_b64 v[32:33], v26 offset:22912
	ds_read_b64 v[34:35], v31 offset:16736
	s_waitcnt lgkmcnt(0)
	v_fma_f64 v[11:12], v[32:33], v[34:35], v[11:12]
	s_or_b64 exec, exec, s[14:15]
	v_cmp_gt_u32_e64 s[12:13], 48, v14
	s_and_saveexec_b64 s[14:15], s[12:13]
	s_cbranch_execz .LBB144_752
.LBB144_1135:
	v_lshlrev_b32_e32 v30, 3, v27
	v_lshl_add_u32 v29, v29, 3, v30
	ds_read_b64 v[29:30], v29 offset:23424
	ds_read_b64 v[32:33], v31 offset:16744
	s_waitcnt lgkmcnt(0)
	v_fma_f64 v[11:12], v[29:30], v[32:33], v[11:12]
	s_or_b64 exec, exec, s[14:15]
	v_cmp_gt_u32_e64 s[12:13], 32, v14
	s_and_saveexec_b64 s[14:15], s[12:13]
	s_cbranch_execz .LBB144_753
.LBB144_1136:
	ds_read_b64 v[29:30], v26 offset:23936
	ds_read_b64 v[31:32], v31 offset:16752
	s_waitcnt lgkmcnt(0)
	v_fma_f64 v[11:12], v[29:30], v[31:32], v[11:12]
	s_or_b64 exec, exec, s[14:15]
	v_cmp_gt_u32_e64 s[12:13], 16, v14
	s_and_saveexec_b64 s[14:15], s[12:13]
	s_cbranch_execnz .LBB144_754
	s_branch .LBB144_755
.LBB144_1137:
	v_lshlrev_b32_e32 v27, 3, v20
	v_sub_u32_e32 v27, v26, v27
	v_lshl_add_u32 v27, v19, 3, v27
	ds_read_b64 v[27:28], v27 offset:25504
	ds_read_b64 v[29:30], v26 offset:24968
	s_waitcnt lgkmcnt(0)
	v_fma_f64 v[11:12], v[27:28], v[29:30], v[11:12]
	s_or_b64 exec, exec, s[12:13]
	v_cmp_gt_u32_e64 s[10:11], 8, v14
	s_and_saveexec_b64 s[12:13], s[10:11]
	s_cbranch_execz .LBB144_843
.LBB144_1138:
	ds_read_b64 v[27:28], v16 offset:26016
	ds_read_b64 v[29:30], v26 offset:24976
	s_waitcnt lgkmcnt(0)
	v_fma_f64 v[11:12], v[27:28], v[29:30], v[11:12]
	s_or_b64 exec, exec, s[12:13]
	v_cmp_gt_u32_e64 s[10:11], 4, v14
	s_and_saveexec_b64 s[12:13], s[10:11]
	s_cbranch_execnz .LBB144_844
	s_branch .LBB144_845
.LBB144_1139:
	v_lshlrev_b32_e32 v27, 3, v25
	v_sub_u32_e32 v27, v26, v27
	v_lshl_add_u32 v27, v24, 3, v27
	ds_read_b64 v[27:28], v27 offset:25536
	ds_read_b64 v[29:30], v26 offset:24968
	s_waitcnt lgkmcnt(0)
	v_fma_f64 v[11:12], v[27:28], v[29:30], v[11:12]
	s_or_b64 exec, exec, s[12:13]
	v_cmp_gt_u32_e64 s[10:11], 48, v14
	s_and_saveexec_b64 s[12:13], s[10:11]
	s_cbranch_execz .LBB144_885
.LBB144_1140:
	v_lshlrev_b32_e32 v27, 3, v25
	v_sub_u32_e32 v27, v26, v27
	v_lshl_add_u32 v27, v24, 3, v27
	ds_read_b64 v[27:28], v27 offset:26048
	ds_read_b64 v[29:30], v26 offset:24976
	s_waitcnt lgkmcnt(0)
	v_fma_f64 v[11:12], v[27:28], v[29:30], v[11:12]
	s_or_b64 exec, exec, s[12:13]
	v_cmp_gt_u32_e64 s[10:11], 40, v14
	s_and_saveexec_b64 s[12:13], s[10:11]
	s_cbranch_execz .LBB144_886
.LBB144_1141:
	v_lshlrev_b32_e32 v27, 3, v25
	v_sub_u32_e32 v27, v26, v27
	v_lshl_add_u32 v27, v24, 3, v27
	ds_read_b64 v[27:28], v27 offset:26560
	ds_read_b64 v[29:30], v26 offset:24984
	s_waitcnt lgkmcnt(0)
	v_fma_f64 v[11:12], v[27:28], v[29:30], v[11:12]
	s_or_b64 exec, exec, s[12:13]
	v_cmp_gt_u32_e64 s[10:11], 32, v14
	s_and_saveexec_b64 s[12:13], s[10:11]
	s_cbranch_execz .LBB144_887
.LBB144_1142:
	ds_read_b64 v[27:28], v21 offset:27072
	ds_read_b64 v[29:30], v26 offset:24992
	s_waitcnt lgkmcnt(0)
	v_fma_f64 v[11:12], v[27:28], v[29:30], v[11:12]
	s_or_b64 exec, exec, s[12:13]
	v_cmp_gt_u32_e64 s[10:11], 24, v14
	s_and_saveexec_b64 s[12:13], s[10:11]
	s_cbranch_execz .LBB144_888
.LBB144_1143:
	v_lshlrev_b32_e32 v25, 3, v25
	v_sub_u32_e32 v25, v26, v25
	v_lshl_add_u32 v24, v24, 3, v25
	ds_read_b64 v[24:25], v24 offset:27584
	ds_read_b64 v[27:28], v26 offset:25000
	s_waitcnt lgkmcnt(0)
	v_fma_f64 v[11:12], v[24:25], v[27:28], v[11:12]
	s_or_b64 exec, exec, s[12:13]
	v_cmp_gt_u32_e64 s[10:11], 16, v14
	s_and_saveexec_b64 s[12:13], s[10:11]
	s_cbranch_execz .LBB144_889
.LBB144_1144:
	ds_read_b64 v[24:25], v21 offset:28096
	ds_read_b64 v[26:27], v26 offset:25008
	s_waitcnt lgkmcnt(0)
	v_fma_f64 v[11:12], v[24:25], v[26:27], v[11:12]
	s_or_b64 exec, exec, s[12:13]
	v_cmp_gt_u32_e64 s[10:11], 8, v14
	s_and_saveexec_b64 s[12:13], s[10:11]
	s_cbranch_execnz .LBB144_890
	s_branch .LBB144_891
.LBB144_1145:
	v_lshlrev_b32_e32 v20, 3, v20
	v_sub_u32_e32 v20, v21, v20
	v_lshl_add_u32 v19, v19, 3, v20
	ds_read_b64 v[19:20], v19 offset:29664
	ds_read_b64 v[22:23], v21 offset:29128
	s_waitcnt lgkmcnt(0)
	v_fma_f64 v[11:12], v[19:20], v[22:23], v[11:12]
	s_or_b64 exec, exec, s[10:11]
	v_cmp_gt_u32_e64 s[8:9], 8, v14
	s_and_saveexec_b64 s[10:11], s[8:9]
	s_cbranch_execz .LBB144_947
.LBB144_1146:
	ds_read_b64 v[19:20], v16 offset:30176
	ds_read_b64 v[21:22], v21 offset:29136
	s_waitcnt lgkmcnt(0)
	v_fma_f64 v[11:12], v[19:20], v[21:22], v[11:12]
	s_or_b64 exec, exec, s[10:11]
	v_cmp_gt_u32_e64 s[8:9], 4, v14
	s_and_saveexec_b64 s[10:11], s[8:9]
	s_cbranch_execnz .LBB144_948
	s_branch .LBB144_949
	.section	.rodata,"a",@progbits
	.p2align	6, 0x0
	.amdhsa_kernel _ZL19rocblas_trsv_deviceILi64ELi16ELb1ELb1ELb1ELb0EddPKPKdPKPdEviT7_lllT6_T8_lllPii
		.amdhsa_group_segment_fixed_size 41480
		.amdhsa_private_segment_fixed_size 0
		.amdhsa_kernarg_size 352
		.amdhsa_user_sgpr_count 6
		.amdhsa_user_sgpr_private_segment_buffer 1
		.amdhsa_user_sgpr_dispatch_ptr 0
		.amdhsa_user_sgpr_queue_ptr 0
		.amdhsa_user_sgpr_kernarg_segment_ptr 1
		.amdhsa_user_sgpr_dispatch_id 0
		.amdhsa_user_sgpr_flat_scratch_init 0
		.amdhsa_user_sgpr_private_segment_size 0
		.amdhsa_uses_dynamic_stack 0
		.amdhsa_system_sgpr_private_segment_wavefront_offset 0
		.amdhsa_system_sgpr_workgroup_id_x 1
		.amdhsa_system_sgpr_workgroup_id_y 0
		.amdhsa_system_sgpr_workgroup_id_z 1
		.amdhsa_system_sgpr_workgroup_info 0
		.amdhsa_system_vgpr_workitem_id 1
		.amdhsa_next_free_vgpr 49
		.amdhsa_next_free_sgpr 98
		.amdhsa_reserve_vcc 1
		.amdhsa_reserve_flat_scratch 0
		.amdhsa_float_round_mode_32 0
		.amdhsa_float_round_mode_16_64 0
		.amdhsa_float_denorm_mode_32 3
		.amdhsa_float_denorm_mode_16_64 3
		.amdhsa_dx10_clamp 1
		.amdhsa_ieee_mode 1
		.amdhsa_fp16_overflow 0
		.amdhsa_exception_fp_ieee_invalid_op 0
		.amdhsa_exception_fp_denorm_src 0
		.amdhsa_exception_fp_ieee_div_zero 0
		.amdhsa_exception_fp_ieee_overflow 0
		.amdhsa_exception_fp_ieee_underflow 0
		.amdhsa_exception_fp_ieee_inexact 0
		.amdhsa_exception_int_div_zero 0
	.end_amdhsa_kernel
	.section	.text._ZL19rocblas_trsv_deviceILi64ELi16ELb1ELb1ELb1ELb0EddPKPKdPKPdEviT7_lllT6_T8_lllPii,"axG",@progbits,_ZL19rocblas_trsv_deviceILi64ELi16ELb1ELb1ELb1ELb0EddPKPKdPKPdEviT7_lllT6_T8_lllPii,comdat
.Lfunc_end144:
	.size	_ZL19rocblas_trsv_deviceILi64ELi16ELb1ELb1ELb1ELb0EddPKPKdPKPdEviT7_lllT6_T8_lllPii, .Lfunc_end144-_ZL19rocblas_trsv_deviceILi64ELi16ELb1ELb1ELb1ELb0EddPKPKdPKPdEviT7_lllT6_T8_lllPii
                                        ; -- End function
	.set _ZL19rocblas_trsv_deviceILi64ELi16ELb1ELb1ELb1ELb0EddPKPKdPKPdEviT7_lllT6_T8_lllPii.num_vgpr, 43
	.set _ZL19rocblas_trsv_deviceILi64ELi16ELb1ELb1ELb1ELb0EddPKPKdPKPdEviT7_lllT6_T8_lllPii.num_agpr, 0
	.set _ZL19rocblas_trsv_deviceILi64ELi16ELb1ELb1ELb1ELb0EddPKPKdPKPdEviT7_lllT6_T8_lllPii.numbered_sgpr, 96
	.set _ZL19rocblas_trsv_deviceILi64ELi16ELb1ELb1ELb1ELb0EddPKPKdPKPdEviT7_lllT6_T8_lllPii.num_named_barrier, 0
	.set _ZL19rocblas_trsv_deviceILi64ELi16ELb1ELb1ELb1ELb0EddPKPKdPKPdEviT7_lllT6_T8_lllPii.private_seg_size, 0
	.set _ZL19rocblas_trsv_deviceILi64ELi16ELb1ELb1ELb1ELb0EddPKPKdPKPdEviT7_lllT6_T8_lllPii.uses_vcc, 1
	.set _ZL19rocblas_trsv_deviceILi64ELi16ELb1ELb1ELb1ELb0EddPKPKdPKPdEviT7_lllT6_T8_lllPii.uses_flat_scratch, 0
	.set _ZL19rocblas_trsv_deviceILi64ELi16ELb1ELb1ELb1ELb0EddPKPKdPKPdEviT7_lllT6_T8_lllPii.has_dyn_sized_stack, 0
	.set _ZL19rocblas_trsv_deviceILi64ELi16ELb1ELb1ELb1ELb0EddPKPKdPKPdEviT7_lllT6_T8_lllPii.has_recursion, 0
	.set _ZL19rocblas_trsv_deviceILi64ELi16ELb1ELb1ELb1ELb0EddPKPKdPKPdEviT7_lllT6_T8_lllPii.has_indirect_call, 0
	.section	.AMDGPU.csdata,"",@progbits
; Kernel info:
; codeLenInByte = 38644
; TotalNumSgprs: 100
; NumVgprs: 43
; ScratchSize: 0
; MemoryBound: 0
; FloatMode: 240
; IeeeMode: 1
; LDSByteSize: 41480 bytes/workgroup (compile time only)
; SGPRBlocks: 12
; VGPRBlocks: 12
; NumSGPRsForWavesPerEU: 102
; NumVGPRsForWavesPerEU: 49
; Occupancy: 4
; WaveLimiterHint : 1
; COMPUTE_PGM_RSRC2:SCRATCH_EN: 0
; COMPUTE_PGM_RSRC2:USER_SGPR: 6
; COMPUTE_PGM_RSRC2:TRAP_HANDLER: 0
; COMPUTE_PGM_RSRC2:TGID_X_EN: 1
; COMPUTE_PGM_RSRC2:TGID_Y_EN: 0
; COMPUTE_PGM_RSRC2:TGID_Z_EN: 1
; COMPUTE_PGM_RSRC2:TIDIG_COMP_CNT: 1
	.section	.text._ZL19rocblas_trsv_deviceILi64ELi16ELb0ELb0ELb0ELb1E19rocblas_complex_numIfEPKS1_PKS3_PKPS1_EviT7_lllT6_T8_lllPii,"axG",@progbits,_ZL19rocblas_trsv_deviceILi64ELi16ELb0ELb0ELb0ELb1E19rocblas_complex_numIfEPKS1_PKS3_PKPS1_EviT7_lllT6_T8_lllPii,comdat
	.globl	_ZL19rocblas_trsv_deviceILi64ELi16ELb0ELb0ELb0ELb1E19rocblas_complex_numIfEPKS1_PKS3_PKPS1_EviT7_lllT6_T8_lllPii ; -- Begin function _ZL19rocblas_trsv_deviceILi64ELi16ELb0ELb0ELb0ELb1E19rocblas_complex_numIfEPKS1_PKS3_PKPS1_EviT7_lllT6_T8_lllPii
	.p2align	8
	.type	_ZL19rocblas_trsv_deviceILi64ELi16ELb0ELb0ELb0ELb1E19rocblas_complex_numIfEPKS1_PKS3_PKPS1_EviT7_lllT6_T8_lllPii,@function
_ZL19rocblas_trsv_deviceILi64ELi16ELb0ELb0ELb0ELb1E19rocblas_complex_numIfEPKS1_PKS3_PKPS1_EviT7_lllT6_T8_lllPii: ; @_ZL19rocblas_trsv_deviceILi64ELi16ELb0ELb0ELb0ELb1E19rocblas_complex_numIfEPKS1_PKS3_PKPS1_EviT7_lllT6_T8_lllPii
; %bb.0:
	s_load_dwordx4 s[12:15], s[4:5], 0x8
	s_add_u32 flat_scratch_lo, s6, s10
	s_addc_u32 flat_scratch_hi, s7, 0
	s_add_u32 s0, s0, s10
	s_mov_b32 s28, s9
	s_mov_b32 s29, 0
	s_addc_u32 s1, s1, 0
	s_lshl_b64 s[6:7], s[28:29], 3
	s_waitcnt lgkmcnt(0)
	s_add_u32 s10, s12, s6
	s_addc_u32 s11, s13, s7
	s_load_dwordx2 s[12:13], s[10:11], 0x0
	s_load_dword s30, s[4:5], 0x0
	s_load_dwordx8 s[20:27], s[4:5], 0x28
	s_load_dwordx2 s[34:35], s[4:5], 0x18
	s_lshl_b64 s[10:11], s[14:15], 3
	s_waitcnt lgkmcnt(0)
	s_add_u32 s95, s12, s10
	s_addc_u32 s88, s13, s11
	s_add_u32 s6, s22, s6
	s_load_dword s9, s[4:5], 0x60
	s_addc_u32 s7, s23, s7
	s_load_dwordx2 s[38:39], s[6:7], 0x0
	s_load_dwordx2 s[36:37], s[20:21], 0x0
	s_load_dword s89, s[4:5], 0x6c
	s_waitcnt lgkmcnt(0)
	s_add_i32 s9, s9, -1
	s_sub_i32 s33, s9, s8
	s_cmp_eq_u32 s8, 0
	s_cbranch_scc1 .LBB145_18
; %bb.1:
	s_lshl_b32 s10, s33, 6
	v_add3_u32 v4, v1, s10, 64
	v_ashrrev_i32_e32 v2, 31, v4
	v_mul_lo_u32 v7, s34, v2
	v_mul_lo_u32 v8, s35, v4
	v_mad_u64_u32 v[2:3], s[6:7], s34, v4, 0
	v_add_u32_e32 v5, s10, v0
	v_ashrrev_i32_e32 v6, 31, v5
	v_add3_u32 v3, v3, v7, v8
	v_lshlrev_b64 v[2:3], 3, v[2:3]
	v_mov_b32_e32 v7, s88
	v_add_co_u32_e64 v8, s[6:7], s95, v2
	v_addc_co_u32_e64 v7, s[6:7], v7, v3, s[6:7]
	v_lshlrev_b64 v[2:3], 3, v[5:6]
	v_cmp_gt_i32_e32 vcc, s30, v5
	v_add_co_u32_e64 v2, s[6:7], v8, v2
	v_addc_co_u32_e64 v3, s[6:7], v7, v3, s[6:7]
	v_max_i32_e32 v5, v5, v4
	v_cmp_le_i32_e64 s[6:7], s30, v5
	s_barrier
	s_and_saveexec_b64 s[10:11], s[6:7]
	s_xor_b64 s[6:7], exec, s[10:11]
	s_cbranch_execz .LBB145_3
; %bb.2:
	v_mov_b32_e32 v5, 0
	buffer_store_dword v5, off, s[0:3], 0
	buffer_store_dword v5, off, s[0:3], 0 offset:4
.LBB145_3:
	s_andn2_saveexec_b64 s[6:7], s[6:7]
	s_cbranch_execz .LBB145_5
; %bb.4:
	flat_load_dwordx2 v[5:6], v[2:3]
	s_waitcnt vmcnt(0) lgkmcnt(0)
	buffer_store_dword v6, off, s[0:3], 0 offset:4
	buffer_store_dword v5, off, s[0:3], 0
.LBB145_5:
	s_or_b64 exec, exec, s[6:7]
	v_add_u32_e32 v5, 16, v4
	v_cmp_le_i32_e64 s[6:7], s30, v5
	s_xor_b64 s[10:11], vcc, -1
	s_or_b64 s[6:7], s[10:11], s[6:7]
	s_waitcnt vmcnt(0)
	s_barrier
	s_and_saveexec_b64 s[12:13], s[6:7]
	s_xor_b64 s[6:7], exec, s[12:13]
	s_cbranch_execz .LBB145_7
; %bb.6:
	v_mov_b32_e32 v5, 0
	buffer_store_dword v5, off, s[0:3], 0 offset:8
	buffer_store_dword v5, off, s[0:3], 0 offset:12
.LBB145_7:
	s_andn2_saveexec_b64 s[6:7], s[6:7]
	s_cbranch_execz .LBB145_9
; %bb.8:
	s_lshl_b64 s[12:13], s[34:35], 7
	v_mov_b32_e32 v6, s13
	v_add_co_u32_e32 v5, vcc, s12, v2
	v_addc_co_u32_e32 v6, vcc, v3, v6, vcc
	flat_load_dwordx2 v[5:6], v[5:6]
	s_waitcnt vmcnt(0) lgkmcnt(0)
	buffer_store_dword v6, off, s[0:3], 0 offset:12
	buffer_store_dword v5, off, s[0:3], 0 offset:8
.LBB145_9:
	s_or_b64 exec, exec, s[6:7]
	v_add_u32_e32 v5, 32, v4
	v_cmp_le_i32_e32 vcc, s30, v5
	s_or_b64 s[6:7], s[10:11], vcc
	s_waitcnt vmcnt(0)
	s_barrier
	s_and_saveexec_b64 s[12:13], s[6:7]
	s_xor_b64 s[6:7], exec, s[12:13]
	s_cbranch_execz .LBB145_11
; %bb.10:
	v_mov_b32_e32 v5, 0
	buffer_store_dword v5, off, s[0:3], 0 offset:16
	buffer_store_dword v5, off, s[0:3], 0 offset:20
.LBB145_11:
	s_andn2_saveexec_b64 s[6:7], s[6:7]
	s_cbranch_execz .LBB145_13
; %bb.12:
	s_lshl_b64 s[12:13], s[34:35], 8
	v_mov_b32_e32 v6, s13
	v_add_co_u32_e32 v5, vcc, s12, v2
	v_addc_co_u32_e32 v6, vcc, v3, v6, vcc
	flat_load_dwordx2 v[5:6], v[5:6]
	s_waitcnt vmcnt(0) lgkmcnt(0)
	buffer_store_dword v6, off, s[0:3], 0 offset:20
	buffer_store_dword v5, off, s[0:3], 0 offset:16
.LBB145_13:
	s_or_b64 exec, exec, s[6:7]
	v_add_u32_e32 v4, 48, v4
	v_cmp_le_i32_e32 vcc, s30, v4
	s_or_b64 s[6:7], s[10:11], vcc
	s_waitcnt vmcnt(0)
	s_barrier
	s_and_saveexec_b64 s[10:11], s[6:7]
	s_xor_b64 s[6:7], exec, s[10:11]
	s_cbranch_execz .LBB145_15
; %bb.14:
	v_mov_b32_e32 v2, 0
	buffer_store_dword v2, off, s[0:3], 0 offset:24
	buffer_store_dword v2, off, s[0:3], 0 offset:28
                                        ; implicit-def: $vgpr2_vgpr3
.LBB145_15:
	s_andn2_saveexec_b64 s[6:7], s[6:7]
	s_cbranch_execz .LBB145_17
; %bb.16:
	v_mov_b32_e32 v4, 0x180
	v_mad_u64_u32 v[2:3], s[10:11], s34, v4, v[2:3]
	s_mul_i32 s10, s35, 0x180
	v_add_u32_e32 v3, s10, v3
	flat_load_dwordx2 v[2:3], v[2:3]
	s_waitcnt vmcnt(0) lgkmcnt(0)
	buffer_store_dword v3, off, s[0:3], 0 offset:28
	buffer_store_dword v2, off, s[0:3], 0 offset:24
.LBB145_17:
	s_or_b64 exec, exec, s[6:7]
.LBB145_18:
	s_ashr_i32 s31, s30, 31
	s_lshr_b32 s6, s31, 26
	s_add_i32 s6, s30, s6
	s_andn2_b32 s6, s6, 63
	s_sub_i32 s94, s30, s6
	s_add_i32 s6, s30, -1
	s_ashr_i32 s7, s6, 31
	s_lshr_b32 s7, s7, 26
	s_add_i32 s6, s6, s7
	s_ashr_i32 s6, s6, 6
	s_cmp_eq_u32 s6, s33
	s_cselect_b64 s[6:7], -1, 0
	s_cmp_lg_u32 s94, 0
	s_cselect_b64 s[10:11], -1, 0
	s_and_b64 s[22:23], s[10:11], s[6:7]
	s_mov_b64 s[10:11], -1
	s_and_b64 vcc, exec, s[22:23]
	v_cmp_le_u32_e64 s[6:7], v1, v0
	v_lshl_add_u32 v7, v1, 6, v0
	s_cbranch_vccnz .LBB145_44
; %bb.19:
	s_add_u32 s10, s34, 1
	s_addc_u32 s11, s35, 0
	s_lshl_b32 s12, s33, 6
	s_ashr_i32 s13, s12, 31
	s_mul_hi_u32 s14, s10, s12
	s_mul_i32 s13, s10, s13
	s_add_i32 s13, s14, s13
	s_mul_i32 s11, s11, s12
	s_add_i32 s11, s13, s11
	s_mul_i32 s10, s10, s12
	s_lshl_b64 s[10:11], s[10:11], 3
	s_add_u32 s10, s95, s10
	s_addc_u32 s11, s88, s11
	v_lshlrev_b32_e32 v2, 3, v0
	v_mov_b32_e32 v3, s11
	v_add_co_u32_e32 v2, vcc, s10, v2
	v_addc_co_u32_e32 v3, vcc, 0, v3, vcc
	s_and_saveexec_b64 s[10:11], s[6:7]
	s_xor_b64 s[6:7], exec, s[10:11]
	s_cbranch_execz .LBB145_23
; %bb.20:
	v_or_b32_e32 v4, v1, v0
	v_cmp_gt_u32_e32 vcc, 64, v4
	s_and_saveexec_b64 s[10:11], vcc
; %bb.21:
	v_mov_b32_e32 v4, 0
	v_lshlrev_b32_e32 v6, 3, v7
	v_mov_b32_e32 v5, v4
	ds_write_b64 v6, v[4:5]
; %bb.22:
	s_or_b64 exec, exec, s[10:11]
.LBB145_23:
	s_andn2_saveexec_b64 s[6:7], s[6:7]
	s_cbranch_execz .LBB145_25
; %bb.24:
	v_mad_u64_u32 v[4:5], s[10:11], s34, v1, 0
	v_mad_u64_u32 v[5:6], s[10:11], s35, v1, v[5:6]
	v_lshlrev_b32_e32 v6, 3, v7
	v_lshlrev_b64 v[4:5], 3, v[4:5]
	v_add_co_u32_e32 v4, vcc, v2, v4
	v_addc_co_u32_e32 v5, vcc, v3, v5, vcc
	flat_load_dwordx2 v[4:5], v[4:5]
	s_waitcnt vmcnt(0) lgkmcnt(0)
	v_xor_b32_e32 v4, 0x80000000, v4
	v_xor_b32_e32 v5, 0x80000000, v5
	ds_write_b64 v6, v[4:5]
.LBB145_25:
	s_or_b64 exec, exec, s[6:7]
	v_add_u32_e32 v5, 16, v1
	v_lshl_add_u32 v4, v5, 6, v0
	v_cmp_le_u32_e32 vcc, v5, v0
	s_and_saveexec_b64 s[6:7], vcc
	s_xor_b64 s[6:7], exec, s[6:7]
	s_cbranch_execz .LBB145_29
; %bb.26:
	v_or_b32_e32 v5, v5, v0
	v_cmp_gt_u32_e32 vcc, 64, v5
	s_and_saveexec_b64 s[10:11], vcc
; %bb.27:
	v_lshlrev_b32_e32 v6, 3, v4
	v_mov_b32_e32 v4, 0
	v_mov_b32_e32 v5, v4
	ds_write_b64 v6, v[4:5]
; %bb.28:
	s_or_b64 exec, exec, s[10:11]
                                        ; implicit-def: $vgpr5
                                        ; implicit-def: $vgpr4
.LBB145_29:
	s_andn2_saveexec_b64 s[6:7], s[6:7]
	s_cbranch_execz .LBB145_31
; %bb.30:
	v_mad_u64_u32 v[8:9], s[10:11], s34, v5, 0
	v_lshlrev_b32_e32 v4, 3, v4
	v_mov_b32_e32 v6, v9
	v_mad_u64_u32 v[5:6], s[10:11], s35, v5, v[6:7]
	v_mov_b32_e32 v9, v5
	v_lshlrev_b64 v[5:6], 3, v[8:9]
	v_add_co_u32_e32 v5, vcc, v2, v5
	v_addc_co_u32_e32 v6, vcc, v3, v6, vcc
	flat_load_dwordx2 v[5:6], v[5:6]
	s_waitcnt vmcnt(0) lgkmcnt(0)
	v_xor_b32_e32 v5, 0x80000000, v5
	v_xor_b32_e32 v6, 0x80000000, v6
	ds_write_b64 v4, v[5:6]
.LBB145_31:
	s_or_b64 exec, exec, s[6:7]
	v_add_u32_e32 v5, 32, v1
	v_lshl_add_u32 v4, v5, 6, v0
	v_cmp_le_u32_e32 vcc, v5, v0
	s_and_saveexec_b64 s[6:7], vcc
	s_xor_b64 s[6:7], exec, s[6:7]
	s_cbranch_execz .LBB145_35
; %bb.32:
	v_or_b32_e32 v5, v5, v0
	v_cmp_gt_u32_e32 vcc, 64, v5
	s_and_saveexec_b64 s[10:11], vcc
; %bb.33:
	v_lshlrev_b32_e32 v6, 3, v4
	v_mov_b32_e32 v4, 0
	v_mov_b32_e32 v5, v4
	ds_write_b64 v6, v[4:5]
; %bb.34:
	s_or_b64 exec, exec, s[10:11]
                                        ; implicit-def: $vgpr5
                                        ; implicit-def: $vgpr4
.LBB145_35:
	s_andn2_saveexec_b64 s[6:7], s[6:7]
	s_cbranch_execz .LBB145_37
; %bb.36:
	v_mad_u64_u32 v[8:9], s[10:11], s34, v5, 0
	v_lshlrev_b32_e32 v4, 3, v4
	v_mov_b32_e32 v6, v9
	v_mad_u64_u32 v[5:6], s[10:11], s35, v5, v[6:7]
	v_mov_b32_e32 v9, v5
	v_lshlrev_b64 v[5:6], 3, v[8:9]
	v_add_co_u32_e32 v5, vcc, v2, v5
	v_addc_co_u32_e32 v6, vcc, v3, v6, vcc
	flat_load_dwordx2 v[5:6], v[5:6]
	s_waitcnt vmcnt(0) lgkmcnt(0)
	v_xor_b32_e32 v5, 0x80000000, v5
	v_xor_b32_e32 v6, 0x80000000, v6
	ds_write_b64 v4, v[5:6]
.LBB145_37:
	s_or_b64 exec, exec, s[6:7]
	v_add_u32_e32 v5, 48, v1
	v_lshl_add_u32 v4, v5, 6, v0
	v_cmp_le_u32_e32 vcc, v5, v0
	s_and_saveexec_b64 s[6:7], vcc
	s_xor_b64 s[6:7], exec, s[6:7]
	s_cbranch_execz .LBB145_41
; %bb.38:
	v_or_b32_e32 v2, v5, v0
	v_cmp_gt_u32_e32 vcc, 64, v2
	s_and_saveexec_b64 s[10:11], vcc
; %bb.39:
	v_mov_b32_e32 v2, 0
	v_lshlrev_b32_e32 v4, 3, v4
	v_mov_b32_e32 v3, v2
	ds_write_b64 v4, v[2:3]
; %bb.40:
	s_or_b64 exec, exec, s[10:11]
                                        ; implicit-def: $vgpr5
                                        ; implicit-def: $vgpr2
                                        ; implicit-def: $vgpr3
                                        ; implicit-def: $vgpr4
.LBB145_41:
	s_andn2_saveexec_b64 s[6:7], s[6:7]
	s_cbranch_execz .LBB145_43
; %bb.42:
	v_mad_u64_u32 v[8:9], s[10:11], s34, v5, 0
	v_lshlrev_b32_e32 v4, 3, v4
	v_mov_b32_e32 v6, v9
	v_mad_u64_u32 v[5:6], s[10:11], s35, v5, v[6:7]
	v_mov_b32_e32 v9, v5
	v_lshlrev_b64 v[5:6], 3, v[8:9]
	v_add_co_u32_e32 v2, vcc, v2, v5
	v_addc_co_u32_e32 v3, vcc, v3, v6, vcc
	flat_load_dwordx2 v[2:3], v[2:3]
	s_waitcnt vmcnt(0) lgkmcnt(0)
	v_xor_b32_e32 v2, 0x80000000, v2
	v_xor_b32_e32 v3, 0x80000000, v3
	ds_write_b64 v4, v[2:3]
.LBB145_43:
	s_or_b64 exec, exec, s[6:7]
	s_mov_b64 s[10:11], 0
.LBB145_44:
	s_and_b64 vcc, exec, s[10:11]
	s_cbranch_vccz .LBB145_70
; %bb.45:
	s_add_u32 s6, s34, 1
	s_addc_u32 s7, s35, 0
	s_lshl_b32 s10, s33, 6
	s_ashr_i32 s11, s10, 31
	s_mul_hi_u32 s12, s6, s10
	s_mul_i32 s11, s6, s11
	s_add_i32 s11, s12, s11
	s_mul_i32 s7, s7, s10
	s_add_i32 s7, s11, s7
	s_mul_i32 s6, s6, s10
	s_lshl_b64 s[6:7], s[6:7], 3
	s_add_u32 s6, s95, s6
	s_addc_u32 s7, s88, s7
	v_lshlrev_b32_e32 v2, 3, v0
	v_mov_b32_e32 v3, s7
	v_add_co_u32_e64 v2, s[6:7], s6, v2
	v_addc_co_u32_e64 v3, s[6:7], 0, v3, s[6:7]
	v_max_i32_e32 v4, v1, v0
	v_cmp_le_u32_e64 s[6:7], v1, v0
	v_cmp_le_i32_e64 s[10:11], s94, v4
	v_cmp_gt_i32_e32 vcc, s94, v0
	s_or_b64 s[6:7], s[10:11], s[6:7]
	s_and_saveexec_b64 s[10:11], s[6:7]
	s_xor_b64 s[10:11], exec, s[10:11]
	s_cbranch_execz .LBB145_49
; %bb.46:
	v_or_b32_e32 v4, v1, v0
	v_cmp_gt_u32_e64 s[6:7], 64, v4
	s_and_saveexec_b64 s[12:13], s[6:7]
; %bb.47:
	v_mov_b32_e32 v4, 0
	v_lshlrev_b32_e32 v6, 3, v7
	v_mov_b32_e32 v5, v4
	ds_write_b64 v6, v[4:5]
; %bb.48:
	s_or_b64 exec, exec, s[12:13]
.LBB145_49:
	s_andn2_saveexec_b64 s[10:11], s[10:11]
	s_cbranch_execz .LBB145_51
; %bb.50:
	v_mad_u64_u32 v[4:5], s[6:7], s34, v1, 0
	v_mad_u64_u32 v[5:6], s[6:7], s35, v1, v[5:6]
	v_lshlrev_b32_e32 v6, 3, v7
	v_lshlrev_b64 v[4:5], 3, v[4:5]
	v_add_co_u32_e64 v4, s[6:7], v2, v4
	v_addc_co_u32_e64 v5, s[6:7], v3, v5, s[6:7]
	flat_load_dwordx2 v[4:5], v[4:5]
	s_waitcnt vmcnt(0) lgkmcnt(0)
	v_xor_b32_e32 v4, 0x80000000, v4
	v_xor_b32_e32 v5, 0x80000000, v5
	ds_write_b64 v6, v[4:5]
.LBB145_51:
	s_or_b64 exec, exec, s[10:11]
	v_add_u32_e32 v5, 16, v1
	v_cmp_gt_u32_e64 s[6:7], v5, v0
	v_cmp_gt_i32_e64 s[10:11], s94, v5
	s_and_b64 s[6:7], s[6:7], s[10:11]
	s_and_b64 s[6:7], s[6:7], vcc
	v_lshl_add_u32 v4, v5, 6, v0
	s_xor_b64 s[6:7], s[6:7], -1
	s_and_saveexec_b64 s[10:11], s[6:7]
	s_xor_b64 s[10:11], exec, s[10:11]
	s_cbranch_execz .LBB145_55
; %bb.52:
	v_or_b32_e32 v5, v5, v0
	v_cmp_gt_u32_e64 s[6:7], 64, v5
	s_and_saveexec_b64 s[12:13], s[6:7]
; %bb.53:
	v_lshlrev_b32_e32 v6, 3, v4
	v_mov_b32_e32 v4, 0
	v_mov_b32_e32 v5, v4
	ds_write_b64 v6, v[4:5]
; %bb.54:
	s_or_b64 exec, exec, s[12:13]
                                        ; implicit-def: $vgpr5
                                        ; implicit-def: $vgpr4
.LBB145_55:
	s_andn2_saveexec_b64 s[10:11], s[10:11]
	s_cbranch_execz .LBB145_57
; %bb.56:
	v_mad_u64_u32 v[8:9], s[6:7], s34, v5, 0
	v_lshlrev_b32_e32 v4, 3, v4
	v_mov_b32_e32 v6, v9
	v_mad_u64_u32 v[5:6], s[6:7], s35, v5, v[6:7]
	v_mov_b32_e32 v9, v5
	v_lshlrev_b64 v[5:6], 3, v[8:9]
	v_add_co_u32_e64 v5, s[6:7], v2, v5
	v_addc_co_u32_e64 v6, s[6:7], v3, v6, s[6:7]
	flat_load_dwordx2 v[5:6], v[5:6]
	s_waitcnt vmcnt(0) lgkmcnt(0)
	v_xor_b32_e32 v5, 0x80000000, v5
	v_xor_b32_e32 v6, 0x80000000, v6
	ds_write_b64 v4, v[5:6]
.LBB145_57:
	s_or_b64 exec, exec, s[10:11]
	v_add_u32_e32 v5, 32, v1
	v_cmp_gt_u32_e64 s[6:7], v5, v0
	v_cmp_gt_i32_e64 s[10:11], s94, v5
	s_and_b64 s[6:7], s[6:7], s[10:11]
	s_and_b64 s[6:7], s[6:7], vcc
	v_lshl_add_u32 v4, v5, 6, v0
	s_xor_b64 s[6:7], s[6:7], -1
	s_and_saveexec_b64 s[10:11], s[6:7]
	s_xor_b64 s[10:11], exec, s[10:11]
	s_cbranch_execz .LBB145_61
; %bb.58:
	v_or_b32_e32 v5, v5, v0
	v_cmp_gt_u32_e64 s[6:7], 64, v5
	s_and_saveexec_b64 s[12:13], s[6:7]
; %bb.59:
	v_lshlrev_b32_e32 v6, 3, v4
	v_mov_b32_e32 v4, 0
	v_mov_b32_e32 v5, v4
	ds_write_b64 v6, v[4:5]
; %bb.60:
	s_or_b64 exec, exec, s[12:13]
                                        ; implicit-def: $vgpr5
                                        ; implicit-def: $vgpr4
.LBB145_61:
	s_andn2_saveexec_b64 s[10:11], s[10:11]
	s_cbranch_execz .LBB145_63
; %bb.62:
	v_mad_u64_u32 v[8:9], s[6:7], s34, v5, 0
	v_lshlrev_b32_e32 v4, 3, v4
	v_mov_b32_e32 v6, v9
	v_mad_u64_u32 v[5:6], s[6:7], s35, v5, v[6:7]
	v_mov_b32_e32 v9, v5
	v_lshlrev_b64 v[5:6], 3, v[8:9]
	v_add_co_u32_e64 v5, s[6:7], v2, v5
	v_addc_co_u32_e64 v6, s[6:7], v3, v6, s[6:7]
	flat_load_dwordx2 v[5:6], v[5:6]
	s_waitcnt vmcnt(0) lgkmcnt(0)
	v_xor_b32_e32 v5, 0x80000000, v5
	v_xor_b32_e32 v6, 0x80000000, v6
	ds_write_b64 v4, v[5:6]
.LBB145_63:
	s_or_b64 exec, exec, s[10:11]
	v_add_u32_e32 v5, 48, v1
	v_cmp_gt_u32_e64 s[6:7], v5, v0
	v_cmp_gt_i32_e64 s[10:11], s94, v5
	s_and_b64 s[6:7], s[6:7], s[10:11]
	s_and_b64 s[6:7], s[6:7], vcc
	v_lshl_add_u32 v4, v5, 6, v0
	s_xor_b64 s[6:7], s[6:7], -1
	s_and_saveexec_b64 s[10:11], s[6:7]
	s_xor_b64 s[6:7], exec, s[10:11]
	s_cbranch_execz .LBB145_67
; %bb.64:
	v_or_b32_e32 v2, v5, v0
	v_cmp_gt_u32_e32 vcc, 64, v2
	s_and_saveexec_b64 s[10:11], vcc
; %bb.65:
	v_mov_b32_e32 v2, 0
	v_lshlrev_b32_e32 v4, 3, v4
	v_mov_b32_e32 v3, v2
	ds_write_b64 v4, v[2:3]
; %bb.66:
	s_or_b64 exec, exec, s[10:11]
                                        ; implicit-def: $vgpr5
                                        ; implicit-def: $vgpr2
                                        ; implicit-def: $vgpr3
                                        ; implicit-def: $vgpr4
.LBB145_67:
	s_andn2_saveexec_b64 s[6:7], s[6:7]
	s_cbranch_execz .LBB145_69
; %bb.68:
	v_mad_u64_u32 v[8:9], s[10:11], s34, v5, 0
	v_lshlrev_b32_e32 v4, 3, v4
	v_mov_b32_e32 v6, v9
	v_mad_u64_u32 v[5:6], s[10:11], s35, v5, v[6:7]
	v_mov_b32_e32 v9, v5
	v_lshlrev_b64 v[5:6], 3, v[8:9]
	v_add_co_u32_e32 v2, vcc, v2, v5
	v_addc_co_u32_e32 v3, vcc, v3, v6, vcc
	flat_load_dwordx2 v[2:3], v[2:3]
	s_waitcnt vmcnt(0) lgkmcnt(0)
	v_xor_b32_e32 v2, 0x80000000, v2
	v_xor_b32_e32 v3, 0x80000000, v3
	ds_write_b64 v4, v[2:3]
.LBB145_69:
	s_or_b64 exec, exec, s[6:7]
.LBB145_70:
	s_cmp_lt_i32 s8, 5
	s_cselect_b64 s[6:7], -1, 0
	s_or_b64 s[40:41], s[6:7], s[22:23]
	s_and_b64 vcc, exec, s[40:41]
	s_waitcnt vmcnt(0) lgkmcnt(0)
	s_barrier
	s_cbranch_vccnz .LBB145_930
; %bb.71:
	v_or_b32_e32 v2, v0, v1
	s_mov_b32 s11, 0
	v_cmp_eq_u32_e32 vcc, 0, v2
	s_and_saveexec_b64 s[6:7], vcc
	s_cbranch_execz .LBB145_73
; %bb.72:
	s_mov_b32 s10, 1.0
	v_mov_b32_e32 v2, s10
	v_mov_b32_e32 v3, s11
	s_movk_i32 s10, 0x7800
	v_add_u32_e64 v4, s10, 0
	ds_write2_b64 v4, v[2:3], v[2:3] offset0:190 offset1:255
.LBB145_73:
	s_or_b64 exec, exec, s[6:7]
	v_lshlrev_b32_e32 v2, 6, v1
	v_add_u32_e32 v8, v2, v0
	v_and_b32_e32 v3, v2, v0
	v_xor_b32_e32 v2, v2, v0
	v_lshrrev_b16_e32 v2, 1, v2
	v_add_u16_e32 v6, v3, v2
	v_and_b32_e32 v4, 1, v0
	v_sub_u32_e32 v5, 1, v6
	v_cmp_lt_u32_e64 s[10:11], 3, v8
	v_cmp_gt_u32_e64 s[6:7], 4, v8
	v_mov_b32_e32 v2, 0
	v_mov_b32_e32 v3, 0
	s_waitcnt lgkmcnt(0)
	s_barrier
	buffer_wbinvl1_vol
	s_and_saveexec_b64 s[14:15], s[6:7]
	s_cbranch_execz .LBB145_77
; %bb.74:
	v_lshlrev_b32_e32 v2, 3, v4
	v_lshlrev_b32_e32 v9, 9, v5
	ds_read_b64 v[2:3], v2 offset:32224
	ds_read_b64 v[9:10], v9 offset:32240
	v_cmp_gt_u32_e64 s[12:13], 2, v8
	s_waitcnt lgkmcnt(0)
	v_mul_f32_e32 v11, v10, v3
	v_mul_f32_e32 v3, v9, v3
	v_fma_f32 v9, v9, v2, -v11
	v_fmac_f32_e32 v3, v10, v2
	v_add_f32_e32 v2, 0, v9
	v_add_f32_e32 v3, 0, v3
	s_and_saveexec_b64 s[16:17], s[12:13]
	s_cbranch_execz .LBB145_76
; %bb.75:
	v_lshlrev_b32_e32 v9, 3, v0
	v_mov_b32_e32 v11, 0
	ds_read_b64 v[9:10], v9 offset:32736
	ds_read_b64 v[11:12], v11 offset:32760
	s_waitcnt lgkmcnt(0)
	v_mul_f32_e32 v13, v12, v10
	v_mul_f32_e32 v10, v11, v10
	v_fma_f32 v11, v11, v9, -v13
	v_fmac_f32_e32 v10, v12, v9
	v_add_f32_e32 v2, v2, v11
	v_add_f32_e32 v3, v3, v10
.LBB145_76:
	s_or_b64 exec, exec, s[16:17]
.LBB145_77:
	s_or_b64 exec, exec, s[14:15]
	v_mov_b32_e32 v9, 0x8000
	v_cmp_ne_u32_e64 s[12:13], 0, v4
	s_xor_b64 s[14:15], s[10:11], -1
	v_lshl_add_u32 v6, v6, 3, v9
	s_and_b64 s[44:45], s[12:13], s[14:15]
	s_and_saveexec_b64 s[10:11], s[44:45]
; %bb.78:
	v_xor_b32_e32 v10, 0x80000000, v3
	v_xor_b32_e32 v9, 0x80000000, v2
	ds_write_b64 v6, v[9:10]
; %bb.79:
	s_or_b64 exec, exec, s[10:11]
	v_cmp_eq_u32_e64 s[10:11], 0, v4
	s_and_b64 s[42:43], s[10:11], s[14:15]
	s_waitcnt lgkmcnt(0)
	s_barrier
	s_and_saveexec_b64 s[10:11], s[42:43]
	s_cbranch_execz .LBB145_81
; %bb.80:
	v_mov_b32_e32 v9, 0
	ds_read_b64 v[9:10], v9 offset:31712
	ds_read_b64 v[11:12], v6
	s_waitcnt lgkmcnt(0)
	v_mul_f32_e32 v13, v11, v9
	v_mul_f32_e32 v11, v11, v10
	v_fmac_f32_e32 v11, v12, v9
	v_fma_f32 v9, v12, v10, -v13
	v_add_f32_e32 v2, v2, v9
	v_sub_f32_e32 v3, v3, v11
.LBB145_81:
	s_or_b64 exec, exec, s[10:11]
	s_barrier
	s_and_saveexec_b64 s[10:11], s[42:43]
; %bb.82:
	v_xor_b32_e32 v10, 0x80000000, v3
	v_xor_b32_e32 v9, 0x80000000, v2
	ds_write_b64 v6, v[9:10]
; %bb.83:
	s_or_b64 exec, exec, s[10:11]
	s_waitcnt lgkmcnt(0)
	s_barrier
	s_barrier
	s_and_saveexec_b64 s[10:11], s[6:7]
; %bb.84:
	v_lshlrev_b32_e32 v9, 3, v4
	v_lshl_or_b32 v9, v5, 9, v9
	ds_write_b64 v9, v[2:3] offset:32224
; %bb.85:
	s_or_b64 exec, exec, s[10:11]
	s_waitcnt lgkmcnt(0)
	s_barrier
	s_barrier
	s_and_saveexec_b64 s[10:11], vcc
	s_cbranch_execz .LBB145_87
; %bb.86:
	s_mov_b64 s[12:13], 0x3f800000
	v_mov_b32_e32 v2, s12
	v_mov_b32_e32 v3, s13
	s_movk_i32 s12, 0x7800
	v_add_u32_e64 v9, s12, 0
	ds_write2_b64 v9, v[2:3], v[2:3] offset0:60 offset1:125
.LBB145_87:
	s_or_b64 exec, exec, s[10:11]
	v_lshrrev_b32_e32 v11, 2, v8
	v_and_b32_e32 v9, 3, v0
	v_sub_u32_e32 v10, 3, v11
	v_cmp_lt_u32_e64 s[10:11], 15, v8
	v_cmp_gt_u32_e64 s[18:19], 16, v8
	v_mov_b32_e32 v3, 0
	v_mov_b32_e32 v2, 0
	s_waitcnt lgkmcnt(0)
	s_barrier
	buffer_wbinvl1_vol
	s_and_saveexec_b64 s[14:15], s[18:19]
	s_cbranch_execz .LBB145_93
; %bb.88:
	v_lshlrev_b32_e32 v12, 3, v9
	v_lshlrev_b32_e32 v13, 9, v10
	ds_read_b64 v[2:3], v12 offset:31168
	ds_read_b64 v[14:15], v13 offset:31200
	v_cmp_gt_u32_e64 s[12:13], 12, v8
	s_waitcnt lgkmcnt(0)
	v_mul_f32_e32 v16, v15, v3
	v_mul_f32_e32 v3, v14, v3
	v_fma_f32 v14, v14, v2, -v16
	v_fmac_f32_e32 v3, v15, v2
	v_add_f32_e32 v2, 0, v14
	v_add_f32_e32 v3, 0, v3
	s_and_saveexec_b64 s[16:17], s[12:13]
	s_cbranch_execnz .LBB145_988
; %bb.89:
	s_or_b64 exec, exec, s[16:17]
	v_cmp_gt_u32_e64 s[12:13], 8, v8
	s_and_saveexec_b64 s[16:17], s[12:13]
	s_cbranch_execnz .LBB145_989
.LBB145_90:
	s_or_b64 exec, exec, s[16:17]
	v_cmp_gt_u32_e64 s[12:13], 4, v8
	s_and_saveexec_b64 s[16:17], s[12:13]
	s_cbranch_execz .LBB145_92
.LBB145_91:
	v_lshlrev_b32_e32 v12, 3, v0
	v_mov_b32_e32 v14, 0
	ds_read_b64 v[12:13], v12 offset:32704
	ds_read_b64 v[14:15], v14 offset:32760
	s_waitcnt lgkmcnt(0)
	v_mul_f32_e32 v16, v15, v13
	v_mul_f32_e32 v13, v14, v13
	v_fma_f32 v14, v14, v12, -v16
	v_fmac_f32_e32 v13, v15, v12
	v_add_f32_e32 v2, v2, v14
	v_add_f32_e32 v3, v3, v13
.LBB145_92:
	s_or_b64 exec, exec, s[16:17]
.LBB145_93:
	s_or_b64 exec, exec, s[14:15]
	v_mov_b32_e32 v12, 0x8000
	v_cmp_eq_u32_e64 s[12:13], 3, v9
	s_xor_b64 s[14:15], s[10:11], -1
	v_lshl_add_u32 v11, v11, 3, v12
	s_and_b64 s[48:49], s[12:13], s[14:15]
	s_and_saveexec_b64 s[10:11], s[48:49]
; %bb.94:
	v_xor_b32_e32 v12, 0x80000000, v2
	v_xor_b32_e32 v13, 0x80000000, v3
	ds_write_b64 v11, v[12:13]
; %bb.95:
	s_or_b64 exec, exec, s[10:11]
	v_cmp_ne_u32_e64 s[10:11], 3, v9
	s_and_b64 s[50:51], s[10:11], s[14:15]
	s_waitcnt lgkmcnt(0)
	s_barrier
	s_and_saveexec_b64 s[10:11], s[50:51]
	s_cbranch_execz .LBB145_97
; %bb.96:
	v_lshlrev_b32_e32 v12, 3, v9
	ds_read_b64 v[12:13], v12 offset:30656
	ds_read_b64 v[14:15], v11
	s_waitcnt lgkmcnt(0)
	v_mul_f32_e32 v16, v15, v13
	v_mul_f32_e32 v13, v14, v13
	v_fma_f32 v14, v14, v12, -v16
	v_fmac_f32_e32 v13, v15, v12
	v_sub_f32_e32 v2, v2, v14
	v_sub_f32_e32 v3, v3, v13
.LBB145_97:
	s_or_b64 exec, exec, s[10:11]
	v_cmp_eq_u32_e64 s[10:11], 2, v9
	s_and_b64 s[52:53], s[10:11], s[14:15]
	s_barrier
	s_and_saveexec_b64 s[10:11], s[52:53]
; %bb.98:
	v_xor_b32_e32 v12, 0x80000000, v2
	v_xor_b32_e32 v13, 0x80000000, v3
	ds_write_b64 v11, v[12:13]
; %bb.99:
	s_or_b64 exec, exec, s[10:11]
	v_cmp_gt_u32_e64 s[10:11], 2, v9
	s_and_b64 s[54:55], s[10:11], s[14:15]
	s_waitcnt lgkmcnt(0)
	s_barrier
	s_and_saveexec_b64 s[10:11], s[54:55]
	s_cbranch_execz .LBB145_101
; %bb.100:
	v_lshlrev_b32_e32 v12, 3, v9
	ds_read_b64 v[12:13], v12 offset:30144
	ds_read_b64 v[14:15], v11
	s_waitcnt lgkmcnt(0)
	v_mul_f32_e32 v16, v15, v13
	v_mul_f32_e32 v13, v14, v13
	v_fma_f32 v14, v14, v12, -v16
	v_fmac_f32_e32 v13, v15, v12
	v_sub_f32_e32 v2, v2, v14
	v_sub_f32_e32 v3, v3, v13
.LBB145_101:
	s_or_b64 exec, exec, s[10:11]
	v_cmp_eq_u32_e64 s[10:11], 1, v9
	s_and_b64 s[56:57], s[10:11], s[14:15]
	s_barrier
	s_and_saveexec_b64 s[10:11], s[56:57]
; %bb.102:
	v_xor_b32_e32 v12, 0x80000000, v2
	v_xor_b32_e32 v13, 0x80000000, v3
	ds_write_b64 v11, v[12:13]
; %bb.103:
	s_or_b64 exec, exec, s[10:11]
	v_cmp_eq_u32_e64 s[10:11], 0, v9
	s_and_b64 s[46:47], s[10:11], s[14:15]
	s_waitcnt lgkmcnt(0)
	s_barrier
	s_and_saveexec_b64 s[10:11], s[46:47]
	s_cbranch_execz .LBB145_105
; %bb.104:
	v_mov_b32_e32 v12, 0
	ds_read_b64 v[12:13], v12 offset:29632
	ds_read_b64 v[14:15], v11
	s_waitcnt lgkmcnt(0)
	v_mul_f32_e32 v16, v15, v13
	v_mul_f32_e32 v13, v14, v13
	v_fma_f32 v14, v14, v12, -v16
	v_fmac_f32_e32 v13, v15, v12
	v_sub_f32_e32 v2, v2, v14
	v_sub_f32_e32 v3, v3, v13
.LBB145_105:
	s_or_b64 exec, exec, s[10:11]
	s_barrier
	s_and_saveexec_b64 s[10:11], s[46:47]
; %bb.106:
	v_xor_b32_e32 v12, 0x80000000, v2
	v_xor_b32_e32 v13, 0x80000000, v3
	ds_write_b64 v11, v[12:13]
; %bb.107:
	s_or_b64 exec, exec, s[10:11]
	s_waitcnt lgkmcnt(0)
	s_barrier
	s_barrier
	s_and_saveexec_b64 s[10:11], s[18:19]
; %bb.108:
	v_lshlrev_b32_e32 v12, 3, v9
	v_lshl_or_b32 v12, v10, 9, v12
	ds_write_b64 v12, v[2:3] offset:31168
; %bb.109:
	s_or_b64 exec, exec, s[10:11]
	s_waitcnt lgkmcnt(0)
	s_barrier
	s_barrier
	s_and_saveexec_b64 s[10:11], vcc
	s_cbranch_execz .LBB145_111
; %bb.110:
	s_mov_b64 s[12:13], 0x3f800000
	v_mov_b32_e32 v2, s12
	v_mov_b32_e32 v3, s13
	s_movk_i32 s12, 0x7000
	v_add_u32_e64 v12, s12, 0
	ds_write2_b64 v12, v[2:3], v[2:3] offset0:186 offset1:251
.LBB145_111:
	s_or_b64 exec, exec, s[10:11]
	v_mov_b32_e32 v2, 0
	v_mov_b32_e32 v3, 0
	s_waitcnt lgkmcnt(0)
	s_barrier
	buffer_wbinvl1_vol
	s_and_saveexec_b64 s[12:13], s[6:7]
	s_cbranch_execz .LBB145_115
; %bb.112:
	v_lshlrev_b32_e32 v2, 3, v4
	v_lshlrev_b32_e32 v12, 9, v5
	ds_read_b64 v[2:3], v2 offset:30144
	ds_read_b64 v[12:13], v12 offset:30160
	v_cmp_gt_u32_e64 s[10:11], 2, v8
	s_waitcnt lgkmcnt(0)
	v_mul_f32_e32 v14, v13, v3
	v_mul_f32_e32 v3, v12, v3
	v_fma_f32 v12, v12, v2, -v14
	v_fmac_f32_e32 v3, v13, v2
	v_add_f32_e32 v2, 0, v12
	v_add_f32_e32 v3, 0, v3
	s_and_saveexec_b64 s[14:15], s[10:11]
	s_cbranch_execz .LBB145_114
; %bb.113:
	v_lshlrev_b32_e32 v12, 3, v0
	v_mov_b32_e32 v14, 0
	ds_read_b64 v[12:13], v12 offset:30656
	ds_read_b64 v[14:15], v14 offset:30680
	s_waitcnt lgkmcnt(0)
	v_mul_f32_e32 v16, v15, v13
	v_mul_f32_e32 v13, v14, v13
	v_fma_f32 v14, v14, v12, -v16
	v_fmac_f32_e32 v13, v15, v12
	v_add_f32_e32 v2, v2, v14
	v_add_f32_e32 v3, v3, v13
.LBB145_114:
	s_or_b64 exec, exec, s[14:15]
.LBB145_115:
	s_or_b64 exec, exec, s[12:13]
	s_and_saveexec_b64 s[10:11], s[44:45]
; %bb.116:
	v_xor_b32_e32 v13, 0x80000000, v3
	v_xor_b32_e32 v12, 0x80000000, v2
	ds_write_b64 v6, v[12:13]
; %bb.117:
	s_or_b64 exec, exec, s[10:11]
	s_waitcnt lgkmcnt(0)
	s_barrier
	s_and_saveexec_b64 s[10:11], s[42:43]
	s_cbranch_execz .LBB145_119
; %bb.118:
	v_mov_b32_e32 v12, 0
	ds_read_b64 v[12:13], v12 offset:29632
	ds_read_b64 v[14:15], v6
	s_waitcnt lgkmcnt(0)
	v_mul_f32_e32 v16, v14, v12
	v_mul_f32_e32 v14, v14, v13
	v_fmac_f32_e32 v14, v15, v12
	v_fma_f32 v12, v15, v13, -v16
	v_add_f32_e32 v2, v2, v12
	v_sub_f32_e32 v3, v3, v14
.LBB145_119:
	s_or_b64 exec, exec, s[10:11]
	s_barrier
	s_and_saveexec_b64 s[10:11], s[42:43]
; %bb.120:
	v_xor_b32_e32 v13, 0x80000000, v3
	v_xor_b32_e32 v12, 0x80000000, v2
	ds_write_b64 v6, v[12:13]
; %bb.121:
	s_or_b64 exec, exec, s[10:11]
	s_waitcnt lgkmcnt(0)
	s_barrier
	s_barrier
	s_and_saveexec_b64 s[10:11], s[6:7]
; %bb.122:
	v_lshlrev_b32_e32 v12, 3, v4
	v_lshl_or_b32 v12, v5, 9, v12
	ds_write_b64 v12, v[2:3] offset:30144
; %bb.123:
	s_or_b64 exec, exec, s[10:11]
	s_waitcnt lgkmcnt(0)
	s_barrier
	s_barrier
	s_and_saveexec_b64 s[10:11], vcc
	s_cbranch_execz .LBB145_125
; %bb.124:
	s_mov_b64 s[12:13], 0x3f800000
	v_mov_b32_e32 v2, s12
	v_mov_b32_e32 v3, s13
	s_movk_i32 s12, 0x7000
	v_add_u32_e64 v12, s12, 0
	ds_write2_b64 v12, v[2:3], v[2:3] offset0:56 offset1:121
.LBB145_125:
	s_or_b64 exec, exec, s[10:11]
	v_lshrrev_b32_e32 v14, 3, v8
	v_and_b32_e32 v12, 7, v0
	v_sub_u32_e32 v13, 7, v14
	v_cmp_lt_u32_e64 s[12:13], 63, v8
	v_cmp_gt_u32_e64 s[10:11], 64, v8
	v_mov_b32_e32 v3, 0
	v_mov_b32_e32 v2, 0
	s_waitcnt lgkmcnt(0)
	s_barrier
	buffer_wbinvl1_vol
	s_and_saveexec_b64 s[16:17], s[10:11]
	s_cbranch_execz .LBB145_135
; %bb.126:
	v_lshlrev_b32_e32 v15, 3, v12
	v_lshlrev_b32_e32 v16, 9, v13
	ds_read_b64 v[2:3], v15 offset:29056
	ds_read_b64 v[17:18], v16 offset:29120
	v_cmp_gt_u32_e64 s[14:15], 56, v8
	s_waitcnt lgkmcnt(0)
	v_mul_f32_e32 v19, v18, v3
	v_mul_f32_e32 v3, v17, v3
	v_fma_f32 v17, v17, v2, -v19
	v_fmac_f32_e32 v3, v18, v2
	v_add_f32_e32 v2, 0, v17
	v_add_f32_e32 v3, 0, v3
	s_and_saveexec_b64 s[20:21], s[14:15]
	s_cbranch_execnz .LBB145_990
; %bb.127:
	s_or_b64 exec, exec, s[20:21]
	v_cmp_gt_u32_e64 s[14:15], 48, v8
	s_and_saveexec_b64 s[20:21], s[14:15]
	s_cbranch_execnz .LBB145_991
.LBB145_128:
	s_or_b64 exec, exec, s[20:21]
	v_cmp_gt_u32_e64 s[14:15], 40, v8
	s_and_saveexec_b64 s[20:21], s[14:15]
	s_cbranch_execnz .LBB145_992
.LBB145_129:
	s_or_b64 exec, exec, s[20:21]
	v_cmp_gt_u32_e64 s[14:15], 32, v8
	s_and_saveexec_b64 s[20:21], s[14:15]
	s_cbranch_execnz .LBB145_993
.LBB145_130:
	s_or_b64 exec, exec, s[20:21]
	v_cmp_gt_u32_e64 s[14:15], 24, v8
	s_and_saveexec_b64 s[20:21], s[14:15]
	s_cbranch_execnz .LBB145_994
.LBB145_131:
	s_or_b64 exec, exec, s[20:21]
	s_and_saveexec_b64 s[14:15], s[18:19]
	s_cbranch_execnz .LBB145_995
.LBB145_132:
	s_or_b64 exec, exec, s[14:15]
	v_cmp_gt_u32_e64 s[14:15], 8, v8
	s_and_saveexec_b64 s[20:21], s[14:15]
	s_cbranch_execz .LBB145_134
.LBB145_133:
	v_lshlrev_b32_e32 v15, 3, v0
	v_mov_b32_e32 v17, 0
	ds_read_b64 v[15:16], v15 offset:32640
	ds_read_b64 v[17:18], v17 offset:32760
	s_waitcnt lgkmcnt(0)
	v_mul_f32_e32 v19, v18, v16
	v_mul_f32_e32 v16, v17, v16
	v_fma_f32 v17, v17, v15, -v19
	v_fmac_f32_e32 v16, v18, v15
	v_add_f32_e32 v2, v2, v17
	v_add_f32_e32 v3, v3, v16
.LBB145_134:
	s_or_b64 exec, exec, s[20:21]
.LBB145_135:
	s_or_b64 exec, exec, s[16:17]
	v_mov_b32_e32 v15, 0x8000
	v_cmp_eq_u32_e64 s[14:15], 7, v12
	s_xor_b64 s[16:17], s[12:13], -1
	v_lshl_add_u32 v14, v14, 3, v15
	s_and_b64 s[60:61], s[14:15], s[16:17]
	s_and_saveexec_b64 s[12:13], s[60:61]
; %bb.136:
	v_xor_b32_e32 v16, 0x80000000, v3
	v_xor_b32_e32 v15, 0x80000000, v2
	ds_write_b64 v14, v[15:16]
; %bb.137:
	s_or_b64 exec, exec, s[12:13]
	v_cmp_ne_u32_e64 s[12:13], 7, v12
	s_and_b64 s[62:63], s[12:13], s[16:17]
	s_waitcnt lgkmcnt(0)
	s_barrier
	s_and_saveexec_b64 s[12:13], s[62:63]
	s_cbranch_execz .LBB145_139
; %bb.138:
	v_lshlrev_b32_e32 v15, 3, v12
	ds_read_b64 v[15:16], v15 offset:28544
	ds_read_b64 v[17:18], v14
	s_waitcnt lgkmcnt(0)
	v_mul_f32_e32 v19, v18, v16
	v_mul_f32_e32 v16, v17, v16
	v_fma_f32 v17, v17, v15, -v19
	v_fmac_f32_e32 v16, v18, v15
	v_sub_f32_e32 v2, v2, v17
	v_sub_f32_e32 v3, v3, v16
.LBB145_139:
	s_or_b64 exec, exec, s[12:13]
	v_cmp_eq_u32_e64 s[12:13], 6, v12
	s_and_b64 s[64:65], s[12:13], s[16:17]
	s_barrier
	s_and_saveexec_b64 s[12:13], s[64:65]
; %bb.140:
	v_xor_b32_e32 v16, 0x80000000, v3
	v_xor_b32_e32 v15, 0x80000000, v2
	ds_write_b64 v14, v[15:16]
; %bb.141:
	s_or_b64 exec, exec, s[12:13]
	v_cmp_gt_u32_e64 s[12:13], 6, v12
	s_and_b64 s[66:67], s[12:13], s[16:17]
	s_waitcnt lgkmcnt(0)
	s_barrier
	s_and_saveexec_b64 s[12:13], s[66:67]
	s_cbranch_execz .LBB145_143
; %bb.142:
	v_lshlrev_b32_e32 v15, 3, v12
	ds_read_b64 v[15:16], v15 offset:28032
	ds_read_b64 v[17:18], v14
	s_waitcnt lgkmcnt(0)
	v_mul_f32_e32 v19, v18, v16
	v_mul_f32_e32 v16, v17, v16
	v_fma_f32 v17, v17, v15, -v19
	v_fmac_f32_e32 v16, v18, v15
	v_sub_f32_e32 v2, v2, v17
	v_sub_f32_e32 v3, v3, v16
.LBB145_143:
	s_or_b64 exec, exec, s[12:13]
	v_cmp_eq_u32_e64 s[12:13], 5, v12
	s_and_b64 s[68:69], s[12:13], s[16:17]
	s_barrier
	s_and_saveexec_b64 s[12:13], s[68:69]
; %bb.144:
	v_xor_b32_e32 v16, 0x80000000, v3
	v_xor_b32_e32 v15, 0x80000000, v2
	ds_write_b64 v14, v[15:16]
; %bb.145:
	s_or_b64 exec, exec, s[12:13]
	v_cmp_gt_u32_e64 s[12:13], 5, v12
	;; [unrolled: 29-line block ×5, first 2 shown]
	s_and_b64 s[82:83], s[12:13], s[16:17]
	s_waitcnt lgkmcnt(0)
	s_barrier
	s_and_saveexec_b64 s[12:13], s[82:83]
	s_cbranch_execz .LBB145_159
; %bb.158:
	v_lshlrev_b32_e32 v15, 3, v12
	ds_read_b64 v[15:16], v15 offset:25984
	ds_read_b64 v[17:18], v14
	s_waitcnt lgkmcnt(0)
	v_mul_f32_e32 v19, v18, v16
	v_mul_f32_e32 v16, v17, v16
	v_fma_f32 v17, v17, v15, -v19
	v_fmac_f32_e32 v16, v18, v15
	v_sub_f32_e32 v2, v2, v17
	v_sub_f32_e32 v3, v3, v16
.LBB145_159:
	s_or_b64 exec, exec, s[12:13]
	v_cmp_eq_u32_e64 s[12:13], 1, v12
	s_and_b64 s[84:85], s[12:13], s[16:17]
	s_barrier
	s_and_saveexec_b64 s[12:13], s[84:85]
; %bb.160:
	v_xor_b32_e32 v16, 0x80000000, v3
	v_xor_b32_e32 v15, 0x80000000, v2
	ds_write_b64 v14, v[15:16]
; %bb.161:
	s_or_b64 exec, exec, s[12:13]
	v_cmp_eq_u32_e64 s[12:13], 0, v12
	s_and_b64 s[58:59], s[12:13], s[16:17]
	s_waitcnt lgkmcnt(0)
	s_barrier
	s_and_saveexec_b64 s[12:13], s[58:59]
	s_cbranch_execz .LBB145_163
; %bb.162:
	v_mov_b32_e32 v15, 0
	ds_read_b64 v[15:16], v15 offset:25472
	ds_read_b64 v[17:18], v14
	s_waitcnt lgkmcnt(0)
	v_mul_f32_e32 v19, v18, v16
	v_mul_f32_e32 v16, v17, v16
	v_fma_f32 v17, v17, v15, -v19
	v_fmac_f32_e32 v16, v18, v15
	v_sub_f32_e32 v2, v2, v17
	v_sub_f32_e32 v3, v3, v16
.LBB145_163:
	s_or_b64 exec, exec, s[12:13]
	s_barrier
	s_and_saveexec_b64 s[12:13], s[58:59]
; %bb.164:
	v_xor_b32_e32 v16, 0x80000000, v3
	v_xor_b32_e32 v15, 0x80000000, v2
	ds_write_b64 v14, v[15:16]
; %bb.165:
	s_or_b64 exec, exec, s[12:13]
	s_waitcnt lgkmcnt(0)
	s_barrier
	s_barrier
	s_and_saveexec_b64 s[12:13], s[10:11]
; %bb.166:
	v_lshlrev_b32_e32 v15, 3, v12
	v_lshl_or_b32 v15, v13, 9, v15
	ds_write_b64 v15, v[2:3] offset:29056
; %bb.167:
	s_or_b64 exec, exec, s[12:13]
	s_waitcnt lgkmcnt(0)
	s_barrier
	s_barrier
	s_and_saveexec_b64 s[12:13], vcc
	s_cbranch_execz .LBB145_169
; %bb.168:
	s_mov_b64 s[14:15], 0x3f800000
	v_mov_b32_e32 v2, s14
	v_mov_b32_e32 v3, s15
	s_movk_i32 s14, 0x6800
	v_add_u32_e64 v15, s14, 0
	ds_write2_b64 v15, v[2:3], v[2:3] offset0:182 offset1:247
.LBB145_169:
	s_or_b64 exec, exec, s[12:13]
	v_mov_b32_e32 v2, 0
	v_mov_b32_e32 v3, 0
	s_waitcnt lgkmcnt(0)
	s_barrier
	buffer_wbinvl1_vol
	s_and_saveexec_b64 s[14:15], s[6:7]
	s_cbranch_execz .LBB145_173
; %bb.170:
	v_lshlrev_b32_e32 v2, 3, v4
	v_lshlrev_b32_e32 v15, 9, v5
	ds_read_b64 v[2:3], v2 offset:28064
	ds_read_b64 v[15:16], v15 offset:28080
	v_cmp_gt_u32_e64 s[12:13], 2, v8
	s_waitcnt lgkmcnt(0)
	v_mul_f32_e32 v17, v16, v3
	v_mul_f32_e32 v3, v15, v3
	v_fma_f32 v15, v15, v2, -v17
	v_fmac_f32_e32 v3, v16, v2
	v_add_f32_e32 v2, 0, v15
	v_add_f32_e32 v3, 0, v3
	s_and_saveexec_b64 s[16:17], s[12:13]
	s_cbranch_execz .LBB145_172
; %bb.171:
	v_lshlrev_b32_e32 v15, 3, v0
	v_mov_b32_e32 v17, 0
	ds_read_b64 v[15:16], v15 offset:28576
	ds_read_b64 v[17:18], v17 offset:28600
	s_waitcnt lgkmcnt(0)
	v_mul_f32_e32 v19, v18, v16
	v_mul_f32_e32 v16, v17, v16
	v_fma_f32 v17, v17, v15, -v19
	v_fmac_f32_e32 v16, v18, v15
	v_add_f32_e32 v2, v2, v17
	v_add_f32_e32 v3, v3, v16
.LBB145_172:
	s_or_b64 exec, exec, s[16:17]
.LBB145_173:
	s_or_b64 exec, exec, s[14:15]
	s_and_saveexec_b64 s[12:13], s[44:45]
; %bb.174:
	v_xor_b32_e32 v16, 0x80000000, v3
	v_xor_b32_e32 v15, 0x80000000, v2
	ds_write_b64 v6, v[15:16]
; %bb.175:
	s_or_b64 exec, exec, s[12:13]
	s_waitcnt lgkmcnt(0)
	s_barrier
	s_and_saveexec_b64 s[12:13], s[42:43]
	s_cbranch_execz .LBB145_177
; %bb.176:
	v_mov_b32_e32 v15, 0
	ds_read_b64 v[15:16], v15 offset:27552
	ds_read_b64 v[17:18], v6
	s_waitcnt lgkmcnt(0)
	v_mul_f32_e32 v19, v17, v15
	v_mul_f32_e32 v17, v17, v16
	v_fmac_f32_e32 v17, v18, v15
	v_fma_f32 v15, v18, v16, -v19
	v_add_f32_e32 v2, v2, v15
	v_sub_f32_e32 v3, v3, v17
.LBB145_177:
	s_or_b64 exec, exec, s[12:13]
	s_barrier
	s_and_saveexec_b64 s[12:13], s[42:43]
; %bb.178:
	v_xor_b32_e32 v16, 0x80000000, v3
	v_xor_b32_e32 v15, 0x80000000, v2
	ds_write_b64 v6, v[15:16]
; %bb.179:
	s_or_b64 exec, exec, s[12:13]
	s_waitcnt lgkmcnt(0)
	s_barrier
	s_barrier
	s_and_saveexec_b64 s[12:13], s[6:7]
; %bb.180:
	v_lshlrev_b32_e32 v15, 3, v4
	v_lshl_or_b32 v15, v5, 9, v15
	ds_write_b64 v15, v[2:3] offset:28064
; %bb.181:
	s_or_b64 exec, exec, s[12:13]
	s_waitcnt lgkmcnt(0)
	s_barrier
	s_barrier
	s_and_saveexec_b64 s[12:13], vcc
	s_cbranch_execz .LBB145_183
; %bb.182:
	s_mov_b64 s[14:15], 0x3f800000
	v_mov_b32_e32 v2, s14
	v_mov_b32_e32 v3, s15
	s_movk_i32 s14, 0x6800
	v_add_u32_e64 v15, s14, 0
	ds_write2_b64 v15, v[2:3], v[2:3] offset0:52 offset1:117
.LBB145_183:
	s_or_b64 exec, exec, s[12:13]
	v_mov_b32_e32 v3, 0
	v_mov_b32_e32 v2, 0
	s_waitcnt lgkmcnt(0)
	s_barrier
	buffer_wbinvl1_vol
	s_and_saveexec_b64 s[14:15], s[18:19]
	s_cbranch_execz .LBB145_189
; %bb.184:
	v_lshlrev_b32_e32 v15, 3, v9
	v_lshlrev_b32_e32 v16, 9, v10
	ds_read_b64 v[2:3], v15 offset:27008
	ds_read_b64 v[17:18], v16 offset:27040
	v_cmp_gt_u32_e64 s[12:13], 12, v8
	s_waitcnt lgkmcnt(0)
	v_mul_f32_e32 v19, v18, v3
	v_mul_f32_e32 v3, v17, v3
	v_fma_f32 v17, v17, v2, -v19
	v_fmac_f32_e32 v3, v18, v2
	v_add_f32_e32 v2, 0, v17
	v_add_f32_e32 v3, 0, v3
	s_and_saveexec_b64 s[16:17], s[12:13]
	s_cbranch_execnz .LBB145_996
; %bb.185:
	s_or_b64 exec, exec, s[16:17]
	v_cmp_gt_u32_e64 s[12:13], 8, v8
	s_and_saveexec_b64 s[16:17], s[12:13]
	s_cbranch_execnz .LBB145_997
.LBB145_186:
	s_or_b64 exec, exec, s[16:17]
	v_cmp_gt_u32_e64 s[12:13], 4, v8
	s_and_saveexec_b64 s[16:17], s[12:13]
	s_cbranch_execz .LBB145_188
.LBB145_187:
	v_lshlrev_b32_e32 v15, 3, v0
	v_mov_b32_e32 v17, 0
	ds_read_b64 v[15:16], v15 offset:28544
	ds_read_b64 v[17:18], v17 offset:28600
	s_waitcnt lgkmcnt(0)
	v_mul_f32_e32 v19, v18, v16
	v_mul_f32_e32 v16, v17, v16
	v_fma_f32 v17, v17, v15, -v19
	v_fmac_f32_e32 v16, v18, v15
	v_add_f32_e32 v2, v2, v17
	v_add_f32_e32 v3, v3, v16
.LBB145_188:
	s_or_b64 exec, exec, s[16:17]
.LBB145_189:
	s_or_b64 exec, exec, s[14:15]
	s_and_saveexec_b64 s[12:13], s[48:49]
; %bb.190:
	v_xor_b32_e32 v15, 0x80000000, v2
	v_xor_b32_e32 v16, 0x80000000, v3
	ds_write_b64 v11, v[15:16]
; %bb.191:
	s_or_b64 exec, exec, s[12:13]
	s_waitcnt lgkmcnt(0)
	s_barrier
	s_and_saveexec_b64 s[12:13], s[50:51]
	s_cbranch_execz .LBB145_193
; %bb.192:
	v_lshlrev_b32_e32 v15, 3, v9
	ds_read_b64 v[15:16], v15 offset:26496
	ds_read_b64 v[17:18], v11
	s_waitcnt lgkmcnt(0)
	v_mul_f32_e32 v19, v18, v16
	v_mul_f32_e32 v16, v17, v16
	v_fma_f32 v17, v17, v15, -v19
	v_fmac_f32_e32 v16, v18, v15
	v_sub_f32_e32 v2, v2, v17
	v_sub_f32_e32 v3, v3, v16
.LBB145_193:
	s_or_b64 exec, exec, s[12:13]
	s_barrier
	s_and_saveexec_b64 s[12:13], s[52:53]
; %bb.194:
	v_xor_b32_e32 v15, 0x80000000, v2
	v_xor_b32_e32 v16, 0x80000000, v3
	ds_write_b64 v11, v[15:16]
; %bb.195:
	s_or_b64 exec, exec, s[12:13]
	s_waitcnt lgkmcnt(0)
	s_barrier
	s_and_saveexec_b64 s[12:13], s[54:55]
	s_cbranch_execz .LBB145_197
; %bb.196:
	v_lshlrev_b32_e32 v15, 3, v9
	ds_read_b64 v[15:16], v15 offset:25984
	ds_read_b64 v[17:18], v11
	s_waitcnt lgkmcnt(0)
	v_mul_f32_e32 v19, v18, v16
	v_mul_f32_e32 v16, v17, v16
	v_fma_f32 v17, v17, v15, -v19
	v_fmac_f32_e32 v16, v18, v15
	v_sub_f32_e32 v2, v2, v17
	v_sub_f32_e32 v3, v3, v16
.LBB145_197:
	s_or_b64 exec, exec, s[12:13]
	s_barrier
	s_and_saveexec_b64 s[12:13], s[56:57]
; %bb.198:
	v_xor_b32_e32 v15, 0x80000000, v2
	v_xor_b32_e32 v16, 0x80000000, v3
	ds_write_b64 v11, v[15:16]
; %bb.199:
	s_or_b64 exec, exec, s[12:13]
	s_waitcnt lgkmcnt(0)
	s_barrier
	s_and_saveexec_b64 s[12:13], s[46:47]
	s_cbranch_execz .LBB145_201
; %bb.200:
	v_mov_b32_e32 v15, 0
	ds_read_b64 v[15:16], v15 offset:25472
	ds_read_b64 v[17:18], v11
	s_waitcnt lgkmcnt(0)
	v_mul_f32_e32 v19, v18, v16
	v_mul_f32_e32 v16, v17, v16
	v_fma_f32 v17, v17, v15, -v19
	v_fmac_f32_e32 v16, v18, v15
	v_sub_f32_e32 v2, v2, v17
	v_sub_f32_e32 v3, v3, v16
.LBB145_201:
	s_or_b64 exec, exec, s[12:13]
	s_barrier
	s_and_saveexec_b64 s[12:13], s[46:47]
; %bb.202:
	v_xor_b32_e32 v15, 0x80000000, v2
	v_xor_b32_e32 v16, 0x80000000, v3
	ds_write_b64 v11, v[15:16]
; %bb.203:
	s_or_b64 exec, exec, s[12:13]
	s_waitcnt lgkmcnt(0)
	s_barrier
	s_barrier
	s_and_saveexec_b64 s[12:13], s[18:19]
; %bb.204:
	v_lshlrev_b32_e32 v15, 3, v9
	v_lshl_or_b32 v15, v10, 9, v15
	ds_write_b64 v15, v[2:3] offset:27008
; %bb.205:
	s_or_b64 exec, exec, s[12:13]
	s_waitcnt lgkmcnt(0)
	s_barrier
	s_barrier
	s_and_saveexec_b64 s[12:13], vcc
	s_cbranch_execz .LBB145_207
; %bb.206:
	s_mov_b64 s[14:15], 0x3f800000
	v_mov_b32_e32 v2, s14
	v_mov_b32_e32 v3, s15
	s_movk_i32 s14, 0x6000
	v_add_u32_e64 v15, s14, 0
	ds_write2_b64 v15, v[2:3], v[2:3] offset0:178 offset1:243
.LBB145_207:
	s_or_b64 exec, exec, s[12:13]
	v_mov_b32_e32 v2, 0
	v_mov_b32_e32 v3, 0
	s_waitcnt lgkmcnt(0)
	s_barrier
	buffer_wbinvl1_vol
	s_and_saveexec_b64 s[14:15], s[6:7]
	s_cbranch_execz .LBB145_211
; %bb.208:
	v_lshlrev_b32_e32 v2, 3, v4
	v_lshlrev_b32_e32 v15, 9, v5
	ds_read_b64 v[2:3], v2 offset:25984
	ds_read_b64 v[15:16], v15 offset:26000
	v_cmp_gt_u32_e64 s[12:13], 2, v8
	s_waitcnt lgkmcnt(0)
	v_mul_f32_e32 v17, v16, v3
	v_mul_f32_e32 v3, v15, v3
	v_fma_f32 v15, v15, v2, -v17
	v_fmac_f32_e32 v3, v16, v2
	v_add_f32_e32 v2, 0, v15
	v_add_f32_e32 v3, 0, v3
	s_and_saveexec_b64 s[16:17], s[12:13]
	s_cbranch_execz .LBB145_210
; %bb.209:
	v_lshlrev_b32_e32 v15, 3, v0
	v_mov_b32_e32 v17, 0
	ds_read_b64 v[15:16], v15 offset:26496
	ds_read_b64 v[17:18], v17 offset:26520
	s_waitcnt lgkmcnt(0)
	v_mul_f32_e32 v19, v18, v16
	v_mul_f32_e32 v16, v17, v16
	v_fma_f32 v17, v17, v15, -v19
	v_fmac_f32_e32 v16, v18, v15
	v_add_f32_e32 v2, v2, v17
	v_add_f32_e32 v3, v3, v16
.LBB145_210:
	s_or_b64 exec, exec, s[16:17]
.LBB145_211:
	s_or_b64 exec, exec, s[14:15]
	s_and_saveexec_b64 s[12:13], s[44:45]
; %bb.212:
	v_xor_b32_e32 v16, 0x80000000, v3
	v_xor_b32_e32 v15, 0x80000000, v2
	ds_write_b64 v6, v[15:16]
; %bb.213:
	s_or_b64 exec, exec, s[12:13]
	s_waitcnt lgkmcnt(0)
	s_barrier
	s_and_saveexec_b64 s[12:13], s[42:43]
	s_cbranch_execz .LBB145_215
; %bb.214:
	v_mov_b32_e32 v15, 0
	ds_read_b64 v[15:16], v15 offset:25472
	ds_read_b64 v[17:18], v6
	s_waitcnt lgkmcnt(0)
	v_mul_f32_e32 v19, v17, v15
	v_mul_f32_e32 v17, v17, v16
	v_fmac_f32_e32 v17, v18, v15
	v_fma_f32 v15, v18, v16, -v19
	v_add_f32_e32 v2, v2, v15
	v_sub_f32_e32 v3, v3, v17
.LBB145_215:
	s_or_b64 exec, exec, s[12:13]
	s_barrier
	s_and_saveexec_b64 s[12:13], s[42:43]
; %bb.216:
	v_xor_b32_e32 v16, 0x80000000, v3
	v_xor_b32_e32 v15, 0x80000000, v2
	ds_write_b64 v6, v[15:16]
; %bb.217:
	s_or_b64 exec, exec, s[12:13]
	s_waitcnt lgkmcnt(0)
	s_barrier
	s_barrier
	s_and_saveexec_b64 s[12:13], s[6:7]
; %bb.218:
	v_lshlrev_b32_e32 v15, 3, v4
	v_lshl_or_b32 v15, v5, 9, v15
	ds_write_b64 v15, v[2:3] offset:25984
; %bb.219:
	s_or_b64 exec, exec, s[12:13]
	s_waitcnt lgkmcnt(0)
	s_barrier
	s_barrier
	s_and_saveexec_b64 s[12:13], vcc
	s_cbranch_execz .LBB145_221
; %bb.220:
	s_mov_b64 s[14:15], 0x3f800000
	v_mov_b32_e32 v2, s14
	v_mov_b32_e32 v3, s15
	s_movk_i32 s14, 0x6000
	v_add_u32_e64 v15, s14, 0
	ds_write2_b64 v15, v[2:3], v[2:3] offset0:48 offset1:113
.LBB145_221:
	s_or_b64 exec, exec, s[12:13]
	s_movk_i32 s12, 0xff
	v_lshrrev_b32_e32 v17, 4, v8
	v_cmp_lt_u32_e64 s[14:15], s12, v8
	s_movk_i32 s12, 0x100
	v_and_b32_e32 v15, 15, v0
	v_sub_u32_e32 v16, 15, v17
	v_cmp_gt_u32_e64 s[12:13], s12, v8
	v_mov_b32_e32 v3, 0
	v_mov_b32_e32 v2, 0
	s_waitcnt lgkmcnt(0)
	s_barrier
	buffer_wbinvl1_vol
	s_and_saveexec_b64 s[20:21], s[12:13]
	s_cbranch_execz .LBB145_249
; %bb.222:
	v_lshlrev_b32_e32 v18, 3, v15
	v_lshlrev_b32_e32 v19, 9, v16
	ds_read_b64 v[2:3], v18 offset:24832
	ds_read_b64 v[20:21], v19 offset:24960
	s_movk_i32 s16, 0xf0
	v_cmp_gt_u32_e64 s[16:17], s16, v8
	s_waitcnt lgkmcnt(0)
	v_mul_f32_e32 v22, v21, v3
	v_mul_f32_e32 v3, v20, v3
	v_fma_f32 v20, v20, v2, -v22
	v_fmac_f32_e32 v3, v21, v2
	v_add_f32_e32 v2, 0, v20
	v_add_f32_e32 v3, 0, v3
	s_and_saveexec_b64 s[86:87], s[16:17]
	s_cbranch_execz .LBB145_224
; %bb.223:
	ds_read_b64 v[20:21], v18 offset:25344
	ds_read_b64 v[22:23], v19 offset:24968
	s_waitcnt lgkmcnt(0)
	v_mul_f32_e32 v24, v23, v21
	v_mul_f32_e32 v21, v22, v21
	v_fma_f32 v22, v22, v20, -v24
	v_fmac_f32_e32 v21, v23, v20
	v_add_f32_e32 v2, v2, v22
	v_add_f32_e32 v3, v3, v21
.LBB145_224:
	s_or_b64 exec, exec, s[86:87]
	s_movk_i32 s16, 0xe0
	v_cmp_gt_u32_e64 s[16:17], s16, v8
	s_and_saveexec_b64 s[86:87], s[16:17]
	s_cbranch_execz .LBB145_226
; %bb.225:
	ds_read_b64 v[20:21], v18 offset:25856
	ds_read_b64 v[22:23], v19 offset:24976
	s_waitcnt lgkmcnt(0)
	v_mul_f32_e32 v24, v23, v21
	v_mul_f32_e32 v21, v22, v21
	v_fma_f32 v22, v22, v20, -v24
	v_fmac_f32_e32 v21, v23, v20
	v_add_f32_e32 v2, v2, v22
	v_add_f32_e32 v3, v3, v21
.LBB145_226:
	s_or_b64 exec, exec, s[86:87]
	s_movk_i32 s16, 0xd0
	v_cmp_gt_u32_e64 s[16:17], s16, v8
	;; [unrolled: 16-line block ×10, first 2 shown]
	s_and_saveexec_b64 s[86:87], s[16:17]
	s_cbranch_execnz .LBB145_998
; %bb.243:
	s_or_b64 exec, exec, s[86:87]
	s_and_saveexec_b64 s[16:17], s[10:11]
	s_cbranch_execnz .LBB145_999
.LBB145_244:
	s_or_b64 exec, exec, s[16:17]
	v_cmp_gt_u32_e64 s[16:17], 48, v8
	s_and_saveexec_b64 s[86:87], s[16:17]
	s_cbranch_execnz .LBB145_1000
.LBB145_245:
	s_or_b64 exec, exec, s[86:87]
	v_cmp_gt_u32_e64 s[16:17], 32, v8
	s_and_saveexec_b64 s[86:87], s[16:17]
	s_cbranch_execnz .LBB145_1001
.LBB145_246:
	s_or_b64 exec, exec, s[86:87]
	v_cmp_gt_u32_e64 s[16:17], 16, v8
	s_and_saveexec_b64 s[86:87], s[16:17]
	s_cbranch_execz .LBB145_248
.LBB145_247:
	v_lshlrev_b32_e32 v18, 3, v0
	v_mov_b32_e32 v20, 0
	ds_read_b64 v[18:19], v18 offset:32512
	ds_read_b64 v[20:21], v20 offset:32760
	s_waitcnt lgkmcnt(0)
	v_mul_f32_e32 v22, v21, v19
	v_mul_f32_e32 v19, v20, v19
	v_fma_f32 v20, v20, v18, -v22
	v_fmac_f32_e32 v19, v21, v18
	v_add_f32_e32 v2, v2, v20
	v_add_f32_e32 v3, v3, v19
.LBB145_248:
	s_or_b64 exec, exec, s[86:87]
.LBB145_249:
	s_or_b64 exec, exec, s[20:21]
	v_mov_b32_e32 v18, 0x8000
	v_lshl_add_u32 v17, v17, 3, v18
	v_cmp_eq_u32_e64 s[16:17], 15, v15
	s_xor_b64 s[20:21], s[14:15], -1
	s_and_b64 s[16:17], s[16:17], s[20:21]
	s_mov_b64 s[14:15], exec
                                        ; implicit-def: $vgpr28 : SGPR spill to VGPR lane
	v_writelane_b32 v28, s16, 0
	v_writelane_b32 v28, s17, 1
	s_and_b64 s[16:17], s[14:15], s[16:17]
	s_mov_b64 exec, s[16:17]
; %bb.250:
	v_xor_b32_e32 v18, 0x80000000, v2
	v_xor_b32_e32 v19, 0x80000000, v3
	ds_write_b64 v17, v[18:19]
; %bb.251:
	s_or_b64 exec, exec, s[14:15]
	v_cmp_ne_u32_e64 s[14:15], 15, v15
	s_waitcnt lgkmcnt(0)
	s_barrier
	s_and_b64 s[16:17], s[14:15], s[20:21]
	s_mov_b64 s[14:15], exec
	v_writelane_b32 v28, s16, 2
	v_writelane_b32 v28, s17, 3
	s_and_b64 s[16:17], s[14:15], s[16:17]
	s_mov_b64 exec, s[16:17]
	s_cbranch_execz .LBB145_253
; %bb.252:
	v_lshlrev_b32_e32 v18, 3, v15
	ds_read_b64 v[18:19], v18 offset:24320
	ds_read_b64 v[20:21], v17
	s_waitcnt lgkmcnt(0)
	v_mul_f32_e32 v22, v21, v19
	v_mul_f32_e32 v19, v20, v19
	v_fma_f32 v20, v20, v18, -v22
	v_fmac_f32_e32 v19, v21, v18
	v_sub_f32_e32 v2, v2, v20
	v_sub_f32_e32 v3, v3, v19
.LBB145_253:
	s_or_b64 exec, exec, s[14:15]
	v_cmp_eq_u32_e64 s[14:15], 14, v15
	s_barrier
	s_and_b64 s[16:17], s[14:15], s[20:21]
	s_mov_b64 s[14:15], exec
	v_writelane_b32 v28, s16, 4
	v_writelane_b32 v28, s17, 5
	s_and_b64 s[16:17], s[14:15], s[16:17]
	s_mov_b64 exec, s[16:17]
; %bb.254:
	v_xor_b32_e32 v18, 0x80000000, v2
	v_xor_b32_e32 v19, 0x80000000, v3
	ds_write_b64 v17, v[18:19]
; %bb.255:
	s_or_b64 exec, exec, s[14:15]
	v_cmp_gt_u32_e64 s[14:15], 14, v15
	s_waitcnt lgkmcnt(0)
	s_barrier
	s_and_b64 s[16:17], s[14:15], s[20:21]
	s_mov_b64 s[14:15], exec
	v_writelane_b32 v28, s16, 6
	v_writelane_b32 v28, s17, 7
	s_and_b64 s[16:17], s[14:15], s[16:17]
	s_mov_b64 exec, s[16:17]
	s_cbranch_execz .LBB145_257
; %bb.256:
	v_lshlrev_b32_e32 v18, 3, v15
	ds_read_b64 v[18:19], v18 offset:23808
	ds_read_b64 v[20:21], v17
	s_waitcnt lgkmcnt(0)
	v_mul_f32_e32 v22, v21, v19
	v_mul_f32_e32 v19, v20, v19
	v_fma_f32 v20, v20, v18, -v22
	v_fmac_f32_e32 v19, v21, v18
	v_sub_f32_e32 v2, v2, v20
	v_sub_f32_e32 v3, v3, v19
.LBB145_257:
	s_or_b64 exec, exec, s[14:15]
	v_cmp_eq_u32_e64 s[14:15], 13, v15
	s_barrier
	s_and_b64 s[16:17], s[14:15], s[20:21]
	s_mov_b64 s[14:15], exec
	v_writelane_b32 v28, s16, 8
	v_writelane_b32 v28, s17, 9
	s_and_b64 s[16:17], s[14:15], s[16:17]
	s_mov_b64 exec, s[16:17]
; %bb.258:
	v_xor_b32_e32 v18, 0x80000000, v2
	v_xor_b32_e32 v19, 0x80000000, v3
	ds_write_b64 v17, v[18:19]
; %bb.259:
	s_or_b64 exec, exec, s[14:15]
	v_cmp_gt_u32_e64 s[14:15], 13, v15
	;; [unrolled: 37-line block ×13, first 2 shown]
	s_and_b64 s[98:99], s[14:15], s[20:21]
	s_waitcnt lgkmcnt(0)
	s_barrier
	s_and_saveexec_b64 s[14:15], s[98:99]
	s_cbranch_execz .LBB145_305
; %bb.304:
	v_lshlrev_b32_e32 v18, 3, v15
	ds_read_b64 v[18:19], v18 offset:17664
	ds_read_b64 v[20:21], v17
	s_waitcnt lgkmcnt(0)
	v_mul_f32_e32 v22, v21, v19
	v_mul_f32_e32 v19, v20, v19
	v_fma_f32 v20, v20, v18, -v22
	v_fmac_f32_e32 v19, v21, v18
	v_sub_f32_e32 v2, v2, v20
	v_sub_f32_e32 v3, v3, v19
.LBB145_305:
	s_or_b64 exec, exec, s[14:15]
	v_cmp_eq_u32_e64 s[14:15], 1, v15
	s_and_b64 s[90:91], s[14:15], s[20:21]
	s_barrier
	s_and_saveexec_b64 s[14:15], s[90:91]
; %bb.306:
	v_xor_b32_e32 v18, 0x80000000, v2
	v_xor_b32_e32 v19, 0x80000000, v3
	ds_write_b64 v17, v[18:19]
; %bb.307:
	s_or_b64 exec, exec, s[14:15]
	v_cmp_eq_u32_e64 s[14:15], 0, v15
	s_and_b64 s[96:97], s[14:15], s[20:21]
	s_waitcnt lgkmcnt(0)
	s_barrier
	s_and_saveexec_b64 s[14:15], s[96:97]
	s_cbranch_execz .LBB145_309
; %bb.308:
	v_mov_b32_e32 v18, 0
	ds_read_b64 v[18:19], v18 offset:17152
	ds_read_b64 v[20:21], v17
	s_waitcnt lgkmcnt(0)
	v_mul_f32_e32 v22, v21, v19
	v_mul_f32_e32 v19, v20, v19
	v_fma_f32 v20, v20, v18, -v22
	v_fmac_f32_e32 v19, v21, v18
	v_sub_f32_e32 v2, v2, v20
	v_sub_f32_e32 v3, v3, v19
.LBB145_309:
	s_or_b64 exec, exec, s[14:15]
	s_barrier
	s_and_saveexec_b64 s[14:15], s[96:97]
; %bb.310:
	v_xor_b32_e32 v18, 0x80000000, v2
	v_xor_b32_e32 v19, 0x80000000, v3
	ds_write_b64 v17, v[18:19]
; %bb.311:
	s_or_b64 exec, exec, s[14:15]
	s_waitcnt lgkmcnt(0)
	s_barrier
	s_barrier
	s_and_saveexec_b64 s[14:15], s[12:13]
; %bb.312:
	v_lshlrev_b32_e32 v18, 3, v15
	v_lshl_or_b32 v18, v16, 9, v18
	ds_write_b64 v18, v[2:3] offset:24832
; %bb.313:
	s_or_b64 exec, exec, s[14:15]
	s_waitcnt lgkmcnt(0)
	s_barrier
	s_barrier
	s_and_saveexec_b64 s[14:15], vcc
	s_cbranch_execz .LBB145_315
; %bb.314:
	s_mov_b64 s[16:17], 0x3f800000
	v_mov_b32_e32 v2, s16
	v_mov_b32_e32 v3, s17
	s_movk_i32 s16, 0x5800
	v_add_u32_e64 v18, s16, 0
	ds_write2_b64 v18, v[2:3], v[2:3] offset0:174 offset1:239
.LBB145_315:
	s_or_b64 exec, exec, s[14:15]
	v_mov_b32_e32 v2, 0
	v_mov_b32_e32 v3, 0
	s_waitcnt lgkmcnt(0)
	s_barrier
	buffer_wbinvl1_vol
	s_and_saveexec_b64 s[16:17], s[6:7]
	s_cbranch_execz .LBB145_319
; %bb.316:
	v_lshlrev_b32_e32 v2, 3, v4
	v_lshlrev_b32_e32 v18, 9, v5
	ds_read_b64 v[2:3], v2 offset:23904
	ds_read_b64 v[18:19], v18 offset:23920
	v_cmp_gt_u32_e64 s[14:15], 2, v8
	s_waitcnt lgkmcnt(0)
	v_mul_f32_e32 v20, v19, v3
	v_mul_f32_e32 v3, v18, v3
	v_fma_f32 v18, v18, v2, -v20
	v_fmac_f32_e32 v3, v19, v2
	v_add_f32_e32 v2, 0, v18
	v_add_f32_e32 v3, 0, v3
	s_and_saveexec_b64 s[20:21], s[14:15]
	s_cbranch_execz .LBB145_318
; %bb.317:
	v_lshlrev_b32_e32 v18, 3, v0
	v_mov_b32_e32 v20, 0
	ds_read_b64 v[18:19], v18 offset:24416
	ds_read_b64 v[20:21], v20 offset:24440
	s_waitcnt lgkmcnt(0)
	v_mul_f32_e32 v22, v21, v19
	v_mul_f32_e32 v19, v20, v19
	v_fma_f32 v20, v20, v18, -v22
	v_fmac_f32_e32 v19, v21, v18
	v_add_f32_e32 v2, v2, v20
	v_add_f32_e32 v3, v3, v19
.LBB145_318:
	s_or_b64 exec, exec, s[20:21]
.LBB145_319:
	s_or_b64 exec, exec, s[16:17]
	s_and_saveexec_b64 s[14:15], s[44:45]
; %bb.320:
	v_xor_b32_e32 v19, 0x80000000, v3
	v_xor_b32_e32 v18, 0x80000000, v2
	ds_write_b64 v6, v[18:19]
; %bb.321:
	s_or_b64 exec, exec, s[14:15]
	s_waitcnt lgkmcnt(0)
	s_barrier
	s_and_saveexec_b64 s[14:15], s[42:43]
	s_cbranch_execz .LBB145_323
; %bb.322:
	v_mov_b32_e32 v18, 0
	ds_read_b64 v[18:19], v18 offset:23392
	ds_read_b64 v[20:21], v6
	s_waitcnt lgkmcnt(0)
	v_mul_f32_e32 v22, v20, v18
	v_mul_f32_e32 v20, v20, v19
	v_fmac_f32_e32 v20, v21, v18
	v_fma_f32 v18, v21, v19, -v22
	v_add_f32_e32 v2, v2, v18
	v_sub_f32_e32 v3, v3, v20
.LBB145_323:
	s_or_b64 exec, exec, s[14:15]
	s_barrier
	s_and_saveexec_b64 s[14:15], s[42:43]
; %bb.324:
	v_xor_b32_e32 v19, 0x80000000, v3
	v_xor_b32_e32 v18, 0x80000000, v2
	ds_write_b64 v6, v[18:19]
; %bb.325:
	s_or_b64 exec, exec, s[14:15]
	s_waitcnt lgkmcnt(0)
	s_barrier
	s_barrier
	s_and_saveexec_b64 s[14:15], s[6:7]
; %bb.326:
	v_lshlrev_b32_e32 v18, 3, v4
	v_lshl_or_b32 v18, v5, 9, v18
	ds_write_b64 v18, v[2:3] offset:23904
; %bb.327:
	s_or_b64 exec, exec, s[14:15]
	s_waitcnt lgkmcnt(0)
	s_barrier
	s_barrier
	s_and_saveexec_b64 s[14:15], vcc
	s_cbranch_execz .LBB145_329
; %bb.328:
	s_mov_b64 s[16:17], 0x3f800000
	v_mov_b32_e32 v2, s16
	v_mov_b32_e32 v3, s17
	s_movk_i32 s16, 0x5800
	v_add_u32_e64 v18, s16, 0
	ds_write2_b64 v18, v[2:3], v[2:3] offset0:44 offset1:109
.LBB145_329:
	s_or_b64 exec, exec, s[14:15]
	v_mov_b32_e32 v3, 0
	v_mov_b32_e32 v2, 0
	s_waitcnt lgkmcnt(0)
	s_barrier
	buffer_wbinvl1_vol
	s_and_saveexec_b64 s[16:17], s[18:19]
	s_cbranch_execz .LBB145_335
; %bb.330:
	v_lshlrev_b32_e32 v18, 3, v9
	v_lshlrev_b32_e32 v19, 9, v10
	ds_read_b64 v[2:3], v18 offset:22848
	ds_read_b64 v[20:21], v19 offset:22880
	v_cmp_gt_u32_e64 s[14:15], 12, v8
	s_waitcnt lgkmcnt(0)
	v_mul_f32_e32 v22, v21, v3
	v_mul_f32_e32 v3, v20, v3
	v_fma_f32 v20, v20, v2, -v22
	v_fmac_f32_e32 v3, v21, v2
	v_add_f32_e32 v2, 0, v20
	v_add_f32_e32 v3, 0, v3
	s_and_saveexec_b64 s[20:21], s[14:15]
	s_cbranch_execnz .LBB145_1002
; %bb.331:
	s_or_b64 exec, exec, s[20:21]
	v_cmp_gt_u32_e64 s[14:15], 8, v8
	s_and_saveexec_b64 s[20:21], s[14:15]
	s_cbranch_execnz .LBB145_1003
.LBB145_332:
	s_or_b64 exec, exec, s[20:21]
	v_cmp_gt_u32_e64 s[14:15], 4, v8
	s_and_saveexec_b64 s[20:21], s[14:15]
	s_cbranch_execz .LBB145_334
.LBB145_333:
	v_lshlrev_b32_e32 v18, 3, v0
	v_mov_b32_e32 v20, 0
	ds_read_b64 v[18:19], v18 offset:24384
	ds_read_b64 v[20:21], v20 offset:24440
	s_waitcnt lgkmcnt(0)
	v_mul_f32_e32 v22, v21, v19
	v_mul_f32_e32 v19, v20, v19
	v_fma_f32 v20, v20, v18, -v22
	v_fmac_f32_e32 v19, v21, v18
	v_add_f32_e32 v2, v2, v20
	v_add_f32_e32 v3, v3, v19
.LBB145_334:
	s_or_b64 exec, exec, s[20:21]
.LBB145_335:
	s_or_b64 exec, exec, s[16:17]
	s_and_saveexec_b64 s[14:15], s[48:49]
; %bb.336:
	v_xor_b32_e32 v18, 0x80000000, v2
	v_xor_b32_e32 v19, 0x80000000, v3
	ds_write_b64 v11, v[18:19]
; %bb.337:
	s_or_b64 exec, exec, s[14:15]
	s_waitcnt lgkmcnt(0)
	s_barrier
	s_and_saveexec_b64 s[14:15], s[50:51]
	s_cbranch_execz .LBB145_339
; %bb.338:
	v_lshlrev_b32_e32 v18, 3, v9
	ds_read_b64 v[18:19], v18 offset:22336
	ds_read_b64 v[20:21], v11
	s_waitcnt lgkmcnt(0)
	v_mul_f32_e32 v22, v21, v19
	v_mul_f32_e32 v19, v20, v19
	v_fma_f32 v20, v20, v18, -v22
	v_fmac_f32_e32 v19, v21, v18
	v_sub_f32_e32 v2, v2, v20
	v_sub_f32_e32 v3, v3, v19
.LBB145_339:
	s_or_b64 exec, exec, s[14:15]
	s_barrier
	s_and_saveexec_b64 s[14:15], s[52:53]
; %bb.340:
	v_xor_b32_e32 v18, 0x80000000, v2
	v_xor_b32_e32 v19, 0x80000000, v3
	ds_write_b64 v11, v[18:19]
; %bb.341:
	s_or_b64 exec, exec, s[14:15]
	s_waitcnt lgkmcnt(0)
	s_barrier
	s_and_saveexec_b64 s[14:15], s[54:55]
	s_cbranch_execz .LBB145_343
; %bb.342:
	v_lshlrev_b32_e32 v18, 3, v9
	ds_read_b64 v[18:19], v18 offset:21824
	ds_read_b64 v[20:21], v11
	s_waitcnt lgkmcnt(0)
	v_mul_f32_e32 v22, v21, v19
	v_mul_f32_e32 v19, v20, v19
	v_fma_f32 v20, v20, v18, -v22
	v_fmac_f32_e32 v19, v21, v18
	v_sub_f32_e32 v2, v2, v20
	v_sub_f32_e32 v3, v3, v19
.LBB145_343:
	s_or_b64 exec, exec, s[14:15]
	s_barrier
	s_and_saveexec_b64 s[14:15], s[56:57]
; %bb.344:
	v_xor_b32_e32 v18, 0x80000000, v2
	v_xor_b32_e32 v19, 0x80000000, v3
	ds_write_b64 v11, v[18:19]
; %bb.345:
	s_or_b64 exec, exec, s[14:15]
	s_waitcnt lgkmcnt(0)
	s_barrier
	s_and_saveexec_b64 s[14:15], s[46:47]
	s_cbranch_execz .LBB145_347
; %bb.346:
	v_mov_b32_e32 v18, 0
	ds_read_b64 v[18:19], v18 offset:21312
	ds_read_b64 v[20:21], v11
	s_waitcnt lgkmcnt(0)
	v_mul_f32_e32 v22, v21, v19
	v_mul_f32_e32 v19, v20, v19
	v_fma_f32 v20, v20, v18, -v22
	v_fmac_f32_e32 v19, v21, v18
	v_sub_f32_e32 v2, v2, v20
	v_sub_f32_e32 v3, v3, v19
.LBB145_347:
	s_or_b64 exec, exec, s[14:15]
	s_barrier
	s_and_saveexec_b64 s[14:15], s[46:47]
; %bb.348:
	v_xor_b32_e32 v18, 0x80000000, v2
	v_xor_b32_e32 v19, 0x80000000, v3
	ds_write_b64 v11, v[18:19]
; %bb.349:
	s_or_b64 exec, exec, s[14:15]
	s_waitcnt lgkmcnt(0)
	s_barrier
	s_barrier
	s_and_saveexec_b64 s[14:15], s[18:19]
; %bb.350:
	v_lshlrev_b32_e32 v18, 3, v9
	v_lshl_or_b32 v18, v10, 9, v18
	ds_write_b64 v18, v[2:3] offset:22848
; %bb.351:
	s_or_b64 exec, exec, s[14:15]
	s_waitcnt lgkmcnt(0)
	s_barrier
	s_barrier
	s_and_saveexec_b64 s[14:15], vcc
	s_cbranch_execz .LBB145_353
; %bb.352:
	s_mov_b64 s[16:17], 0x3f800000
	v_mov_b32_e32 v2, s16
	v_mov_b32_e32 v3, s17
	s_movk_i32 s16, 0x5000
	v_add_u32_e64 v18, s16, 0
	ds_write2_b64 v18, v[2:3], v[2:3] offset0:170 offset1:235
.LBB145_353:
	s_or_b64 exec, exec, s[14:15]
	v_mov_b32_e32 v2, 0
	v_mov_b32_e32 v3, 0
	s_waitcnt lgkmcnt(0)
	s_barrier
	buffer_wbinvl1_vol
	s_and_saveexec_b64 s[16:17], s[6:7]
	s_cbranch_execz .LBB145_357
; %bb.354:
	v_lshlrev_b32_e32 v2, 3, v4
	v_lshlrev_b32_e32 v18, 9, v5
	ds_read_b64 v[2:3], v2 offset:21824
	ds_read_b64 v[18:19], v18 offset:21840
	v_cmp_gt_u32_e64 s[14:15], 2, v8
	s_waitcnt lgkmcnt(0)
	v_mul_f32_e32 v20, v19, v3
	v_mul_f32_e32 v3, v18, v3
	v_fma_f32 v18, v18, v2, -v20
	v_fmac_f32_e32 v3, v19, v2
	v_add_f32_e32 v2, 0, v18
	v_add_f32_e32 v3, 0, v3
	s_and_saveexec_b64 s[20:21], s[14:15]
	s_cbranch_execz .LBB145_356
; %bb.355:
	v_lshlrev_b32_e32 v18, 3, v0
	v_mov_b32_e32 v20, 0
	ds_read_b64 v[18:19], v18 offset:22336
	ds_read_b64 v[20:21], v20 offset:22360
	s_waitcnt lgkmcnt(0)
	v_mul_f32_e32 v22, v21, v19
	v_mul_f32_e32 v19, v20, v19
	v_fma_f32 v20, v20, v18, -v22
	v_fmac_f32_e32 v19, v21, v18
	v_add_f32_e32 v2, v2, v20
	v_add_f32_e32 v3, v3, v19
.LBB145_356:
	s_or_b64 exec, exec, s[20:21]
.LBB145_357:
	s_or_b64 exec, exec, s[16:17]
	s_and_saveexec_b64 s[14:15], s[44:45]
; %bb.358:
	v_xor_b32_e32 v19, 0x80000000, v3
	v_xor_b32_e32 v18, 0x80000000, v2
	ds_write_b64 v6, v[18:19]
; %bb.359:
	s_or_b64 exec, exec, s[14:15]
	s_waitcnt lgkmcnt(0)
	s_barrier
	s_and_saveexec_b64 s[14:15], s[42:43]
	s_cbranch_execz .LBB145_361
; %bb.360:
	v_mov_b32_e32 v18, 0
	ds_read_b64 v[18:19], v18 offset:21312
	ds_read_b64 v[20:21], v6
	s_waitcnt lgkmcnt(0)
	v_mul_f32_e32 v22, v20, v18
	v_mul_f32_e32 v20, v20, v19
	v_fmac_f32_e32 v20, v21, v18
	v_fma_f32 v18, v21, v19, -v22
	v_add_f32_e32 v2, v2, v18
	v_sub_f32_e32 v3, v3, v20
.LBB145_361:
	s_or_b64 exec, exec, s[14:15]
	s_barrier
	s_and_saveexec_b64 s[14:15], s[42:43]
; %bb.362:
	v_xor_b32_e32 v19, 0x80000000, v3
	v_xor_b32_e32 v18, 0x80000000, v2
	ds_write_b64 v6, v[18:19]
; %bb.363:
	s_or_b64 exec, exec, s[14:15]
	s_waitcnt lgkmcnt(0)
	s_barrier
	s_barrier
	s_and_saveexec_b64 s[14:15], s[6:7]
; %bb.364:
	v_lshlrev_b32_e32 v18, 3, v4
	v_lshl_or_b32 v18, v5, 9, v18
	ds_write_b64 v18, v[2:3] offset:21824
; %bb.365:
	s_or_b64 exec, exec, s[14:15]
	s_waitcnt lgkmcnt(0)
	s_barrier
	s_barrier
	s_and_saveexec_b64 s[14:15], vcc
	s_cbranch_execz .LBB145_367
; %bb.366:
	s_mov_b64 s[16:17], 0x3f800000
	v_mov_b32_e32 v2, s16
	v_mov_b32_e32 v3, s17
	s_movk_i32 s16, 0x5000
	v_add_u32_e64 v18, s16, 0
	ds_write2_b64 v18, v[2:3], v[2:3] offset0:40 offset1:105
.LBB145_367:
	s_or_b64 exec, exec, s[14:15]
	v_mov_b32_e32 v3, 0
	v_mov_b32_e32 v2, 0
	s_waitcnt lgkmcnt(0)
	s_barrier
	buffer_wbinvl1_vol
	s_and_saveexec_b64 s[16:17], s[10:11]
	s_cbranch_execz .LBB145_377
; %bb.368:
	v_lshlrev_b32_e32 v18, 3, v12
	v_lshlrev_b32_e32 v19, 9, v13
	ds_read_b64 v[2:3], v18 offset:20736
	ds_read_b64 v[20:21], v19 offset:20800
	v_cmp_gt_u32_e64 s[14:15], 56, v8
	s_waitcnt lgkmcnt(0)
	v_mul_f32_e32 v22, v21, v3
	v_mul_f32_e32 v3, v20, v3
	v_fma_f32 v20, v20, v2, -v22
	v_fmac_f32_e32 v3, v21, v2
	v_add_f32_e32 v2, 0, v20
	v_add_f32_e32 v3, 0, v3
	s_and_saveexec_b64 s[20:21], s[14:15]
	s_cbranch_execnz .LBB145_1004
; %bb.369:
	s_or_b64 exec, exec, s[20:21]
	v_cmp_gt_u32_e64 s[14:15], 48, v8
	s_and_saveexec_b64 s[20:21], s[14:15]
	s_cbranch_execnz .LBB145_1005
.LBB145_370:
	s_or_b64 exec, exec, s[20:21]
	v_cmp_gt_u32_e64 s[14:15], 40, v8
	s_and_saveexec_b64 s[20:21], s[14:15]
	s_cbranch_execnz .LBB145_1006
.LBB145_371:
	s_or_b64 exec, exec, s[20:21]
	v_cmp_gt_u32_e64 s[14:15], 32, v8
	s_and_saveexec_b64 s[20:21], s[14:15]
	s_cbranch_execnz .LBB145_1007
.LBB145_372:
	s_or_b64 exec, exec, s[20:21]
	v_cmp_gt_u32_e64 s[14:15], 24, v8
	s_and_saveexec_b64 s[20:21], s[14:15]
	s_cbranch_execnz .LBB145_1008
.LBB145_373:
	s_or_b64 exec, exec, s[20:21]
	s_and_saveexec_b64 s[14:15], s[18:19]
	s_cbranch_execnz .LBB145_1009
.LBB145_374:
	s_or_b64 exec, exec, s[14:15]
	v_cmp_gt_u32_e64 s[14:15], 8, v8
	s_and_saveexec_b64 s[20:21], s[14:15]
	s_cbranch_execz .LBB145_376
.LBB145_375:
	v_lshlrev_b32_e32 v18, 3, v0
	v_mov_b32_e32 v20, 0
	ds_read_b64 v[18:19], v18 offset:24320
	ds_read_b64 v[20:21], v20 offset:24440
	s_waitcnt lgkmcnt(0)
	v_mul_f32_e32 v22, v21, v19
	v_mul_f32_e32 v19, v20, v19
	v_fma_f32 v20, v20, v18, -v22
	v_fmac_f32_e32 v19, v21, v18
	v_add_f32_e32 v2, v2, v20
	v_add_f32_e32 v3, v3, v19
.LBB145_376:
	s_or_b64 exec, exec, s[20:21]
.LBB145_377:
	s_or_b64 exec, exec, s[16:17]
	s_and_saveexec_b64 s[14:15], s[60:61]
; %bb.378:
	v_xor_b32_e32 v19, 0x80000000, v3
	v_xor_b32_e32 v18, 0x80000000, v2
	ds_write_b64 v14, v[18:19]
; %bb.379:
	s_or_b64 exec, exec, s[14:15]
	s_waitcnt lgkmcnt(0)
	s_barrier
	s_and_saveexec_b64 s[14:15], s[62:63]
	s_cbranch_execz .LBB145_381
; %bb.380:
	v_lshlrev_b32_e32 v18, 3, v12
	ds_read_b64 v[18:19], v18 offset:20224
	ds_read_b64 v[20:21], v14
	s_waitcnt lgkmcnt(0)
	v_mul_f32_e32 v22, v21, v19
	v_mul_f32_e32 v19, v20, v19
	v_fma_f32 v20, v20, v18, -v22
	v_fmac_f32_e32 v19, v21, v18
	v_sub_f32_e32 v2, v2, v20
	v_sub_f32_e32 v3, v3, v19
.LBB145_381:
	s_or_b64 exec, exec, s[14:15]
	s_barrier
	s_and_saveexec_b64 s[14:15], s[64:65]
; %bb.382:
	v_xor_b32_e32 v19, 0x80000000, v3
	v_xor_b32_e32 v18, 0x80000000, v2
	ds_write_b64 v14, v[18:19]
; %bb.383:
	s_or_b64 exec, exec, s[14:15]
	s_waitcnt lgkmcnt(0)
	s_barrier
	s_and_saveexec_b64 s[14:15], s[66:67]
	s_cbranch_execz .LBB145_385
; %bb.384:
	v_lshlrev_b32_e32 v18, 3, v12
	ds_read_b64 v[18:19], v18 offset:19712
	ds_read_b64 v[20:21], v14
	s_waitcnt lgkmcnt(0)
	v_mul_f32_e32 v22, v21, v19
	v_mul_f32_e32 v19, v20, v19
	v_fma_f32 v20, v20, v18, -v22
	v_fmac_f32_e32 v19, v21, v18
	v_sub_f32_e32 v2, v2, v20
	v_sub_f32_e32 v3, v3, v19
.LBB145_385:
	s_or_b64 exec, exec, s[14:15]
	s_barrier
	;; [unrolled: 25-line block ×6, first 2 shown]
	s_and_saveexec_b64 s[14:15], s[84:85]
; %bb.402:
	v_xor_b32_e32 v19, 0x80000000, v3
	v_xor_b32_e32 v18, 0x80000000, v2
	ds_write_b64 v14, v[18:19]
; %bb.403:
	s_or_b64 exec, exec, s[14:15]
	s_waitcnt lgkmcnt(0)
	s_barrier
	s_and_saveexec_b64 s[14:15], s[58:59]
	s_cbranch_execz .LBB145_405
; %bb.404:
	v_mov_b32_e32 v18, 0
	ds_read_b64 v[18:19], v18 offset:17152
	ds_read_b64 v[20:21], v14
	s_waitcnt lgkmcnt(0)
	v_mul_f32_e32 v22, v21, v19
	v_mul_f32_e32 v19, v20, v19
	v_fma_f32 v20, v20, v18, -v22
	v_fmac_f32_e32 v19, v21, v18
	v_sub_f32_e32 v2, v2, v20
	v_sub_f32_e32 v3, v3, v19
.LBB145_405:
	s_or_b64 exec, exec, s[14:15]
	s_barrier
	s_and_saveexec_b64 s[14:15], s[58:59]
; %bb.406:
	v_xor_b32_e32 v19, 0x80000000, v3
	v_xor_b32_e32 v18, 0x80000000, v2
	ds_write_b64 v14, v[18:19]
; %bb.407:
	s_or_b64 exec, exec, s[14:15]
	s_waitcnt lgkmcnt(0)
	s_barrier
	s_barrier
	s_and_saveexec_b64 s[14:15], s[10:11]
; %bb.408:
	v_lshlrev_b32_e32 v18, 3, v12
	v_lshl_or_b32 v18, v13, 9, v18
	ds_write_b64 v18, v[2:3] offset:20736
; %bb.409:
	s_or_b64 exec, exec, s[14:15]
	s_waitcnt lgkmcnt(0)
	s_barrier
	s_barrier
	s_and_saveexec_b64 s[14:15], vcc
	s_cbranch_execz .LBB145_411
; %bb.410:
	s_mov_b64 s[16:17], 0x3f800000
	v_mov_b32_e32 v2, s16
	v_mov_b32_e32 v3, s17
	s_movk_i32 s16, 0x4800
	v_add_u32_e64 v18, s16, 0
	ds_write2_b64 v18, v[2:3], v[2:3] offset0:166 offset1:231
.LBB145_411:
	s_or_b64 exec, exec, s[14:15]
	v_mov_b32_e32 v2, 0
	v_mov_b32_e32 v3, 0
	s_waitcnt lgkmcnt(0)
	s_barrier
	buffer_wbinvl1_vol
	s_and_saveexec_b64 s[16:17], s[6:7]
	s_cbranch_execz .LBB145_415
; %bb.412:
	v_lshlrev_b32_e32 v2, 3, v4
	v_lshlrev_b32_e32 v18, 9, v5
	ds_read_b64 v[2:3], v2 offset:19744
	ds_read_b64 v[18:19], v18 offset:19760
	v_cmp_gt_u32_e64 s[14:15], 2, v8
	s_waitcnt lgkmcnt(0)
	v_mul_f32_e32 v20, v19, v3
	v_mul_f32_e32 v3, v18, v3
	v_fma_f32 v18, v18, v2, -v20
	v_fmac_f32_e32 v3, v19, v2
	v_add_f32_e32 v2, 0, v18
	v_add_f32_e32 v3, 0, v3
	s_and_saveexec_b64 s[20:21], s[14:15]
	s_cbranch_execz .LBB145_414
; %bb.413:
	v_lshlrev_b32_e32 v18, 3, v0
	v_mov_b32_e32 v20, 0
	ds_read_b64 v[18:19], v18 offset:20256
	ds_read_b64 v[20:21], v20 offset:20280
	s_waitcnt lgkmcnt(0)
	v_mul_f32_e32 v22, v21, v19
	v_mul_f32_e32 v19, v20, v19
	v_fma_f32 v20, v20, v18, -v22
	v_fmac_f32_e32 v19, v21, v18
	v_add_f32_e32 v2, v2, v20
	v_add_f32_e32 v3, v3, v19
.LBB145_414:
	s_or_b64 exec, exec, s[20:21]
.LBB145_415:
	s_or_b64 exec, exec, s[16:17]
	s_and_saveexec_b64 s[14:15], s[44:45]
; %bb.416:
	v_xor_b32_e32 v19, 0x80000000, v3
	v_xor_b32_e32 v18, 0x80000000, v2
	ds_write_b64 v6, v[18:19]
; %bb.417:
	s_or_b64 exec, exec, s[14:15]
	s_waitcnt lgkmcnt(0)
	s_barrier
	s_and_saveexec_b64 s[14:15], s[42:43]
	s_cbranch_execz .LBB145_419
; %bb.418:
	v_mov_b32_e32 v18, 0
	ds_read_b64 v[18:19], v18 offset:19232
	ds_read_b64 v[20:21], v6
	s_waitcnt lgkmcnt(0)
	v_mul_f32_e32 v22, v20, v18
	v_mul_f32_e32 v20, v20, v19
	v_fmac_f32_e32 v20, v21, v18
	v_fma_f32 v18, v21, v19, -v22
	v_add_f32_e32 v2, v2, v18
	v_sub_f32_e32 v3, v3, v20
.LBB145_419:
	s_or_b64 exec, exec, s[14:15]
	s_barrier
	s_and_saveexec_b64 s[14:15], s[42:43]
; %bb.420:
	v_xor_b32_e32 v19, 0x80000000, v3
	v_xor_b32_e32 v18, 0x80000000, v2
	ds_write_b64 v6, v[18:19]
; %bb.421:
	s_or_b64 exec, exec, s[14:15]
	s_waitcnt lgkmcnt(0)
	s_barrier
	s_barrier
	s_and_saveexec_b64 s[14:15], s[6:7]
; %bb.422:
	v_lshlrev_b32_e32 v18, 3, v4
	v_lshl_or_b32 v18, v5, 9, v18
	ds_write_b64 v18, v[2:3] offset:19744
; %bb.423:
	s_or_b64 exec, exec, s[14:15]
	s_waitcnt lgkmcnt(0)
	s_barrier
	s_barrier
	s_and_saveexec_b64 s[14:15], vcc
	s_cbranch_execz .LBB145_425
; %bb.424:
	s_mov_b64 s[16:17], 0x3f800000
	v_mov_b32_e32 v2, s16
	v_mov_b32_e32 v3, s17
	s_movk_i32 s16, 0x4800
	v_add_u32_e64 v18, s16, 0
	ds_write2_b64 v18, v[2:3], v[2:3] offset0:36 offset1:101
.LBB145_425:
	s_or_b64 exec, exec, s[14:15]
	v_mov_b32_e32 v3, 0
	v_mov_b32_e32 v2, 0
	s_waitcnt lgkmcnt(0)
	s_barrier
	buffer_wbinvl1_vol
	s_and_saveexec_b64 s[16:17], s[18:19]
	s_cbranch_execz .LBB145_431
; %bb.426:
	v_lshlrev_b32_e32 v18, 3, v9
	v_lshlrev_b32_e32 v19, 9, v10
	ds_read_b64 v[2:3], v18 offset:18688
	ds_read_b64 v[20:21], v19 offset:18720
	v_cmp_gt_u32_e64 s[14:15], 12, v8
	s_waitcnt lgkmcnt(0)
	v_mul_f32_e32 v22, v21, v3
	v_mul_f32_e32 v3, v20, v3
	v_fma_f32 v20, v20, v2, -v22
	v_fmac_f32_e32 v3, v21, v2
	v_add_f32_e32 v2, 0, v20
	v_add_f32_e32 v3, 0, v3
	s_and_saveexec_b64 s[20:21], s[14:15]
	s_cbranch_execnz .LBB145_1010
; %bb.427:
	s_or_b64 exec, exec, s[20:21]
	v_cmp_gt_u32_e64 s[14:15], 8, v8
	s_and_saveexec_b64 s[20:21], s[14:15]
	s_cbranch_execnz .LBB145_1011
.LBB145_428:
	s_or_b64 exec, exec, s[20:21]
	v_cmp_gt_u32_e64 s[14:15], 4, v8
	s_and_saveexec_b64 s[20:21], s[14:15]
	s_cbranch_execz .LBB145_430
.LBB145_429:
	v_lshlrev_b32_e32 v18, 3, v0
	v_mov_b32_e32 v20, 0
	ds_read_b64 v[18:19], v18 offset:20224
	ds_read_b64 v[20:21], v20 offset:20280
	s_waitcnt lgkmcnt(0)
	v_mul_f32_e32 v22, v21, v19
	v_mul_f32_e32 v19, v20, v19
	v_fma_f32 v20, v20, v18, -v22
	v_fmac_f32_e32 v19, v21, v18
	v_add_f32_e32 v2, v2, v20
	v_add_f32_e32 v3, v3, v19
.LBB145_430:
	s_or_b64 exec, exec, s[20:21]
.LBB145_431:
	s_or_b64 exec, exec, s[16:17]
	s_and_saveexec_b64 s[14:15], s[48:49]
; %bb.432:
	v_xor_b32_e32 v18, 0x80000000, v2
	v_xor_b32_e32 v19, 0x80000000, v3
	ds_write_b64 v11, v[18:19]
; %bb.433:
	s_or_b64 exec, exec, s[14:15]
	s_waitcnt lgkmcnt(0)
	s_barrier
	s_and_saveexec_b64 s[14:15], s[50:51]
	s_cbranch_execz .LBB145_435
; %bb.434:
	v_lshlrev_b32_e32 v18, 3, v9
	ds_read_b64 v[18:19], v18 offset:18176
	ds_read_b64 v[20:21], v11
	s_waitcnt lgkmcnt(0)
	v_mul_f32_e32 v22, v21, v19
	v_mul_f32_e32 v19, v20, v19
	v_fma_f32 v20, v20, v18, -v22
	v_fmac_f32_e32 v19, v21, v18
	v_sub_f32_e32 v2, v2, v20
	v_sub_f32_e32 v3, v3, v19
.LBB145_435:
	s_or_b64 exec, exec, s[14:15]
	s_barrier
	s_and_saveexec_b64 s[14:15], s[52:53]
; %bb.436:
	v_xor_b32_e32 v18, 0x80000000, v2
	v_xor_b32_e32 v19, 0x80000000, v3
	ds_write_b64 v11, v[18:19]
; %bb.437:
	s_or_b64 exec, exec, s[14:15]
	s_waitcnt lgkmcnt(0)
	s_barrier
	s_and_saveexec_b64 s[14:15], s[54:55]
	s_cbranch_execz .LBB145_439
; %bb.438:
	v_lshlrev_b32_e32 v18, 3, v9
	ds_read_b64 v[18:19], v18 offset:17664
	ds_read_b64 v[20:21], v11
	s_waitcnt lgkmcnt(0)
	v_mul_f32_e32 v22, v21, v19
	v_mul_f32_e32 v19, v20, v19
	v_fma_f32 v20, v20, v18, -v22
	v_fmac_f32_e32 v19, v21, v18
	v_sub_f32_e32 v2, v2, v20
	v_sub_f32_e32 v3, v3, v19
.LBB145_439:
	s_or_b64 exec, exec, s[14:15]
	s_barrier
	s_and_saveexec_b64 s[14:15], s[56:57]
; %bb.440:
	v_xor_b32_e32 v18, 0x80000000, v2
	v_xor_b32_e32 v19, 0x80000000, v3
	ds_write_b64 v11, v[18:19]
; %bb.441:
	s_or_b64 exec, exec, s[14:15]
	s_waitcnt lgkmcnt(0)
	s_barrier
	s_and_saveexec_b64 s[14:15], s[46:47]
	s_cbranch_execz .LBB145_443
; %bb.442:
	v_mov_b32_e32 v18, 0
	ds_read_b64 v[18:19], v18 offset:17152
	ds_read_b64 v[20:21], v11
	s_waitcnt lgkmcnt(0)
	v_mul_f32_e32 v22, v21, v19
	v_mul_f32_e32 v19, v20, v19
	v_fma_f32 v20, v20, v18, -v22
	v_fmac_f32_e32 v19, v21, v18
	v_sub_f32_e32 v2, v2, v20
	v_sub_f32_e32 v3, v3, v19
.LBB145_443:
	s_or_b64 exec, exec, s[14:15]
	s_barrier
	s_and_saveexec_b64 s[14:15], s[46:47]
; %bb.444:
	v_xor_b32_e32 v18, 0x80000000, v2
	v_xor_b32_e32 v19, 0x80000000, v3
	ds_write_b64 v11, v[18:19]
; %bb.445:
	s_or_b64 exec, exec, s[14:15]
	s_waitcnt lgkmcnt(0)
	s_barrier
	s_barrier
	s_and_saveexec_b64 s[14:15], s[18:19]
; %bb.446:
	v_lshlrev_b32_e32 v18, 3, v9
	v_lshl_or_b32 v18, v10, 9, v18
	ds_write_b64 v18, v[2:3] offset:18688
; %bb.447:
	s_or_b64 exec, exec, s[14:15]
	s_waitcnt lgkmcnt(0)
	s_barrier
	s_barrier
	s_and_saveexec_b64 s[14:15], vcc
	s_cbranch_execz .LBB145_449
; %bb.448:
	s_mov_b64 s[16:17], 0x3f800000
	v_mov_b32_e32 v2, s16
	v_mov_b32_e32 v3, s17
	s_movk_i32 s16, 0x4000
	v_add_u32_e64 v18, s16, 0
	ds_write2_b64 v18, v[2:3], v[2:3] offset0:162 offset1:227
.LBB145_449:
	s_or_b64 exec, exec, s[14:15]
	v_mov_b32_e32 v2, 0
	v_mov_b32_e32 v3, 0
	s_waitcnt lgkmcnt(0)
	s_barrier
	buffer_wbinvl1_vol
	s_and_saveexec_b64 s[16:17], s[6:7]
	s_cbranch_execz .LBB145_453
; %bb.450:
	v_lshlrev_b32_e32 v2, 3, v4
	v_lshlrev_b32_e32 v18, 9, v5
	ds_read_b64 v[2:3], v2 offset:17664
	ds_read_b64 v[18:19], v18 offset:17680
	v_cmp_gt_u32_e64 s[14:15], 2, v8
	s_waitcnt lgkmcnt(0)
	v_mul_f32_e32 v20, v19, v3
	v_mul_f32_e32 v3, v18, v3
	v_fma_f32 v18, v18, v2, -v20
	v_fmac_f32_e32 v3, v19, v2
	v_add_f32_e32 v2, 0, v18
	v_add_f32_e32 v3, 0, v3
	s_and_saveexec_b64 s[20:21], s[14:15]
	s_cbranch_execz .LBB145_452
; %bb.451:
	v_lshlrev_b32_e32 v18, 3, v0
	v_mov_b32_e32 v20, 0
	ds_read_b64 v[18:19], v18 offset:18176
	ds_read_b64 v[20:21], v20 offset:18200
	s_waitcnt lgkmcnt(0)
	v_mul_f32_e32 v22, v21, v19
	v_mul_f32_e32 v19, v20, v19
	v_fma_f32 v20, v20, v18, -v22
	v_fmac_f32_e32 v19, v21, v18
	v_add_f32_e32 v2, v2, v20
	v_add_f32_e32 v3, v3, v19
.LBB145_452:
	s_or_b64 exec, exec, s[20:21]
.LBB145_453:
	s_or_b64 exec, exec, s[16:17]
	s_and_saveexec_b64 s[14:15], s[44:45]
; %bb.454:
	v_xor_b32_e32 v19, 0x80000000, v3
	v_xor_b32_e32 v18, 0x80000000, v2
	ds_write_b64 v6, v[18:19]
; %bb.455:
	s_or_b64 exec, exec, s[14:15]
	s_waitcnt lgkmcnt(0)
	s_barrier
	s_and_saveexec_b64 s[14:15], s[42:43]
	s_cbranch_execz .LBB145_457
; %bb.456:
	v_mov_b32_e32 v18, 0
	ds_read_b64 v[18:19], v18 offset:17152
	ds_read_b64 v[20:21], v6
	s_waitcnt lgkmcnt(0)
	v_mul_f32_e32 v22, v20, v18
	v_mul_f32_e32 v20, v20, v19
	v_fmac_f32_e32 v20, v21, v18
	v_fma_f32 v18, v21, v19, -v22
	v_add_f32_e32 v2, v2, v18
	v_sub_f32_e32 v3, v3, v20
.LBB145_457:
	s_or_b64 exec, exec, s[14:15]
	s_barrier
	s_and_saveexec_b64 s[14:15], s[42:43]
; %bb.458:
	v_xor_b32_e32 v19, 0x80000000, v3
	v_xor_b32_e32 v18, 0x80000000, v2
	ds_write_b64 v6, v[18:19]
; %bb.459:
	s_or_b64 exec, exec, s[14:15]
	s_waitcnt lgkmcnt(0)
	s_barrier
	s_barrier
	s_and_saveexec_b64 s[14:15], s[6:7]
; %bb.460:
	v_lshlrev_b32_e32 v18, 3, v4
	v_lshl_or_b32 v18, v5, 9, v18
	ds_write_b64 v18, v[2:3] offset:17664
; %bb.461:
	s_or_b64 exec, exec, s[14:15]
	s_waitcnt lgkmcnt(0)
	s_barrier
	s_barrier
	s_and_saveexec_b64 s[14:15], vcc
	s_cbranch_execz .LBB145_463
; %bb.462:
	s_mov_b64 s[16:17], 0x3f800000
	v_mov_b32_e32 v2, s16
	v_mov_b32_e32 v3, s17
	s_movk_i32 s16, 0x4000
	v_add_u32_e64 v18, s16, 0
	ds_write2_b64 v18, v[2:3], v[2:3] offset0:32 offset1:97
.LBB145_463:
	s_or_b64 exec, exec, s[14:15]
	s_movk_i32 s14, 0x3ff
	v_lshrrev_b32_e32 v20, 5, v8
	v_cmp_lt_u32_e64 s[16:17], s14, v8
	s_movk_i32 s14, 0x400
	v_and_b32_e32 v18, 31, v0
	v_sub_u32_e32 v19, 31, v20
	v_cmp_gt_u32_e64 s[14:15], s14, v8
	v_mov_b32_e32 v3, 0
	v_mov_b32_e32 v2, 0
	s_waitcnt lgkmcnt(0)
	s_barrier
	buffer_wbinvl1_vol
	s_and_saveexec_b64 s[92:93], s[14:15]
	s_cbranch_execz .LBB145_525
; %bb.464:
	v_lshlrev_b32_e32 v21, 3, v18
	v_lshlrev_b32_e32 v22, 9, v19
	ds_read_b64 v[2:3], v21 offset:16384
	ds_read_b64 v[23:24], v22 offset:16640
	s_movk_i32 s20, 0x3e0
	v_cmp_gt_u32_e64 s[20:21], s20, v8
	s_waitcnt lgkmcnt(0)
	v_mul_f32_e32 v25, v24, v3
	v_mul_f32_e32 v3, v23, v3
	v_fma_f32 v23, v23, v2, -v25
	v_fmac_f32_e32 v3, v24, v2
	v_add_f32_e32 v2, 0, v23
	v_add_f32_e32 v3, 0, v3
	s_and_saveexec_b64 s[86:87], s[20:21]
	s_cbranch_execz .LBB145_466
; %bb.465:
	ds_read_b64 v[23:24], v21 offset:16896
	ds_read_b64 v[25:26], v22 offset:16648
	s_waitcnt lgkmcnt(0)
	v_mul_f32_e32 v27, v26, v24
	v_mul_f32_e32 v24, v25, v24
	v_fma_f32 v25, v25, v23, -v27
	v_fmac_f32_e32 v24, v26, v23
	v_add_f32_e32 v2, v2, v25
	v_add_f32_e32 v3, v3, v24
.LBB145_466:
	s_or_b64 exec, exec, s[86:87]
	s_movk_i32 s20, 0x3c0
	v_cmp_gt_u32_e64 s[20:21], s20, v8
	s_and_saveexec_b64 s[86:87], s[20:21]
	s_cbranch_execz .LBB145_468
; %bb.467:
	ds_read_b64 v[23:24], v21 offset:17408
	ds_read_b64 v[25:26], v22 offset:16656
	s_waitcnt lgkmcnt(0)
	v_mul_f32_e32 v27, v26, v24
	v_mul_f32_e32 v24, v25, v24
	v_fma_f32 v25, v25, v23, -v27
	v_fmac_f32_e32 v24, v26, v23
	v_add_f32_e32 v2, v2, v25
	v_add_f32_e32 v3, v3, v24
.LBB145_468:
	s_or_b64 exec, exec, s[86:87]
	s_movk_i32 s20, 0x3a0
	v_cmp_gt_u32_e64 s[20:21], s20, v8
	s_and_saveexec_b64 s[86:87], s[20:21]
	s_cbranch_execz .LBB145_470
; %bb.469:
	ds_read_b64 v[23:24], v21 offset:17920
	ds_read_b64 v[25:26], v22 offset:16664
	s_waitcnt lgkmcnt(0)
	v_mul_f32_e32 v27, v26, v24
	v_mul_f32_e32 v24, v25, v24
	v_fma_f32 v25, v25, v23, -v27
	v_fmac_f32_e32 v24, v26, v23
	v_add_f32_e32 v2, v2, v25
	v_add_f32_e32 v3, v3, v24
.LBB145_470:
	s_or_b64 exec, exec, s[86:87]
	s_movk_i32 s20, 0x380
	v_cmp_gt_u32_e64 s[20:21], s20, v8
	s_and_saveexec_b64 s[86:87], s[20:21]
	s_cbranch_execz .LBB145_472
; %bb.471:
	ds_read_b64 v[23:24], v21 offset:18432
	ds_read_b64 v[25:26], v22 offset:16672
	s_waitcnt lgkmcnt(0)
	v_mul_f32_e32 v27, v26, v24
	v_mul_f32_e32 v24, v25, v24
	v_fma_f32 v25, v25, v23, -v27
	v_fmac_f32_e32 v24, v26, v23
	v_add_f32_e32 v2, v2, v25
	v_add_f32_e32 v3, v3, v24
.LBB145_472:
	s_or_b64 exec, exec, s[86:87]
	s_movk_i32 s20, 0x360
	v_cmp_gt_u32_e64 s[20:21], s20, v8
	s_and_saveexec_b64 s[86:87], s[20:21]
	s_cbranch_execz .LBB145_474
; %bb.473:
	ds_read_b64 v[23:24], v21 offset:18944
	ds_read_b64 v[25:26], v22 offset:16680
	s_waitcnt lgkmcnt(0)
	v_mul_f32_e32 v27, v26, v24
	v_mul_f32_e32 v24, v25, v24
	v_fma_f32 v25, v25, v23, -v27
	v_fmac_f32_e32 v24, v26, v23
	v_add_f32_e32 v2, v2, v25
	v_add_f32_e32 v3, v3, v24
.LBB145_474:
	s_or_b64 exec, exec, s[86:87]
	s_movk_i32 s20, 0x340
	v_cmp_gt_u32_e64 s[20:21], s20, v8
	s_and_saveexec_b64 s[86:87], s[20:21]
	s_cbranch_execz .LBB145_476
; %bb.475:
	ds_read_b64 v[23:24], v21 offset:19456
	ds_read_b64 v[25:26], v22 offset:16688
	s_waitcnt lgkmcnt(0)
	v_mul_f32_e32 v27, v26, v24
	v_mul_f32_e32 v24, v25, v24
	v_fma_f32 v25, v25, v23, -v27
	v_fmac_f32_e32 v24, v26, v23
	v_add_f32_e32 v2, v2, v25
	v_add_f32_e32 v3, v3, v24
.LBB145_476:
	s_or_b64 exec, exec, s[86:87]
	s_movk_i32 s20, 0x320
	v_cmp_gt_u32_e64 s[20:21], s20, v8
	s_and_saveexec_b64 s[86:87], s[20:21]
	s_cbranch_execz .LBB145_478
; %bb.477:
	ds_read_b64 v[23:24], v21 offset:19968
	ds_read_b64 v[25:26], v22 offset:16696
	s_waitcnt lgkmcnt(0)
	v_mul_f32_e32 v27, v26, v24
	v_mul_f32_e32 v24, v25, v24
	v_fma_f32 v25, v25, v23, -v27
	v_fmac_f32_e32 v24, v26, v23
	v_add_f32_e32 v2, v2, v25
	v_add_f32_e32 v3, v3, v24
.LBB145_478:
	s_or_b64 exec, exec, s[86:87]
	s_movk_i32 s20, 0x300
	v_cmp_gt_u32_e64 s[20:21], s20, v8
	s_and_saveexec_b64 s[86:87], s[20:21]
	s_cbranch_execz .LBB145_480
; %bb.479:
	ds_read_b64 v[23:24], v21 offset:20480
	ds_read_b64 v[25:26], v22 offset:16704
	s_waitcnt lgkmcnt(0)
	v_mul_f32_e32 v27, v26, v24
	v_mul_f32_e32 v24, v25, v24
	v_fma_f32 v25, v25, v23, -v27
	v_fmac_f32_e32 v24, v26, v23
	v_add_f32_e32 v2, v2, v25
	v_add_f32_e32 v3, v3, v24
.LBB145_480:
	s_or_b64 exec, exec, s[86:87]
	s_movk_i32 s20, 0x2e0
	v_cmp_gt_u32_e64 s[20:21], s20, v8
	s_and_saveexec_b64 s[86:87], s[20:21]
	s_cbranch_execz .LBB145_482
; %bb.481:
	ds_read_b64 v[23:24], v21 offset:20992
	ds_read_b64 v[25:26], v22 offset:16712
	s_waitcnt lgkmcnt(0)
	v_mul_f32_e32 v27, v26, v24
	v_mul_f32_e32 v24, v25, v24
	v_fma_f32 v25, v25, v23, -v27
	v_fmac_f32_e32 v24, v26, v23
	v_add_f32_e32 v2, v2, v25
	v_add_f32_e32 v3, v3, v24
.LBB145_482:
	s_or_b64 exec, exec, s[86:87]
	s_movk_i32 s20, 0x2c0
	v_cmp_gt_u32_e64 s[20:21], s20, v8
	s_and_saveexec_b64 s[86:87], s[20:21]
	s_cbranch_execz .LBB145_484
; %bb.483:
	ds_read_b64 v[23:24], v21 offset:21504
	ds_read_b64 v[25:26], v22 offset:16720
	s_waitcnt lgkmcnt(0)
	v_mul_f32_e32 v27, v26, v24
	v_mul_f32_e32 v24, v25, v24
	v_fma_f32 v25, v25, v23, -v27
	v_fmac_f32_e32 v24, v26, v23
	v_add_f32_e32 v2, v2, v25
	v_add_f32_e32 v3, v3, v24
.LBB145_484:
	s_or_b64 exec, exec, s[86:87]
	s_movk_i32 s20, 0x2a0
	v_cmp_gt_u32_e64 s[20:21], s20, v8
	s_and_saveexec_b64 s[86:87], s[20:21]
	s_cbranch_execz .LBB145_486
; %bb.485:
	ds_read_b64 v[23:24], v21 offset:22016
	ds_read_b64 v[25:26], v22 offset:16728
	s_waitcnt lgkmcnt(0)
	v_mul_f32_e32 v27, v26, v24
	v_mul_f32_e32 v24, v25, v24
	v_fma_f32 v25, v25, v23, -v27
	v_fmac_f32_e32 v24, v26, v23
	v_add_f32_e32 v2, v2, v25
	v_add_f32_e32 v3, v3, v24
.LBB145_486:
	s_or_b64 exec, exec, s[86:87]
	s_movk_i32 s20, 0x280
	v_cmp_gt_u32_e64 s[20:21], s20, v8
	s_and_saveexec_b64 s[86:87], s[20:21]
	s_cbranch_execz .LBB145_488
; %bb.487:
	ds_read_b64 v[23:24], v21 offset:22528
	ds_read_b64 v[25:26], v22 offset:16736
	s_waitcnt lgkmcnt(0)
	v_mul_f32_e32 v27, v26, v24
	v_mul_f32_e32 v24, v25, v24
	v_fma_f32 v25, v25, v23, -v27
	v_fmac_f32_e32 v24, v26, v23
	v_add_f32_e32 v2, v2, v25
	v_add_f32_e32 v3, v3, v24
.LBB145_488:
	s_or_b64 exec, exec, s[86:87]
	s_movk_i32 s20, 0x260
	v_cmp_gt_u32_e64 s[20:21], s20, v8
	s_and_saveexec_b64 s[86:87], s[20:21]
	s_cbranch_execz .LBB145_490
; %bb.489:
	ds_read_b64 v[23:24], v21 offset:23040
	ds_read_b64 v[25:26], v22 offset:16744
	s_waitcnt lgkmcnt(0)
	v_mul_f32_e32 v27, v26, v24
	v_mul_f32_e32 v24, v25, v24
	v_fma_f32 v25, v25, v23, -v27
	v_fmac_f32_e32 v24, v26, v23
	v_add_f32_e32 v2, v2, v25
	v_add_f32_e32 v3, v3, v24
.LBB145_490:
	s_or_b64 exec, exec, s[86:87]
	s_movk_i32 s20, 0x240
	v_cmp_gt_u32_e64 s[20:21], s20, v8
	s_and_saveexec_b64 s[86:87], s[20:21]
	s_cbranch_execz .LBB145_492
; %bb.491:
	ds_read_b64 v[23:24], v21 offset:23552
	ds_read_b64 v[25:26], v22 offset:16752
	s_waitcnt lgkmcnt(0)
	v_mul_f32_e32 v27, v26, v24
	v_mul_f32_e32 v24, v25, v24
	v_fma_f32 v25, v25, v23, -v27
	v_fmac_f32_e32 v24, v26, v23
	v_add_f32_e32 v2, v2, v25
	v_add_f32_e32 v3, v3, v24
.LBB145_492:
	s_or_b64 exec, exec, s[86:87]
	s_movk_i32 s20, 0x220
	v_cmp_gt_u32_e64 s[20:21], s20, v8
	s_and_saveexec_b64 s[86:87], s[20:21]
	s_cbranch_execz .LBB145_494
; %bb.493:
	ds_read_b64 v[23:24], v21 offset:24064
	ds_read_b64 v[25:26], v22 offset:16760
	s_waitcnt lgkmcnt(0)
	v_mul_f32_e32 v27, v26, v24
	v_mul_f32_e32 v24, v25, v24
	v_fma_f32 v25, v25, v23, -v27
	v_fmac_f32_e32 v24, v26, v23
	v_add_f32_e32 v2, v2, v25
	v_add_f32_e32 v3, v3, v24
.LBB145_494:
	s_or_b64 exec, exec, s[86:87]
	s_movk_i32 s20, 0x200
	v_cmp_gt_u32_e64 s[20:21], s20, v8
	s_and_saveexec_b64 s[86:87], s[20:21]
	s_cbranch_execz .LBB145_496
; %bb.495:
	ds_read_b64 v[23:24], v21 offset:24576
	ds_read_b64 v[25:26], v22 offset:16768
	s_waitcnt lgkmcnt(0)
	v_mul_f32_e32 v27, v26, v24
	v_mul_f32_e32 v24, v25, v24
	v_fma_f32 v25, v25, v23, -v27
	v_fmac_f32_e32 v24, v26, v23
	v_add_f32_e32 v2, v2, v25
	v_add_f32_e32 v3, v3, v24
.LBB145_496:
	s_or_b64 exec, exec, s[86:87]
	s_movk_i32 s20, 0x1e0
	v_cmp_gt_u32_e64 s[20:21], s20, v8
	s_and_saveexec_b64 s[86:87], s[20:21]
	s_cbranch_execz .LBB145_498
; %bb.497:
	ds_read_b64 v[23:24], v21 offset:25088
	ds_read_b64 v[25:26], v22 offset:16776
	s_waitcnt lgkmcnt(0)
	v_mul_f32_e32 v27, v26, v24
	v_mul_f32_e32 v24, v25, v24
	v_fma_f32 v25, v25, v23, -v27
	v_fmac_f32_e32 v24, v26, v23
	v_add_f32_e32 v2, v2, v25
	v_add_f32_e32 v3, v3, v24
.LBB145_498:
	s_or_b64 exec, exec, s[86:87]
	s_movk_i32 s20, 0x1c0
	v_cmp_gt_u32_e64 s[20:21], s20, v8
	s_and_saveexec_b64 s[86:87], s[20:21]
	s_cbranch_execz .LBB145_500
; %bb.499:
	ds_read_b64 v[23:24], v21 offset:25600
	ds_read_b64 v[25:26], v22 offset:16784
	s_waitcnt lgkmcnt(0)
	v_mul_f32_e32 v27, v26, v24
	v_mul_f32_e32 v24, v25, v24
	v_fma_f32 v25, v25, v23, -v27
	v_fmac_f32_e32 v24, v26, v23
	v_add_f32_e32 v2, v2, v25
	v_add_f32_e32 v3, v3, v24
.LBB145_500:
	s_or_b64 exec, exec, s[86:87]
	s_movk_i32 s20, 0x1a0
	v_cmp_gt_u32_e64 s[20:21], s20, v8
	s_and_saveexec_b64 s[86:87], s[20:21]
	s_cbranch_execz .LBB145_502
; %bb.501:
	ds_read_b64 v[23:24], v21 offset:26112
	ds_read_b64 v[25:26], v22 offset:16792
	s_waitcnt lgkmcnt(0)
	v_mul_f32_e32 v27, v26, v24
	v_mul_f32_e32 v24, v25, v24
	v_fma_f32 v25, v25, v23, -v27
	v_fmac_f32_e32 v24, v26, v23
	v_add_f32_e32 v2, v2, v25
	v_add_f32_e32 v3, v3, v24
.LBB145_502:
	s_or_b64 exec, exec, s[86:87]
	s_movk_i32 s20, 0x180
	v_cmp_gt_u32_e64 s[20:21], s20, v8
	s_and_saveexec_b64 s[86:87], s[20:21]
	s_cbranch_execz .LBB145_504
; %bb.503:
	ds_read_b64 v[23:24], v21 offset:26624
	ds_read_b64 v[25:26], v22 offset:16800
	s_waitcnt lgkmcnt(0)
	v_mul_f32_e32 v27, v26, v24
	v_mul_f32_e32 v24, v25, v24
	v_fma_f32 v25, v25, v23, -v27
	v_fmac_f32_e32 v24, v26, v23
	v_add_f32_e32 v2, v2, v25
	v_add_f32_e32 v3, v3, v24
.LBB145_504:
	s_or_b64 exec, exec, s[86:87]
	s_movk_i32 s20, 0x160
	v_cmp_gt_u32_e64 s[20:21], s20, v8
	s_and_saveexec_b64 s[86:87], s[20:21]
	s_cbranch_execz .LBB145_506
; %bb.505:
	ds_read_b64 v[23:24], v21 offset:27136
	ds_read_b64 v[25:26], v22 offset:16808
	s_waitcnt lgkmcnt(0)
	v_mul_f32_e32 v27, v26, v24
	v_mul_f32_e32 v24, v25, v24
	v_fma_f32 v25, v25, v23, -v27
	v_fmac_f32_e32 v24, v26, v23
	v_add_f32_e32 v2, v2, v25
	v_add_f32_e32 v3, v3, v24
.LBB145_506:
	s_or_b64 exec, exec, s[86:87]
	s_movk_i32 s20, 0x140
	v_cmp_gt_u32_e64 s[20:21], s20, v8
	s_and_saveexec_b64 s[86:87], s[20:21]
	s_cbranch_execz .LBB145_508
; %bb.507:
	ds_read_b64 v[23:24], v21 offset:27648
	ds_read_b64 v[25:26], v22 offset:16816
	s_waitcnt lgkmcnt(0)
	v_mul_f32_e32 v27, v26, v24
	v_mul_f32_e32 v24, v25, v24
	v_fma_f32 v25, v25, v23, -v27
	v_fmac_f32_e32 v24, v26, v23
	v_add_f32_e32 v2, v2, v25
	v_add_f32_e32 v3, v3, v24
.LBB145_508:
	s_or_b64 exec, exec, s[86:87]
	s_movk_i32 s20, 0x120
	v_cmp_gt_u32_e64 s[20:21], s20, v8
	s_and_saveexec_b64 s[86:87], s[20:21]
	s_cbranch_execz .LBB145_510
; %bb.509:
	ds_read_b64 v[23:24], v21 offset:28160
	ds_read_b64 v[25:26], v22 offset:16824
	s_waitcnt lgkmcnt(0)
	v_mul_f32_e32 v27, v26, v24
	v_mul_f32_e32 v24, v25, v24
	v_fma_f32 v25, v25, v23, -v27
	v_fmac_f32_e32 v24, v26, v23
	v_add_f32_e32 v2, v2, v25
	v_add_f32_e32 v3, v3, v24
.LBB145_510:
	s_or_b64 exec, exec, s[86:87]
	s_and_saveexec_b64 s[20:21], s[12:13]
	s_cbranch_execz .LBB145_512
; %bb.511:
	ds_read_b64 v[23:24], v21 offset:28672
	ds_read_b64 v[25:26], v22 offset:16832
	s_waitcnt lgkmcnt(0)
	v_mul_f32_e32 v27, v26, v24
	v_mul_f32_e32 v24, v25, v24
	v_fma_f32 v25, v25, v23, -v27
	v_fmac_f32_e32 v24, v26, v23
	v_add_f32_e32 v2, v2, v25
	v_add_f32_e32 v3, v3, v24
.LBB145_512:
	s_or_b64 exec, exec, s[20:21]
	s_movk_i32 s20, 0xe0
	v_cmp_gt_u32_e64 s[20:21], s20, v8
	s_and_saveexec_b64 s[86:87], s[20:21]
	s_cbranch_execz .LBB145_514
; %bb.513:
	ds_read_b64 v[23:24], v21 offset:29184
	ds_read_b64 v[25:26], v22 offset:16840
	s_waitcnt lgkmcnt(0)
	v_mul_f32_e32 v27, v26, v24
	v_mul_f32_e32 v24, v25, v24
	v_fma_f32 v25, v25, v23, -v27
	v_fmac_f32_e32 v24, v26, v23
	v_add_f32_e32 v2, v2, v25
	v_add_f32_e32 v3, v3, v24
.LBB145_514:
	s_or_b64 exec, exec, s[86:87]
	s_movk_i32 s20, 0xc0
	v_cmp_gt_u32_e64 s[20:21], s20, v8
	;; [unrolled: 16-line block ×5, first 2 shown]
	s_and_saveexec_b64 s[86:87], s[20:21]
	s_cbranch_execnz .LBB145_1012
; %bb.521:
	s_or_b64 exec, exec, s[86:87]
	s_and_saveexec_b64 s[20:21], s[10:11]
	s_cbranch_execnz .LBB145_1013
.LBB145_522:
	s_or_b64 exec, exec, s[20:21]
	v_cmp_gt_u32_e64 s[20:21], 32, v8
	s_and_saveexec_b64 s[86:87], s[20:21]
	s_cbranch_execz .LBB145_524
.LBB145_523:
	ds_read_b64 v[23:24], v21 offset:32256
	ds_read_b64 v[21:22], v22 offset:16888
	s_waitcnt lgkmcnt(0)
	v_mul_f32_e32 v25, v22, v24
	v_mul_f32_e32 v24, v21, v24
	v_fma_f32 v21, v21, v23, -v25
	v_fmac_f32_e32 v24, v22, v23
	v_add_f32_e32 v2, v2, v21
	v_add_f32_e32 v3, v3, v24
.LBB145_524:
	s_or_b64 exec, exec, s[86:87]
.LBB145_525:
	s_or_b64 exec, exec, s[92:93]
	v_mov_b32_e32 v21, 0x8000
	v_lshl_add_u32 v20, v20, 3, v21
	v_mov_b32_e32 v21, 0x3c00
	v_lshl_or_b32 v21, v18, 3, v21
	s_mov_b32 s86, 31
	v_subrev_u32_e32 v22, 31, v18
	s_xor_b64 s[20:21], s[16:17], -1
	s_branch .LBB145_527
.LBB145_526:                            ;   in Loop: Header=BB145_527 Depth=1
	s_or_b64 exec, exec, s[16:17]
	s_add_i32 s86, s86, -2
	v_add_u32_e32 v21, 0xfffffc00, v21
	s_cmp_eq_u32 s87, 0
	v_add_u32_e32 v22, 2, v22
	s_barrier
	s_cbranch_scc1 .LBB145_535
.LBB145_527:                            ; =>This Inner Loop Header: Depth=1
	v_cmp_eq_u32_e64 s[16:17], 0, v22
	s_and_b64 s[92:93], s[20:21], s[16:17]
	s_and_saveexec_b64 s[16:17], s[92:93]
; %bb.528:                              ;   in Loop: Header=BB145_527 Depth=1
	v_xor_b32_e32 v24, 0x80000000, v3
	v_xor_b32_e32 v23, 0x80000000, v2
	ds_write_b64 v20, v[23:24]
; %bb.529:                              ;   in Loop: Header=BB145_527 Depth=1
	s_or_b64 exec, exec, s[16:17]
	v_cmp_gt_u32_e64 s[16:17], s86, v18
	s_and_b64 s[92:93], s[20:21], s[16:17]
	s_waitcnt lgkmcnt(0)
	s_barrier
	s_and_saveexec_b64 s[16:17], s[92:93]
	s_cbranch_execz .LBB145_531
; %bb.530:                              ;   in Loop: Header=BB145_527 Depth=1
	ds_read_b64 v[23:24], v21 offset:512
	ds_read_b64 v[25:26], v20
	s_waitcnt lgkmcnt(0)
	v_mul_f32_e32 v27, v26, v24
	v_mul_f32_e32 v24, v25, v24
	v_fma_f32 v25, v25, v23, -v27
	v_fmac_f32_e32 v24, v26, v23
	v_sub_f32_e32 v2, v2, v25
	v_sub_f32_e32 v3, v3, v24
.LBB145_531:                            ;   in Loop: Header=BB145_527 Depth=1
	s_or_b64 exec, exec, s[16:17]
	s_add_i32 s87, s86, -1
	v_cmp_eq_u32_e64 s[16:17], s87, v18
	s_and_b64 s[92:93], s[20:21], s[16:17]
	s_barrier
	s_and_saveexec_b64 s[16:17], s[92:93]
; %bb.532:                              ;   in Loop: Header=BB145_527 Depth=1
	v_xor_b32_e32 v24, 0x80000000, v3
	v_xor_b32_e32 v23, 0x80000000, v2
	ds_write_b64 v20, v[23:24]
; %bb.533:                              ;   in Loop: Header=BB145_527 Depth=1
	s_or_b64 exec, exec, s[16:17]
	v_cmp_gt_u32_e64 s[16:17], s87, v18
	s_and_b64 s[92:93], s[20:21], s[16:17]
	s_waitcnt lgkmcnt(0)
	s_barrier
	s_and_saveexec_b64 s[16:17], s[92:93]
	s_cbranch_execz .LBB145_526
; %bb.534:                              ;   in Loop: Header=BB145_527 Depth=1
	ds_read_b64 v[23:24], v21
	ds_read_b64 v[25:26], v20
	s_waitcnt lgkmcnt(0)
	v_mul_f32_e32 v27, v26, v24
	v_mul_f32_e32 v24, v25, v24
	v_fma_f32 v25, v25, v23, -v27
	v_fmac_f32_e32 v24, v26, v23
	v_sub_f32_e32 v2, v2, v25
	v_sub_f32_e32 v3, v3, v24
	s_branch .LBB145_526
.LBB145_535:
	s_and_saveexec_b64 s[16:17], s[14:15]
; %bb.536:
	v_lshlrev_b32_e32 v18, 3, v18
	v_lshl_or_b32 v18, v19, 9, v18
	ds_write_b64 v18, v[2:3] offset:16384
; %bb.537:
	s_or_b64 exec, exec, s[16:17]
	s_waitcnt lgkmcnt(0)
	s_barrier
	s_barrier
	s_and_saveexec_b64 s[14:15], vcc
	s_cbranch_execz .LBB145_539
; %bb.538:
	s_mov_b64 s[16:17], 0x3f800000
	v_mov_b32_e32 v2, s16
	v_mov_b32_e32 v3, s17
	s_movk_i32 s16, 0x3800
	v_add_u32_e64 v18, s16, 0
	ds_write2_b64 v18, v[2:3], v[2:3] offset0:158 offset1:223
.LBB145_539:
	s_or_b64 exec, exec, s[14:15]
	v_mov_b32_e32 v2, 0
	v_mov_b32_e32 v3, 0
	s_waitcnt lgkmcnt(0)
	s_barrier
	buffer_wbinvl1_vol
	s_and_saveexec_b64 s[16:17], s[6:7]
	s_cbranch_execz .LBB145_543
; %bb.540:
	v_lshlrev_b32_e32 v2, 3, v4
	v_lshlrev_b32_e32 v18, 9, v5
	ds_read_b64 v[2:3], v2 offset:15584
	ds_read_b64 v[18:19], v18 offset:15600
	v_cmp_gt_u32_e64 s[14:15], 2, v8
	s_waitcnt lgkmcnt(0)
	v_mul_f32_e32 v20, v19, v3
	v_mul_f32_e32 v3, v18, v3
	v_fma_f32 v18, v18, v2, -v20
	v_fmac_f32_e32 v3, v19, v2
	v_add_f32_e32 v2, 0, v18
	v_add_f32_e32 v3, 0, v3
	s_and_saveexec_b64 s[20:21], s[14:15]
	s_cbranch_execz .LBB145_542
; %bb.541:
	v_lshlrev_b32_e32 v18, 3, v0
	v_mov_b32_e32 v20, 0
	ds_read_b64 v[18:19], v18 offset:16096
	ds_read_b64 v[20:21], v20 offset:16120
	s_waitcnt lgkmcnt(0)
	v_mul_f32_e32 v22, v21, v19
	v_mul_f32_e32 v19, v20, v19
	v_fma_f32 v20, v20, v18, -v22
	v_fmac_f32_e32 v19, v21, v18
	v_add_f32_e32 v2, v2, v20
	v_add_f32_e32 v3, v3, v19
.LBB145_542:
	s_or_b64 exec, exec, s[20:21]
.LBB145_543:
	s_or_b64 exec, exec, s[16:17]
	s_and_saveexec_b64 s[14:15], s[44:45]
; %bb.544:
	v_xor_b32_e32 v19, 0x80000000, v3
	v_xor_b32_e32 v18, 0x80000000, v2
	ds_write_b64 v6, v[18:19]
; %bb.545:
	s_or_b64 exec, exec, s[14:15]
	s_waitcnt lgkmcnt(0)
	s_barrier
	s_and_saveexec_b64 s[14:15], s[42:43]
	s_cbranch_execz .LBB145_547
; %bb.546:
	v_mov_b32_e32 v18, 0
	ds_read_b64 v[18:19], v18 offset:15072
	ds_read_b64 v[20:21], v6
	s_waitcnt lgkmcnt(0)
	v_mul_f32_e32 v22, v20, v18
	v_mul_f32_e32 v20, v20, v19
	v_fmac_f32_e32 v20, v21, v18
	v_fma_f32 v18, v21, v19, -v22
	v_add_f32_e32 v2, v2, v18
	v_sub_f32_e32 v3, v3, v20
.LBB145_547:
	s_or_b64 exec, exec, s[14:15]
	s_barrier
	s_and_saveexec_b64 s[14:15], s[42:43]
; %bb.548:
	v_xor_b32_e32 v19, 0x80000000, v3
	v_xor_b32_e32 v18, 0x80000000, v2
	ds_write_b64 v6, v[18:19]
; %bb.549:
	s_or_b64 exec, exec, s[14:15]
	s_waitcnt lgkmcnt(0)
	s_barrier
	s_barrier
	s_and_saveexec_b64 s[14:15], s[6:7]
; %bb.550:
	v_lshlrev_b32_e32 v18, 3, v4
	v_lshl_or_b32 v18, v5, 9, v18
	ds_write_b64 v18, v[2:3] offset:15584
; %bb.551:
	s_or_b64 exec, exec, s[14:15]
	s_waitcnt lgkmcnt(0)
	s_barrier
	s_barrier
	s_and_saveexec_b64 s[14:15], vcc
	s_cbranch_execz .LBB145_553
; %bb.552:
	s_mov_b64 s[16:17], 0x3f800000
	v_mov_b32_e32 v2, s16
	v_mov_b32_e32 v3, s17
	s_movk_i32 s16, 0x3800
	v_add_u32_e64 v18, s16, 0
	ds_write2_b64 v18, v[2:3], v[2:3] offset0:28 offset1:93
.LBB145_553:
	s_or_b64 exec, exec, s[14:15]
	v_mov_b32_e32 v3, 0
	v_mov_b32_e32 v2, 0
	s_waitcnt lgkmcnt(0)
	s_barrier
	buffer_wbinvl1_vol
	s_and_saveexec_b64 s[16:17], s[18:19]
	s_cbranch_execz .LBB145_559
; %bb.554:
	v_lshlrev_b32_e32 v18, 3, v9
	v_lshlrev_b32_e32 v19, 9, v10
	ds_read_b64 v[2:3], v18 offset:14528
	ds_read_b64 v[20:21], v19 offset:14560
	v_cmp_gt_u32_e64 s[14:15], 12, v8
	s_waitcnt lgkmcnt(0)
	v_mul_f32_e32 v22, v21, v3
	v_mul_f32_e32 v3, v20, v3
	v_fma_f32 v20, v20, v2, -v22
	v_fmac_f32_e32 v3, v21, v2
	v_add_f32_e32 v2, 0, v20
	v_add_f32_e32 v3, 0, v3
	s_and_saveexec_b64 s[20:21], s[14:15]
	s_cbranch_execnz .LBB145_1014
; %bb.555:
	s_or_b64 exec, exec, s[20:21]
	v_cmp_gt_u32_e64 s[14:15], 8, v8
	s_and_saveexec_b64 s[20:21], s[14:15]
	s_cbranch_execnz .LBB145_1015
.LBB145_556:
	s_or_b64 exec, exec, s[20:21]
	v_cmp_gt_u32_e64 s[14:15], 4, v8
	s_and_saveexec_b64 s[20:21], s[14:15]
	s_cbranch_execz .LBB145_558
.LBB145_557:
	v_lshlrev_b32_e32 v18, 3, v0
	v_mov_b32_e32 v20, 0
	ds_read_b64 v[18:19], v18 offset:16064
	ds_read_b64 v[20:21], v20 offset:16120
	s_waitcnt lgkmcnt(0)
	v_mul_f32_e32 v22, v21, v19
	v_mul_f32_e32 v19, v20, v19
	v_fma_f32 v20, v20, v18, -v22
	v_fmac_f32_e32 v19, v21, v18
	v_add_f32_e32 v2, v2, v20
	v_add_f32_e32 v3, v3, v19
.LBB145_558:
	s_or_b64 exec, exec, s[20:21]
.LBB145_559:
	s_or_b64 exec, exec, s[16:17]
	s_and_saveexec_b64 s[14:15], s[48:49]
; %bb.560:
	v_xor_b32_e32 v18, 0x80000000, v2
	v_xor_b32_e32 v19, 0x80000000, v3
	ds_write_b64 v11, v[18:19]
; %bb.561:
	s_or_b64 exec, exec, s[14:15]
	s_waitcnt lgkmcnt(0)
	s_barrier
	s_and_saveexec_b64 s[14:15], s[50:51]
	s_cbranch_execz .LBB145_563
; %bb.562:
	v_lshlrev_b32_e32 v18, 3, v9
	ds_read_b64 v[18:19], v18 offset:14016
	ds_read_b64 v[20:21], v11
	s_waitcnt lgkmcnt(0)
	v_mul_f32_e32 v22, v21, v19
	v_mul_f32_e32 v19, v20, v19
	v_fma_f32 v20, v20, v18, -v22
	v_fmac_f32_e32 v19, v21, v18
	v_sub_f32_e32 v2, v2, v20
	v_sub_f32_e32 v3, v3, v19
.LBB145_563:
	s_or_b64 exec, exec, s[14:15]
	s_barrier
	s_and_saveexec_b64 s[14:15], s[52:53]
; %bb.564:
	v_xor_b32_e32 v18, 0x80000000, v2
	v_xor_b32_e32 v19, 0x80000000, v3
	ds_write_b64 v11, v[18:19]
; %bb.565:
	s_or_b64 exec, exec, s[14:15]
	s_waitcnt lgkmcnt(0)
	s_barrier
	s_and_saveexec_b64 s[14:15], s[54:55]
	s_cbranch_execz .LBB145_567
; %bb.566:
	v_lshlrev_b32_e32 v18, 3, v9
	ds_read_b64 v[18:19], v18 offset:13504
	ds_read_b64 v[20:21], v11
	s_waitcnt lgkmcnt(0)
	v_mul_f32_e32 v22, v21, v19
	v_mul_f32_e32 v19, v20, v19
	v_fma_f32 v20, v20, v18, -v22
	v_fmac_f32_e32 v19, v21, v18
	v_sub_f32_e32 v2, v2, v20
	v_sub_f32_e32 v3, v3, v19
.LBB145_567:
	s_or_b64 exec, exec, s[14:15]
	s_barrier
	s_and_saveexec_b64 s[14:15], s[56:57]
; %bb.568:
	v_xor_b32_e32 v18, 0x80000000, v2
	v_xor_b32_e32 v19, 0x80000000, v3
	ds_write_b64 v11, v[18:19]
; %bb.569:
	s_or_b64 exec, exec, s[14:15]
	s_waitcnt lgkmcnt(0)
	s_barrier
	s_and_saveexec_b64 s[14:15], s[46:47]
	s_cbranch_execz .LBB145_571
; %bb.570:
	v_mov_b32_e32 v18, 0
	ds_read_b64 v[18:19], v18 offset:12992
	ds_read_b64 v[20:21], v11
	s_waitcnt lgkmcnt(0)
	v_mul_f32_e32 v22, v21, v19
	v_mul_f32_e32 v19, v20, v19
	v_fma_f32 v20, v20, v18, -v22
	v_fmac_f32_e32 v19, v21, v18
	v_sub_f32_e32 v2, v2, v20
	v_sub_f32_e32 v3, v3, v19
.LBB145_571:
	s_or_b64 exec, exec, s[14:15]
	s_barrier
	s_and_saveexec_b64 s[14:15], s[46:47]
; %bb.572:
	v_xor_b32_e32 v18, 0x80000000, v2
	v_xor_b32_e32 v19, 0x80000000, v3
	ds_write_b64 v11, v[18:19]
; %bb.573:
	s_or_b64 exec, exec, s[14:15]
	s_waitcnt lgkmcnt(0)
	s_barrier
	s_barrier
	s_and_saveexec_b64 s[14:15], s[18:19]
; %bb.574:
	v_lshlrev_b32_e32 v18, 3, v9
	v_lshl_or_b32 v18, v10, 9, v18
	ds_write_b64 v18, v[2:3] offset:14528
; %bb.575:
	s_or_b64 exec, exec, s[14:15]
	s_waitcnt lgkmcnt(0)
	s_barrier
	s_barrier
	s_and_saveexec_b64 s[14:15], vcc
	s_cbranch_execz .LBB145_577
; %bb.576:
	s_mov_b64 s[16:17], 0x3f800000
	v_mov_b32_e32 v2, s16
	v_mov_b32_e32 v3, s17
	s_movk_i32 s16, 0x3000
	v_add_u32_e64 v18, s16, 0
	ds_write2_b64 v18, v[2:3], v[2:3] offset0:154 offset1:219
.LBB145_577:
	s_or_b64 exec, exec, s[14:15]
	v_mov_b32_e32 v2, 0
	v_mov_b32_e32 v3, 0
	s_waitcnt lgkmcnt(0)
	s_barrier
	buffer_wbinvl1_vol
	s_and_saveexec_b64 s[16:17], s[6:7]
	s_cbranch_execz .LBB145_581
; %bb.578:
	v_lshlrev_b32_e32 v2, 3, v4
	v_lshlrev_b32_e32 v18, 9, v5
	ds_read_b64 v[2:3], v2 offset:13504
	ds_read_b64 v[18:19], v18 offset:13520
	v_cmp_gt_u32_e64 s[14:15], 2, v8
	s_waitcnt lgkmcnt(0)
	v_mul_f32_e32 v20, v19, v3
	v_mul_f32_e32 v3, v18, v3
	v_fma_f32 v18, v18, v2, -v20
	v_fmac_f32_e32 v3, v19, v2
	v_add_f32_e32 v2, 0, v18
	v_add_f32_e32 v3, 0, v3
	s_and_saveexec_b64 s[20:21], s[14:15]
	s_cbranch_execz .LBB145_580
; %bb.579:
	v_lshlrev_b32_e32 v18, 3, v0
	v_mov_b32_e32 v20, 0
	ds_read_b64 v[18:19], v18 offset:14016
	ds_read_b64 v[20:21], v20 offset:14040
	s_waitcnt lgkmcnt(0)
	v_mul_f32_e32 v22, v21, v19
	v_mul_f32_e32 v19, v20, v19
	v_fma_f32 v20, v20, v18, -v22
	v_fmac_f32_e32 v19, v21, v18
	v_add_f32_e32 v2, v2, v20
	v_add_f32_e32 v3, v3, v19
.LBB145_580:
	s_or_b64 exec, exec, s[20:21]
.LBB145_581:
	s_or_b64 exec, exec, s[16:17]
	s_and_saveexec_b64 s[14:15], s[44:45]
; %bb.582:
	v_xor_b32_e32 v19, 0x80000000, v3
	v_xor_b32_e32 v18, 0x80000000, v2
	ds_write_b64 v6, v[18:19]
; %bb.583:
	s_or_b64 exec, exec, s[14:15]
	s_waitcnt lgkmcnt(0)
	s_barrier
	s_and_saveexec_b64 s[14:15], s[42:43]
	s_cbranch_execz .LBB145_585
; %bb.584:
	v_mov_b32_e32 v18, 0
	ds_read_b64 v[18:19], v18 offset:12992
	ds_read_b64 v[20:21], v6
	s_waitcnt lgkmcnt(0)
	v_mul_f32_e32 v22, v20, v18
	v_mul_f32_e32 v20, v20, v19
	v_fmac_f32_e32 v20, v21, v18
	v_fma_f32 v18, v21, v19, -v22
	v_add_f32_e32 v2, v2, v18
	v_sub_f32_e32 v3, v3, v20
.LBB145_585:
	s_or_b64 exec, exec, s[14:15]
	s_barrier
	s_and_saveexec_b64 s[14:15], s[42:43]
; %bb.586:
	v_xor_b32_e32 v19, 0x80000000, v3
	v_xor_b32_e32 v18, 0x80000000, v2
	ds_write_b64 v6, v[18:19]
; %bb.587:
	s_or_b64 exec, exec, s[14:15]
	s_waitcnt lgkmcnt(0)
	s_barrier
	s_barrier
	s_and_saveexec_b64 s[14:15], s[6:7]
; %bb.588:
	v_lshlrev_b32_e32 v18, 3, v4
	v_lshl_or_b32 v18, v5, 9, v18
	ds_write_b64 v18, v[2:3] offset:13504
; %bb.589:
	s_or_b64 exec, exec, s[14:15]
	s_waitcnt lgkmcnt(0)
	s_barrier
	s_barrier
	s_and_saveexec_b64 s[14:15], vcc
	s_cbranch_execz .LBB145_591
; %bb.590:
	s_mov_b64 s[16:17], 0x3f800000
	v_mov_b32_e32 v2, s16
	v_mov_b32_e32 v3, s17
	s_movk_i32 s16, 0x3000
	v_add_u32_e64 v18, s16, 0
	ds_write2_b64 v18, v[2:3], v[2:3] offset0:24 offset1:89
.LBB145_591:
	s_or_b64 exec, exec, s[14:15]
	v_mov_b32_e32 v3, 0
	v_mov_b32_e32 v2, 0
	s_waitcnt lgkmcnt(0)
	s_barrier
	buffer_wbinvl1_vol
	s_and_saveexec_b64 s[16:17], s[10:11]
	s_cbranch_execz .LBB145_601
; %bb.592:
	v_lshlrev_b32_e32 v18, 3, v12
	v_lshlrev_b32_e32 v19, 9, v13
	ds_read_b64 v[2:3], v18 offset:12416
	ds_read_b64 v[20:21], v19 offset:12480
	v_cmp_gt_u32_e64 s[14:15], 56, v8
	s_waitcnt lgkmcnt(0)
	v_mul_f32_e32 v22, v21, v3
	v_mul_f32_e32 v3, v20, v3
	v_fma_f32 v20, v20, v2, -v22
	v_fmac_f32_e32 v3, v21, v2
	v_add_f32_e32 v2, 0, v20
	v_add_f32_e32 v3, 0, v3
	s_and_saveexec_b64 s[20:21], s[14:15]
	s_cbranch_execnz .LBB145_1016
; %bb.593:
	s_or_b64 exec, exec, s[20:21]
	v_cmp_gt_u32_e64 s[14:15], 48, v8
	s_and_saveexec_b64 s[20:21], s[14:15]
	s_cbranch_execnz .LBB145_1017
.LBB145_594:
	s_or_b64 exec, exec, s[20:21]
	v_cmp_gt_u32_e64 s[14:15], 40, v8
	s_and_saveexec_b64 s[20:21], s[14:15]
	s_cbranch_execnz .LBB145_1018
.LBB145_595:
	s_or_b64 exec, exec, s[20:21]
	v_cmp_gt_u32_e64 s[14:15], 32, v8
	s_and_saveexec_b64 s[20:21], s[14:15]
	s_cbranch_execnz .LBB145_1019
.LBB145_596:
	s_or_b64 exec, exec, s[20:21]
	v_cmp_gt_u32_e64 s[14:15], 24, v8
	s_and_saveexec_b64 s[20:21], s[14:15]
	s_cbranch_execnz .LBB145_1020
.LBB145_597:
	s_or_b64 exec, exec, s[20:21]
	s_and_saveexec_b64 s[14:15], s[18:19]
	s_cbranch_execnz .LBB145_1021
.LBB145_598:
	s_or_b64 exec, exec, s[14:15]
	v_cmp_gt_u32_e64 s[14:15], 8, v8
	s_and_saveexec_b64 s[20:21], s[14:15]
	s_cbranch_execz .LBB145_600
.LBB145_599:
	v_lshlrev_b32_e32 v18, 3, v0
	v_mov_b32_e32 v20, 0
	ds_read_b64 v[18:19], v18 offset:16000
	ds_read_b64 v[20:21], v20 offset:16120
	s_waitcnt lgkmcnt(0)
	v_mul_f32_e32 v22, v21, v19
	v_mul_f32_e32 v19, v20, v19
	v_fma_f32 v20, v20, v18, -v22
	v_fmac_f32_e32 v19, v21, v18
	v_add_f32_e32 v2, v2, v20
	v_add_f32_e32 v3, v3, v19
.LBB145_600:
	s_or_b64 exec, exec, s[20:21]
.LBB145_601:
	s_or_b64 exec, exec, s[16:17]
	s_and_saveexec_b64 s[14:15], s[60:61]
; %bb.602:
	v_xor_b32_e32 v19, 0x80000000, v3
	v_xor_b32_e32 v18, 0x80000000, v2
	ds_write_b64 v14, v[18:19]
; %bb.603:
	s_or_b64 exec, exec, s[14:15]
	s_waitcnt lgkmcnt(0)
	s_barrier
	s_and_saveexec_b64 s[14:15], s[62:63]
	s_cbranch_execz .LBB145_605
; %bb.604:
	v_lshlrev_b32_e32 v18, 3, v12
	ds_read_b64 v[18:19], v18 offset:11904
	ds_read_b64 v[20:21], v14
	s_waitcnt lgkmcnt(0)
	v_mul_f32_e32 v22, v21, v19
	v_mul_f32_e32 v19, v20, v19
	v_fma_f32 v20, v20, v18, -v22
	v_fmac_f32_e32 v19, v21, v18
	v_sub_f32_e32 v2, v2, v20
	v_sub_f32_e32 v3, v3, v19
.LBB145_605:
	s_or_b64 exec, exec, s[14:15]
	s_barrier
	s_and_saveexec_b64 s[14:15], s[64:65]
; %bb.606:
	v_xor_b32_e32 v19, 0x80000000, v3
	v_xor_b32_e32 v18, 0x80000000, v2
	ds_write_b64 v14, v[18:19]
; %bb.607:
	s_or_b64 exec, exec, s[14:15]
	s_waitcnt lgkmcnt(0)
	s_barrier
	s_and_saveexec_b64 s[14:15], s[66:67]
	s_cbranch_execz .LBB145_609
; %bb.608:
	v_lshlrev_b32_e32 v18, 3, v12
	ds_read_b64 v[18:19], v18 offset:11392
	ds_read_b64 v[20:21], v14
	s_waitcnt lgkmcnt(0)
	v_mul_f32_e32 v22, v21, v19
	v_mul_f32_e32 v19, v20, v19
	v_fma_f32 v20, v20, v18, -v22
	v_fmac_f32_e32 v19, v21, v18
	v_sub_f32_e32 v2, v2, v20
	v_sub_f32_e32 v3, v3, v19
.LBB145_609:
	s_or_b64 exec, exec, s[14:15]
	s_barrier
	;; [unrolled: 25-line block ×6, first 2 shown]
	s_and_saveexec_b64 s[14:15], s[84:85]
; %bb.626:
	v_xor_b32_e32 v19, 0x80000000, v3
	v_xor_b32_e32 v18, 0x80000000, v2
	ds_write_b64 v14, v[18:19]
; %bb.627:
	s_or_b64 exec, exec, s[14:15]
	s_waitcnt lgkmcnt(0)
	s_barrier
	s_and_saveexec_b64 s[14:15], s[58:59]
	s_cbranch_execz .LBB145_629
; %bb.628:
	v_mov_b32_e32 v18, 0
	ds_read_b64 v[18:19], v18 offset:8832
	ds_read_b64 v[20:21], v14
	s_waitcnt lgkmcnt(0)
	v_mul_f32_e32 v22, v21, v19
	v_mul_f32_e32 v19, v20, v19
	v_fma_f32 v20, v20, v18, -v22
	v_fmac_f32_e32 v19, v21, v18
	v_sub_f32_e32 v2, v2, v20
	v_sub_f32_e32 v3, v3, v19
.LBB145_629:
	s_or_b64 exec, exec, s[14:15]
	s_barrier
	s_and_saveexec_b64 s[14:15], s[58:59]
; %bb.630:
	v_xor_b32_e32 v19, 0x80000000, v3
	v_xor_b32_e32 v18, 0x80000000, v2
	ds_write_b64 v14, v[18:19]
; %bb.631:
	s_or_b64 exec, exec, s[14:15]
	s_waitcnt lgkmcnt(0)
	s_barrier
	s_barrier
	s_and_saveexec_b64 s[14:15], s[10:11]
; %bb.632:
	v_lshlrev_b32_e32 v18, 3, v12
	v_lshl_or_b32 v18, v13, 9, v18
	ds_write_b64 v18, v[2:3] offset:12416
; %bb.633:
	s_or_b64 exec, exec, s[14:15]
	s_waitcnt lgkmcnt(0)
	s_barrier
	s_barrier
	s_and_saveexec_b64 s[14:15], vcc
	s_cbranch_execz .LBB145_635
; %bb.634:
	s_mov_b64 s[16:17], 0x3f800000
	v_mov_b32_e32 v2, s16
	v_mov_b32_e32 v3, s17
	s_movk_i32 s16, 0x2800
	v_add_u32_e64 v18, s16, 0
	ds_write2_b64 v18, v[2:3], v[2:3] offset0:150 offset1:215
.LBB145_635:
	s_or_b64 exec, exec, s[14:15]
	v_mov_b32_e32 v2, 0
	v_mov_b32_e32 v3, 0
	s_waitcnt lgkmcnt(0)
	s_barrier
	buffer_wbinvl1_vol
	s_and_saveexec_b64 s[16:17], s[6:7]
	s_cbranch_execz .LBB145_639
; %bb.636:
	v_lshlrev_b32_e32 v2, 3, v4
	v_lshlrev_b32_e32 v18, 9, v5
	ds_read_b64 v[2:3], v2 offset:11424
	ds_read_b64 v[18:19], v18 offset:11440
	v_cmp_gt_u32_e64 s[14:15], 2, v8
	s_waitcnt lgkmcnt(0)
	v_mul_f32_e32 v20, v19, v3
	v_mul_f32_e32 v3, v18, v3
	v_fma_f32 v18, v18, v2, -v20
	v_fmac_f32_e32 v3, v19, v2
	v_add_f32_e32 v2, 0, v18
	v_add_f32_e32 v3, 0, v3
	s_and_saveexec_b64 s[20:21], s[14:15]
	s_cbranch_execz .LBB145_638
; %bb.637:
	v_lshlrev_b32_e32 v18, 3, v0
	v_mov_b32_e32 v20, 0
	ds_read_b64 v[18:19], v18 offset:11936
	ds_read_b64 v[20:21], v20 offset:11960
	s_waitcnt lgkmcnt(0)
	v_mul_f32_e32 v22, v21, v19
	v_mul_f32_e32 v19, v20, v19
	v_fma_f32 v20, v20, v18, -v22
	v_fmac_f32_e32 v19, v21, v18
	v_add_f32_e32 v2, v2, v20
	v_add_f32_e32 v3, v3, v19
.LBB145_638:
	s_or_b64 exec, exec, s[20:21]
.LBB145_639:
	s_or_b64 exec, exec, s[16:17]
	s_and_saveexec_b64 s[14:15], s[44:45]
; %bb.640:
	v_xor_b32_e32 v19, 0x80000000, v3
	v_xor_b32_e32 v18, 0x80000000, v2
	ds_write_b64 v6, v[18:19]
; %bb.641:
	s_or_b64 exec, exec, s[14:15]
	s_waitcnt lgkmcnt(0)
	s_barrier
	s_and_saveexec_b64 s[14:15], s[42:43]
	s_cbranch_execz .LBB145_643
; %bb.642:
	v_mov_b32_e32 v18, 0
	ds_read_b64 v[18:19], v18 offset:10912
	ds_read_b64 v[20:21], v6
	s_waitcnt lgkmcnt(0)
	v_mul_f32_e32 v22, v20, v18
	v_mul_f32_e32 v20, v20, v19
	v_fmac_f32_e32 v20, v21, v18
	v_fma_f32 v18, v21, v19, -v22
	v_add_f32_e32 v2, v2, v18
	v_sub_f32_e32 v3, v3, v20
.LBB145_643:
	s_or_b64 exec, exec, s[14:15]
	s_barrier
	s_and_saveexec_b64 s[14:15], s[42:43]
; %bb.644:
	v_xor_b32_e32 v19, 0x80000000, v3
	v_xor_b32_e32 v18, 0x80000000, v2
	ds_write_b64 v6, v[18:19]
; %bb.645:
	s_or_b64 exec, exec, s[14:15]
	s_waitcnt lgkmcnt(0)
	s_barrier
	s_barrier
	s_and_saveexec_b64 s[14:15], s[6:7]
; %bb.646:
	v_lshlrev_b32_e32 v18, 3, v4
	v_lshl_or_b32 v18, v5, 9, v18
	ds_write_b64 v18, v[2:3] offset:11424
; %bb.647:
	s_or_b64 exec, exec, s[14:15]
	s_waitcnt lgkmcnt(0)
	s_barrier
	s_barrier
	s_and_saveexec_b64 s[14:15], vcc
	s_cbranch_execz .LBB145_649
; %bb.648:
	s_mov_b64 s[16:17], 0x3f800000
	v_mov_b32_e32 v2, s16
	v_mov_b32_e32 v3, s17
	s_movk_i32 s16, 0x2800
	v_add_u32_e64 v18, s16, 0
	ds_write2_b64 v18, v[2:3], v[2:3] offset0:20 offset1:85
.LBB145_649:
	s_or_b64 exec, exec, s[14:15]
	v_mov_b32_e32 v3, 0
	v_mov_b32_e32 v2, 0
	s_waitcnt lgkmcnt(0)
	s_barrier
	buffer_wbinvl1_vol
	s_and_saveexec_b64 s[16:17], s[18:19]
	s_cbranch_execz .LBB145_655
; %bb.650:
	v_lshlrev_b32_e32 v18, 3, v9
	v_lshlrev_b32_e32 v19, 9, v10
	ds_read_b64 v[2:3], v18 offset:10368
	ds_read_b64 v[20:21], v19 offset:10400
	v_cmp_gt_u32_e64 s[14:15], 12, v8
	s_waitcnt lgkmcnt(0)
	v_mul_f32_e32 v22, v21, v3
	v_mul_f32_e32 v3, v20, v3
	v_fma_f32 v20, v20, v2, -v22
	v_fmac_f32_e32 v3, v21, v2
	v_add_f32_e32 v2, 0, v20
	v_add_f32_e32 v3, 0, v3
	s_and_saveexec_b64 s[20:21], s[14:15]
	s_cbranch_execnz .LBB145_1022
; %bb.651:
	s_or_b64 exec, exec, s[20:21]
	v_cmp_gt_u32_e64 s[14:15], 8, v8
	s_and_saveexec_b64 s[20:21], s[14:15]
	s_cbranch_execnz .LBB145_1023
.LBB145_652:
	s_or_b64 exec, exec, s[20:21]
	v_cmp_gt_u32_e64 s[14:15], 4, v8
	s_and_saveexec_b64 s[20:21], s[14:15]
	s_cbranch_execz .LBB145_654
.LBB145_653:
	v_lshlrev_b32_e32 v18, 3, v0
	v_mov_b32_e32 v20, 0
	ds_read_b64 v[18:19], v18 offset:11904
	ds_read_b64 v[20:21], v20 offset:11960
	s_waitcnt lgkmcnt(0)
	v_mul_f32_e32 v22, v21, v19
	v_mul_f32_e32 v19, v20, v19
	v_fma_f32 v20, v20, v18, -v22
	v_fmac_f32_e32 v19, v21, v18
	v_add_f32_e32 v2, v2, v20
	v_add_f32_e32 v3, v3, v19
.LBB145_654:
	s_or_b64 exec, exec, s[20:21]
.LBB145_655:
	s_or_b64 exec, exec, s[16:17]
	s_and_saveexec_b64 s[14:15], s[48:49]
; %bb.656:
	v_xor_b32_e32 v18, 0x80000000, v2
	v_xor_b32_e32 v19, 0x80000000, v3
	ds_write_b64 v11, v[18:19]
; %bb.657:
	s_or_b64 exec, exec, s[14:15]
	s_waitcnt lgkmcnt(0)
	s_barrier
	s_and_saveexec_b64 s[14:15], s[50:51]
	s_cbranch_execz .LBB145_659
; %bb.658:
	v_lshlrev_b32_e32 v18, 3, v9
	ds_read_b64 v[18:19], v18 offset:9856
	ds_read_b64 v[20:21], v11
	s_waitcnt lgkmcnt(0)
	v_mul_f32_e32 v22, v21, v19
	v_mul_f32_e32 v19, v20, v19
	v_fma_f32 v20, v20, v18, -v22
	v_fmac_f32_e32 v19, v21, v18
	v_sub_f32_e32 v2, v2, v20
	v_sub_f32_e32 v3, v3, v19
.LBB145_659:
	s_or_b64 exec, exec, s[14:15]
	s_barrier
	s_and_saveexec_b64 s[14:15], s[52:53]
; %bb.660:
	v_xor_b32_e32 v18, 0x80000000, v2
	v_xor_b32_e32 v19, 0x80000000, v3
	ds_write_b64 v11, v[18:19]
; %bb.661:
	s_or_b64 exec, exec, s[14:15]
	s_waitcnt lgkmcnt(0)
	s_barrier
	s_and_saveexec_b64 s[14:15], s[54:55]
	s_cbranch_execz .LBB145_663
; %bb.662:
	v_lshlrev_b32_e32 v18, 3, v9
	ds_read_b64 v[18:19], v18 offset:9344
	ds_read_b64 v[20:21], v11
	s_waitcnt lgkmcnt(0)
	v_mul_f32_e32 v22, v21, v19
	v_mul_f32_e32 v19, v20, v19
	v_fma_f32 v20, v20, v18, -v22
	v_fmac_f32_e32 v19, v21, v18
	v_sub_f32_e32 v2, v2, v20
	v_sub_f32_e32 v3, v3, v19
.LBB145_663:
	s_or_b64 exec, exec, s[14:15]
	s_barrier
	s_and_saveexec_b64 s[14:15], s[56:57]
; %bb.664:
	v_xor_b32_e32 v18, 0x80000000, v2
	v_xor_b32_e32 v19, 0x80000000, v3
	ds_write_b64 v11, v[18:19]
; %bb.665:
	s_or_b64 exec, exec, s[14:15]
	s_waitcnt lgkmcnt(0)
	s_barrier
	s_and_saveexec_b64 s[14:15], s[46:47]
	s_cbranch_execz .LBB145_667
; %bb.666:
	v_mov_b32_e32 v18, 0
	ds_read_b64 v[18:19], v18 offset:8832
	ds_read_b64 v[20:21], v11
	s_waitcnt lgkmcnt(0)
	v_mul_f32_e32 v22, v21, v19
	v_mul_f32_e32 v19, v20, v19
	v_fma_f32 v20, v20, v18, -v22
	v_fmac_f32_e32 v19, v21, v18
	v_sub_f32_e32 v2, v2, v20
	v_sub_f32_e32 v3, v3, v19
.LBB145_667:
	s_or_b64 exec, exec, s[14:15]
	s_barrier
	s_and_saveexec_b64 s[14:15], s[46:47]
; %bb.668:
	v_xor_b32_e32 v18, 0x80000000, v2
	v_xor_b32_e32 v19, 0x80000000, v3
	ds_write_b64 v11, v[18:19]
; %bb.669:
	s_or_b64 exec, exec, s[14:15]
	s_waitcnt lgkmcnt(0)
	s_barrier
	s_barrier
	s_and_saveexec_b64 s[14:15], s[18:19]
; %bb.670:
	v_lshlrev_b32_e32 v18, 3, v9
	v_lshl_or_b32 v18, v10, 9, v18
	ds_write_b64 v18, v[2:3] offset:10368
; %bb.671:
	s_or_b64 exec, exec, s[14:15]
	s_waitcnt lgkmcnt(0)
	s_barrier
	s_barrier
	s_and_saveexec_b64 s[14:15], vcc
	s_cbranch_execz .LBB145_673
; %bb.672:
	s_mov_b64 s[16:17], 0x3f800000
	v_mov_b32_e32 v2, s16
	v_mov_b32_e32 v3, s17
	s_movk_i32 s16, 0x2000
	v_add_u32_e64 v18, s16, 0
	ds_write2_b64 v18, v[2:3], v[2:3] offset0:146 offset1:211
.LBB145_673:
	s_or_b64 exec, exec, s[14:15]
	v_mov_b32_e32 v2, 0
	v_mov_b32_e32 v3, 0
	s_waitcnt lgkmcnt(0)
	s_barrier
	buffer_wbinvl1_vol
	s_and_saveexec_b64 s[16:17], s[6:7]
	s_cbranch_execz .LBB145_677
; %bb.674:
	v_lshlrev_b32_e32 v2, 3, v4
	v_lshlrev_b32_e32 v18, 9, v5
	ds_read_b64 v[2:3], v2 offset:9344
	ds_read_b64 v[18:19], v18 offset:9360
	v_cmp_gt_u32_e64 s[14:15], 2, v8
	s_waitcnt lgkmcnt(0)
	v_mul_f32_e32 v20, v19, v3
	v_mul_f32_e32 v3, v18, v3
	v_fma_f32 v18, v18, v2, -v20
	v_fmac_f32_e32 v3, v19, v2
	v_add_f32_e32 v2, 0, v18
	v_add_f32_e32 v3, 0, v3
	s_and_saveexec_b64 s[20:21], s[14:15]
	s_cbranch_execz .LBB145_676
; %bb.675:
	v_lshlrev_b32_e32 v18, 3, v0
	v_mov_b32_e32 v20, 0
	ds_read_b64 v[18:19], v18 offset:9856
	ds_read_b64 v[20:21], v20 offset:9880
	s_waitcnt lgkmcnt(0)
	v_mul_f32_e32 v22, v21, v19
	v_mul_f32_e32 v19, v20, v19
	v_fma_f32 v20, v20, v18, -v22
	v_fmac_f32_e32 v19, v21, v18
	v_add_f32_e32 v2, v2, v20
	v_add_f32_e32 v3, v3, v19
.LBB145_676:
	s_or_b64 exec, exec, s[20:21]
.LBB145_677:
	s_or_b64 exec, exec, s[16:17]
	s_and_saveexec_b64 s[14:15], s[44:45]
; %bb.678:
	v_xor_b32_e32 v19, 0x80000000, v3
	v_xor_b32_e32 v18, 0x80000000, v2
	ds_write_b64 v6, v[18:19]
; %bb.679:
	s_or_b64 exec, exec, s[14:15]
	s_waitcnt lgkmcnt(0)
	s_barrier
	s_and_saveexec_b64 s[14:15], s[42:43]
	s_cbranch_execz .LBB145_681
; %bb.680:
	v_mov_b32_e32 v18, 0
	ds_read_b64 v[18:19], v18 offset:8832
	ds_read_b64 v[20:21], v6
	s_waitcnt lgkmcnt(0)
	v_mul_f32_e32 v22, v20, v18
	v_mul_f32_e32 v20, v20, v19
	v_fmac_f32_e32 v20, v21, v18
	v_fma_f32 v18, v21, v19, -v22
	v_add_f32_e32 v2, v2, v18
	v_sub_f32_e32 v3, v3, v20
.LBB145_681:
	s_or_b64 exec, exec, s[14:15]
	s_barrier
	s_and_saveexec_b64 s[14:15], s[42:43]
; %bb.682:
	v_xor_b32_e32 v19, 0x80000000, v3
	v_xor_b32_e32 v18, 0x80000000, v2
	ds_write_b64 v6, v[18:19]
; %bb.683:
	s_or_b64 exec, exec, s[14:15]
	s_waitcnt lgkmcnt(0)
	s_barrier
	s_barrier
	s_and_saveexec_b64 s[14:15], s[6:7]
; %bb.684:
	v_lshlrev_b32_e32 v18, 3, v4
	v_lshl_or_b32 v18, v5, 9, v18
	ds_write_b64 v18, v[2:3] offset:9344
; %bb.685:
	s_or_b64 exec, exec, s[14:15]
	s_waitcnt lgkmcnt(0)
	s_barrier
	s_barrier
	s_and_saveexec_b64 s[14:15], vcc
	s_cbranch_execz .LBB145_687
; %bb.686:
	s_mov_b64 s[16:17], 0x3f800000
	v_mov_b32_e32 v2, s16
	v_mov_b32_e32 v3, s17
	s_movk_i32 s16, 0x2000
	v_add_u32_e64 v18, s16, 0
	ds_write2_b64 v18, v[2:3], v[2:3] offset0:16 offset1:81
.LBB145_687:
	s_or_b64 exec, exec, s[14:15]
	v_mov_b32_e32 v3, 0
	v_mov_b32_e32 v2, 0
	s_waitcnt lgkmcnt(0)
	s_barrier
	buffer_wbinvl1_vol
	s_and_saveexec_b64 s[16:17], s[12:13]
	s_cbranch_execz .LBB145_715
; %bb.688:
	v_lshlrev_b32_e32 v18, 3, v15
	v_lshlrev_b32_e32 v19, 9, v16
	ds_read_b64 v[2:3], v18 offset:8192
	ds_read_b64 v[20:21], v19 offset:8320
	s_movk_i32 s14, 0xf0
	v_cmp_gt_u32_e64 s[14:15], s14, v8
	s_waitcnt lgkmcnt(0)
	v_mul_f32_e32 v22, v21, v3
	v_mul_f32_e32 v3, v20, v3
	v_fma_f32 v20, v20, v2, -v22
	v_fmac_f32_e32 v3, v21, v2
	v_add_f32_e32 v2, 0, v20
	v_add_f32_e32 v3, 0, v3
	s_and_saveexec_b64 s[20:21], s[14:15]
	s_cbranch_execz .LBB145_690
; %bb.689:
	ds_read_b64 v[20:21], v18 offset:8704
	ds_read_b64 v[22:23], v19 offset:8328
	s_waitcnt lgkmcnt(0)
	v_mul_f32_e32 v24, v23, v21
	v_mul_f32_e32 v21, v22, v21
	v_fma_f32 v22, v22, v20, -v24
	v_fmac_f32_e32 v21, v23, v20
	v_add_f32_e32 v2, v2, v22
	v_add_f32_e32 v3, v3, v21
.LBB145_690:
	s_or_b64 exec, exec, s[20:21]
	s_movk_i32 s14, 0xe0
	v_cmp_gt_u32_e64 s[14:15], s14, v8
	s_and_saveexec_b64 s[20:21], s[14:15]
	s_cbranch_execz .LBB145_692
; %bb.691:
	ds_read_b64 v[20:21], v18 offset:9216
	ds_read_b64 v[22:23], v19 offset:8336
	s_waitcnt lgkmcnt(0)
	v_mul_f32_e32 v24, v23, v21
	v_mul_f32_e32 v21, v22, v21
	v_fma_f32 v22, v22, v20, -v24
	v_fmac_f32_e32 v21, v23, v20
	v_add_f32_e32 v2, v2, v22
	v_add_f32_e32 v3, v3, v21
.LBB145_692:
	s_or_b64 exec, exec, s[20:21]
	s_movk_i32 s14, 0xd0
	v_cmp_gt_u32_e64 s[14:15], s14, v8
	;; [unrolled: 16-line block ×10, first 2 shown]
	s_and_saveexec_b64 s[20:21], s[14:15]
	s_cbranch_execnz .LBB145_1024
; %bb.709:
	s_or_b64 exec, exec, s[20:21]
	s_and_saveexec_b64 s[14:15], s[10:11]
	s_cbranch_execnz .LBB145_1025
.LBB145_710:
	s_or_b64 exec, exec, s[14:15]
	v_cmp_gt_u32_e64 s[14:15], 48, v8
	s_and_saveexec_b64 s[20:21], s[14:15]
	s_cbranch_execnz .LBB145_1026
.LBB145_711:
	s_or_b64 exec, exec, s[20:21]
	v_cmp_gt_u32_e64 s[14:15], 32, v8
	s_and_saveexec_b64 s[20:21], s[14:15]
	s_cbranch_execnz .LBB145_1027
.LBB145_712:
	s_or_b64 exec, exec, s[20:21]
	v_cmp_gt_u32_e64 s[14:15], 16, v8
	s_and_saveexec_b64 s[20:21], s[14:15]
	s_cbranch_execz .LBB145_714
.LBB145_713:
	v_lshlrev_b32_e32 v18, 3, v0
	v_mov_b32_e32 v20, 0
	ds_read_b64 v[18:19], v18 offset:15872
	ds_read_b64 v[20:21], v20 offset:16120
	s_waitcnt lgkmcnt(0)
	v_mul_f32_e32 v22, v21, v19
	v_mul_f32_e32 v19, v20, v19
	v_fma_f32 v20, v20, v18, -v22
	v_fmac_f32_e32 v19, v21, v18
	v_add_f32_e32 v2, v2, v20
	v_add_f32_e32 v3, v3, v19
.LBB145_714:
	s_or_b64 exec, exec, s[20:21]
.LBB145_715:
	s_or_b64 exec, exec, s[16:17]
	s_mov_b64 s[14:15], exec
	v_readlane_b32 s16, v28, 0
	v_readlane_b32 s17, v28, 1
	s_and_b64 s[16:17], s[14:15], s[16:17]
	s_mov_b64 exec, s[16:17]
; %bb.716:
	v_xor_b32_e32 v18, 0x80000000, v2
	v_xor_b32_e32 v19, 0x80000000, v3
	ds_write_b64 v17, v[18:19]
; %bb.717:
	s_or_b64 exec, exec, s[14:15]
	s_waitcnt lgkmcnt(0)
	s_barrier
	s_mov_b64 s[14:15], exec
	v_readlane_b32 s16, v28, 2
	v_readlane_b32 s17, v28, 3
	s_and_b64 s[16:17], s[14:15], s[16:17]
	s_mov_b64 exec, s[16:17]
	s_cbranch_execz .LBB145_719
; %bb.718:
	v_lshlrev_b32_e32 v18, 3, v15
	ds_read_b64 v[18:19], v18 offset:7680
	ds_read_b64 v[20:21], v17
	s_waitcnt lgkmcnt(0)
	v_mul_f32_e32 v22, v21, v19
	v_mul_f32_e32 v19, v20, v19
	v_fma_f32 v20, v20, v18, -v22
	v_fmac_f32_e32 v19, v21, v18
	v_sub_f32_e32 v2, v2, v20
	v_sub_f32_e32 v3, v3, v19
.LBB145_719:
	s_or_b64 exec, exec, s[14:15]
	s_barrier
	s_mov_b64 s[14:15], exec
	v_readlane_b32 s16, v28, 4
	v_readlane_b32 s17, v28, 5
	s_and_b64 s[16:17], s[14:15], s[16:17]
	s_mov_b64 exec, s[16:17]
; %bb.720:
	v_xor_b32_e32 v18, 0x80000000, v2
	v_xor_b32_e32 v19, 0x80000000, v3
	ds_write_b64 v17, v[18:19]
; %bb.721:
	s_or_b64 exec, exec, s[14:15]
	s_waitcnt lgkmcnt(0)
	s_barrier
	s_mov_b64 s[14:15], exec
	v_readlane_b32 s16, v28, 6
	v_readlane_b32 s17, v28, 7
	s_and_b64 s[16:17], s[14:15], s[16:17]
	s_mov_b64 exec, s[16:17]
	s_cbranch_execz .LBB145_723
; %bb.722:
	v_lshlrev_b32_e32 v18, 3, v15
	ds_read_b64 v[18:19], v18 offset:7168
	ds_read_b64 v[20:21], v17
	s_waitcnt lgkmcnt(0)
	v_mul_f32_e32 v22, v21, v19
	v_mul_f32_e32 v19, v20, v19
	v_fma_f32 v20, v20, v18, -v22
	v_fmac_f32_e32 v19, v21, v18
	v_sub_f32_e32 v2, v2, v20
	v_sub_f32_e32 v3, v3, v19
.LBB145_723:
	s_or_b64 exec, exec, s[14:15]
	s_barrier
	;; [unrolled: 33-line block ×13, first 2 shown]
	s_mov_b64 s[14:15], exec
	v_readlane_b32 s16, v28, 52
	v_readlane_b32 s17, v28, 53
	s_and_b64 s[16:17], s[14:15], s[16:17]
	s_mov_b64 exec, s[16:17]
; %bb.768:
	v_xor_b32_e32 v18, 0x80000000, v2
	v_xor_b32_e32 v19, 0x80000000, v3
	ds_write_b64 v17, v[18:19]
; %bb.769:
	s_or_b64 exec, exec, s[14:15]
	s_waitcnt lgkmcnt(0)
	s_barrier
	s_and_saveexec_b64 s[14:15], s[98:99]
	s_cbranch_execz .LBB145_771
; %bb.770:
	v_lshlrev_b32_e32 v18, 3, v15
	ds_read_b64 v[18:19], v18 offset:1024
	ds_read_b64 v[20:21], v17
	s_waitcnt lgkmcnt(0)
	v_mul_f32_e32 v22, v21, v19
	v_mul_f32_e32 v19, v20, v19
	v_fma_f32 v20, v20, v18, -v22
	v_fmac_f32_e32 v19, v21, v18
	v_sub_f32_e32 v2, v2, v20
	v_sub_f32_e32 v3, v3, v19
.LBB145_771:
	s_or_b64 exec, exec, s[14:15]
	s_barrier
	s_and_saveexec_b64 s[14:15], s[90:91]
; %bb.772:
	v_xor_b32_e32 v18, 0x80000000, v2
	v_xor_b32_e32 v19, 0x80000000, v3
	ds_write_b64 v17, v[18:19]
; %bb.773:
	s_or_b64 exec, exec, s[14:15]
	s_waitcnt lgkmcnt(0)
	s_barrier
	s_and_saveexec_b64 s[14:15], s[96:97]
	s_cbranch_execz .LBB145_775
; %bb.774:
	v_mov_b32_e32 v18, 0
	ds_read_b64 v[18:19], v18 offset:512
	ds_read_b64 v[20:21], v17
	s_waitcnt lgkmcnt(0)
	v_mul_f32_e32 v22, v21, v19
	v_mul_f32_e32 v19, v20, v19
	v_fma_f32 v20, v20, v18, -v22
	v_fmac_f32_e32 v19, v21, v18
	v_sub_f32_e32 v2, v2, v20
	v_sub_f32_e32 v3, v3, v19
.LBB145_775:
	s_or_b64 exec, exec, s[14:15]
	s_barrier
	s_and_saveexec_b64 s[14:15], s[96:97]
; %bb.776:
	v_xor_b32_e32 v18, 0x80000000, v2
	v_xor_b32_e32 v19, 0x80000000, v3
	ds_write_b64 v17, v[18:19]
; %bb.777:
	s_or_b64 exec, exec, s[14:15]
	s_waitcnt lgkmcnt(0)
	s_barrier
	s_barrier
	s_and_saveexec_b64 s[14:15], s[12:13]
; %bb.778:
	v_lshlrev_b32_e32 v15, 3, v15
	v_lshl_or_b32 v15, v16, 9, v15
	ds_write_b64 v15, v[2:3] offset:8192
; %bb.779:
	s_or_b64 exec, exec, s[14:15]
	s_waitcnt lgkmcnt(0)
	s_barrier
	s_barrier
	s_and_saveexec_b64 s[12:13], vcc
	s_cbranch_execz .LBB145_781
; %bb.780:
	s_mov_b64 s[14:15], 0x3f800000
	v_mov_b32_e32 v2, s14
	v_mov_b32_e32 v3, s15
	s_movk_i32 s14, 0x1800
	v_add_u32_e64 v15, s14, 0
	ds_write2_b64 v15, v[2:3], v[2:3] offset0:142 offset1:207
.LBB145_781:
	s_or_b64 exec, exec, s[12:13]
	v_mov_b32_e32 v2, 0
	v_mov_b32_e32 v3, 0
	s_waitcnt lgkmcnt(0)
	s_barrier
	buffer_wbinvl1_vol
	s_and_saveexec_b64 s[14:15], s[6:7]
	s_cbranch_execz .LBB145_785
; %bb.782:
	v_lshlrev_b32_e32 v2, 3, v4
	v_lshlrev_b32_e32 v15, 9, v5
	ds_read_b64 v[2:3], v2 offset:7264
	ds_read_b64 v[15:16], v15 offset:7280
	v_cmp_gt_u32_e64 s[12:13], 2, v8
	s_waitcnt lgkmcnt(0)
	v_mul_f32_e32 v17, v16, v3
	v_mul_f32_e32 v3, v15, v3
	v_fma_f32 v15, v15, v2, -v17
	v_fmac_f32_e32 v3, v16, v2
	v_add_f32_e32 v2, 0, v15
	v_add_f32_e32 v3, 0, v3
	s_and_saveexec_b64 s[16:17], s[12:13]
	s_cbranch_execz .LBB145_784
; %bb.783:
	v_lshlrev_b32_e32 v15, 3, v0
	v_mov_b32_e32 v17, 0
	ds_read_b64 v[15:16], v15 offset:7776
	ds_read_b64 v[17:18], v17 offset:7800
	s_waitcnt lgkmcnt(0)
	v_mul_f32_e32 v19, v18, v16
	v_mul_f32_e32 v16, v17, v16
	v_fma_f32 v17, v17, v15, -v19
	v_fmac_f32_e32 v16, v18, v15
	v_add_f32_e32 v2, v2, v17
	v_add_f32_e32 v3, v3, v16
.LBB145_784:
	s_or_b64 exec, exec, s[16:17]
.LBB145_785:
	s_or_b64 exec, exec, s[14:15]
	s_and_saveexec_b64 s[12:13], s[44:45]
; %bb.786:
	v_xor_b32_e32 v16, 0x80000000, v3
	v_xor_b32_e32 v15, 0x80000000, v2
	ds_write_b64 v6, v[15:16]
; %bb.787:
	s_or_b64 exec, exec, s[12:13]
	s_waitcnt lgkmcnt(0)
	s_barrier
	s_and_saveexec_b64 s[12:13], s[42:43]
	s_cbranch_execz .LBB145_789
; %bb.788:
	v_mov_b32_e32 v15, 0
	ds_read_b64 v[15:16], v15 offset:6752
	ds_read_b64 v[17:18], v6
	s_waitcnt lgkmcnt(0)
	v_mul_f32_e32 v19, v17, v15
	v_mul_f32_e32 v17, v17, v16
	v_fmac_f32_e32 v17, v18, v15
	v_fma_f32 v15, v18, v16, -v19
	v_add_f32_e32 v2, v2, v15
	v_sub_f32_e32 v3, v3, v17
.LBB145_789:
	s_or_b64 exec, exec, s[12:13]
	s_barrier
	s_and_saveexec_b64 s[12:13], s[42:43]
; %bb.790:
	v_xor_b32_e32 v16, 0x80000000, v3
	v_xor_b32_e32 v15, 0x80000000, v2
	ds_write_b64 v6, v[15:16]
; %bb.791:
	s_or_b64 exec, exec, s[12:13]
	s_waitcnt lgkmcnt(0)
	s_barrier
	s_barrier
	s_and_saveexec_b64 s[12:13], s[6:7]
; %bb.792:
	v_lshlrev_b32_e32 v15, 3, v4
	v_lshl_or_b32 v15, v5, 9, v15
	ds_write_b64 v15, v[2:3] offset:7264
; %bb.793:
	s_or_b64 exec, exec, s[12:13]
	s_waitcnt lgkmcnt(0)
	s_barrier
	s_barrier
	s_and_saveexec_b64 s[12:13], vcc
	s_cbranch_execz .LBB145_795
; %bb.794:
	s_mov_b64 s[14:15], 0x3f800000
	v_mov_b32_e32 v2, s14
	v_mov_b32_e32 v3, s15
	s_movk_i32 s14, 0x1800
	v_add_u32_e64 v15, s14, 0
	ds_write2_b64 v15, v[2:3], v[2:3] offset0:12 offset1:77
.LBB145_795:
	s_or_b64 exec, exec, s[12:13]
	v_mov_b32_e32 v3, 0
	v_mov_b32_e32 v2, 0
	s_waitcnt lgkmcnt(0)
	s_barrier
	buffer_wbinvl1_vol
	s_and_saveexec_b64 s[14:15], s[18:19]
	s_cbranch_execz .LBB145_801
; %bb.796:
	v_lshlrev_b32_e32 v15, 3, v9
	v_lshlrev_b32_e32 v16, 9, v10
	ds_read_b64 v[2:3], v15 offset:6208
	ds_read_b64 v[17:18], v16 offset:6240
	v_cmp_gt_u32_e64 s[12:13], 12, v8
	s_waitcnt lgkmcnt(0)
	v_mul_f32_e32 v19, v18, v3
	v_mul_f32_e32 v3, v17, v3
	v_fma_f32 v17, v17, v2, -v19
	v_fmac_f32_e32 v3, v18, v2
	v_add_f32_e32 v2, 0, v17
	v_add_f32_e32 v3, 0, v3
	s_and_saveexec_b64 s[16:17], s[12:13]
	s_cbranch_execnz .LBB145_1028
; %bb.797:
	s_or_b64 exec, exec, s[16:17]
	v_cmp_gt_u32_e64 s[12:13], 8, v8
	s_and_saveexec_b64 s[16:17], s[12:13]
	s_cbranch_execnz .LBB145_1029
.LBB145_798:
	s_or_b64 exec, exec, s[16:17]
	v_cmp_gt_u32_e64 s[12:13], 4, v8
	s_and_saveexec_b64 s[16:17], s[12:13]
	s_cbranch_execz .LBB145_800
.LBB145_799:
	v_lshlrev_b32_e32 v15, 3, v0
	v_mov_b32_e32 v17, 0
	ds_read_b64 v[15:16], v15 offset:7744
	ds_read_b64 v[17:18], v17 offset:7800
	s_waitcnt lgkmcnt(0)
	v_mul_f32_e32 v19, v18, v16
	v_mul_f32_e32 v16, v17, v16
	v_fma_f32 v17, v17, v15, -v19
	v_fmac_f32_e32 v16, v18, v15
	v_add_f32_e32 v2, v2, v17
	v_add_f32_e32 v3, v3, v16
.LBB145_800:
	s_or_b64 exec, exec, s[16:17]
.LBB145_801:
	s_or_b64 exec, exec, s[14:15]
	s_and_saveexec_b64 s[12:13], s[48:49]
; %bb.802:
	v_xor_b32_e32 v15, 0x80000000, v2
	v_xor_b32_e32 v16, 0x80000000, v3
	ds_write_b64 v11, v[15:16]
; %bb.803:
	s_or_b64 exec, exec, s[12:13]
	s_waitcnt lgkmcnt(0)
	s_barrier
	s_and_saveexec_b64 s[12:13], s[50:51]
	s_cbranch_execz .LBB145_805
; %bb.804:
	v_lshlrev_b32_e32 v15, 3, v9
	ds_read_b64 v[15:16], v15 offset:5696
	ds_read_b64 v[17:18], v11
	s_waitcnt lgkmcnt(0)
	v_mul_f32_e32 v19, v18, v16
	v_mul_f32_e32 v16, v17, v16
	v_fma_f32 v17, v17, v15, -v19
	v_fmac_f32_e32 v16, v18, v15
	v_sub_f32_e32 v2, v2, v17
	v_sub_f32_e32 v3, v3, v16
.LBB145_805:
	s_or_b64 exec, exec, s[12:13]
	s_barrier
	s_and_saveexec_b64 s[12:13], s[52:53]
; %bb.806:
	v_xor_b32_e32 v15, 0x80000000, v2
	v_xor_b32_e32 v16, 0x80000000, v3
	ds_write_b64 v11, v[15:16]
; %bb.807:
	s_or_b64 exec, exec, s[12:13]
	s_waitcnt lgkmcnt(0)
	s_barrier
	s_and_saveexec_b64 s[12:13], s[54:55]
	s_cbranch_execz .LBB145_809
; %bb.808:
	v_lshlrev_b32_e32 v15, 3, v9
	ds_read_b64 v[15:16], v15 offset:5184
	ds_read_b64 v[17:18], v11
	s_waitcnt lgkmcnt(0)
	v_mul_f32_e32 v19, v18, v16
	v_mul_f32_e32 v16, v17, v16
	v_fma_f32 v17, v17, v15, -v19
	v_fmac_f32_e32 v16, v18, v15
	v_sub_f32_e32 v2, v2, v17
	v_sub_f32_e32 v3, v3, v16
.LBB145_809:
	s_or_b64 exec, exec, s[12:13]
	s_barrier
	s_and_saveexec_b64 s[12:13], s[56:57]
; %bb.810:
	v_xor_b32_e32 v15, 0x80000000, v2
	v_xor_b32_e32 v16, 0x80000000, v3
	ds_write_b64 v11, v[15:16]
; %bb.811:
	s_or_b64 exec, exec, s[12:13]
	s_waitcnt lgkmcnt(0)
	s_barrier
	s_and_saveexec_b64 s[12:13], s[46:47]
	s_cbranch_execz .LBB145_813
; %bb.812:
	v_mov_b32_e32 v15, 0
	ds_read_b64 v[15:16], v15 offset:4672
	ds_read_b64 v[17:18], v11
	s_waitcnt lgkmcnt(0)
	v_mul_f32_e32 v19, v18, v16
	v_mul_f32_e32 v16, v17, v16
	v_fma_f32 v17, v17, v15, -v19
	v_fmac_f32_e32 v16, v18, v15
	v_sub_f32_e32 v2, v2, v17
	v_sub_f32_e32 v3, v3, v16
.LBB145_813:
	s_or_b64 exec, exec, s[12:13]
	s_barrier
	s_and_saveexec_b64 s[12:13], s[46:47]
; %bb.814:
	v_xor_b32_e32 v15, 0x80000000, v2
	v_xor_b32_e32 v16, 0x80000000, v3
	ds_write_b64 v11, v[15:16]
; %bb.815:
	s_or_b64 exec, exec, s[12:13]
	s_waitcnt lgkmcnt(0)
	s_barrier
	s_barrier
	s_and_saveexec_b64 s[12:13], s[18:19]
; %bb.816:
	v_lshlrev_b32_e32 v15, 3, v9
	v_lshl_or_b32 v15, v10, 9, v15
	ds_write_b64 v15, v[2:3] offset:6208
; %bb.817:
	s_or_b64 exec, exec, s[12:13]
	s_waitcnt lgkmcnt(0)
	s_barrier
	s_barrier
	s_and_saveexec_b64 s[12:13], vcc
	s_cbranch_execz .LBB145_819
; %bb.818:
	s_mov_b64 s[14:15], 0x3f800000
	v_mov_b32_e32 v2, s14
	v_mov_b32_e32 v3, s15
	s_movk_i32 s14, 0x1000
	v_add_u32_e64 v15, s14, 0
	ds_write2_b64 v15, v[2:3], v[2:3] offset0:138 offset1:203
.LBB145_819:
	s_or_b64 exec, exec, s[12:13]
	v_mov_b32_e32 v2, 0
	v_mov_b32_e32 v3, 0
	s_waitcnt lgkmcnt(0)
	s_barrier
	buffer_wbinvl1_vol
	s_and_saveexec_b64 s[14:15], s[6:7]
	s_cbranch_execz .LBB145_823
; %bb.820:
	v_lshlrev_b32_e32 v2, 3, v4
	v_lshlrev_b32_e32 v15, 9, v5
	ds_read_b64 v[2:3], v2 offset:5184
	ds_read_b64 v[15:16], v15 offset:5200
	v_cmp_gt_u32_e64 s[12:13], 2, v8
	s_waitcnt lgkmcnt(0)
	v_mul_f32_e32 v17, v16, v3
	v_mul_f32_e32 v3, v15, v3
	v_fma_f32 v15, v15, v2, -v17
	v_fmac_f32_e32 v3, v16, v2
	v_add_f32_e32 v2, 0, v15
	v_add_f32_e32 v3, 0, v3
	s_and_saveexec_b64 s[16:17], s[12:13]
	s_cbranch_execz .LBB145_822
; %bb.821:
	v_lshlrev_b32_e32 v15, 3, v0
	v_mov_b32_e32 v17, 0
	ds_read_b64 v[15:16], v15 offset:5696
	ds_read_b64 v[17:18], v17 offset:5720
	s_waitcnt lgkmcnt(0)
	v_mul_f32_e32 v19, v18, v16
	v_mul_f32_e32 v16, v17, v16
	v_fma_f32 v17, v17, v15, -v19
	v_fmac_f32_e32 v16, v18, v15
	v_add_f32_e32 v2, v2, v17
	v_add_f32_e32 v3, v3, v16
.LBB145_822:
	s_or_b64 exec, exec, s[16:17]
.LBB145_823:
	s_or_b64 exec, exec, s[14:15]
	s_and_saveexec_b64 s[12:13], s[44:45]
; %bb.824:
	v_xor_b32_e32 v16, 0x80000000, v3
	v_xor_b32_e32 v15, 0x80000000, v2
	ds_write_b64 v6, v[15:16]
; %bb.825:
	s_or_b64 exec, exec, s[12:13]
	s_waitcnt lgkmcnt(0)
	s_barrier
	s_and_saveexec_b64 s[12:13], s[42:43]
	s_cbranch_execz .LBB145_827
; %bb.826:
	v_mov_b32_e32 v15, 0
	ds_read_b64 v[15:16], v15 offset:4672
	ds_read_b64 v[17:18], v6
	s_waitcnt lgkmcnt(0)
	v_mul_f32_e32 v19, v17, v15
	v_mul_f32_e32 v17, v17, v16
	v_fmac_f32_e32 v17, v18, v15
	v_fma_f32 v15, v18, v16, -v19
	v_add_f32_e32 v2, v2, v15
	v_sub_f32_e32 v3, v3, v17
.LBB145_827:
	s_or_b64 exec, exec, s[12:13]
	s_barrier
	s_and_saveexec_b64 s[12:13], s[42:43]
; %bb.828:
	v_xor_b32_e32 v16, 0x80000000, v3
	v_xor_b32_e32 v15, 0x80000000, v2
	ds_write_b64 v6, v[15:16]
; %bb.829:
	s_or_b64 exec, exec, s[12:13]
	s_waitcnt lgkmcnt(0)
	s_barrier
	s_barrier
	s_and_saveexec_b64 s[12:13], s[6:7]
; %bb.830:
	v_lshlrev_b32_e32 v15, 3, v4
	v_lshl_or_b32 v15, v5, 9, v15
	ds_write_b64 v15, v[2:3] offset:5184
; %bb.831:
	s_or_b64 exec, exec, s[12:13]
	s_waitcnt lgkmcnt(0)
	s_barrier
	s_barrier
	s_and_saveexec_b64 s[12:13], vcc
	s_cbranch_execz .LBB145_833
; %bb.832:
	s_mov_b64 s[14:15], 0x3f800000
	v_mov_b32_e32 v2, s14
	v_mov_b32_e32 v3, s15
	s_movk_i32 s14, 0x1000
	v_add_u32_e64 v15, s14, 0
	ds_write2_b64 v15, v[2:3], v[2:3] offset0:8 offset1:73
.LBB145_833:
	s_or_b64 exec, exec, s[12:13]
	v_mov_b32_e32 v3, 0
	v_mov_b32_e32 v2, 0
	s_waitcnt lgkmcnt(0)
	s_barrier
	buffer_wbinvl1_vol
	s_and_saveexec_b64 s[14:15], s[10:11]
	s_cbranch_execz .LBB145_843
; %bb.834:
	v_lshlrev_b32_e32 v15, 3, v12
	v_lshlrev_b32_e32 v16, 9, v13
	ds_read_b64 v[2:3], v15 offset:4096
	ds_read_b64 v[17:18], v16 offset:4160
	v_cmp_gt_u32_e64 s[12:13], 56, v8
	s_waitcnt lgkmcnt(0)
	v_mul_f32_e32 v19, v18, v3
	v_mul_f32_e32 v3, v17, v3
	v_fma_f32 v17, v17, v2, -v19
	v_fmac_f32_e32 v3, v18, v2
	v_add_f32_e32 v2, 0, v17
	v_add_f32_e32 v3, 0, v3
	s_and_saveexec_b64 s[16:17], s[12:13]
	s_cbranch_execnz .LBB145_1030
; %bb.835:
	s_or_b64 exec, exec, s[16:17]
	v_cmp_gt_u32_e64 s[12:13], 48, v8
	s_and_saveexec_b64 s[16:17], s[12:13]
	s_cbranch_execnz .LBB145_1031
.LBB145_836:
	s_or_b64 exec, exec, s[16:17]
	v_cmp_gt_u32_e64 s[12:13], 40, v8
	s_and_saveexec_b64 s[16:17], s[12:13]
	s_cbranch_execnz .LBB145_1032
.LBB145_837:
	s_or_b64 exec, exec, s[16:17]
	v_cmp_gt_u32_e64 s[12:13], 32, v8
	s_and_saveexec_b64 s[16:17], s[12:13]
	s_cbranch_execnz .LBB145_1033
.LBB145_838:
	s_or_b64 exec, exec, s[16:17]
	v_cmp_gt_u32_e64 s[12:13], 24, v8
	s_and_saveexec_b64 s[16:17], s[12:13]
	s_cbranch_execnz .LBB145_1034
.LBB145_839:
	s_or_b64 exec, exec, s[16:17]
	s_and_saveexec_b64 s[12:13], s[18:19]
	s_cbranch_execnz .LBB145_1035
.LBB145_840:
	s_or_b64 exec, exec, s[12:13]
	v_cmp_gt_u32_e64 s[12:13], 8, v8
	s_and_saveexec_b64 s[16:17], s[12:13]
	s_cbranch_execz .LBB145_842
.LBB145_841:
	v_lshlrev_b32_e32 v15, 3, v0
	v_mov_b32_e32 v17, 0
	ds_read_b64 v[15:16], v15 offset:7680
	ds_read_b64 v[17:18], v17 offset:7800
	s_waitcnt lgkmcnt(0)
	v_mul_f32_e32 v19, v18, v16
	v_mul_f32_e32 v16, v17, v16
	v_fma_f32 v17, v17, v15, -v19
	v_fmac_f32_e32 v16, v18, v15
	v_add_f32_e32 v2, v2, v17
	v_add_f32_e32 v3, v3, v16
.LBB145_842:
	s_or_b64 exec, exec, s[16:17]
.LBB145_843:
	s_or_b64 exec, exec, s[14:15]
	s_and_saveexec_b64 s[12:13], s[60:61]
; %bb.844:
	v_xor_b32_e32 v16, 0x80000000, v3
	v_xor_b32_e32 v15, 0x80000000, v2
	ds_write_b64 v14, v[15:16]
; %bb.845:
	s_or_b64 exec, exec, s[12:13]
	s_waitcnt lgkmcnt(0)
	s_barrier
	s_and_saveexec_b64 s[12:13], s[62:63]
	s_cbranch_execz .LBB145_847
; %bb.846:
	v_lshlrev_b32_e32 v15, 3, v12
	ds_read_b64 v[15:16], v15 offset:3584
	ds_read_b64 v[17:18], v14
	s_waitcnt lgkmcnt(0)
	v_mul_f32_e32 v19, v18, v16
	v_mul_f32_e32 v16, v17, v16
	v_fma_f32 v17, v17, v15, -v19
	v_fmac_f32_e32 v16, v18, v15
	v_sub_f32_e32 v2, v2, v17
	v_sub_f32_e32 v3, v3, v16
.LBB145_847:
	s_or_b64 exec, exec, s[12:13]
	s_barrier
	s_and_saveexec_b64 s[12:13], s[64:65]
; %bb.848:
	v_xor_b32_e32 v16, 0x80000000, v3
	v_xor_b32_e32 v15, 0x80000000, v2
	ds_write_b64 v14, v[15:16]
; %bb.849:
	s_or_b64 exec, exec, s[12:13]
	s_waitcnt lgkmcnt(0)
	s_barrier
	s_and_saveexec_b64 s[12:13], s[66:67]
	s_cbranch_execz .LBB145_851
; %bb.850:
	v_lshlrev_b32_e32 v15, 3, v12
	ds_read_b64 v[15:16], v15 offset:3072
	ds_read_b64 v[17:18], v14
	s_waitcnt lgkmcnt(0)
	v_mul_f32_e32 v19, v18, v16
	v_mul_f32_e32 v16, v17, v16
	v_fma_f32 v17, v17, v15, -v19
	v_fmac_f32_e32 v16, v18, v15
	v_sub_f32_e32 v2, v2, v17
	v_sub_f32_e32 v3, v3, v16
.LBB145_851:
	s_or_b64 exec, exec, s[12:13]
	s_barrier
	;; [unrolled: 25-line block ×6, first 2 shown]
	s_and_saveexec_b64 s[12:13], s[84:85]
; %bb.868:
	v_xor_b32_e32 v16, 0x80000000, v3
	v_xor_b32_e32 v15, 0x80000000, v2
	ds_write_b64 v14, v[15:16]
; %bb.869:
	s_or_b64 exec, exec, s[12:13]
	s_waitcnt lgkmcnt(0)
	s_barrier
	s_and_saveexec_b64 s[12:13], s[58:59]
	s_cbranch_execz .LBB145_871
; %bb.870:
	v_mov_b32_e32 v15, 0
	ds_read_b64 v[15:16], v15 offset:512
	ds_read_b64 v[17:18], v14
	s_waitcnt lgkmcnt(0)
	v_mul_f32_e32 v19, v18, v16
	v_mul_f32_e32 v16, v17, v16
	v_fma_f32 v17, v17, v15, -v19
	v_fmac_f32_e32 v16, v18, v15
	v_sub_f32_e32 v2, v2, v17
	v_sub_f32_e32 v3, v3, v16
.LBB145_871:
	s_or_b64 exec, exec, s[12:13]
	s_barrier
	s_and_saveexec_b64 s[12:13], s[58:59]
; %bb.872:
	v_xor_b32_e32 v16, 0x80000000, v3
	v_xor_b32_e32 v15, 0x80000000, v2
	ds_write_b64 v14, v[15:16]
; %bb.873:
	s_or_b64 exec, exec, s[12:13]
	s_waitcnt lgkmcnt(0)
	s_barrier
	s_barrier
	s_and_saveexec_b64 s[12:13], s[10:11]
; %bb.874:
	v_lshlrev_b32_e32 v12, 3, v12
	v_lshl_or_b32 v12, v13, 9, v12
	ds_write_b64 v12, v[2:3] offset:4096
; %bb.875:
	s_or_b64 exec, exec, s[12:13]
	s_waitcnt lgkmcnt(0)
	s_barrier
	s_barrier
	s_and_saveexec_b64 s[10:11], vcc
	s_cbranch_execz .LBB145_877
; %bb.876:
	s_mov_b64 s[12:13], 0x3f800000
	v_mov_b32_e32 v2, s12
	v_mov_b32_e32 v3, s13
	s_movk_i32 s12, 0x800
	v_add_u32_e64 v12, s12, 0
	ds_write2_b64 v12, v[2:3], v[2:3] offset0:134 offset1:199
.LBB145_877:
	s_or_b64 exec, exec, s[10:11]
	v_mov_b32_e32 v2, 0
	v_mov_b32_e32 v3, 0
	s_waitcnt lgkmcnt(0)
	s_barrier
	buffer_wbinvl1_vol
	s_and_saveexec_b64 s[12:13], s[6:7]
	s_cbranch_execz .LBB145_881
; %bb.878:
	v_lshlrev_b32_e32 v2, 3, v4
	v_lshlrev_b32_e32 v12, 9, v5
	ds_read_b64 v[2:3], v2 offset:3104
	ds_read_b64 v[12:13], v12 offset:3120
	v_cmp_gt_u32_e64 s[10:11], 2, v8
	s_waitcnt lgkmcnt(0)
	v_mul_f32_e32 v14, v13, v3
	v_mul_f32_e32 v3, v12, v3
	v_fma_f32 v12, v12, v2, -v14
	v_fmac_f32_e32 v3, v13, v2
	v_add_f32_e32 v2, 0, v12
	v_add_f32_e32 v3, 0, v3
	s_and_saveexec_b64 s[14:15], s[10:11]
	s_cbranch_execz .LBB145_880
; %bb.879:
	v_lshlrev_b32_e32 v12, 3, v0
	v_mov_b32_e32 v14, 0
	ds_read_b64 v[12:13], v12 offset:3616
	ds_read_b64 v[14:15], v14 offset:3640
	s_waitcnt lgkmcnt(0)
	v_mul_f32_e32 v16, v15, v13
	v_mul_f32_e32 v13, v14, v13
	v_fma_f32 v14, v14, v12, -v16
	v_fmac_f32_e32 v13, v15, v12
	v_add_f32_e32 v2, v2, v14
	v_add_f32_e32 v3, v3, v13
.LBB145_880:
	s_or_b64 exec, exec, s[14:15]
.LBB145_881:
	s_or_b64 exec, exec, s[12:13]
	s_and_saveexec_b64 s[10:11], s[44:45]
; %bb.882:
	v_xor_b32_e32 v13, 0x80000000, v3
	v_xor_b32_e32 v12, 0x80000000, v2
	ds_write_b64 v6, v[12:13]
; %bb.883:
	s_or_b64 exec, exec, s[10:11]
	s_waitcnt lgkmcnt(0)
	s_barrier
	s_and_saveexec_b64 s[10:11], s[42:43]
	s_cbranch_execz .LBB145_885
; %bb.884:
	v_mov_b32_e32 v12, 0
	ds_read_b64 v[12:13], v12 offset:2592
	ds_read_b64 v[14:15], v6
	s_waitcnt lgkmcnt(0)
	v_mul_f32_e32 v16, v14, v12
	v_mul_f32_e32 v14, v14, v13
	v_fmac_f32_e32 v14, v15, v12
	v_fma_f32 v12, v15, v13, -v16
	v_add_f32_e32 v2, v2, v12
	v_sub_f32_e32 v3, v3, v14
.LBB145_885:
	s_or_b64 exec, exec, s[10:11]
	s_barrier
	s_and_saveexec_b64 s[10:11], s[42:43]
; %bb.886:
	v_xor_b32_e32 v13, 0x80000000, v3
	v_xor_b32_e32 v12, 0x80000000, v2
	ds_write_b64 v6, v[12:13]
; %bb.887:
	s_or_b64 exec, exec, s[10:11]
	s_waitcnt lgkmcnt(0)
	s_barrier
	s_barrier
	s_and_saveexec_b64 s[10:11], s[6:7]
; %bb.888:
	v_lshlrev_b32_e32 v12, 3, v4
	v_lshl_or_b32 v12, v5, 9, v12
	ds_write_b64 v12, v[2:3] offset:3104
; %bb.889:
	s_or_b64 exec, exec, s[10:11]
	s_waitcnt lgkmcnt(0)
	s_barrier
	s_barrier
	s_and_saveexec_b64 s[10:11], vcc
	s_cbranch_execz .LBB145_891
; %bb.890:
	s_mov_b64 s[12:13], 0x3f800000
	v_mov_b32_e32 v2, s12
	v_mov_b32_e32 v3, s13
	s_movk_i32 s12, 0x800
	v_add_u32_e64 v12, s12, 0
	ds_write2_b64 v12, v[2:3], v[2:3] offset0:4 offset1:69
.LBB145_891:
	s_or_b64 exec, exec, s[10:11]
	v_mov_b32_e32 v3, 0
	v_mov_b32_e32 v2, 0
	s_waitcnt lgkmcnt(0)
	s_barrier
	buffer_wbinvl1_vol
	s_and_saveexec_b64 s[12:13], s[18:19]
	s_cbranch_execz .LBB145_897
; %bb.892:
	v_lshlrev_b32_e32 v12, 3, v9
	v_lshlrev_b32_e32 v13, 9, v10
	ds_read_b64 v[2:3], v12 offset:2048
	ds_read_b64 v[14:15], v13 offset:2080
	v_cmp_gt_u32_e64 s[10:11], 12, v8
	s_waitcnt lgkmcnt(0)
	v_mul_f32_e32 v16, v15, v3
	v_mul_f32_e32 v3, v14, v3
	v_fma_f32 v14, v14, v2, -v16
	v_fmac_f32_e32 v3, v15, v2
	v_add_f32_e32 v2, 0, v14
	v_add_f32_e32 v3, 0, v3
	s_and_saveexec_b64 s[14:15], s[10:11]
	s_cbranch_execnz .LBB145_1036
; %bb.893:
	s_or_b64 exec, exec, s[14:15]
	v_cmp_gt_u32_e64 s[10:11], 8, v8
	s_and_saveexec_b64 s[14:15], s[10:11]
	s_cbranch_execnz .LBB145_1037
.LBB145_894:
	s_or_b64 exec, exec, s[14:15]
	v_cmp_gt_u32_e64 s[10:11], 4, v8
	s_and_saveexec_b64 s[14:15], s[10:11]
	s_cbranch_execz .LBB145_896
.LBB145_895:
	v_lshlrev_b32_e32 v12, 3, v0
	v_mov_b32_e32 v14, 0
	ds_read_b64 v[12:13], v12 offset:3584
	ds_read_b64 v[14:15], v14 offset:3640
	s_waitcnt lgkmcnt(0)
	v_mul_f32_e32 v16, v15, v13
	v_mul_f32_e32 v13, v14, v13
	v_fma_f32 v14, v14, v12, -v16
	v_fmac_f32_e32 v13, v15, v12
	v_add_f32_e32 v2, v2, v14
	v_add_f32_e32 v3, v3, v13
.LBB145_896:
	s_or_b64 exec, exec, s[14:15]
.LBB145_897:
	s_or_b64 exec, exec, s[12:13]
	s_and_saveexec_b64 s[10:11], s[48:49]
; %bb.898:
	v_xor_b32_e32 v12, 0x80000000, v2
	v_xor_b32_e32 v13, 0x80000000, v3
	ds_write_b64 v11, v[12:13]
; %bb.899:
	s_or_b64 exec, exec, s[10:11]
	s_waitcnt lgkmcnt(0)
	s_barrier
	s_and_saveexec_b64 s[10:11], s[50:51]
	s_cbranch_execz .LBB145_901
; %bb.900:
	v_lshlrev_b32_e32 v12, 3, v9
	ds_read_b64 v[12:13], v12 offset:1536
	ds_read_b64 v[14:15], v11
	s_waitcnt lgkmcnt(0)
	v_mul_f32_e32 v16, v15, v13
	v_mul_f32_e32 v13, v14, v13
	v_fma_f32 v14, v14, v12, -v16
	v_fmac_f32_e32 v13, v15, v12
	v_sub_f32_e32 v2, v2, v14
	v_sub_f32_e32 v3, v3, v13
.LBB145_901:
	s_or_b64 exec, exec, s[10:11]
	s_barrier
	s_and_saveexec_b64 s[10:11], s[52:53]
; %bb.902:
	v_xor_b32_e32 v12, 0x80000000, v2
	v_xor_b32_e32 v13, 0x80000000, v3
	ds_write_b64 v11, v[12:13]
; %bb.903:
	s_or_b64 exec, exec, s[10:11]
	s_waitcnt lgkmcnt(0)
	s_barrier
	s_and_saveexec_b64 s[10:11], s[54:55]
	s_cbranch_execz .LBB145_905
; %bb.904:
	v_lshlrev_b32_e32 v12, 3, v9
	ds_read_b64 v[12:13], v12 offset:1024
	ds_read_b64 v[14:15], v11
	s_waitcnt lgkmcnt(0)
	v_mul_f32_e32 v16, v15, v13
	v_mul_f32_e32 v13, v14, v13
	v_fma_f32 v14, v14, v12, -v16
	v_fmac_f32_e32 v13, v15, v12
	v_sub_f32_e32 v2, v2, v14
	v_sub_f32_e32 v3, v3, v13
.LBB145_905:
	s_or_b64 exec, exec, s[10:11]
	s_barrier
	s_and_saveexec_b64 s[10:11], s[56:57]
; %bb.906:
	v_xor_b32_e32 v12, 0x80000000, v2
	v_xor_b32_e32 v13, 0x80000000, v3
	ds_write_b64 v11, v[12:13]
; %bb.907:
	s_or_b64 exec, exec, s[10:11]
	s_waitcnt lgkmcnt(0)
	s_barrier
	s_and_saveexec_b64 s[10:11], s[46:47]
	s_cbranch_execz .LBB145_909
; %bb.908:
	v_mov_b32_e32 v12, 0
	ds_read_b64 v[12:13], v12 offset:512
	ds_read_b64 v[14:15], v11
	s_waitcnt lgkmcnt(0)
	v_mul_f32_e32 v16, v15, v13
	v_mul_f32_e32 v13, v14, v13
	v_fma_f32 v14, v14, v12, -v16
	v_fmac_f32_e32 v13, v15, v12
	v_sub_f32_e32 v2, v2, v14
	v_sub_f32_e32 v3, v3, v13
.LBB145_909:
	s_or_b64 exec, exec, s[10:11]
	s_barrier
	s_and_saveexec_b64 s[10:11], s[46:47]
; %bb.910:
	v_xor_b32_e32 v12, 0x80000000, v2
	v_xor_b32_e32 v13, 0x80000000, v3
	ds_write_b64 v11, v[12:13]
; %bb.911:
	s_or_b64 exec, exec, s[10:11]
	s_waitcnt lgkmcnt(0)
	s_barrier
	s_barrier
	s_and_saveexec_b64 s[10:11], s[18:19]
; %bb.912:
	v_lshlrev_b32_e32 v9, 3, v9
	v_lshl_or_b32 v9, v10, 9, v9
	ds_write_b64 v9, v[2:3] offset:2048
; %bb.913:
	s_or_b64 exec, exec, s[10:11]
	s_waitcnt lgkmcnt(0)
	s_barrier
	s_barrier
	s_and_saveexec_b64 s[10:11], vcc
; %bb.914:
	s_mov_b64 s[12:13], 0x3f800000
	v_mov_b32_e32 v2, s12
	v_mov_b32_e32 v9, 0
	;; [unrolled: 1-line block ×3, first 2 shown]
	ds_write2_b64 v9, v[2:3], v[2:3] offset0:130 offset1:195
; %bb.915:
	s_or_b64 exec, exec, s[10:11]
	v_mov_b32_e32 v2, 0
	v_mov_b32_e32 v3, 0
	s_waitcnt lgkmcnt(0)
	s_barrier
	buffer_wbinvl1_vol
	s_and_saveexec_b64 s[12:13], s[6:7]
	s_cbranch_execz .LBB145_919
; %bb.916:
	v_lshlrev_b32_e32 v2, 3, v4
	v_lshlrev_b32_e32 v9, 9, v5
	ds_read_b64 v[2:3], v2 offset:1024
	ds_read_b64 v[9:10], v9 offset:1040
	v_cmp_gt_u32_e64 s[10:11], 2, v8
	s_waitcnt lgkmcnt(0)
	v_mul_f32_e32 v11, v10, v3
	v_mul_f32_e32 v3, v9, v3
	v_fma_f32 v9, v9, v2, -v11
	v_fmac_f32_e32 v3, v10, v2
	v_add_f32_e32 v2, 0, v9
	v_add_f32_e32 v3, 0, v3
	s_and_saveexec_b64 s[14:15], s[10:11]
	s_cbranch_execz .LBB145_918
; %bb.917:
	v_lshlrev_b32_e32 v8, 3, v0
	v_mov_b32_e32 v10, 0
	ds_read_b64 v[8:9], v8 offset:1536
	ds_read_b64 v[10:11], v10 offset:1560
	s_waitcnt lgkmcnt(0)
	v_mul_f32_e32 v12, v11, v9
	v_mul_f32_e32 v9, v10, v9
	v_fma_f32 v10, v10, v8, -v12
	v_fmac_f32_e32 v9, v11, v8
	v_add_f32_e32 v2, v2, v10
	v_add_f32_e32 v3, v3, v9
.LBB145_918:
	s_or_b64 exec, exec, s[14:15]
.LBB145_919:
	s_or_b64 exec, exec, s[12:13]
	s_and_saveexec_b64 s[10:11], s[44:45]
; %bb.920:
	v_xor_b32_e32 v9, 0x80000000, v3
	v_xor_b32_e32 v8, 0x80000000, v2
	ds_write_b64 v6, v[8:9]
; %bb.921:
	s_or_b64 exec, exec, s[10:11]
	s_waitcnt lgkmcnt(0)
	s_barrier
	s_and_saveexec_b64 s[10:11], s[42:43]
	s_cbranch_execz .LBB145_923
; %bb.922:
	v_mov_b32_e32 v8, 0
	ds_read_b64 v[8:9], v8 offset:512
	ds_read_b64 v[10:11], v6
	s_waitcnt lgkmcnt(0)
	v_mul_f32_e32 v12, v10, v8
	v_mul_f32_e32 v10, v10, v9
	v_fmac_f32_e32 v10, v11, v8
	v_fma_f32 v8, v11, v9, -v12
	v_add_f32_e32 v2, v2, v8
	v_sub_f32_e32 v3, v3, v10
.LBB145_923:
	s_or_b64 exec, exec, s[10:11]
	s_barrier
	s_and_saveexec_b64 s[10:11], s[42:43]
; %bb.924:
	v_xor_b32_e32 v9, 0x80000000, v3
	v_xor_b32_e32 v8, 0x80000000, v2
	ds_write_b64 v6, v[8:9]
; %bb.925:
	s_or_b64 exec, exec, s[10:11]
	s_waitcnt lgkmcnt(0)
	s_barrier
	s_barrier
	s_and_saveexec_b64 s[10:11], s[6:7]
; %bb.926:
	v_lshlrev_b32_e32 v4, 3, v4
	v_lshl_or_b32 v4, v5, 9, v4
	ds_write_b64 v4, v[2:3] offset:1024
; %bb.927:
	s_or_b64 exec, exec, s[10:11]
	s_waitcnt lgkmcnt(0)
	s_barrier
	s_barrier
	s_and_saveexec_b64 s[6:7], vcc
; %bb.928:
	s_mov_b64 s[10:11], 0x3f800000
	v_mov_b32_e32 v2, s10
	v_mov_b32_e32 v4, 0
	;; [unrolled: 1-line block ×3, first 2 shown]
	ds_write2_b64 v4, v[2:3], v[2:3] offset1:65
; %bb.929:
	s_or_b64 exec, exec, s[6:7]
.LBB145_930:
	s_lshl_b64 s[6:7], s[24:25], 3
	s_add_u32 s44, s38, s6
	v_cmp_le_i32_e32 vcc, s94, v0
	s_addc_u32 s45, s39, s7
	s_and_b64 s[18:19], vcc, s[22:23]
	v_cmp_eq_u32_e64 s[6:7], 0, v1
	s_xor_b64 s[10:11], s[18:19], -1
	v_mov_b32_e32 v2, 0
	s_and_b64 s[12:13], s[6:7], s[10:11]
	v_lshl_add_u32 v4, s33, 6, v0
	v_mov_b32_e32 v3, v2
	s_waitcnt lgkmcnt(0)
	s_barrier
	s_and_saveexec_b64 s[10:11], s[12:13]
	s_cbranch_execz .LBB145_932
; %bb.931:
	v_ashrrev_i32_e32 v5, 31, v4
	v_mul_lo_u32 v6, s27, v4
	v_mad_u64_u32 v[2:3], s[12:13], s26, v4, 0
	v_mul_lo_u32 v5, s26, v5
	v_add3_u32 v3, v3, v5, v6
	v_lshlrev_b64 v[2:3], 3, v[2:3]
	v_mov_b32_e32 v5, s45
	v_add_co_u32_e32 v2, vcc, s44, v2
	v_addc_co_u32_e32 v3, vcc, v5, v3, vcc
	flat_load_dwordx2 v[5:6], v[2:3]
	s_waitcnt vmcnt(0) lgkmcnt(0)
	v_mul_f32_e32 v2, s36, v5
	v_mul_f32_e32 v3, s36, v6
	v_fma_f32 v2, s37, v6, -v2
	v_fma_f32 v3, v5, -s37, -v3
.LBB145_932:
	s_or_b64 exec, exec, s[10:11]
	s_load_dwordx2 s[16:17], s[4:5], 0x50
	s_and_b32 s4, 0xffff, s89
	v_mad_u32_u24 v8, v1, s4, v0
	s_cmp_lt_i32 s8, 1
	v_cmp_eq_u32_e64 s[4:5], 0, v8
	s_cbranch_scc1 .LBB145_951
; %bb.933:
	s_lshl_b64 s[10:11], s[28:29], 2
	v_ashrrev_i32_e32 v5, 31, v4
	s_waitcnt lgkmcnt(0)
	s_add_u32 s24, s16, s10
	s_addc_u32 s25, s17, s11
	v_cmp_gt_i32_e64 s[10:11], s30, v4
	v_lshlrev_b64 v[4:5], 3, v[4:5]
	v_mov_b32_e32 v6, 0xa000
	s_mov_b64 s[20:21], src_private_base
	v_lshl_add_u32 v9, v8, 3, v6
	v_lshl_or_b32 v10, v1, 3, v6
	v_mov_b32_e32 v6, s88
	v_add_co_u32_e32 v11, vcc, s95, v4
	s_mul_i32 s14, s35, 0x180
	s_mul_hi_u32 s15, s34, 0x180
	s_mov_b32 s20, 0
	v_cmp_gt_u32_e64 s[12:13], 64, v8
	s_add_i32 s46, s33, 1
	v_addc_co_u32_e32 v12, vcc, v6, v5, vcc
	s_lshl_b64 s[36:37], s[34:35], 7
	s_lshl_b64 s[38:39], s[34:35], 8
	s_add_i32 s47, s15, s14
	s_mul_i32 s48, s34, 0x180
	v_mov_b32_e32 v15, -1
	v_mov_b32_e32 v4, 0
	v_mov_b32_e32 v13, 0
	;; [unrolled: 1-line block ×5, first 2 shown]
	s_branch .LBB145_935
.LBB145_934:                            ;   in Loop: Header=BB145_935 Depth=1
	s_or_b64 exec, exec, s[42:43]
	s_add_i32 s20, s20, 1
	s_cmp_eq_u32 s20, s8
	s_cbranch_scc1 .LBB145_951
.LBB145_935:                            ; =>This Loop Header: Depth=1
                                        ;     Child Loop BB145_937 Depth 2
	v_cmp_gt_i32_e32 vcc, s20, v15
	s_and_b64 s[42:43], s[4:5], vcc
	s_and_saveexec_b64 s[14:15], s[42:43]
	s_cbranch_execz .LBB145_938
; %bb.936:                              ;   in Loop: Header=BB145_935 Depth=1
	global_load_dword v15, v4, s[24:25]
	s_waitcnt vmcnt(0)
	v_cmp_le_i32_e32 vcc, s20, v15
	s_cbranch_vccnz .LBB145_938
.LBB145_937:                            ;   Parent Loop BB145_935 Depth=1
                                        ; =>  This Inner Loop Header: Depth=2
	buffer_wbinvl1_vol
	global_load_dword v15, v4, s[24:25]
	s_waitcnt vmcnt(0)
	v_cmp_gt_i32_e32 vcc, s20, v15
	s_cbranch_vccnz .LBB145_937
.LBB145_938:                            ;   in Loop: Header=BB145_935 Depth=1
	s_or_b64 exec, exec, s[14:15]
	s_sub_i32 s49, s9, s20
	s_lshl_b32 s50, s49, 6
	buffer_wbinvl1_vol
	s_barrier
	s_and_saveexec_b64 s[14:15], s[12:13]
	s_cbranch_execz .LBB145_943
; %bb.939:                              ;   in Loop: Header=BB145_935 Depth=1
	s_ashr_i32 s42, s50, 31
	v_mov_b32_e32 v6, s42
	v_or_b32_e32 v5, s50, v8
	v_cmp_le_i64_e32 vcc, s[30:31], v[5:6]
	s_and_saveexec_b64 s[42:43], vcc
	s_xor_b64 s[42:43], exec, s[42:43]
; %bb.940:                              ;   in Loop: Header=BB145_935 Depth=1
	v_mov_b32_e32 v5, v4
	ds_write_b64 v9, v[4:5]
                                        ; implicit-def: $vgpr5_vgpr6
; %bb.941:                              ;   in Loop: Header=BB145_935 Depth=1
	s_andn2_saveexec_b64 s[42:43], s[42:43]
	s_cbranch_execz .LBB145_943
; %bb.942:                              ;   in Loop: Header=BB145_935 Depth=1
	v_mul_lo_u32 v18, v6, s26
	v_mul_lo_u32 v19, v5, s27
	v_mad_u64_u32 v[5:6], s[42:43], v5, s26, 0
	v_add3_u32 v6, v6, v19, v18
	v_lshlrev_b64 v[5:6], 3, v[5:6]
	v_mov_b32_e32 v18, s45
	v_add_co_u32_e32 v5, vcc, s44, v5
	v_addc_co_u32_e32 v6, vcc, v18, v6, vcc
	flat_load_dwordx2 v[5:6], v[5:6]
	s_waitcnt vmcnt(0) lgkmcnt(0)
	ds_write_b64 v9, v[5:6]
.LBB145_943:                            ;   in Loop: Header=BB145_935 Depth=1
	s_or_b64 exec, exec, s[14:15]
	v_add_u32_e32 v5, s50, v1
	v_ashrrev_i32_e32 v6, 31, v5
	v_mul_lo_u32 v20, s35, v5
	v_mad_u64_u32 v[18:19], s[14:15], s34, v5, 0
	v_mul_lo_u32 v6, s34, v6
	s_cmp_eq_u32 s49, s46
	s_cselect_b64 vcc, -1, 0
	s_waitcnt lgkmcnt(0)
	v_add3_u32 v19, v19, v6, v20
	v_lshlrev_b64 v[18:19], 3, v[18:19]
	s_barrier
	v_add_co_u32_e64 v6, s[14:15], v11, v18
	v_addc_co_u32_e64 v18, s[14:15], v12, v19, s[14:15]
	v_cmp_gt_i32_e64 s[14:15], s30, v5
	s_and_b64 s[42:43], s[10:11], s[14:15]
	s_and_saveexec_b64 s[14:15], s[42:43]
	s_cbranch_execz .LBB145_945
; %bb.944:                              ;   in Loop: Header=BB145_935 Depth=1
	v_mov_b32_e32 v19, s21
	v_cndmask_b32_e32 v20, v18, v19, vcc
	v_cndmask_b32_e32 v19, v6, v13, vcc
	flat_load_dwordx2 v[19:20], v[19:20]
	ds_read_b64 v[21:22], v10
	s_waitcnt vmcnt(0) lgkmcnt(0)
	v_mul_f32_e32 v23, v22, v20
	v_mul_f32_e32 v20, v21, v20
	v_fma_f32 v21, v21, v19, -v23
	v_fmac_f32_e32 v20, v22, v19
	v_add_f32_e32 v2, v2, v21
	v_add_f32_e32 v3, v3, v20
.LBB145_945:                            ;   in Loop: Header=BB145_935 Depth=1
	s_or_b64 exec, exec, s[14:15]
	v_add_u32_e32 v19, 16, v5
	v_cmp_gt_i32_e64 s[14:15], s30, v19
	s_and_b64 s[14:15], s[10:11], s[14:15]
	s_and_saveexec_b64 s[42:43], s[14:15]
	s_cbranch_execz .LBB145_947
; %bb.946:                              ;   in Loop: Header=BB145_935 Depth=1
	v_mov_b32_e32 v19, s37
	v_add_co_u32_e64 v21, s[14:15], s36, v6
	v_addc_co_u32_e64 v19, s[14:15], v18, v19, s[14:15]
	v_mov_b32_e32 v20, s21
	v_cndmask_b32_e32 v20, v19, v20, vcc
	v_cndmask_b32_e32 v19, v21, v14, vcc
	flat_load_dwordx2 v[19:20], v[19:20]
	ds_read_b64 v[21:22], v10 offset:128
	s_waitcnt vmcnt(0) lgkmcnt(0)
	v_mul_f32_e32 v23, v22, v20
	v_mul_f32_e32 v20, v21, v20
	v_fma_f32 v21, v21, v19, -v23
	v_fmac_f32_e32 v20, v22, v19
	v_add_f32_e32 v2, v2, v21
	v_add_f32_e32 v3, v3, v20
.LBB145_947:                            ;   in Loop: Header=BB145_935 Depth=1
	s_or_b64 exec, exec, s[42:43]
	v_add_u32_e32 v19, 32, v5
	v_cmp_gt_i32_e64 s[14:15], s30, v19
	s_and_b64 s[14:15], s[10:11], s[14:15]
	s_and_saveexec_b64 s[42:43], s[14:15]
	s_cbranch_execz .LBB145_949
; %bb.948:                              ;   in Loop: Header=BB145_935 Depth=1
	v_mov_b32_e32 v19, s39
	v_add_co_u32_e64 v21, s[14:15], s38, v6
	v_addc_co_u32_e64 v19, s[14:15], v18, v19, s[14:15]
	v_mov_b32_e32 v20, s21
	v_cndmask_b32_e32 v20, v19, v20, vcc
	v_cndmask_b32_e32 v19, v21, v16, vcc
	flat_load_dwordx2 v[19:20], v[19:20]
	ds_read_b64 v[21:22], v10 offset:256
	s_waitcnt vmcnt(0) lgkmcnt(0)
	v_mul_f32_e32 v23, v22, v20
	v_mul_f32_e32 v20, v21, v20
	v_fma_f32 v21, v21, v19, -v23
	v_fmac_f32_e32 v20, v22, v19
	v_add_f32_e32 v2, v2, v21
	v_add_f32_e32 v3, v3, v20
.LBB145_949:                            ;   in Loop: Header=BB145_935 Depth=1
	s_or_b64 exec, exec, s[42:43]
	v_add_u32_e32 v5, 48, v5
	v_cmp_gt_i32_e64 s[14:15], s30, v5
	s_and_b64 s[14:15], s[10:11], s[14:15]
	s_and_saveexec_b64 s[42:43], s[14:15]
	s_cbranch_execz .LBB145_934
; %bb.950:                              ;   in Loop: Header=BB145_935 Depth=1
	v_mov_b32_e32 v5, s47
	v_add_co_u32_e64 v19, s[14:15], s48, v6
	v_addc_co_u32_e64 v5, s[14:15], v18, v5, s[14:15]
	v_mov_b32_e32 v6, s21
	v_cndmask_b32_e32 v6, v5, v6, vcc
	v_cndmask_b32_e32 v5, v19, v17, vcc
	flat_load_dwordx2 v[5:6], v[5:6]
	ds_read_b64 v[18:19], v10 offset:384
	s_waitcnt vmcnt(0) lgkmcnt(0)
	v_mul_f32_e32 v20, v19, v6
	v_mul_f32_e32 v6, v18, v6
	v_fma_f32 v18, v18, v5, -v20
	v_fmac_f32_e32 v6, v19, v5
	v_add_f32_e32 v2, v2, v18
	v_add_f32_e32 v3, v3, v6
	s_branch .LBB145_934
.LBB145_951:
	s_xor_b64 s[4:5], s[22:23], -1
	s_xor_b64 s[8:9], s[40:41], -1
	v_lshlrev_b32_e32 v6, 3, v7
	ds_write_b64 v6, v[2:3] offset:32768
	s_waitcnt lgkmcnt(0)
	s_barrier
	s_and_saveexec_b64 s[10:11], s[6:7]
	s_cbranch_execz .LBB145_953
; %bb.952:
	v_lshlrev_b32_e32 v7, 3, v0
	ds_read2st64_b64 v[9:12], v7 offset0:65 offset1:66
	ds_read2st64_b64 v[13:16], v7 offset0:67 offset1:68
	ds_read_b64 v[17:18], v7 offset:40448
	s_waitcnt lgkmcnt(2)
	v_add_f32_e32 v2, v2, v9
	v_add_f32_e32 v3, v3, v10
	;; [unrolled: 1-line block ×4, first 2 shown]
	ds_read2st64_b64 v[2:5], v7 offset0:69 offset1:70
	s_waitcnt lgkmcnt(2)
	v_add_f32_e32 v9, v9, v13
	v_add_f32_e32 v10, v10, v14
	;; [unrolled: 1-line block ×4, first 2 shown]
	s_waitcnt lgkmcnt(0)
	v_add_f32_e32 v2, v9, v2
	ds_read2st64_b64 v[9:12], v7 offset0:71 offset1:72
	v_add_f32_e32 v3, v13, v3
	v_add_f32_e32 v13, v2, v4
	;; [unrolled: 1-line block ×3, first 2 shown]
	ds_read2st64_b64 v[2:5], v7 offset0:73 offset1:74
	s_waitcnt lgkmcnt(1)
	v_add_f32_e32 v9, v13, v9
	v_add_f32_e32 v10, v14, v10
	;; [unrolled: 1-line block ×4, first 2 shown]
	s_waitcnt lgkmcnt(0)
	v_add_f32_e32 v2, v9, v2
	ds_read2st64_b64 v[9:12], v7 offset0:75 offset1:76
	v_add_f32_e32 v3, v13, v3
	v_add_f32_e32 v13, v2, v4
	;; [unrolled: 1-line block ×3, first 2 shown]
	ds_read2st64_b64 v[2:5], v7 offset0:77 offset1:78
	s_waitcnt lgkmcnt(1)
	v_add_f32_e32 v7, v13, v9
	v_add_f32_e32 v9, v14, v10
	;; [unrolled: 1-line block ×4, first 2 shown]
	s_waitcnt lgkmcnt(0)
	v_add_f32_e32 v2, v7, v2
	v_add_f32_e32 v3, v9, v3
	;; [unrolled: 1-line block ×6, first 2 shown]
	v_cndmask_b32_e64 v2, -v2, 0, s[18:19]
	v_cndmask_b32_e64 v3, -v3, 0, s[18:19]
.LBB145_953:
	s_or_b64 exec, exec, s[10:11]
	s_andn2_b64 vcc, exec, s[8:9]
	s_cbranch_vccnz .LBB145_966
; %bb.954:
	v_mov_b32_e32 v4, 0xa000
	v_lshl_or_b32 v7, v1, 3, v4
	s_and_saveexec_b64 s[8:9], s[6:7]
; %bb.955:
	v_lshl_add_u32 v4, v0, 3, v7
	ds_write_b64 v4, v[2:3]
; %bb.956:
	s_or_b64 exec, exec, s[8:9]
	v_cmp_le_u32_e32 vcc, v0, v1
	v_mov_b32_e32 v4, 0
	v_mov_b32_e32 v5, 0
	s_waitcnt lgkmcnt(0)
	s_barrier
	s_and_saveexec_b64 s[8:9], vcc
	s_cbranch_execz .LBB145_958
; %bb.957:
	ds_read_b64 v[4:5], v6
	ds_read_b64 v[9:10], v7
	s_waitcnt lgkmcnt(0)
	v_mul_f32_e32 v11, v10, v5
	v_mul_f32_e32 v5, v9, v5
	v_fma_f32 v9, v9, v4, -v11
	v_fmac_f32_e32 v5, v10, v4
	v_add_f32_e32 v4, 0, v9
	v_add_f32_e32 v5, 0, v5
.LBB145_958:
	s_or_b64 exec, exec, s[8:9]
	v_add_u32_e32 v9, 16, v1
	v_cmp_le_u32_e32 vcc, v0, v9
	s_and_saveexec_b64 s[8:9], vcc
	s_cbranch_execz .LBB145_960
; %bb.959:
	ds_read_b64 v[9:10], v6 offset:8192
	ds_read_b64 v[11:12], v7 offset:128
	s_waitcnt lgkmcnt(0)
	v_mul_f32_e32 v13, v12, v10
	v_mul_f32_e32 v10, v11, v10
	v_fma_f32 v11, v11, v9, -v13
	v_fmac_f32_e32 v10, v12, v9
	v_add_f32_e32 v4, v4, v11
	v_add_f32_e32 v5, v5, v10
.LBB145_960:
	s_or_b64 exec, exec, s[8:9]
	v_add_u32_e32 v9, 32, v1
	v_cmp_le_u32_e32 vcc, v0, v9
	s_and_saveexec_b64 s[8:9], vcc
	s_cbranch_execz .LBB145_962
; %bb.961:
	ds_read_b64 v[9:10], v6 offset:16384
	ds_read_b64 v[11:12], v7 offset:256
	s_waitcnt lgkmcnt(0)
	v_mul_f32_e32 v13, v12, v10
	v_mul_f32_e32 v10, v11, v10
	v_fma_f32 v11, v11, v9, -v13
	v_fmac_f32_e32 v10, v12, v9
	v_add_f32_e32 v4, v4, v11
	v_add_f32_e32 v5, v5, v10
.LBB145_962:
	s_or_b64 exec, exec, s[8:9]
	v_add_u32_e32 v1, 48, v1
	v_add_u32_e32 v9, 0x8000, v6
	v_cmp_le_u32_e32 vcc, v0, v1
	s_and_saveexec_b64 s[8:9], vcc
	s_cbranch_execz .LBB145_964
; %bb.963:
	ds_read_b64 v[10:11], v6 offset:24576
	ds_read_b64 v[6:7], v7 offset:384
	s_waitcnt lgkmcnt(0)
	v_mul_f32_e32 v1, v7, v11
	v_mul_f32_e32 v11, v6, v11
	v_fma_f32 v1, v6, v10, -v1
	v_fmac_f32_e32 v11, v7, v10
	v_add_f32_e32 v4, v4, v1
	v_add_f32_e32 v5, v5, v11
.LBB145_964:
	s_or_b64 exec, exec, s[8:9]
	s_mov_b64 s[10:11], 0
	s_mov_b64 s[8:9], 0
	ds_write_b64 v9, v[4:5]
	s_waitcnt lgkmcnt(0)
	s_barrier
                                        ; implicit-def: $vgpr1
                                        ; implicit-def: $vgpr6
	s_and_saveexec_b64 s[12:13], s[6:7]
	s_cbranch_execz .LBB145_984
; %bb.965:
	v_lshlrev_b32_e32 v1, 3, v0
	ds_read2st64_b64 v[9:12], v1 offset0:65 offset1:66
	ds_read2st64_b64 v[13:16], v1 offset0:67 offset1:68
	ds_read_b64 v[17:18], v1 offset:40448
	s_mov_b64 s[8:9], exec
	s_waitcnt lgkmcnt(2)
	v_add_f32_e32 v4, v4, v9
	v_add_f32_e32 v5, v5, v10
	;; [unrolled: 1-line block ×4, first 2 shown]
	ds_read2st64_b64 v[4:7], v1 offset0:69 offset1:70
	s_waitcnt lgkmcnt(2)
	v_add_f32_e32 v9, v9, v13
	v_add_f32_e32 v10, v10, v14
	;; [unrolled: 1-line block ×4, first 2 shown]
	s_waitcnt lgkmcnt(0)
	v_add_f32_e32 v4, v9, v4
	ds_read2st64_b64 v[9:12], v1 offset0:71 offset1:72
	v_add_f32_e32 v5, v13, v5
	v_add_f32_e32 v13, v4, v6
	;; [unrolled: 1-line block ×3, first 2 shown]
	ds_read2st64_b64 v[4:7], v1 offset0:73 offset1:74
	s_waitcnt lgkmcnt(1)
	v_add_f32_e32 v9, v13, v9
	v_add_f32_e32 v10, v14, v10
	;; [unrolled: 1-line block ×4, first 2 shown]
	s_waitcnt lgkmcnt(0)
	v_add_f32_e32 v4, v9, v4
	ds_read2st64_b64 v[9:12], v1 offset0:75 offset1:76
	v_add_f32_e32 v5, v13, v5
	v_add_f32_e32 v13, v4, v6
	;; [unrolled: 1-line block ×3, first 2 shown]
	ds_read2st64_b64 v[4:7], v1 offset0:77 offset1:78
	s_waitcnt lgkmcnt(1)
	v_add_f32_e32 v1, v13, v9
	v_add_f32_e32 v9, v14, v10
	;; [unrolled: 1-line block ×4, first 2 shown]
	s_waitcnt lgkmcnt(0)
	v_add_f32_e32 v1, v1, v4
	v_add_f32_e32 v4, v9, v5
	v_add_f32_e32 v1, v1, v6
	v_add_f32_e32 v4, v4, v7
	v_add_f32_e32 v6, v1, v17
	v_add_f32_e32 v1, v4, v18
	s_or_b64 exec, exec, s[12:13]
	s_and_b64 vcc, exec, s[10:11]
	s_cbranch_vccnz .LBB145_967
	s_branch .LBB145_985
.LBB145_966:
	s_mov_b64 s[8:9], 0
                                        ; implicit-def: $vgpr1
                                        ; implicit-def: $vgpr6
	s_cbranch_execz .LBB145_985
.LBB145_967:
	v_mov_b32_e32 v1, 0x7c00
	v_lshl_add_u32 v1, v0, 3, v1
	v_mov_b32_e32 v5, 63
	v_mov_b32_e32 v4, 0
	s_branch .LBB145_969
.LBB145_968:                            ;   in Loop: Header=BB145_969 Depth=1
	s_or_b64 exec, exec, s[10:11]
	v_subrev_co_u32_e32 v5, vcc, 1, v5
	s_andn2_b64 vcc, exec, vcc
	v_add_u32_e32 v1, 0xfffffc00, v1
	s_barrier
	s_cbranch_vccz .LBB145_977
.LBB145_969:                            ; =>This Inner Loop Header: Depth=1
	v_cmp_eq_u32_e32 vcc, v0, v5
	s_and_b64 s[12:13], s[6:7], vcc
	s_and_saveexec_b64 s[10:11], s[12:13]
; %bb.970:                              ;   in Loop: Header=BB145_969 Depth=1
	ds_write_b64 v4, v[2:3] offset:41472
; %bb.971:                              ;   in Loop: Header=BB145_969 Depth=1
	s_or_b64 exec, exec, s[10:11]
	v_cmp_lt_u32_e32 vcc, v0, v5
	s_and_b64 s[12:13], s[6:7], vcc
	s_waitcnt lgkmcnt(0)
	s_barrier
	s_and_saveexec_b64 s[10:11], s[12:13]
	s_cbranch_execz .LBB145_973
; %bb.972:                              ;   in Loop: Header=BB145_969 Depth=1
	ds_read_b64 v[6:7], v1 offset:512
	ds_read_b64 v[9:10], v4 offset:41472
	s_waitcnt lgkmcnt(0)
	v_mul_f32_e32 v11, v10, v7
	v_mul_f32_e32 v7, v9, v7
	v_fma_f32 v9, v9, v6, -v11
	v_fmac_f32_e32 v7, v10, v6
	v_add_f32_e32 v2, v2, v9
	v_add_f32_e32 v3, v3, v7
.LBB145_973:                            ;   in Loop: Header=BB145_969 Depth=1
	s_or_b64 exec, exec, s[10:11]
	v_add_u32_e32 v5, -1, v5
	v_cmp_eq_u32_e32 vcc, v0, v5
	s_and_b64 s[12:13], s[6:7], vcc
	s_barrier
	s_and_saveexec_b64 s[10:11], s[12:13]
; %bb.974:                              ;   in Loop: Header=BB145_969 Depth=1
	ds_write_b64 v4, v[2:3] offset:41472
; %bb.975:                              ;   in Loop: Header=BB145_969 Depth=1
	s_or_b64 exec, exec, s[10:11]
	v_cmp_lt_u32_e32 vcc, v0, v5
	s_and_b64 s[12:13], s[6:7], vcc
	s_waitcnt lgkmcnt(0)
	s_barrier
	s_and_saveexec_b64 s[10:11], s[12:13]
	s_cbranch_execz .LBB145_968
; %bb.976:                              ;   in Loop: Header=BB145_969 Depth=1
	ds_read_b64 v[6:7], v1
	ds_read_b64 v[9:10], v4 offset:41472
	s_waitcnt lgkmcnt(0)
	v_mul_f32_e32 v11, v10, v7
	v_mul_f32_e32 v7, v9, v7
	v_fma_f32 v9, v9, v6, -v11
	v_fmac_f32_e32 v7, v10, v6
	v_add_f32_e32 v2, v2, v9
	v_add_f32_e32 v3, v3, v7
	s_branch .LBB145_968
.LBB145_977:
	s_mov_b64 s[10:11], -1
	s_and_b64 vcc, exec, s[4:5]
	s_cbranch_vccnz .LBB145_986
; %bb.978:
	s_andn2_b64 vcc, exec, s[10:11]
	s_cbranch_vccz .LBB145_987
.LBB145_979:
	s_and_saveexec_b64 s[4:5], s[8:9]
	s_cbranch_execz .LBB145_981
.LBB145_980:
	s_lshl_b32 s6, s33, 6
	s_ashr_i32 s7, s6, 31
	v_mov_b32_e32 v0, s7
	v_add_co_u32_e32 v1, vcc, s6, v8
	v_addc_co_u32_e32 v0, vcc, 0, v0, vcc
	v_mul_lo_u32 v4, v0, s26
	v_mul_lo_u32 v5, v1, s27
	v_mad_u64_u32 v[0:1], s[6:7], v1, s26, 0
	v_add3_u32 v1, v1, v5, v4
	v_lshlrev_b64 v[0:1], 3, v[0:1]
	v_mov_b32_e32 v4, s45
	v_add_co_u32_e32 v0, vcc, s44, v0
	v_addc_co_u32_e32 v1, vcc, v4, v1, vcc
	flat_store_dwordx2 v[0:1], v[2:3]
.LBB145_981:
	s_or_b64 exec, exec, s[4:5]
	v_cmp_eq_u32_e32 vcc, 0, v8
	s_waitcnt vmcnt(0) lgkmcnt(0)
	buffer_wbinvl1_vol
	s_barrier
	s_and_saveexec_b64 s[4:5], vcc
	s_cbranch_execz .LBB145_983
; %bb.982:
	s_lshl_b64 s[6:7], s[28:29], 2
	s_add_u32 s6, s16, s6
	s_addc_u32 s7, s17, s7
	v_mov_b32_e32 v0, 0
	global_load_dword v1, v0, s[6:7]
	s_waitcnt vmcnt(0)
	v_add_u32_e32 v1, 1, v1
	global_store_dword v0, v1, s[6:7]
.LBB145_983:
	s_or_b64 exec, exec, s[4:5]
	s_waitcnt vmcnt(0)
	buffer_wbinvl1_vol
	s_endpgm
.LBB145_984:
	s_or_b64 exec, exec, s[12:13]
	s_and_b64 vcc, exec, s[10:11]
	s_cbranch_vccnz .LBB145_967
.LBB145_985:
	v_mov_b32_e32 v3, v1
	v_mov_b32_e32 v2, v6
	s_and_saveexec_b64 s[4:5], s[8:9]
	s_cbranch_execnz .LBB145_980
	s_branch .LBB145_981
.LBB145_986:
	s_andn2_b64 s[4:5], s[8:9], exec
	s_and_b64 s[8:9], s[6:7], exec
	s_or_b64 s[8:9], s[4:5], s[8:9]
	s_cbranch_execnz .LBB145_979
.LBB145_987:
	v_cmp_gt_i32_e32 vcc, s94, v0
	s_and_b64 s[4:5], s[6:7], vcc
	s_andn2_b64 s[6:7], s[8:9], exec
	s_and_b64 s[4:5], s[4:5], exec
	s_or_b64 s[8:9], s[6:7], s[4:5]
	s_and_saveexec_b64 s[4:5], s[8:9]
	s_cbranch_execnz .LBB145_980
	s_branch .LBB145_981
.LBB145_988:
	ds_read_b64 v[14:15], v12 offset:31680
	ds_read_b64 v[16:17], v13 offset:31208
	s_waitcnt lgkmcnt(0)
	v_mul_f32_e32 v18, v17, v15
	v_mul_f32_e32 v15, v16, v15
	v_fma_f32 v16, v16, v14, -v18
	v_fmac_f32_e32 v15, v17, v14
	v_add_f32_e32 v2, v2, v16
	v_add_f32_e32 v3, v3, v15
	s_or_b64 exec, exec, s[16:17]
	v_cmp_gt_u32_e64 s[12:13], 8, v8
	s_and_saveexec_b64 s[16:17], s[12:13]
	s_cbranch_execz .LBB145_90
.LBB145_989:
	ds_read_b64 v[14:15], v12 offset:32192
	ds_read_b64 v[12:13], v13 offset:31216
	s_waitcnt lgkmcnt(0)
	v_mul_f32_e32 v16, v13, v15
	v_mul_f32_e32 v15, v12, v15
	v_fma_f32 v12, v12, v14, -v16
	v_fmac_f32_e32 v15, v13, v14
	v_add_f32_e32 v2, v2, v12
	v_add_f32_e32 v3, v3, v15
	s_or_b64 exec, exec, s[16:17]
	v_cmp_gt_u32_e64 s[12:13], 4, v8
	s_and_saveexec_b64 s[16:17], s[12:13]
	s_cbranch_execnz .LBB145_91
	s_branch .LBB145_92
.LBB145_990:
	ds_read_b64 v[17:18], v15 offset:29568
	ds_read_b64 v[19:20], v16 offset:29128
	s_waitcnt lgkmcnt(0)
	v_mul_f32_e32 v21, v20, v18
	v_mul_f32_e32 v18, v19, v18
	v_fma_f32 v19, v19, v17, -v21
	v_fmac_f32_e32 v18, v20, v17
	v_add_f32_e32 v2, v2, v19
	v_add_f32_e32 v3, v3, v18
	s_or_b64 exec, exec, s[20:21]
	v_cmp_gt_u32_e64 s[14:15], 48, v8
	s_and_saveexec_b64 s[20:21], s[14:15]
	s_cbranch_execz .LBB145_128
.LBB145_991:
	ds_read_b64 v[17:18], v15 offset:30080
	ds_read_b64 v[19:20], v16 offset:29136
	s_waitcnt lgkmcnt(0)
	v_mul_f32_e32 v21, v20, v18
	v_mul_f32_e32 v18, v19, v18
	v_fma_f32 v19, v19, v17, -v21
	v_fmac_f32_e32 v18, v20, v17
	v_add_f32_e32 v2, v2, v19
	v_add_f32_e32 v3, v3, v18
	s_or_b64 exec, exec, s[20:21]
	v_cmp_gt_u32_e64 s[14:15], 40, v8
	s_and_saveexec_b64 s[20:21], s[14:15]
	s_cbranch_execz .LBB145_129
.LBB145_992:
	ds_read_b64 v[17:18], v15 offset:30592
	ds_read_b64 v[19:20], v16 offset:29144
	s_waitcnt lgkmcnt(0)
	v_mul_f32_e32 v21, v20, v18
	v_mul_f32_e32 v18, v19, v18
	v_fma_f32 v19, v19, v17, -v21
	v_fmac_f32_e32 v18, v20, v17
	v_add_f32_e32 v2, v2, v19
	v_add_f32_e32 v3, v3, v18
	s_or_b64 exec, exec, s[20:21]
	v_cmp_gt_u32_e64 s[14:15], 32, v8
	s_and_saveexec_b64 s[20:21], s[14:15]
	s_cbranch_execz .LBB145_130
.LBB145_993:
	ds_read_b64 v[17:18], v15 offset:31104
	ds_read_b64 v[19:20], v16 offset:29152
	s_waitcnt lgkmcnt(0)
	v_mul_f32_e32 v21, v20, v18
	v_mul_f32_e32 v18, v19, v18
	v_fma_f32 v19, v19, v17, -v21
	v_fmac_f32_e32 v18, v20, v17
	v_add_f32_e32 v2, v2, v19
	v_add_f32_e32 v3, v3, v18
	s_or_b64 exec, exec, s[20:21]
	v_cmp_gt_u32_e64 s[14:15], 24, v8
	s_and_saveexec_b64 s[20:21], s[14:15]
	s_cbranch_execz .LBB145_131
.LBB145_994:
	ds_read_b64 v[17:18], v15 offset:31616
	ds_read_b64 v[19:20], v16 offset:29160
	s_waitcnt lgkmcnt(0)
	v_mul_f32_e32 v21, v20, v18
	v_mul_f32_e32 v18, v19, v18
	v_fma_f32 v19, v19, v17, -v21
	v_fmac_f32_e32 v18, v20, v17
	v_add_f32_e32 v2, v2, v19
	v_add_f32_e32 v3, v3, v18
	s_or_b64 exec, exec, s[20:21]
	s_and_saveexec_b64 s[14:15], s[18:19]
	s_cbranch_execz .LBB145_132
.LBB145_995:
	ds_read_b64 v[17:18], v15 offset:32128
	ds_read_b64 v[15:16], v16 offset:29168
	s_waitcnt lgkmcnt(0)
	v_mul_f32_e32 v19, v16, v18
	v_mul_f32_e32 v18, v15, v18
	v_fma_f32 v15, v15, v17, -v19
	v_fmac_f32_e32 v18, v16, v17
	v_add_f32_e32 v2, v2, v15
	v_add_f32_e32 v3, v3, v18
	s_or_b64 exec, exec, s[14:15]
	v_cmp_gt_u32_e64 s[14:15], 8, v8
	s_and_saveexec_b64 s[20:21], s[14:15]
	s_cbranch_execnz .LBB145_133
	s_branch .LBB145_134
.LBB145_996:
	ds_read_b64 v[17:18], v15 offset:27520
	ds_read_b64 v[19:20], v16 offset:27048
	s_waitcnt lgkmcnt(0)
	v_mul_f32_e32 v21, v20, v18
	v_mul_f32_e32 v18, v19, v18
	v_fma_f32 v19, v19, v17, -v21
	v_fmac_f32_e32 v18, v20, v17
	v_add_f32_e32 v2, v2, v19
	v_add_f32_e32 v3, v3, v18
	s_or_b64 exec, exec, s[16:17]
	v_cmp_gt_u32_e64 s[12:13], 8, v8
	s_and_saveexec_b64 s[16:17], s[12:13]
	s_cbranch_execz .LBB145_186
.LBB145_997:
	ds_read_b64 v[17:18], v15 offset:28032
	ds_read_b64 v[15:16], v16 offset:27056
	s_waitcnt lgkmcnt(0)
	v_mul_f32_e32 v19, v16, v18
	v_mul_f32_e32 v18, v15, v18
	v_fma_f32 v15, v15, v17, -v19
	v_fmac_f32_e32 v18, v16, v17
	v_add_f32_e32 v2, v2, v15
	v_add_f32_e32 v3, v3, v18
	s_or_b64 exec, exec, s[16:17]
	v_cmp_gt_u32_e64 s[12:13], 4, v8
	s_and_saveexec_b64 s[16:17], s[12:13]
	s_cbranch_execnz .LBB145_187
	s_branch .LBB145_188
.LBB145_998:
	ds_read_b64 v[20:21], v18 offset:30464
	ds_read_b64 v[22:23], v19 offset:25048
	s_waitcnt lgkmcnt(0)
	v_mul_f32_e32 v24, v23, v21
	v_mul_f32_e32 v21, v22, v21
	v_fma_f32 v22, v22, v20, -v24
	v_fmac_f32_e32 v21, v23, v20
	v_add_f32_e32 v2, v2, v22
	v_add_f32_e32 v3, v3, v21
	s_or_b64 exec, exec, s[86:87]
	s_and_saveexec_b64 s[16:17], s[10:11]
	s_cbranch_execz .LBB145_244
.LBB145_999:
	ds_read_b64 v[20:21], v18 offset:30976
	ds_read_b64 v[22:23], v19 offset:25056
	s_waitcnt lgkmcnt(0)
	v_mul_f32_e32 v24, v23, v21
	v_mul_f32_e32 v21, v22, v21
	v_fma_f32 v22, v22, v20, -v24
	v_fmac_f32_e32 v21, v23, v20
	v_add_f32_e32 v2, v2, v22
	v_add_f32_e32 v3, v3, v21
	s_or_b64 exec, exec, s[16:17]
	v_cmp_gt_u32_e64 s[16:17], 48, v8
	s_and_saveexec_b64 s[86:87], s[16:17]
	s_cbranch_execz .LBB145_245
.LBB145_1000:
	ds_read_b64 v[20:21], v18 offset:31488
	ds_read_b64 v[22:23], v19 offset:25064
	s_waitcnt lgkmcnt(0)
	v_mul_f32_e32 v24, v23, v21
	v_mul_f32_e32 v21, v22, v21
	v_fma_f32 v22, v22, v20, -v24
	v_fmac_f32_e32 v21, v23, v20
	v_add_f32_e32 v2, v2, v22
	v_add_f32_e32 v3, v3, v21
	s_or_b64 exec, exec, s[86:87]
	v_cmp_gt_u32_e64 s[16:17], 32, v8
	s_and_saveexec_b64 s[86:87], s[16:17]
	s_cbranch_execz .LBB145_246
.LBB145_1001:
	ds_read_b64 v[20:21], v18 offset:32000
	ds_read_b64 v[18:19], v19 offset:25072
	s_waitcnt lgkmcnt(0)
	v_mul_f32_e32 v22, v19, v21
	v_mul_f32_e32 v21, v18, v21
	v_fma_f32 v18, v18, v20, -v22
	v_fmac_f32_e32 v21, v19, v20
	v_add_f32_e32 v2, v2, v18
	v_add_f32_e32 v3, v3, v21
	s_or_b64 exec, exec, s[86:87]
	v_cmp_gt_u32_e64 s[16:17], 16, v8
	s_and_saveexec_b64 s[86:87], s[16:17]
	s_cbranch_execnz .LBB145_247
	s_branch .LBB145_248
.LBB145_1002:
	ds_read_b64 v[20:21], v18 offset:23360
	ds_read_b64 v[22:23], v19 offset:22888
	s_waitcnt lgkmcnt(0)
	v_mul_f32_e32 v24, v23, v21
	v_mul_f32_e32 v21, v22, v21
	v_fma_f32 v22, v22, v20, -v24
	v_fmac_f32_e32 v21, v23, v20
	v_add_f32_e32 v2, v2, v22
	v_add_f32_e32 v3, v3, v21
	s_or_b64 exec, exec, s[20:21]
	v_cmp_gt_u32_e64 s[14:15], 8, v8
	s_and_saveexec_b64 s[20:21], s[14:15]
	s_cbranch_execz .LBB145_332
.LBB145_1003:
	ds_read_b64 v[20:21], v18 offset:23872
	ds_read_b64 v[18:19], v19 offset:22896
	s_waitcnt lgkmcnt(0)
	v_mul_f32_e32 v22, v19, v21
	v_mul_f32_e32 v21, v18, v21
	v_fma_f32 v18, v18, v20, -v22
	v_fmac_f32_e32 v21, v19, v20
	v_add_f32_e32 v2, v2, v18
	v_add_f32_e32 v3, v3, v21
	s_or_b64 exec, exec, s[20:21]
	v_cmp_gt_u32_e64 s[14:15], 4, v8
	s_and_saveexec_b64 s[20:21], s[14:15]
	s_cbranch_execnz .LBB145_333
	s_branch .LBB145_334
.LBB145_1004:
	ds_read_b64 v[20:21], v18 offset:21248
	ds_read_b64 v[22:23], v19 offset:20808
	s_waitcnt lgkmcnt(0)
	v_mul_f32_e32 v24, v23, v21
	v_mul_f32_e32 v21, v22, v21
	v_fma_f32 v22, v22, v20, -v24
	v_fmac_f32_e32 v21, v23, v20
	v_add_f32_e32 v2, v2, v22
	v_add_f32_e32 v3, v3, v21
	s_or_b64 exec, exec, s[20:21]
	v_cmp_gt_u32_e64 s[14:15], 48, v8
	s_and_saveexec_b64 s[20:21], s[14:15]
	s_cbranch_execz .LBB145_370
.LBB145_1005:
	ds_read_b64 v[20:21], v18 offset:21760
	ds_read_b64 v[22:23], v19 offset:20816
	s_waitcnt lgkmcnt(0)
	v_mul_f32_e32 v24, v23, v21
	v_mul_f32_e32 v21, v22, v21
	v_fma_f32 v22, v22, v20, -v24
	v_fmac_f32_e32 v21, v23, v20
	v_add_f32_e32 v2, v2, v22
	v_add_f32_e32 v3, v3, v21
	s_or_b64 exec, exec, s[20:21]
	v_cmp_gt_u32_e64 s[14:15], 40, v8
	s_and_saveexec_b64 s[20:21], s[14:15]
	s_cbranch_execz .LBB145_371
.LBB145_1006:
	ds_read_b64 v[20:21], v18 offset:22272
	ds_read_b64 v[22:23], v19 offset:20824
	s_waitcnt lgkmcnt(0)
	v_mul_f32_e32 v24, v23, v21
	v_mul_f32_e32 v21, v22, v21
	v_fma_f32 v22, v22, v20, -v24
	v_fmac_f32_e32 v21, v23, v20
	v_add_f32_e32 v2, v2, v22
	v_add_f32_e32 v3, v3, v21
	s_or_b64 exec, exec, s[20:21]
	v_cmp_gt_u32_e64 s[14:15], 32, v8
	s_and_saveexec_b64 s[20:21], s[14:15]
	s_cbranch_execz .LBB145_372
.LBB145_1007:
	ds_read_b64 v[20:21], v18 offset:22784
	ds_read_b64 v[22:23], v19 offset:20832
	s_waitcnt lgkmcnt(0)
	v_mul_f32_e32 v24, v23, v21
	v_mul_f32_e32 v21, v22, v21
	v_fma_f32 v22, v22, v20, -v24
	v_fmac_f32_e32 v21, v23, v20
	v_add_f32_e32 v2, v2, v22
	v_add_f32_e32 v3, v3, v21
	s_or_b64 exec, exec, s[20:21]
	v_cmp_gt_u32_e64 s[14:15], 24, v8
	s_and_saveexec_b64 s[20:21], s[14:15]
	s_cbranch_execz .LBB145_373
.LBB145_1008:
	ds_read_b64 v[20:21], v18 offset:23296
	ds_read_b64 v[22:23], v19 offset:20840
	s_waitcnt lgkmcnt(0)
	v_mul_f32_e32 v24, v23, v21
	v_mul_f32_e32 v21, v22, v21
	v_fma_f32 v22, v22, v20, -v24
	v_fmac_f32_e32 v21, v23, v20
	v_add_f32_e32 v2, v2, v22
	v_add_f32_e32 v3, v3, v21
	s_or_b64 exec, exec, s[20:21]
	s_and_saveexec_b64 s[14:15], s[18:19]
	s_cbranch_execz .LBB145_374
.LBB145_1009:
	ds_read_b64 v[20:21], v18 offset:23808
	ds_read_b64 v[18:19], v19 offset:20848
	s_waitcnt lgkmcnt(0)
	v_mul_f32_e32 v22, v19, v21
	v_mul_f32_e32 v21, v18, v21
	v_fma_f32 v18, v18, v20, -v22
	v_fmac_f32_e32 v21, v19, v20
	v_add_f32_e32 v2, v2, v18
	v_add_f32_e32 v3, v3, v21
	s_or_b64 exec, exec, s[14:15]
	v_cmp_gt_u32_e64 s[14:15], 8, v8
	s_and_saveexec_b64 s[20:21], s[14:15]
	s_cbranch_execnz .LBB145_375
	s_branch .LBB145_376
.LBB145_1010:
	ds_read_b64 v[20:21], v18 offset:19200
	ds_read_b64 v[22:23], v19 offset:18728
	s_waitcnt lgkmcnt(0)
	v_mul_f32_e32 v24, v23, v21
	v_mul_f32_e32 v21, v22, v21
	v_fma_f32 v22, v22, v20, -v24
	v_fmac_f32_e32 v21, v23, v20
	v_add_f32_e32 v2, v2, v22
	v_add_f32_e32 v3, v3, v21
	s_or_b64 exec, exec, s[20:21]
	v_cmp_gt_u32_e64 s[14:15], 8, v8
	s_and_saveexec_b64 s[20:21], s[14:15]
	s_cbranch_execz .LBB145_428
.LBB145_1011:
	ds_read_b64 v[20:21], v18 offset:19712
	ds_read_b64 v[18:19], v19 offset:18736
	s_waitcnt lgkmcnt(0)
	v_mul_f32_e32 v22, v19, v21
	v_mul_f32_e32 v21, v18, v21
	v_fma_f32 v18, v18, v20, -v22
	v_fmac_f32_e32 v21, v19, v20
	v_add_f32_e32 v2, v2, v18
	v_add_f32_e32 v3, v3, v21
	s_or_b64 exec, exec, s[20:21]
	v_cmp_gt_u32_e64 s[14:15], 4, v8
	s_and_saveexec_b64 s[20:21], s[14:15]
	s_cbranch_execnz .LBB145_429
	s_branch .LBB145_430
.LBB145_1012:
	ds_read_b64 v[23:24], v21 offset:31232
	ds_read_b64 v[25:26], v22 offset:16872
	s_waitcnt lgkmcnt(0)
	v_mul_f32_e32 v27, v26, v24
	v_mul_f32_e32 v24, v25, v24
	v_fma_f32 v25, v25, v23, -v27
	v_fmac_f32_e32 v24, v26, v23
	v_add_f32_e32 v2, v2, v25
	v_add_f32_e32 v3, v3, v24
	s_or_b64 exec, exec, s[86:87]
	s_and_saveexec_b64 s[20:21], s[10:11]
	s_cbranch_execz .LBB145_522
.LBB145_1013:
	ds_read_b64 v[23:24], v21 offset:31744
	ds_read_b64 v[25:26], v22 offset:16880
	s_waitcnt lgkmcnt(0)
	v_mul_f32_e32 v27, v26, v24
	v_mul_f32_e32 v24, v25, v24
	v_fma_f32 v25, v25, v23, -v27
	v_fmac_f32_e32 v24, v26, v23
	v_add_f32_e32 v2, v2, v25
	v_add_f32_e32 v3, v3, v24
	s_or_b64 exec, exec, s[20:21]
	v_cmp_gt_u32_e64 s[20:21], 32, v8
	s_and_saveexec_b64 s[86:87], s[20:21]
	s_cbranch_execnz .LBB145_523
	s_branch .LBB145_524
.LBB145_1014:
	ds_read_b64 v[20:21], v18 offset:15040
	ds_read_b64 v[22:23], v19 offset:14568
	s_waitcnt lgkmcnt(0)
	v_mul_f32_e32 v24, v23, v21
	v_mul_f32_e32 v21, v22, v21
	v_fma_f32 v22, v22, v20, -v24
	v_fmac_f32_e32 v21, v23, v20
	v_add_f32_e32 v2, v2, v22
	v_add_f32_e32 v3, v3, v21
	s_or_b64 exec, exec, s[20:21]
	v_cmp_gt_u32_e64 s[14:15], 8, v8
	s_and_saveexec_b64 s[20:21], s[14:15]
	s_cbranch_execz .LBB145_556
.LBB145_1015:
	ds_read_b64 v[20:21], v18 offset:15552
	ds_read_b64 v[18:19], v19 offset:14576
	s_waitcnt lgkmcnt(0)
	v_mul_f32_e32 v22, v19, v21
	v_mul_f32_e32 v21, v18, v21
	v_fma_f32 v18, v18, v20, -v22
	v_fmac_f32_e32 v21, v19, v20
	v_add_f32_e32 v2, v2, v18
	v_add_f32_e32 v3, v3, v21
	s_or_b64 exec, exec, s[20:21]
	v_cmp_gt_u32_e64 s[14:15], 4, v8
	s_and_saveexec_b64 s[20:21], s[14:15]
	s_cbranch_execnz .LBB145_557
	s_branch .LBB145_558
.LBB145_1016:
	ds_read_b64 v[20:21], v18 offset:12928
	ds_read_b64 v[22:23], v19 offset:12488
	s_waitcnt lgkmcnt(0)
	v_mul_f32_e32 v24, v23, v21
	v_mul_f32_e32 v21, v22, v21
	v_fma_f32 v22, v22, v20, -v24
	v_fmac_f32_e32 v21, v23, v20
	v_add_f32_e32 v2, v2, v22
	v_add_f32_e32 v3, v3, v21
	s_or_b64 exec, exec, s[20:21]
	v_cmp_gt_u32_e64 s[14:15], 48, v8
	s_and_saveexec_b64 s[20:21], s[14:15]
	s_cbranch_execz .LBB145_594
.LBB145_1017:
	ds_read_b64 v[20:21], v18 offset:13440
	ds_read_b64 v[22:23], v19 offset:12496
	s_waitcnt lgkmcnt(0)
	v_mul_f32_e32 v24, v23, v21
	v_mul_f32_e32 v21, v22, v21
	v_fma_f32 v22, v22, v20, -v24
	v_fmac_f32_e32 v21, v23, v20
	v_add_f32_e32 v2, v2, v22
	v_add_f32_e32 v3, v3, v21
	s_or_b64 exec, exec, s[20:21]
	v_cmp_gt_u32_e64 s[14:15], 40, v8
	s_and_saveexec_b64 s[20:21], s[14:15]
	s_cbranch_execz .LBB145_595
.LBB145_1018:
	ds_read_b64 v[20:21], v18 offset:13952
	ds_read_b64 v[22:23], v19 offset:12504
	s_waitcnt lgkmcnt(0)
	v_mul_f32_e32 v24, v23, v21
	v_mul_f32_e32 v21, v22, v21
	v_fma_f32 v22, v22, v20, -v24
	v_fmac_f32_e32 v21, v23, v20
	v_add_f32_e32 v2, v2, v22
	v_add_f32_e32 v3, v3, v21
	s_or_b64 exec, exec, s[20:21]
	v_cmp_gt_u32_e64 s[14:15], 32, v8
	s_and_saveexec_b64 s[20:21], s[14:15]
	s_cbranch_execz .LBB145_596
.LBB145_1019:
	ds_read_b64 v[20:21], v18 offset:14464
	ds_read_b64 v[22:23], v19 offset:12512
	s_waitcnt lgkmcnt(0)
	v_mul_f32_e32 v24, v23, v21
	v_mul_f32_e32 v21, v22, v21
	v_fma_f32 v22, v22, v20, -v24
	v_fmac_f32_e32 v21, v23, v20
	v_add_f32_e32 v2, v2, v22
	v_add_f32_e32 v3, v3, v21
	s_or_b64 exec, exec, s[20:21]
	v_cmp_gt_u32_e64 s[14:15], 24, v8
	s_and_saveexec_b64 s[20:21], s[14:15]
	s_cbranch_execz .LBB145_597
.LBB145_1020:
	ds_read_b64 v[20:21], v18 offset:14976
	ds_read_b64 v[22:23], v19 offset:12520
	s_waitcnt lgkmcnt(0)
	v_mul_f32_e32 v24, v23, v21
	v_mul_f32_e32 v21, v22, v21
	v_fma_f32 v22, v22, v20, -v24
	v_fmac_f32_e32 v21, v23, v20
	v_add_f32_e32 v2, v2, v22
	v_add_f32_e32 v3, v3, v21
	s_or_b64 exec, exec, s[20:21]
	s_and_saveexec_b64 s[14:15], s[18:19]
	s_cbranch_execz .LBB145_598
.LBB145_1021:
	ds_read_b64 v[20:21], v18 offset:15488
	ds_read_b64 v[18:19], v19 offset:12528
	s_waitcnt lgkmcnt(0)
	v_mul_f32_e32 v22, v19, v21
	v_mul_f32_e32 v21, v18, v21
	v_fma_f32 v18, v18, v20, -v22
	v_fmac_f32_e32 v21, v19, v20
	v_add_f32_e32 v2, v2, v18
	v_add_f32_e32 v3, v3, v21
	s_or_b64 exec, exec, s[14:15]
	v_cmp_gt_u32_e64 s[14:15], 8, v8
	s_and_saveexec_b64 s[20:21], s[14:15]
	s_cbranch_execnz .LBB145_599
	s_branch .LBB145_600
.LBB145_1022:
	ds_read_b64 v[20:21], v18 offset:10880
	ds_read_b64 v[22:23], v19 offset:10408
	s_waitcnt lgkmcnt(0)
	v_mul_f32_e32 v24, v23, v21
	v_mul_f32_e32 v21, v22, v21
	v_fma_f32 v22, v22, v20, -v24
	v_fmac_f32_e32 v21, v23, v20
	v_add_f32_e32 v2, v2, v22
	v_add_f32_e32 v3, v3, v21
	s_or_b64 exec, exec, s[20:21]
	v_cmp_gt_u32_e64 s[14:15], 8, v8
	s_and_saveexec_b64 s[20:21], s[14:15]
	s_cbranch_execz .LBB145_652
.LBB145_1023:
	ds_read_b64 v[20:21], v18 offset:11392
	ds_read_b64 v[18:19], v19 offset:10416
	s_waitcnt lgkmcnt(0)
	v_mul_f32_e32 v22, v19, v21
	v_mul_f32_e32 v21, v18, v21
	v_fma_f32 v18, v18, v20, -v22
	v_fmac_f32_e32 v21, v19, v20
	v_add_f32_e32 v2, v2, v18
	v_add_f32_e32 v3, v3, v21
	s_or_b64 exec, exec, s[20:21]
	v_cmp_gt_u32_e64 s[14:15], 4, v8
	s_and_saveexec_b64 s[20:21], s[14:15]
	s_cbranch_execnz .LBB145_653
	s_branch .LBB145_654
.LBB145_1024:
	ds_read_b64 v[20:21], v18 offset:13824
	ds_read_b64 v[22:23], v19 offset:8408
	s_waitcnt lgkmcnt(0)
	v_mul_f32_e32 v24, v23, v21
	v_mul_f32_e32 v21, v22, v21
	v_fma_f32 v22, v22, v20, -v24
	v_fmac_f32_e32 v21, v23, v20
	v_add_f32_e32 v2, v2, v22
	v_add_f32_e32 v3, v3, v21
	s_or_b64 exec, exec, s[20:21]
	s_and_saveexec_b64 s[14:15], s[10:11]
	s_cbranch_execz .LBB145_710
.LBB145_1025:
	ds_read_b64 v[20:21], v18 offset:14336
	ds_read_b64 v[22:23], v19 offset:8416
	s_waitcnt lgkmcnt(0)
	v_mul_f32_e32 v24, v23, v21
	v_mul_f32_e32 v21, v22, v21
	v_fma_f32 v22, v22, v20, -v24
	v_fmac_f32_e32 v21, v23, v20
	v_add_f32_e32 v2, v2, v22
	v_add_f32_e32 v3, v3, v21
	s_or_b64 exec, exec, s[14:15]
	v_cmp_gt_u32_e64 s[14:15], 48, v8
	s_and_saveexec_b64 s[20:21], s[14:15]
	s_cbranch_execz .LBB145_711
.LBB145_1026:
	ds_read_b64 v[20:21], v18 offset:14848
	ds_read_b64 v[22:23], v19 offset:8424
	s_waitcnt lgkmcnt(0)
	v_mul_f32_e32 v24, v23, v21
	v_mul_f32_e32 v21, v22, v21
	v_fma_f32 v22, v22, v20, -v24
	v_fmac_f32_e32 v21, v23, v20
	v_add_f32_e32 v2, v2, v22
	v_add_f32_e32 v3, v3, v21
	s_or_b64 exec, exec, s[20:21]
	v_cmp_gt_u32_e64 s[14:15], 32, v8
	s_and_saveexec_b64 s[20:21], s[14:15]
	s_cbranch_execz .LBB145_712
.LBB145_1027:
	ds_read_b64 v[20:21], v18 offset:15360
	ds_read_b64 v[18:19], v19 offset:8432
	s_waitcnt lgkmcnt(0)
	v_mul_f32_e32 v22, v19, v21
	v_mul_f32_e32 v21, v18, v21
	v_fma_f32 v18, v18, v20, -v22
	v_fmac_f32_e32 v21, v19, v20
	v_add_f32_e32 v2, v2, v18
	v_add_f32_e32 v3, v3, v21
	s_or_b64 exec, exec, s[20:21]
	v_cmp_gt_u32_e64 s[14:15], 16, v8
	s_and_saveexec_b64 s[20:21], s[14:15]
	s_cbranch_execnz .LBB145_713
	s_branch .LBB145_714
.LBB145_1028:
	ds_read_b64 v[17:18], v15 offset:6720
	ds_read_b64 v[19:20], v16 offset:6248
	s_waitcnt lgkmcnt(0)
	v_mul_f32_e32 v21, v20, v18
	v_mul_f32_e32 v18, v19, v18
	v_fma_f32 v19, v19, v17, -v21
	v_fmac_f32_e32 v18, v20, v17
	v_add_f32_e32 v2, v2, v19
	v_add_f32_e32 v3, v3, v18
	s_or_b64 exec, exec, s[16:17]
	v_cmp_gt_u32_e64 s[12:13], 8, v8
	s_and_saveexec_b64 s[16:17], s[12:13]
	s_cbranch_execz .LBB145_798
.LBB145_1029:
	ds_read_b64 v[17:18], v15 offset:7232
	ds_read_b64 v[15:16], v16 offset:6256
	s_waitcnt lgkmcnt(0)
	v_mul_f32_e32 v19, v16, v18
	v_mul_f32_e32 v18, v15, v18
	v_fma_f32 v15, v15, v17, -v19
	v_fmac_f32_e32 v18, v16, v17
	v_add_f32_e32 v2, v2, v15
	v_add_f32_e32 v3, v3, v18
	s_or_b64 exec, exec, s[16:17]
	v_cmp_gt_u32_e64 s[12:13], 4, v8
	s_and_saveexec_b64 s[16:17], s[12:13]
	s_cbranch_execnz .LBB145_799
	s_branch .LBB145_800
.LBB145_1030:
	ds_read_b64 v[17:18], v15 offset:4608
	ds_read_b64 v[19:20], v16 offset:4168
	s_waitcnt lgkmcnt(0)
	v_mul_f32_e32 v21, v20, v18
	v_mul_f32_e32 v18, v19, v18
	v_fma_f32 v19, v19, v17, -v21
	v_fmac_f32_e32 v18, v20, v17
	v_add_f32_e32 v2, v2, v19
	v_add_f32_e32 v3, v3, v18
	s_or_b64 exec, exec, s[16:17]
	v_cmp_gt_u32_e64 s[12:13], 48, v8
	s_and_saveexec_b64 s[16:17], s[12:13]
	s_cbranch_execz .LBB145_836
.LBB145_1031:
	ds_read_b64 v[17:18], v15 offset:5120
	ds_read_b64 v[19:20], v16 offset:4176
	s_waitcnt lgkmcnt(0)
	v_mul_f32_e32 v21, v20, v18
	v_mul_f32_e32 v18, v19, v18
	v_fma_f32 v19, v19, v17, -v21
	v_fmac_f32_e32 v18, v20, v17
	v_add_f32_e32 v2, v2, v19
	v_add_f32_e32 v3, v3, v18
	s_or_b64 exec, exec, s[16:17]
	v_cmp_gt_u32_e64 s[12:13], 40, v8
	s_and_saveexec_b64 s[16:17], s[12:13]
	s_cbranch_execz .LBB145_837
.LBB145_1032:
	ds_read_b64 v[17:18], v15 offset:5632
	ds_read_b64 v[19:20], v16 offset:4184
	s_waitcnt lgkmcnt(0)
	v_mul_f32_e32 v21, v20, v18
	v_mul_f32_e32 v18, v19, v18
	v_fma_f32 v19, v19, v17, -v21
	v_fmac_f32_e32 v18, v20, v17
	v_add_f32_e32 v2, v2, v19
	v_add_f32_e32 v3, v3, v18
	s_or_b64 exec, exec, s[16:17]
	v_cmp_gt_u32_e64 s[12:13], 32, v8
	s_and_saveexec_b64 s[16:17], s[12:13]
	s_cbranch_execz .LBB145_838
.LBB145_1033:
	ds_read_b64 v[17:18], v15 offset:6144
	ds_read_b64 v[19:20], v16 offset:4192
	s_waitcnt lgkmcnt(0)
	v_mul_f32_e32 v21, v20, v18
	v_mul_f32_e32 v18, v19, v18
	v_fma_f32 v19, v19, v17, -v21
	v_fmac_f32_e32 v18, v20, v17
	v_add_f32_e32 v2, v2, v19
	v_add_f32_e32 v3, v3, v18
	s_or_b64 exec, exec, s[16:17]
	v_cmp_gt_u32_e64 s[12:13], 24, v8
	s_and_saveexec_b64 s[16:17], s[12:13]
	s_cbranch_execz .LBB145_839
.LBB145_1034:
	ds_read_b64 v[17:18], v15 offset:6656
	ds_read_b64 v[19:20], v16 offset:4200
	s_waitcnt lgkmcnt(0)
	v_mul_f32_e32 v21, v20, v18
	v_mul_f32_e32 v18, v19, v18
	v_fma_f32 v19, v19, v17, -v21
	v_fmac_f32_e32 v18, v20, v17
	v_add_f32_e32 v2, v2, v19
	v_add_f32_e32 v3, v3, v18
	s_or_b64 exec, exec, s[16:17]
	s_and_saveexec_b64 s[12:13], s[18:19]
	s_cbranch_execz .LBB145_840
.LBB145_1035:
	ds_read_b64 v[17:18], v15 offset:7168
	ds_read_b64 v[15:16], v16 offset:4208
	s_waitcnt lgkmcnt(0)
	v_mul_f32_e32 v19, v16, v18
	v_mul_f32_e32 v18, v15, v18
	v_fma_f32 v15, v15, v17, -v19
	v_fmac_f32_e32 v18, v16, v17
	v_add_f32_e32 v2, v2, v15
	v_add_f32_e32 v3, v3, v18
	s_or_b64 exec, exec, s[12:13]
	v_cmp_gt_u32_e64 s[12:13], 8, v8
	s_and_saveexec_b64 s[16:17], s[12:13]
	s_cbranch_execnz .LBB145_841
	s_branch .LBB145_842
.LBB145_1036:
	ds_read_b64 v[14:15], v12 offset:2560
	ds_read_b64 v[16:17], v13 offset:2088
	s_waitcnt lgkmcnt(0)
	v_mul_f32_e32 v18, v17, v15
	v_mul_f32_e32 v15, v16, v15
	v_fma_f32 v16, v16, v14, -v18
	v_fmac_f32_e32 v15, v17, v14
	v_add_f32_e32 v2, v2, v16
	v_add_f32_e32 v3, v3, v15
	s_or_b64 exec, exec, s[14:15]
	v_cmp_gt_u32_e64 s[10:11], 8, v8
	s_and_saveexec_b64 s[14:15], s[10:11]
	s_cbranch_execz .LBB145_894
.LBB145_1037:
	ds_read_b64 v[14:15], v12 offset:3072
	ds_read_b64 v[12:13], v13 offset:2096
	s_waitcnt lgkmcnt(0)
	v_mul_f32_e32 v16, v13, v15
	v_mul_f32_e32 v15, v12, v15
	v_fma_f32 v12, v12, v14, -v16
	v_fmac_f32_e32 v15, v13, v14
	v_add_f32_e32 v2, v2, v12
	v_add_f32_e32 v3, v3, v15
	s_or_b64 exec, exec, s[14:15]
	v_cmp_gt_u32_e64 s[10:11], 4, v8
	s_and_saveexec_b64 s[14:15], s[10:11]
	s_cbranch_execnz .LBB145_895
	s_branch .LBB145_896
	.section	.rodata,"a",@progbits
	.p2align	6, 0x0
	.amdhsa_kernel _ZL19rocblas_trsv_deviceILi64ELi16ELb0ELb0ELb0ELb1E19rocblas_complex_numIfEPKS1_PKS3_PKPS1_EviT7_lllT6_T8_lllPii
		.amdhsa_group_segment_fixed_size 41480
		.amdhsa_private_segment_fixed_size 48
		.amdhsa_kernarg_size 352
		.amdhsa_user_sgpr_count 8
		.amdhsa_user_sgpr_private_segment_buffer 1
		.amdhsa_user_sgpr_dispatch_ptr 0
		.amdhsa_user_sgpr_queue_ptr 0
		.amdhsa_user_sgpr_kernarg_segment_ptr 1
		.amdhsa_user_sgpr_dispatch_id 0
		.amdhsa_user_sgpr_flat_scratch_init 1
		.amdhsa_user_sgpr_private_segment_size 0
		.amdhsa_uses_dynamic_stack 0
		.amdhsa_system_sgpr_private_segment_wavefront_offset 1
		.amdhsa_system_sgpr_workgroup_id_x 1
		.amdhsa_system_sgpr_workgroup_id_y 0
		.amdhsa_system_sgpr_workgroup_id_z 1
		.amdhsa_system_sgpr_workgroup_info 0
		.amdhsa_system_vgpr_workitem_id 1
		.amdhsa_next_free_vgpr 49
		.amdhsa_next_free_sgpr 100
		.amdhsa_reserve_vcc 1
		.amdhsa_reserve_flat_scratch 1
		.amdhsa_float_round_mode_32 0
		.amdhsa_float_round_mode_16_64 0
		.amdhsa_float_denorm_mode_32 3
		.amdhsa_float_denorm_mode_16_64 3
		.amdhsa_dx10_clamp 1
		.amdhsa_ieee_mode 1
		.amdhsa_fp16_overflow 0
		.amdhsa_exception_fp_ieee_invalid_op 0
		.amdhsa_exception_fp_denorm_src 0
		.amdhsa_exception_fp_ieee_div_zero 0
		.amdhsa_exception_fp_ieee_overflow 0
		.amdhsa_exception_fp_ieee_underflow 0
		.amdhsa_exception_fp_ieee_inexact 0
		.amdhsa_exception_int_div_zero 0
	.end_amdhsa_kernel
	.section	.text._ZL19rocblas_trsv_deviceILi64ELi16ELb0ELb0ELb0ELb1E19rocblas_complex_numIfEPKS1_PKS3_PKPS1_EviT7_lllT6_T8_lllPii,"axG",@progbits,_ZL19rocblas_trsv_deviceILi64ELi16ELb0ELb0ELb0ELb1E19rocblas_complex_numIfEPKS1_PKS3_PKPS1_EviT7_lllT6_T8_lllPii,comdat
.Lfunc_end145:
	.size	_ZL19rocblas_trsv_deviceILi64ELi16ELb0ELb0ELb0ELb1E19rocblas_complex_numIfEPKS1_PKS3_PKPS1_EviT7_lllT6_T8_lllPii, .Lfunc_end145-_ZL19rocblas_trsv_deviceILi64ELi16ELb0ELb0ELb0ELb1E19rocblas_complex_numIfEPKS1_PKS3_PKPS1_EviT7_lllT6_T8_lllPii
                                        ; -- End function
	.set _ZL19rocblas_trsv_deviceILi64ELi16ELb0ELb0ELb0ELb1E19rocblas_complex_numIfEPKS1_PKS3_PKPS1_EviT7_lllT6_T8_lllPii.num_vgpr, 29
	.set _ZL19rocblas_trsv_deviceILi64ELi16ELb0ELb0ELb0ELb1E19rocblas_complex_numIfEPKS1_PKS3_PKPS1_EviT7_lllT6_T8_lllPii.num_agpr, 0
	.set _ZL19rocblas_trsv_deviceILi64ELi16ELb0ELb0ELb0ELb1E19rocblas_complex_numIfEPKS1_PKS3_PKPS1_EviT7_lllT6_T8_lllPii.numbered_sgpr, 100
	.set _ZL19rocblas_trsv_deviceILi64ELi16ELb0ELb0ELb0ELb1E19rocblas_complex_numIfEPKS1_PKS3_PKPS1_EviT7_lllT6_T8_lllPii.num_named_barrier, 0
	.set _ZL19rocblas_trsv_deviceILi64ELi16ELb0ELb0ELb0ELb1E19rocblas_complex_numIfEPKS1_PKS3_PKPS1_EviT7_lllT6_T8_lllPii.private_seg_size, 48
	.set _ZL19rocblas_trsv_deviceILi64ELi16ELb0ELb0ELb0ELb1E19rocblas_complex_numIfEPKS1_PKS3_PKPS1_EviT7_lllT6_T8_lllPii.uses_vcc, 1
	.set _ZL19rocblas_trsv_deviceILi64ELi16ELb0ELb0ELb0ELb1E19rocblas_complex_numIfEPKS1_PKS3_PKPS1_EviT7_lllT6_T8_lllPii.uses_flat_scratch, 1
	.set _ZL19rocblas_trsv_deviceILi64ELi16ELb0ELb0ELb0ELb1E19rocblas_complex_numIfEPKS1_PKS3_PKPS1_EviT7_lllT6_T8_lllPii.has_dyn_sized_stack, 0
	.set _ZL19rocblas_trsv_deviceILi64ELi16ELb0ELb0ELb0ELb1E19rocblas_complex_numIfEPKS1_PKS3_PKPS1_EviT7_lllT6_T8_lllPii.has_recursion, 0
	.set _ZL19rocblas_trsv_deviceILi64ELi16ELb0ELb0ELb0ELb1E19rocblas_complex_numIfEPKS1_PKS3_PKPS1_EviT7_lllT6_T8_lllPii.has_indirect_call, 0
	.section	.AMDGPU.csdata,"",@progbits
; Kernel info:
; codeLenInByte = 35000
; TotalNumSgprs: 106
; NumVgprs: 29
; ScratchSize: 48
; MemoryBound: 1
; FloatMode: 240
; IeeeMode: 1
; LDSByteSize: 41480 bytes/workgroup (compile time only)
; SGPRBlocks: 13
; VGPRBlocks: 12
; NumSGPRsForWavesPerEU: 106
; NumVGPRsForWavesPerEU: 49
; Occupancy: 4
; WaveLimiterHint : 1
; COMPUTE_PGM_RSRC2:SCRATCH_EN: 1
; COMPUTE_PGM_RSRC2:USER_SGPR: 8
; COMPUTE_PGM_RSRC2:TRAP_HANDLER: 0
; COMPUTE_PGM_RSRC2:TGID_X_EN: 1
; COMPUTE_PGM_RSRC2:TGID_Y_EN: 0
; COMPUTE_PGM_RSRC2:TGID_Z_EN: 1
; COMPUTE_PGM_RSRC2:TIDIG_COMP_CNT: 1
	.section	.text._ZL19rocblas_trsv_deviceILi64ELi16ELb0ELb1ELb0ELb1E19rocblas_complex_numIfEPKS1_PKS3_PKPS1_EviT7_lllT6_T8_lllPii,"axG",@progbits,_ZL19rocblas_trsv_deviceILi64ELi16ELb0ELb1ELb0ELb1E19rocblas_complex_numIfEPKS1_PKS3_PKPS1_EviT7_lllT6_T8_lllPii,comdat
	.globl	_ZL19rocblas_trsv_deviceILi64ELi16ELb0ELb1ELb0ELb1E19rocblas_complex_numIfEPKS1_PKS3_PKPS1_EviT7_lllT6_T8_lllPii ; -- Begin function _ZL19rocblas_trsv_deviceILi64ELi16ELb0ELb1ELb0ELb1E19rocblas_complex_numIfEPKS1_PKS3_PKPS1_EviT7_lllT6_T8_lllPii
	.p2align	8
	.type	_ZL19rocblas_trsv_deviceILi64ELi16ELb0ELb1ELb0ELb1E19rocblas_complex_numIfEPKS1_PKS3_PKPS1_EviT7_lllT6_T8_lllPii,@function
_ZL19rocblas_trsv_deviceILi64ELi16ELb0ELb1ELb0ELb1E19rocblas_complex_numIfEPKS1_PKS3_PKPS1_EviT7_lllT6_T8_lllPii: ; @_ZL19rocblas_trsv_deviceILi64ELi16ELb0ELb1ELb0ELb1E19rocblas_complex_numIfEPKS1_PKS3_PKPS1_EviT7_lllT6_T8_lllPii
; %bb.0:
	s_load_dwordx4 s[12:15], s[4:5], 0x8
	s_add_u32 flat_scratch_lo, s6, s10
	s_addc_u32 flat_scratch_hi, s7, 0
	s_add_u32 s0, s0, s10
	s_mov_b32 s34, s9
	s_mov_b32 s35, 0
	s_addc_u32 s1, s1, 0
	s_lshl_b64 s[6:7], s[34:35], 3
	s_waitcnt lgkmcnt(0)
	s_add_u32 s10, s12, s6
	s_addc_u32 s11, s13, s7
	s_load_dwordx2 s[12:13], s[10:11], 0x0
	s_load_dword s33, s[4:5], 0x0
	s_load_dwordx8 s[24:31], s[4:5], 0x28
	s_load_dwordx2 s[36:37], s[4:5], 0x18
	s_lshl_b64 s[10:11], s[14:15], 3
	s_waitcnt lgkmcnt(0)
	s_add_u32 s94, s12, s10
	s_addc_u32 s95, s13, s11
	s_add_u32 s6, s26, s6
	s_addc_u32 s7, s27, s7
	s_load_dwordx2 s[40:41], s[6:7], 0x0
	s_load_dwordx2 s[38:39], s[24:25], 0x0
	s_load_dword s20, s[4:5], 0x6c
	s_cmp_eq_u32 s8, 0
	s_cbranch_scc1 .LBB146_18
; %bb.1:
	s_lshl_b32 s9, s8, 6
	v_add_u32_e32 v6, s9, v0
	v_ashrrev_i32_e32 v2, 31, v6
	v_mul_lo_u32 v7, s36, v2
	v_mul_lo_u32 v8, s37, v6
	v_mad_u64_u32 v[2:3], s[6:7], s36, v6, 0
	v_add_u32_e32 v4, s9, v1
	v_subrev_u32_e32 v4, 64, v4
	v_add3_u32 v3, v3, v7, v8
	v_lshlrev_b64 v[2:3], 3, v[2:3]
	v_ashrrev_i32_e32 v5, 31, v4
	v_mov_b32_e32 v7, s95
	v_add_co_u32_e64 v8, s[6:7], s94, v2
	v_addc_co_u32_e64 v7, s[6:7], v7, v3, s[6:7]
	v_lshlrev_b64 v[2:3], 3, v[4:5]
	v_max_i32_e32 v5, v4, v6
	v_add_co_u32_e64 v2, s[6:7], v8, v2
	v_addc_co_u32_e64 v3, s[6:7], v7, v3, s[6:7]
	v_cmp_gt_i32_e32 vcc, s33, v6
	v_cmp_le_i32_e64 s[6:7], s33, v5
	s_waitcnt lgkmcnt(0)
	s_barrier
	s_and_saveexec_b64 s[10:11], s[6:7]
	s_xor_b64 s[6:7], exec, s[10:11]
	s_cbranch_execz .LBB146_3
; %bb.2:
	v_mov_b32_e32 v5, 0
	buffer_store_dword v5, off, s[0:3], 0
	buffer_store_dword v5, off, s[0:3], 0 offset:4
.LBB146_3:
	s_andn2_saveexec_b64 s[6:7], s[6:7]
	s_cbranch_execz .LBB146_5
; %bb.4:
	flat_load_dwordx2 v[5:6], v[2:3]
	s_waitcnt vmcnt(0) lgkmcnt(0)
	buffer_store_dword v6, off, s[0:3], 0 offset:4
	buffer_store_dword v5, off, s[0:3], 0
.LBB146_5:
	s_or_b64 exec, exec, s[6:7]
	v_add_u32_e32 v5, 16, v4
	v_cmp_le_i32_e64 s[6:7], s33, v5
	s_xor_b64 s[10:11], vcc, -1
	s_or_b64 s[6:7], s[6:7], s[10:11]
	s_waitcnt vmcnt(0)
	s_barrier
	s_and_saveexec_b64 s[12:13], s[6:7]
	s_xor_b64 s[6:7], exec, s[12:13]
	s_cbranch_execz .LBB146_7
; %bb.6:
	v_mov_b32_e32 v5, 0
	buffer_store_dword v5, off, s[0:3], 0 offset:8
	buffer_store_dword v5, off, s[0:3], 0 offset:12
.LBB146_7:
	s_andn2_saveexec_b64 s[6:7], s[6:7]
	s_cbranch_execz .LBB146_9
; %bb.8:
	flat_load_dwordx2 v[5:6], v[2:3] offset:128
	s_waitcnt vmcnt(0) lgkmcnt(0)
	buffer_store_dword v6, off, s[0:3], 0 offset:12
	buffer_store_dword v5, off, s[0:3], 0 offset:8
.LBB146_9:
	s_or_b64 exec, exec, s[6:7]
	v_add_u32_e32 v5, 32, v4
	v_cmp_le_i32_e32 vcc, s33, v5
	s_or_b64 s[6:7], vcc, s[10:11]
	s_waitcnt vmcnt(0)
	s_barrier
	s_and_saveexec_b64 s[12:13], s[6:7]
	s_xor_b64 s[6:7], exec, s[12:13]
	s_cbranch_execz .LBB146_11
; %bb.10:
	v_mov_b32_e32 v5, 0
	buffer_store_dword v5, off, s[0:3], 0 offset:16
	buffer_store_dword v5, off, s[0:3], 0 offset:20
.LBB146_11:
	s_andn2_saveexec_b64 s[6:7], s[6:7]
	s_cbranch_execz .LBB146_13
; %bb.12:
	flat_load_dwordx2 v[5:6], v[2:3] offset:256
	s_waitcnt vmcnt(0) lgkmcnt(0)
	buffer_store_dword v6, off, s[0:3], 0 offset:20
	buffer_store_dword v5, off, s[0:3], 0 offset:16
.LBB146_13:
	s_or_b64 exec, exec, s[6:7]
	v_add_u32_e32 v4, 48, v4
	v_cmp_le_i32_e32 vcc, s33, v4
	s_or_b64 s[6:7], vcc, s[10:11]
	s_waitcnt vmcnt(0)
	s_barrier
	s_and_saveexec_b64 s[10:11], s[6:7]
	s_xor_b64 s[6:7], exec, s[10:11]
	s_cbranch_execz .LBB146_15
; %bb.14:
	v_mov_b32_e32 v2, 0
	buffer_store_dword v2, off, s[0:3], 0 offset:24
	buffer_store_dword v2, off, s[0:3], 0 offset:28
                                        ; implicit-def: $vgpr2_vgpr3
.LBB146_15:
	s_andn2_saveexec_b64 s[6:7], s[6:7]
	s_cbranch_execz .LBB146_17
; %bb.16:
	flat_load_dwordx2 v[2:3], v[2:3] offset:384
	s_waitcnt vmcnt(0) lgkmcnt(0)
	buffer_store_dword v3, off, s[0:3], 0 offset:28
	buffer_store_dword v2, off, s[0:3], 0 offset:24
.LBB146_17:
	s_or_b64 exec, exec, s[6:7]
.LBB146_18:
	s_ashr_i32 s6, s33, 31
	s_lshr_b32 s6, s6, 26
	s_add_i32 s6, s33, s6
	s_andn2_b32 s6, s6, 63
	s_sub_i32 s9, s33, s6
	s_add_i32 s6, s33, -1
	s_ashr_i32 s7, s6, 31
	s_lshr_b32 s7, s7, 26
	s_add_i32 s6, s6, s7
	s_ashr_i32 s6, s6, 6
	s_cmp_eq_u32 s6, s8
	s_cselect_b64 s[6:7], -1, 0
	s_cmp_lg_u32 s9, 0
	s_cselect_b64 s[10:11], -1, 0
	s_and_b64 s[26:27], s[10:11], s[6:7]
	s_cmp_lt_i32 s8, 5
	s_cselect_b64 s[12:13], -1, 0
	v_lshlrev_b32_e32 v2, 6, v0
	s_mov_b64 s[16:17], -1
	s_or_b64 s[6:7], s[12:13], s[26:27]
	s_and_b64 vcc, exec, s[26:27]
	v_add_u32_e32 v3, v1, v2
	v_cmp_le_u32_e64 s[10:11], v1, v0
	v_lshlrev_b32_e32 v8, 3, v0
	v_lshl_add_u32 v6, v1, 6, v0
	s_cbranch_vccnz .LBB146_44
; %bb.19:
	s_add_u32 s14, s36, 1
	s_addc_u32 s15, s37, 0
	s_lshl_b32 s16, s8, 6
	s_ashr_i32 s17, s16, 31
	s_mul_hi_u32 s18, s14, s16
	s_mul_i32 s17, s14, s17
	s_add_i32 s17, s18, s17
	s_mul_i32 s15, s15, s16
	s_add_i32 s15, s17, s15
	s_mul_i32 s14, s14, s16
	s_lshl_b64 s[14:15], s[14:15], 3
	s_add_u32 s14, s94, s14
	s_addc_u32 s15, s95, s15
	v_lshlrev_b32_e32 v4, 3, v0
	v_mov_b32_e32 v5, s15
	v_add_co_u32_e32 v4, vcc, s14, v4
	v_addc_co_u32_e32 v5, vcc, 0, v5, vcc
	v_cndmask_b32_e64 v7, v6, v3, s[12:13]
	s_and_saveexec_b64 s[12:13], s[10:11]
	s_xor_b64 s[10:11], exec, s[12:13]
	s_cbranch_execz .LBB146_23
; %bb.20:
	v_or_b32_e32 v9, v1, v0
	v_cmp_gt_u32_e32 vcc, 64, v9
	s_and_saveexec_b64 s[12:13], vcc
; %bb.21:
	v_mov_b32_e32 v9, 0
	v_lshlrev_b32_e32 v7, 3, v7
	v_mov_b32_e32 v10, v9
	ds_write_b64 v7, v[9:10]
; %bb.22:
	s_or_b64 exec, exec, s[12:13]
                                        ; implicit-def: $vgpr7
.LBB146_23:
	s_andn2_saveexec_b64 s[10:11], s[10:11]
	s_cbranch_execz .LBB146_25
; %bb.24:
	v_mad_u64_u32 v[9:10], s[12:13], s36, v1, 0
	v_lshlrev_b32_e32 v7, 3, v7
	v_mad_u64_u32 v[10:11], s[12:13], s37, v1, v[10:11]
	v_lshlrev_b64 v[9:10], 3, v[9:10]
	v_add_co_u32_e32 v9, vcc, v4, v9
	v_addc_co_u32_e32 v10, vcc, v5, v10, vcc
	flat_load_dwordx2 v[9:10], v[9:10]
	s_waitcnt vmcnt(0) lgkmcnt(0)
	v_xor_b32_e32 v9, 0x80000000, v9
	v_xor_b32_e32 v10, 0x80000000, v10
	ds_write_b64 v7, v[9:10]
.LBB146_25:
	s_or_b64 exec, exec, s[10:11]
	v_add_u32_e32 v9, 16, v1
	v_add_u32_e32 v7, v9, v2
	v_lshl_add_u32 v10, v9, 6, v0
	v_cndmask_b32_e64 v7, v10, v7, s[6:7]
	v_cmp_le_u32_e32 vcc, v9, v0
	s_and_saveexec_b64 s[10:11], vcc
	s_xor_b64 s[10:11], exec, s[10:11]
	s_cbranch_execz .LBB146_29
; %bb.26:
	v_or_b32_e32 v9, v9, v0
	v_cmp_gt_u32_e32 vcc, 64, v9
	s_and_saveexec_b64 s[12:13], vcc
; %bb.27:
	v_mov_b32_e32 v9, 0
	v_lshlrev_b32_e32 v7, 3, v7
	v_mov_b32_e32 v10, v9
	ds_write_b64 v7, v[9:10]
; %bb.28:
	s_or_b64 exec, exec, s[12:13]
                                        ; implicit-def: $vgpr9
                                        ; implicit-def: $vgpr7
.LBB146_29:
	s_andn2_saveexec_b64 s[10:11], s[10:11]
	s_cbranch_execz .LBB146_31
; %bb.30:
	v_mad_u64_u32 v[10:11], s[12:13], s36, v9, 0
	v_lshlrev_b32_e32 v7, 3, v7
	v_mad_u64_u32 v[11:12], s[12:13], s37, v9, v[11:12]
	v_lshlrev_b64 v[9:10], 3, v[10:11]
	v_add_co_u32_e32 v9, vcc, v4, v9
	v_addc_co_u32_e32 v10, vcc, v5, v10, vcc
	flat_load_dwordx2 v[9:10], v[9:10]
	s_waitcnt vmcnt(0) lgkmcnt(0)
	v_xor_b32_e32 v9, 0x80000000, v9
	v_xor_b32_e32 v10, 0x80000000, v10
	ds_write_b64 v7, v[9:10]
.LBB146_31:
	s_or_b64 exec, exec, s[10:11]
	v_add_u32_e32 v9, 32, v1
	v_add_u32_e32 v7, v9, v2
	v_lshl_add_u32 v10, v9, 6, v0
	v_cndmask_b32_e64 v7, v10, v7, s[6:7]
	v_cmp_le_u32_e32 vcc, v9, v0
	s_and_saveexec_b64 s[10:11], vcc
	s_xor_b64 s[10:11], exec, s[10:11]
	s_cbranch_execz .LBB146_35
; %bb.32:
	v_or_b32_e32 v9, v9, v0
	v_cmp_gt_u32_e32 vcc, 64, v9
	s_and_saveexec_b64 s[12:13], vcc
; %bb.33:
	v_mov_b32_e32 v9, 0
	v_lshlrev_b32_e32 v7, 3, v7
	v_mov_b32_e32 v10, v9
	ds_write_b64 v7, v[9:10]
; %bb.34:
	s_or_b64 exec, exec, s[12:13]
                                        ; implicit-def: $vgpr9
                                        ; implicit-def: $vgpr7
.LBB146_35:
	s_andn2_saveexec_b64 s[10:11], s[10:11]
	s_cbranch_execz .LBB146_37
; %bb.36:
	v_mad_u64_u32 v[10:11], s[12:13], s36, v9, 0
	v_lshlrev_b32_e32 v7, 3, v7
	v_mad_u64_u32 v[11:12], s[12:13], s37, v9, v[11:12]
	v_lshlrev_b64 v[9:10], 3, v[10:11]
	v_add_co_u32_e32 v9, vcc, v4, v9
	v_addc_co_u32_e32 v10, vcc, v5, v10, vcc
	flat_load_dwordx2 v[9:10], v[9:10]
	s_waitcnt vmcnt(0) lgkmcnt(0)
	v_xor_b32_e32 v9, 0x80000000, v9
	v_xor_b32_e32 v10, 0x80000000, v10
	ds_write_b64 v7, v[9:10]
.LBB146_37:
	s_or_b64 exec, exec, s[10:11]
	v_add_u32_e32 v9, 48, v1
	v_add_u32_e32 v7, v9, v2
	v_lshl_add_u32 v10, v9, 6, v0
	v_cndmask_b32_e64 v7, v10, v7, s[6:7]
	v_cmp_le_u32_e32 vcc, v9, v0
	s_and_saveexec_b64 s[10:11], vcc
	s_xor_b64 s[10:11], exec, s[10:11]
	s_cbranch_execz .LBB146_41
; %bb.38:
	v_or_b32_e32 v4, v9, v0
	v_cmp_gt_u32_e32 vcc, 64, v4
	s_and_saveexec_b64 s[12:13], vcc
; %bb.39:
	v_mov_b32_e32 v4, 0
	v_lshlrev_b32_e32 v7, 3, v7
	v_mov_b32_e32 v5, v4
	ds_write_b64 v7, v[4:5]
; %bb.40:
	s_or_b64 exec, exec, s[12:13]
                                        ; implicit-def: $vgpr9
                                        ; implicit-def: $vgpr4
                                        ; implicit-def: $vgpr5
                                        ; implicit-def: $vgpr7
.LBB146_41:
	s_andn2_saveexec_b64 s[10:11], s[10:11]
	s_cbranch_execz .LBB146_43
; %bb.42:
	v_mad_u64_u32 v[10:11], s[12:13], s36, v9, 0
	v_lshlrev_b32_e32 v7, 3, v7
	v_mad_u64_u32 v[11:12], s[12:13], s37, v9, v[11:12]
	v_lshlrev_b64 v[9:10], 3, v[10:11]
	v_add_co_u32_e32 v4, vcc, v4, v9
	v_addc_co_u32_e32 v5, vcc, v5, v10, vcc
	flat_load_dwordx2 v[4:5], v[4:5]
	s_waitcnt vmcnt(0) lgkmcnt(0)
	v_xor_b32_e32 v4, 0x80000000, v4
	v_xor_b32_e32 v5, 0x80000000, v5
	ds_write_b64 v7, v[4:5]
.LBB146_43:
	s_or_b64 exec, exec, s[10:11]
	s_mov_b64 s[16:17], 0
.LBB146_44:
	s_xor_b64 s[14:15], s[6:7], -1
	s_and_b64 vcc, exec, s[16:17]
	s_cbranch_vccz .LBB146_70
; %bb.45:
	s_add_u32 s10, s36, 1
	s_addc_u32 s11, s37, 0
	s_lshl_b32 s12, s8, 6
	s_ashr_i32 s13, s12, 31
	s_mul_hi_u32 s16, s10, s12
	s_mul_i32 s13, s10, s13
	s_add_i32 s13, s16, s13
	s_mul_i32 s11, s11, s12
	s_add_i32 s11, s13, s11
	s_mul_i32 s10, s10, s12
	s_lshl_b64 s[10:11], s[10:11], 3
	s_add_u32 s10, s94, s10
	s_addc_u32 s11, s95, s11
	v_lshlrev_b32_e32 v4, 3, v0
	v_mov_b32_e32 v5, s11
	v_add_co_u32_e64 v4, s[10:11], s10, v4
	v_addc_co_u32_e64 v5, s[10:11], 0, v5, s[10:11]
	v_max_i32_e32 v7, v1, v0
	v_cmp_le_u32_e64 s[10:11], v1, v0
	v_cmp_le_i32_e64 s[12:13], s9, v7
	v_cmp_gt_i32_e32 vcc, s9, v0
	s_or_b64 s[10:11], s[12:13], s[10:11]
	s_and_saveexec_b64 s[12:13], s[10:11]
	s_xor_b64 s[12:13], exec, s[12:13]
	s_cbranch_execz .LBB146_49
; %bb.46:
	v_or_b32_e32 v7, v1, v0
	v_cmp_gt_u32_e64 s[10:11], 64, v7
	s_and_saveexec_b64 s[16:17], s[10:11]
; %bb.47:
	v_mov_b32_e32 v9, 0
	v_lshlrev_b32_e32 v3, 3, v3
	v_mov_b32_e32 v10, v9
	ds_write_b64 v3, v[9:10]
; %bb.48:
	s_or_b64 exec, exec, s[16:17]
                                        ; implicit-def: $vgpr3
.LBB146_49:
	s_andn2_saveexec_b64 s[12:13], s[12:13]
	s_cbranch_execz .LBB146_51
; %bb.50:
	v_mad_u64_u32 v[9:10], s[10:11], s36, v1, 0
	v_lshlrev_b32_e32 v3, 3, v3
	v_mov_b32_e32 v7, v10
	v_mad_u64_u32 v[10:11], s[10:11], s37, v1, v[7:8]
	v_lshlrev_b64 v[9:10], 3, v[9:10]
	v_add_co_u32_e64 v9, s[10:11], v4, v9
	v_addc_co_u32_e64 v10, s[10:11], v5, v10, s[10:11]
	flat_load_dwordx2 v[9:10], v[9:10]
	s_waitcnt vmcnt(0) lgkmcnt(0)
	v_xor_b32_e32 v9, 0x80000000, v9
	v_xor_b32_e32 v10, 0x80000000, v10
	ds_write_b64 v3, v[9:10]
.LBB146_51:
	s_or_b64 exec, exec, s[12:13]
	v_add_u32_e32 v7, 16, v1
	v_cmp_gt_u32_e64 s[10:11], v7, v0
	v_cmp_gt_i32_e64 s[12:13], s9, v7
	s_and_b64 s[10:11], s[10:11], s[12:13]
	v_add_u32_e32 v3, v7, v2
	v_lshl_add_u32 v9, v7, 6, v0
	s_and_b64 s[10:11], s[10:11], vcc
	v_cndmask_b32_e64 v3, v9, v3, s[6:7]
	s_xor_b64 s[10:11], s[10:11], -1
	s_and_saveexec_b64 s[12:13], s[10:11]
	s_xor_b64 s[12:13], exec, s[12:13]
	s_cbranch_execz .LBB146_55
; %bb.52:
	v_or_b32_e32 v7, v7, v0
	v_cmp_gt_u32_e64 s[10:11], 64, v7
	s_and_saveexec_b64 s[16:17], s[10:11]
; %bb.53:
	v_mov_b32_e32 v9, 0
	v_lshlrev_b32_e32 v3, 3, v3
	v_mov_b32_e32 v10, v9
	ds_write_b64 v3, v[9:10]
; %bb.54:
	s_or_b64 exec, exec, s[16:17]
                                        ; implicit-def: $vgpr7
                                        ; implicit-def: $vgpr3
.LBB146_55:
	s_andn2_saveexec_b64 s[12:13], s[12:13]
	s_cbranch_execz .LBB146_57
; %bb.56:
	v_mad_u64_u32 v[9:10], s[10:11], s36, v7, 0
	v_lshlrev_b32_e32 v3, 3, v3
	v_mad_u64_u32 v[10:11], s[10:11], s37, v7, v[10:11]
	v_lshlrev_b64 v[9:10], 3, v[9:10]
	v_add_co_u32_e64 v9, s[10:11], v4, v9
	v_addc_co_u32_e64 v10, s[10:11], v5, v10, s[10:11]
	flat_load_dwordx2 v[9:10], v[9:10]
	s_waitcnt vmcnt(0) lgkmcnt(0)
	v_xor_b32_e32 v9, 0x80000000, v9
	v_xor_b32_e32 v10, 0x80000000, v10
	ds_write_b64 v3, v[9:10]
.LBB146_57:
	s_or_b64 exec, exec, s[12:13]
	v_add_u32_e32 v7, 32, v1
	v_cmp_gt_u32_e64 s[10:11], v7, v0
	v_cmp_gt_i32_e64 s[12:13], s9, v7
	s_and_b64 s[10:11], s[10:11], s[12:13]
	v_add_u32_e32 v3, v7, v2
	v_lshl_add_u32 v9, v7, 6, v0
	s_and_b64 s[10:11], s[10:11], vcc
	v_cndmask_b32_e64 v3, v9, v3, s[6:7]
	s_xor_b64 s[10:11], s[10:11], -1
	s_and_saveexec_b64 s[12:13], s[10:11]
	s_xor_b64 s[12:13], exec, s[12:13]
	s_cbranch_execz .LBB146_61
; %bb.58:
	v_or_b32_e32 v7, v7, v0
	v_cmp_gt_u32_e64 s[10:11], 64, v7
	s_and_saveexec_b64 s[16:17], s[10:11]
; %bb.59:
	v_mov_b32_e32 v9, 0
	v_lshlrev_b32_e32 v3, 3, v3
	v_mov_b32_e32 v10, v9
	ds_write_b64 v3, v[9:10]
; %bb.60:
	s_or_b64 exec, exec, s[16:17]
                                        ; implicit-def: $vgpr7
                                        ; implicit-def: $vgpr3
.LBB146_61:
	s_andn2_saveexec_b64 s[12:13], s[12:13]
	s_cbranch_execz .LBB146_63
; %bb.62:
	v_mad_u64_u32 v[9:10], s[10:11], s36, v7, 0
	v_lshlrev_b32_e32 v3, 3, v3
	v_mad_u64_u32 v[10:11], s[10:11], s37, v7, v[10:11]
	v_lshlrev_b64 v[9:10], 3, v[9:10]
	v_add_co_u32_e64 v9, s[10:11], v4, v9
	v_addc_co_u32_e64 v10, s[10:11], v5, v10, s[10:11]
	flat_load_dwordx2 v[9:10], v[9:10]
	s_waitcnt vmcnt(0) lgkmcnt(0)
	v_xor_b32_e32 v9, 0x80000000, v9
	v_xor_b32_e32 v10, 0x80000000, v10
	ds_write_b64 v3, v[9:10]
.LBB146_63:
	s_or_b64 exec, exec, s[12:13]
	v_add_u32_e32 v3, 48, v1
	v_add_u32_e32 v2, v3, v2
	v_lshl_add_u32 v7, v3, 6, v0
	v_cndmask_b32_e64 v2, v7, v2, s[6:7]
	v_cmp_gt_u32_e64 s[6:7], v3, v0
	v_cmp_gt_i32_e64 s[10:11], s9, v3
	s_and_b64 s[6:7], s[6:7], s[10:11]
	s_and_b64 s[6:7], s[6:7], vcc
	s_xor_b64 s[6:7], s[6:7], -1
	s_and_saveexec_b64 s[10:11], s[6:7]
	s_xor_b64 s[6:7], exec, s[10:11]
	s_cbranch_execz .LBB146_67
; %bb.64:
	v_or_b32_e32 v3, v3, v0
	v_cmp_gt_u32_e32 vcc, 64, v3
	s_and_saveexec_b64 s[10:11], vcc
; %bb.65:
	v_lshlrev_b32_e32 v4, 3, v2
	v_mov_b32_e32 v2, 0
	v_mov_b32_e32 v3, v2
	ds_write_b64 v4, v[2:3]
; %bb.66:
	s_or_b64 exec, exec, s[10:11]
                                        ; implicit-def: $vgpr3
                                        ; implicit-def: $vgpr4
                                        ; implicit-def: $vgpr5
                                        ; implicit-def: $vgpr2
.LBB146_67:
	s_andn2_saveexec_b64 s[6:7], s[6:7]
	s_cbranch_execz .LBB146_69
; %bb.68:
	v_mad_u64_u32 v[9:10], s[10:11], s36, v3, 0
	v_lshlrev_b32_e32 v2, 3, v2
	v_mov_b32_e32 v7, v10
	v_mad_u64_u32 v[10:11], s[10:11], s37, v3, v[7:8]
	v_lshlrev_b64 v[9:10], 3, v[9:10]
	v_add_co_u32_e32 v3, vcc, v4, v9
	v_addc_co_u32_e32 v4, vcc, v5, v10, vcc
	flat_load_dwordx2 v[3:4], v[3:4]
	s_waitcnt vmcnt(0) lgkmcnt(0)
	v_xor_b32_e32 v3, 0x80000000, v3
	v_xor_b32_e32 v4, 0x80000000, v4
	ds_write_b64 v2, v[3:4]
.LBB146_69:
	s_or_b64 exec, exec, s[6:7]
.LBB146_70:
	v_cndmask_b32_e64 v2, 0, 1, s[14:15]
	v_cmp_ne_u32_e64 s[50:51], 1, v2
	s_andn2_b64 vcc, exec, s[14:15]
	s_waitcnt vmcnt(0) lgkmcnt(0)
	s_barrier
	s_cbranch_vccnz .LBB146_992
; %bb.71:
	v_or_b32_e32 v2, v0, v1
	s_mov_b32 s11, 0
	v_cmp_eq_u32_e32 vcc, 0, v2
	s_and_saveexec_b64 s[6:7], vcc
	s_cbranch_execz .LBB146_73
; %bb.72:
	v_mov_b32_e32 v7, 0
	ds_read_b64 v[2:3], v7 offset:32752
	s_mov_b32 s10, 1.0
	v_mov_b32_e32 v4, s10
	v_mov_b32_e32 v5, s11
	s_movk_i32 s10, 0x7800
	ds_write_b64 v7, v[4:5] offset:32760
	v_add_u32_e64 v7, s10, 0
	s_waitcnt lgkmcnt(1)
	ds_write2_b64 v7, v[4:5], v[2:3] offset0:190 offset1:191
.LBB146_73:
	s_or_b64 exec, exec, s[6:7]
	v_lshlrev_b32_e32 v2, 6, v1
	v_add_u32_e32 v9, v2, v0
	v_and_b32_e32 v3, v2, v0
	v_xor_b32_e32 v2, v2, v0
	v_lshrrev_b16_e32 v2, 1, v2
	v_add_u16_e32 v7, v3, v2
	v_and_b32_e32 v4, 1, v0
	v_sub_u32_e32 v5, 1, v7
	v_cmp_lt_u32_e64 s[10:11], 3, v9
	v_cmp_gt_u32_e64 s[22:23], 4, v9
	v_mov_b32_e32 v2, 0
	v_mov_b32_e32 v3, 0
	s_waitcnt lgkmcnt(0)
	s_barrier
	buffer_wbinvl1_vol
	s_and_saveexec_b64 s[6:7], s[22:23]
	s_cbranch_execz .LBB146_77
; %bb.74:
	v_lshlrev_b32_e32 v2, 3, v4
	v_lshlrev_b32_e32 v10, 9, v5
	ds_read_b64 v[2:3], v2 offset:32224
	ds_read_b64 v[10:11], v10 offset:32240
	v_cmp_gt_u32_e64 s[12:13], 2, v9
	s_waitcnt lgkmcnt(0)
	v_mul_f32_e32 v12, v11, v3
	v_mul_f32_e32 v3, v10, v3
	v_fma_f32 v10, v10, v2, -v12
	v_fmac_f32_e32 v3, v11, v2
	v_add_f32_e32 v2, 0, v10
	v_add_f32_e32 v3, 0, v3
	s_and_saveexec_b64 s[14:15], s[12:13]
	s_cbranch_execz .LBB146_76
; %bb.75:
	v_lshlrev_b32_e32 v10, 3, v0
	v_mov_b32_e32 v12, 0
	ds_read_b64 v[10:11], v10 offset:32736
	ds_read_b64 v[12:13], v12 offset:32760
	s_waitcnt lgkmcnt(0)
	v_mul_f32_e32 v14, v13, v11
	v_mul_f32_e32 v11, v12, v11
	v_fma_f32 v12, v12, v10, -v14
	v_fmac_f32_e32 v11, v13, v10
	v_add_f32_e32 v2, v2, v12
	v_add_f32_e32 v3, v3, v11
.LBB146_76:
	s_or_b64 exec, exec, s[14:15]
.LBB146_77:
	s_or_b64 exec, exec, s[6:7]
	v_mov_b32_e32 v10, 0x8000
	v_cmp_ne_u32_e64 s[12:13], 0, v4
	s_xor_b64 s[6:7], s[10:11], -1
	v_lshl_add_u32 v7, v7, 3, v10
	s_and_b64 s[44:45], s[12:13], s[6:7]
	s_and_saveexec_b64 s[10:11], s[44:45]
; %bb.78:
	v_xor_b32_e32 v11, 0x80000000, v3
	v_xor_b32_e32 v10, 0x80000000, v2
	ds_write_b64 v7, v[10:11]
; %bb.79:
	s_or_b64 exec, exec, s[10:11]
	v_cmp_eq_u32_e64 s[10:11], 0, v4
	s_and_b64 s[42:43], s[10:11], s[6:7]
	s_waitcnt lgkmcnt(0)
	s_barrier
	s_and_saveexec_b64 s[6:7], s[42:43]
	s_cbranch_execz .LBB146_81
; %bb.80:
	v_mov_b32_e32 v10, 0
	ds_read_b64 v[10:11], v10 offset:31712
	ds_read_b64 v[12:13], v7
	s_waitcnt lgkmcnt(0)
	v_mul_f32_e32 v14, v12, v10
	v_mul_f32_e32 v12, v12, v11
	v_fmac_f32_e32 v12, v13, v10
	v_fma_f32 v10, v13, v11, -v14
	v_add_f32_e32 v2, v2, v10
	v_sub_f32_e32 v3, v3, v12
.LBB146_81:
	s_or_b64 exec, exec, s[6:7]
	s_barrier
	s_and_saveexec_b64 s[6:7], s[42:43]
; %bb.82:
	v_xor_b32_e32 v11, 0x80000000, v3
	v_xor_b32_e32 v10, 0x80000000, v2
	ds_write_b64 v7, v[10:11]
; %bb.83:
	s_or_b64 exec, exec, s[6:7]
	s_waitcnt lgkmcnt(0)
	s_barrier
	s_barrier
	s_and_saveexec_b64 s[6:7], s[22:23]
; %bb.84:
	v_lshlrev_b32_e32 v10, 3, v4
	v_lshl_or_b32 v10, v5, 9, v10
	ds_write_b64 v10, v[2:3] offset:32224
; %bb.85:
	s_or_b64 exec, exec, s[6:7]
	v_cmp_eq_u32_e64 s[16:17], 0, v1
	v_cmp_gt_u32_e64 s[10:11], 2, v0
	s_and_b64 s[46:47], s[16:17], s[10:11]
	s_waitcnt lgkmcnt(0)
	s_barrier
	s_barrier
	s_and_saveexec_b64 s[6:7], s[46:47]
	s_cbranch_execz .LBB146_87
; %bb.86:
	v_lshlrev_b32_e32 v10, 3, v0
	s_movk_i32 s10, 0x1f8
	v_mad_u32_u24 v11, v0, s10, v10
	ds_read_b64 v[2:3], v11 offset:32224
	s_waitcnt lgkmcnt(0)
	ds_write_b64 v10, v[2:3] offset:31216
	ds_read_b64 v[2:3], v11 offset:32232
	s_waitcnt lgkmcnt(0)
	ds_write_b64 v10, v[2:3] offset:31728
.LBB146_87:
	s_or_b64 exec, exec, s[6:7]
	s_waitcnt lgkmcnt(0)
	s_barrier
	s_and_saveexec_b64 s[6:7], vcc
	s_cbranch_execz .LBB146_89
; %bb.88:
	v_mov_b32_e32 v12, 0
	ds_read_b64 v[2:3], v12 offset:31712
	s_mov_b64 s[10:11], 0x3f800000
	v_mov_b32_e32 v10, s10
	v_mov_b32_e32 v11, s11
	s_movk_i32 s10, 0x7800
	ds_write_b64 v12, v[10:11] offset:31720
	v_add_u32_e64 v12, s10, 0
	s_waitcnt lgkmcnt(1)
	ds_write2_b64 v12, v[10:11], v[2:3] offset0:60 offset1:61
.LBB146_89:
	s_or_b64 exec, exec, s[6:7]
	v_lshrrev_b32_e32 v12, 2, v9
	v_and_b32_e32 v10, 3, v0
	v_sub_u32_e32 v11, 3, v12
	v_cmp_lt_u32_e64 s[12:13], 15, v9
	v_cmp_gt_u32_e64 s[10:11], 16, v9
	v_mov_b32_e32 v3, 0
	v_mov_b32_e32 v2, 0
	s_waitcnt lgkmcnt(0)
	s_barrier
	buffer_wbinvl1_vol
	s_and_saveexec_b64 s[6:7], s[10:11]
	s_cbranch_execz .LBB146_95
; %bb.90:
	v_lshlrev_b32_e32 v13, 3, v10
	v_lshlrev_b32_e32 v14, 9, v11
	ds_read_b64 v[2:3], v13 offset:31168
	ds_read_b64 v[15:16], v14 offset:31200
	v_cmp_gt_u32_e64 s[14:15], 12, v9
	s_waitcnt lgkmcnt(0)
	v_mul_f32_e32 v17, v16, v3
	v_mul_f32_e32 v3, v15, v3
	v_fma_f32 v15, v15, v2, -v17
	v_fmac_f32_e32 v3, v16, v2
	v_add_f32_e32 v2, 0, v15
	v_add_f32_e32 v3, 0, v3
	s_and_saveexec_b64 s[18:19], s[14:15]
	s_cbranch_execnz .LBB146_1052
; %bb.91:
	s_or_b64 exec, exec, s[18:19]
	v_cmp_gt_u32_e64 s[14:15], 8, v9
	s_and_saveexec_b64 s[18:19], s[14:15]
	s_cbranch_execnz .LBB146_1053
.LBB146_92:
	s_or_b64 exec, exec, s[18:19]
	v_cmp_gt_u32_e64 s[14:15], 4, v9
	s_and_saveexec_b64 s[18:19], s[14:15]
	s_cbranch_execz .LBB146_94
.LBB146_93:
	v_lshlrev_b32_e32 v13, 3, v0
	v_mov_b32_e32 v15, 0
	ds_read_b64 v[13:14], v13 offset:32704
	ds_read_b64 v[15:16], v15 offset:32760
	s_waitcnt lgkmcnt(0)
	v_mul_f32_e32 v17, v16, v14
	v_mul_f32_e32 v14, v15, v14
	v_fma_f32 v15, v15, v13, -v17
	v_fmac_f32_e32 v14, v16, v13
	v_add_f32_e32 v2, v2, v15
	v_add_f32_e32 v3, v3, v14
.LBB146_94:
	s_or_b64 exec, exec, s[18:19]
.LBB146_95:
                                        ; implicit-def: $vgpr29 : SGPR spill to VGPR lane
	v_writelane_b32 v29, s50, 0
	v_writelane_b32 v29, s51, 1
	s_or_b64 exec, exec, s[6:7]
	v_mov_b32_e32 v13, 0x8000
	v_cmp_eq_u32_e64 s[14:15], 3, v10
	s_xor_b64 s[6:7], s[12:13], -1
	v_lshl_add_u32 v12, v12, 3, v13
	s_and_b64 s[50:51], s[14:15], s[6:7]
	s_and_saveexec_b64 s[12:13], s[50:51]
; %bb.96:
	v_xor_b32_e32 v13, 0x80000000, v2
	v_xor_b32_e32 v14, 0x80000000, v3
	ds_write_b64 v12, v[13:14]
; %bb.97:
	s_or_b64 exec, exec, s[12:13]
	v_cmp_ne_u32_e64 s[12:13], 3, v10
	s_and_b64 s[52:53], s[12:13], s[6:7]
	s_waitcnt lgkmcnt(0)
	s_barrier
	s_and_saveexec_b64 s[12:13], s[52:53]
	s_cbranch_execz .LBB146_99
; %bb.98:
	v_lshlrev_b32_e32 v13, 3, v10
	ds_read_b64 v[13:14], v13 offset:30656
	ds_read_b64 v[15:16], v12
	s_waitcnt lgkmcnt(0)
	v_mul_f32_e32 v17, v16, v14
	v_mul_f32_e32 v14, v15, v14
	v_fma_f32 v15, v15, v13, -v17
	v_fmac_f32_e32 v14, v16, v13
	v_sub_f32_e32 v2, v2, v15
	v_sub_f32_e32 v3, v3, v14
.LBB146_99:
	s_or_b64 exec, exec, s[12:13]
	v_cmp_eq_u32_e64 s[12:13], 2, v10
	s_and_b64 s[54:55], s[12:13], s[6:7]
	s_barrier
	s_and_saveexec_b64 s[12:13], s[54:55]
; %bb.100:
	v_xor_b32_e32 v13, 0x80000000, v2
	v_xor_b32_e32 v14, 0x80000000, v3
	ds_write_b64 v12, v[13:14]
; %bb.101:
	s_or_b64 exec, exec, s[12:13]
	v_cmp_gt_u32_e64 s[12:13], 2, v10
	s_and_b64 s[56:57], s[12:13], s[6:7]
	s_waitcnt lgkmcnt(0)
	s_barrier
	s_and_saveexec_b64 s[12:13], s[56:57]
	s_cbranch_execz .LBB146_103
; %bb.102:
	v_lshlrev_b32_e32 v13, 3, v10
	ds_read_b64 v[13:14], v13 offset:30144
	ds_read_b64 v[15:16], v12
	s_waitcnt lgkmcnt(0)
	v_mul_f32_e32 v17, v16, v14
	v_mul_f32_e32 v14, v15, v14
	v_fma_f32 v15, v15, v13, -v17
	v_fmac_f32_e32 v14, v16, v13
	v_sub_f32_e32 v2, v2, v15
	v_sub_f32_e32 v3, v3, v14
.LBB146_103:
	s_or_b64 exec, exec, s[12:13]
	v_cmp_eq_u32_e64 s[12:13], 1, v10
	s_and_b64 s[58:59], s[12:13], s[6:7]
	s_barrier
	s_and_saveexec_b64 s[12:13], s[58:59]
; %bb.104:
	v_xor_b32_e32 v13, 0x80000000, v2
	v_xor_b32_e32 v14, 0x80000000, v3
	ds_write_b64 v12, v[13:14]
; %bb.105:
	s_or_b64 exec, exec, s[12:13]
	v_cmp_eq_u32_e64 s[12:13], 0, v10
	s_and_b64 s[48:49], s[12:13], s[6:7]
	s_waitcnt lgkmcnt(0)
	s_barrier
	s_and_saveexec_b64 s[6:7], s[48:49]
	s_cbranch_execz .LBB146_107
; %bb.106:
	v_mov_b32_e32 v13, 0
	ds_read_b64 v[13:14], v13 offset:29632
	ds_read_b64 v[15:16], v12
	s_waitcnt lgkmcnt(0)
	v_mul_f32_e32 v17, v16, v14
	v_mul_f32_e32 v14, v15, v14
	v_fma_f32 v15, v15, v13, -v17
	v_fmac_f32_e32 v14, v16, v13
	v_sub_f32_e32 v2, v2, v15
	v_sub_f32_e32 v3, v3, v14
.LBB146_107:
	s_or_b64 exec, exec, s[6:7]
	s_barrier
	s_and_saveexec_b64 s[6:7], s[48:49]
; %bb.108:
	v_xor_b32_e32 v13, 0x80000000, v2
	v_xor_b32_e32 v14, 0x80000000, v3
	ds_write_b64 v12, v[13:14]
; %bb.109:
	s_or_b64 exec, exec, s[6:7]
	s_waitcnt lgkmcnt(0)
	s_barrier
	s_barrier
	s_and_saveexec_b64 s[6:7], s[10:11]
; %bb.110:
	v_lshlrev_b32_e32 v13, 3, v10
	v_lshl_or_b32 v13, v11, 9, v13
	ds_write_b64 v13, v[2:3] offset:31168
; %bb.111:
	s_or_b64 exec, exec, s[6:7]
	v_cmp_gt_u32_e64 s[12:13], 4, v0
	s_and_b64 s[60:61], s[16:17], s[12:13]
	s_waitcnt lgkmcnt(0)
	s_barrier
	s_barrier
	s_and_saveexec_b64 s[6:7], s[60:61]
	s_cbranch_execz .LBB146_113
; %bb.112:
	v_lshlrev_b32_e32 v13, 9, v0
	ds_read_b64 v[2:3], v13 offset:31168
	s_movk_i32 s12, 0xfe08
	v_mad_i32_i24 v14, v0, s12, v13
	s_waitcnt lgkmcnt(0)
	ds_write_b64 v14, v[2:3] offset:29152
	ds_read_b64 v[2:3], v13 offset:31176
	s_waitcnt lgkmcnt(0)
	ds_write_b64 v14, v[2:3] offset:29664
	ds_read_b64 v[2:3], v13 offset:31184
	;; [unrolled: 3-line block ×3, first 2 shown]
	s_waitcnt lgkmcnt(0)
	ds_write_b64 v14, v[2:3] offset:30688
.LBB146_113:
	s_or_b64 exec, exec, s[6:7]
	s_waitcnt lgkmcnt(0)
	s_barrier
	s_and_saveexec_b64 s[6:7], vcc
	s_cbranch_execz .LBB146_115
; %bb.114:
	v_mov_b32_e32 v15, 0
	ds_read_b64 v[2:3], v15 offset:30672
	s_mov_b64 s[12:13], 0x3f800000
	v_mov_b32_e32 v14, s13
	v_mov_b32_e32 v13, s12
	s_movk_i32 s12, 0x7000
	ds_write_b64 v15, v[13:14] offset:30680
	v_add_u32_e64 v15, s12, 0
	s_waitcnt lgkmcnt(1)
	ds_write2_b64 v15, v[13:14], v[2:3] offset0:186 offset1:187
.LBB146_115:
	s_or_b64 exec, exec, s[6:7]
	v_mov_b32_e32 v2, 0
	v_mov_b32_e32 v3, 0
	s_waitcnt lgkmcnt(0)
	s_barrier
	buffer_wbinvl1_vol
	s_and_saveexec_b64 s[6:7], s[22:23]
	s_cbranch_execz .LBB146_119
; %bb.116:
	v_lshlrev_b32_e32 v2, 3, v4
	v_lshlrev_b32_e32 v13, 9, v5
	ds_read_b64 v[2:3], v2 offset:30144
	ds_read_b64 v[13:14], v13 offset:30160
	v_cmp_gt_u32_e64 s[12:13], 2, v9
	s_waitcnt lgkmcnt(0)
	v_mul_f32_e32 v15, v14, v3
	v_mul_f32_e32 v3, v13, v3
	v_fma_f32 v13, v13, v2, -v15
	v_fmac_f32_e32 v3, v14, v2
	v_add_f32_e32 v2, 0, v13
	v_add_f32_e32 v3, 0, v3
	s_and_saveexec_b64 s[14:15], s[12:13]
	s_cbranch_execz .LBB146_118
; %bb.117:
	v_lshlrev_b32_e32 v13, 3, v0
	v_mov_b32_e32 v15, 0
	ds_read_b64 v[13:14], v13 offset:30656
	ds_read_b64 v[15:16], v15 offset:30680
	s_waitcnt lgkmcnt(0)
	v_mul_f32_e32 v17, v16, v14
	v_mul_f32_e32 v14, v15, v14
	v_fma_f32 v15, v15, v13, -v17
	v_fmac_f32_e32 v14, v16, v13
	v_add_f32_e32 v2, v2, v15
	v_add_f32_e32 v3, v3, v14
.LBB146_118:
	s_or_b64 exec, exec, s[14:15]
.LBB146_119:
	s_or_b64 exec, exec, s[6:7]
	s_and_saveexec_b64 s[6:7], s[44:45]
; %bb.120:
	v_xor_b32_e32 v14, 0x80000000, v3
	v_xor_b32_e32 v13, 0x80000000, v2
	ds_write_b64 v7, v[13:14]
; %bb.121:
	s_or_b64 exec, exec, s[6:7]
	s_waitcnt lgkmcnt(0)
	s_barrier
	s_and_saveexec_b64 s[6:7], s[42:43]
	s_cbranch_execz .LBB146_123
; %bb.122:
	v_mov_b32_e32 v13, 0
	ds_read_b64 v[13:14], v13 offset:29632
	ds_read_b64 v[15:16], v7
	s_waitcnt lgkmcnt(0)
	v_mul_f32_e32 v17, v15, v13
	v_mul_f32_e32 v15, v15, v14
	v_fmac_f32_e32 v15, v16, v13
	v_fma_f32 v13, v16, v14, -v17
	v_add_f32_e32 v2, v2, v13
	v_sub_f32_e32 v3, v3, v15
.LBB146_123:
	s_or_b64 exec, exec, s[6:7]
	s_barrier
	s_and_saveexec_b64 s[6:7], s[42:43]
; %bb.124:
	v_xor_b32_e32 v14, 0x80000000, v3
	v_xor_b32_e32 v13, 0x80000000, v2
	ds_write_b64 v7, v[13:14]
; %bb.125:
	s_or_b64 exec, exec, s[6:7]
	s_waitcnt lgkmcnt(0)
	s_barrier
	s_barrier
	s_and_saveexec_b64 s[6:7], s[22:23]
; %bb.126:
	v_lshlrev_b32_e32 v13, 3, v4
	v_lshl_or_b32 v13, v5, 9, v13
	ds_write_b64 v13, v[2:3] offset:30144
; %bb.127:
	s_or_b64 exec, exec, s[6:7]
	s_waitcnt lgkmcnt(0)
	s_barrier
	s_barrier
	s_and_saveexec_b64 s[6:7], s[46:47]
	s_cbranch_execz .LBB146_129
; %bb.128:
	v_lshlrev_b32_e32 v13, 3, v0
	s_movk_i32 s12, 0x1f8
	v_mad_u32_u24 v14, v0, s12, v13
	ds_read_b64 v[2:3], v14 offset:30144
	s_waitcnt lgkmcnt(0)
	ds_write_b64 v13, v[2:3] offset:29136
	ds_read_b64 v[2:3], v14 offset:30152
	s_waitcnt lgkmcnt(0)
	ds_write_b64 v13, v[2:3] offset:29648
.LBB146_129:
	s_or_b64 exec, exec, s[6:7]
	s_waitcnt lgkmcnt(0)
	s_barrier
	s_and_saveexec_b64 s[6:7], vcc
	s_cbranch_execz .LBB146_131
; %bb.130:
	v_mov_b32_e32 v15, 0
	ds_read_b64 v[2:3], v15 offset:29632
	s_mov_b64 s[12:13], 0x3f800000
	v_mov_b32_e32 v14, s13
	v_mov_b32_e32 v13, s12
	s_movk_i32 s12, 0x7000
	ds_write_b64 v15, v[13:14] offset:29640
	v_add_u32_e64 v15, s12, 0
	s_waitcnt lgkmcnt(1)
	ds_write2_b64 v15, v[13:14], v[2:3] offset0:56 offset1:57
.LBB146_131:
	s_or_b64 exec, exec, s[6:7]
	v_lshrrev_b32_e32 v15, 3, v9
	v_and_b32_e32 v13, 7, v0
	v_sub_u32_e32 v14, 7, v15
	v_cmp_lt_u32_e64 s[14:15], 63, v9
	v_cmp_gt_u32_e64 s[12:13], 64, v9
	v_mov_b32_e32 v3, 0
	v_mov_b32_e32 v2, 0
	s_waitcnt lgkmcnt(0)
	s_barrier
	buffer_wbinvl1_vol
	s_and_saveexec_b64 s[6:7], s[12:13]
	s_cbranch_execz .LBB146_141
; %bb.132:
	v_lshlrev_b32_e32 v16, 3, v13
	v_lshlrev_b32_e32 v17, 9, v14
	ds_read_b64 v[2:3], v16 offset:29056
	ds_read_b64 v[18:19], v17 offset:29120
	v_cmp_gt_u32_e64 s[18:19], 56, v9
	s_waitcnt lgkmcnt(0)
	v_mul_f32_e32 v20, v19, v3
	v_mul_f32_e32 v3, v18, v3
	v_fma_f32 v18, v18, v2, -v20
	v_fmac_f32_e32 v3, v19, v2
	v_add_f32_e32 v2, 0, v18
	v_add_f32_e32 v3, 0, v3
	s_and_saveexec_b64 s[20:21], s[18:19]
	s_cbranch_execnz .LBB146_1054
; %bb.133:
	s_or_b64 exec, exec, s[20:21]
	v_cmp_gt_u32_e64 s[18:19], 48, v9
	s_and_saveexec_b64 s[20:21], s[18:19]
	s_cbranch_execnz .LBB146_1055
.LBB146_134:
	s_or_b64 exec, exec, s[20:21]
	v_cmp_gt_u32_e64 s[18:19], 40, v9
	s_and_saveexec_b64 s[20:21], s[18:19]
	s_cbranch_execnz .LBB146_1056
.LBB146_135:
	s_or_b64 exec, exec, s[20:21]
	v_cmp_gt_u32_e64 s[18:19], 32, v9
	s_and_saveexec_b64 s[20:21], s[18:19]
	s_cbranch_execnz .LBB146_1057
.LBB146_136:
	s_or_b64 exec, exec, s[20:21]
	v_cmp_gt_u32_e64 s[18:19], 24, v9
	s_and_saveexec_b64 s[20:21], s[18:19]
	s_cbranch_execnz .LBB146_1058
.LBB146_137:
	s_or_b64 exec, exec, s[20:21]
	s_and_saveexec_b64 s[18:19], s[10:11]
	s_cbranch_execnz .LBB146_1059
.LBB146_138:
	s_or_b64 exec, exec, s[18:19]
	v_cmp_gt_u32_e64 s[18:19], 8, v9
	s_and_saveexec_b64 s[20:21], s[18:19]
	s_cbranch_execz .LBB146_140
.LBB146_139:
	v_lshlrev_b32_e32 v16, 3, v0
	v_mov_b32_e32 v18, 0
	ds_read_b64 v[16:17], v16 offset:32640
	ds_read_b64 v[18:19], v18 offset:32760
	s_waitcnt lgkmcnt(0)
	v_mul_f32_e32 v20, v19, v17
	v_mul_f32_e32 v17, v18, v17
	v_fma_f32 v18, v18, v16, -v20
	v_fmac_f32_e32 v17, v19, v16
	v_add_f32_e32 v2, v2, v18
	v_add_f32_e32 v3, v3, v17
.LBB146_140:
	s_or_b64 exec, exec, s[20:21]
.LBB146_141:
	s_or_b64 exec, exec, s[6:7]
	v_mov_b32_e32 v16, 0x8000
	v_cmp_eq_u32_e64 s[18:19], 7, v13
	s_xor_b64 s[6:7], s[14:15], -1
	v_lshl_add_u32 v15, v15, 3, v16
	s_and_b64 s[64:65], s[18:19], s[6:7]
	s_and_saveexec_b64 s[14:15], s[64:65]
; %bb.142:
	v_xor_b32_e32 v17, 0x80000000, v3
	v_xor_b32_e32 v16, 0x80000000, v2
	ds_write_b64 v15, v[16:17]
; %bb.143:
	s_or_b64 exec, exec, s[14:15]
	v_cmp_ne_u32_e64 s[14:15], 7, v13
	s_and_b64 s[66:67], s[14:15], s[6:7]
	s_waitcnt lgkmcnt(0)
	s_barrier
	s_and_saveexec_b64 s[14:15], s[66:67]
	s_cbranch_execz .LBB146_145
; %bb.144:
	v_lshlrev_b32_e32 v16, 3, v13
	ds_read_b64 v[16:17], v16 offset:28544
	ds_read_b64 v[18:19], v15
	s_waitcnt lgkmcnt(0)
	v_mul_f32_e32 v20, v19, v17
	v_mul_f32_e32 v17, v18, v17
	v_fma_f32 v18, v18, v16, -v20
	v_fmac_f32_e32 v17, v19, v16
	v_sub_f32_e32 v2, v2, v18
	v_sub_f32_e32 v3, v3, v17
.LBB146_145:
	s_or_b64 exec, exec, s[14:15]
	v_cmp_eq_u32_e64 s[14:15], 6, v13
	s_and_b64 s[68:69], s[14:15], s[6:7]
	s_barrier
	s_and_saveexec_b64 s[14:15], s[68:69]
; %bb.146:
	v_xor_b32_e32 v17, 0x80000000, v3
	v_xor_b32_e32 v16, 0x80000000, v2
	ds_write_b64 v15, v[16:17]
; %bb.147:
	s_or_b64 exec, exec, s[14:15]
	v_cmp_gt_u32_e64 s[14:15], 6, v13
	s_and_b64 s[70:71], s[14:15], s[6:7]
	s_waitcnt lgkmcnt(0)
	s_barrier
	s_and_saveexec_b64 s[14:15], s[70:71]
	s_cbranch_execz .LBB146_149
; %bb.148:
	v_lshlrev_b32_e32 v16, 3, v13
	ds_read_b64 v[16:17], v16 offset:28032
	ds_read_b64 v[18:19], v15
	s_waitcnt lgkmcnt(0)
	v_mul_f32_e32 v20, v19, v17
	v_mul_f32_e32 v17, v18, v17
	v_fma_f32 v18, v18, v16, -v20
	v_fmac_f32_e32 v17, v19, v16
	v_sub_f32_e32 v2, v2, v18
	v_sub_f32_e32 v3, v3, v17
.LBB146_149:
	s_or_b64 exec, exec, s[14:15]
	v_cmp_eq_u32_e64 s[14:15], 5, v13
	s_and_b64 s[72:73], s[14:15], s[6:7]
	s_barrier
	s_and_saveexec_b64 s[14:15], s[72:73]
; %bb.150:
	v_xor_b32_e32 v17, 0x80000000, v3
	v_xor_b32_e32 v16, 0x80000000, v2
	ds_write_b64 v15, v[16:17]
; %bb.151:
	s_or_b64 exec, exec, s[14:15]
	v_cmp_gt_u32_e64 s[14:15], 5, v13
	;; [unrolled: 29-line block ×5, first 2 shown]
	s_and_b64 s[86:87], s[14:15], s[6:7]
	s_waitcnt lgkmcnt(0)
	s_barrier
	s_and_saveexec_b64 s[14:15], s[86:87]
	s_cbranch_execz .LBB146_165
; %bb.164:
	v_lshlrev_b32_e32 v16, 3, v13
	ds_read_b64 v[16:17], v16 offset:25984
	ds_read_b64 v[18:19], v15
	s_waitcnt lgkmcnt(0)
	v_mul_f32_e32 v20, v19, v17
	v_mul_f32_e32 v17, v18, v17
	v_fma_f32 v18, v18, v16, -v20
	v_fmac_f32_e32 v17, v19, v16
	v_sub_f32_e32 v2, v2, v18
	v_sub_f32_e32 v3, v3, v17
.LBB146_165:
	s_or_b64 exec, exec, s[14:15]
	v_cmp_eq_u32_e64 s[14:15], 1, v13
	s_and_b64 s[88:89], s[14:15], s[6:7]
	s_barrier
	s_and_saveexec_b64 s[14:15], s[88:89]
; %bb.166:
	v_xor_b32_e32 v17, 0x80000000, v3
	v_xor_b32_e32 v16, 0x80000000, v2
	ds_write_b64 v15, v[16:17]
; %bb.167:
	s_or_b64 exec, exec, s[14:15]
	v_cmp_eq_u32_e64 s[14:15], 0, v13
	s_and_b64 s[62:63], s[14:15], s[6:7]
	s_waitcnt lgkmcnt(0)
	s_barrier
	s_and_saveexec_b64 s[6:7], s[62:63]
	s_cbranch_execz .LBB146_169
; %bb.168:
	v_mov_b32_e32 v16, 0
	ds_read_b64 v[16:17], v16 offset:25472
	ds_read_b64 v[18:19], v15
	s_waitcnt lgkmcnt(0)
	v_mul_f32_e32 v20, v19, v17
	v_mul_f32_e32 v17, v18, v17
	v_fma_f32 v18, v18, v16, -v20
	v_fmac_f32_e32 v17, v19, v16
	v_sub_f32_e32 v2, v2, v18
	v_sub_f32_e32 v3, v3, v17
.LBB146_169:
	s_or_b64 exec, exec, s[6:7]
	s_barrier
	s_and_saveexec_b64 s[6:7], s[62:63]
; %bb.170:
	v_xor_b32_e32 v17, 0x80000000, v3
	v_xor_b32_e32 v16, 0x80000000, v2
	ds_write_b64 v15, v[16:17]
; %bb.171:
	s_or_b64 exec, exec, s[6:7]
	s_waitcnt lgkmcnt(0)
	s_barrier
	s_barrier
	s_and_saveexec_b64 s[6:7], s[12:13]
; %bb.172:
	v_lshlrev_b32_e32 v16, 3, v13
	v_lshl_or_b32 v16, v14, 9, v16
	ds_write_b64 v16, v[2:3] offset:29056
; %bb.173:
	s_or_b64 exec, exec, s[6:7]
	v_cmp_gt_u32_e64 s[14:15], 8, v0
	s_and_b64 s[90:91], s[16:17], s[14:15]
	s_waitcnt lgkmcnt(0)
	s_barrier
	s_barrier
	s_and_saveexec_b64 s[6:7], s[90:91]
	s_cbranch_execz .LBB146_175
; %bb.174:
	v_lshlrev_b32_e32 v16, 9, v0
	ds_read_b64 v[2:3], v16 offset:29056
	s_movk_i32 s14, 0xfe08
	v_mad_i32_i24 v17, v0, s14, v16
	s_waitcnt lgkmcnt(0)
	ds_write_b64 v17, v[2:3] offset:25024
	ds_read_b64 v[2:3], v16 offset:29064
	s_waitcnt lgkmcnt(0)
	ds_write_b64 v17, v[2:3] offset:25536
	ds_read_b64 v[2:3], v16 offset:29072
	;; [unrolled: 3-line block ×7, first 2 shown]
	s_waitcnt lgkmcnt(0)
	ds_write_b64 v17, v[2:3] offset:28608
.LBB146_175:
	s_or_b64 exec, exec, s[6:7]
	s_waitcnt lgkmcnt(0)
	s_barrier
	s_and_saveexec_b64 s[6:7], vcc
	s_cbranch_execz .LBB146_177
; %bb.176:
	v_mov_b32_e32 v18, 0
	ds_read_b64 v[2:3], v18 offset:28592
	s_mov_b64 s[14:15], 0x3f800000
	v_mov_b32_e32 v17, s15
	v_mov_b32_e32 v16, s14
	s_movk_i32 s14, 0x6800
	ds_write_b64 v18, v[16:17] offset:28600
	v_add_u32_e64 v18, s14, 0
	s_waitcnt lgkmcnt(1)
	ds_write2_b64 v18, v[16:17], v[2:3] offset0:182 offset1:183
.LBB146_177:
	s_or_b64 exec, exec, s[6:7]
	v_mov_b32_e32 v2, 0
	v_mov_b32_e32 v3, 0
	s_waitcnt lgkmcnt(0)
	s_barrier
	buffer_wbinvl1_vol
	s_and_saveexec_b64 s[6:7], s[22:23]
	s_cbranch_execz .LBB146_181
; %bb.178:
	v_lshlrev_b32_e32 v2, 3, v4
	v_lshlrev_b32_e32 v16, 9, v5
	ds_read_b64 v[2:3], v2 offset:28064
	ds_read_b64 v[16:17], v16 offset:28080
	v_cmp_gt_u32_e64 s[14:15], 2, v9
	s_waitcnt lgkmcnt(0)
	v_mul_f32_e32 v18, v17, v3
	v_mul_f32_e32 v3, v16, v3
	v_fma_f32 v16, v16, v2, -v18
	v_fmac_f32_e32 v3, v17, v2
	v_add_f32_e32 v2, 0, v16
	v_add_f32_e32 v3, 0, v3
	s_and_saveexec_b64 s[18:19], s[14:15]
	s_cbranch_execz .LBB146_180
; %bb.179:
	v_lshlrev_b32_e32 v16, 3, v0
	v_mov_b32_e32 v18, 0
	ds_read_b64 v[16:17], v16 offset:28576
	ds_read_b64 v[18:19], v18 offset:28600
	s_waitcnt lgkmcnt(0)
	v_mul_f32_e32 v20, v19, v17
	v_mul_f32_e32 v17, v18, v17
	v_fma_f32 v18, v18, v16, -v20
	v_fmac_f32_e32 v17, v19, v16
	v_add_f32_e32 v2, v2, v18
	v_add_f32_e32 v3, v3, v17
.LBB146_180:
	s_or_b64 exec, exec, s[18:19]
.LBB146_181:
	s_or_b64 exec, exec, s[6:7]
	s_and_saveexec_b64 s[6:7], s[44:45]
; %bb.182:
	v_xor_b32_e32 v17, 0x80000000, v3
	v_xor_b32_e32 v16, 0x80000000, v2
	ds_write_b64 v7, v[16:17]
; %bb.183:
	s_or_b64 exec, exec, s[6:7]
	s_waitcnt lgkmcnt(0)
	s_barrier
	s_and_saveexec_b64 s[6:7], s[42:43]
	s_cbranch_execz .LBB146_185
; %bb.184:
	v_mov_b32_e32 v16, 0
	ds_read_b64 v[16:17], v16 offset:27552
	ds_read_b64 v[18:19], v7
	s_waitcnt lgkmcnt(0)
	v_mul_f32_e32 v20, v18, v16
	v_mul_f32_e32 v18, v18, v17
	v_fmac_f32_e32 v18, v19, v16
	v_fma_f32 v16, v19, v17, -v20
	v_add_f32_e32 v2, v2, v16
	v_sub_f32_e32 v3, v3, v18
.LBB146_185:
	s_or_b64 exec, exec, s[6:7]
	s_barrier
	s_and_saveexec_b64 s[6:7], s[42:43]
; %bb.186:
	v_xor_b32_e32 v17, 0x80000000, v3
	v_xor_b32_e32 v16, 0x80000000, v2
	ds_write_b64 v7, v[16:17]
; %bb.187:
	s_or_b64 exec, exec, s[6:7]
	s_waitcnt lgkmcnt(0)
	s_barrier
	s_barrier
	s_and_saveexec_b64 s[6:7], s[22:23]
; %bb.188:
	v_lshlrev_b32_e32 v16, 3, v4
	v_lshl_or_b32 v16, v5, 9, v16
	ds_write_b64 v16, v[2:3] offset:28064
; %bb.189:
	s_or_b64 exec, exec, s[6:7]
	s_waitcnt lgkmcnt(0)
	s_barrier
	s_barrier
	s_and_saveexec_b64 s[6:7], s[46:47]
	s_cbranch_execz .LBB146_191
; %bb.190:
	v_lshlrev_b32_e32 v16, 3, v0
	s_movk_i32 s14, 0x1f8
	v_mad_u32_u24 v17, v0, s14, v16
	ds_read_b64 v[2:3], v17 offset:28064
	s_waitcnt lgkmcnt(0)
	ds_write_b64 v16, v[2:3] offset:27056
	ds_read_b64 v[2:3], v17 offset:28072
	s_waitcnt lgkmcnt(0)
	ds_write_b64 v16, v[2:3] offset:27568
.LBB146_191:
	s_or_b64 exec, exec, s[6:7]
	s_waitcnt lgkmcnt(0)
	s_barrier
	s_and_saveexec_b64 s[6:7], vcc
	s_cbranch_execz .LBB146_193
; %bb.192:
	v_mov_b32_e32 v18, 0
	ds_read_b64 v[2:3], v18 offset:27552
	s_mov_b64 s[14:15], 0x3f800000
	v_mov_b32_e32 v17, s15
	v_mov_b32_e32 v16, s14
	s_movk_i32 s14, 0x6800
	ds_write_b64 v18, v[16:17] offset:27560
	v_add_u32_e64 v18, s14, 0
	s_waitcnt lgkmcnt(1)
	ds_write2_b64 v18, v[16:17], v[2:3] offset0:52 offset1:53
.LBB146_193:
	s_or_b64 exec, exec, s[6:7]
	v_mov_b32_e32 v3, 0
	v_mov_b32_e32 v2, 0
	s_waitcnt lgkmcnt(0)
	s_barrier
	buffer_wbinvl1_vol
	s_and_saveexec_b64 s[6:7], s[10:11]
	s_cbranch_execz .LBB146_199
; %bb.194:
	v_lshlrev_b32_e32 v16, 3, v10
	v_lshlrev_b32_e32 v17, 9, v11
	ds_read_b64 v[2:3], v16 offset:27008
	ds_read_b64 v[18:19], v17 offset:27040
	v_cmp_gt_u32_e64 s[14:15], 12, v9
	s_waitcnt lgkmcnt(0)
	v_mul_f32_e32 v20, v19, v3
	v_mul_f32_e32 v3, v18, v3
	v_fma_f32 v18, v18, v2, -v20
	v_fmac_f32_e32 v3, v19, v2
	v_add_f32_e32 v2, 0, v18
	v_add_f32_e32 v3, 0, v3
	s_and_saveexec_b64 s[18:19], s[14:15]
	s_cbranch_execnz .LBB146_1060
; %bb.195:
	s_or_b64 exec, exec, s[18:19]
	v_cmp_gt_u32_e64 s[14:15], 8, v9
	s_and_saveexec_b64 s[18:19], s[14:15]
	s_cbranch_execnz .LBB146_1061
.LBB146_196:
	s_or_b64 exec, exec, s[18:19]
	v_cmp_gt_u32_e64 s[14:15], 4, v9
	s_and_saveexec_b64 s[18:19], s[14:15]
	s_cbranch_execz .LBB146_198
.LBB146_197:
	v_lshlrev_b32_e32 v16, 3, v0
	v_mov_b32_e32 v18, 0
	ds_read_b64 v[16:17], v16 offset:28544
	ds_read_b64 v[18:19], v18 offset:28600
	s_waitcnt lgkmcnt(0)
	v_mul_f32_e32 v20, v19, v17
	v_mul_f32_e32 v17, v18, v17
	v_fma_f32 v18, v18, v16, -v20
	v_fmac_f32_e32 v17, v19, v16
	v_add_f32_e32 v2, v2, v18
	v_add_f32_e32 v3, v3, v17
.LBB146_198:
	s_or_b64 exec, exec, s[18:19]
.LBB146_199:
	s_or_b64 exec, exec, s[6:7]
	s_and_saveexec_b64 s[6:7], s[50:51]
; %bb.200:
	v_xor_b32_e32 v16, 0x80000000, v2
	v_xor_b32_e32 v17, 0x80000000, v3
	ds_write_b64 v12, v[16:17]
; %bb.201:
	s_or_b64 exec, exec, s[6:7]
	s_waitcnt lgkmcnt(0)
	s_barrier
	s_and_saveexec_b64 s[6:7], s[52:53]
	s_cbranch_execz .LBB146_203
; %bb.202:
	v_lshlrev_b32_e32 v16, 3, v10
	ds_read_b64 v[16:17], v16 offset:26496
	ds_read_b64 v[18:19], v12
	s_waitcnt lgkmcnt(0)
	v_mul_f32_e32 v20, v19, v17
	v_mul_f32_e32 v17, v18, v17
	v_fma_f32 v18, v18, v16, -v20
	v_fmac_f32_e32 v17, v19, v16
	v_sub_f32_e32 v2, v2, v18
	v_sub_f32_e32 v3, v3, v17
.LBB146_203:
	s_or_b64 exec, exec, s[6:7]
	s_barrier
	s_and_saveexec_b64 s[6:7], s[54:55]
; %bb.204:
	v_xor_b32_e32 v16, 0x80000000, v2
	v_xor_b32_e32 v17, 0x80000000, v3
	ds_write_b64 v12, v[16:17]
; %bb.205:
	s_or_b64 exec, exec, s[6:7]
	s_waitcnt lgkmcnt(0)
	s_barrier
	s_and_saveexec_b64 s[6:7], s[56:57]
	s_cbranch_execz .LBB146_207
; %bb.206:
	v_lshlrev_b32_e32 v16, 3, v10
	ds_read_b64 v[16:17], v16 offset:25984
	ds_read_b64 v[18:19], v12
	s_waitcnt lgkmcnt(0)
	v_mul_f32_e32 v20, v19, v17
	v_mul_f32_e32 v17, v18, v17
	v_fma_f32 v18, v18, v16, -v20
	v_fmac_f32_e32 v17, v19, v16
	v_sub_f32_e32 v2, v2, v18
	v_sub_f32_e32 v3, v3, v17
.LBB146_207:
	s_or_b64 exec, exec, s[6:7]
	s_barrier
	s_and_saveexec_b64 s[6:7], s[58:59]
; %bb.208:
	v_xor_b32_e32 v16, 0x80000000, v2
	v_xor_b32_e32 v17, 0x80000000, v3
	ds_write_b64 v12, v[16:17]
; %bb.209:
	s_or_b64 exec, exec, s[6:7]
	s_waitcnt lgkmcnt(0)
	s_barrier
	s_and_saveexec_b64 s[6:7], s[48:49]
	s_cbranch_execz .LBB146_211
; %bb.210:
	v_mov_b32_e32 v16, 0
	ds_read_b64 v[16:17], v16 offset:25472
	ds_read_b64 v[18:19], v12
	s_waitcnt lgkmcnt(0)
	v_mul_f32_e32 v20, v19, v17
	v_mul_f32_e32 v17, v18, v17
	v_fma_f32 v18, v18, v16, -v20
	v_fmac_f32_e32 v17, v19, v16
	v_sub_f32_e32 v2, v2, v18
	v_sub_f32_e32 v3, v3, v17
.LBB146_211:
	s_or_b64 exec, exec, s[6:7]
	s_barrier
	s_and_saveexec_b64 s[6:7], s[48:49]
; %bb.212:
	v_xor_b32_e32 v16, 0x80000000, v2
	v_xor_b32_e32 v17, 0x80000000, v3
	ds_write_b64 v12, v[16:17]
; %bb.213:
	s_or_b64 exec, exec, s[6:7]
	s_waitcnt lgkmcnt(0)
	s_barrier
	s_barrier
	s_and_saveexec_b64 s[6:7], s[10:11]
; %bb.214:
	v_lshlrev_b32_e32 v16, 3, v10
	v_lshl_or_b32 v16, v11, 9, v16
	ds_write_b64 v16, v[2:3] offset:27008
; %bb.215:
	s_or_b64 exec, exec, s[6:7]
	s_waitcnt lgkmcnt(0)
	s_barrier
	s_barrier
	s_and_saveexec_b64 s[6:7], s[60:61]
	s_cbranch_execz .LBB146_217
; %bb.216:
	v_lshlrev_b32_e32 v16, 9, v0
	ds_read_b64 v[2:3], v16 offset:27008
	s_movk_i32 s14, 0xfe08
	v_mad_i32_i24 v17, v0, s14, v16
	s_waitcnt lgkmcnt(0)
	ds_write_b64 v17, v[2:3] offset:24992
	ds_read_b64 v[2:3], v16 offset:27016
	s_waitcnt lgkmcnt(0)
	ds_write_b64 v17, v[2:3] offset:25504
	ds_read_b64 v[2:3], v16 offset:27024
	;; [unrolled: 3-line block ×3, first 2 shown]
	s_waitcnt lgkmcnt(0)
	ds_write_b64 v17, v[2:3] offset:26528
.LBB146_217:
	s_or_b64 exec, exec, s[6:7]
	s_waitcnt lgkmcnt(0)
	s_barrier
	s_and_saveexec_b64 s[6:7], vcc
	s_cbranch_execz .LBB146_219
; %bb.218:
	v_mov_b32_e32 v18, 0
	ds_read_b64 v[2:3], v18 offset:26512
	s_mov_b64 s[14:15], 0x3f800000
	v_mov_b32_e32 v17, s15
	v_mov_b32_e32 v16, s14
	s_movk_i32 s14, 0x6000
	ds_write_b64 v18, v[16:17] offset:26520
	v_add_u32_e64 v18, s14, 0
	s_waitcnt lgkmcnt(1)
	ds_write2_b64 v18, v[16:17], v[2:3] offset0:178 offset1:179
.LBB146_219:
	s_or_b64 exec, exec, s[6:7]
	v_mov_b32_e32 v2, 0
	v_mov_b32_e32 v3, 0
	s_waitcnt lgkmcnt(0)
	s_barrier
	buffer_wbinvl1_vol
	s_and_saveexec_b64 s[6:7], s[22:23]
	s_cbranch_execz .LBB146_223
; %bb.220:
	v_lshlrev_b32_e32 v2, 3, v4
	v_lshlrev_b32_e32 v16, 9, v5
	ds_read_b64 v[2:3], v2 offset:25984
	ds_read_b64 v[16:17], v16 offset:26000
	v_cmp_gt_u32_e64 s[14:15], 2, v9
	s_waitcnt lgkmcnt(0)
	v_mul_f32_e32 v18, v17, v3
	v_mul_f32_e32 v3, v16, v3
	v_fma_f32 v16, v16, v2, -v18
	v_fmac_f32_e32 v3, v17, v2
	v_add_f32_e32 v2, 0, v16
	v_add_f32_e32 v3, 0, v3
	s_and_saveexec_b64 s[18:19], s[14:15]
	s_cbranch_execz .LBB146_222
; %bb.221:
	v_lshlrev_b32_e32 v16, 3, v0
	v_mov_b32_e32 v18, 0
	ds_read_b64 v[16:17], v16 offset:26496
	ds_read_b64 v[18:19], v18 offset:26520
	s_waitcnt lgkmcnt(0)
	v_mul_f32_e32 v20, v19, v17
	v_mul_f32_e32 v17, v18, v17
	v_fma_f32 v18, v18, v16, -v20
	v_fmac_f32_e32 v17, v19, v16
	v_add_f32_e32 v2, v2, v18
	v_add_f32_e32 v3, v3, v17
.LBB146_222:
	s_or_b64 exec, exec, s[18:19]
.LBB146_223:
	s_or_b64 exec, exec, s[6:7]
	s_and_saveexec_b64 s[6:7], s[44:45]
; %bb.224:
	v_xor_b32_e32 v17, 0x80000000, v3
	v_xor_b32_e32 v16, 0x80000000, v2
	ds_write_b64 v7, v[16:17]
; %bb.225:
	s_or_b64 exec, exec, s[6:7]
	s_waitcnt lgkmcnt(0)
	s_barrier
	s_and_saveexec_b64 s[6:7], s[42:43]
	s_cbranch_execz .LBB146_227
; %bb.226:
	v_mov_b32_e32 v16, 0
	ds_read_b64 v[16:17], v16 offset:25472
	ds_read_b64 v[18:19], v7
	s_waitcnt lgkmcnt(0)
	v_mul_f32_e32 v20, v18, v16
	v_mul_f32_e32 v18, v18, v17
	v_fmac_f32_e32 v18, v19, v16
	v_fma_f32 v16, v19, v17, -v20
	v_add_f32_e32 v2, v2, v16
	v_sub_f32_e32 v3, v3, v18
.LBB146_227:
	s_or_b64 exec, exec, s[6:7]
	s_barrier
	s_and_saveexec_b64 s[6:7], s[42:43]
; %bb.228:
	v_xor_b32_e32 v17, 0x80000000, v3
	v_xor_b32_e32 v16, 0x80000000, v2
	ds_write_b64 v7, v[16:17]
; %bb.229:
	s_or_b64 exec, exec, s[6:7]
	s_waitcnt lgkmcnt(0)
	s_barrier
	s_barrier
	s_and_saveexec_b64 s[6:7], s[22:23]
; %bb.230:
	v_lshlrev_b32_e32 v16, 3, v4
	v_lshl_or_b32 v16, v5, 9, v16
	ds_write_b64 v16, v[2:3] offset:25984
; %bb.231:
	s_or_b64 exec, exec, s[6:7]
	s_waitcnt lgkmcnt(0)
	s_barrier
	s_barrier
	s_and_saveexec_b64 s[6:7], s[46:47]
	s_cbranch_execz .LBB146_233
; %bb.232:
	v_lshlrev_b32_e32 v16, 3, v0
	s_movk_i32 s14, 0x1f8
	v_mad_u32_u24 v17, v0, s14, v16
	ds_read_b64 v[2:3], v17 offset:25984
	s_waitcnt lgkmcnt(0)
	ds_write_b64 v16, v[2:3] offset:24976
	ds_read_b64 v[2:3], v17 offset:25992
	s_waitcnt lgkmcnt(0)
	ds_write_b64 v16, v[2:3] offset:25488
.LBB146_233:
	s_or_b64 exec, exec, s[6:7]
	s_waitcnt lgkmcnt(0)
	s_barrier
	s_and_saveexec_b64 s[6:7], vcc
	s_cbranch_execz .LBB146_235
; %bb.234:
	v_mov_b32_e32 v18, 0
	ds_read_b64 v[2:3], v18 offset:25472
	s_mov_b64 s[14:15], 0x3f800000
	v_mov_b32_e32 v17, s15
	v_mov_b32_e32 v16, s14
	s_movk_i32 s14, 0x6000
	ds_write_b64 v18, v[16:17] offset:25480
	v_add_u32_e64 v18, s14, 0
	s_waitcnt lgkmcnt(1)
	ds_write2_b64 v18, v[16:17], v[2:3] offset0:48 offset1:49
.LBB146_235:
	s_or_b64 exec, exec, s[6:7]
	s_movk_i32 s6, 0xff
	v_lshrrev_b32_e32 v18, 4, v9
	v_cmp_lt_u32_e64 s[18:19], s6, v9
	s_movk_i32 s6, 0x100
	v_and_b32_e32 v16, 15, v0
	v_sub_u32_e32 v17, 15, v18
	v_cmp_gt_u32_e64 s[14:15], s6, v9
	v_mov_b32_e32 v3, 0
	v_mov_b32_e32 v2, 0
	s_waitcnt lgkmcnt(0)
	s_barrier
	buffer_wbinvl1_vol
	s_and_saveexec_b64 s[6:7], s[14:15]
	s_cbranch_execz .LBB146_263
; %bb.236:
	v_lshlrev_b32_e32 v19, 3, v16
	v_lshlrev_b32_e32 v20, 9, v17
	ds_read_b64 v[2:3], v19 offset:24832
	ds_read_b64 v[21:22], v20 offset:24960
	s_movk_i32 s20, 0xf0
	v_cmp_gt_u32_e64 s[20:21], s20, v9
	s_waitcnt lgkmcnt(0)
	v_mul_f32_e32 v23, v22, v3
	v_mul_f32_e32 v3, v21, v3
	v_fma_f32 v21, v21, v2, -v23
	v_fmac_f32_e32 v3, v22, v2
	v_add_f32_e32 v2, 0, v21
	v_add_f32_e32 v3, 0, v3
	s_and_saveexec_b64 s[24:25], s[20:21]
	s_cbranch_execz .LBB146_238
; %bb.237:
	ds_read_b64 v[21:22], v19 offset:25344
	ds_read_b64 v[23:24], v20 offset:24968
	s_waitcnt lgkmcnt(0)
	v_mul_f32_e32 v25, v24, v22
	v_mul_f32_e32 v22, v23, v22
	v_fma_f32 v23, v23, v21, -v25
	v_fmac_f32_e32 v22, v24, v21
	v_add_f32_e32 v2, v2, v23
	v_add_f32_e32 v3, v3, v22
.LBB146_238:
	s_or_b64 exec, exec, s[24:25]
	s_movk_i32 s20, 0xe0
	v_cmp_gt_u32_e64 s[20:21], s20, v9
	s_and_saveexec_b64 s[24:25], s[20:21]
	s_cbranch_execz .LBB146_240
; %bb.239:
	ds_read_b64 v[21:22], v19 offset:25856
	ds_read_b64 v[23:24], v20 offset:24976
	s_waitcnt lgkmcnt(0)
	v_mul_f32_e32 v25, v24, v22
	v_mul_f32_e32 v22, v23, v22
	v_fma_f32 v23, v23, v21, -v25
	v_fmac_f32_e32 v22, v24, v21
	v_add_f32_e32 v2, v2, v23
	v_add_f32_e32 v3, v3, v22
.LBB146_240:
	s_or_b64 exec, exec, s[24:25]
	s_movk_i32 s20, 0xd0
	v_cmp_gt_u32_e64 s[20:21], s20, v9
	;; [unrolled: 16-line block ×10, first 2 shown]
	s_and_saveexec_b64 s[24:25], s[20:21]
	s_cbranch_execnz .LBB146_1062
; %bb.257:
	s_or_b64 exec, exec, s[24:25]
	s_and_saveexec_b64 s[20:21], s[12:13]
	s_cbranch_execnz .LBB146_1063
.LBB146_258:
	s_or_b64 exec, exec, s[20:21]
	v_cmp_gt_u32_e64 s[20:21], 48, v9
	s_and_saveexec_b64 s[24:25], s[20:21]
	s_cbranch_execnz .LBB146_1064
.LBB146_259:
	s_or_b64 exec, exec, s[24:25]
	v_cmp_gt_u32_e64 s[20:21], 32, v9
	s_and_saveexec_b64 s[24:25], s[20:21]
	s_cbranch_execnz .LBB146_1065
.LBB146_260:
	s_or_b64 exec, exec, s[24:25]
	v_cmp_gt_u32_e64 s[20:21], 16, v9
	s_and_saveexec_b64 s[24:25], s[20:21]
	s_cbranch_execz .LBB146_262
.LBB146_261:
	v_lshlrev_b32_e32 v19, 3, v0
	v_mov_b32_e32 v21, 0
	ds_read_b64 v[19:20], v19 offset:32512
	ds_read_b64 v[21:22], v21 offset:32760
	s_waitcnt lgkmcnt(0)
	v_mul_f32_e32 v23, v22, v20
	v_mul_f32_e32 v20, v21, v20
	v_fma_f32 v21, v21, v19, -v23
	v_fmac_f32_e32 v20, v22, v19
	v_add_f32_e32 v2, v2, v21
	v_add_f32_e32 v3, v3, v20
.LBB146_262:
	s_or_b64 exec, exec, s[24:25]
.LBB146_263:
	s_or_b64 exec, exec, s[6:7]
	v_mov_b32_e32 v19, 0x8000
	v_lshl_add_u32 v18, v18, 3, v19
	v_cmp_eq_u32_e64 s[20:21], 15, v16
	s_xor_b64 s[24:25], s[18:19], -1
	s_and_b64 s[18:19], s[20:21], s[24:25]
	s_mov_b64 s[6:7], exec
	v_writelane_b32 v29, s18, 2
	v_writelane_b32 v29, s19, 3
	s_and_b64 s[18:19], s[6:7], s[18:19]
	s_mov_b64 exec, s[18:19]
; %bb.264:
	v_xor_b32_e32 v19, 0x80000000, v2
	v_xor_b32_e32 v20, 0x80000000, v3
	ds_write_b64 v18, v[19:20]
; %bb.265:
	s_or_b64 exec, exec, s[6:7]
	v_cmp_ne_u32_e64 s[18:19], 15, v16
	s_waitcnt lgkmcnt(0)
	s_barrier
	s_and_b64 s[18:19], s[18:19], s[24:25]
	s_mov_b64 s[6:7], exec
	v_writelane_b32 v29, s18, 4
	v_writelane_b32 v29, s19, 5
	s_and_b64 s[18:19], s[6:7], s[18:19]
	s_mov_b64 exec, s[18:19]
	s_cbranch_execz .LBB146_267
; %bb.266:
	v_lshlrev_b32_e32 v19, 3, v16
	ds_read_b64 v[19:20], v19 offset:24320
	ds_read_b64 v[21:22], v18
	s_waitcnt lgkmcnt(0)
	v_mul_f32_e32 v23, v22, v20
	v_mul_f32_e32 v20, v21, v20
	v_fma_f32 v21, v21, v19, -v23
	v_fmac_f32_e32 v20, v22, v19
	v_sub_f32_e32 v2, v2, v21
	v_sub_f32_e32 v3, v3, v20
.LBB146_267:
	s_or_b64 exec, exec, s[6:7]
	v_cmp_eq_u32_e64 s[18:19], 14, v16
	s_barrier
	s_and_b64 s[18:19], s[18:19], s[24:25]
	s_mov_b64 s[6:7], exec
	v_writelane_b32 v29, s18, 6
	v_writelane_b32 v29, s19, 7
	s_and_b64 s[18:19], s[6:7], s[18:19]
	s_mov_b64 exec, s[18:19]
; %bb.268:
	v_xor_b32_e32 v19, 0x80000000, v2
	v_xor_b32_e32 v20, 0x80000000, v3
	ds_write_b64 v18, v[19:20]
; %bb.269:
	s_or_b64 exec, exec, s[6:7]
	v_cmp_gt_u32_e64 s[18:19], 14, v16
	s_waitcnt lgkmcnt(0)
	s_barrier
	s_and_b64 s[18:19], s[18:19], s[24:25]
	s_mov_b64 s[6:7], exec
	v_writelane_b32 v29, s18, 8
	v_writelane_b32 v29, s19, 9
	s_and_b64 s[18:19], s[6:7], s[18:19]
	s_mov_b64 exec, s[18:19]
	s_cbranch_execz .LBB146_271
; %bb.270:
	v_lshlrev_b32_e32 v19, 3, v16
	ds_read_b64 v[19:20], v19 offset:23808
	ds_read_b64 v[21:22], v18
	s_waitcnt lgkmcnt(0)
	v_mul_f32_e32 v23, v22, v20
	v_mul_f32_e32 v20, v21, v20
	v_fma_f32 v21, v21, v19, -v23
	v_fmac_f32_e32 v20, v22, v19
	v_sub_f32_e32 v2, v2, v21
	v_sub_f32_e32 v3, v3, v20
.LBB146_271:
	s_or_b64 exec, exec, s[6:7]
	v_cmp_eq_u32_e64 s[18:19], 13, v16
	s_barrier
	s_and_b64 s[18:19], s[18:19], s[24:25]
	s_mov_b64 s[6:7], exec
	v_writelane_b32 v29, s18, 10
	v_writelane_b32 v29, s19, 11
	s_and_b64 s[18:19], s[6:7], s[18:19]
	s_mov_b64 exec, s[18:19]
; %bb.272:
	v_xor_b32_e32 v19, 0x80000000, v2
	v_xor_b32_e32 v20, 0x80000000, v3
	ds_write_b64 v18, v[19:20]
; %bb.273:
	s_or_b64 exec, exec, s[6:7]
	v_cmp_gt_u32_e64 s[18:19], 13, v16
	;; [unrolled: 37-line block ×13, first 2 shown]
	s_waitcnt lgkmcnt(0)
	s_barrier
	s_and_b64 s[18:19], s[18:19], s[24:25]
	s_mov_b64 s[6:7], exec
	v_writelane_b32 v29, s18, 56
	v_writelane_b32 v29, s19, 57
	s_and_b64 s[18:19], s[6:7], s[18:19]
	s_mov_b64 exec, s[18:19]
	s_cbranch_execz .LBB146_319
; %bb.318:
	v_lshlrev_b32_e32 v19, 3, v16
	ds_read_b64 v[19:20], v19 offset:17664
	ds_read_b64 v[21:22], v18
	s_waitcnt lgkmcnt(0)
	v_mul_f32_e32 v23, v22, v20
	v_mul_f32_e32 v20, v21, v20
	v_fma_f32 v21, v21, v19, -v23
	v_fmac_f32_e32 v20, v22, v19
	v_sub_f32_e32 v2, v2, v21
	v_sub_f32_e32 v3, v3, v20
.LBB146_319:
	s_or_b64 exec, exec, s[6:7]
	v_cmp_eq_u32_e64 s[18:19], 1, v16
	s_and_b64 s[6:7], s[18:19], s[24:25]
	s_barrier
	s_and_saveexec_b64 s[18:19], s[6:7]
; %bb.320:
	v_xor_b32_e32 v19, 0x80000000, v2
	v_xor_b32_e32 v20, 0x80000000, v3
	ds_write_b64 v18, v[19:20]
; %bb.321:
	s_or_b64 exec, exec, s[18:19]
	v_cmp_eq_u32_e64 s[18:19], 0, v16
	s_and_b64 s[98:99], s[18:19], s[24:25]
	s_waitcnt lgkmcnt(0)
	s_barrier
	s_and_saveexec_b64 s[18:19], s[98:99]
	s_cbranch_execz .LBB146_323
; %bb.322:
	v_mov_b32_e32 v19, 0
	ds_read_b64 v[19:20], v19 offset:17152
	ds_read_b64 v[21:22], v18
	s_waitcnt lgkmcnt(0)
	v_mul_f32_e32 v23, v22, v20
	v_mul_f32_e32 v20, v21, v20
	v_fma_f32 v21, v21, v19, -v23
	v_fmac_f32_e32 v20, v22, v19
	v_sub_f32_e32 v2, v2, v21
	v_sub_f32_e32 v3, v3, v20
.LBB146_323:
	s_or_b64 exec, exec, s[18:19]
	s_barrier
	s_and_saveexec_b64 s[18:19], s[98:99]
; %bb.324:
	v_xor_b32_e32 v19, 0x80000000, v2
	v_xor_b32_e32 v20, 0x80000000, v3
	ds_write_b64 v18, v[19:20]
; %bb.325:
	s_or_b64 exec, exec, s[18:19]
	s_waitcnt lgkmcnt(0)
	s_barrier
	s_barrier
	s_and_saveexec_b64 s[18:19], s[14:15]
; %bb.326:
	v_lshlrev_b32_e32 v19, 3, v16
	v_lshl_or_b32 v19, v17, 9, v19
	ds_write_b64 v19, v[2:3] offset:24832
; %bb.327:
	s_or_b64 exec, exec, s[18:19]
	v_cmp_gt_u32_e64 s[18:19], 16, v0
	s_waitcnt lgkmcnt(0)
	s_barrier
	s_barrier
	s_and_b64 s[20:21], s[16:17], s[18:19]
	s_mov_b64 s[18:19], exec
	v_writelane_b32 v29, s20, 58
	v_writelane_b32 v29, s21, 59
	s_and_b64 s[20:21], s[18:19], s[20:21]
	s_mov_b64 exec, s[20:21]
	s_cbranch_execz .LBB146_329
; %bb.328:
	v_lshlrev_b32_e32 v19, 9, v0
	ds_read_b64 v[2:3], v19 offset:24832
	s_movk_i32 s20, 0xfe08
	v_mad_i32_i24 v20, v0, s20, v19
	s_waitcnt lgkmcnt(0)
	ds_write_b64 v20, v[2:3] offset:16768
	ds_read_b64 v[2:3], v19 offset:24840
	s_waitcnt lgkmcnt(0)
	ds_write_b64 v20, v[2:3] offset:17280
	ds_read_b64 v[2:3], v19 offset:24848
	;; [unrolled: 3-line block ×15, first 2 shown]
	s_waitcnt lgkmcnt(0)
	ds_write_b64 v20, v[2:3] offset:24448
.LBB146_329:
	s_or_b64 exec, exec, s[18:19]
	s_waitcnt lgkmcnt(0)
	s_barrier
	s_and_saveexec_b64 s[18:19], vcc
	s_cbranch_execz .LBB146_331
; %bb.330:
	v_mov_b32_e32 v21, 0
	ds_read_b64 v[2:3], v21 offset:24432
	s_mov_b64 s[20:21], 0x3f800000
	v_mov_b32_e32 v19, s20
	v_mov_b32_e32 v20, s21
	s_movk_i32 s20, 0x5800
	ds_write_b64 v21, v[19:20] offset:24440
	v_add_u32_e64 v21, s20, 0
	s_waitcnt lgkmcnt(1)
	ds_write2_b64 v21, v[19:20], v[2:3] offset0:174 offset1:175
.LBB146_331:
	s_or_b64 exec, exec, s[18:19]
	v_mov_b32_e32 v2, 0
	v_mov_b32_e32 v3, 0
	s_waitcnt lgkmcnt(0)
	s_barrier
	buffer_wbinvl1_vol
	s_and_saveexec_b64 s[20:21], s[22:23]
	s_cbranch_execz .LBB146_335
; %bb.332:
	v_lshlrev_b32_e32 v2, 3, v4
	v_lshlrev_b32_e32 v19, 9, v5
	ds_read_b64 v[2:3], v2 offset:23904
	ds_read_b64 v[19:20], v19 offset:23920
	v_cmp_gt_u32_e64 s[18:19], 2, v9
	s_waitcnt lgkmcnt(0)
	v_mul_f32_e32 v21, v20, v3
	v_mul_f32_e32 v3, v19, v3
	v_fma_f32 v19, v19, v2, -v21
	v_fmac_f32_e32 v3, v20, v2
	v_add_f32_e32 v2, 0, v19
	v_add_f32_e32 v3, 0, v3
	s_and_saveexec_b64 s[24:25], s[18:19]
	s_cbranch_execz .LBB146_334
; %bb.333:
	v_lshlrev_b32_e32 v19, 3, v0
	v_mov_b32_e32 v21, 0
	ds_read_b64 v[19:20], v19 offset:24416
	ds_read_b64 v[21:22], v21 offset:24440
	s_waitcnt lgkmcnt(0)
	v_mul_f32_e32 v23, v22, v20
	v_mul_f32_e32 v20, v21, v20
	v_fma_f32 v21, v21, v19, -v23
	v_fmac_f32_e32 v20, v22, v19
	v_add_f32_e32 v2, v2, v21
	v_add_f32_e32 v3, v3, v20
.LBB146_334:
	s_or_b64 exec, exec, s[24:25]
.LBB146_335:
	s_or_b64 exec, exec, s[20:21]
	s_and_saveexec_b64 s[18:19], s[44:45]
; %bb.336:
	v_xor_b32_e32 v20, 0x80000000, v3
	v_xor_b32_e32 v19, 0x80000000, v2
	ds_write_b64 v7, v[19:20]
; %bb.337:
	s_or_b64 exec, exec, s[18:19]
	s_waitcnt lgkmcnt(0)
	s_barrier
	s_and_saveexec_b64 s[18:19], s[42:43]
	s_cbranch_execz .LBB146_339
; %bb.338:
	v_mov_b32_e32 v19, 0
	ds_read_b64 v[19:20], v19 offset:23392
	ds_read_b64 v[21:22], v7
	s_waitcnt lgkmcnt(0)
	v_mul_f32_e32 v23, v21, v19
	v_mul_f32_e32 v21, v21, v20
	v_fmac_f32_e32 v21, v22, v19
	v_fma_f32 v19, v22, v20, -v23
	v_add_f32_e32 v2, v2, v19
	v_sub_f32_e32 v3, v3, v21
.LBB146_339:
	s_or_b64 exec, exec, s[18:19]
	s_barrier
	s_and_saveexec_b64 s[18:19], s[42:43]
; %bb.340:
	v_xor_b32_e32 v20, 0x80000000, v3
	v_xor_b32_e32 v19, 0x80000000, v2
	ds_write_b64 v7, v[19:20]
; %bb.341:
	s_or_b64 exec, exec, s[18:19]
	s_waitcnt lgkmcnt(0)
	s_barrier
	s_barrier
	s_and_saveexec_b64 s[18:19], s[22:23]
; %bb.342:
	v_lshlrev_b32_e32 v19, 3, v4
	v_lshl_or_b32 v19, v5, 9, v19
	ds_write_b64 v19, v[2:3] offset:23904
; %bb.343:
	s_or_b64 exec, exec, s[18:19]
	s_waitcnt lgkmcnt(0)
	s_barrier
	s_barrier
	s_and_saveexec_b64 s[18:19], s[46:47]
	s_cbranch_execz .LBB146_345
; %bb.344:
	v_lshlrev_b32_e32 v19, 3, v0
	s_movk_i32 s20, 0x1f8
	v_mad_u32_u24 v20, v0, s20, v19
	ds_read_b64 v[2:3], v20 offset:23904
	s_waitcnt lgkmcnt(0)
	ds_write_b64 v19, v[2:3] offset:22896
	ds_read_b64 v[2:3], v20 offset:23912
	s_waitcnt lgkmcnt(0)
	ds_write_b64 v19, v[2:3] offset:23408
.LBB146_345:
	s_or_b64 exec, exec, s[18:19]
	s_waitcnt lgkmcnt(0)
	s_barrier
	s_and_saveexec_b64 s[18:19], vcc
	s_cbranch_execz .LBB146_347
; %bb.346:
	v_mov_b32_e32 v21, 0
	ds_read_b64 v[2:3], v21 offset:23392
	s_mov_b64 s[20:21], 0x3f800000
	v_mov_b32_e32 v19, s20
	v_mov_b32_e32 v20, s21
	s_movk_i32 s20, 0x5800
	ds_write_b64 v21, v[19:20] offset:23400
	v_add_u32_e64 v21, s20, 0
	s_waitcnt lgkmcnt(1)
	ds_write2_b64 v21, v[19:20], v[2:3] offset0:44 offset1:45
.LBB146_347:
	s_or_b64 exec, exec, s[18:19]
	v_mov_b32_e32 v3, 0
	v_mov_b32_e32 v2, 0
	s_waitcnt lgkmcnt(0)
	s_barrier
	buffer_wbinvl1_vol
	s_and_saveexec_b64 s[20:21], s[10:11]
	s_cbranch_execz .LBB146_353
; %bb.348:
	v_lshlrev_b32_e32 v19, 3, v10
	v_lshlrev_b32_e32 v20, 9, v11
	ds_read_b64 v[2:3], v19 offset:22848
	ds_read_b64 v[21:22], v20 offset:22880
	v_cmp_gt_u32_e64 s[18:19], 12, v9
	s_waitcnt lgkmcnt(0)
	v_mul_f32_e32 v23, v22, v3
	v_mul_f32_e32 v3, v21, v3
	v_fma_f32 v21, v21, v2, -v23
	v_fmac_f32_e32 v3, v22, v2
	v_add_f32_e32 v2, 0, v21
	v_add_f32_e32 v3, 0, v3
	s_and_saveexec_b64 s[24:25], s[18:19]
	s_cbranch_execnz .LBB146_1066
; %bb.349:
	s_or_b64 exec, exec, s[24:25]
	v_cmp_gt_u32_e64 s[18:19], 8, v9
	s_and_saveexec_b64 s[24:25], s[18:19]
	s_cbranch_execnz .LBB146_1067
.LBB146_350:
	s_or_b64 exec, exec, s[24:25]
	v_cmp_gt_u32_e64 s[18:19], 4, v9
	s_and_saveexec_b64 s[24:25], s[18:19]
	s_cbranch_execz .LBB146_352
.LBB146_351:
	v_lshlrev_b32_e32 v19, 3, v0
	v_mov_b32_e32 v21, 0
	ds_read_b64 v[19:20], v19 offset:24384
	ds_read_b64 v[21:22], v21 offset:24440
	s_waitcnt lgkmcnt(0)
	v_mul_f32_e32 v23, v22, v20
	v_mul_f32_e32 v20, v21, v20
	v_fma_f32 v21, v21, v19, -v23
	v_fmac_f32_e32 v20, v22, v19
	v_add_f32_e32 v2, v2, v21
	v_add_f32_e32 v3, v3, v20
.LBB146_352:
	s_or_b64 exec, exec, s[24:25]
.LBB146_353:
	s_or_b64 exec, exec, s[20:21]
	s_and_saveexec_b64 s[18:19], s[50:51]
; %bb.354:
	v_xor_b32_e32 v19, 0x80000000, v2
	v_xor_b32_e32 v20, 0x80000000, v3
	ds_write_b64 v12, v[19:20]
; %bb.355:
	s_or_b64 exec, exec, s[18:19]
	s_waitcnt lgkmcnt(0)
	s_barrier
	s_and_saveexec_b64 s[18:19], s[52:53]
	s_cbranch_execz .LBB146_357
; %bb.356:
	v_lshlrev_b32_e32 v19, 3, v10
	ds_read_b64 v[19:20], v19 offset:22336
	ds_read_b64 v[21:22], v12
	s_waitcnt lgkmcnt(0)
	v_mul_f32_e32 v23, v22, v20
	v_mul_f32_e32 v20, v21, v20
	v_fma_f32 v21, v21, v19, -v23
	v_fmac_f32_e32 v20, v22, v19
	v_sub_f32_e32 v2, v2, v21
	v_sub_f32_e32 v3, v3, v20
.LBB146_357:
	s_or_b64 exec, exec, s[18:19]
	s_barrier
	s_and_saveexec_b64 s[18:19], s[54:55]
; %bb.358:
	v_xor_b32_e32 v19, 0x80000000, v2
	v_xor_b32_e32 v20, 0x80000000, v3
	ds_write_b64 v12, v[19:20]
; %bb.359:
	s_or_b64 exec, exec, s[18:19]
	s_waitcnt lgkmcnt(0)
	s_barrier
	s_and_saveexec_b64 s[18:19], s[56:57]
	s_cbranch_execz .LBB146_361
; %bb.360:
	v_lshlrev_b32_e32 v19, 3, v10
	ds_read_b64 v[19:20], v19 offset:21824
	ds_read_b64 v[21:22], v12
	s_waitcnt lgkmcnt(0)
	v_mul_f32_e32 v23, v22, v20
	v_mul_f32_e32 v20, v21, v20
	v_fma_f32 v21, v21, v19, -v23
	v_fmac_f32_e32 v20, v22, v19
	v_sub_f32_e32 v2, v2, v21
	v_sub_f32_e32 v3, v3, v20
.LBB146_361:
	s_or_b64 exec, exec, s[18:19]
	s_barrier
	s_and_saveexec_b64 s[18:19], s[58:59]
; %bb.362:
	v_xor_b32_e32 v19, 0x80000000, v2
	v_xor_b32_e32 v20, 0x80000000, v3
	ds_write_b64 v12, v[19:20]
; %bb.363:
	s_or_b64 exec, exec, s[18:19]
	s_waitcnt lgkmcnt(0)
	s_barrier
	s_and_saveexec_b64 s[18:19], s[48:49]
	s_cbranch_execz .LBB146_365
; %bb.364:
	v_mov_b32_e32 v19, 0
	ds_read_b64 v[19:20], v19 offset:21312
	ds_read_b64 v[21:22], v12
	s_waitcnt lgkmcnt(0)
	v_mul_f32_e32 v23, v22, v20
	v_mul_f32_e32 v20, v21, v20
	v_fma_f32 v21, v21, v19, -v23
	v_fmac_f32_e32 v20, v22, v19
	v_sub_f32_e32 v2, v2, v21
	v_sub_f32_e32 v3, v3, v20
.LBB146_365:
	s_or_b64 exec, exec, s[18:19]
	s_barrier
	s_and_saveexec_b64 s[18:19], s[48:49]
; %bb.366:
	v_xor_b32_e32 v19, 0x80000000, v2
	v_xor_b32_e32 v20, 0x80000000, v3
	ds_write_b64 v12, v[19:20]
; %bb.367:
	s_or_b64 exec, exec, s[18:19]
	s_waitcnt lgkmcnt(0)
	s_barrier
	s_barrier
	s_and_saveexec_b64 s[18:19], s[10:11]
; %bb.368:
	v_lshlrev_b32_e32 v19, 3, v10
	v_lshl_or_b32 v19, v11, 9, v19
	ds_write_b64 v19, v[2:3] offset:22848
; %bb.369:
	s_or_b64 exec, exec, s[18:19]
	s_waitcnt lgkmcnt(0)
	s_barrier
	s_barrier
	s_and_saveexec_b64 s[18:19], s[60:61]
	s_cbranch_execz .LBB146_371
; %bb.370:
	v_lshlrev_b32_e32 v19, 9, v0
	ds_read_b64 v[2:3], v19 offset:22848
	s_movk_i32 s20, 0xfe08
	v_mad_i32_i24 v20, v0, s20, v19
	s_waitcnt lgkmcnt(0)
	ds_write_b64 v20, v[2:3] offset:20832
	ds_read_b64 v[2:3], v19 offset:22856
	s_waitcnt lgkmcnt(0)
	ds_write_b64 v20, v[2:3] offset:21344
	ds_read_b64 v[2:3], v19 offset:22864
	;; [unrolled: 3-line block ×3, first 2 shown]
	s_waitcnt lgkmcnt(0)
	ds_write_b64 v20, v[2:3] offset:22368
.LBB146_371:
	s_or_b64 exec, exec, s[18:19]
	s_waitcnt lgkmcnt(0)
	s_barrier
	s_and_saveexec_b64 s[18:19], vcc
	s_cbranch_execz .LBB146_373
; %bb.372:
	v_mov_b32_e32 v21, 0
	ds_read_b64 v[2:3], v21 offset:22352
	s_mov_b64 s[20:21], 0x3f800000
	v_mov_b32_e32 v19, s20
	v_mov_b32_e32 v20, s21
	s_movk_i32 s20, 0x5000
	ds_write_b64 v21, v[19:20] offset:22360
	v_add_u32_e64 v21, s20, 0
	s_waitcnt lgkmcnt(1)
	ds_write2_b64 v21, v[19:20], v[2:3] offset0:170 offset1:171
.LBB146_373:
	s_or_b64 exec, exec, s[18:19]
	v_mov_b32_e32 v2, 0
	v_mov_b32_e32 v3, 0
	s_waitcnt lgkmcnt(0)
	s_barrier
	buffer_wbinvl1_vol
	s_and_saveexec_b64 s[20:21], s[22:23]
	s_cbranch_execz .LBB146_377
; %bb.374:
	v_lshlrev_b32_e32 v2, 3, v4
	v_lshlrev_b32_e32 v19, 9, v5
	ds_read_b64 v[2:3], v2 offset:21824
	ds_read_b64 v[19:20], v19 offset:21840
	v_cmp_gt_u32_e64 s[18:19], 2, v9
	s_waitcnt lgkmcnt(0)
	v_mul_f32_e32 v21, v20, v3
	v_mul_f32_e32 v3, v19, v3
	v_fma_f32 v19, v19, v2, -v21
	v_fmac_f32_e32 v3, v20, v2
	v_add_f32_e32 v2, 0, v19
	v_add_f32_e32 v3, 0, v3
	s_and_saveexec_b64 s[24:25], s[18:19]
	s_cbranch_execz .LBB146_376
; %bb.375:
	v_lshlrev_b32_e32 v19, 3, v0
	v_mov_b32_e32 v21, 0
	ds_read_b64 v[19:20], v19 offset:22336
	ds_read_b64 v[21:22], v21 offset:22360
	s_waitcnt lgkmcnt(0)
	v_mul_f32_e32 v23, v22, v20
	v_mul_f32_e32 v20, v21, v20
	v_fma_f32 v21, v21, v19, -v23
	v_fmac_f32_e32 v20, v22, v19
	v_add_f32_e32 v2, v2, v21
	v_add_f32_e32 v3, v3, v20
.LBB146_376:
	s_or_b64 exec, exec, s[24:25]
.LBB146_377:
	s_or_b64 exec, exec, s[20:21]
	s_and_saveexec_b64 s[18:19], s[44:45]
; %bb.378:
	v_xor_b32_e32 v20, 0x80000000, v3
	v_xor_b32_e32 v19, 0x80000000, v2
	ds_write_b64 v7, v[19:20]
; %bb.379:
	s_or_b64 exec, exec, s[18:19]
	s_waitcnt lgkmcnt(0)
	s_barrier
	s_and_saveexec_b64 s[18:19], s[42:43]
	s_cbranch_execz .LBB146_381
; %bb.380:
	v_mov_b32_e32 v19, 0
	ds_read_b64 v[19:20], v19 offset:21312
	ds_read_b64 v[21:22], v7
	s_waitcnt lgkmcnt(0)
	v_mul_f32_e32 v23, v21, v19
	v_mul_f32_e32 v21, v21, v20
	v_fmac_f32_e32 v21, v22, v19
	v_fma_f32 v19, v22, v20, -v23
	v_add_f32_e32 v2, v2, v19
	v_sub_f32_e32 v3, v3, v21
.LBB146_381:
	s_or_b64 exec, exec, s[18:19]
	s_barrier
	s_and_saveexec_b64 s[18:19], s[42:43]
; %bb.382:
	v_xor_b32_e32 v20, 0x80000000, v3
	v_xor_b32_e32 v19, 0x80000000, v2
	ds_write_b64 v7, v[19:20]
; %bb.383:
	s_or_b64 exec, exec, s[18:19]
	s_waitcnt lgkmcnt(0)
	s_barrier
	s_barrier
	s_and_saveexec_b64 s[18:19], s[22:23]
; %bb.384:
	v_lshlrev_b32_e32 v19, 3, v4
	v_lshl_or_b32 v19, v5, 9, v19
	ds_write_b64 v19, v[2:3] offset:21824
; %bb.385:
	s_or_b64 exec, exec, s[18:19]
	s_waitcnt lgkmcnt(0)
	s_barrier
	s_barrier
	s_and_saveexec_b64 s[18:19], s[46:47]
	s_cbranch_execz .LBB146_387
; %bb.386:
	v_lshlrev_b32_e32 v19, 3, v0
	s_movk_i32 s20, 0x1f8
	v_mad_u32_u24 v20, v0, s20, v19
	ds_read_b64 v[2:3], v20 offset:21824
	s_waitcnt lgkmcnt(0)
	ds_write_b64 v19, v[2:3] offset:20816
	ds_read_b64 v[2:3], v20 offset:21832
	s_waitcnt lgkmcnt(0)
	ds_write_b64 v19, v[2:3] offset:21328
.LBB146_387:
	s_or_b64 exec, exec, s[18:19]
	s_waitcnt lgkmcnt(0)
	s_barrier
	s_and_saveexec_b64 s[18:19], vcc
	s_cbranch_execz .LBB146_389
; %bb.388:
	v_mov_b32_e32 v21, 0
	ds_read_b64 v[2:3], v21 offset:21312
	s_mov_b64 s[20:21], 0x3f800000
	v_mov_b32_e32 v19, s20
	v_mov_b32_e32 v20, s21
	s_movk_i32 s20, 0x5000
	ds_write_b64 v21, v[19:20] offset:21320
	v_add_u32_e64 v21, s20, 0
	s_waitcnt lgkmcnt(1)
	ds_write2_b64 v21, v[19:20], v[2:3] offset0:40 offset1:41
.LBB146_389:
	s_or_b64 exec, exec, s[18:19]
	v_mov_b32_e32 v3, 0
	v_mov_b32_e32 v2, 0
	s_waitcnt lgkmcnt(0)
	s_barrier
	buffer_wbinvl1_vol
	s_and_saveexec_b64 s[20:21], s[12:13]
	s_cbranch_execz .LBB146_399
; %bb.390:
	v_lshlrev_b32_e32 v19, 3, v13
	v_lshlrev_b32_e32 v20, 9, v14
	ds_read_b64 v[2:3], v19 offset:20736
	ds_read_b64 v[21:22], v20 offset:20800
	v_cmp_gt_u32_e64 s[18:19], 56, v9
	s_waitcnt lgkmcnt(0)
	v_mul_f32_e32 v23, v22, v3
	v_mul_f32_e32 v3, v21, v3
	v_fma_f32 v21, v21, v2, -v23
	v_fmac_f32_e32 v3, v22, v2
	v_add_f32_e32 v2, 0, v21
	v_add_f32_e32 v3, 0, v3
	s_and_saveexec_b64 s[24:25], s[18:19]
	s_cbranch_execnz .LBB146_1068
; %bb.391:
	s_or_b64 exec, exec, s[24:25]
	v_cmp_gt_u32_e64 s[18:19], 48, v9
	s_and_saveexec_b64 s[24:25], s[18:19]
	s_cbranch_execnz .LBB146_1069
.LBB146_392:
	s_or_b64 exec, exec, s[24:25]
	v_cmp_gt_u32_e64 s[18:19], 40, v9
	s_and_saveexec_b64 s[24:25], s[18:19]
	s_cbranch_execnz .LBB146_1070
.LBB146_393:
	s_or_b64 exec, exec, s[24:25]
	v_cmp_gt_u32_e64 s[18:19], 32, v9
	s_and_saveexec_b64 s[24:25], s[18:19]
	s_cbranch_execnz .LBB146_1071
.LBB146_394:
	s_or_b64 exec, exec, s[24:25]
	v_cmp_gt_u32_e64 s[18:19], 24, v9
	s_and_saveexec_b64 s[24:25], s[18:19]
	s_cbranch_execnz .LBB146_1072
.LBB146_395:
	s_or_b64 exec, exec, s[24:25]
	s_and_saveexec_b64 s[18:19], s[10:11]
	s_cbranch_execnz .LBB146_1073
.LBB146_396:
	s_or_b64 exec, exec, s[18:19]
	v_cmp_gt_u32_e64 s[18:19], 8, v9
	s_and_saveexec_b64 s[24:25], s[18:19]
	s_cbranch_execz .LBB146_398
.LBB146_397:
	v_lshlrev_b32_e32 v19, 3, v0
	v_mov_b32_e32 v21, 0
	ds_read_b64 v[19:20], v19 offset:24320
	ds_read_b64 v[21:22], v21 offset:24440
	s_waitcnt lgkmcnt(0)
	v_mul_f32_e32 v23, v22, v20
	v_mul_f32_e32 v20, v21, v20
	v_fma_f32 v21, v21, v19, -v23
	v_fmac_f32_e32 v20, v22, v19
	v_add_f32_e32 v2, v2, v21
	v_add_f32_e32 v3, v3, v20
.LBB146_398:
	s_or_b64 exec, exec, s[24:25]
.LBB146_399:
	s_or_b64 exec, exec, s[20:21]
	s_and_saveexec_b64 s[18:19], s[64:65]
; %bb.400:
	v_xor_b32_e32 v20, 0x80000000, v3
	v_xor_b32_e32 v19, 0x80000000, v2
	ds_write_b64 v15, v[19:20]
; %bb.401:
	s_or_b64 exec, exec, s[18:19]
	s_waitcnt lgkmcnt(0)
	s_barrier
	s_and_saveexec_b64 s[18:19], s[66:67]
	s_cbranch_execz .LBB146_403
; %bb.402:
	v_lshlrev_b32_e32 v19, 3, v13
	ds_read_b64 v[19:20], v19 offset:20224
	ds_read_b64 v[21:22], v15
	s_waitcnt lgkmcnt(0)
	v_mul_f32_e32 v23, v22, v20
	v_mul_f32_e32 v20, v21, v20
	v_fma_f32 v21, v21, v19, -v23
	v_fmac_f32_e32 v20, v22, v19
	v_sub_f32_e32 v2, v2, v21
	v_sub_f32_e32 v3, v3, v20
.LBB146_403:
	s_or_b64 exec, exec, s[18:19]
	s_barrier
	s_and_saveexec_b64 s[18:19], s[68:69]
; %bb.404:
	v_xor_b32_e32 v20, 0x80000000, v3
	v_xor_b32_e32 v19, 0x80000000, v2
	ds_write_b64 v15, v[19:20]
; %bb.405:
	s_or_b64 exec, exec, s[18:19]
	s_waitcnt lgkmcnt(0)
	s_barrier
	s_and_saveexec_b64 s[18:19], s[70:71]
	s_cbranch_execz .LBB146_407
; %bb.406:
	v_lshlrev_b32_e32 v19, 3, v13
	ds_read_b64 v[19:20], v19 offset:19712
	ds_read_b64 v[21:22], v15
	s_waitcnt lgkmcnt(0)
	v_mul_f32_e32 v23, v22, v20
	v_mul_f32_e32 v20, v21, v20
	v_fma_f32 v21, v21, v19, -v23
	v_fmac_f32_e32 v20, v22, v19
	v_sub_f32_e32 v2, v2, v21
	v_sub_f32_e32 v3, v3, v20
.LBB146_407:
	s_or_b64 exec, exec, s[18:19]
	s_barrier
	;; [unrolled: 25-line block ×6, first 2 shown]
	s_and_saveexec_b64 s[18:19], s[88:89]
; %bb.424:
	v_xor_b32_e32 v20, 0x80000000, v3
	v_xor_b32_e32 v19, 0x80000000, v2
	ds_write_b64 v15, v[19:20]
; %bb.425:
	s_or_b64 exec, exec, s[18:19]
	s_waitcnt lgkmcnt(0)
	s_barrier
	s_and_saveexec_b64 s[18:19], s[62:63]
	s_cbranch_execz .LBB146_427
; %bb.426:
	v_mov_b32_e32 v19, 0
	ds_read_b64 v[19:20], v19 offset:17152
	ds_read_b64 v[21:22], v15
	s_waitcnt lgkmcnt(0)
	v_mul_f32_e32 v23, v22, v20
	v_mul_f32_e32 v20, v21, v20
	v_fma_f32 v21, v21, v19, -v23
	v_fmac_f32_e32 v20, v22, v19
	v_sub_f32_e32 v2, v2, v21
	v_sub_f32_e32 v3, v3, v20
.LBB146_427:
	s_or_b64 exec, exec, s[18:19]
	s_barrier
	s_and_saveexec_b64 s[18:19], s[62:63]
; %bb.428:
	v_xor_b32_e32 v20, 0x80000000, v3
	v_xor_b32_e32 v19, 0x80000000, v2
	ds_write_b64 v15, v[19:20]
; %bb.429:
	s_or_b64 exec, exec, s[18:19]
	s_waitcnt lgkmcnt(0)
	s_barrier
	s_barrier
	s_and_saveexec_b64 s[18:19], s[12:13]
; %bb.430:
	v_lshlrev_b32_e32 v19, 3, v13
	v_lshl_or_b32 v19, v14, 9, v19
	ds_write_b64 v19, v[2:3] offset:20736
; %bb.431:
	s_or_b64 exec, exec, s[18:19]
	s_waitcnt lgkmcnt(0)
	s_barrier
	s_barrier
	s_and_saveexec_b64 s[18:19], s[90:91]
	s_cbranch_execz .LBB146_433
; %bb.432:
	v_lshlrev_b32_e32 v19, 9, v0
	ds_read_b64 v[2:3], v19 offset:20736
	s_movk_i32 s20, 0xfe08
	v_mad_i32_i24 v20, v0, s20, v19
	s_waitcnt lgkmcnt(0)
	ds_write_b64 v20, v[2:3] offset:16704
	ds_read_b64 v[2:3], v19 offset:20744
	s_waitcnt lgkmcnt(0)
	ds_write_b64 v20, v[2:3] offset:17216
	ds_read_b64 v[2:3], v19 offset:20752
	;; [unrolled: 3-line block ×7, first 2 shown]
	s_waitcnt lgkmcnt(0)
	ds_write_b64 v20, v[2:3] offset:20288
.LBB146_433:
	s_or_b64 exec, exec, s[18:19]
	s_waitcnt lgkmcnt(0)
	s_barrier
	s_and_saveexec_b64 s[18:19], vcc
	s_cbranch_execz .LBB146_435
; %bb.434:
	v_mov_b32_e32 v21, 0
	ds_read_b64 v[2:3], v21 offset:20272
	s_mov_b64 s[20:21], 0x3f800000
	v_mov_b32_e32 v19, s20
	v_mov_b32_e32 v20, s21
	s_movk_i32 s20, 0x4800
	ds_write_b64 v21, v[19:20] offset:20280
	v_add_u32_e64 v21, s20, 0
	s_waitcnt lgkmcnt(1)
	ds_write2_b64 v21, v[19:20], v[2:3] offset0:166 offset1:167
.LBB146_435:
	s_or_b64 exec, exec, s[18:19]
	v_mov_b32_e32 v2, 0
	v_mov_b32_e32 v3, 0
	s_waitcnt lgkmcnt(0)
	s_barrier
	buffer_wbinvl1_vol
	s_and_saveexec_b64 s[20:21], s[22:23]
	s_cbranch_execz .LBB146_439
; %bb.436:
	v_lshlrev_b32_e32 v2, 3, v4
	v_lshlrev_b32_e32 v19, 9, v5
	ds_read_b64 v[2:3], v2 offset:19744
	ds_read_b64 v[19:20], v19 offset:19760
	v_cmp_gt_u32_e64 s[18:19], 2, v9
	s_waitcnt lgkmcnt(0)
	v_mul_f32_e32 v21, v20, v3
	v_mul_f32_e32 v3, v19, v3
	v_fma_f32 v19, v19, v2, -v21
	v_fmac_f32_e32 v3, v20, v2
	v_add_f32_e32 v2, 0, v19
	v_add_f32_e32 v3, 0, v3
	s_and_saveexec_b64 s[24:25], s[18:19]
	s_cbranch_execz .LBB146_438
; %bb.437:
	v_lshlrev_b32_e32 v19, 3, v0
	v_mov_b32_e32 v21, 0
	ds_read_b64 v[19:20], v19 offset:20256
	ds_read_b64 v[21:22], v21 offset:20280
	s_waitcnt lgkmcnt(0)
	v_mul_f32_e32 v23, v22, v20
	v_mul_f32_e32 v20, v21, v20
	v_fma_f32 v21, v21, v19, -v23
	v_fmac_f32_e32 v20, v22, v19
	v_add_f32_e32 v2, v2, v21
	v_add_f32_e32 v3, v3, v20
.LBB146_438:
	s_or_b64 exec, exec, s[24:25]
.LBB146_439:
	s_or_b64 exec, exec, s[20:21]
	s_and_saveexec_b64 s[18:19], s[44:45]
; %bb.440:
	v_xor_b32_e32 v20, 0x80000000, v3
	v_xor_b32_e32 v19, 0x80000000, v2
	ds_write_b64 v7, v[19:20]
; %bb.441:
	s_or_b64 exec, exec, s[18:19]
	s_waitcnt lgkmcnt(0)
	s_barrier
	s_and_saveexec_b64 s[18:19], s[42:43]
	s_cbranch_execz .LBB146_443
; %bb.442:
	v_mov_b32_e32 v19, 0
	ds_read_b64 v[19:20], v19 offset:19232
	ds_read_b64 v[21:22], v7
	s_waitcnt lgkmcnt(0)
	v_mul_f32_e32 v23, v21, v19
	v_mul_f32_e32 v21, v21, v20
	v_fmac_f32_e32 v21, v22, v19
	v_fma_f32 v19, v22, v20, -v23
	v_add_f32_e32 v2, v2, v19
	v_sub_f32_e32 v3, v3, v21
.LBB146_443:
	s_or_b64 exec, exec, s[18:19]
	s_barrier
	s_and_saveexec_b64 s[18:19], s[42:43]
; %bb.444:
	v_xor_b32_e32 v20, 0x80000000, v3
	v_xor_b32_e32 v19, 0x80000000, v2
	ds_write_b64 v7, v[19:20]
; %bb.445:
	s_or_b64 exec, exec, s[18:19]
	s_waitcnt lgkmcnt(0)
	s_barrier
	s_barrier
	s_and_saveexec_b64 s[18:19], s[22:23]
; %bb.446:
	v_lshlrev_b32_e32 v19, 3, v4
	v_lshl_or_b32 v19, v5, 9, v19
	ds_write_b64 v19, v[2:3] offset:19744
; %bb.447:
	s_or_b64 exec, exec, s[18:19]
	s_waitcnt lgkmcnt(0)
	s_barrier
	s_barrier
	s_and_saveexec_b64 s[18:19], s[46:47]
	s_cbranch_execz .LBB146_449
; %bb.448:
	v_lshlrev_b32_e32 v19, 3, v0
	s_movk_i32 s20, 0x1f8
	v_mad_u32_u24 v20, v0, s20, v19
	ds_read_b64 v[2:3], v20 offset:19744
	s_waitcnt lgkmcnt(0)
	ds_write_b64 v19, v[2:3] offset:18736
	ds_read_b64 v[2:3], v20 offset:19752
	s_waitcnt lgkmcnt(0)
	ds_write_b64 v19, v[2:3] offset:19248
.LBB146_449:
	s_or_b64 exec, exec, s[18:19]
	s_waitcnt lgkmcnt(0)
	s_barrier
	s_and_saveexec_b64 s[18:19], vcc
	s_cbranch_execz .LBB146_451
; %bb.450:
	v_mov_b32_e32 v21, 0
	ds_read_b64 v[2:3], v21 offset:19232
	s_mov_b64 s[20:21], 0x3f800000
	v_mov_b32_e32 v19, s20
	v_mov_b32_e32 v20, s21
	s_movk_i32 s20, 0x4800
	ds_write_b64 v21, v[19:20] offset:19240
	v_add_u32_e64 v21, s20, 0
	s_waitcnt lgkmcnt(1)
	ds_write2_b64 v21, v[19:20], v[2:3] offset0:36 offset1:37
.LBB146_451:
	s_or_b64 exec, exec, s[18:19]
	v_mov_b32_e32 v3, 0
	v_mov_b32_e32 v2, 0
	s_waitcnt lgkmcnt(0)
	s_barrier
	buffer_wbinvl1_vol
	s_and_saveexec_b64 s[20:21], s[10:11]
	s_cbranch_execz .LBB146_457
; %bb.452:
	v_lshlrev_b32_e32 v19, 3, v10
	v_lshlrev_b32_e32 v20, 9, v11
	ds_read_b64 v[2:3], v19 offset:18688
	ds_read_b64 v[21:22], v20 offset:18720
	v_cmp_gt_u32_e64 s[18:19], 12, v9
	s_waitcnt lgkmcnt(0)
	v_mul_f32_e32 v23, v22, v3
	v_mul_f32_e32 v3, v21, v3
	v_fma_f32 v21, v21, v2, -v23
	v_fmac_f32_e32 v3, v22, v2
	v_add_f32_e32 v2, 0, v21
	v_add_f32_e32 v3, 0, v3
	s_and_saveexec_b64 s[24:25], s[18:19]
	s_cbranch_execnz .LBB146_1074
; %bb.453:
	s_or_b64 exec, exec, s[24:25]
	v_cmp_gt_u32_e64 s[18:19], 8, v9
	s_and_saveexec_b64 s[24:25], s[18:19]
	s_cbranch_execnz .LBB146_1075
.LBB146_454:
	s_or_b64 exec, exec, s[24:25]
	v_cmp_gt_u32_e64 s[18:19], 4, v9
	s_and_saveexec_b64 s[24:25], s[18:19]
	s_cbranch_execz .LBB146_456
.LBB146_455:
	v_lshlrev_b32_e32 v19, 3, v0
	v_mov_b32_e32 v21, 0
	ds_read_b64 v[19:20], v19 offset:20224
	ds_read_b64 v[21:22], v21 offset:20280
	s_waitcnt lgkmcnt(0)
	v_mul_f32_e32 v23, v22, v20
	v_mul_f32_e32 v20, v21, v20
	v_fma_f32 v21, v21, v19, -v23
	v_fmac_f32_e32 v20, v22, v19
	v_add_f32_e32 v2, v2, v21
	v_add_f32_e32 v3, v3, v20
.LBB146_456:
	s_or_b64 exec, exec, s[24:25]
.LBB146_457:
	s_or_b64 exec, exec, s[20:21]
	s_and_saveexec_b64 s[18:19], s[50:51]
; %bb.458:
	v_xor_b32_e32 v19, 0x80000000, v2
	v_xor_b32_e32 v20, 0x80000000, v3
	ds_write_b64 v12, v[19:20]
; %bb.459:
	s_or_b64 exec, exec, s[18:19]
	s_waitcnt lgkmcnt(0)
	s_barrier
	s_and_saveexec_b64 s[18:19], s[52:53]
	s_cbranch_execz .LBB146_461
; %bb.460:
	v_lshlrev_b32_e32 v19, 3, v10
	ds_read_b64 v[19:20], v19 offset:18176
	ds_read_b64 v[21:22], v12
	s_waitcnt lgkmcnt(0)
	v_mul_f32_e32 v23, v22, v20
	v_mul_f32_e32 v20, v21, v20
	v_fma_f32 v21, v21, v19, -v23
	v_fmac_f32_e32 v20, v22, v19
	v_sub_f32_e32 v2, v2, v21
	v_sub_f32_e32 v3, v3, v20
.LBB146_461:
	s_or_b64 exec, exec, s[18:19]
	s_barrier
	s_and_saveexec_b64 s[18:19], s[54:55]
; %bb.462:
	v_xor_b32_e32 v19, 0x80000000, v2
	v_xor_b32_e32 v20, 0x80000000, v3
	ds_write_b64 v12, v[19:20]
; %bb.463:
	s_or_b64 exec, exec, s[18:19]
	s_waitcnt lgkmcnt(0)
	s_barrier
	s_and_saveexec_b64 s[18:19], s[56:57]
	s_cbranch_execz .LBB146_465
; %bb.464:
	v_lshlrev_b32_e32 v19, 3, v10
	ds_read_b64 v[19:20], v19 offset:17664
	ds_read_b64 v[21:22], v12
	s_waitcnt lgkmcnt(0)
	v_mul_f32_e32 v23, v22, v20
	v_mul_f32_e32 v20, v21, v20
	v_fma_f32 v21, v21, v19, -v23
	v_fmac_f32_e32 v20, v22, v19
	v_sub_f32_e32 v2, v2, v21
	v_sub_f32_e32 v3, v3, v20
.LBB146_465:
	s_or_b64 exec, exec, s[18:19]
	s_barrier
	s_and_saveexec_b64 s[18:19], s[58:59]
; %bb.466:
	v_xor_b32_e32 v19, 0x80000000, v2
	v_xor_b32_e32 v20, 0x80000000, v3
	ds_write_b64 v12, v[19:20]
; %bb.467:
	s_or_b64 exec, exec, s[18:19]
	s_waitcnt lgkmcnt(0)
	s_barrier
	s_and_saveexec_b64 s[18:19], s[48:49]
	s_cbranch_execz .LBB146_469
; %bb.468:
	v_mov_b32_e32 v19, 0
	ds_read_b64 v[19:20], v19 offset:17152
	ds_read_b64 v[21:22], v12
	s_waitcnt lgkmcnt(0)
	v_mul_f32_e32 v23, v22, v20
	v_mul_f32_e32 v20, v21, v20
	v_fma_f32 v21, v21, v19, -v23
	v_fmac_f32_e32 v20, v22, v19
	v_sub_f32_e32 v2, v2, v21
	v_sub_f32_e32 v3, v3, v20
.LBB146_469:
	s_or_b64 exec, exec, s[18:19]
	s_barrier
	s_and_saveexec_b64 s[18:19], s[48:49]
; %bb.470:
	v_xor_b32_e32 v19, 0x80000000, v2
	v_xor_b32_e32 v20, 0x80000000, v3
	ds_write_b64 v12, v[19:20]
; %bb.471:
	s_or_b64 exec, exec, s[18:19]
	s_waitcnt lgkmcnt(0)
	s_barrier
	s_barrier
	s_and_saveexec_b64 s[18:19], s[10:11]
; %bb.472:
	v_lshlrev_b32_e32 v19, 3, v10
	v_lshl_or_b32 v19, v11, 9, v19
	ds_write_b64 v19, v[2:3] offset:18688
; %bb.473:
	s_or_b64 exec, exec, s[18:19]
	s_waitcnt lgkmcnt(0)
	s_barrier
	s_barrier
	s_and_saveexec_b64 s[18:19], s[60:61]
	s_cbranch_execz .LBB146_475
; %bb.474:
	v_lshlrev_b32_e32 v19, 9, v0
	ds_read_b64 v[2:3], v19 offset:18688
	s_movk_i32 s20, 0xfe08
	v_mad_i32_i24 v20, v0, s20, v19
	s_waitcnt lgkmcnt(0)
	ds_write_b64 v20, v[2:3] offset:16672
	ds_read_b64 v[2:3], v19 offset:18696
	s_waitcnt lgkmcnt(0)
	ds_write_b64 v20, v[2:3] offset:17184
	ds_read_b64 v[2:3], v19 offset:18704
	;; [unrolled: 3-line block ×3, first 2 shown]
	s_waitcnt lgkmcnt(0)
	ds_write_b64 v20, v[2:3] offset:18208
.LBB146_475:
	s_or_b64 exec, exec, s[18:19]
	s_waitcnt lgkmcnt(0)
	s_barrier
	s_and_saveexec_b64 s[18:19], vcc
	s_cbranch_execz .LBB146_477
; %bb.476:
	v_mov_b32_e32 v21, 0
	ds_read_b64 v[2:3], v21 offset:18192
	s_mov_b64 s[20:21], 0x3f800000
	v_mov_b32_e32 v19, s20
	v_mov_b32_e32 v20, s21
	s_movk_i32 s20, 0x4000
	ds_write_b64 v21, v[19:20] offset:18200
	v_add_u32_e64 v21, s20, 0
	s_waitcnt lgkmcnt(1)
	ds_write2_b64 v21, v[19:20], v[2:3] offset0:162 offset1:163
.LBB146_477:
	s_or_b64 exec, exec, s[18:19]
	v_mov_b32_e32 v2, 0
	v_mov_b32_e32 v3, 0
	s_waitcnt lgkmcnt(0)
	s_barrier
	buffer_wbinvl1_vol
	s_and_saveexec_b64 s[20:21], s[22:23]
	s_cbranch_execz .LBB146_481
; %bb.478:
	v_lshlrev_b32_e32 v2, 3, v4
	v_lshlrev_b32_e32 v19, 9, v5
	ds_read_b64 v[2:3], v2 offset:17664
	ds_read_b64 v[19:20], v19 offset:17680
	v_cmp_gt_u32_e64 s[18:19], 2, v9
	s_waitcnt lgkmcnt(0)
	v_mul_f32_e32 v21, v20, v3
	v_mul_f32_e32 v3, v19, v3
	v_fma_f32 v19, v19, v2, -v21
	v_fmac_f32_e32 v3, v20, v2
	v_add_f32_e32 v2, 0, v19
	v_add_f32_e32 v3, 0, v3
	s_and_saveexec_b64 s[24:25], s[18:19]
	s_cbranch_execz .LBB146_480
; %bb.479:
	v_lshlrev_b32_e32 v19, 3, v0
	v_mov_b32_e32 v21, 0
	ds_read_b64 v[19:20], v19 offset:18176
	ds_read_b64 v[21:22], v21 offset:18200
	s_waitcnt lgkmcnt(0)
	v_mul_f32_e32 v23, v22, v20
	v_mul_f32_e32 v20, v21, v20
	v_fma_f32 v21, v21, v19, -v23
	v_fmac_f32_e32 v20, v22, v19
	v_add_f32_e32 v2, v2, v21
	v_add_f32_e32 v3, v3, v20
.LBB146_480:
	s_or_b64 exec, exec, s[24:25]
.LBB146_481:
	s_or_b64 exec, exec, s[20:21]
	s_and_saveexec_b64 s[18:19], s[44:45]
; %bb.482:
	v_xor_b32_e32 v20, 0x80000000, v3
	v_xor_b32_e32 v19, 0x80000000, v2
	ds_write_b64 v7, v[19:20]
; %bb.483:
	s_or_b64 exec, exec, s[18:19]
	s_waitcnt lgkmcnt(0)
	s_barrier
	s_and_saveexec_b64 s[18:19], s[42:43]
	s_cbranch_execz .LBB146_485
; %bb.484:
	v_mov_b32_e32 v19, 0
	ds_read_b64 v[19:20], v19 offset:17152
	ds_read_b64 v[21:22], v7
	s_waitcnt lgkmcnt(0)
	v_mul_f32_e32 v23, v21, v19
	v_mul_f32_e32 v21, v21, v20
	v_fmac_f32_e32 v21, v22, v19
	v_fma_f32 v19, v22, v20, -v23
	v_add_f32_e32 v2, v2, v19
	v_sub_f32_e32 v3, v3, v21
.LBB146_485:
	s_or_b64 exec, exec, s[18:19]
	s_barrier
	s_and_saveexec_b64 s[18:19], s[42:43]
; %bb.486:
	v_xor_b32_e32 v20, 0x80000000, v3
	v_xor_b32_e32 v19, 0x80000000, v2
	ds_write_b64 v7, v[19:20]
; %bb.487:
	s_or_b64 exec, exec, s[18:19]
	s_waitcnt lgkmcnt(0)
	s_barrier
	s_barrier
	s_and_saveexec_b64 s[18:19], s[22:23]
; %bb.488:
	v_lshlrev_b32_e32 v19, 3, v4
	v_lshl_or_b32 v19, v5, 9, v19
	ds_write_b64 v19, v[2:3] offset:17664
; %bb.489:
	s_or_b64 exec, exec, s[18:19]
	s_waitcnt lgkmcnt(0)
	s_barrier
	s_barrier
	s_and_saveexec_b64 s[18:19], s[46:47]
	s_cbranch_execz .LBB146_491
; %bb.490:
	v_lshlrev_b32_e32 v19, 3, v0
	s_movk_i32 s20, 0x1f8
	v_mad_u32_u24 v20, v0, s20, v19
	ds_read_b64 v[2:3], v20 offset:17664
	s_waitcnt lgkmcnt(0)
	ds_write_b64 v19, v[2:3] offset:16656
	ds_read_b64 v[2:3], v20 offset:17672
	s_waitcnt lgkmcnt(0)
	ds_write_b64 v19, v[2:3] offset:17168
.LBB146_491:
	s_or_b64 exec, exec, s[18:19]
	s_waitcnt lgkmcnt(0)
	s_barrier
	s_and_saveexec_b64 s[18:19], vcc
	s_cbranch_execz .LBB146_493
; %bb.492:
	v_mov_b32_e32 v21, 0
	ds_read_b64 v[2:3], v21 offset:17152
	s_mov_b64 s[20:21], 0x3f800000
	v_mov_b32_e32 v19, s20
	v_mov_b32_e32 v20, s21
	s_movk_i32 s20, 0x4000
	ds_write_b64 v21, v[19:20] offset:17160
	v_add_u32_e64 v21, s20, 0
	s_waitcnt lgkmcnt(1)
	ds_write2_b64 v21, v[19:20], v[2:3] offset0:32 offset1:33
.LBB146_493:
	s_or_b64 exec, exec, s[18:19]
	s_movk_i32 s18, 0x3ff
	v_lshrrev_b32_e32 v21, 5, v9
	v_cmp_lt_u32_e64 s[20:21], s18, v9
	s_movk_i32 s18, 0x400
	v_and_b32_e32 v19, 31, v0
	v_sub_u32_e32 v20, 31, v21
	v_cmp_gt_u32_e64 s[18:19], s18, v9
	v_mov_b32_e32 v3, 0
	v_mov_b32_e32 v2, 0
	s_waitcnt lgkmcnt(0)
	s_barrier
	buffer_wbinvl1_vol
	s_and_saveexec_b64 s[92:93], s[18:19]
	s_cbranch_execz .LBB146_555
; %bb.494:
	v_lshlrev_b32_e32 v22, 3, v19
	v_lshlrev_b32_e32 v23, 9, v20
	ds_read_b64 v[2:3], v22 offset:16384
	ds_read_b64 v[24:25], v23 offset:16640
	s_movk_i32 s24, 0x3e0
	v_cmp_gt_u32_e64 s[24:25], s24, v9
	s_waitcnt lgkmcnt(0)
	v_mul_f32_e32 v26, v25, v3
	v_mul_f32_e32 v3, v24, v3
	v_fma_f32 v24, v24, v2, -v26
	v_fmac_f32_e32 v3, v25, v2
	v_add_f32_e32 v2, 0, v24
	v_add_f32_e32 v3, 0, v3
	s_and_saveexec_b64 s[96:97], s[24:25]
	s_cbranch_execz .LBB146_496
; %bb.495:
	ds_read_b64 v[24:25], v22 offset:16896
	ds_read_b64 v[26:27], v23 offset:16648
	s_waitcnt lgkmcnt(0)
	v_mul_f32_e32 v28, v27, v25
	v_mul_f32_e32 v25, v26, v25
	v_fma_f32 v26, v26, v24, -v28
	v_fmac_f32_e32 v25, v27, v24
	v_add_f32_e32 v2, v2, v26
	v_add_f32_e32 v3, v3, v25
.LBB146_496:
	s_or_b64 exec, exec, s[96:97]
	s_movk_i32 s24, 0x3c0
	v_cmp_gt_u32_e64 s[24:25], s24, v9
	s_and_saveexec_b64 s[96:97], s[24:25]
	s_cbranch_execz .LBB146_498
; %bb.497:
	ds_read_b64 v[24:25], v22 offset:17408
	ds_read_b64 v[26:27], v23 offset:16656
	s_waitcnt lgkmcnt(0)
	v_mul_f32_e32 v28, v27, v25
	v_mul_f32_e32 v25, v26, v25
	v_fma_f32 v26, v26, v24, -v28
	v_fmac_f32_e32 v25, v27, v24
	v_add_f32_e32 v2, v2, v26
	v_add_f32_e32 v3, v3, v25
.LBB146_498:
	s_or_b64 exec, exec, s[96:97]
	s_movk_i32 s24, 0x3a0
	v_cmp_gt_u32_e64 s[24:25], s24, v9
	;; [unrolled: 16-line block ×22, first 2 shown]
	s_and_saveexec_b64 s[96:97], s[24:25]
	s_cbranch_execz .LBB146_540
; %bb.539:
	ds_read_b64 v[24:25], v22 offset:28160
	ds_read_b64 v[26:27], v23 offset:16824
	s_waitcnt lgkmcnt(0)
	v_mul_f32_e32 v28, v27, v25
	v_mul_f32_e32 v25, v26, v25
	v_fma_f32 v26, v26, v24, -v28
	v_fmac_f32_e32 v25, v27, v24
	v_add_f32_e32 v2, v2, v26
	v_add_f32_e32 v3, v3, v25
.LBB146_540:
	s_or_b64 exec, exec, s[96:97]
	s_and_saveexec_b64 s[24:25], s[14:15]
	s_cbranch_execz .LBB146_542
; %bb.541:
	ds_read_b64 v[24:25], v22 offset:28672
	ds_read_b64 v[26:27], v23 offset:16832
	s_waitcnt lgkmcnt(0)
	v_mul_f32_e32 v28, v27, v25
	v_mul_f32_e32 v25, v26, v25
	v_fma_f32 v26, v26, v24, -v28
	v_fmac_f32_e32 v25, v27, v24
	v_add_f32_e32 v2, v2, v26
	v_add_f32_e32 v3, v3, v25
.LBB146_542:
	s_or_b64 exec, exec, s[24:25]
	s_movk_i32 s24, 0xe0
	v_cmp_gt_u32_e64 s[24:25], s24, v9
	s_and_saveexec_b64 s[96:97], s[24:25]
	s_cbranch_execz .LBB146_544
; %bb.543:
	ds_read_b64 v[24:25], v22 offset:29184
	ds_read_b64 v[26:27], v23 offset:16840
	s_waitcnt lgkmcnt(0)
	v_mul_f32_e32 v28, v27, v25
	v_mul_f32_e32 v25, v26, v25
	v_fma_f32 v26, v26, v24, -v28
	v_fmac_f32_e32 v25, v27, v24
	v_add_f32_e32 v2, v2, v26
	v_add_f32_e32 v3, v3, v25
.LBB146_544:
	s_or_b64 exec, exec, s[96:97]
	s_movk_i32 s24, 0xc0
	v_cmp_gt_u32_e64 s[24:25], s24, v9
	;; [unrolled: 16-line block ×5, first 2 shown]
	s_and_saveexec_b64 s[96:97], s[24:25]
	s_cbranch_execnz .LBB146_1076
; %bb.551:
	s_or_b64 exec, exec, s[96:97]
	s_and_saveexec_b64 s[24:25], s[12:13]
	s_cbranch_execnz .LBB146_1077
.LBB146_552:
	s_or_b64 exec, exec, s[24:25]
	v_cmp_gt_u32_e64 s[24:25], 32, v9
	s_and_saveexec_b64 s[96:97], s[24:25]
	s_cbranch_execz .LBB146_554
.LBB146_553:
	ds_read_b64 v[24:25], v22 offset:32256
	ds_read_b64 v[22:23], v23 offset:16888
	s_waitcnt lgkmcnt(0)
	v_mul_f32_e32 v26, v23, v25
	v_mul_f32_e32 v25, v22, v25
	v_fma_f32 v22, v22, v24, -v26
	v_fmac_f32_e32 v25, v23, v24
	v_add_f32_e32 v2, v2, v22
	v_add_f32_e32 v3, v3, v25
.LBB146_554:
	s_or_b64 exec, exec, s[96:97]
.LBB146_555:
	s_or_b64 exec, exec, s[92:93]
	v_mov_b32_e32 v22, 0x8000
	v_lshl_add_u32 v21, v21, 3, v22
	v_mov_b32_e32 v22, 0x3c00
	v_lshl_or_b32 v22, v19, 3, v22
	s_mov_b32 s92, 31
	v_subrev_u32_e32 v23, 31, v19
	s_xor_b64 s[24:25], s[20:21], -1
	s_branch .LBB146_557
.LBB146_556:                            ;   in Loop: Header=BB146_557 Depth=1
	s_or_b64 exec, exec, s[20:21]
	s_add_i32 s92, s92, -2
	v_add_u32_e32 v22, 0xfffffc00, v22
	s_cmp_eq_u32 s93, 0
	v_add_u32_e32 v23, 2, v23
	s_barrier
	s_cbranch_scc1 .LBB146_565
.LBB146_557:                            ; =>This Inner Loop Header: Depth=1
	v_cmp_eq_u32_e64 s[20:21], 0, v23
	s_and_b64 s[96:97], s[24:25], s[20:21]
	s_and_saveexec_b64 s[20:21], s[96:97]
; %bb.558:                              ;   in Loop: Header=BB146_557 Depth=1
	v_xor_b32_e32 v25, 0x80000000, v3
	v_xor_b32_e32 v24, 0x80000000, v2
	ds_write_b64 v21, v[24:25]
; %bb.559:                              ;   in Loop: Header=BB146_557 Depth=1
	s_or_b64 exec, exec, s[20:21]
	v_cmp_gt_u32_e64 s[20:21], s92, v19
	s_and_b64 s[96:97], s[24:25], s[20:21]
	s_waitcnt lgkmcnt(0)
	s_barrier
	s_and_saveexec_b64 s[20:21], s[96:97]
	s_cbranch_execz .LBB146_561
; %bb.560:                              ;   in Loop: Header=BB146_557 Depth=1
	ds_read_b64 v[24:25], v22 offset:512
	ds_read_b64 v[26:27], v21
	s_waitcnt lgkmcnt(0)
	v_mul_f32_e32 v28, v27, v25
	v_mul_f32_e32 v25, v26, v25
	v_fma_f32 v26, v26, v24, -v28
	v_fmac_f32_e32 v25, v27, v24
	v_sub_f32_e32 v2, v2, v26
	v_sub_f32_e32 v3, v3, v25
.LBB146_561:                            ;   in Loop: Header=BB146_557 Depth=1
	s_or_b64 exec, exec, s[20:21]
	s_add_i32 s93, s92, -1
	v_cmp_eq_u32_e64 s[20:21], s93, v19
	s_and_b64 s[96:97], s[24:25], s[20:21]
	s_barrier
	s_and_saveexec_b64 s[20:21], s[96:97]
; %bb.562:                              ;   in Loop: Header=BB146_557 Depth=1
	v_xor_b32_e32 v25, 0x80000000, v3
	v_xor_b32_e32 v24, 0x80000000, v2
	ds_write_b64 v21, v[24:25]
; %bb.563:                              ;   in Loop: Header=BB146_557 Depth=1
	s_or_b64 exec, exec, s[20:21]
	v_cmp_gt_u32_e64 s[20:21], s93, v19
	s_and_b64 s[96:97], s[24:25], s[20:21]
	s_waitcnt lgkmcnt(0)
	s_barrier
	s_and_saveexec_b64 s[20:21], s[96:97]
	s_cbranch_execz .LBB146_556
; %bb.564:                              ;   in Loop: Header=BB146_557 Depth=1
	ds_read_b64 v[24:25], v22
	ds_read_b64 v[26:27], v21
	s_waitcnt lgkmcnt(0)
	v_mul_f32_e32 v28, v27, v25
	v_mul_f32_e32 v25, v26, v25
	v_fma_f32 v26, v26, v24, -v28
	v_fmac_f32_e32 v25, v27, v24
	v_sub_f32_e32 v2, v2, v26
	v_sub_f32_e32 v3, v3, v25
	s_branch .LBB146_556
.LBB146_565:
	s_and_saveexec_b64 s[20:21], s[18:19]
; %bb.566:
	v_lshlrev_b32_e32 v19, 3, v19
	v_lshl_or_b32 v19, v20, 9, v19
	ds_write_b64 v19, v[2:3] offset:16384
; %bb.567:
	s_or_b64 exec, exec, s[20:21]
	v_cmp_gt_u32_e64 s[18:19], 32, v0
	s_and_b64 s[18:19], s[16:17], s[18:19]
	s_waitcnt lgkmcnt(0)
	s_barrier
	s_barrier
	s_and_saveexec_b64 s[16:17], s[18:19]
	s_cbranch_execz .LBB146_569
; %bb.568:
	v_lshlrev_b32_e32 v19, 9, v0
	ds_read_b64 v[2:3], v19 offset:16384
	s_movk_i32 s18, 0xfe08
	v_mad_i32_i24 v20, v0, s18, v19
	s_waitcnt lgkmcnt(0)
	ds_write_b64 v20, v[2:3] offset:256
	ds_read_b64 v[2:3], v19 offset:16392
	s_waitcnt lgkmcnt(0)
	ds_write_b64 v20, v[2:3] offset:768
	ds_read_b64 v[2:3], v19 offset:16400
	;; [unrolled: 3-line block ×31, first 2 shown]
	s_waitcnt lgkmcnt(0)
	ds_write_b64 v20, v[2:3] offset:16128
.LBB146_569:
	s_or_b64 exec, exec, s[16:17]
	s_waitcnt lgkmcnt(0)
	s_barrier
	s_and_saveexec_b64 s[16:17], vcc
	s_cbranch_execz .LBB146_571
; %bb.570:
	v_mov_b32_e32 v21, 0
	ds_read_b64 v[2:3], v21 offset:16112
	s_mov_b64 s[18:19], 0x3f800000
	v_mov_b32_e32 v20, s19
	v_mov_b32_e32 v19, s18
	s_movk_i32 s18, 0x3800
	ds_write_b64 v21, v[19:20] offset:16120
	v_add_u32_e64 v21, s18, 0
	s_waitcnt lgkmcnt(1)
	ds_write2_b64 v21, v[19:20], v[2:3] offset0:158 offset1:159
.LBB146_571:
	s_or_b64 exec, exec, s[16:17]
	v_mov_b32_e32 v2, 0
	v_mov_b32_e32 v3, 0
	s_waitcnt lgkmcnt(0)
	s_barrier
	buffer_wbinvl1_vol
	s_and_saveexec_b64 s[18:19], s[22:23]
	s_cbranch_execz .LBB146_575
; %bb.572:
	v_lshlrev_b32_e32 v2, 3, v4
	v_lshlrev_b32_e32 v19, 9, v5
	ds_read_b64 v[2:3], v2 offset:15584
	ds_read_b64 v[19:20], v19 offset:15600
	v_cmp_gt_u32_e64 s[16:17], 2, v9
	s_waitcnt lgkmcnt(0)
	v_mul_f32_e32 v21, v20, v3
	v_mul_f32_e32 v3, v19, v3
	v_fma_f32 v19, v19, v2, -v21
	v_fmac_f32_e32 v3, v20, v2
	v_add_f32_e32 v2, 0, v19
	v_add_f32_e32 v3, 0, v3
	s_and_saveexec_b64 s[20:21], s[16:17]
	s_cbranch_execz .LBB146_574
; %bb.573:
	v_lshlrev_b32_e32 v19, 3, v0
	v_mov_b32_e32 v21, 0
	ds_read_b64 v[19:20], v19 offset:16096
	ds_read_b64 v[21:22], v21 offset:16120
	s_waitcnt lgkmcnt(0)
	v_mul_f32_e32 v23, v22, v20
	v_mul_f32_e32 v20, v21, v20
	v_fma_f32 v21, v21, v19, -v23
	v_fmac_f32_e32 v20, v22, v19
	v_add_f32_e32 v2, v2, v21
	v_add_f32_e32 v3, v3, v20
.LBB146_574:
	s_or_b64 exec, exec, s[20:21]
.LBB146_575:
	s_or_b64 exec, exec, s[18:19]
	s_and_saveexec_b64 s[16:17], s[44:45]
; %bb.576:
	v_xor_b32_e32 v20, 0x80000000, v3
	v_xor_b32_e32 v19, 0x80000000, v2
	ds_write_b64 v7, v[19:20]
; %bb.577:
	s_or_b64 exec, exec, s[16:17]
	s_waitcnt lgkmcnt(0)
	s_barrier
	s_and_saveexec_b64 s[16:17], s[42:43]
	s_cbranch_execz .LBB146_579
; %bb.578:
	v_mov_b32_e32 v19, 0
	ds_read_b64 v[19:20], v19 offset:15072
	ds_read_b64 v[21:22], v7
	s_waitcnt lgkmcnt(0)
	v_mul_f32_e32 v23, v21, v19
	v_mul_f32_e32 v21, v21, v20
	v_fmac_f32_e32 v21, v22, v19
	v_fma_f32 v19, v22, v20, -v23
	v_add_f32_e32 v2, v2, v19
	v_sub_f32_e32 v3, v3, v21
.LBB146_579:
	s_or_b64 exec, exec, s[16:17]
	s_barrier
	s_and_saveexec_b64 s[16:17], s[42:43]
; %bb.580:
	v_xor_b32_e32 v20, 0x80000000, v3
	v_xor_b32_e32 v19, 0x80000000, v2
	ds_write_b64 v7, v[19:20]
; %bb.581:
	s_or_b64 exec, exec, s[16:17]
	s_waitcnt lgkmcnt(0)
	s_barrier
	s_barrier
	s_and_saveexec_b64 s[16:17], s[22:23]
; %bb.582:
	v_lshlrev_b32_e32 v19, 3, v4
	v_lshl_or_b32 v19, v5, 9, v19
	ds_write_b64 v19, v[2:3] offset:15584
; %bb.583:
	s_or_b64 exec, exec, s[16:17]
	s_waitcnt lgkmcnt(0)
	s_barrier
	s_barrier
	s_and_saveexec_b64 s[16:17], s[46:47]
	s_cbranch_execz .LBB146_585
; %bb.584:
	v_lshlrev_b32_e32 v19, 3, v0
	s_movk_i32 s18, 0x1f8
	v_mad_u32_u24 v20, v0, s18, v19
	ds_read_b64 v[2:3], v20 offset:15584
	s_waitcnt lgkmcnt(0)
	ds_write_b64 v19, v[2:3] offset:14576
	ds_read_b64 v[2:3], v20 offset:15592
	s_waitcnt lgkmcnt(0)
	ds_write_b64 v19, v[2:3] offset:15088
.LBB146_585:
	s_or_b64 exec, exec, s[16:17]
	s_waitcnt lgkmcnt(0)
	s_barrier
	s_and_saveexec_b64 s[16:17], vcc
	s_cbranch_execz .LBB146_587
; %bb.586:
	v_mov_b32_e32 v21, 0
	ds_read_b64 v[2:3], v21 offset:15072
	s_mov_b64 s[18:19], 0x3f800000
	v_mov_b32_e32 v20, s19
	v_mov_b32_e32 v19, s18
	s_movk_i32 s18, 0x3800
	ds_write_b64 v21, v[19:20] offset:15080
	v_add_u32_e64 v21, s18, 0
	s_waitcnt lgkmcnt(1)
	ds_write2_b64 v21, v[19:20], v[2:3] offset0:28 offset1:29
.LBB146_587:
	s_or_b64 exec, exec, s[16:17]
	v_mov_b32_e32 v3, 0
	v_mov_b32_e32 v2, 0
	s_waitcnt lgkmcnt(0)
	s_barrier
	buffer_wbinvl1_vol
	s_and_saveexec_b64 s[18:19], s[10:11]
	s_cbranch_execz .LBB146_593
; %bb.588:
	v_lshlrev_b32_e32 v19, 3, v10
	v_lshlrev_b32_e32 v20, 9, v11
	ds_read_b64 v[2:3], v19 offset:14528
	ds_read_b64 v[21:22], v20 offset:14560
	v_cmp_gt_u32_e64 s[16:17], 12, v9
	s_waitcnt lgkmcnt(0)
	v_mul_f32_e32 v23, v22, v3
	v_mul_f32_e32 v3, v21, v3
	v_fma_f32 v21, v21, v2, -v23
	v_fmac_f32_e32 v3, v22, v2
	v_add_f32_e32 v2, 0, v21
	v_add_f32_e32 v3, 0, v3
	s_and_saveexec_b64 s[20:21], s[16:17]
	s_cbranch_execnz .LBB146_1078
; %bb.589:
	s_or_b64 exec, exec, s[20:21]
	v_cmp_gt_u32_e64 s[16:17], 8, v9
	s_and_saveexec_b64 s[20:21], s[16:17]
	s_cbranch_execnz .LBB146_1079
.LBB146_590:
	s_or_b64 exec, exec, s[20:21]
	v_cmp_gt_u32_e64 s[16:17], 4, v9
	s_and_saveexec_b64 s[20:21], s[16:17]
	s_cbranch_execz .LBB146_592
.LBB146_591:
	v_lshlrev_b32_e32 v19, 3, v0
	v_mov_b32_e32 v21, 0
	ds_read_b64 v[19:20], v19 offset:16064
	ds_read_b64 v[21:22], v21 offset:16120
	s_waitcnt lgkmcnt(0)
	v_mul_f32_e32 v23, v22, v20
	v_mul_f32_e32 v20, v21, v20
	v_fma_f32 v21, v21, v19, -v23
	v_fmac_f32_e32 v20, v22, v19
	v_add_f32_e32 v2, v2, v21
	v_add_f32_e32 v3, v3, v20
.LBB146_592:
	s_or_b64 exec, exec, s[20:21]
.LBB146_593:
	s_or_b64 exec, exec, s[18:19]
	s_and_saveexec_b64 s[16:17], s[50:51]
; %bb.594:
	v_xor_b32_e32 v19, 0x80000000, v2
	v_xor_b32_e32 v20, 0x80000000, v3
	ds_write_b64 v12, v[19:20]
; %bb.595:
	s_or_b64 exec, exec, s[16:17]
	s_waitcnt lgkmcnt(0)
	s_barrier
	s_and_saveexec_b64 s[16:17], s[52:53]
	s_cbranch_execz .LBB146_597
; %bb.596:
	v_lshlrev_b32_e32 v19, 3, v10
	ds_read_b64 v[19:20], v19 offset:14016
	ds_read_b64 v[21:22], v12
	s_waitcnt lgkmcnt(0)
	v_mul_f32_e32 v23, v22, v20
	v_mul_f32_e32 v20, v21, v20
	v_fma_f32 v21, v21, v19, -v23
	v_fmac_f32_e32 v20, v22, v19
	v_sub_f32_e32 v2, v2, v21
	v_sub_f32_e32 v3, v3, v20
.LBB146_597:
	s_or_b64 exec, exec, s[16:17]
	s_barrier
	s_and_saveexec_b64 s[16:17], s[54:55]
; %bb.598:
	v_xor_b32_e32 v19, 0x80000000, v2
	v_xor_b32_e32 v20, 0x80000000, v3
	ds_write_b64 v12, v[19:20]
; %bb.599:
	s_or_b64 exec, exec, s[16:17]
	s_waitcnt lgkmcnt(0)
	s_barrier
	s_and_saveexec_b64 s[16:17], s[56:57]
	s_cbranch_execz .LBB146_601
; %bb.600:
	v_lshlrev_b32_e32 v19, 3, v10
	ds_read_b64 v[19:20], v19 offset:13504
	ds_read_b64 v[21:22], v12
	s_waitcnt lgkmcnt(0)
	v_mul_f32_e32 v23, v22, v20
	v_mul_f32_e32 v20, v21, v20
	v_fma_f32 v21, v21, v19, -v23
	v_fmac_f32_e32 v20, v22, v19
	v_sub_f32_e32 v2, v2, v21
	v_sub_f32_e32 v3, v3, v20
.LBB146_601:
	s_or_b64 exec, exec, s[16:17]
	s_barrier
	s_and_saveexec_b64 s[16:17], s[58:59]
; %bb.602:
	v_xor_b32_e32 v19, 0x80000000, v2
	v_xor_b32_e32 v20, 0x80000000, v3
	ds_write_b64 v12, v[19:20]
; %bb.603:
	s_or_b64 exec, exec, s[16:17]
	s_waitcnt lgkmcnt(0)
	s_barrier
	s_and_saveexec_b64 s[16:17], s[48:49]
	s_cbranch_execz .LBB146_605
; %bb.604:
	v_mov_b32_e32 v19, 0
	ds_read_b64 v[19:20], v19 offset:12992
	ds_read_b64 v[21:22], v12
	s_waitcnt lgkmcnt(0)
	v_mul_f32_e32 v23, v22, v20
	v_mul_f32_e32 v20, v21, v20
	v_fma_f32 v21, v21, v19, -v23
	v_fmac_f32_e32 v20, v22, v19
	v_sub_f32_e32 v2, v2, v21
	v_sub_f32_e32 v3, v3, v20
.LBB146_605:
	s_or_b64 exec, exec, s[16:17]
	s_barrier
	s_and_saveexec_b64 s[16:17], s[48:49]
; %bb.606:
	v_xor_b32_e32 v19, 0x80000000, v2
	v_xor_b32_e32 v20, 0x80000000, v3
	ds_write_b64 v12, v[19:20]
; %bb.607:
	s_or_b64 exec, exec, s[16:17]
	s_waitcnt lgkmcnt(0)
	s_barrier
	s_barrier
	s_and_saveexec_b64 s[16:17], s[10:11]
; %bb.608:
	v_lshlrev_b32_e32 v19, 3, v10
	v_lshl_or_b32 v19, v11, 9, v19
	ds_write_b64 v19, v[2:3] offset:14528
; %bb.609:
	s_or_b64 exec, exec, s[16:17]
	s_waitcnt lgkmcnt(0)
	s_barrier
	s_barrier
	s_and_saveexec_b64 s[16:17], s[60:61]
	s_cbranch_execz .LBB146_611
; %bb.610:
	v_lshlrev_b32_e32 v19, 9, v0
	ds_read_b64 v[2:3], v19 offset:14528
	s_movk_i32 s18, 0xfe08
	v_mad_i32_i24 v20, v0, s18, v19
	s_waitcnt lgkmcnt(0)
	ds_write_b64 v20, v[2:3] offset:12512
	ds_read_b64 v[2:3], v19 offset:14536
	s_waitcnt lgkmcnt(0)
	ds_write_b64 v20, v[2:3] offset:13024
	ds_read_b64 v[2:3], v19 offset:14544
	;; [unrolled: 3-line block ×3, first 2 shown]
	s_waitcnt lgkmcnt(0)
	ds_write_b64 v20, v[2:3] offset:14048
.LBB146_611:
	s_or_b64 exec, exec, s[16:17]
	s_waitcnt lgkmcnt(0)
	s_barrier
	s_and_saveexec_b64 s[16:17], vcc
	s_cbranch_execz .LBB146_613
; %bb.612:
	v_mov_b32_e32 v21, 0
	ds_read_b64 v[2:3], v21 offset:14032
	s_mov_b64 s[18:19], 0x3f800000
	v_mov_b32_e32 v20, s19
	v_mov_b32_e32 v19, s18
	s_movk_i32 s18, 0x3000
	ds_write_b64 v21, v[19:20] offset:14040
	v_add_u32_e64 v21, s18, 0
	s_waitcnt lgkmcnt(1)
	ds_write2_b64 v21, v[19:20], v[2:3] offset0:154 offset1:155
.LBB146_613:
	s_or_b64 exec, exec, s[16:17]
	v_mov_b32_e32 v2, 0
	v_mov_b32_e32 v3, 0
	s_waitcnt lgkmcnt(0)
	s_barrier
	buffer_wbinvl1_vol
	s_and_saveexec_b64 s[18:19], s[22:23]
	s_cbranch_execz .LBB146_617
; %bb.614:
	v_lshlrev_b32_e32 v2, 3, v4
	v_lshlrev_b32_e32 v19, 9, v5
	ds_read_b64 v[2:3], v2 offset:13504
	ds_read_b64 v[19:20], v19 offset:13520
	v_cmp_gt_u32_e64 s[16:17], 2, v9
	s_waitcnt lgkmcnt(0)
	v_mul_f32_e32 v21, v20, v3
	v_mul_f32_e32 v3, v19, v3
	v_fma_f32 v19, v19, v2, -v21
	v_fmac_f32_e32 v3, v20, v2
	v_add_f32_e32 v2, 0, v19
	v_add_f32_e32 v3, 0, v3
	s_and_saveexec_b64 s[20:21], s[16:17]
	s_cbranch_execz .LBB146_616
; %bb.615:
	v_lshlrev_b32_e32 v19, 3, v0
	v_mov_b32_e32 v21, 0
	ds_read_b64 v[19:20], v19 offset:14016
	ds_read_b64 v[21:22], v21 offset:14040
	s_waitcnt lgkmcnt(0)
	v_mul_f32_e32 v23, v22, v20
	v_mul_f32_e32 v20, v21, v20
	v_fma_f32 v21, v21, v19, -v23
	v_fmac_f32_e32 v20, v22, v19
	v_add_f32_e32 v2, v2, v21
	v_add_f32_e32 v3, v3, v20
.LBB146_616:
	s_or_b64 exec, exec, s[20:21]
.LBB146_617:
	s_or_b64 exec, exec, s[18:19]
	s_and_saveexec_b64 s[16:17], s[44:45]
; %bb.618:
	v_xor_b32_e32 v20, 0x80000000, v3
	v_xor_b32_e32 v19, 0x80000000, v2
	ds_write_b64 v7, v[19:20]
; %bb.619:
	s_or_b64 exec, exec, s[16:17]
	s_waitcnt lgkmcnt(0)
	s_barrier
	s_and_saveexec_b64 s[16:17], s[42:43]
	s_cbranch_execz .LBB146_621
; %bb.620:
	v_mov_b32_e32 v19, 0
	ds_read_b64 v[19:20], v19 offset:12992
	ds_read_b64 v[21:22], v7
	s_waitcnt lgkmcnt(0)
	v_mul_f32_e32 v23, v21, v19
	v_mul_f32_e32 v21, v21, v20
	v_fmac_f32_e32 v21, v22, v19
	v_fma_f32 v19, v22, v20, -v23
	v_add_f32_e32 v2, v2, v19
	v_sub_f32_e32 v3, v3, v21
.LBB146_621:
	s_or_b64 exec, exec, s[16:17]
	s_barrier
	s_and_saveexec_b64 s[16:17], s[42:43]
; %bb.622:
	v_xor_b32_e32 v20, 0x80000000, v3
	v_xor_b32_e32 v19, 0x80000000, v2
	ds_write_b64 v7, v[19:20]
; %bb.623:
	s_or_b64 exec, exec, s[16:17]
	s_waitcnt lgkmcnt(0)
	s_barrier
	s_barrier
	s_and_saveexec_b64 s[16:17], s[22:23]
; %bb.624:
	v_lshlrev_b32_e32 v19, 3, v4
	v_lshl_or_b32 v19, v5, 9, v19
	ds_write_b64 v19, v[2:3] offset:13504
; %bb.625:
	s_or_b64 exec, exec, s[16:17]
	s_waitcnt lgkmcnt(0)
	s_barrier
	s_barrier
	s_and_saveexec_b64 s[16:17], s[46:47]
	s_cbranch_execz .LBB146_627
; %bb.626:
	v_lshlrev_b32_e32 v19, 3, v0
	s_movk_i32 s18, 0x1f8
	v_mad_u32_u24 v20, v0, s18, v19
	ds_read_b64 v[2:3], v20 offset:13504
	s_waitcnt lgkmcnt(0)
	ds_write_b64 v19, v[2:3] offset:12496
	ds_read_b64 v[2:3], v20 offset:13512
	s_waitcnt lgkmcnt(0)
	ds_write_b64 v19, v[2:3] offset:13008
.LBB146_627:
	s_or_b64 exec, exec, s[16:17]
	s_waitcnt lgkmcnt(0)
	s_barrier
	s_and_saveexec_b64 s[16:17], vcc
	s_cbranch_execz .LBB146_629
; %bb.628:
	v_mov_b32_e32 v21, 0
	ds_read_b64 v[2:3], v21 offset:12992
	s_mov_b64 s[18:19], 0x3f800000
	v_mov_b32_e32 v20, s19
	v_mov_b32_e32 v19, s18
	s_movk_i32 s18, 0x3000
	ds_write_b64 v21, v[19:20] offset:13000
	v_add_u32_e64 v21, s18, 0
	s_waitcnt lgkmcnt(1)
	ds_write2_b64 v21, v[19:20], v[2:3] offset0:24 offset1:25
.LBB146_629:
	s_or_b64 exec, exec, s[16:17]
	v_mov_b32_e32 v3, 0
	v_mov_b32_e32 v2, 0
	s_waitcnt lgkmcnt(0)
	s_barrier
	buffer_wbinvl1_vol
	s_and_saveexec_b64 s[18:19], s[12:13]
	s_cbranch_execz .LBB146_639
; %bb.630:
	v_lshlrev_b32_e32 v19, 3, v13
	v_lshlrev_b32_e32 v20, 9, v14
	ds_read_b64 v[2:3], v19 offset:12416
	ds_read_b64 v[21:22], v20 offset:12480
	v_cmp_gt_u32_e64 s[16:17], 56, v9
	s_waitcnt lgkmcnt(0)
	v_mul_f32_e32 v23, v22, v3
	v_mul_f32_e32 v3, v21, v3
	v_fma_f32 v21, v21, v2, -v23
	v_fmac_f32_e32 v3, v22, v2
	v_add_f32_e32 v2, 0, v21
	v_add_f32_e32 v3, 0, v3
	s_and_saveexec_b64 s[20:21], s[16:17]
	s_cbranch_execnz .LBB146_1080
; %bb.631:
	s_or_b64 exec, exec, s[20:21]
	v_cmp_gt_u32_e64 s[16:17], 48, v9
	s_and_saveexec_b64 s[20:21], s[16:17]
	s_cbranch_execnz .LBB146_1081
.LBB146_632:
	s_or_b64 exec, exec, s[20:21]
	v_cmp_gt_u32_e64 s[16:17], 40, v9
	s_and_saveexec_b64 s[20:21], s[16:17]
	s_cbranch_execnz .LBB146_1082
.LBB146_633:
	s_or_b64 exec, exec, s[20:21]
	v_cmp_gt_u32_e64 s[16:17], 32, v9
	s_and_saveexec_b64 s[20:21], s[16:17]
	s_cbranch_execnz .LBB146_1083
.LBB146_634:
	s_or_b64 exec, exec, s[20:21]
	v_cmp_gt_u32_e64 s[16:17], 24, v9
	s_and_saveexec_b64 s[20:21], s[16:17]
	s_cbranch_execnz .LBB146_1084
.LBB146_635:
	s_or_b64 exec, exec, s[20:21]
	s_and_saveexec_b64 s[16:17], s[10:11]
	s_cbranch_execnz .LBB146_1085
.LBB146_636:
	s_or_b64 exec, exec, s[16:17]
	v_cmp_gt_u32_e64 s[16:17], 8, v9
	s_and_saveexec_b64 s[20:21], s[16:17]
	s_cbranch_execz .LBB146_638
.LBB146_637:
	v_lshlrev_b32_e32 v19, 3, v0
	v_mov_b32_e32 v21, 0
	ds_read_b64 v[19:20], v19 offset:16000
	ds_read_b64 v[21:22], v21 offset:16120
	s_waitcnt lgkmcnt(0)
	v_mul_f32_e32 v23, v22, v20
	v_mul_f32_e32 v20, v21, v20
	v_fma_f32 v21, v21, v19, -v23
	v_fmac_f32_e32 v20, v22, v19
	v_add_f32_e32 v2, v2, v21
	v_add_f32_e32 v3, v3, v20
.LBB146_638:
	s_or_b64 exec, exec, s[20:21]
.LBB146_639:
	s_or_b64 exec, exec, s[18:19]
	s_and_saveexec_b64 s[16:17], s[64:65]
; %bb.640:
	v_xor_b32_e32 v20, 0x80000000, v3
	v_xor_b32_e32 v19, 0x80000000, v2
	ds_write_b64 v15, v[19:20]
; %bb.641:
	s_or_b64 exec, exec, s[16:17]
	s_waitcnt lgkmcnt(0)
	s_barrier
	s_and_saveexec_b64 s[16:17], s[66:67]
	s_cbranch_execz .LBB146_643
; %bb.642:
	v_lshlrev_b32_e32 v19, 3, v13
	ds_read_b64 v[19:20], v19 offset:11904
	ds_read_b64 v[21:22], v15
	s_waitcnt lgkmcnt(0)
	v_mul_f32_e32 v23, v22, v20
	v_mul_f32_e32 v20, v21, v20
	v_fma_f32 v21, v21, v19, -v23
	v_fmac_f32_e32 v20, v22, v19
	v_sub_f32_e32 v2, v2, v21
	v_sub_f32_e32 v3, v3, v20
.LBB146_643:
	s_or_b64 exec, exec, s[16:17]
	s_barrier
	s_and_saveexec_b64 s[16:17], s[68:69]
; %bb.644:
	v_xor_b32_e32 v20, 0x80000000, v3
	v_xor_b32_e32 v19, 0x80000000, v2
	ds_write_b64 v15, v[19:20]
; %bb.645:
	s_or_b64 exec, exec, s[16:17]
	s_waitcnt lgkmcnt(0)
	s_barrier
	s_and_saveexec_b64 s[16:17], s[70:71]
	s_cbranch_execz .LBB146_647
; %bb.646:
	v_lshlrev_b32_e32 v19, 3, v13
	ds_read_b64 v[19:20], v19 offset:11392
	ds_read_b64 v[21:22], v15
	s_waitcnt lgkmcnt(0)
	v_mul_f32_e32 v23, v22, v20
	v_mul_f32_e32 v20, v21, v20
	v_fma_f32 v21, v21, v19, -v23
	v_fmac_f32_e32 v20, v22, v19
	v_sub_f32_e32 v2, v2, v21
	v_sub_f32_e32 v3, v3, v20
.LBB146_647:
	s_or_b64 exec, exec, s[16:17]
	s_barrier
	;; [unrolled: 25-line block ×6, first 2 shown]
	s_and_saveexec_b64 s[16:17], s[88:89]
; %bb.664:
	v_xor_b32_e32 v20, 0x80000000, v3
	v_xor_b32_e32 v19, 0x80000000, v2
	ds_write_b64 v15, v[19:20]
; %bb.665:
	s_or_b64 exec, exec, s[16:17]
	s_waitcnt lgkmcnt(0)
	s_barrier
	s_and_saveexec_b64 s[16:17], s[62:63]
	s_cbranch_execz .LBB146_667
; %bb.666:
	v_mov_b32_e32 v19, 0
	ds_read_b64 v[19:20], v19 offset:8832
	ds_read_b64 v[21:22], v15
	s_waitcnt lgkmcnt(0)
	v_mul_f32_e32 v23, v22, v20
	v_mul_f32_e32 v20, v21, v20
	v_fma_f32 v21, v21, v19, -v23
	v_fmac_f32_e32 v20, v22, v19
	v_sub_f32_e32 v2, v2, v21
	v_sub_f32_e32 v3, v3, v20
.LBB146_667:
	s_or_b64 exec, exec, s[16:17]
	s_barrier
	s_and_saveexec_b64 s[16:17], s[62:63]
; %bb.668:
	v_xor_b32_e32 v20, 0x80000000, v3
	v_xor_b32_e32 v19, 0x80000000, v2
	ds_write_b64 v15, v[19:20]
; %bb.669:
	s_or_b64 exec, exec, s[16:17]
	s_waitcnt lgkmcnt(0)
	s_barrier
	s_barrier
	s_and_saveexec_b64 s[16:17], s[12:13]
; %bb.670:
	v_lshlrev_b32_e32 v19, 3, v13
	v_lshl_or_b32 v19, v14, 9, v19
	ds_write_b64 v19, v[2:3] offset:12416
; %bb.671:
	s_or_b64 exec, exec, s[16:17]
	s_waitcnt lgkmcnt(0)
	s_barrier
	s_barrier
	s_and_saveexec_b64 s[16:17], s[90:91]
	s_cbranch_execz .LBB146_673
; %bb.672:
	v_lshlrev_b32_e32 v19, 9, v0
	ds_read_b64 v[2:3], v19 offset:12416
	s_movk_i32 s18, 0xfe08
	v_mad_i32_i24 v20, v0, s18, v19
	s_waitcnt lgkmcnt(0)
	ds_write_b64 v20, v[2:3] offset:8384
	ds_read_b64 v[2:3], v19 offset:12424
	s_waitcnt lgkmcnt(0)
	ds_write_b64 v20, v[2:3] offset:8896
	ds_read_b64 v[2:3], v19 offset:12432
	;; [unrolled: 3-line block ×7, first 2 shown]
	s_waitcnt lgkmcnt(0)
	ds_write_b64 v20, v[2:3] offset:11968
.LBB146_673:
	s_or_b64 exec, exec, s[16:17]
	s_waitcnt lgkmcnt(0)
	s_barrier
	s_and_saveexec_b64 s[16:17], vcc
	s_cbranch_execz .LBB146_675
; %bb.674:
	v_mov_b32_e32 v21, 0
	ds_read_b64 v[2:3], v21 offset:11952
	s_mov_b64 s[18:19], 0x3f800000
	v_mov_b32_e32 v20, s19
	v_mov_b32_e32 v19, s18
	s_movk_i32 s18, 0x2800
	ds_write_b64 v21, v[19:20] offset:11960
	v_add_u32_e64 v21, s18, 0
	s_waitcnt lgkmcnt(1)
	ds_write2_b64 v21, v[19:20], v[2:3] offset0:150 offset1:151
.LBB146_675:
	s_or_b64 exec, exec, s[16:17]
	v_mov_b32_e32 v2, 0
	v_mov_b32_e32 v3, 0
	s_waitcnt lgkmcnt(0)
	s_barrier
	buffer_wbinvl1_vol
	s_and_saveexec_b64 s[18:19], s[22:23]
	s_cbranch_execz .LBB146_679
; %bb.676:
	v_lshlrev_b32_e32 v2, 3, v4
	v_lshlrev_b32_e32 v19, 9, v5
	ds_read_b64 v[2:3], v2 offset:11424
	ds_read_b64 v[19:20], v19 offset:11440
	v_cmp_gt_u32_e64 s[16:17], 2, v9
	s_waitcnt lgkmcnt(0)
	v_mul_f32_e32 v21, v20, v3
	v_mul_f32_e32 v3, v19, v3
	v_fma_f32 v19, v19, v2, -v21
	v_fmac_f32_e32 v3, v20, v2
	v_add_f32_e32 v2, 0, v19
	v_add_f32_e32 v3, 0, v3
	s_and_saveexec_b64 s[20:21], s[16:17]
	s_cbranch_execz .LBB146_678
; %bb.677:
	v_lshlrev_b32_e32 v19, 3, v0
	v_mov_b32_e32 v21, 0
	ds_read_b64 v[19:20], v19 offset:11936
	ds_read_b64 v[21:22], v21 offset:11960
	s_waitcnt lgkmcnt(0)
	v_mul_f32_e32 v23, v22, v20
	v_mul_f32_e32 v20, v21, v20
	v_fma_f32 v21, v21, v19, -v23
	v_fmac_f32_e32 v20, v22, v19
	v_add_f32_e32 v2, v2, v21
	v_add_f32_e32 v3, v3, v20
.LBB146_678:
	s_or_b64 exec, exec, s[20:21]
.LBB146_679:
	s_or_b64 exec, exec, s[18:19]
	s_and_saveexec_b64 s[16:17], s[44:45]
; %bb.680:
	v_xor_b32_e32 v20, 0x80000000, v3
	v_xor_b32_e32 v19, 0x80000000, v2
	ds_write_b64 v7, v[19:20]
; %bb.681:
	s_or_b64 exec, exec, s[16:17]
	s_waitcnt lgkmcnt(0)
	s_barrier
	s_and_saveexec_b64 s[16:17], s[42:43]
	s_cbranch_execz .LBB146_683
; %bb.682:
	v_mov_b32_e32 v19, 0
	ds_read_b64 v[19:20], v19 offset:10912
	ds_read_b64 v[21:22], v7
	s_waitcnt lgkmcnt(0)
	v_mul_f32_e32 v23, v21, v19
	v_mul_f32_e32 v21, v21, v20
	v_fmac_f32_e32 v21, v22, v19
	v_fma_f32 v19, v22, v20, -v23
	v_add_f32_e32 v2, v2, v19
	v_sub_f32_e32 v3, v3, v21
.LBB146_683:
	s_or_b64 exec, exec, s[16:17]
	s_barrier
	s_and_saveexec_b64 s[16:17], s[42:43]
; %bb.684:
	v_xor_b32_e32 v20, 0x80000000, v3
	v_xor_b32_e32 v19, 0x80000000, v2
	ds_write_b64 v7, v[19:20]
; %bb.685:
	s_or_b64 exec, exec, s[16:17]
	s_waitcnt lgkmcnt(0)
	s_barrier
	s_barrier
	s_and_saveexec_b64 s[16:17], s[22:23]
; %bb.686:
	v_lshlrev_b32_e32 v19, 3, v4
	v_lshl_or_b32 v19, v5, 9, v19
	ds_write_b64 v19, v[2:3] offset:11424
; %bb.687:
	s_or_b64 exec, exec, s[16:17]
	s_waitcnt lgkmcnt(0)
	s_barrier
	s_barrier
	s_and_saveexec_b64 s[16:17], s[46:47]
	s_cbranch_execz .LBB146_689
; %bb.688:
	v_lshlrev_b32_e32 v19, 3, v0
	s_movk_i32 s18, 0x1f8
	v_mad_u32_u24 v20, v0, s18, v19
	ds_read_b64 v[2:3], v20 offset:11424
	s_waitcnt lgkmcnt(0)
	ds_write_b64 v19, v[2:3] offset:10416
	ds_read_b64 v[2:3], v20 offset:11432
	s_waitcnt lgkmcnt(0)
	ds_write_b64 v19, v[2:3] offset:10928
.LBB146_689:
	s_or_b64 exec, exec, s[16:17]
	s_waitcnt lgkmcnt(0)
	s_barrier
	s_and_saveexec_b64 s[16:17], vcc
	s_cbranch_execz .LBB146_691
; %bb.690:
	v_mov_b32_e32 v21, 0
	ds_read_b64 v[2:3], v21 offset:10912
	s_mov_b64 s[18:19], 0x3f800000
	v_mov_b32_e32 v20, s19
	v_mov_b32_e32 v19, s18
	s_movk_i32 s18, 0x2800
	ds_write_b64 v21, v[19:20] offset:10920
	v_add_u32_e64 v21, s18, 0
	s_waitcnt lgkmcnt(1)
	ds_write2_b64 v21, v[19:20], v[2:3] offset0:20 offset1:21
.LBB146_691:
	s_or_b64 exec, exec, s[16:17]
	v_mov_b32_e32 v3, 0
	v_mov_b32_e32 v2, 0
	s_waitcnt lgkmcnt(0)
	s_barrier
	buffer_wbinvl1_vol
	s_and_saveexec_b64 s[18:19], s[10:11]
	s_cbranch_execz .LBB146_697
; %bb.692:
	v_lshlrev_b32_e32 v19, 3, v10
	v_lshlrev_b32_e32 v20, 9, v11
	ds_read_b64 v[2:3], v19 offset:10368
	ds_read_b64 v[21:22], v20 offset:10400
	v_cmp_gt_u32_e64 s[16:17], 12, v9
	s_waitcnt lgkmcnt(0)
	v_mul_f32_e32 v23, v22, v3
	v_mul_f32_e32 v3, v21, v3
	v_fma_f32 v21, v21, v2, -v23
	v_fmac_f32_e32 v3, v22, v2
	v_add_f32_e32 v2, 0, v21
	v_add_f32_e32 v3, 0, v3
	s_and_saveexec_b64 s[20:21], s[16:17]
	s_cbranch_execnz .LBB146_1086
; %bb.693:
	s_or_b64 exec, exec, s[20:21]
	v_cmp_gt_u32_e64 s[16:17], 8, v9
	s_and_saveexec_b64 s[20:21], s[16:17]
	s_cbranch_execnz .LBB146_1087
.LBB146_694:
	s_or_b64 exec, exec, s[20:21]
	v_cmp_gt_u32_e64 s[16:17], 4, v9
	s_and_saveexec_b64 s[20:21], s[16:17]
	s_cbranch_execz .LBB146_696
.LBB146_695:
	v_lshlrev_b32_e32 v19, 3, v0
	v_mov_b32_e32 v21, 0
	ds_read_b64 v[19:20], v19 offset:11904
	ds_read_b64 v[21:22], v21 offset:11960
	s_waitcnt lgkmcnt(0)
	v_mul_f32_e32 v23, v22, v20
	v_mul_f32_e32 v20, v21, v20
	v_fma_f32 v21, v21, v19, -v23
	v_fmac_f32_e32 v20, v22, v19
	v_add_f32_e32 v2, v2, v21
	v_add_f32_e32 v3, v3, v20
.LBB146_696:
	s_or_b64 exec, exec, s[20:21]
.LBB146_697:
	s_or_b64 exec, exec, s[18:19]
	s_and_saveexec_b64 s[16:17], s[50:51]
; %bb.698:
	v_xor_b32_e32 v19, 0x80000000, v2
	v_xor_b32_e32 v20, 0x80000000, v3
	ds_write_b64 v12, v[19:20]
; %bb.699:
	s_or_b64 exec, exec, s[16:17]
	s_waitcnt lgkmcnt(0)
	s_barrier
	s_and_saveexec_b64 s[16:17], s[52:53]
	s_cbranch_execz .LBB146_701
; %bb.700:
	v_lshlrev_b32_e32 v19, 3, v10
	ds_read_b64 v[19:20], v19 offset:9856
	ds_read_b64 v[21:22], v12
	s_waitcnt lgkmcnt(0)
	v_mul_f32_e32 v23, v22, v20
	v_mul_f32_e32 v20, v21, v20
	v_fma_f32 v21, v21, v19, -v23
	v_fmac_f32_e32 v20, v22, v19
	v_sub_f32_e32 v2, v2, v21
	v_sub_f32_e32 v3, v3, v20
.LBB146_701:
	s_or_b64 exec, exec, s[16:17]
	s_barrier
	s_and_saveexec_b64 s[16:17], s[54:55]
; %bb.702:
	v_xor_b32_e32 v19, 0x80000000, v2
	v_xor_b32_e32 v20, 0x80000000, v3
	ds_write_b64 v12, v[19:20]
; %bb.703:
	s_or_b64 exec, exec, s[16:17]
	s_waitcnt lgkmcnt(0)
	s_barrier
	s_and_saveexec_b64 s[16:17], s[56:57]
	s_cbranch_execz .LBB146_705
; %bb.704:
	v_lshlrev_b32_e32 v19, 3, v10
	ds_read_b64 v[19:20], v19 offset:9344
	ds_read_b64 v[21:22], v12
	s_waitcnt lgkmcnt(0)
	v_mul_f32_e32 v23, v22, v20
	v_mul_f32_e32 v20, v21, v20
	v_fma_f32 v21, v21, v19, -v23
	v_fmac_f32_e32 v20, v22, v19
	v_sub_f32_e32 v2, v2, v21
	v_sub_f32_e32 v3, v3, v20
.LBB146_705:
	s_or_b64 exec, exec, s[16:17]
	s_barrier
	s_and_saveexec_b64 s[16:17], s[58:59]
; %bb.706:
	v_xor_b32_e32 v19, 0x80000000, v2
	v_xor_b32_e32 v20, 0x80000000, v3
	ds_write_b64 v12, v[19:20]
; %bb.707:
	s_or_b64 exec, exec, s[16:17]
	s_waitcnt lgkmcnt(0)
	s_barrier
	s_and_saveexec_b64 s[16:17], s[48:49]
	s_cbranch_execz .LBB146_709
; %bb.708:
	v_mov_b32_e32 v19, 0
	ds_read_b64 v[19:20], v19 offset:8832
	ds_read_b64 v[21:22], v12
	s_waitcnt lgkmcnt(0)
	v_mul_f32_e32 v23, v22, v20
	v_mul_f32_e32 v20, v21, v20
	v_fma_f32 v21, v21, v19, -v23
	v_fmac_f32_e32 v20, v22, v19
	v_sub_f32_e32 v2, v2, v21
	v_sub_f32_e32 v3, v3, v20
.LBB146_709:
	s_or_b64 exec, exec, s[16:17]
	s_barrier
	s_and_saveexec_b64 s[16:17], s[48:49]
; %bb.710:
	v_xor_b32_e32 v19, 0x80000000, v2
	v_xor_b32_e32 v20, 0x80000000, v3
	ds_write_b64 v12, v[19:20]
; %bb.711:
	s_or_b64 exec, exec, s[16:17]
	s_waitcnt lgkmcnt(0)
	s_barrier
	s_barrier
	s_and_saveexec_b64 s[16:17], s[10:11]
; %bb.712:
	v_lshlrev_b32_e32 v19, 3, v10
	v_lshl_or_b32 v19, v11, 9, v19
	ds_write_b64 v19, v[2:3] offset:10368
; %bb.713:
	s_or_b64 exec, exec, s[16:17]
	s_waitcnt lgkmcnt(0)
	s_barrier
	s_barrier
	s_and_saveexec_b64 s[16:17], s[60:61]
	s_cbranch_execz .LBB146_715
; %bb.714:
	v_lshlrev_b32_e32 v19, 9, v0
	ds_read_b64 v[2:3], v19 offset:10368
	s_movk_i32 s18, 0xfe08
	v_mad_i32_i24 v20, v0, s18, v19
	s_waitcnt lgkmcnt(0)
	ds_write_b64 v20, v[2:3] offset:8352
	ds_read_b64 v[2:3], v19 offset:10376
	s_waitcnt lgkmcnt(0)
	ds_write_b64 v20, v[2:3] offset:8864
	ds_read_b64 v[2:3], v19 offset:10384
	;; [unrolled: 3-line block ×3, first 2 shown]
	s_waitcnt lgkmcnt(0)
	ds_write_b64 v20, v[2:3] offset:9888
.LBB146_715:
	s_or_b64 exec, exec, s[16:17]
	s_waitcnt lgkmcnt(0)
	s_barrier
	s_and_saveexec_b64 s[16:17], vcc
	s_cbranch_execz .LBB146_717
; %bb.716:
	v_mov_b32_e32 v21, 0
	ds_read_b64 v[2:3], v21 offset:9872
	s_mov_b64 s[18:19], 0x3f800000
	v_mov_b32_e32 v20, s19
	v_mov_b32_e32 v19, s18
	s_movk_i32 s18, 0x2000
	ds_write_b64 v21, v[19:20] offset:9880
	v_add_u32_e64 v21, s18, 0
	s_waitcnt lgkmcnt(1)
	ds_write2_b64 v21, v[19:20], v[2:3] offset0:146 offset1:147
.LBB146_717:
	s_or_b64 exec, exec, s[16:17]
	v_mov_b32_e32 v2, 0
	v_mov_b32_e32 v3, 0
	s_waitcnt lgkmcnt(0)
	s_barrier
	buffer_wbinvl1_vol
	s_and_saveexec_b64 s[18:19], s[22:23]
	s_cbranch_execz .LBB146_721
; %bb.718:
	v_lshlrev_b32_e32 v2, 3, v4
	v_lshlrev_b32_e32 v19, 9, v5
	ds_read_b64 v[2:3], v2 offset:9344
	ds_read_b64 v[19:20], v19 offset:9360
	v_cmp_gt_u32_e64 s[16:17], 2, v9
	s_waitcnt lgkmcnt(0)
	v_mul_f32_e32 v21, v20, v3
	v_mul_f32_e32 v3, v19, v3
	v_fma_f32 v19, v19, v2, -v21
	v_fmac_f32_e32 v3, v20, v2
	v_add_f32_e32 v2, 0, v19
	v_add_f32_e32 v3, 0, v3
	s_and_saveexec_b64 s[20:21], s[16:17]
	s_cbranch_execz .LBB146_720
; %bb.719:
	v_lshlrev_b32_e32 v19, 3, v0
	v_mov_b32_e32 v21, 0
	ds_read_b64 v[19:20], v19 offset:9856
	ds_read_b64 v[21:22], v21 offset:9880
	s_waitcnt lgkmcnt(0)
	v_mul_f32_e32 v23, v22, v20
	v_mul_f32_e32 v20, v21, v20
	v_fma_f32 v21, v21, v19, -v23
	v_fmac_f32_e32 v20, v22, v19
	v_add_f32_e32 v2, v2, v21
	v_add_f32_e32 v3, v3, v20
.LBB146_720:
	s_or_b64 exec, exec, s[20:21]
.LBB146_721:
	s_or_b64 exec, exec, s[18:19]
	s_and_saveexec_b64 s[16:17], s[44:45]
; %bb.722:
	v_xor_b32_e32 v20, 0x80000000, v3
	v_xor_b32_e32 v19, 0x80000000, v2
	ds_write_b64 v7, v[19:20]
; %bb.723:
	s_or_b64 exec, exec, s[16:17]
	s_waitcnt lgkmcnt(0)
	s_barrier
	s_and_saveexec_b64 s[16:17], s[42:43]
	s_cbranch_execz .LBB146_725
; %bb.724:
	v_mov_b32_e32 v19, 0
	ds_read_b64 v[19:20], v19 offset:8832
	ds_read_b64 v[21:22], v7
	s_waitcnt lgkmcnt(0)
	v_mul_f32_e32 v23, v21, v19
	v_mul_f32_e32 v21, v21, v20
	v_fmac_f32_e32 v21, v22, v19
	v_fma_f32 v19, v22, v20, -v23
	v_add_f32_e32 v2, v2, v19
	v_sub_f32_e32 v3, v3, v21
.LBB146_725:
	s_or_b64 exec, exec, s[16:17]
	s_barrier
	s_and_saveexec_b64 s[16:17], s[42:43]
; %bb.726:
	v_xor_b32_e32 v20, 0x80000000, v3
	v_xor_b32_e32 v19, 0x80000000, v2
	ds_write_b64 v7, v[19:20]
; %bb.727:
	s_or_b64 exec, exec, s[16:17]
	s_waitcnt lgkmcnt(0)
	s_barrier
	s_barrier
	s_and_saveexec_b64 s[16:17], s[22:23]
; %bb.728:
	v_lshlrev_b32_e32 v19, 3, v4
	v_lshl_or_b32 v19, v5, 9, v19
	ds_write_b64 v19, v[2:3] offset:9344
; %bb.729:
	s_or_b64 exec, exec, s[16:17]
	s_waitcnt lgkmcnt(0)
	s_barrier
	s_barrier
	s_and_saveexec_b64 s[16:17], s[46:47]
	s_cbranch_execz .LBB146_731
; %bb.730:
	v_lshlrev_b32_e32 v19, 3, v0
	s_movk_i32 s18, 0x1f8
	v_mad_u32_u24 v20, v0, s18, v19
	ds_read_b64 v[2:3], v20 offset:9344
	s_waitcnt lgkmcnt(0)
	ds_write_b64 v19, v[2:3] offset:8336
	ds_read_b64 v[2:3], v20 offset:9352
	s_waitcnt lgkmcnt(0)
	ds_write_b64 v19, v[2:3] offset:8848
.LBB146_731:
	s_or_b64 exec, exec, s[16:17]
	s_waitcnt lgkmcnt(0)
	s_barrier
	s_and_saveexec_b64 s[16:17], vcc
	s_cbranch_execz .LBB146_733
; %bb.732:
	v_mov_b32_e32 v21, 0
	ds_read_b64 v[2:3], v21 offset:8832
	s_mov_b64 s[18:19], 0x3f800000
	v_mov_b32_e32 v20, s19
	v_mov_b32_e32 v19, s18
	s_movk_i32 s18, 0x2000
	ds_write_b64 v21, v[19:20] offset:8840
	v_add_u32_e64 v21, s18, 0
	s_waitcnt lgkmcnt(1)
	ds_write2_b64 v21, v[19:20], v[2:3] offset0:16 offset1:17
.LBB146_733:
	s_or_b64 exec, exec, s[16:17]
	v_mov_b32_e32 v3, 0
	v_mov_b32_e32 v2, 0
	s_waitcnt lgkmcnt(0)
	s_barrier
	buffer_wbinvl1_vol
	s_and_saveexec_b64 s[18:19], s[14:15]
	s_cbranch_execz .LBB146_761
; %bb.734:
	v_lshlrev_b32_e32 v19, 3, v16
	v_lshlrev_b32_e32 v20, 9, v17
	ds_read_b64 v[2:3], v19 offset:8192
	ds_read_b64 v[21:22], v20 offset:8320
	s_movk_i32 s16, 0xf0
	v_cmp_gt_u32_e64 s[16:17], s16, v9
	s_waitcnt lgkmcnt(0)
	v_mul_f32_e32 v23, v22, v3
	v_mul_f32_e32 v3, v21, v3
	v_fma_f32 v21, v21, v2, -v23
	v_fmac_f32_e32 v3, v22, v2
	v_add_f32_e32 v2, 0, v21
	v_add_f32_e32 v3, 0, v3
	s_and_saveexec_b64 s[20:21], s[16:17]
	s_cbranch_execz .LBB146_736
; %bb.735:
	ds_read_b64 v[21:22], v19 offset:8704
	ds_read_b64 v[23:24], v20 offset:8328
	s_waitcnt lgkmcnt(0)
	v_mul_f32_e32 v25, v24, v22
	v_mul_f32_e32 v22, v23, v22
	v_fma_f32 v23, v23, v21, -v25
	v_fmac_f32_e32 v22, v24, v21
	v_add_f32_e32 v2, v2, v23
	v_add_f32_e32 v3, v3, v22
.LBB146_736:
	s_or_b64 exec, exec, s[20:21]
	s_movk_i32 s16, 0xe0
	v_cmp_gt_u32_e64 s[16:17], s16, v9
	s_and_saveexec_b64 s[20:21], s[16:17]
	s_cbranch_execz .LBB146_738
; %bb.737:
	ds_read_b64 v[21:22], v19 offset:9216
	ds_read_b64 v[23:24], v20 offset:8336
	s_waitcnt lgkmcnt(0)
	v_mul_f32_e32 v25, v24, v22
	v_mul_f32_e32 v22, v23, v22
	v_fma_f32 v23, v23, v21, -v25
	v_fmac_f32_e32 v22, v24, v21
	v_add_f32_e32 v2, v2, v23
	v_add_f32_e32 v3, v3, v22
.LBB146_738:
	s_or_b64 exec, exec, s[20:21]
	s_movk_i32 s16, 0xd0
	v_cmp_gt_u32_e64 s[16:17], s16, v9
	;; [unrolled: 16-line block ×10, first 2 shown]
	s_and_saveexec_b64 s[20:21], s[16:17]
	s_cbranch_execnz .LBB146_1088
; %bb.755:
	s_or_b64 exec, exec, s[20:21]
	s_and_saveexec_b64 s[16:17], s[12:13]
	s_cbranch_execnz .LBB146_1089
.LBB146_756:
	s_or_b64 exec, exec, s[16:17]
	v_cmp_gt_u32_e64 s[16:17], 48, v9
	s_and_saveexec_b64 s[20:21], s[16:17]
	s_cbranch_execnz .LBB146_1090
.LBB146_757:
	s_or_b64 exec, exec, s[20:21]
	v_cmp_gt_u32_e64 s[16:17], 32, v9
	s_and_saveexec_b64 s[20:21], s[16:17]
	s_cbranch_execnz .LBB146_1091
.LBB146_758:
	s_or_b64 exec, exec, s[20:21]
	v_cmp_gt_u32_e64 s[16:17], 16, v9
	s_and_saveexec_b64 s[20:21], s[16:17]
	s_cbranch_execz .LBB146_760
.LBB146_759:
	v_lshlrev_b32_e32 v19, 3, v0
	v_mov_b32_e32 v21, 0
	ds_read_b64 v[19:20], v19 offset:15872
	ds_read_b64 v[21:22], v21 offset:16120
	s_waitcnt lgkmcnt(0)
	v_mul_f32_e32 v23, v22, v20
	v_mul_f32_e32 v20, v21, v20
	v_fma_f32 v21, v21, v19, -v23
	v_fmac_f32_e32 v20, v22, v19
	v_add_f32_e32 v2, v2, v21
	v_add_f32_e32 v3, v3, v20
.LBB146_760:
	s_or_b64 exec, exec, s[20:21]
.LBB146_761:
	s_or_b64 exec, exec, s[18:19]
	s_mov_b64 s[16:17], exec
	v_readlane_b32 s18, v29, 2
	v_readlane_b32 s19, v29, 3
	s_and_b64 s[18:19], s[16:17], s[18:19]
	s_mov_b64 exec, s[18:19]
; %bb.762:
	v_xor_b32_e32 v19, 0x80000000, v2
	v_xor_b32_e32 v20, 0x80000000, v3
	ds_write_b64 v18, v[19:20]
; %bb.763:
	s_or_b64 exec, exec, s[16:17]
	s_waitcnt lgkmcnt(0)
	s_barrier
	s_mov_b64 s[16:17], exec
	v_readlane_b32 s18, v29, 4
	v_readlane_b32 s19, v29, 5
	s_and_b64 s[18:19], s[16:17], s[18:19]
	s_mov_b64 exec, s[18:19]
	s_cbranch_execz .LBB146_765
; %bb.764:
	v_lshlrev_b32_e32 v19, 3, v16
	ds_read_b64 v[19:20], v19 offset:7680
	ds_read_b64 v[21:22], v18
	s_waitcnt lgkmcnt(0)
	v_mul_f32_e32 v23, v22, v20
	v_mul_f32_e32 v20, v21, v20
	v_fma_f32 v21, v21, v19, -v23
	v_fmac_f32_e32 v20, v22, v19
	v_sub_f32_e32 v2, v2, v21
	v_sub_f32_e32 v3, v3, v20
.LBB146_765:
	s_or_b64 exec, exec, s[16:17]
	s_barrier
	s_mov_b64 s[16:17], exec
	v_readlane_b32 s18, v29, 6
	v_readlane_b32 s19, v29, 7
	s_and_b64 s[18:19], s[16:17], s[18:19]
	s_mov_b64 exec, s[18:19]
; %bb.766:
	v_xor_b32_e32 v19, 0x80000000, v2
	v_xor_b32_e32 v20, 0x80000000, v3
	ds_write_b64 v18, v[19:20]
; %bb.767:
	s_or_b64 exec, exec, s[16:17]
	s_waitcnt lgkmcnt(0)
	s_barrier
	s_mov_b64 s[16:17], exec
	v_readlane_b32 s18, v29, 8
	v_readlane_b32 s19, v29, 9
	s_and_b64 s[18:19], s[16:17], s[18:19]
	s_mov_b64 exec, s[18:19]
	s_cbranch_execz .LBB146_769
; %bb.768:
	v_lshlrev_b32_e32 v19, 3, v16
	ds_read_b64 v[19:20], v19 offset:7168
	ds_read_b64 v[21:22], v18
	s_waitcnt lgkmcnt(0)
	v_mul_f32_e32 v23, v22, v20
	v_mul_f32_e32 v20, v21, v20
	v_fma_f32 v21, v21, v19, -v23
	v_fmac_f32_e32 v20, v22, v19
	v_sub_f32_e32 v2, v2, v21
	v_sub_f32_e32 v3, v3, v20
.LBB146_769:
	s_or_b64 exec, exec, s[16:17]
	s_barrier
	;; [unrolled: 33-line block ×14, first 2 shown]
	s_and_saveexec_b64 s[16:17], s[6:7]
; %bb.818:
	v_xor_b32_e32 v19, 0x80000000, v2
	v_xor_b32_e32 v20, 0x80000000, v3
	ds_write_b64 v18, v[19:20]
; %bb.819:
	s_or_b64 exec, exec, s[16:17]
	s_waitcnt lgkmcnt(0)
	s_barrier
	s_and_saveexec_b64 s[6:7], s[98:99]
	s_cbranch_execz .LBB146_821
; %bb.820:
	v_mov_b32_e32 v19, 0
	ds_read_b64 v[19:20], v19 offset:512
	ds_read_b64 v[21:22], v18
	s_waitcnt lgkmcnt(0)
	v_mul_f32_e32 v23, v22, v20
	v_mul_f32_e32 v20, v21, v20
	v_fma_f32 v21, v21, v19, -v23
	v_fmac_f32_e32 v20, v22, v19
	v_sub_f32_e32 v2, v2, v21
	v_sub_f32_e32 v3, v3, v20
.LBB146_821:
	s_or_b64 exec, exec, s[6:7]
	s_barrier
	s_and_saveexec_b64 s[6:7], s[98:99]
; %bb.822:
	v_xor_b32_e32 v19, 0x80000000, v2
	v_xor_b32_e32 v20, 0x80000000, v3
	ds_write_b64 v18, v[19:20]
; %bb.823:
	s_or_b64 exec, exec, s[6:7]
	s_waitcnt lgkmcnt(0)
	s_barrier
	s_barrier
	s_and_saveexec_b64 s[6:7], s[14:15]
; %bb.824:
	v_lshlrev_b32_e32 v16, 3, v16
	v_lshl_or_b32 v16, v17, 9, v16
	ds_write_b64 v16, v[2:3] offset:8192
; %bb.825:
	s_or_b64 exec, exec, s[6:7]
	s_waitcnt lgkmcnt(0)
	s_barrier
	s_barrier
	s_mov_b64 s[6:7], exec
	v_readlane_b32 s14, v29, 58
	v_readlane_b32 s15, v29, 59
	s_and_b64 s[14:15], s[6:7], s[14:15]
	s_mov_b64 exec, s[14:15]
	s_cbranch_execz .LBB146_827
; %bb.826:
	v_lshlrev_b32_e32 v16, 9, v0
	ds_read_b64 v[2:3], v16 offset:8192
	s_movk_i32 s14, 0xfe08
	v_mad_i32_i24 v17, v0, s14, v16
	s_waitcnt lgkmcnt(0)
	ds_write_b64 v17, v[2:3] offset:128
	ds_read_b64 v[2:3], v16 offset:8200
	s_waitcnt lgkmcnt(0)
	ds_write_b64 v17, v[2:3] offset:640
	ds_read_b64 v[2:3], v16 offset:8208
	;; [unrolled: 3-line block ×15, first 2 shown]
	s_waitcnt lgkmcnt(0)
	ds_write_b64 v17, v[2:3] offset:7808
.LBB146_827:
	s_or_b64 exec, exec, s[6:7]
	s_waitcnt lgkmcnt(0)
	s_barrier
	s_and_saveexec_b64 s[6:7], vcc
	s_cbranch_execz .LBB146_829
; %bb.828:
	v_mov_b32_e32 v18, 0
	ds_read_b64 v[2:3], v18 offset:7792
	s_mov_b64 s[14:15], 0x3f800000
	v_mov_b32_e32 v17, s15
	v_mov_b32_e32 v16, s14
	s_movk_i32 s14, 0x1800
	ds_write_b64 v18, v[16:17] offset:7800
	v_add_u32_e64 v18, s14, 0
	s_waitcnt lgkmcnt(1)
	ds_write2_b64 v18, v[16:17], v[2:3] offset0:142 offset1:143
.LBB146_829:
	s_or_b64 exec, exec, s[6:7]
	v_mov_b32_e32 v2, 0
	v_mov_b32_e32 v3, 0
	s_waitcnt lgkmcnt(0)
	s_barrier
	buffer_wbinvl1_vol
	s_and_saveexec_b64 s[6:7], s[22:23]
	s_cbranch_execz .LBB146_833
; %bb.830:
	v_lshlrev_b32_e32 v2, 3, v4
	v_lshlrev_b32_e32 v16, 9, v5
	ds_read_b64 v[2:3], v2 offset:7264
	ds_read_b64 v[16:17], v16 offset:7280
	v_cmp_gt_u32_e64 s[14:15], 2, v9
	s_waitcnt lgkmcnt(0)
	v_mul_f32_e32 v18, v17, v3
	v_mul_f32_e32 v3, v16, v3
	v_fma_f32 v16, v16, v2, -v18
	v_fmac_f32_e32 v3, v17, v2
	v_add_f32_e32 v2, 0, v16
	v_add_f32_e32 v3, 0, v3
	s_and_saveexec_b64 s[16:17], s[14:15]
	s_cbranch_execz .LBB146_832
; %bb.831:
	v_lshlrev_b32_e32 v16, 3, v0
	v_mov_b32_e32 v18, 0
	ds_read_b64 v[16:17], v16 offset:7776
	ds_read_b64 v[18:19], v18 offset:7800
	s_waitcnt lgkmcnt(0)
	v_mul_f32_e32 v20, v19, v17
	v_mul_f32_e32 v17, v18, v17
	v_fma_f32 v18, v18, v16, -v20
	v_fmac_f32_e32 v17, v19, v16
	v_add_f32_e32 v2, v2, v18
	v_add_f32_e32 v3, v3, v17
.LBB146_832:
	s_or_b64 exec, exec, s[16:17]
.LBB146_833:
	s_or_b64 exec, exec, s[6:7]
	s_and_saveexec_b64 s[6:7], s[44:45]
; %bb.834:
	v_xor_b32_e32 v17, 0x80000000, v3
	v_xor_b32_e32 v16, 0x80000000, v2
	ds_write_b64 v7, v[16:17]
; %bb.835:
	s_or_b64 exec, exec, s[6:7]
	s_waitcnt lgkmcnt(0)
	s_barrier
	s_and_saveexec_b64 s[6:7], s[42:43]
	s_cbranch_execz .LBB146_837
; %bb.836:
	v_mov_b32_e32 v16, 0
	ds_read_b64 v[16:17], v16 offset:6752
	ds_read_b64 v[18:19], v7
	s_waitcnt lgkmcnt(0)
	v_mul_f32_e32 v20, v18, v16
	v_mul_f32_e32 v18, v18, v17
	v_fmac_f32_e32 v18, v19, v16
	v_fma_f32 v16, v19, v17, -v20
	v_add_f32_e32 v2, v2, v16
	v_sub_f32_e32 v3, v3, v18
.LBB146_837:
	s_or_b64 exec, exec, s[6:7]
	s_barrier
	s_and_saveexec_b64 s[6:7], s[42:43]
; %bb.838:
	v_xor_b32_e32 v17, 0x80000000, v3
	v_xor_b32_e32 v16, 0x80000000, v2
	ds_write_b64 v7, v[16:17]
; %bb.839:
	s_or_b64 exec, exec, s[6:7]
	s_waitcnt lgkmcnt(0)
	s_barrier
	s_barrier
	s_and_saveexec_b64 s[6:7], s[22:23]
; %bb.840:
	v_lshlrev_b32_e32 v16, 3, v4
	v_lshl_or_b32 v16, v5, 9, v16
	ds_write_b64 v16, v[2:3] offset:7264
; %bb.841:
	s_or_b64 exec, exec, s[6:7]
	s_waitcnt lgkmcnt(0)
	s_barrier
	s_barrier
	s_and_saveexec_b64 s[6:7], s[46:47]
	s_cbranch_execz .LBB146_843
; %bb.842:
	v_lshlrev_b32_e32 v16, 3, v0
	s_movk_i32 s14, 0x1f8
	v_mad_u32_u24 v17, v0, s14, v16
	ds_read_b64 v[2:3], v17 offset:7264
	s_waitcnt lgkmcnt(0)
	ds_write_b64 v16, v[2:3] offset:6256
	ds_read_b64 v[2:3], v17 offset:7272
	s_waitcnt lgkmcnt(0)
	ds_write_b64 v16, v[2:3] offset:6768
.LBB146_843:
	s_or_b64 exec, exec, s[6:7]
	s_waitcnt lgkmcnt(0)
	s_barrier
	s_and_saveexec_b64 s[6:7], vcc
	s_cbranch_execz .LBB146_845
; %bb.844:
	v_mov_b32_e32 v18, 0
	ds_read_b64 v[2:3], v18 offset:6752
	s_mov_b64 s[14:15], 0x3f800000
	v_mov_b32_e32 v17, s15
	v_mov_b32_e32 v16, s14
	s_movk_i32 s14, 0x1800
	ds_write_b64 v18, v[16:17] offset:6760
	v_add_u32_e64 v18, s14, 0
	s_waitcnt lgkmcnt(1)
	ds_write2_b64 v18, v[16:17], v[2:3] offset0:12 offset1:13
.LBB146_845:
	s_or_b64 exec, exec, s[6:7]
	v_mov_b32_e32 v3, 0
	v_mov_b32_e32 v2, 0
	s_waitcnt lgkmcnt(0)
	s_barrier
	buffer_wbinvl1_vol
	s_and_saveexec_b64 s[6:7], s[10:11]
	s_cbranch_execz .LBB146_851
; %bb.846:
	v_lshlrev_b32_e32 v16, 3, v10
	v_lshlrev_b32_e32 v17, 9, v11
	ds_read_b64 v[2:3], v16 offset:6208
	ds_read_b64 v[18:19], v17 offset:6240
	v_cmp_gt_u32_e64 s[14:15], 12, v9
	s_waitcnt lgkmcnt(0)
	v_mul_f32_e32 v20, v19, v3
	v_mul_f32_e32 v3, v18, v3
	v_fma_f32 v18, v18, v2, -v20
	v_fmac_f32_e32 v3, v19, v2
	v_add_f32_e32 v2, 0, v18
	v_add_f32_e32 v3, 0, v3
	s_and_saveexec_b64 s[16:17], s[14:15]
	s_cbranch_execnz .LBB146_1092
; %bb.847:
	s_or_b64 exec, exec, s[16:17]
	v_cmp_gt_u32_e64 s[14:15], 8, v9
	s_and_saveexec_b64 s[16:17], s[14:15]
	s_cbranch_execnz .LBB146_1093
.LBB146_848:
	s_or_b64 exec, exec, s[16:17]
	v_cmp_gt_u32_e64 s[14:15], 4, v9
	s_and_saveexec_b64 s[16:17], s[14:15]
	s_cbranch_execz .LBB146_850
.LBB146_849:
	v_lshlrev_b32_e32 v16, 3, v0
	v_mov_b32_e32 v18, 0
	ds_read_b64 v[16:17], v16 offset:7744
	ds_read_b64 v[18:19], v18 offset:7800
	s_waitcnt lgkmcnt(0)
	v_mul_f32_e32 v20, v19, v17
	v_mul_f32_e32 v17, v18, v17
	v_fma_f32 v18, v18, v16, -v20
	v_fmac_f32_e32 v17, v19, v16
	v_add_f32_e32 v2, v2, v18
	v_add_f32_e32 v3, v3, v17
.LBB146_850:
	s_or_b64 exec, exec, s[16:17]
.LBB146_851:
	s_or_b64 exec, exec, s[6:7]
	s_and_saveexec_b64 s[6:7], s[50:51]
; %bb.852:
	v_xor_b32_e32 v16, 0x80000000, v2
	v_xor_b32_e32 v17, 0x80000000, v3
	ds_write_b64 v12, v[16:17]
; %bb.853:
	s_or_b64 exec, exec, s[6:7]
	s_waitcnt lgkmcnt(0)
	s_barrier
	s_and_saveexec_b64 s[6:7], s[52:53]
	s_cbranch_execz .LBB146_855
; %bb.854:
	v_lshlrev_b32_e32 v16, 3, v10
	ds_read_b64 v[16:17], v16 offset:5696
	ds_read_b64 v[18:19], v12
	s_waitcnt lgkmcnt(0)
	v_mul_f32_e32 v20, v19, v17
	v_mul_f32_e32 v17, v18, v17
	v_fma_f32 v18, v18, v16, -v20
	v_fmac_f32_e32 v17, v19, v16
	v_sub_f32_e32 v2, v2, v18
	v_sub_f32_e32 v3, v3, v17
.LBB146_855:
	s_or_b64 exec, exec, s[6:7]
	s_barrier
	s_and_saveexec_b64 s[6:7], s[54:55]
; %bb.856:
	v_xor_b32_e32 v16, 0x80000000, v2
	v_xor_b32_e32 v17, 0x80000000, v3
	ds_write_b64 v12, v[16:17]
; %bb.857:
	s_or_b64 exec, exec, s[6:7]
	s_waitcnt lgkmcnt(0)
	s_barrier
	s_and_saveexec_b64 s[6:7], s[56:57]
	s_cbranch_execz .LBB146_859
; %bb.858:
	v_lshlrev_b32_e32 v16, 3, v10
	ds_read_b64 v[16:17], v16 offset:5184
	ds_read_b64 v[18:19], v12
	s_waitcnt lgkmcnt(0)
	v_mul_f32_e32 v20, v19, v17
	v_mul_f32_e32 v17, v18, v17
	v_fma_f32 v18, v18, v16, -v20
	v_fmac_f32_e32 v17, v19, v16
	v_sub_f32_e32 v2, v2, v18
	v_sub_f32_e32 v3, v3, v17
.LBB146_859:
	s_or_b64 exec, exec, s[6:7]
	s_barrier
	s_and_saveexec_b64 s[6:7], s[58:59]
; %bb.860:
	v_xor_b32_e32 v16, 0x80000000, v2
	v_xor_b32_e32 v17, 0x80000000, v3
	ds_write_b64 v12, v[16:17]
; %bb.861:
	s_or_b64 exec, exec, s[6:7]
	s_waitcnt lgkmcnt(0)
	s_barrier
	s_and_saveexec_b64 s[6:7], s[48:49]
	s_cbranch_execz .LBB146_863
; %bb.862:
	v_mov_b32_e32 v16, 0
	ds_read_b64 v[16:17], v16 offset:4672
	ds_read_b64 v[18:19], v12
	s_waitcnt lgkmcnt(0)
	v_mul_f32_e32 v20, v19, v17
	v_mul_f32_e32 v17, v18, v17
	v_fma_f32 v18, v18, v16, -v20
	v_fmac_f32_e32 v17, v19, v16
	v_sub_f32_e32 v2, v2, v18
	v_sub_f32_e32 v3, v3, v17
.LBB146_863:
	s_or_b64 exec, exec, s[6:7]
	s_barrier
	s_and_saveexec_b64 s[6:7], s[48:49]
; %bb.864:
	v_xor_b32_e32 v16, 0x80000000, v2
	v_xor_b32_e32 v17, 0x80000000, v3
	ds_write_b64 v12, v[16:17]
; %bb.865:
	s_or_b64 exec, exec, s[6:7]
	s_waitcnt lgkmcnt(0)
	s_barrier
	s_barrier
	s_and_saveexec_b64 s[6:7], s[10:11]
; %bb.866:
	v_lshlrev_b32_e32 v16, 3, v10
	v_lshl_or_b32 v16, v11, 9, v16
	ds_write_b64 v16, v[2:3] offset:6208
; %bb.867:
	s_or_b64 exec, exec, s[6:7]
	s_waitcnt lgkmcnt(0)
	s_barrier
	s_barrier
	s_and_saveexec_b64 s[6:7], s[60:61]
	s_cbranch_execz .LBB146_869
; %bb.868:
	v_lshlrev_b32_e32 v16, 9, v0
	ds_read_b64 v[2:3], v16 offset:6208
	s_movk_i32 s14, 0xfe08
	v_mad_i32_i24 v17, v0, s14, v16
	s_waitcnt lgkmcnt(0)
	ds_write_b64 v17, v[2:3] offset:4192
	ds_read_b64 v[2:3], v16 offset:6216
	s_waitcnt lgkmcnt(0)
	ds_write_b64 v17, v[2:3] offset:4704
	ds_read_b64 v[2:3], v16 offset:6224
	;; [unrolled: 3-line block ×3, first 2 shown]
	s_waitcnt lgkmcnt(0)
	ds_write_b64 v17, v[2:3] offset:5728
.LBB146_869:
	s_or_b64 exec, exec, s[6:7]
	s_waitcnt lgkmcnt(0)
	s_barrier
	s_and_saveexec_b64 s[6:7], vcc
	s_cbranch_execz .LBB146_871
; %bb.870:
	v_mov_b32_e32 v18, 0
	ds_read_b64 v[2:3], v18 offset:5712
	s_mov_b64 s[14:15], 0x3f800000
	v_mov_b32_e32 v17, s15
	v_mov_b32_e32 v16, s14
	s_movk_i32 s14, 0x1000
	ds_write_b64 v18, v[16:17] offset:5720
	v_add_u32_e64 v18, s14, 0
	s_waitcnt lgkmcnt(1)
	ds_write2_b64 v18, v[16:17], v[2:3] offset0:138 offset1:139
.LBB146_871:
	s_or_b64 exec, exec, s[6:7]
	v_mov_b32_e32 v2, 0
	v_mov_b32_e32 v3, 0
	s_waitcnt lgkmcnt(0)
	s_barrier
	buffer_wbinvl1_vol
	s_and_saveexec_b64 s[6:7], s[22:23]
	s_cbranch_execz .LBB146_875
; %bb.872:
	v_lshlrev_b32_e32 v2, 3, v4
	v_lshlrev_b32_e32 v16, 9, v5
	ds_read_b64 v[2:3], v2 offset:5184
	ds_read_b64 v[16:17], v16 offset:5200
	v_cmp_gt_u32_e64 s[14:15], 2, v9
	s_waitcnt lgkmcnt(0)
	v_mul_f32_e32 v18, v17, v3
	v_mul_f32_e32 v3, v16, v3
	v_fma_f32 v16, v16, v2, -v18
	v_fmac_f32_e32 v3, v17, v2
	v_add_f32_e32 v2, 0, v16
	v_add_f32_e32 v3, 0, v3
	s_and_saveexec_b64 s[16:17], s[14:15]
	s_cbranch_execz .LBB146_874
; %bb.873:
	v_lshlrev_b32_e32 v16, 3, v0
	v_mov_b32_e32 v18, 0
	ds_read_b64 v[16:17], v16 offset:5696
	ds_read_b64 v[18:19], v18 offset:5720
	s_waitcnt lgkmcnt(0)
	v_mul_f32_e32 v20, v19, v17
	v_mul_f32_e32 v17, v18, v17
	v_fma_f32 v18, v18, v16, -v20
	v_fmac_f32_e32 v17, v19, v16
	v_add_f32_e32 v2, v2, v18
	v_add_f32_e32 v3, v3, v17
.LBB146_874:
	s_or_b64 exec, exec, s[16:17]
.LBB146_875:
	s_or_b64 exec, exec, s[6:7]
	s_and_saveexec_b64 s[6:7], s[44:45]
; %bb.876:
	v_xor_b32_e32 v17, 0x80000000, v3
	v_xor_b32_e32 v16, 0x80000000, v2
	ds_write_b64 v7, v[16:17]
; %bb.877:
	s_or_b64 exec, exec, s[6:7]
	s_waitcnt lgkmcnt(0)
	s_barrier
	s_and_saveexec_b64 s[6:7], s[42:43]
	s_cbranch_execz .LBB146_879
; %bb.878:
	v_mov_b32_e32 v16, 0
	ds_read_b64 v[16:17], v16 offset:4672
	ds_read_b64 v[18:19], v7
	s_waitcnt lgkmcnt(0)
	v_mul_f32_e32 v20, v18, v16
	v_mul_f32_e32 v18, v18, v17
	v_fmac_f32_e32 v18, v19, v16
	v_fma_f32 v16, v19, v17, -v20
	v_add_f32_e32 v2, v2, v16
	v_sub_f32_e32 v3, v3, v18
.LBB146_879:
	s_or_b64 exec, exec, s[6:7]
	s_barrier
	s_and_saveexec_b64 s[6:7], s[42:43]
; %bb.880:
	v_xor_b32_e32 v17, 0x80000000, v3
	v_xor_b32_e32 v16, 0x80000000, v2
	ds_write_b64 v7, v[16:17]
; %bb.881:
	s_or_b64 exec, exec, s[6:7]
	s_waitcnt lgkmcnt(0)
	s_barrier
	s_barrier
	s_and_saveexec_b64 s[6:7], s[22:23]
; %bb.882:
	v_lshlrev_b32_e32 v16, 3, v4
	v_lshl_or_b32 v16, v5, 9, v16
	ds_write_b64 v16, v[2:3] offset:5184
; %bb.883:
	s_or_b64 exec, exec, s[6:7]
	s_waitcnt lgkmcnt(0)
	s_barrier
	s_barrier
	s_and_saveexec_b64 s[6:7], s[46:47]
	s_cbranch_execz .LBB146_885
; %bb.884:
	v_lshlrev_b32_e32 v16, 3, v0
	s_movk_i32 s14, 0x1f8
	v_mad_u32_u24 v17, v0, s14, v16
	ds_read_b64 v[2:3], v17 offset:5184
	s_waitcnt lgkmcnt(0)
	ds_write_b64 v16, v[2:3] offset:4176
	ds_read_b64 v[2:3], v17 offset:5192
	s_waitcnt lgkmcnt(0)
	ds_write_b64 v16, v[2:3] offset:4688
.LBB146_885:
	s_or_b64 exec, exec, s[6:7]
	s_waitcnt lgkmcnt(0)
	s_barrier
	s_and_saveexec_b64 s[6:7], vcc
	s_cbranch_execz .LBB146_887
; %bb.886:
	v_mov_b32_e32 v18, 0
	ds_read_b64 v[2:3], v18 offset:4672
	s_mov_b64 s[14:15], 0x3f800000
	v_mov_b32_e32 v17, s15
	v_mov_b32_e32 v16, s14
	s_movk_i32 s14, 0x1000
	ds_write_b64 v18, v[16:17] offset:4680
	v_add_u32_e64 v18, s14, 0
	s_waitcnt lgkmcnt(1)
	ds_write2_b64 v18, v[16:17], v[2:3] offset0:8 offset1:9
.LBB146_887:
	s_or_b64 exec, exec, s[6:7]
	v_mov_b32_e32 v3, 0
	v_mov_b32_e32 v2, 0
	s_waitcnt lgkmcnt(0)
	s_barrier
	buffer_wbinvl1_vol
	s_and_saveexec_b64 s[6:7], s[12:13]
	s_cbranch_execz .LBB146_897
; %bb.888:
	v_lshlrev_b32_e32 v16, 3, v13
	v_lshlrev_b32_e32 v17, 9, v14
	ds_read_b64 v[2:3], v16 offset:4096
	ds_read_b64 v[18:19], v17 offset:4160
	v_cmp_gt_u32_e64 s[14:15], 56, v9
	s_waitcnt lgkmcnt(0)
	v_mul_f32_e32 v20, v19, v3
	v_mul_f32_e32 v3, v18, v3
	v_fma_f32 v18, v18, v2, -v20
	v_fmac_f32_e32 v3, v19, v2
	v_add_f32_e32 v2, 0, v18
	v_add_f32_e32 v3, 0, v3
	s_and_saveexec_b64 s[16:17], s[14:15]
	s_cbranch_execnz .LBB146_1094
; %bb.889:
	s_or_b64 exec, exec, s[16:17]
	v_cmp_gt_u32_e64 s[14:15], 48, v9
	s_and_saveexec_b64 s[16:17], s[14:15]
	s_cbranch_execnz .LBB146_1095
.LBB146_890:
	s_or_b64 exec, exec, s[16:17]
	v_cmp_gt_u32_e64 s[14:15], 40, v9
	s_and_saveexec_b64 s[16:17], s[14:15]
	s_cbranch_execnz .LBB146_1096
.LBB146_891:
	s_or_b64 exec, exec, s[16:17]
	v_cmp_gt_u32_e64 s[14:15], 32, v9
	s_and_saveexec_b64 s[16:17], s[14:15]
	s_cbranch_execnz .LBB146_1097
.LBB146_892:
	s_or_b64 exec, exec, s[16:17]
	v_cmp_gt_u32_e64 s[14:15], 24, v9
	s_and_saveexec_b64 s[16:17], s[14:15]
	s_cbranch_execnz .LBB146_1098
.LBB146_893:
	s_or_b64 exec, exec, s[16:17]
	s_and_saveexec_b64 s[14:15], s[10:11]
	s_cbranch_execnz .LBB146_1099
.LBB146_894:
	s_or_b64 exec, exec, s[14:15]
	v_cmp_gt_u32_e64 s[14:15], 8, v9
	s_and_saveexec_b64 s[16:17], s[14:15]
	s_cbranch_execz .LBB146_896
.LBB146_895:
	v_lshlrev_b32_e32 v16, 3, v0
	v_mov_b32_e32 v18, 0
	ds_read_b64 v[16:17], v16 offset:7680
	ds_read_b64 v[18:19], v18 offset:7800
	s_waitcnt lgkmcnt(0)
	v_mul_f32_e32 v20, v19, v17
	v_mul_f32_e32 v17, v18, v17
	v_fma_f32 v18, v18, v16, -v20
	v_fmac_f32_e32 v17, v19, v16
	v_add_f32_e32 v2, v2, v18
	v_add_f32_e32 v3, v3, v17
.LBB146_896:
	s_or_b64 exec, exec, s[16:17]
.LBB146_897:
	s_or_b64 exec, exec, s[6:7]
	s_and_saveexec_b64 s[6:7], s[64:65]
; %bb.898:
	v_xor_b32_e32 v17, 0x80000000, v3
	v_xor_b32_e32 v16, 0x80000000, v2
	ds_write_b64 v15, v[16:17]
; %bb.899:
	s_or_b64 exec, exec, s[6:7]
	s_waitcnt lgkmcnt(0)
	s_barrier
	s_and_saveexec_b64 s[6:7], s[66:67]
	s_cbranch_execz .LBB146_901
; %bb.900:
	v_lshlrev_b32_e32 v16, 3, v13
	ds_read_b64 v[16:17], v16 offset:3584
	ds_read_b64 v[18:19], v15
	s_waitcnt lgkmcnt(0)
	v_mul_f32_e32 v20, v19, v17
	v_mul_f32_e32 v17, v18, v17
	v_fma_f32 v18, v18, v16, -v20
	v_fmac_f32_e32 v17, v19, v16
	v_sub_f32_e32 v2, v2, v18
	v_sub_f32_e32 v3, v3, v17
.LBB146_901:
	s_or_b64 exec, exec, s[6:7]
	s_barrier
	s_and_saveexec_b64 s[6:7], s[68:69]
; %bb.902:
	v_xor_b32_e32 v17, 0x80000000, v3
	v_xor_b32_e32 v16, 0x80000000, v2
	ds_write_b64 v15, v[16:17]
; %bb.903:
	s_or_b64 exec, exec, s[6:7]
	s_waitcnt lgkmcnt(0)
	s_barrier
	s_and_saveexec_b64 s[6:7], s[70:71]
	s_cbranch_execz .LBB146_905
; %bb.904:
	v_lshlrev_b32_e32 v16, 3, v13
	ds_read_b64 v[16:17], v16 offset:3072
	ds_read_b64 v[18:19], v15
	s_waitcnt lgkmcnt(0)
	v_mul_f32_e32 v20, v19, v17
	v_mul_f32_e32 v17, v18, v17
	v_fma_f32 v18, v18, v16, -v20
	v_fmac_f32_e32 v17, v19, v16
	v_sub_f32_e32 v2, v2, v18
	v_sub_f32_e32 v3, v3, v17
.LBB146_905:
	s_or_b64 exec, exec, s[6:7]
	s_barrier
	;; [unrolled: 25-line block ×6, first 2 shown]
	s_and_saveexec_b64 s[6:7], s[88:89]
; %bb.922:
	v_xor_b32_e32 v17, 0x80000000, v3
	v_xor_b32_e32 v16, 0x80000000, v2
	ds_write_b64 v15, v[16:17]
; %bb.923:
	s_or_b64 exec, exec, s[6:7]
	s_waitcnt lgkmcnt(0)
	s_barrier
	s_and_saveexec_b64 s[6:7], s[62:63]
	s_cbranch_execz .LBB146_925
; %bb.924:
	v_mov_b32_e32 v16, 0
	ds_read_b64 v[16:17], v16 offset:512
	ds_read_b64 v[18:19], v15
	s_waitcnt lgkmcnt(0)
	v_mul_f32_e32 v20, v19, v17
	v_mul_f32_e32 v17, v18, v17
	v_fma_f32 v18, v18, v16, -v20
	v_fmac_f32_e32 v17, v19, v16
	v_sub_f32_e32 v2, v2, v18
	v_sub_f32_e32 v3, v3, v17
.LBB146_925:
	s_or_b64 exec, exec, s[6:7]
	s_barrier
	s_and_saveexec_b64 s[6:7], s[62:63]
; %bb.926:
	v_xor_b32_e32 v17, 0x80000000, v3
	v_xor_b32_e32 v16, 0x80000000, v2
	ds_write_b64 v15, v[16:17]
; %bb.927:
	s_or_b64 exec, exec, s[6:7]
	s_waitcnt lgkmcnt(0)
	s_barrier
	s_barrier
	s_and_saveexec_b64 s[6:7], s[12:13]
; %bb.928:
	v_lshlrev_b32_e32 v13, 3, v13
	v_lshl_or_b32 v13, v14, 9, v13
	ds_write_b64 v13, v[2:3] offset:4096
; %bb.929:
	s_or_b64 exec, exec, s[6:7]
	s_waitcnt lgkmcnt(0)
	s_barrier
	s_barrier
	s_and_saveexec_b64 s[6:7], s[90:91]
	s_cbranch_execz .LBB146_931
; %bb.930:
	v_lshlrev_b32_e32 v13, 9, v0
	ds_read_b64 v[2:3], v13 offset:4096
	s_movk_i32 s12, 0xfe08
	v_mad_i32_i24 v14, v0, s12, v13
	s_waitcnt lgkmcnt(0)
	ds_write_b64 v14, v[2:3] offset:64
	ds_read_b64 v[2:3], v13 offset:4104
	s_waitcnt lgkmcnt(0)
	ds_write_b64 v14, v[2:3] offset:576
	ds_read_b64 v[2:3], v13 offset:4112
	;; [unrolled: 3-line block ×7, first 2 shown]
	s_waitcnt lgkmcnt(0)
	ds_write_b64 v14, v[2:3] offset:3648
.LBB146_931:
	s_or_b64 exec, exec, s[6:7]
	s_waitcnt lgkmcnt(0)
	s_barrier
	s_and_saveexec_b64 s[6:7], vcc
	s_cbranch_execz .LBB146_933
; %bb.932:
	v_mov_b32_e32 v15, 0
	ds_read_b64 v[2:3], v15 offset:3632
	s_mov_b64 s[12:13], 0x3f800000
	v_mov_b32_e32 v14, s13
	v_mov_b32_e32 v13, s12
	s_movk_i32 s12, 0x800
	ds_write_b64 v15, v[13:14] offset:3640
	v_add_u32_e64 v15, s12, 0
	s_waitcnt lgkmcnt(1)
	ds_write2_b64 v15, v[13:14], v[2:3] offset0:134 offset1:135
.LBB146_933:
	s_or_b64 exec, exec, s[6:7]
	v_mov_b32_e32 v2, 0
	v_mov_b32_e32 v3, 0
	s_waitcnt lgkmcnt(0)
	s_barrier
	buffer_wbinvl1_vol
	s_and_saveexec_b64 s[6:7], s[22:23]
	s_cbranch_execz .LBB146_937
; %bb.934:
	v_lshlrev_b32_e32 v2, 3, v4
	v_lshlrev_b32_e32 v13, 9, v5
	ds_read_b64 v[2:3], v2 offset:3104
	ds_read_b64 v[13:14], v13 offset:3120
	v_cmp_gt_u32_e64 s[12:13], 2, v9
	s_waitcnt lgkmcnt(0)
	v_mul_f32_e32 v15, v14, v3
	v_mul_f32_e32 v3, v13, v3
	v_fma_f32 v13, v13, v2, -v15
	v_fmac_f32_e32 v3, v14, v2
	v_add_f32_e32 v2, 0, v13
	v_add_f32_e32 v3, 0, v3
	s_and_saveexec_b64 s[14:15], s[12:13]
	s_cbranch_execz .LBB146_936
; %bb.935:
	v_lshlrev_b32_e32 v13, 3, v0
	v_mov_b32_e32 v15, 0
	ds_read_b64 v[13:14], v13 offset:3616
	ds_read_b64 v[15:16], v15 offset:3640
	s_waitcnt lgkmcnt(0)
	v_mul_f32_e32 v17, v16, v14
	v_mul_f32_e32 v14, v15, v14
	v_fma_f32 v15, v15, v13, -v17
	v_fmac_f32_e32 v14, v16, v13
	v_add_f32_e32 v2, v2, v15
	v_add_f32_e32 v3, v3, v14
.LBB146_936:
	s_or_b64 exec, exec, s[14:15]
.LBB146_937:
	s_or_b64 exec, exec, s[6:7]
	s_and_saveexec_b64 s[6:7], s[44:45]
; %bb.938:
	v_xor_b32_e32 v14, 0x80000000, v3
	v_xor_b32_e32 v13, 0x80000000, v2
	ds_write_b64 v7, v[13:14]
; %bb.939:
	s_or_b64 exec, exec, s[6:7]
	s_waitcnt lgkmcnt(0)
	s_barrier
	s_and_saveexec_b64 s[6:7], s[42:43]
	s_cbranch_execz .LBB146_941
; %bb.940:
	v_mov_b32_e32 v13, 0
	ds_read_b64 v[13:14], v13 offset:2592
	ds_read_b64 v[15:16], v7
	s_waitcnt lgkmcnt(0)
	v_mul_f32_e32 v17, v15, v13
	v_mul_f32_e32 v15, v15, v14
	v_fmac_f32_e32 v15, v16, v13
	v_fma_f32 v13, v16, v14, -v17
	v_add_f32_e32 v2, v2, v13
	v_sub_f32_e32 v3, v3, v15
.LBB146_941:
	s_or_b64 exec, exec, s[6:7]
	s_barrier
	s_and_saveexec_b64 s[6:7], s[42:43]
; %bb.942:
	v_xor_b32_e32 v14, 0x80000000, v3
	v_xor_b32_e32 v13, 0x80000000, v2
	ds_write_b64 v7, v[13:14]
; %bb.943:
	s_or_b64 exec, exec, s[6:7]
	s_waitcnt lgkmcnt(0)
	s_barrier
	s_barrier
	s_and_saveexec_b64 s[6:7], s[22:23]
; %bb.944:
	v_lshlrev_b32_e32 v13, 3, v4
	v_lshl_or_b32 v13, v5, 9, v13
	ds_write_b64 v13, v[2:3] offset:3104
; %bb.945:
	s_or_b64 exec, exec, s[6:7]
	s_waitcnt lgkmcnt(0)
	s_barrier
	s_barrier
	s_and_saveexec_b64 s[6:7], s[46:47]
	s_cbranch_execz .LBB146_947
; %bb.946:
	v_lshlrev_b32_e32 v13, 3, v0
	s_movk_i32 s12, 0x1f8
	v_mad_u32_u24 v14, v0, s12, v13
	ds_read_b64 v[2:3], v14 offset:3104
	s_waitcnt lgkmcnt(0)
	ds_write_b64 v13, v[2:3] offset:2096
	ds_read_b64 v[2:3], v14 offset:3112
	s_waitcnt lgkmcnt(0)
	ds_write_b64 v13, v[2:3] offset:2608
.LBB146_947:
	s_or_b64 exec, exec, s[6:7]
	s_waitcnt lgkmcnt(0)
	s_barrier
	s_and_saveexec_b64 s[6:7], vcc
	s_cbranch_execz .LBB146_949
; %bb.948:
	v_mov_b32_e32 v15, 0
	ds_read_b64 v[2:3], v15 offset:2592
	s_mov_b64 s[12:13], 0x3f800000
	v_mov_b32_e32 v14, s13
	v_mov_b32_e32 v13, s12
	s_movk_i32 s12, 0x800
	ds_write_b64 v15, v[13:14] offset:2600
	v_add_u32_e64 v15, s12, 0
	s_waitcnt lgkmcnt(1)
	ds_write2_b64 v15, v[13:14], v[2:3] offset0:4 offset1:5
.LBB146_949:
	s_or_b64 exec, exec, s[6:7]
	v_mov_b32_e32 v3, 0
	v_mov_b32_e32 v2, 0
	s_waitcnt lgkmcnt(0)
	s_barrier
	buffer_wbinvl1_vol
	s_and_saveexec_b64 s[6:7], s[10:11]
	s_cbranch_execz .LBB146_955
; %bb.950:
	v_lshlrev_b32_e32 v13, 3, v10
	v_lshlrev_b32_e32 v14, 9, v11
	ds_read_b64 v[2:3], v13 offset:2048
	ds_read_b64 v[15:16], v14 offset:2080
	v_cmp_gt_u32_e64 s[12:13], 12, v9
	s_waitcnt lgkmcnt(0)
	v_mul_f32_e32 v17, v16, v3
	v_mul_f32_e32 v3, v15, v3
	v_fma_f32 v15, v15, v2, -v17
	v_fmac_f32_e32 v3, v16, v2
	v_add_f32_e32 v2, 0, v15
	v_add_f32_e32 v3, 0, v3
	s_and_saveexec_b64 s[14:15], s[12:13]
	s_cbranch_execnz .LBB146_1100
; %bb.951:
	s_or_b64 exec, exec, s[14:15]
	v_cmp_gt_u32_e64 s[12:13], 8, v9
	s_and_saveexec_b64 s[14:15], s[12:13]
	s_cbranch_execnz .LBB146_1101
.LBB146_952:
	s_or_b64 exec, exec, s[14:15]
	v_cmp_gt_u32_e64 s[12:13], 4, v9
	s_and_saveexec_b64 s[14:15], s[12:13]
	s_cbranch_execz .LBB146_954
.LBB146_953:
	v_lshlrev_b32_e32 v13, 3, v0
	v_mov_b32_e32 v15, 0
	ds_read_b64 v[13:14], v13 offset:3584
	ds_read_b64 v[15:16], v15 offset:3640
	s_waitcnt lgkmcnt(0)
	v_mul_f32_e32 v17, v16, v14
	v_mul_f32_e32 v14, v15, v14
	v_fma_f32 v15, v15, v13, -v17
	v_fmac_f32_e32 v14, v16, v13
	v_add_f32_e32 v2, v2, v15
	v_add_f32_e32 v3, v3, v14
.LBB146_954:
	s_or_b64 exec, exec, s[14:15]
.LBB146_955:
	s_or_b64 exec, exec, s[6:7]
	s_and_saveexec_b64 s[6:7], s[50:51]
; %bb.956:
	v_xor_b32_e32 v13, 0x80000000, v2
	v_xor_b32_e32 v14, 0x80000000, v3
	ds_write_b64 v12, v[13:14]
; %bb.957:
	s_or_b64 exec, exec, s[6:7]
	s_waitcnt lgkmcnt(0)
	s_barrier
	s_and_saveexec_b64 s[6:7], s[52:53]
	s_load_dword s20, s[4:5], 0x6c
	v_readlane_b32 s50, v29, 0
	v_readlane_b32 s51, v29, 1
	s_cbranch_execz .LBB146_959
; %bb.958:
	v_lshlrev_b32_e32 v13, 3, v10
	ds_read_b64 v[13:14], v13 offset:1536
	ds_read_b64 v[15:16], v12
	s_waitcnt lgkmcnt(0)
	v_mul_f32_e32 v17, v16, v14
	v_mul_f32_e32 v14, v15, v14
	v_fma_f32 v15, v15, v13, -v17
	v_fmac_f32_e32 v14, v16, v13
	v_sub_f32_e32 v2, v2, v15
	v_sub_f32_e32 v3, v3, v14
.LBB146_959:
	s_or_b64 exec, exec, s[6:7]
	s_waitcnt lgkmcnt(0)
	s_barrier
	s_and_saveexec_b64 s[6:7], s[54:55]
; %bb.960:
	v_xor_b32_e32 v13, 0x80000000, v2
	v_xor_b32_e32 v14, 0x80000000, v3
	ds_write_b64 v12, v[13:14]
; %bb.961:
	s_or_b64 exec, exec, s[6:7]
	s_waitcnt lgkmcnt(0)
	s_barrier
	s_and_saveexec_b64 s[6:7], s[56:57]
	s_cbranch_execz .LBB146_963
; %bb.962:
	v_lshlrev_b32_e32 v13, 3, v10
	ds_read_b64 v[13:14], v13 offset:1024
	ds_read_b64 v[15:16], v12
	s_waitcnt lgkmcnt(0)
	v_mul_f32_e32 v17, v16, v14
	v_mul_f32_e32 v14, v15, v14
	v_fma_f32 v15, v15, v13, -v17
	v_fmac_f32_e32 v14, v16, v13
	v_sub_f32_e32 v2, v2, v15
	v_sub_f32_e32 v3, v3, v14
.LBB146_963:
	s_or_b64 exec, exec, s[6:7]
	s_barrier
	s_and_saveexec_b64 s[6:7], s[58:59]
; %bb.964:
	v_xor_b32_e32 v13, 0x80000000, v2
	v_xor_b32_e32 v14, 0x80000000, v3
	ds_write_b64 v12, v[13:14]
; %bb.965:
	s_or_b64 exec, exec, s[6:7]
	s_waitcnt lgkmcnt(0)
	s_barrier
	s_and_saveexec_b64 s[6:7], s[48:49]
	s_cbranch_execz .LBB146_967
; %bb.966:
	v_mov_b32_e32 v13, 0
	ds_read_b64 v[13:14], v13 offset:512
	ds_read_b64 v[15:16], v12
	s_waitcnt lgkmcnt(0)
	v_mul_f32_e32 v17, v16, v14
	v_mul_f32_e32 v14, v15, v14
	v_fma_f32 v15, v15, v13, -v17
	v_fmac_f32_e32 v14, v16, v13
	v_sub_f32_e32 v2, v2, v15
	v_sub_f32_e32 v3, v3, v14
.LBB146_967:
	s_or_b64 exec, exec, s[6:7]
	s_barrier
	s_and_saveexec_b64 s[6:7], s[48:49]
; %bb.968:
	v_xor_b32_e32 v13, 0x80000000, v2
	v_xor_b32_e32 v14, 0x80000000, v3
	ds_write_b64 v12, v[13:14]
; %bb.969:
	s_or_b64 exec, exec, s[6:7]
	s_waitcnt lgkmcnt(0)
	s_barrier
	s_barrier
	s_and_saveexec_b64 s[6:7], s[10:11]
; %bb.970:
	v_lshlrev_b32_e32 v10, 3, v10
	v_lshl_or_b32 v10, v11, 9, v10
	ds_write_b64 v10, v[2:3] offset:2048
; %bb.971:
	s_or_b64 exec, exec, s[6:7]
	s_waitcnt lgkmcnt(0)
	s_barrier
	s_barrier
	s_and_saveexec_b64 s[6:7], s[60:61]
	s_cbranch_execz .LBB146_973
; %bb.972:
	v_lshlrev_b32_e32 v10, 9, v0
	ds_read_b64 v[2:3], v10 offset:2048
	s_movk_i32 s10, 0xfe08
	v_mad_i32_i24 v11, v0, s10, v10
	s_waitcnt lgkmcnt(0)
	ds_write_b64 v11, v[2:3] offset:32
	ds_read_b64 v[2:3], v10 offset:2056
	s_waitcnt lgkmcnt(0)
	ds_write_b64 v11, v[2:3] offset:544
	ds_read_b64 v[2:3], v10 offset:2064
	s_waitcnt lgkmcnt(0)
	ds_write_b64 v11, v[2:3] offset:1056
	ds_read_b64 v[2:3], v10 offset:2072
	s_waitcnt lgkmcnt(0)
	ds_write_b64 v11, v[2:3] offset:1568
.LBB146_973:
	s_or_b64 exec, exec, s[6:7]
	s_waitcnt lgkmcnt(0)
	s_barrier
	s_and_saveexec_b64 s[6:7], vcc
	s_cbranch_execz .LBB146_975
; %bb.974:
	v_mov_b32_e32 v12, 0
	ds_read_b64 v[2:3], v12 offset:1552
	s_mov_b64 s[10:11], 0x3f800000
	v_mov_b32_e32 v10, s10
	v_mov_b32_e32 v11, s11
	ds_write_b64 v12, v[10:11] offset:1560
	s_waitcnt lgkmcnt(1)
	ds_write2_b64 v12, v[10:11], v[2:3] offset0:130 offset1:131
.LBB146_975:
	s_or_b64 exec, exec, s[6:7]
	v_mov_b32_e32 v2, 0
	v_mov_b32_e32 v3, 0
	s_waitcnt lgkmcnt(0)
	s_barrier
	buffer_wbinvl1_vol
	s_and_saveexec_b64 s[6:7], s[22:23]
	s_cbranch_execz .LBB146_979
; %bb.976:
	v_lshlrev_b32_e32 v2, 3, v4
	v_lshlrev_b32_e32 v10, 9, v5
	ds_read_b64 v[2:3], v2 offset:1024
	ds_read_b64 v[10:11], v10 offset:1040
	v_cmp_gt_u32_e64 s[10:11], 2, v9
	s_waitcnt lgkmcnt(0)
	v_mul_f32_e32 v12, v11, v3
	v_mul_f32_e32 v3, v10, v3
	v_fma_f32 v10, v10, v2, -v12
	v_fmac_f32_e32 v3, v11, v2
	v_add_f32_e32 v2, 0, v10
	v_add_f32_e32 v3, 0, v3
	s_and_saveexec_b64 s[12:13], s[10:11]
	s_cbranch_execz .LBB146_978
; %bb.977:
	v_lshlrev_b32_e32 v9, 3, v0
	v_mov_b32_e32 v11, 0
	ds_read_b64 v[9:10], v9 offset:1536
	ds_read_b64 v[11:12], v11 offset:1560
	s_waitcnt lgkmcnt(0)
	v_mul_f32_e32 v13, v12, v10
	v_mul_f32_e32 v10, v11, v10
	v_fma_f32 v11, v11, v9, -v13
	v_fmac_f32_e32 v10, v12, v9
	v_add_f32_e32 v2, v2, v11
	v_add_f32_e32 v3, v3, v10
.LBB146_978:
	s_or_b64 exec, exec, s[12:13]
.LBB146_979:
	s_or_b64 exec, exec, s[6:7]
	s_and_saveexec_b64 s[6:7], s[44:45]
; %bb.980:
	v_xor_b32_e32 v10, 0x80000000, v3
	v_xor_b32_e32 v9, 0x80000000, v2
	ds_write_b64 v7, v[9:10]
; %bb.981:
	s_or_b64 exec, exec, s[6:7]
	s_waitcnt lgkmcnt(0)
	s_barrier
	s_and_saveexec_b64 s[6:7], s[42:43]
	s_cbranch_execz .LBB146_983
; %bb.982:
	v_mov_b32_e32 v9, 0
	ds_read_b64 v[9:10], v9 offset:512
	ds_read_b64 v[11:12], v7
	s_waitcnt lgkmcnt(0)
	v_mul_f32_e32 v13, v11, v9
	v_mul_f32_e32 v11, v11, v10
	v_fmac_f32_e32 v11, v12, v9
	v_fma_f32 v9, v12, v10, -v13
	v_add_f32_e32 v2, v2, v9
	v_sub_f32_e32 v3, v3, v11
.LBB146_983:
	s_or_b64 exec, exec, s[6:7]
	s_barrier
	s_and_saveexec_b64 s[6:7], s[42:43]
; %bb.984:
	v_xor_b32_e32 v10, 0x80000000, v3
	v_xor_b32_e32 v9, 0x80000000, v2
	ds_write_b64 v7, v[9:10]
; %bb.985:
	s_or_b64 exec, exec, s[6:7]
	s_waitcnt lgkmcnt(0)
	s_barrier
	s_barrier
	s_and_saveexec_b64 s[6:7], s[22:23]
; %bb.986:
	v_lshlrev_b32_e32 v4, 3, v4
	v_lshl_or_b32 v4, v5, 9, v4
	ds_write_b64 v4, v[2:3] offset:1024
; %bb.987:
	s_or_b64 exec, exec, s[6:7]
	s_waitcnt lgkmcnt(0)
	s_barrier
	s_barrier
	s_and_saveexec_b64 s[6:7], s[46:47]
	s_cbranch_execz .LBB146_989
; %bb.988:
	v_lshlrev_b32_e32 v4, 3, v0
	s_movk_i32 s10, 0x1f8
	v_mad_u32_u24 v5, v0, s10, v4
	ds_read_b64 v[2:3], v5 offset:1024
	s_waitcnt lgkmcnt(0)
	ds_write_b64 v4, v[2:3] offset:16
	ds_read_b64 v[2:3], v5 offset:1032
	s_waitcnt lgkmcnt(0)
	ds_write_b64 v4, v[2:3] offset:528
.LBB146_989:
	s_or_b64 exec, exec, s[6:7]
	s_waitcnt lgkmcnt(0)
	s_barrier
	s_and_saveexec_b64 s[6:7], vcc
	s_cbranch_execz .LBB146_991
; %bb.990:
	v_mov_b32_e32 v7, 0
	ds_read_b64 v[2:3], v7 offset:512
	s_mov_b64 s[10:11], 0x3f800000
	v_mov_b32_e32 v4, s10
	v_mov_b32_e32 v5, s11
	ds_write_b64 v7, v[4:5] offset:520
	s_waitcnt lgkmcnt(1)
	ds_write2_b64 v7, v[4:5], v[2:3] offset1:1
.LBB146_991:
	s_or_b64 exec, exec, s[6:7]
.LBB146_992:
	s_lshl_b64 s[6:7], s[28:29], 3
	s_add_u32 s28, s40, s6
	v_cmp_le_i32_e32 vcc, s9, v0
	s_addc_u32 s29, s41, s7
	s_and_b64 s[18:19], vcc, s[26:27]
	v_cmp_eq_u32_e64 s[16:17], 0, v1
	s_xor_b64 s[6:7], s[18:19], -1
	v_mov_b32_e32 v2, 0
	s_and_b64 s[10:11], s[16:17], s[6:7]
	v_lshl_add_u32 v4, s8, 6, v0
	v_mov_b32_e32 v3, v2
	s_waitcnt lgkmcnt(0)
	s_barrier
	s_and_saveexec_b64 s[6:7], s[10:11]
	s_cbranch_execz .LBB146_994
; %bb.993:
	v_ashrrev_i32_e32 v5, 31, v4
	v_mul_lo_u32 v7, s31, v4
	v_mad_u64_u32 v[2:3], s[10:11], s30, v4, 0
	v_mul_lo_u32 v5, s30, v5
	v_add3_u32 v3, v3, v5, v7
	v_lshlrev_b64 v[2:3], 3, v[2:3]
	v_mov_b32_e32 v5, s29
	v_add_co_u32_e32 v2, vcc, s28, v2
	v_addc_co_u32_e32 v3, vcc, v5, v3, vcc
	flat_load_dwordx2 v[9:10], v[2:3]
	s_waitcnt vmcnt(0) lgkmcnt(0)
	v_mul_f32_e32 v2, s38, v9
	v_mul_f32_e32 v3, s38, v10
	v_fma_f32 v2, s39, v10, -v2
	v_fma_f32 v3, v9, -s39, -v3
.LBB146_994:
	s_or_b64 exec, exec, s[6:7]
	s_load_dwordx2 s[6:7], s[4:5], 0x50
	s_and_b32 s4, 0xffff, s20
	v_mad_u32_u24 v9, v1, s4, v0
	s_cmp_lt_i32 s8, 1
	v_cmp_eq_u32_e64 s[4:5], 0, v9
	s_cbranch_scc1 .LBB146_1013
; %bb.995:
	v_mad_u64_u32 v[11:12], s[10:11], s36, v4, 0
	v_cmp_gt_i32_e64 s[12:13], s33, v4
	s_mov_b64 s[20:21], src_private_base
	v_mov_b32_e32 v5, v12
	v_mad_u64_u32 v[12:13], s[10:11], s37, v4, v[5:6]
	v_mov_b32_e32 v5, 0xa000
	v_lshl_add_u32 v7, v9, 3, v5
	v_lshl_or_b32 v10, v1, 3, v5
	v_lshlrev_b64 v[4:5], 3, v[11:12]
	s_lshl_b64 s[10:11], s[34:35], 2
	s_waitcnt lgkmcnt(0)
	s_add_u32 s22, s6, s10
	v_mov_b32_e32 v12, s95
	v_add_co_u32_e32 v11, vcc, s94, v4
	s_mov_b32 s20, 0
	s_addc_u32 s23, s7, s11
	v_cmp_gt_u32_e64 s[10:11], 64, v9
	s_add_i32 s36, s8, -1
	v_addc_co_u32_e32 v12, vcc, v12, v5, vcc
	v_mov_b32_e32 v15, -1
	v_mov_b32_e32 v5, 0
	v_mov_b32_e32 v13, 0
	;; [unrolled: 1-line block ×5, first 2 shown]
	s_branch .LBB146_997
.LBB146_996:                            ;   in Loop: Header=BB146_997 Depth=1
	s_or_b64 exec, exec, s[24:25]
	s_add_i32 s20, s20, 1
	s_cmp_eq_u32 s20, s8
	s_cbranch_scc1 .LBB146_1013
.LBB146_997:                            ; =>This Loop Header: Depth=1
                                        ;     Child Loop BB146_999 Depth 2
	v_cmp_gt_i32_e32 vcc, s20, v15
	s_and_b64 s[24:25], s[4:5], vcc
	s_and_saveexec_b64 s[14:15], s[24:25]
	s_cbranch_execz .LBB146_1000
; %bb.998:                              ;   in Loop: Header=BB146_997 Depth=1
	global_load_dword v15, v5, s[22:23]
	s_waitcnt vmcnt(0)
	v_cmp_le_i32_e32 vcc, s20, v15
	s_cbranch_vccnz .LBB146_1000
.LBB146_999:                            ;   Parent Loop BB146_997 Depth=1
                                        ; =>  This Inner Loop Header: Depth=2
	buffer_wbinvl1_vol
	global_load_dword v15, v5, s[22:23]
	s_waitcnt vmcnt(0)
	v_cmp_gt_i32_e32 vcc, s20, v15
	s_cbranch_vccnz .LBB146_999
.LBB146_1000:                           ;   in Loop: Header=BB146_997 Depth=1
	s_or_b64 exec, exec, s[14:15]
	s_lshl_b32 s37, s20, 6
	buffer_wbinvl1_vol
	s_barrier
	s_and_saveexec_b64 s[14:15], s[10:11]
	s_cbranch_execz .LBB146_1005
; %bb.1001:                             ;   in Loop: Header=BB146_997 Depth=1
	v_or_b32_e32 v4, s37, v9
	v_cmp_le_i32_e32 vcc, s33, v4
	s_and_saveexec_b64 s[24:25], vcc
	s_xor_b64 s[24:25], exec, s[24:25]
; %bb.1002:                             ;   in Loop: Header=BB146_997 Depth=1
	v_mov_b32_e32 v4, v5
	ds_write_b64 v7, v[4:5]
                                        ; implicit-def: $vgpr4
; %bb.1003:                             ;   in Loop: Header=BB146_997 Depth=1
	s_andn2_saveexec_b64 s[24:25], s[24:25]
	s_cbranch_execz .LBB146_1005
; %bb.1004:                             ;   in Loop: Header=BB146_997 Depth=1
	v_mad_u64_u32 v[18:19], s[24:25], s30, v4, 0
	v_mad_u64_u32 v[19:20], s[24:25], s31, v4, v[19:20]
	v_mov_b32_e32 v4, s29
	v_lshlrev_b64 v[18:19], 3, v[18:19]
	v_add_co_u32_e32 v18, vcc, s28, v18
	v_addc_co_u32_e32 v19, vcc, v4, v19, vcc
	flat_load_dwordx2 v[18:19], v[18:19]
	s_waitcnt vmcnt(0) lgkmcnt(0)
	ds_write_b64 v7, v[18:19]
.LBB146_1005:                           ;   in Loop: Header=BB146_997 Depth=1
	s_or_b64 exec, exec, s[14:15]
	v_add_u32_e32 v4, s37, v1
	v_lshlrev_b64 v[19:20], 3, v[4:5]
	s_cmp_eq_u32 s20, s36
	v_add_co_u32_e32 v19, vcc, v11, v19
	v_addc_co_u32_e32 v18, vcc, v12, v20, vcc
	v_cmp_gt_i32_e32 vcc, s33, v4
	s_cselect_b64 s[14:15], -1, 0
	s_and_b64 s[38:39], vcc, s[12:13]
	s_waitcnt lgkmcnt(0)
	s_barrier
	s_and_saveexec_b64 s[24:25], s[38:39]
	s_cbranch_execz .LBB146_1007
; %bb.1006:                             ;   in Loop: Header=BB146_997 Depth=1
	v_mov_b32_e32 v20, s21
	v_cndmask_b32_e64 v21, v18, v20, s[14:15]
	v_cndmask_b32_e64 v20, v19, v13, s[14:15]
	flat_load_dwordx2 v[20:21], v[20:21]
	ds_read_b64 v[22:23], v10
	s_waitcnt vmcnt(0) lgkmcnt(0)
	v_mul_f32_e32 v24, v23, v21
	v_mul_f32_e32 v21, v22, v21
	v_fma_f32 v22, v22, v20, -v24
	v_fmac_f32_e32 v21, v23, v20
	v_add_f32_e32 v2, v2, v22
	v_add_f32_e32 v3, v3, v21
.LBB146_1007:                           ;   in Loop: Header=BB146_997 Depth=1
	s_or_b64 exec, exec, s[24:25]
	v_add_u32_e32 v20, 16, v4
	v_cmp_gt_i32_e32 vcc, s33, v20
	s_and_b64 s[38:39], vcc, s[12:13]
	s_and_saveexec_b64 s[24:25], s[38:39]
	s_cbranch_execz .LBB146_1009
; %bb.1008:                             ;   in Loop: Header=BB146_997 Depth=1
	v_add_co_u32_e32 v20, vcc, 0x80, v19
	v_addc_co_u32_e32 v21, vcc, 0, v18, vcc
	v_mov_b32_e32 v22, s21
	v_cndmask_b32_e64 v21, v21, v22, s[14:15]
	v_cndmask_b32_e64 v20, v20, v14, s[14:15]
	flat_load_dwordx2 v[20:21], v[20:21]
	ds_read_b64 v[22:23], v10 offset:128
	s_waitcnt vmcnt(0) lgkmcnt(0)
	v_mul_f32_e32 v24, v23, v21
	v_mul_f32_e32 v21, v22, v21
	v_fma_f32 v22, v22, v20, -v24
	v_fmac_f32_e32 v21, v23, v20
	v_add_f32_e32 v2, v2, v22
	v_add_f32_e32 v3, v3, v21
.LBB146_1009:                           ;   in Loop: Header=BB146_997 Depth=1
	s_or_b64 exec, exec, s[24:25]
	v_add_u32_e32 v20, 32, v4
	v_cmp_gt_i32_e32 vcc, s33, v20
	s_and_b64 s[38:39], vcc, s[12:13]
	s_and_saveexec_b64 s[24:25], s[38:39]
	s_cbranch_execz .LBB146_1011
; %bb.1010:                             ;   in Loop: Header=BB146_997 Depth=1
	v_add_co_u32_e32 v20, vcc, 0x100, v19
	v_addc_co_u32_e32 v21, vcc, 0, v18, vcc
	v_mov_b32_e32 v22, s21
	v_cndmask_b32_e64 v21, v21, v22, s[14:15]
	v_cndmask_b32_e64 v20, v20, v16, s[14:15]
	flat_load_dwordx2 v[20:21], v[20:21]
	ds_read_b64 v[22:23], v10 offset:256
	s_waitcnt vmcnt(0) lgkmcnt(0)
	v_mul_f32_e32 v24, v23, v21
	v_mul_f32_e32 v21, v22, v21
	v_fma_f32 v22, v22, v20, -v24
	v_fmac_f32_e32 v21, v23, v20
	v_add_f32_e32 v2, v2, v22
	v_add_f32_e32 v3, v3, v21
.LBB146_1011:                           ;   in Loop: Header=BB146_997 Depth=1
	s_or_b64 exec, exec, s[24:25]
	v_add_u32_e32 v4, 48, v4
	v_cmp_gt_i32_e32 vcc, s33, v4
	s_and_b64 s[38:39], vcc, s[12:13]
	s_and_saveexec_b64 s[24:25], s[38:39]
	s_cbranch_execz .LBB146_996
; %bb.1012:                             ;   in Loop: Header=BB146_997 Depth=1
	v_add_co_u32_e32 v4, vcc, 0x180, v19
	v_addc_co_u32_e32 v18, vcc, 0, v18, vcc
	v_mov_b32_e32 v19, s21
	v_cndmask_b32_e64 v19, v18, v19, s[14:15]
	v_cndmask_b32_e64 v18, v4, v17, s[14:15]
	flat_load_dwordx2 v[18:19], v[18:19]
	ds_read_b64 v[20:21], v10 offset:384
	s_waitcnt vmcnt(0) lgkmcnt(0)
	v_mul_f32_e32 v4, v21, v19
	v_mul_f32_e32 v19, v20, v19
	v_fma_f32 v4, v20, v18, -v4
	v_fmac_f32_e32 v19, v21, v18
	v_add_f32_e32 v2, v2, v4
	v_add_f32_e32 v3, v3, v19
	s_branch .LBB146_996
.LBB146_1013:
	s_xor_b64 s[4:5], s[26:27], -1
	v_lshlrev_b32_e32 v6, 3, v6
	ds_write_b64 v6, v[2:3] offset:32768
	s_waitcnt lgkmcnt(0)
	s_barrier
	s_and_saveexec_b64 s[10:11], s[16:17]
	s_cbranch_execz .LBB146_1015
; %bb.1014:
	v_lshlrev_b32_e32 v7, 3, v0
	ds_read2st64_b64 v[10:13], v7 offset0:65 offset1:66
	ds_read2st64_b64 v[14:17], v7 offset0:67 offset1:68
	ds_read_b64 v[18:19], v7 offset:40448
	s_waitcnt lgkmcnt(2)
	v_add_f32_e32 v2, v2, v10
	v_add_f32_e32 v3, v3, v11
	;; [unrolled: 1-line block ×4, first 2 shown]
	ds_read2st64_b64 v[2:5], v7 offset0:69 offset1:70
	s_waitcnt lgkmcnt(2)
	v_add_f32_e32 v10, v10, v14
	v_add_f32_e32 v11, v11, v15
	;; [unrolled: 1-line block ×4, first 2 shown]
	s_waitcnt lgkmcnt(0)
	v_add_f32_e32 v2, v10, v2
	ds_read2st64_b64 v[10:13], v7 offset0:71 offset1:72
	v_add_f32_e32 v3, v14, v3
	v_add_f32_e32 v14, v2, v4
	;; [unrolled: 1-line block ×3, first 2 shown]
	ds_read2st64_b64 v[2:5], v7 offset0:73 offset1:74
	s_waitcnt lgkmcnt(1)
	v_add_f32_e32 v10, v14, v10
	v_add_f32_e32 v11, v15, v11
	;; [unrolled: 1-line block ×4, first 2 shown]
	s_waitcnt lgkmcnt(0)
	v_add_f32_e32 v2, v10, v2
	ds_read2st64_b64 v[10:13], v7 offset0:75 offset1:76
	v_add_f32_e32 v3, v14, v3
	v_add_f32_e32 v14, v2, v4
	v_add_f32_e32 v15, v3, v5
	ds_read2st64_b64 v[2:5], v7 offset0:77 offset1:78
	s_waitcnt lgkmcnt(1)
	v_add_f32_e32 v7, v14, v10
	v_add_f32_e32 v10, v15, v11
	v_add_f32_e32 v7, v7, v12
	v_add_f32_e32 v10, v10, v13
	s_waitcnt lgkmcnt(0)
	v_add_f32_e32 v2, v7, v2
	v_add_f32_e32 v3, v10, v3
	;; [unrolled: 1-line block ×6, first 2 shown]
	v_cndmask_b32_e64 v2, -v2, 0, s[18:19]
	v_cndmask_b32_e64 v3, -v3, 0, s[18:19]
.LBB146_1015:
	s_or_b64 exec, exec, s[10:11]
	s_and_b64 vcc, exec, s[50:51]
	s_cbranch_vccnz .LBB146_1028
; %bb.1016:
	v_mov_b32_e32 v4, 0xa000
	v_lshl_or_b32 v7, v1, 3, v4
	s_and_saveexec_b64 s[10:11], s[16:17]
; %bb.1017:
	v_lshl_add_u32 v4, v0, 3, v7
	ds_write_b64 v4, v[2:3]
; %bb.1018:
	s_or_b64 exec, exec, s[10:11]
	v_cmp_le_u32_e32 vcc, v1, v0
	v_mov_b32_e32 v4, 0
	v_mov_b32_e32 v5, 0
	s_waitcnt lgkmcnt(0)
	s_barrier
	s_and_saveexec_b64 s[10:11], vcc
	s_cbranch_execz .LBB146_1020
; %bb.1019:
	ds_read_b64 v[4:5], v6
	ds_read_b64 v[10:11], v7
	s_waitcnt lgkmcnt(0)
	v_mul_f32_e32 v12, v11, v5
	v_mul_f32_e32 v5, v10, v5
	v_fma_f32 v10, v10, v4, -v12
	v_fmac_f32_e32 v5, v11, v4
	v_add_f32_e32 v4, 0, v10
	v_add_f32_e32 v5, 0, v5
.LBB146_1020:
	s_or_b64 exec, exec, s[10:11]
	v_add_u32_e32 v10, 16, v1
	v_cmp_ge_u32_e32 vcc, v0, v10
	s_and_saveexec_b64 s[10:11], vcc
	s_cbranch_execz .LBB146_1022
; %bb.1021:
	ds_read_b64 v[10:11], v6 offset:8192
	ds_read_b64 v[12:13], v7 offset:128
	s_waitcnt lgkmcnt(0)
	v_mul_f32_e32 v14, v13, v11
	v_mul_f32_e32 v11, v12, v11
	v_fma_f32 v12, v12, v10, -v14
	v_fmac_f32_e32 v11, v13, v10
	v_add_f32_e32 v4, v4, v12
	v_add_f32_e32 v5, v5, v11
.LBB146_1022:
	s_or_b64 exec, exec, s[10:11]
	v_add_u32_e32 v10, 32, v1
	v_cmp_ge_u32_e32 vcc, v0, v10
	s_and_saveexec_b64 s[10:11], vcc
	s_cbranch_execz .LBB146_1024
; %bb.1023:
	ds_read_b64 v[10:11], v6 offset:16384
	ds_read_b64 v[12:13], v7 offset:256
	s_waitcnt lgkmcnt(0)
	v_mul_f32_e32 v14, v13, v11
	v_mul_f32_e32 v11, v12, v11
	v_fma_f32 v12, v12, v10, -v14
	v_fmac_f32_e32 v11, v13, v10
	v_add_f32_e32 v4, v4, v12
	v_add_f32_e32 v5, v5, v11
.LBB146_1024:
	s_or_b64 exec, exec, s[10:11]
	v_add_u32_e32 v1, 48, v1
	v_add_u32_e32 v10, 0x8000, v6
	v_cmp_ge_u32_e32 vcc, v0, v1
	s_and_saveexec_b64 s[10:11], vcc
	s_cbranch_execz .LBB146_1026
; %bb.1025:
	ds_read_b64 v[11:12], v6 offset:24576
	ds_read_b64 v[6:7], v7 offset:384
	s_waitcnt lgkmcnt(0)
	v_mul_f32_e32 v1, v7, v12
	v_mul_f32_e32 v12, v6, v12
	v_fma_f32 v1, v6, v11, -v1
	v_fmac_f32_e32 v12, v7, v11
	v_add_f32_e32 v4, v4, v1
	v_add_f32_e32 v5, v5, v12
.LBB146_1026:
	s_or_b64 exec, exec, s[10:11]
	s_mov_b64 s[12:13], 0
	s_mov_b64 s[10:11], 0
	ds_write_b64 v10, v[4:5]
	s_waitcnt lgkmcnt(0)
	s_barrier
                                        ; implicit-def: $vgpr1
                                        ; implicit-def: $vgpr10
                                        ; implicit-def: $vgpr6_vgpr7
	s_and_saveexec_b64 s[14:15], s[16:17]
	s_cbranch_execz .LBB146_1041
; %bb.1027:
	v_lshlrev_b32_e32 v1, 3, v0
	ds_read2st64_b64 v[10:13], v1 offset0:65 offset1:66
	ds_read2st64_b64 v[14:17], v1 offset0:67 offset1:68
	ds_read_b64 v[18:19], v1 offset:40448
	s_mov_b64 s[10:11], exec
	s_waitcnt lgkmcnt(2)
	v_add_f32_e32 v4, v4, v10
	v_add_f32_e32 v5, v5, v11
	;; [unrolled: 1-line block ×4, first 2 shown]
	ds_read2st64_b64 v[4:7], v1 offset0:69 offset1:70
	s_waitcnt lgkmcnt(2)
	v_add_f32_e32 v10, v10, v14
	v_add_f32_e32 v11, v11, v15
	;; [unrolled: 1-line block ×4, first 2 shown]
	s_waitcnt lgkmcnt(0)
	v_add_f32_e32 v4, v10, v4
	ds_read2st64_b64 v[10:13], v1 offset0:71 offset1:72
	v_add_f32_e32 v5, v14, v5
	v_add_f32_e32 v14, v4, v6
	;; [unrolled: 1-line block ×3, first 2 shown]
	ds_read2st64_b64 v[4:7], v1 offset0:73 offset1:74
	s_waitcnt lgkmcnt(1)
	v_add_f32_e32 v10, v14, v10
	v_add_f32_e32 v11, v15, v11
	;; [unrolled: 1-line block ×4, first 2 shown]
	s_waitcnt lgkmcnt(0)
	v_add_f32_e32 v4, v10, v4
	ds_read2st64_b64 v[10:13], v1 offset0:75 offset1:76
	v_add_f32_e32 v5, v14, v5
	v_add_f32_e32 v4, v4, v6
	;; [unrolled: 1-line block ×3, first 2 shown]
	ds_read2st64_b64 v[14:17], v1 offset0:77 offset1:78
	s_waitcnt lgkmcnt(1)
	v_add_f32_e32 v1, v4, v10
	v_add_f32_e32 v4, v5, v11
	v_lshl_add_u32 v5, s8, 6, v9
	v_mad_u64_u32 v[6:7], s[18:19], s30, v5, 0
	v_add_f32_e32 v1, v1, v12
	s_waitcnt lgkmcnt(0)
	v_add_f32_e32 v1, v1, v14
	v_add_f32_e32 v4, v4, v13
	;; [unrolled: 1-line block ×3, first 2 shown]
	v_mov_b32_e32 v1, v7
	v_add_f32_e32 v10, v4, v15
	v_mad_u64_u32 v[4:5], s[18:19], s31, v5, v[1:2]
	v_add_f32_e32 v1, v10, v17
	v_add_f32_e32 v10, v11, v18
	;; [unrolled: 1-line block ×3, first 2 shown]
	v_mov_b32_e32 v7, v4
	s_or_b64 exec, exec, s[14:15]
	s_and_b64 vcc, exec, s[12:13]
	s_cbranch_vccnz .LBB146_1029
	s_branch .LBB146_1042
.LBB146_1028:
	s_mov_b64 s[10:11], 0
                                        ; implicit-def: $vgpr1
                                        ; implicit-def: $vgpr10
                                        ; implicit-def: $vgpr6_vgpr7
	s_cbranch_execz .LBB146_1042
.LBB146_1029:
	s_mov_b32 s14, 0
	v_mov_b32_e32 v1, 0
	v_mov_b32_e32 v4, v0
	s_branch .LBB146_1031
.LBB146_1030:                           ;   in Loop: Header=BB146_1031 Depth=1
	s_or_b64 exec, exec, s[12:13]
	s_add_i32 s14, s14, 2
	v_add_u32_e32 v8, 0x400, v8
	s_cmp_lg_u32 s14, 64
	v_add_u32_e32 v4, -2, v4
	s_barrier
	s_cbranch_scc0 .LBB146_1039
.LBB146_1031:                           ; =>This Inner Loop Header: Depth=1
	v_cmp_eq_u32_e32 vcc, 0, v4
	s_and_b64 s[18:19], s[16:17], vcc
	s_and_saveexec_b64 s[12:13], s[18:19]
; %bb.1032:                             ;   in Loop: Header=BB146_1031 Depth=1
	ds_write_b64 v1, v[2:3] offset:41472
; %bb.1033:                             ;   in Loop: Header=BB146_1031 Depth=1
	s_or_b64 exec, exec, s[12:13]
	v_cmp_lt_u32_e32 vcc, s14, v0
	s_and_b64 s[18:19], s[16:17], vcc
	s_waitcnt lgkmcnt(0)
	s_barrier
	s_and_saveexec_b64 s[12:13], s[18:19]
	s_cbranch_execz .LBB146_1035
; %bb.1034:                             ;   in Loop: Header=BB146_1031 Depth=1
	ds_read_b64 v[5:6], v8
	ds_read_b64 v[10:11], v1 offset:41472
	s_waitcnt lgkmcnt(0)
	v_mul_f32_e32 v7, v11, v6
	v_mul_f32_e32 v6, v10, v6
	v_fma_f32 v7, v10, v5, -v7
	v_fmac_f32_e32 v6, v11, v5
	v_add_f32_e32 v2, v2, v7
	v_add_f32_e32 v3, v3, v6
.LBB146_1035:                           ;   in Loop: Header=BB146_1031 Depth=1
	s_or_b64 exec, exec, s[12:13]
	s_or_b32 s15, s14, 1
	v_cmp_eq_u32_e32 vcc, s15, v0
	s_and_b64 s[18:19], s[16:17], vcc
	s_barrier
	s_and_saveexec_b64 s[12:13], s[18:19]
; %bb.1036:                             ;   in Loop: Header=BB146_1031 Depth=1
	ds_write_b64 v1, v[2:3] offset:41472
; %bb.1037:                             ;   in Loop: Header=BB146_1031 Depth=1
	s_or_b64 exec, exec, s[12:13]
	v_cmp_lt_u32_e32 vcc, s15, v0
	s_and_b64 s[18:19], s[16:17], vcc
	s_waitcnt lgkmcnt(0)
	s_barrier
	s_and_saveexec_b64 s[12:13], s[18:19]
	s_cbranch_execz .LBB146_1030
; %bb.1038:                             ;   in Loop: Header=BB146_1031 Depth=1
	ds_read_b64 v[5:6], v8 offset:512
	ds_read_b64 v[10:11], v1 offset:41472
	s_waitcnt lgkmcnt(0)
	v_mul_f32_e32 v7, v11, v6
	v_mul_f32_e32 v6, v10, v6
	v_fma_f32 v7, v10, v5, -v7
	v_fmac_f32_e32 v6, v11, v5
	v_add_f32_e32 v2, v2, v7
	v_add_f32_e32 v3, v3, v6
	s_branch .LBB146_1030
.LBB146_1039:
	s_and_b64 vcc, exec, s[4:5]
	s_cbranch_vccz .LBB146_1043
; %bb.1040:
	s_and_b64 s[4:5], s[16:17], exec
	s_cbranch_execz .LBB146_1044
	s_branch .LBB146_1045
.LBB146_1041:
	s_or_b64 exec, exec, s[14:15]
	s_and_b64 vcc, exec, s[12:13]
	s_cbranch_vccnz .LBB146_1029
.LBB146_1042:
	v_mov_b32_e32 v3, v1
	v_mov_b32_e32 v2, v10
	s_and_saveexec_b64 s[4:5], s[10:11]
	s_cbranch_execnz .LBB146_1048
	s_branch .LBB146_1049
.LBB146_1043:
	s_mov_b64 s[4:5], 0
.LBB146_1044:
	v_cmp_gt_i32_e32 vcc, s9, v0
	s_and_b64 s[12:13], s[16:17], vcc
	s_andn2_b64 s[4:5], s[4:5], exec
	s_and_b64 s[12:13], s[12:13], exec
	s_or_b64 s[4:5], s[4:5], s[12:13]
.LBB146_1045:
                                        ; implicit-def: $vgpr6_vgpr7
	s_and_saveexec_b64 s[12:13], s[4:5]
	s_cbranch_execz .LBB146_1047
; %bb.1046:
	s_lshl_b32 s4, s8, 6
	s_ashr_i32 s5, s4, 31
	v_mov_b32_e32 v0, s5
	v_add_co_u32_e32 v1, vcc, s4, v9
	v_addc_co_u32_e32 v0, vcc, 0, v0, vcc
	v_mul_lo_u32 v0, v0, s30
	v_mul_lo_u32 v4, v1, s31
	v_mad_u64_u32 v[6:7], s[4:5], v1, s30, 0
	s_or_b64 s[10:11], s[10:11], exec
	v_add3_u32 v7, v7, v4, v0
.LBB146_1047:
	s_or_b64 exec, exec, s[12:13]
	s_and_saveexec_b64 s[4:5], s[10:11]
	s_cbranch_execz .LBB146_1049
.LBB146_1048:
	v_lshlrev_b64 v[0:1], 3, v[6:7]
	v_mov_b32_e32 v4, s29
	v_add_co_u32_e32 v0, vcc, s28, v0
	v_addc_co_u32_e32 v1, vcc, v4, v1, vcc
	flat_store_dwordx2 v[0:1], v[2:3]
.LBB146_1049:
	s_or_b64 exec, exec, s[4:5]
	v_cmp_eq_u32_e32 vcc, 0, v9
	s_waitcnt vmcnt(0) lgkmcnt(0)
	buffer_wbinvl1_vol
	s_barrier
	s_and_saveexec_b64 s[4:5], vcc
	s_cbranch_execz .LBB146_1051
; %bb.1050:
	s_lshl_b64 s[8:9], s[34:35], 2
	s_add_u32 s6, s6, s8
	s_addc_u32 s7, s7, s9
	v_mov_b32_e32 v0, 0
	global_load_dword v1, v0, s[6:7]
	s_waitcnt vmcnt(0)
	v_add_u32_e32 v1, 1, v1
	global_store_dword v0, v1, s[6:7]
.LBB146_1051:
	s_or_b64 exec, exec, s[4:5]
	s_waitcnt vmcnt(0)
	buffer_wbinvl1_vol
	s_endpgm
.LBB146_1052:
	ds_read_b64 v[15:16], v13 offset:31680
	ds_read_b64 v[17:18], v14 offset:31208
	s_waitcnt lgkmcnt(0)
	v_mul_f32_e32 v19, v18, v16
	v_mul_f32_e32 v16, v17, v16
	v_fma_f32 v17, v17, v15, -v19
	v_fmac_f32_e32 v16, v18, v15
	v_add_f32_e32 v2, v2, v17
	v_add_f32_e32 v3, v3, v16
	s_or_b64 exec, exec, s[18:19]
	v_cmp_gt_u32_e64 s[14:15], 8, v9
	s_and_saveexec_b64 s[18:19], s[14:15]
	s_cbranch_execz .LBB146_92
.LBB146_1053:
	ds_read_b64 v[15:16], v13 offset:32192
	ds_read_b64 v[13:14], v14 offset:31216
	s_waitcnt lgkmcnt(0)
	v_mul_f32_e32 v17, v14, v16
	v_mul_f32_e32 v16, v13, v16
	v_fma_f32 v13, v13, v15, -v17
	v_fmac_f32_e32 v16, v14, v15
	v_add_f32_e32 v2, v2, v13
	v_add_f32_e32 v3, v3, v16
	s_or_b64 exec, exec, s[18:19]
	v_cmp_gt_u32_e64 s[14:15], 4, v9
	s_and_saveexec_b64 s[18:19], s[14:15]
	s_cbranch_execnz .LBB146_93
	s_branch .LBB146_94
.LBB146_1054:
	ds_read_b64 v[18:19], v16 offset:29568
	ds_read_b64 v[20:21], v17 offset:29128
	s_waitcnt lgkmcnt(0)
	v_mul_f32_e32 v22, v21, v19
	v_mul_f32_e32 v19, v20, v19
	v_fma_f32 v20, v20, v18, -v22
	v_fmac_f32_e32 v19, v21, v18
	v_add_f32_e32 v2, v2, v20
	v_add_f32_e32 v3, v3, v19
	s_or_b64 exec, exec, s[20:21]
	v_cmp_gt_u32_e64 s[18:19], 48, v9
	s_and_saveexec_b64 s[20:21], s[18:19]
	s_cbranch_execz .LBB146_134
.LBB146_1055:
	ds_read_b64 v[18:19], v16 offset:30080
	ds_read_b64 v[20:21], v17 offset:29136
	s_waitcnt lgkmcnt(0)
	v_mul_f32_e32 v22, v21, v19
	v_mul_f32_e32 v19, v20, v19
	v_fma_f32 v20, v20, v18, -v22
	v_fmac_f32_e32 v19, v21, v18
	v_add_f32_e32 v2, v2, v20
	v_add_f32_e32 v3, v3, v19
	s_or_b64 exec, exec, s[20:21]
	v_cmp_gt_u32_e64 s[18:19], 40, v9
	s_and_saveexec_b64 s[20:21], s[18:19]
	s_cbranch_execz .LBB146_135
.LBB146_1056:
	ds_read_b64 v[18:19], v16 offset:30592
	ds_read_b64 v[20:21], v17 offset:29144
	s_waitcnt lgkmcnt(0)
	v_mul_f32_e32 v22, v21, v19
	v_mul_f32_e32 v19, v20, v19
	v_fma_f32 v20, v20, v18, -v22
	v_fmac_f32_e32 v19, v21, v18
	v_add_f32_e32 v2, v2, v20
	v_add_f32_e32 v3, v3, v19
	s_or_b64 exec, exec, s[20:21]
	v_cmp_gt_u32_e64 s[18:19], 32, v9
	s_and_saveexec_b64 s[20:21], s[18:19]
	s_cbranch_execz .LBB146_136
.LBB146_1057:
	ds_read_b64 v[18:19], v16 offset:31104
	ds_read_b64 v[20:21], v17 offset:29152
	s_waitcnt lgkmcnt(0)
	v_mul_f32_e32 v22, v21, v19
	v_mul_f32_e32 v19, v20, v19
	v_fma_f32 v20, v20, v18, -v22
	v_fmac_f32_e32 v19, v21, v18
	v_add_f32_e32 v2, v2, v20
	v_add_f32_e32 v3, v3, v19
	s_or_b64 exec, exec, s[20:21]
	v_cmp_gt_u32_e64 s[18:19], 24, v9
	s_and_saveexec_b64 s[20:21], s[18:19]
	s_cbranch_execz .LBB146_137
.LBB146_1058:
	ds_read_b64 v[18:19], v16 offset:31616
	ds_read_b64 v[20:21], v17 offset:29160
	s_waitcnt lgkmcnt(0)
	v_mul_f32_e32 v22, v21, v19
	v_mul_f32_e32 v19, v20, v19
	v_fma_f32 v20, v20, v18, -v22
	v_fmac_f32_e32 v19, v21, v18
	v_add_f32_e32 v2, v2, v20
	v_add_f32_e32 v3, v3, v19
	s_or_b64 exec, exec, s[20:21]
	s_and_saveexec_b64 s[18:19], s[10:11]
	s_cbranch_execz .LBB146_138
.LBB146_1059:
	ds_read_b64 v[18:19], v16 offset:32128
	ds_read_b64 v[16:17], v17 offset:29168
	s_waitcnt lgkmcnt(0)
	v_mul_f32_e32 v20, v17, v19
	v_mul_f32_e32 v19, v16, v19
	v_fma_f32 v16, v16, v18, -v20
	v_fmac_f32_e32 v19, v17, v18
	v_add_f32_e32 v2, v2, v16
	v_add_f32_e32 v3, v3, v19
	s_or_b64 exec, exec, s[18:19]
	v_cmp_gt_u32_e64 s[18:19], 8, v9
	s_and_saveexec_b64 s[20:21], s[18:19]
	s_cbranch_execnz .LBB146_139
	s_branch .LBB146_140
.LBB146_1060:
	ds_read_b64 v[18:19], v16 offset:27520
	ds_read_b64 v[20:21], v17 offset:27048
	s_waitcnt lgkmcnt(0)
	v_mul_f32_e32 v22, v21, v19
	v_mul_f32_e32 v19, v20, v19
	v_fma_f32 v20, v20, v18, -v22
	v_fmac_f32_e32 v19, v21, v18
	v_add_f32_e32 v2, v2, v20
	v_add_f32_e32 v3, v3, v19
	s_or_b64 exec, exec, s[18:19]
	v_cmp_gt_u32_e64 s[14:15], 8, v9
	s_and_saveexec_b64 s[18:19], s[14:15]
	s_cbranch_execz .LBB146_196
.LBB146_1061:
	ds_read_b64 v[18:19], v16 offset:28032
	ds_read_b64 v[16:17], v17 offset:27056
	s_waitcnt lgkmcnt(0)
	v_mul_f32_e32 v20, v17, v19
	v_mul_f32_e32 v19, v16, v19
	v_fma_f32 v16, v16, v18, -v20
	v_fmac_f32_e32 v19, v17, v18
	v_add_f32_e32 v2, v2, v16
	v_add_f32_e32 v3, v3, v19
	s_or_b64 exec, exec, s[18:19]
	v_cmp_gt_u32_e64 s[14:15], 4, v9
	s_and_saveexec_b64 s[18:19], s[14:15]
	s_cbranch_execnz .LBB146_197
	s_branch .LBB146_198
.LBB146_1062:
	ds_read_b64 v[21:22], v19 offset:30464
	ds_read_b64 v[23:24], v20 offset:25048
	s_waitcnt lgkmcnt(0)
	v_mul_f32_e32 v25, v24, v22
	v_mul_f32_e32 v22, v23, v22
	v_fma_f32 v23, v23, v21, -v25
	v_fmac_f32_e32 v22, v24, v21
	v_add_f32_e32 v2, v2, v23
	v_add_f32_e32 v3, v3, v22
	s_or_b64 exec, exec, s[24:25]
	s_and_saveexec_b64 s[20:21], s[12:13]
	s_cbranch_execz .LBB146_258
.LBB146_1063:
	ds_read_b64 v[21:22], v19 offset:30976
	ds_read_b64 v[23:24], v20 offset:25056
	s_waitcnt lgkmcnt(0)
	v_mul_f32_e32 v25, v24, v22
	v_mul_f32_e32 v22, v23, v22
	v_fma_f32 v23, v23, v21, -v25
	v_fmac_f32_e32 v22, v24, v21
	v_add_f32_e32 v2, v2, v23
	v_add_f32_e32 v3, v3, v22
	s_or_b64 exec, exec, s[20:21]
	v_cmp_gt_u32_e64 s[20:21], 48, v9
	s_and_saveexec_b64 s[24:25], s[20:21]
	s_cbranch_execz .LBB146_259
.LBB146_1064:
	ds_read_b64 v[21:22], v19 offset:31488
	ds_read_b64 v[23:24], v20 offset:25064
	s_waitcnt lgkmcnt(0)
	v_mul_f32_e32 v25, v24, v22
	v_mul_f32_e32 v22, v23, v22
	v_fma_f32 v23, v23, v21, -v25
	v_fmac_f32_e32 v22, v24, v21
	v_add_f32_e32 v2, v2, v23
	v_add_f32_e32 v3, v3, v22
	s_or_b64 exec, exec, s[24:25]
	v_cmp_gt_u32_e64 s[20:21], 32, v9
	s_and_saveexec_b64 s[24:25], s[20:21]
	s_cbranch_execz .LBB146_260
.LBB146_1065:
	ds_read_b64 v[21:22], v19 offset:32000
	ds_read_b64 v[19:20], v20 offset:25072
	s_waitcnt lgkmcnt(0)
	v_mul_f32_e32 v23, v20, v22
	v_mul_f32_e32 v22, v19, v22
	v_fma_f32 v19, v19, v21, -v23
	v_fmac_f32_e32 v22, v20, v21
	v_add_f32_e32 v2, v2, v19
	v_add_f32_e32 v3, v3, v22
	s_or_b64 exec, exec, s[24:25]
	v_cmp_gt_u32_e64 s[20:21], 16, v9
	s_and_saveexec_b64 s[24:25], s[20:21]
	s_cbranch_execnz .LBB146_261
	s_branch .LBB146_262
.LBB146_1066:
	ds_read_b64 v[21:22], v19 offset:23360
	ds_read_b64 v[23:24], v20 offset:22888
	s_waitcnt lgkmcnt(0)
	v_mul_f32_e32 v25, v24, v22
	v_mul_f32_e32 v22, v23, v22
	v_fma_f32 v23, v23, v21, -v25
	v_fmac_f32_e32 v22, v24, v21
	v_add_f32_e32 v2, v2, v23
	v_add_f32_e32 v3, v3, v22
	s_or_b64 exec, exec, s[24:25]
	v_cmp_gt_u32_e64 s[18:19], 8, v9
	s_and_saveexec_b64 s[24:25], s[18:19]
	s_cbranch_execz .LBB146_350
.LBB146_1067:
	ds_read_b64 v[21:22], v19 offset:23872
	ds_read_b64 v[19:20], v20 offset:22896
	s_waitcnt lgkmcnt(0)
	v_mul_f32_e32 v23, v20, v22
	v_mul_f32_e32 v22, v19, v22
	v_fma_f32 v19, v19, v21, -v23
	v_fmac_f32_e32 v22, v20, v21
	v_add_f32_e32 v2, v2, v19
	v_add_f32_e32 v3, v3, v22
	s_or_b64 exec, exec, s[24:25]
	v_cmp_gt_u32_e64 s[18:19], 4, v9
	s_and_saveexec_b64 s[24:25], s[18:19]
	s_cbranch_execnz .LBB146_351
	s_branch .LBB146_352
.LBB146_1068:
	ds_read_b64 v[21:22], v19 offset:21248
	ds_read_b64 v[23:24], v20 offset:20808
	s_waitcnt lgkmcnt(0)
	v_mul_f32_e32 v25, v24, v22
	v_mul_f32_e32 v22, v23, v22
	v_fma_f32 v23, v23, v21, -v25
	v_fmac_f32_e32 v22, v24, v21
	v_add_f32_e32 v2, v2, v23
	v_add_f32_e32 v3, v3, v22
	s_or_b64 exec, exec, s[24:25]
	v_cmp_gt_u32_e64 s[18:19], 48, v9
	s_and_saveexec_b64 s[24:25], s[18:19]
	s_cbranch_execz .LBB146_392
.LBB146_1069:
	ds_read_b64 v[21:22], v19 offset:21760
	ds_read_b64 v[23:24], v20 offset:20816
	s_waitcnt lgkmcnt(0)
	v_mul_f32_e32 v25, v24, v22
	v_mul_f32_e32 v22, v23, v22
	v_fma_f32 v23, v23, v21, -v25
	v_fmac_f32_e32 v22, v24, v21
	v_add_f32_e32 v2, v2, v23
	v_add_f32_e32 v3, v3, v22
	s_or_b64 exec, exec, s[24:25]
	v_cmp_gt_u32_e64 s[18:19], 40, v9
	s_and_saveexec_b64 s[24:25], s[18:19]
	s_cbranch_execz .LBB146_393
.LBB146_1070:
	ds_read_b64 v[21:22], v19 offset:22272
	ds_read_b64 v[23:24], v20 offset:20824
	s_waitcnt lgkmcnt(0)
	v_mul_f32_e32 v25, v24, v22
	v_mul_f32_e32 v22, v23, v22
	v_fma_f32 v23, v23, v21, -v25
	v_fmac_f32_e32 v22, v24, v21
	v_add_f32_e32 v2, v2, v23
	v_add_f32_e32 v3, v3, v22
	s_or_b64 exec, exec, s[24:25]
	v_cmp_gt_u32_e64 s[18:19], 32, v9
	s_and_saveexec_b64 s[24:25], s[18:19]
	s_cbranch_execz .LBB146_394
.LBB146_1071:
	ds_read_b64 v[21:22], v19 offset:22784
	ds_read_b64 v[23:24], v20 offset:20832
	s_waitcnt lgkmcnt(0)
	v_mul_f32_e32 v25, v24, v22
	v_mul_f32_e32 v22, v23, v22
	v_fma_f32 v23, v23, v21, -v25
	v_fmac_f32_e32 v22, v24, v21
	v_add_f32_e32 v2, v2, v23
	v_add_f32_e32 v3, v3, v22
	s_or_b64 exec, exec, s[24:25]
	v_cmp_gt_u32_e64 s[18:19], 24, v9
	s_and_saveexec_b64 s[24:25], s[18:19]
	s_cbranch_execz .LBB146_395
.LBB146_1072:
	ds_read_b64 v[21:22], v19 offset:23296
	ds_read_b64 v[23:24], v20 offset:20840
	s_waitcnt lgkmcnt(0)
	v_mul_f32_e32 v25, v24, v22
	v_mul_f32_e32 v22, v23, v22
	v_fma_f32 v23, v23, v21, -v25
	v_fmac_f32_e32 v22, v24, v21
	v_add_f32_e32 v2, v2, v23
	v_add_f32_e32 v3, v3, v22
	s_or_b64 exec, exec, s[24:25]
	s_and_saveexec_b64 s[18:19], s[10:11]
	s_cbranch_execz .LBB146_396
.LBB146_1073:
	ds_read_b64 v[21:22], v19 offset:23808
	ds_read_b64 v[19:20], v20 offset:20848
	s_waitcnt lgkmcnt(0)
	v_mul_f32_e32 v23, v20, v22
	v_mul_f32_e32 v22, v19, v22
	v_fma_f32 v19, v19, v21, -v23
	v_fmac_f32_e32 v22, v20, v21
	v_add_f32_e32 v2, v2, v19
	v_add_f32_e32 v3, v3, v22
	s_or_b64 exec, exec, s[18:19]
	v_cmp_gt_u32_e64 s[18:19], 8, v9
	s_and_saveexec_b64 s[24:25], s[18:19]
	s_cbranch_execnz .LBB146_397
	s_branch .LBB146_398
.LBB146_1074:
	ds_read_b64 v[21:22], v19 offset:19200
	ds_read_b64 v[23:24], v20 offset:18728
	s_waitcnt lgkmcnt(0)
	v_mul_f32_e32 v25, v24, v22
	v_mul_f32_e32 v22, v23, v22
	v_fma_f32 v23, v23, v21, -v25
	v_fmac_f32_e32 v22, v24, v21
	v_add_f32_e32 v2, v2, v23
	v_add_f32_e32 v3, v3, v22
	s_or_b64 exec, exec, s[24:25]
	v_cmp_gt_u32_e64 s[18:19], 8, v9
	s_and_saveexec_b64 s[24:25], s[18:19]
	s_cbranch_execz .LBB146_454
.LBB146_1075:
	ds_read_b64 v[21:22], v19 offset:19712
	ds_read_b64 v[19:20], v20 offset:18736
	s_waitcnt lgkmcnt(0)
	v_mul_f32_e32 v23, v20, v22
	v_mul_f32_e32 v22, v19, v22
	v_fma_f32 v19, v19, v21, -v23
	v_fmac_f32_e32 v22, v20, v21
	v_add_f32_e32 v2, v2, v19
	v_add_f32_e32 v3, v3, v22
	s_or_b64 exec, exec, s[24:25]
	v_cmp_gt_u32_e64 s[18:19], 4, v9
	s_and_saveexec_b64 s[24:25], s[18:19]
	s_cbranch_execnz .LBB146_455
	s_branch .LBB146_456
.LBB146_1076:
	ds_read_b64 v[24:25], v22 offset:31232
	ds_read_b64 v[26:27], v23 offset:16872
	s_waitcnt lgkmcnt(0)
	v_mul_f32_e32 v28, v27, v25
	v_mul_f32_e32 v25, v26, v25
	v_fma_f32 v26, v26, v24, -v28
	v_fmac_f32_e32 v25, v27, v24
	v_add_f32_e32 v2, v2, v26
	v_add_f32_e32 v3, v3, v25
	s_or_b64 exec, exec, s[96:97]
	s_and_saveexec_b64 s[24:25], s[12:13]
	s_cbranch_execz .LBB146_552
.LBB146_1077:
	ds_read_b64 v[24:25], v22 offset:31744
	ds_read_b64 v[26:27], v23 offset:16880
	s_waitcnt lgkmcnt(0)
	v_mul_f32_e32 v28, v27, v25
	v_mul_f32_e32 v25, v26, v25
	v_fma_f32 v26, v26, v24, -v28
	v_fmac_f32_e32 v25, v27, v24
	v_add_f32_e32 v2, v2, v26
	v_add_f32_e32 v3, v3, v25
	s_or_b64 exec, exec, s[24:25]
	v_cmp_gt_u32_e64 s[24:25], 32, v9
	s_and_saveexec_b64 s[96:97], s[24:25]
	s_cbranch_execnz .LBB146_553
	s_branch .LBB146_554
.LBB146_1078:
	ds_read_b64 v[21:22], v19 offset:15040
	ds_read_b64 v[23:24], v20 offset:14568
	s_waitcnt lgkmcnt(0)
	v_mul_f32_e32 v25, v24, v22
	v_mul_f32_e32 v22, v23, v22
	v_fma_f32 v23, v23, v21, -v25
	v_fmac_f32_e32 v22, v24, v21
	v_add_f32_e32 v2, v2, v23
	v_add_f32_e32 v3, v3, v22
	s_or_b64 exec, exec, s[20:21]
	v_cmp_gt_u32_e64 s[16:17], 8, v9
	s_and_saveexec_b64 s[20:21], s[16:17]
	s_cbranch_execz .LBB146_590
.LBB146_1079:
	ds_read_b64 v[21:22], v19 offset:15552
	ds_read_b64 v[19:20], v20 offset:14576
	s_waitcnt lgkmcnt(0)
	v_mul_f32_e32 v23, v20, v22
	v_mul_f32_e32 v22, v19, v22
	v_fma_f32 v19, v19, v21, -v23
	v_fmac_f32_e32 v22, v20, v21
	v_add_f32_e32 v2, v2, v19
	v_add_f32_e32 v3, v3, v22
	s_or_b64 exec, exec, s[20:21]
	v_cmp_gt_u32_e64 s[16:17], 4, v9
	s_and_saveexec_b64 s[20:21], s[16:17]
	s_cbranch_execnz .LBB146_591
	s_branch .LBB146_592
.LBB146_1080:
	ds_read_b64 v[21:22], v19 offset:12928
	ds_read_b64 v[23:24], v20 offset:12488
	s_waitcnt lgkmcnt(0)
	v_mul_f32_e32 v25, v24, v22
	v_mul_f32_e32 v22, v23, v22
	v_fma_f32 v23, v23, v21, -v25
	v_fmac_f32_e32 v22, v24, v21
	v_add_f32_e32 v2, v2, v23
	v_add_f32_e32 v3, v3, v22
	s_or_b64 exec, exec, s[20:21]
	v_cmp_gt_u32_e64 s[16:17], 48, v9
	s_and_saveexec_b64 s[20:21], s[16:17]
	s_cbranch_execz .LBB146_632
.LBB146_1081:
	ds_read_b64 v[21:22], v19 offset:13440
	ds_read_b64 v[23:24], v20 offset:12496
	s_waitcnt lgkmcnt(0)
	v_mul_f32_e32 v25, v24, v22
	v_mul_f32_e32 v22, v23, v22
	v_fma_f32 v23, v23, v21, -v25
	v_fmac_f32_e32 v22, v24, v21
	v_add_f32_e32 v2, v2, v23
	v_add_f32_e32 v3, v3, v22
	s_or_b64 exec, exec, s[20:21]
	v_cmp_gt_u32_e64 s[16:17], 40, v9
	s_and_saveexec_b64 s[20:21], s[16:17]
	s_cbranch_execz .LBB146_633
.LBB146_1082:
	ds_read_b64 v[21:22], v19 offset:13952
	ds_read_b64 v[23:24], v20 offset:12504
	s_waitcnt lgkmcnt(0)
	v_mul_f32_e32 v25, v24, v22
	v_mul_f32_e32 v22, v23, v22
	v_fma_f32 v23, v23, v21, -v25
	v_fmac_f32_e32 v22, v24, v21
	v_add_f32_e32 v2, v2, v23
	v_add_f32_e32 v3, v3, v22
	s_or_b64 exec, exec, s[20:21]
	v_cmp_gt_u32_e64 s[16:17], 32, v9
	s_and_saveexec_b64 s[20:21], s[16:17]
	s_cbranch_execz .LBB146_634
.LBB146_1083:
	ds_read_b64 v[21:22], v19 offset:14464
	ds_read_b64 v[23:24], v20 offset:12512
	s_waitcnt lgkmcnt(0)
	v_mul_f32_e32 v25, v24, v22
	v_mul_f32_e32 v22, v23, v22
	v_fma_f32 v23, v23, v21, -v25
	v_fmac_f32_e32 v22, v24, v21
	v_add_f32_e32 v2, v2, v23
	v_add_f32_e32 v3, v3, v22
	s_or_b64 exec, exec, s[20:21]
	v_cmp_gt_u32_e64 s[16:17], 24, v9
	s_and_saveexec_b64 s[20:21], s[16:17]
	s_cbranch_execz .LBB146_635
.LBB146_1084:
	ds_read_b64 v[21:22], v19 offset:14976
	ds_read_b64 v[23:24], v20 offset:12520
	s_waitcnt lgkmcnt(0)
	v_mul_f32_e32 v25, v24, v22
	v_mul_f32_e32 v22, v23, v22
	v_fma_f32 v23, v23, v21, -v25
	v_fmac_f32_e32 v22, v24, v21
	v_add_f32_e32 v2, v2, v23
	v_add_f32_e32 v3, v3, v22
	s_or_b64 exec, exec, s[20:21]
	s_and_saveexec_b64 s[16:17], s[10:11]
	s_cbranch_execz .LBB146_636
.LBB146_1085:
	ds_read_b64 v[21:22], v19 offset:15488
	ds_read_b64 v[19:20], v20 offset:12528
	s_waitcnt lgkmcnt(0)
	v_mul_f32_e32 v23, v20, v22
	v_mul_f32_e32 v22, v19, v22
	v_fma_f32 v19, v19, v21, -v23
	v_fmac_f32_e32 v22, v20, v21
	v_add_f32_e32 v2, v2, v19
	v_add_f32_e32 v3, v3, v22
	s_or_b64 exec, exec, s[16:17]
	v_cmp_gt_u32_e64 s[16:17], 8, v9
	s_and_saveexec_b64 s[20:21], s[16:17]
	s_cbranch_execnz .LBB146_637
	s_branch .LBB146_638
.LBB146_1086:
	ds_read_b64 v[21:22], v19 offset:10880
	ds_read_b64 v[23:24], v20 offset:10408
	s_waitcnt lgkmcnt(0)
	v_mul_f32_e32 v25, v24, v22
	v_mul_f32_e32 v22, v23, v22
	v_fma_f32 v23, v23, v21, -v25
	v_fmac_f32_e32 v22, v24, v21
	v_add_f32_e32 v2, v2, v23
	v_add_f32_e32 v3, v3, v22
	s_or_b64 exec, exec, s[20:21]
	v_cmp_gt_u32_e64 s[16:17], 8, v9
	s_and_saveexec_b64 s[20:21], s[16:17]
	s_cbranch_execz .LBB146_694
.LBB146_1087:
	ds_read_b64 v[21:22], v19 offset:11392
	ds_read_b64 v[19:20], v20 offset:10416
	s_waitcnt lgkmcnt(0)
	v_mul_f32_e32 v23, v20, v22
	v_mul_f32_e32 v22, v19, v22
	v_fma_f32 v19, v19, v21, -v23
	v_fmac_f32_e32 v22, v20, v21
	v_add_f32_e32 v2, v2, v19
	v_add_f32_e32 v3, v3, v22
	s_or_b64 exec, exec, s[20:21]
	v_cmp_gt_u32_e64 s[16:17], 4, v9
	s_and_saveexec_b64 s[20:21], s[16:17]
	s_cbranch_execnz .LBB146_695
	s_branch .LBB146_696
.LBB146_1088:
	ds_read_b64 v[21:22], v19 offset:13824
	ds_read_b64 v[23:24], v20 offset:8408
	s_waitcnt lgkmcnt(0)
	v_mul_f32_e32 v25, v24, v22
	v_mul_f32_e32 v22, v23, v22
	v_fma_f32 v23, v23, v21, -v25
	v_fmac_f32_e32 v22, v24, v21
	v_add_f32_e32 v2, v2, v23
	v_add_f32_e32 v3, v3, v22
	s_or_b64 exec, exec, s[20:21]
	s_and_saveexec_b64 s[16:17], s[12:13]
	s_cbranch_execz .LBB146_756
.LBB146_1089:
	ds_read_b64 v[21:22], v19 offset:14336
	ds_read_b64 v[23:24], v20 offset:8416
	s_waitcnt lgkmcnt(0)
	v_mul_f32_e32 v25, v24, v22
	v_mul_f32_e32 v22, v23, v22
	v_fma_f32 v23, v23, v21, -v25
	v_fmac_f32_e32 v22, v24, v21
	v_add_f32_e32 v2, v2, v23
	v_add_f32_e32 v3, v3, v22
	s_or_b64 exec, exec, s[16:17]
	v_cmp_gt_u32_e64 s[16:17], 48, v9
	s_and_saveexec_b64 s[20:21], s[16:17]
	s_cbranch_execz .LBB146_757
.LBB146_1090:
	ds_read_b64 v[21:22], v19 offset:14848
	ds_read_b64 v[23:24], v20 offset:8424
	s_waitcnt lgkmcnt(0)
	v_mul_f32_e32 v25, v24, v22
	v_mul_f32_e32 v22, v23, v22
	v_fma_f32 v23, v23, v21, -v25
	v_fmac_f32_e32 v22, v24, v21
	v_add_f32_e32 v2, v2, v23
	v_add_f32_e32 v3, v3, v22
	s_or_b64 exec, exec, s[20:21]
	v_cmp_gt_u32_e64 s[16:17], 32, v9
	s_and_saveexec_b64 s[20:21], s[16:17]
	s_cbranch_execz .LBB146_758
.LBB146_1091:
	ds_read_b64 v[21:22], v19 offset:15360
	ds_read_b64 v[19:20], v20 offset:8432
	s_waitcnt lgkmcnt(0)
	v_mul_f32_e32 v23, v20, v22
	v_mul_f32_e32 v22, v19, v22
	v_fma_f32 v19, v19, v21, -v23
	v_fmac_f32_e32 v22, v20, v21
	v_add_f32_e32 v2, v2, v19
	v_add_f32_e32 v3, v3, v22
	s_or_b64 exec, exec, s[20:21]
	v_cmp_gt_u32_e64 s[16:17], 16, v9
	s_and_saveexec_b64 s[20:21], s[16:17]
	s_cbranch_execnz .LBB146_759
	s_branch .LBB146_760
.LBB146_1092:
	ds_read_b64 v[18:19], v16 offset:6720
	ds_read_b64 v[20:21], v17 offset:6248
	s_waitcnt lgkmcnt(0)
	v_mul_f32_e32 v22, v21, v19
	v_mul_f32_e32 v19, v20, v19
	v_fma_f32 v20, v20, v18, -v22
	v_fmac_f32_e32 v19, v21, v18
	v_add_f32_e32 v2, v2, v20
	v_add_f32_e32 v3, v3, v19
	s_or_b64 exec, exec, s[16:17]
	v_cmp_gt_u32_e64 s[14:15], 8, v9
	s_and_saveexec_b64 s[16:17], s[14:15]
	s_cbranch_execz .LBB146_848
.LBB146_1093:
	ds_read_b64 v[18:19], v16 offset:7232
	ds_read_b64 v[16:17], v17 offset:6256
	s_waitcnt lgkmcnt(0)
	v_mul_f32_e32 v20, v17, v19
	v_mul_f32_e32 v19, v16, v19
	v_fma_f32 v16, v16, v18, -v20
	v_fmac_f32_e32 v19, v17, v18
	v_add_f32_e32 v2, v2, v16
	v_add_f32_e32 v3, v3, v19
	s_or_b64 exec, exec, s[16:17]
	v_cmp_gt_u32_e64 s[14:15], 4, v9
	s_and_saveexec_b64 s[16:17], s[14:15]
	s_cbranch_execnz .LBB146_849
	s_branch .LBB146_850
.LBB146_1094:
	ds_read_b64 v[18:19], v16 offset:4608
	ds_read_b64 v[20:21], v17 offset:4168
	s_waitcnt lgkmcnt(0)
	v_mul_f32_e32 v22, v21, v19
	v_mul_f32_e32 v19, v20, v19
	v_fma_f32 v20, v20, v18, -v22
	v_fmac_f32_e32 v19, v21, v18
	v_add_f32_e32 v2, v2, v20
	v_add_f32_e32 v3, v3, v19
	s_or_b64 exec, exec, s[16:17]
	v_cmp_gt_u32_e64 s[14:15], 48, v9
	s_and_saveexec_b64 s[16:17], s[14:15]
	s_cbranch_execz .LBB146_890
.LBB146_1095:
	ds_read_b64 v[18:19], v16 offset:5120
	ds_read_b64 v[20:21], v17 offset:4176
	s_waitcnt lgkmcnt(0)
	v_mul_f32_e32 v22, v21, v19
	v_mul_f32_e32 v19, v20, v19
	v_fma_f32 v20, v20, v18, -v22
	v_fmac_f32_e32 v19, v21, v18
	v_add_f32_e32 v2, v2, v20
	v_add_f32_e32 v3, v3, v19
	s_or_b64 exec, exec, s[16:17]
	v_cmp_gt_u32_e64 s[14:15], 40, v9
	s_and_saveexec_b64 s[16:17], s[14:15]
	s_cbranch_execz .LBB146_891
.LBB146_1096:
	ds_read_b64 v[18:19], v16 offset:5632
	ds_read_b64 v[20:21], v17 offset:4184
	s_waitcnt lgkmcnt(0)
	v_mul_f32_e32 v22, v21, v19
	v_mul_f32_e32 v19, v20, v19
	v_fma_f32 v20, v20, v18, -v22
	v_fmac_f32_e32 v19, v21, v18
	v_add_f32_e32 v2, v2, v20
	v_add_f32_e32 v3, v3, v19
	s_or_b64 exec, exec, s[16:17]
	v_cmp_gt_u32_e64 s[14:15], 32, v9
	s_and_saveexec_b64 s[16:17], s[14:15]
	s_cbranch_execz .LBB146_892
.LBB146_1097:
	ds_read_b64 v[18:19], v16 offset:6144
	ds_read_b64 v[20:21], v17 offset:4192
	s_waitcnt lgkmcnt(0)
	v_mul_f32_e32 v22, v21, v19
	v_mul_f32_e32 v19, v20, v19
	v_fma_f32 v20, v20, v18, -v22
	v_fmac_f32_e32 v19, v21, v18
	v_add_f32_e32 v2, v2, v20
	v_add_f32_e32 v3, v3, v19
	s_or_b64 exec, exec, s[16:17]
	v_cmp_gt_u32_e64 s[14:15], 24, v9
	s_and_saveexec_b64 s[16:17], s[14:15]
	s_cbranch_execz .LBB146_893
.LBB146_1098:
	ds_read_b64 v[18:19], v16 offset:6656
	ds_read_b64 v[20:21], v17 offset:4200
	s_waitcnt lgkmcnt(0)
	v_mul_f32_e32 v22, v21, v19
	v_mul_f32_e32 v19, v20, v19
	v_fma_f32 v20, v20, v18, -v22
	v_fmac_f32_e32 v19, v21, v18
	v_add_f32_e32 v2, v2, v20
	v_add_f32_e32 v3, v3, v19
	s_or_b64 exec, exec, s[16:17]
	s_and_saveexec_b64 s[14:15], s[10:11]
	s_cbranch_execz .LBB146_894
.LBB146_1099:
	ds_read_b64 v[18:19], v16 offset:7168
	ds_read_b64 v[16:17], v17 offset:4208
	s_waitcnt lgkmcnt(0)
	v_mul_f32_e32 v20, v17, v19
	v_mul_f32_e32 v19, v16, v19
	v_fma_f32 v16, v16, v18, -v20
	v_fmac_f32_e32 v19, v17, v18
	v_add_f32_e32 v2, v2, v16
	v_add_f32_e32 v3, v3, v19
	s_or_b64 exec, exec, s[14:15]
	v_cmp_gt_u32_e64 s[14:15], 8, v9
	s_and_saveexec_b64 s[16:17], s[14:15]
	s_cbranch_execnz .LBB146_895
	s_branch .LBB146_896
.LBB146_1100:
	ds_read_b64 v[15:16], v13 offset:2560
	ds_read_b64 v[17:18], v14 offset:2088
	s_waitcnt lgkmcnt(0)
	v_mul_f32_e32 v19, v18, v16
	v_mul_f32_e32 v16, v17, v16
	v_fma_f32 v17, v17, v15, -v19
	v_fmac_f32_e32 v16, v18, v15
	v_add_f32_e32 v2, v2, v17
	v_add_f32_e32 v3, v3, v16
	s_or_b64 exec, exec, s[14:15]
	v_cmp_gt_u32_e64 s[12:13], 8, v9
	s_and_saveexec_b64 s[14:15], s[12:13]
	s_cbranch_execz .LBB146_952
.LBB146_1101:
	ds_read_b64 v[15:16], v13 offset:3072
	ds_read_b64 v[13:14], v14 offset:2096
	s_waitcnt lgkmcnt(0)
	v_mul_f32_e32 v17, v14, v16
	v_mul_f32_e32 v16, v13, v16
	v_fma_f32 v13, v13, v15, -v17
	v_fmac_f32_e32 v16, v14, v15
	v_add_f32_e32 v2, v2, v13
	v_add_f32_e32 v3, v3, v16
	s_or_b64 exec, exec, s[14:15]
	v_cmp_gt_u32_e64 s[12:13], 4, v9
	s_and_saveexec_b64 s[14:15], s[12:13]
	s_cbranch_execnz .LBB146_953
	s_branch .LBB146_954
	.section	.rodata,"a",@progbits
	.p2align	6, 0x0
	.amdhsa_kernel _ZL19rocblas_trsv_deviceILi64ELi16ELb0ELb1ELb0ELb1E19rocblas_complex_numIfEPKS1_PKS3_PKPS1_EviT7_lllT6_T8_lllPii
		.amdhsa_group_segment_fixed_size 41480
		.amdhsa_private_segment_fixed_size 48
		.amdhsa_kernarg_size 352
		.amdhsa_user_sgpr_count 8
		.amdhsa_user_sgpr_private_segment_buffer 1
		.amdhsa_user_sgpr_dispatch_ptr 0
		.amdhsa_user_sgpr_queue_ptr 0
		.amdhsa_user_sgpr_kernarg_segment_ptr 1
		.amdhsa_user_sgpr_dispatch_id 0
		.amdhsa_user_sgpr_flat_scratch_init 1
		.amdhsa_user_sgpr_private_segment_size 0
		.amdhsa_uses_dynamic_stack 0
		.amdhsa_system_sgpr_private_segment_wavefront_offset 1
		.amdhsa_system_sgpr_workgroup_id_x 1
		.amdhsa_system_sgpr_workgroup_id_y 0
		.amdhsa_system_sgpr_workgroup_id_z 1
		.amdhsa_system_sgpr_workgroup_info 0
		.amdhsa_system_vgpr_workitem_id 1
		.amdhsa_next_free_vgpr 49
		.amdhsa_next_free_sgpr 100
		.amdhsa_reserve_vcc 1
		.amdhsa_reserve_flat_scratch 1
		.amdhsa_float_round_mode_32 0
		.amdhsa_float_round_mode_16_64 0
		.amdhsa_float_denorm_mode_32 3
		.amdhsa_float_denorm_mode_16_64 3
		.amdhsa_dx10_clamp 1
		.amdhsa_ieee_mode 1
		.amdhsa_fp16_overflow 0
		.amdhsa_exception_fp_ieee_invalid_op 0
		.amdhsa_exception_fp_denorm_src 0
		.amdhsa_exception_fp_ieee_div_zero 0
		.amdhsa_exception_fp_ieee_overflow 0
		.amdhsa_exception_fp_ieee_underflow 0
		.amdhsa_exception_fp_ieee_inexact 0
		.amdhsa_exception_int_div_zero 0
	.end_amdhsa_kernel
	.section	.text._ZL19rocblas_trsv_deviceILi64ELi16ELb0ELb1ELb0ELb1E19rocblas_complex_numIfEPKS1_PKS3_PKPS1_EviT7_lllT6_T8_lllPii,"axG",@progbits,_ZL19rocblas_trsv_deviceILi64ELi16ELb0ELb1ELb0ELb1E19rocblas_complex_numIfEPKS1_PKS3_PKPS1_EviT7_lllT6_T8_lllPii,comdat
.Lfunc_end146:
	.size	_ZL19rocblas_trsv_deviceILi64ELi16ELb0ELb1ELb0ELb1E19rocblas_complex_numIfEPKS1_PKS3_PKPS1_EviT7_lllT6_T8_lllPii, .Lfunc_end146-_ZL19rocblas_trsv_deviceILi64ELi16ELb0ELb1ELb0ELb1E19rocblas_complex_numIfEPKS1_PKS3_PKPS1_EviT7_lllT6_T8_lllPii
                                        ; -- End function
	.set _ZL19rocblas_trsv_deviceILi64ELi16ELb0ELb1ELb0ELb1E19rocblas_complex_numIfEPKS1_PKS3_PKPS1_EviT7_lllT6_T8_lllPii.num_vgpr, 30
	.set _ZL19rocblas_trsv_deviceILi64ELi16ELb0ELb1ELb0ELb1E19rocblas_complex_numIfEPKS1_PKS3_PKPS1_EviT7_lllT6_T8_lllPii.num_agpr, 0
	.set _ZL19rocblas_trsv_deviceILi64ELi16ELb0ELb1ELb0ELb1E19rocblas_complex_numIfEPKS1_PKS3_PKPS1_EviT7_lllT6_T8_lllPii.numbered_sgpr, 100
	.set _ZL19rocblas_trsv_deviceILi64ELi16ELb0ELb1ELb0ELb1E19rocblas_complex_numIfEPKS1_PKS3_PKPS1_EviT7_lllT6_T8_lllPii.num_named_barrier, 0
	.set _ZL19rocblas_trsv_deviceILi64ELi16ELb0ELb1ELb0ELb1E19rocblas_complex_numIfEPKS1_PKS3_PKPS1_EviT7_lllT6_T8_lllPii.private_seg_size, 48
	.set _ZL19rocblas_trsv_deviceILi64ELi16ELb0ELb1ELb0ELb1E19rocblas_complex_numIfEPKS1_PKS3_PKPS1_EviT7_lllT6_T8_lllPii.uses_vcc, 1
	.set _ZL19rocblas_trsv_deviceILi64ELi16ELb0ELb1ELb0ELb1E19rocblas_complex_numIfEPKS1_PKS3_PKPS1_EviT7_lllT6_T8_lllPii.uses_flat_scratch, 1
	.set _ZL19rocblas_trsv_deviceILi64ELi16ELb0ELb1ELb0ELb1E19rocblas_complex_numIfEPKS1_PKS3_PKPS1_EviT7_lllT6_T8_lllPii.has_dyn_sized_stack, 0
	.set _ZL19rocblas_trsv_deviceILi64ELi16ELb0ELb1ELb0ELb1E19rocblas_complex_numIfEPKS1_PKS3_PKPS1_EviT7_lllT6_T8_lllPii.has_recursion, 0
	.set _ZL19rocblas_trsv_deviceILi64ELi16ELb0ELb1ELb0ELb1E19rocblas_complex_numIfEPKS1_PKS3_PKPS1_EviT7_lllT6_T8_lllPii.has_indirect_call, 0
	.section	.AMDGPU.csdata,"",@progbits
; Kernel info:
; codeLenInByte = 40200
; TotalNumSgprs: 106
; NumVgprs: 30
; ScratchSize: 48
; MemoryBound: 1
; FloatMode: 240
; IeeeMode: 1
; LDSByteSize: 41480 bytes/workgroup (compile time only)
; SGPRBlocks: 13
; VGPRBlocks: 12
; NumSGPRsForWavesPerEU: 106
; NumVGPRsForWavesPerEU: 49
; Occupancy: 4
; WaveLimiterHint : 1
; COMPUTE_PGM_RSRC2:SCRATCH_EN: 1
; COMPUTE_PGM_RSRC2:USER_SGPR: 8
; COMPUTE_PGM_RSRC2:TRAP_HANDLER: 0
; COMPUTE_PGM_RSRC2:TGID_X_EN: 1
; COMPUTE_PGM_RSRC2:TGID_Y_EN: 0
; COMPUTE_PGM_RSRC2:TGID_Z_EN: 1
; COMPUTE_PGM_RSRC2:TIDIG_COMP_CNT: 1
	.section	.text._ZL19rocblas_trsv_deviceILi64ELi16ELb0ELb1ELb1ELb1E19rocblas_complex_numIfEPKS1_PKS3_PKPS1_EviT7_lllT6_T8_lllPii,"axG",@progbits,_ZL19rocblas_trsv_deviceILi64ELi16ELb0ELb1ELb1ELb1E19rocblas_complex_numIfEPKS1_PKS3_PKPS1_EviT7_lllT6_T8_lllPii,comdat
	.globl	_ZL19rocblas_trsv_deviceILi64ELi16ELb0ELb1ELb1ELb1E19rocblas_complex_numIfEPKS1_PKS3_PKPS1_EviT7_lllT6_T8_lllPii ; -- Begin function _ZL19rocblas_trsv_deviceILi64ELi16ELb0ELb1ELb1ELb1E19rocblas_complex_numIfEPKS1_PKS3_PKPS1_EviT7_lllT6_T8_lllPii
	.p2align	8
	.type	_ZL19rocblas_trsv_deviceILi64ELi16ELb0ELb1ELb1ELb1E19rocblas_complex_numIfEPKS1_PKS3_PKPS1_EviT7_lllT6_T8_lllPii,@function
_ZL19rocblas_trsv_deviceILi64ELi16ELb0ELb1ELb1ELb1E19rocblas_complex_numIfEPKS1_PKS3_PKPS1_EviT7_lllT6_T8_lllPii: ; @_ZL19rocblas_trsv_deviceILi64ELi16ELb0ELb1ELb1ELb1E19rocblas_complex_numIfEPKS1_PKS3_PKPS1_EviT7_lllT6_T8_lllPii
; %bb.0:
	s_load_dwordx4 s[0:3], s[4:5], 0x8
	s_mov_b32 s28, s7
	s_mov_b32 s29, 0
	s_lshl_b64 s[8:9], s[28:29], 3
	s_waitcnt lgkmcnt(0)
	s_add_u32 s0, s0, s8
	s_addc_u32 s1, s1, s9
	s_load_dwordx2 s[10:11], s[0:1], 0x0
	s_load_dword s33, s[4:5], 0x0
	s_load_dwordx8 s[20:27], s[4:5], 0x28
	s_load_dwordx2 s[30:31], s[4:5], 0x18
	s_lshl_b64 s[0:1], s[2:3], 3
	s_waitcnt lgkmcnt(0)
	s_add_u32 s90, s10, s0
	s_addc_u32 s91, s11, s1
	s_add_u32 s0, s22, s8
	s_addc_u32 s1, s23, s9
	s_load_dwordx2 s[36:37], s[0:1], 0x0
	s_load_dwordx2 s[34:35], s[20:21], 0x0
	s_load_dword s16, s[4:5], 0x6c
	s_cmp_eq_u32 s6, 0
	s_cbranch_scc1 .LBB147_10
; %bb.1:
	s_lshl_b32 s2, s6, 6
	v_add_u32_e32 v4, s2, v0
	v_ashrrev_i32_e32 v2, 31, v4
	v_mul_lo_u32 v5, s30, v2
	v_mul_lo_u32 v8, s31, v4
	v_mad_u64_u32 v[2:3], s[0:1], s30, v4, 0
	v_add_u32_e32 v6, s2, v1
	v_subrev_u32_e32 v6, 64, v6
	v_add3_u32 v3, v3, v5, v8
	v_lshlrev_b64 v[2:3], 3, v[2:3]
	v_ashrrev_i32_e32 v7, 31, v6
	v_cmp_gt_i32_e32 vcc, s33, v4
	v_mov_b32_e32 v4, s91
	v_add_co_u32_e64 v5, s[0:1], s90, v2
	v_addc_co_u32_e64 v4, s[0:1], v4, v3, s[0:1]
	v_lshlrev_b64 v[2:3], 3, v[6:7]
	s_waitcnt lgkmcnt(0)
	v_add_co_u32_e64 v10, s[0:1], v5, v2
	v_addc_co_u32_e64 v11, s[0:1], v4, v3, s[0:1]
	v_cmp_gt_i32_e64 s[0:1], s33, v6
	s_and_b64 s[2:3], s[0:1], vcc
	v_mov_b32_e32 v2, 0
	v_mov_b32_e32 v4, 0
	;; [unrolled: 1-line block ×3, first 2 shown]
	s_barrier
	s_and_saveexec_b64 s[0:1], s[2:3]
	s_cbranch_execz .LBB147_3
; %bb.2:
	flat_load_dwordx2 v[4:5], v[10:11]
.LBB147_3:
	s_or_b64 exec, exec, s[0:1]
	v_add_u32_e32 v3, 16, v6
	v_cmp_gt_i32_e64 s[0:1], s33, v3
	s_and_b64 s[2:3], s[0:1], vcc
	v_mov_b32_e32 v3, 0
	s_waitcnt vmcnt(0) lgkmcnt(0)
	s_barrier
	s_and_saveexec_b64 s[0:1], s[2:3]
	s_cbranch_execz .LBB147_5
; %bb.4:
	flat_load_dwordx2 v[2:3], v[10:11] offset:128
.LBB147_5:
	s_or_b64 exec, exec, s[0:1]
	v_add_u32_e32 v7, 32, v6
	v_cmp_gt_i32_e64 s[0:1], s33, v7
	s_and_b64 s[2:3], s[0:1], vcc
	v_mov_b32_e32 v7, 0
	v_mov_b32_e32 v8, 0
	;; [unrolled: 1-line block ×3, first 2 shown]
	s_waitcnt vmcnt(0) lgkmcnt(0)
	s_barrier
	s_and_saveexec_b64 s[0:1], s[2:3]
	s_cbranch_execz .LBB147_7
; %bb.6:
	flat_load_dwordx2 v[8:9], v[10:11] offset:256
.LBB147_7:
	s_or_b64 exec, exec, s[0:1]
	v_add_u32_e32 v6, 48, v6
	v_cmp_gt_i32_e64 s[0:1], s33, v6
	s_and_b64 s[2:3], s[0:1], vcc
	v_mov_b32_e32 v6, 0
	s_waitcnt vmcnt(0) lgkmcnt(0)
	s_barrier
	s_and_saveexec_b64 s[0:1], s[2:3]
	s_cbranch_execz .LBB147_9
; %bb.8:
	flat_load_dwordx2 v[6:7], v[10:11] offset:384
.LBB147_9:
	s_or_b64 exec, exec, s[0:1]
	s_branch .LBB147_11
.LBB147_10:
                                        ; implicit-def: $vgpr7
                                        ; implicit-def: $vgpr9
                                        ; implicit-def: $vgpr3
                                        ; implicit-def: $vgpr5
.LBB147_11:
	s_ashr_i32 s0, s33, 31
	s_lshr_b32 s0, s0, 26
	s_add_i32 s0, s33, s0
	s_andn2_b32 s0, s0, 63
	s_sub_i32 s7, s33, s0
	s_add_i32 s0, s33, -1
	s_ashr_i32 s1, s0, 31
	s_lshr_b32 s1, s1, 26
	s_add_i32 s0, s0, s1
	s_ashr_i32 s0, s0, 6
	s_cmp_eq_u32 s0, s6
	s_cselect_b64 s[0:1], -1, 0
	s_cmp_lg_u32 s7, 0
	s_cselect_b64 s[2:3], -1, 0
	s_and_b64 s[22:23], s[2:3], s[0:1]
	s_cmp_lt_i32 s6, 5
	s_cselect_b64 s[2:3], -1, 0
	v_lshlrev_b32_e32 v10, 6, v0
	s_mov_b64 s[12:13], -1
	s_or_b64 s[0:1], s[2:3], s[22:23]
	s_and_b64 vcc, exec, s[22:23]
	v_add_u32_e32 v11, v1, v10
	v_cmp_le_u32_e64 s[8:9], v1, v0
	v_lshlrev_b32_e32 v16, 3, v0
	v_lshl_add_u32 v17, v1, 6, v0
	s_cbranch_vccnz .LBB147_37
; %bb.12:
	s_add_u32 s10, s30, 1
	s_addc_u32 s11, s31, 0
	s_lshl_b32 s12, s6, 6
	s_ashr_i32 s13, s12, 31
	s_mul_hi_u32 s14, s10, s12
	s_mul_i32 s13, s10, s13
	s_add_i32 s13, s14, s13
	s_mul_i32 s11, s11, s12
	s_add_i32 s11, s13, s11
	s_mul_i32 s10, s10, s12
	s_lshl_b64 s[10:11], s[10:11], 3
	s_add_u32 s10, s90, s10
	s_addc_u32 s11, s91, s11
	v_lshlrev_b32_e32 v12, 3, v0
	v_mov_b32_e32 v13, s11
	v_add_co_u32_e32 v12, vcc, s10, v12
	v_addc_co_u32_e32 v13, vcc, 0, v13, vcc
	v_cndmask_b32_e64 v14, v17, v11, s[2:3]
	s_and_saveexec_b64 s[2:3], s[8:9]
	s_xor_b64 s[2:3], exec, s[2:3]
	s_cbranch_execz .LBB147_16
; %bb.13:
	v_or_b32_e32 v15, v1, v0
	v_cmp_gt_u32_e32 vcc, 64, v15
	s_and_saveexec_b64 s[8:9], vcc
; %bb.14:
	v_lshlrev_b32_e32 v18, 3, v14
	v_mov_b32_e32 v14, 0
	v_mov_b32_e32 v15, v14
	ds_write_b64 v18, v[14:15]
; %bb.15:
	s_or_b64 exec, exec, s[8:9]
                                        ; implicit-def: $vgpr14
.LBB147_16:
	s_andn2_saveexec_b64 s[2:3], s[2:3]
	s_cbranch_execz .LBB147_18
; %bb.17:
	v_mad_u64_u32 v[18:19], s[8:9], s30, v1, 0
	v_lshlrev_b32_e32 v14, 3, v14
	v_mov_b32_e32 v15, v19
	v_mad_u64_u32 v[19:20], s[8:9], s31, v1, v[15:16]
	v_lshlrev_b64 v[18:19], 3, v[18:19]
	v_add_co_u32_e32 v18, vcc, v12, v18
	v_addc_co_u32_e32 v19, vcc, v13, v19, vcc
	flat_load_dwordx2 v[18:19], v[18:19]
	s_waitcnt vmcnt(0) lgkmcnt(0)
	v_xor_b32_e32 v18, 0x80000000, v18
	ds_write_b64 v14, v[18:19]
.LBB147_18:
	s_or_b64 exec, exec, s[2:3]
	v_add_u32_e32 v15, 16, v1
	v_add_u32_e32 v14, v15, v10
	v_lshl_add_u32 v18, v15, 6, v0
	v_cndmask_b32_e64 v14, v18, v14, s[0:1]
	v_cmp_le_u32_e32 vcc, v15, v0
	s_and_saveexec_b64 s[2:3], vcc
	s_xor_b64 s[2:3], exec, s[2:3]
	s_cbranch_execz .LBB147_22
; %bb.19:
	v_or_b32_e32 v15, v15, v0
	v_cmp_gt_u32_e32 vcc, 64, v15
	s_and_saveexec_b64 s[8:9], vcc
; %bb.20:
	v_lshlrev_b32_e32 v18, 3, v14
	v_mov_b32_e32 v14, 0
	v_mov_b32_e32 v15, v14
	ds_write_b64 v18, v[14:15]
; %bb.21:
	s_or_b64 exec, exec, s[8:9]
                                        ; implicit-def: $vgpr15
                                        ; implicit-def: $vgpr14
.LBB147_22:
	s_andn2_saveexec_b64 s[2:3], s[2:3]
	s_cbranch_execz .LBB147_24
; %bb.23:
	v_mad_u64_u32 v[18:19], s[8:9], s30, v15, 0
	v_lshlrev_b32_e32 v14, 3, v14
	v_mad_u64_u32 v[19:20], s[8:9], s31, v15, v[19:20]
	v_lshlrev_b64 v[18:19], 3, v[18:19]
	v_add_co_u32_e32 v18, vcc, v12, v18
	v_addc_co_u32_e32 v19, vcc, v13, v19, vcc
	flat_load_dwordx2 v[18:19], v[18:19]
	s_waitcnt vmcnt(0) lgkmcnt(0)
	v_xor_b32_e32 v18, 0x80000000, v18
	ds_write_b64 v14, v[18:19]
.LBB147_24:
	s_or_b64 exec, exec, s[2:3]
	v_add_u32_e32 v15, 32, v1
	v_add_u32_e32 v14, v15, v10
	v_lshl_add_u32 v18, v15, 6, v0
	v_cndmask_b32_e64 v14, v18, v14, s[0:1]
	v_cmp_le_u32_e32 vcc, v15, v0
	s_and_saveexec_b64 s[2:3], vcc
	s_xor_b64 s[2:3], exec, s[2:3]
	s_cbranch_execz .LBB147_28
; %bb.25:
	v_or_b32_e32 v15, v15, v0
	v_cmp_gt_u32_e32 vcc, 64, v15
	s_and_saveexec_b64 s[8:9], vcc
; %bb.26:
	v_lshlrev_b32_e32 v18, 3, v14
	v_mov_b32_e32 v14, 0
	v_mov_b32_e32 v15, v14
	ds_write_b64 v18, v[14:15]
; %bb.27:
	s_or_b64 exec, exec, s[8:9]
                                        ; implicit-def: $vgpr15
                                        ; implicit-def: $vgpr14
.LBB147_28:
	s_andn2_saveexec_b64 s[2:3], s[2:3]
	s_cbranch_execz .LBB147_30
; %bb.29:
	v_mad_u64_u32 v[18:19], s[8:9], s30, v15, 0
	v_lshlrev_b32_e32 v14, 3, v14
	v_mad_u64_u32 v[19:20], s[8:9], s31, v15, v[19:20]
	v_lshlrev_b64 v[18:19], 3, v[18:19]
	v_add_co_u32_e32 v18, vcc, v12, v18
	v_addc_co_u32_e32 v19, vcc, v13, v19, vcc
	flat_load_dwordx2 v[18:19], v[18:19]
	s_waitcnt vmcnt(0) lgkmcnt(0)
	v_xor_b32_e32 v18, 0x80000000, v18
	ds_write_b64 v14, v[18:19]
.LBB147_30:
	s_or_b64 exec, exec, s[2:3]
	v_add_u32_e32 v15, 48, v1
	v_add_u32_e32 v14, v15, v10
	v_lshl_add_u32 v18, v15, 6, v0
	v_cndmask_b32_e64 v14, v18, v14, s[0:1]
	v_cmp_le_u32_e32 vcc, v15, v0
	s_and_saveexec_b64 s[2:3], vcc
	s_xor_b64 s[2:3], exec, s[2:3]
	s_cbranch_execz .LBB147_34
; %bb.31:
	v_or_b32_e32 v12, v15, v0
	v_cmp_gt_u32_e32 vcc, 64, v12
	s_and_saveexec_b64 s[8:9], vcc
; %bb.32:
	v_mov_b32_e32 v12, 0
	v_lshlrev_b32_e32 v14, 3, v14
	v_mov_b32_e32 v13, v12
	ds_write_b64 v14, v[12:13]
; %bb.33:
	s_or_b64 exec, exec, s[8:9]
                                        ; implicit-def: $vgpr15
                                        ; implicit-def: $vgpr12
                                        ; implicit-def: $vgpr13
                                        ; implicit-def: $vgpr14
.LBB147_34:
	s_andn2_saveexec_b64 s[2:3], s[2:3]
	s_cbranch_execz .LBB147_36
; %bb.35:
	v_mad_u64_u32 v[18:19], s[8:9], s30, v15, 0
	v_lshlrev_b32_e32 v14, 3, v14
	v_mad_u64_u32 v[19:20], s[8:9], s31, v15, v[19:20]
	v_lshlrev_b64 v[18:19], 3, v[18:19]
	v_add_co_u32_e32 v12, vcc, v12, v18
	v_addc_co_u32_e32 v13, vcc, v13, v19, vcc
	flat_load_dwordx2 v[12:13], v[12:13]
	s_waitcnt vmcnt(0) lgkmcnt(0)
	v_xor_b32_e32 v12, 0x80000000, v12
	ds_write_b64 v14, v[12:13]
.LBB147_36:
	s_or_b64 exec, exec, s[2:3]
	s_mov_b64 s[12:13], 0
.LBB147_37:
	s_xor_b64 s[10:11], s[0:1], -1
	s_and_b64 vcc, exec, s[12:13]
	s_cbranch_vccz .LBB147_63
; %bb.38:
	s_add_u32 s2, s30, 1
	s_addc_u32 s3, s31, 0
	s_lshl_b32 s8, s6, 6
	s_ashr_i32 s9, s8, 31
	s_mul_hi_u32 s12, s2, s8
	s_mul_i32 s9, s2, s9
	s_add_i32 s9, s12, s9
	s_mul_i32 s3, s3, s8
	s_add_i32 s3, s9, s3
	s_mul_i32 s2, s2, s8
	s_lshl_b64 s[2:3], s[2:3], 3
	s_add_u32 s2, s90, s2
	s_addc_u32 s3, s91, s3
	v_lshlrev_b32_e32 v12, 3, v0
	v_mov_b32_e32 v13, s3
	v_add_co_u32_e64 v12, s[2:3], s2, v12
	v_addc_co_u32_e64 v13, s[2:3], 0, v13, s[2:3]
	v_max_i32_e32 v14, v1, v0
	v_cmp_le_u32_e64 s[2:3], v1, v0
	v_cmp_le_i32_e64 s[8:9], s7, v14
	v_cmp_gt_i32_e32 vcc, s7, v0
	s_or_b64 s[2:3], s[8:9], s[2:3]
	s_and_saveexec_b64 s[8:9], s[2:3]
	s_xor_b64 s[8:9], exec, s[8:9]
	s_cbranch_execz .LBB147_42
; %bb.39:
	v_or_b32_e32 v14, v1, v0
	v_cmp_gt_u32_e64 s[2:3], 64, v14
	s_and_saveexec_b64 s[12:13], s[2:3]
; %bb.40:
	v_mov_b32_e32 v14, 0
	v_lshlrev_b32_e32 v11, 3, v11
	v_mov_b32_e32 v15, v14
	ds_write_b64 v11, v[14:15]
; %bb.41:
	s_or_b64 exec, exec, s[12:13]
                                        ; implicit-def: $vgpr11
.LBB147_42:
	s_andn2_saveexec_b64 s[8:9], s[8:9]
	s_cbranch_execz .LBB147_44
; %bb.43:
	v_mad_u64_u32 v[14:15], s[2:3], s30, v1, 0
	v_lshlrev_b32_e32 v11, 3, v11
	v_mad_u64_u32 v[18:19], s[2:3], s31, v1, v[15:16]
	v_mov_b32_e32 v15, v18
	v_lshlrev_b64 v[14:15], 3, v[14:15]
	v_add_co_u32_e64 v14, s[2:3], v12, v14
	v_addc_co_u32_e64 v15, s[2:3], v13, v15, s[2:3]
	flat_load_dwordx2 v[14:15], v[14:15]
	s_waitcnt vmcnt(0) lgkmcnt(0)
	v_xor_b32_e32 v14, 0x80000000, v14
	ds_write_b64 v11, v[14:15]
.LBB147_44:
	s_or_b64 exec, exec, s[8:9]
	v_add_u32_e32 v14, 16, v1
	v_cmp_gt_u32_e64 s[2:3], v14, v0
	v_cmp_gt_i32_e64 s[8:9], s7, v14
	s_and_b64 s[2:3], s[2:3], s[8:9]
	v_add_u32_e32 v11, v14, v10
	v_lshl_add_u32 v15, v14, 6, v0
	s_and_b64 s[2:3], s[2:3], vcc
	v_cndmask_b32_e64 v11, v15, v11, s[0:1]
	s_xor_b64 s[2:3], s[2:3], -1
	s_and_saveexec_b64 s[8:9], s[2:3]
	s_xor_b64 s[8:9], exec, s[8:9]
	s_cbranch_execz .LBB147_48
; %bb.45:
	v_or_b32_e32 v14, v14, v0
	v_cmp_gt_u32_e64 s[2:3], 64, v14
	s_and_saveexec_b64 s[12:13], s[2:3]
; %bb.46:
	v_mov_b32_e32 v14, 0
	v_lshlrev_b32_e32 v11, 3, v11
	v_mov_b32_e32 v15, v14
	ds_write_b64 v11, v[14:15]
; %bb.47:
	s_or_b64 exec, exec, s[12:13]
                                        ; implicit-def: $vgpr14
                                        ; implicit-def: $vgpr11
.LBB147_48:
	s_andn2_saveexec_b64 s[8:9], s[8:9]
	s_cbranch_execz .LBB147_50
; %bb.49:
	v_mad_u64_u32 v[18:19], s[2:3], s30, v14, 0
	v_lshlrev_b32_e32 v11, 3, v11
	v_mov_b32_e32 v15, v19
	v_mad_u64_u32 v[14:15], s[2:3], s31, v14, v[15:16]
	v_mov_b32_e32 v19, v14
	v_lshlrev_b64 v[14:15], 3, v[18:19]
	v_add_co_u32_e64 v14, s[2:3], v12, v14
	v_addc_co_u32_e64 v15, s[2:3], v13, v15, s[2:3]
	flat_load_dwordx2 v[14:15], v[14:15]
	s_waitcnt vmcnt(0) lgkmcnt(0)
	v_xor_b32_e32 v14, 0x80000000, v14
	ds_write_b64 v11, v[14:15]
.LBB147_50:
	s_or_b64 exec, exec, s[8:9]
	v_add_u32_e32 v14, 32, v1
	v_cmp_gt_u32_e64 s[2:3], v14, v0
	v_cmp_gt_i32_e64 s[8:9], s7, v14
	s_and_b64 s[2:3], s[2:3], s[8:9]
	v_add_u32_e32 v11, v14, v10
	v_lshl_add_u32 v15, v14, 6, v0
	s_and_b64 s[2:3], s[2:3], vcc
	v_cndmask_b32_e64 v11, v15, v11, s[0:1]
	s_xor_b64 s[2:3], s[2:3], -1
	s_and_saveexec_b64 s[8:9], s[2:3]
	s_xor_b64 s[8:9], exec, s[8:9]
	s_cbranch_execz .LBB147_54
; %bb.51:
	v_or_b32_e32 v14, v14, v0
	v_cmp_gt_u32_e64 s[2:3], 64, v14
	s_and_saveexec_b64 s[12:13], s[2:3]
; %bb.52:
	v_mov_b32_e32 v14, 0
	v_lshlrev_b32_e32 v11, 3, v11
	v_mov_b32_e32 v15, v14
	ds_write_b64 v11, v[14:15]
; %bb.53:
	s_or_b64 exec, exec, s[12:13]
                                        ; implicit-def: $vgpr14
                                        ; implicit-def: $vgpr11
.LBB147_54:
	s_andn2_saveexec_b64 s[8:9], s[8:9]
	s_cbranch_execz .LBB147_56
; %bb.55:
	v_mad_u64_u32 v[18:19], s[2:3], s30, v14, 0
	v_lshlrev_b32_e32 v11, 3, v11
	v_mov_b32_e32 v15, v19
	v_mad_u64_u32 v[14:15], s[2:3], s31, v14, v[15:16]
	v_mov_b32_e32 v19, v14
	v_lshlrev_b64 v[14:15], 3, v[18:19]
	v_add_co_u32_e64 v14, s[2:3], v12, v14
	v_addc_co_u32_e64 v15, s[2:3], v13, v15, s[2:3]
	flat_load_dwordx2 v[14:15], v[14:15]
	s_waitcnt vmcnt(0) lgkmcnt(0)
	v_xor_b32_e32 v14, 0x80000000, v14
	ds_write_b64 v11, v[14:15]
.LBB147_56:
	s_or_b64 exec, exec, s[8:9]
	v_add_u32_e32 v11, 48, v1
	v_add_u32_e32 v10, v11, v10
	v_lshl_add_u32 v14, v11, 6, v0
	v_cndmask_b32_e64 v10, v14, v10, s[0:1]
	v_cmp_gt_u32_e64 s[0:1], v11, v0
	v_cmp_gt_i32_e64 s[2:3], s7, v11
	s_and_b64 s[0:1], s[0:1], s[2:3]
	s_and_b64 s[0:1], s[0:1], vcc
	s_xor_b64 s[0:1], s[0:1], -1
	s_and_saveexec_b64 s[2:3], s[0:1]
	s_xor_b64 s[0:1], exec, s[2:3]
	s_cbranch_execz .LBB147_60
; %bb.57:
	v_or_b32_e32 v11, v11, v0
	v_cmp_gt_u32_e32 vcc, 64, v11
	s_and_saveexec_b64 s[2:3], vcc
; %bb.58:
	v_lshlrev_b32_e32 v12, 3, v10
	v_mov_b32_e32 v10, 0
	v_mov_b32_e32 v11, v10
	ds_write_b64 v12, v[10:11]
; %bb.59:
	s_or_b64 exec, exec, s[2:3]
                                        ; implicit-def: $vgpr11
                                        ; implicit-def: $vgpr12
                                        ; implicit-def: $vgpr13
                                        ; implicit-def: $vgpr10
.LBB147_60:
	s_andn2_saveexec_b64 s[0:1], s[0:1]
	s_cbranch_execz .LBB147_62
; %bb.61:
	v_mad_u64_u32 v[14:15], s[2:3], s30, v11, 0
	v_lshlrev_b32_e32 v10, 3, v10
	v_mad_u64_u32 v[18:19], s[2:3], s31, v11, v[15:16]
	v_mov_b32_e32 v15, v18
	v_lshlrev_b64 v[14:15], 3, v[14:15]
	v_add_co_u32_e32 v11, vcc, v12, v14
	v_addc_co_u32_e32 v12, vcc, v13, v15, vcc
	flat_load_dwordx2 v[11:12], v[11:12]
	s_waitcnt vmcnt(0) lgkmcnt(0)
	v_xor_b32_e32 v11, 0x80000000, v11
	ds_write_b64 v10, v[11:12]
.LBB147_62:
	s_or_b64 exec, exec, s[0:1]
.LBB147_63:
	v_cndmask_b32_e64 v10, 0, 1, s[10:11]
	v_cmp_ne_u32_e64 s[46:47], 1, v10
	s_andn2_b64 vcc, exec, s[10:11]
	s_waitcnt vmcnt(0) lgkmcnt(0)
	s_barrier
	s_cbranch_vccnz .LBB147_985
; %bb.64:
	v_or_b32_e32 v10, v0, v1
	s_mov_b32 s3, 0
	v_cmp_eq_u32_e32 vcc, 0, v10
	s_and_saveexec_b64 s[0:1], vcc
	s_cbranch_execz .LBB147_66
; %bb.65:
	v_mov_b32_e32 v14, 0
	ds_read_b64 v[10:11], v14 offset:32752
	s_mov_b32 s2, 1.0
	v_mov_b32_e32 v13, s3
	v_mov_b32_e32 v12, s2
	s_movk_i32 s2, 0x7800
	ds_write_b64 v14, v[12:13] offset:32760
	v_add_u32_e64 v14, s2, 0
	s_waitcnt lgkmcnt(1)
	ds_write2_b64 v14, v[12:13], v[10:11] offset0:190 offset1:191
.LBB147_66:
	s_or_b64 exec, exec, s[0:1]
	v_lshlrev_b32_e32 v10, 6, v1
	v_add_u32_e32 v15, v10, v0
	v_and_b32_e32 v11, v10, v0
	v_xor_b32_e32 v10, v10, v0
	v_lshrrev_b16_e32 v10, 1, v10
	v_add_u16_e32 v14, v11, v10
	v_and_b32_e32 v12, 1, v0
	v_sub_u32_e32 v13, 1, v14
	v_cmp_lt_u32_e64 s[8:9], 3, v15
	v_cmp_gt_u32_e64 s[2:3], 4, v15
	v_mov_b32_e32 v10, 0
	v_mov_b32_e32 v11, 0
	s_waitcnt lgkmcnt(0)
	s_barrier
	buffer_wbinvl1_vol
	s_and_saveexec_b64 s[0:1], s[2:3]
	s_cbranch_execz .LBB147_70
; %bb.67:
	v_lshlrev_b32_e32 v10, 3, v12
	v_lshlrev_b32_e32 v18, 9, v13
	ds_read_b64 v[10:11], v10 offset:32224
	ds_read_b64 v[18:19], v18 offset:32240
	v_cmp_gt_u32_e64 s[10:11], 2, v15
	s_waitcnt lgkmcnt(0)
	v_mul_f32_e32 v20, v19, v11
	v_mul_f32_e32 v11, v18, v11
	v_fma_f32 v18, v18, v10, -v20
	v_fmac_f32_e32 v11, v19, v10
	v_add_f32_e32 v10, 0, v18
	v_add_f32_e32 v11, 0, v11
	s_and_saveexec_b64 s[12:13], s[10:11]
	s_cbranch_execz .LBB147_69
; %bb.68:
	v_lshlrev_b32_e32 v18, 3, v0
	v_mov_b32_e32 v20, 0
	ds_read_b64 v[18:19], v18 offset:32736
	ds_read_b64 v[20:21], v20 offset:32760
	s_waitcnt lgkmcnt(0)
	v_mul_f32_e32 v22, v21, v19
	v_mul_f32_e32 v19, v20, v19
	v_fma_f32 v20, v20, v18, -v22
	v_fmac_f32_e32 v19, v21, v18
	v_add_f32_e32 v10, v10, v20
	v_add_f32_e32 v11, v11, v19
.LBB147_69:
	s_or_b64 exec, exec, s[12:13]
.LBB147_70:
	s_or_b64 exec, exec, s[0:1]
	v_mov_b32_e32 v18, 0x8000
	v_cmp_ne_u32_e64 s[10:11], 0, v12
	s_xor_b64 s[0:1], s[8:9], -1
	v_lshl_add_u32 v14, v14, 3, v18
	s_and_b64 s[40:41], s[10:11], s[0:1]
	s_and_saveexec_b64 s[8:9], s[40:41]
; %bb.71:
	v_xor_b32_e32 v19, 0x80000000, v11
	v_xor_b32_e32 v18, 0x80000000, v10
	ds_write_b64 v14, v[18:19]
; %bb.72:
	s_or_b64 exec, exec, s[8:9]
	v_cmp_eq_u32_e64 s[8:9], 0, v12
	s_and_b64 s[38:39], s[8:9], s[0:1]
	s_waitcnt lgkmcnt(0)
	s_barrier
	s_and_saveexec_b64 s[0:1], s[38:39]
	s_cbranch_execz .LBB147_74
; %bb.73:
	v_mov_b32_e32 v18, 0
	ds_read_b64 v[18:19], v18 offset:31712
	ds_read_b64 v[20:21], v14
	s_waitcnt lgkmcnt(0)
	v_mul_f32_e32 v22, v20, v18
	v_mul_f32_e32 v20, v20, v19
	v_fmac_f32_e32 v20, v21, v18
	v_fma_f32 v18, v21, v19, -v22
	v_add_f32_e32 v10, v10, v18
	v_sub_f32_e32 v11, v11, v20
.LBB147_74:
	s_or_b64 exec, exec, s[0:1]
	s_barrier
	s_and_saveexec_b64 s[0:1], s[38:39]
; %bb.75:
	v_xor_b32_e32 v19, 0x80000000, v11
	v_xor_b32_e32 v18, 0x80000000, v10
	ds_write_b64 v14, v[18:19]
; %bb.76:
	s_or_b64 exec, exec, s[0:1]
	s_waitcnt lgkmcnt(0)
	s_barrier
	s_barrier
	s_and_saveexec_b64 s[0:1], s[2:3]
; %bb.77:
	v_lshlrev_b32_e32 v18, 3, v12
	v_lshl_or_b32 v18, v13, 9, v18
	ds_write_b64 v18, v[10:11] offset:32224
; %bb.78:
	s_or_b64 exec, exec, s[0:1]
	v_cmp_eq_u32_e64 s[12:13], 0, v1
	v_cmp_gt_u32_e64 s[8:9], 2, v0
	s_and_b64 s[42:43], s[12:13], s[8:9]
	s_waitcnt lgkmcnt(0)
	s_barrier
	s_barrier
	s_and_saveexec_b64 s[0:1], s[42:43]
	s_cbranch_execz .LBB147_80
; %bb.79:
	v_lshlrev_b32_e32 v18, 3, v0
	s_movk_i32 s8, 0x1f8
	v_mad_u32_u24 v19, v0, s8, v18
	ds_read_b64 v[10:11], v19 offset:32224
	s_waitcnt lgkmcnt(0)
	ds_write_b64 v18, v[10:11] offset:31216
	ds_read_b64 v[10:11], v19 offset:32232
	s_waitcnt lgkmcnt(0)
	ds_write_b64 v18, v[10:11] offset:31728
.LBB147_80:
	s_or_b64 exec, exec, s[0:1]
	s_waitcnt lgkmcnt(0)
	s_barrier
	s_and_saveexec_b64 s[0:1], vcc
	s_cbranch_execz .LBB147_82
; %bb.81:
	v_mov_b32_e32 v20, 0
	ds_read_b64 v[10:11], v20 offset:31712
	s_mov_b64 s[8:9], 0x3f800000
	v_mov_b32_e32 v19, s9
	v_mov_b32_e32 v18, s8
	s_movk_i32 s8, 0x7800
	ds_write_b64 v20, v[18:19] offset:31720
	v_add_u32_e64 v20, s8, 0
	s_waitcnt lgkmcnt(1)
	ds_write2_b64 v20, v[18:19], v[10:11] offset0:60 offset1:61
.LBB147_82:
	s_or_b64 exec, exec, s[0:1]
	v_lshrrev_b32_e32 v20, 2, v15
	v_and_b32_e32 v18, 3, v0
	v_sub_u32_e32 v19, 3, v20
	v_cmp_lt_u32_e64 s[8:9], 15, v15
	v_cmp_gt_u32_e64 s[18:19], 16, v15
	v_mov_b32_e32 v11, 0
	v_mov_b32_e32 v10, 0
	s_waitcnt lgkmcnt(0)
	s_barrier
	buffer_wbinvl1_vol
	s_and_saveexec_b64 s[0:1], s[18:19]
	s_cbranch_execz .LBB147_88
; %bb.83:
	v_lshlrev_b32_e32 v21, 3, v18
	v_lshlrev_b32_e32 v22, 9, v19
	ds_read_b64 v[10:11], v21 offset:31168
	ds_read_b64 v[23:24], v22 offset:31200
	v_cmp_gt_u32_e64 s[10:11], 12, v15
	s_waitcnt lgkmcnt(0)
	v_mul_f32_e32 v25, v24, v11
	v_mul_f32_e32 v11, v23, v11
	v_fma_f32 v23, v23, v10, -v25
	v_fmac_f32_e32 v11, v24, v10
	v_add_f32_e32 v10, 0, v23
	v_add_f32_e32 v11, 0, v11
	s_and_saveexec_b64 s[14:15], s[10:11]
	s_cbranch_execnz .LBB147_1061
; %bb.84:
	s_or_b64 exec, exec, s[14:15]
	v_cmp_gt_u32_e64 s[10:11], 8, v15
	s_and_saveexec_b64 s[14:15], s[10:11]
	s_cbranch_execnz .LBB147_1062
.LBB147_85:
	s_or_b64 exec, exec, s[14:15]
	v_cmp_gt_u32_e64 s[10:11], 4, v15
	s_and_saveexec_b64 s[14:15], s[10:11]
	s_cbranch_execz .LBB147_87
.LBB147_86:
	v_lshlrev_b32_e32 v21, 3, v0
	v_mov_b32_e32 v23, 0
	ds_read_b64 v[21:22], v21 offset:32704
	ds_read_b64 v[23:24], v23 offset:32760
	s_waitcnt lgkmcnt(0)
	v_mul_f32_e32 v25, v24, v22
	v_mul_f32_e32 v22, v23, v22
	v_fma_f32 v23, v23, v21, -v25
	v_fmac_f32_e32 v22, v24, v21
	v_add_f32_e32 v10, v10, v23
	v_add_f32_e32 v11, v11, v22
.LBB147_87:
	s_or_b64 exec, exec, s[14:15]
.LBB147_88:
                                        ; implicit-def: $vgpr37 : SGPR spill to VGPR lane
	v_writelane_b32 v37, s46, 0
	v_writelane_b32 v37, s47, 1
	s_or_b64 exec, exec, s[0:1]
	v_mov_b32_e32 v21, 0x8000
	v_cmp_eq_u32_e64 s[10:11], 3, v18
	s_xor_b64 s[0:1], s[8:9], -1
	v_lshl_add_u32 v20, v20, 3, v21
	s_and_b64 s[46:47], s[10:11], s[0:1]
	s_and_saveexec_b64 s[8:9], s[46:47]
; %bb.89:
	v_xor_b32_e32 v21, 0x80000000, v10
	v_xor_b32_e32 v22, 0x80000000, v11
	ds_write_b64 v20, v[21:22]
; %bb.90:
	s_or_b64 exec, exec, s[8:9]
	v_cmp_ne_u32_e64 s[8:9], 3, v18
	s_and_b64 s[48:49], s[8:9], s[0:1]
	s_waitcnt lgkmcnt(0)
	s_barrier
	s_and_saveexec_b64 s[8:9], s[48:49]
	s_cbranch_execz .LBB147_92
; %bb.91:
	v_lshlrev_b32_e32 v21, 3, v18
	ds_read_b64 v[21:22], v21 offset:30656
	ds_read_b64 v[23:24], v20
	s_waitcnt lgkmcnt(0)
	v_mul_f32_e32 v25, v24, v22
	v_mul_f32_e32 v22, v23, v22
	v_fma_f32 v23, v23, v21, -v25
	v_fmac_f32_e32 v22, v24, v21
	v_sub_f32_e32 v10, v10, v23
	v_sub_f32_e32 v11, v11, v22
.LBB147_92:
	s_or_b64 exec, exec, s[8:9]
	v_cmp_eq_u32_e64 s[8:9], 2, v18
	s_and_b64 s[50:51], s[8:9], s[0:1]
	s_barrier
	s_and_saveexec_b64 s[8:9], s[50:51]
; %bb.93:
	v_xor_b32_e32 v21, 0x80000000, v10
	v_xor_b32_e32 v22, 0x80000000, v11
	ds_write_b64 v20, v[21:22]
; %bb.94:
	s_or_b64 exec, exec, s[8:9]
	v_cmp_gt_u32_e64 s[8:9], 2, v18
	s_and_b64 s[52:53], s[8:9], s[0:1]
	s_waitcnt lgkmcnt(0)
	s_barrier
	s_and_saveexec_b64 s[8:9], s[52:53]
	s_cbranch_execz .LBB147_96
; %bb.95:
	v_lshlrev_b32_e32 v21, 3, v18
	ds_read_b64 v[21:22], v21 offset:30144
	ds_read_b64 v[23:24], v20
	s_waitcnt lgkmcnt(0)
	v_mul_f32_e32 v25, v24, v22
	v_mul_f32_e32 v22, v23, v22
	v_fma_f32 v23, v23, v21, -v25
	v_fmac_f32_e32 v22, v24, v21
	v_sub_f32_e32 v10, v10, v23
	v_sub_f32_e32 v11, v11, v22
.LBB147_96:
	s_or_b64 exec, exec, s[8:9]
	v_cmp_eq_u32_e64 s[8:9], 1, v18
	s_and_b64 s[54:55], s[8:9], s[0:1]
	s_barrier
	s_and_saveexec_b64 s[8:9], s[54:55]
; %bb.97:
	v_xor_b32_e32 v21, 0x80000000, v10
	v_xor_b32_e32 v22, 0x80000000, v11
	ds_write_b64 v20, v[21:22]
; %bb.98:
	s_or_b64 exec, exec, s[8:9]
	v_cmp_eq_u32_e64 s[8:9], 0, v18
	s_and_b64 s[44:45], s[8:9], s[0:1]
	s_waitcnt lgkmcnt(0)
	s_barrier
	s_and_saveexec_b64 s[0:1], s[44:45]
	s_cbranch_execz .LBB147_100
; %bb.99:
	v_mov_b32_e32 v21, 0
	ds_read_b64 v[21:22], v21 offset:29632
	ds_read_b64 v[23:24], v20
	s_waitcnt lgkmcnt(0)
	v_mul_f32_e32 v25, v24, v22
	v_mul_f32_e32 v22, v23, v22
	v_fma_f32 v23, v23, v21, -v25
	v_fmac_f32_e32 v22, v24, v21
	v_sub_f32_e32 v10, v10, v23
	v_sub_f32_e32 v11, v11, v22
.LBB147_100:
	s_or_b64 exec, exec, s[0:1]
	s_barrier
	s_and_saveexec_b64 s[0:1], s[44:45]
; %bb.101:
	v_xor_b32_e32 v21, 0x80000000, v10
	v_xor_b32_e32 v22, 0x80000000, v11
	ds_write_b64 v20, v[21:22]
; %bb.102:
	s_or_b64 exec, exec, s[0:1]
	s_waitcnt lgkmcnt(0)
	s_barrier
	s_barrier
	s_and_saveexec_b64 s[0:1], s[18:19]
; %bb.103:
	v_lshlrev_b32_e32 v21, 3, v18
	v_lshl_or_b32 v21, v19, 9, v21
	ds_write_b64 v21, v[10:11] offset:31168
; %bb.104:
	s_or_b64 exec, exec, s[0:1]
	v_cmp_gt_u32_e64 s[8:9], 4, v0
	s_and_b64 s[56:57], s[12:13], s[8:9]
	s_waitcnt lgkmcnt(0)
	s_barrier
	s_barrier
	s_and_saveexec_b64 s[0:1], s[56:57]
	s_cbranch_execz .LBB147_106
; %bb.105:
	v_lshlrev_b32_e32 v21, 9, v0
	ds_read_b64 v[10:11], v21 offset:31168
	s_movk_i32 s8, 0xfe08
	v_mad_i32_i24 v22, v0, s8, v21
	s_waitcnt lgkmcnt(0)
	ds_write_b64 v22, v[10:11] offset:29152
	ds_read_b64 v[10:11], v21 offset:31176
	s_waitcnt lgkmcnt(0)
	ds_write_b64 v22, v[10:11] offset:29664
	ds_read_b64 v[10:11], v21 offset:31184
	;; [unrolled: 3-line block ×3, first 2 shown]
	s_waitcnt lgkmcnt(0)
	ds_write_b64 v22, v[10:11] offset:30688
.LBB147_106:
	s_or_b64 exec, exec, s[0:1]
	s_waitcnt lgkmcnt(0)
	s_barrier
	s_and_saveexec_b64 s[0:1], vcc
	s_cbranch_execz .LBB147_108
; %bb.107:
	v_mov_b32_e32 v23, 0
	ds_read_b64 v[10:11], v23 offset:30672
	s_mov_b64 s[8:9], 0x3f800000
	v_mov_b32_e32 v22, s9
	v_mov_b32_e32 v21, s8
	s_movk_i32 s8, 0x7000
	ds_write_b64 v23, v[21:22] offset:30680
	v_add_u32_e64 v23, s8, 0
	s_waitcnt lgkmcnt(1)
	ds_write2_b64 v23, v[21:22], v[10:11] offset0:186 offset1:187
.LBB147_108:
	s_or_b64 exec, exec, s[0:1]
	v_mov_b32_e32 v10, 0
	v_mov_b32_e32 v11, 0
	s_waitcnt lgkmcnt(0)
	s_barrier
	buffer_wbinvl1_vol
	s_and_saveexec_b64 s[0:1], s[2:3]
	s_cbranch_execz .LBB147_112
; %bb.109:
	v_lshlrev_b32_e32 v10, 3, v12
	v_lshlrev_b32_e32 v21, 9, v13
	ds_read_b64 v[10:11], v10 offset:30144
	ds_read_b64 v[21:22], v21 offset:30160
	v_cmp_gt_u32_e64 s[8:9], 2, v15
	s_waitcnt lgkmcnt(0)
	v_mul_f32_e32 v23, v22, v11
	v_mul_f32_e32 v11, v21, v11
	v_fma_f32 v21, v21, v10, -v23
	v_fmac_f32_e32 v11, v22, v10
	v_add_f32_e32 v10, 0, v21
	v_add_f32_e32 v11, 0, v11
	s_and_saveexec_b64 s[10:11], s[8:9]
	s_cbranch_execz .LBB147_111
; %bb.110:
	v_lshlrev_b32_e32 v21, 3, v0
	v_mov_b32_e32 v23, 0
	ds_read_b64 v[21:22], v21 offset:30656
	ds_read_b64 v[23:24], v23 offset:30680
	s_waitcnt lgkmcnt(0)
	v_mul_f32_e32 v25, v24, v22
	v_mul_f32_e32 v22, v23, v22
	v_fma_f32 v23, v23, v21, -v25
	v_fmac_f32_e32 v22, v24, v21
	v_add_f32_e32 v10, v10, v23
	v_add_f32_e32 v11, v11, v22
.LBB147_111:
	s_or_b64 exec, exec, s[10:11]
.LBB147_112:
	s_or_b64 exec, exec, s[0:1]
	s_and_saveexec_b64 s[0:1], s[40:41]
; %bb.113:
	v_xor_b32_e32 v22, 0x80000000, v11
	v_xor_b32_e32 v21, 0x80000000, v10
	ds_write_b64 v14, v[21:22]
; %bb.114:
	s_or_b64 exec, exec, s[0:1]
	s_waitcnt lgkmcnt(0)
	s_barrier
	s_and_saveexec_b64 s[0:1], s[38:39]
	s_cbranch_execz .LBB147_116
; %bb.115:
	v_mov_b32_e32 v21, 0
	ds_read_b64 v[21:22], v21 offset:29632
	ds_read_b64 v[23:24], v14
	s_waitcnt lgkmcnt(0)
	v_mul_f32_e32 v25, v23, v21
	v_mul_f32_e32 v23, v23, v22
	v_fmac_f32_e32 v23, v24, v21
	v_fma_f32 v21, v24, v22, -v25
	v_add_f32_e32 v10, v10, v21
	v_sub_f32_e32 v11, v11, v23
.LBB147_116:
	s_or_b64 exec, exec, s[0:1]
	s_barrier
	s_and_saveexec_b64 s[0:1], s[38:39]
; %bb.117:
	v_xor_b32_e32 v22, 0x80000000, v11
	v_xor_b32_e32 v21, 0x80000000, v10
	ds_write_b64 v14, v[21:22]
; %bb.118:
	s_or_b64 exec, exec, s[0:1]
	s_waitcnt lgkmcnt(0)
	s_barrier
	s_barrier
	s_and_saveexec_b64 s[0:1], s[2:3]
; %bb.119:
	v_lshlrev_b32_e32 v21, 3, v12
	v_lshl_or_b32 v21, v13, 9, v21
	ds_write_b64 v21, v[10:11] offset:30144
; %bb.120:
	s_or_b64 exec, exec, s[0:1]
	s_waitcnt lgkmcnt(0)
	s_barrier
	s_barrier
	s_and_saveexec_b64 s[0:1], s[42:43]
	s_cbranch_execz .LBB147_122
; %bb.121:
	v_lshlrev_b32_e32 v21, 3, v0
	s_movk_i32 s8, 0x1f8
	v_mad_u32_u24 v22, v0, s8, v21
	ds_read_b64 v[10:11], v22 offset:30144
	s_waitcnt lgkmcnt(0)
	ds_write_b64 v21, v[10:11] offset:29136
	ds_read_b64 v[10:11], v22 offset:30152
	s_waitcnt lgkmcnt(0)
	ds_write_b64 v21, v[10:11] offset:29648
.LBB147_122:
	s_or_b64 exec, exec, s[0:1]
	s_waitcnt lgkmcnt(0)
	s_barrier
	s_and_saveexec_b64 s[0:1], vcc
	s_cbranch_execz .LBB147_124
; %bb.123:
	v_mov_b32_e32 v23, 0
	ds_read_b64 v[10:11], v23 offset:29632
	s_mov_b64 s[8:9], 0x3f800000
	v_mov_b32_e32 v22, s9
	v_mov_b32_e32 v21, s8
	s_movk_i32 s8, 0x7000
	ds_write_b64 v23, v[21:22] offset:29640
	v_add_u32_e64 v23, s8, 0
	s_waitcnt lgkmcnt(1)
	ds_write2_b64 v23, v[21:22], v[10:11] offset0:56 offset1:57
.LBB147_124:
	s_or_b64 exec, exec, s[0:1]
	v_lshrrev_b32_e32 v23, 3, v15
	v_and_b32_e32 v21, 7, v0
	v_sub_u32_e32 v22, 7, v23
	v_cmp_lt_u32_e64 s[10:11], 63, v15
	v_cmp_gt_u32_e64 s[8:9], 64, v15
	v_mov_b32_e32 v11, 0
	v_mov_b32_e32 v10, 0
	s_waitcnt lgkmcnt(0)
	s_barrier
	buffer_wbinvl1_vol
	s_and_saveexec_b64 s[0:1], s[8:9]
	s_cbranch_execz .LBB147_134
; %bb.125:
	v_lshlrev_b32_e32 v24, 3, v21
	v_lshlrev_b32_e32 v25, 9, v22
	ds_read_b64 v[10:11], v24 offset:29056
	ds_read_b64 v[26:27], v25 offset:29120
	v_cmp_gt_u32_e64 s[14:15], 56, v15
	s_waitcnt lgkmcnt(0)
	v_mul_f32_e32 v28, v27, v11
	v_mul_f32_e32 v11, v26, v11
	v_fma_f32 v26, v26, v10, -v28
	v_fmac_f32_e32 v11, v27, v10
	v_add_f32_e32 v10, 0, v26
	v_add_f32_e32 v11, 0, v11
	s_and_saveexec_b64 s[16:17], s[14:15]
	s_cbranch_execnz .LBB147_1063
; %bb.126:
	s_or_b64 exec, exec, s[16:17]
	v_cmp_gt_u32_e64 s[14:15], 48, v15
	s_and_saveexec_b64 s[16:17], s[14:15]
	s_cbranch_execnz .LBB147_1064
.LBB147_127:
	s_or_b64 exec, exec, s[16:17]
	v_cmp_gt_u32_e64 s[14:15], 40, v15
	s_and_saveexec_b64 s[16:17], s[14:15]
	s_cbranch_execnz .LBB147_1065
.LBB147_128:
	s_or_b64 exec, exec, s[16:17]
	v_cmp_gt_u32_e64 s[14:15], 32, v15
	s_and_saveexec_b64 s[16:17], s[14:15]
	s_cbranch_execnz .LBB147_1066
.LBB147_129:
	s_or_b64 exec, exec, s[16:17]
	v_cmp_gt_u32_e64 s[14:15], 24, v15
	s_and_saveexec_b64 s[16:17], s[14:15]
	s_cbranch_execnz .LBB147_1067
.LBB147_130:
	s_or_b64 exec, exec, s[16:17]
	s_and_saveexec_b64 s[14:15], s[18:19]
	s_cbranch_execnz .LBB147_1068
.LBB147_131:
	s_or_b64 exec, exec, s[14:15]
	v_cmp_gt_u32_e64 s[14:15], 8, v15
	s_and_saveexec_b64 s[16:17], s[14:15]
	s_cbranch_execz .LBB147_133
.LBB147_132:
	v_lshlrev_b32_e32 v24, 3, v0
	v_mov_b32_e32 v26, 0
	ds_read_b64 v[24:25], v24 offset:32640
	ds_read_b64 v[26:27], v26 offset:32760
	s_waitcnt lgkmcnt(0)
	v_mul_f32_e32 v28, v27, v25
	v_mul_f32_e32 v25, v26, v25
	v_fma_f32 v26, v26, v24, -v28
	v_fmac_f32_e32 v25, v27, v24
	v_add_f32_e32 v10, v10, v26
	v_add_f32_e32 v11, v11, v25
.LBB147_133:
	s_or_b64 exec, exec, s[16:17]
.LBB147_134:
	s_or_b64 exec, exec, s[0:1]
	v_mov_b32_e32 v24, 0x8000
	v_cmp_eq_u32_e64 s[14:15], 7, v21
	s_xor_b64 s[0:1], s[10:11], -1
	v_lshl_add_u32 v23, v23, 3, v24
	s_and_b64 s[60:61], s[14:15], s[0:1]
	s_and_saveexec_b64 s[10:11], s[60:61]
; %bb.135:
	v_xor_b32_e32 v25, 0x80000000, v11
	v_xor_b32_e32 v24, 0x80000000, v10
	ds_write_b64 v23, v[24:25]
; %bb.136:
	s_or_b64 exec, exec, s[10:11]
	v_cmp_ne_u32_e64 s[10:11], 7, v21
	s_and_b64 s[62:63], s[10:11], s[0:1]
	s_waitcnt lgkmcnt(0)
	s_barrier
	s_and_saveexec_b64 s[10:11], s[62:63]
	s_cbranch_execz .LBB147_138
; %bb.137:
	v_lshlrev_b32_e32 v24, 3, v21
	ds_read_b64 v[24:25], v24 offset:28544
	ds_read_b64 v[26:27], v23
	s_waitcnt lgkmcnt(0)
	v_mul_f32_e32 v28, v27, v25
	v_mul_f32_e32 v25, v26, v25
	v_fma_f32 v26, v26, v24, -v28
	v_fmac_f32_e32 v25, v27, v24
	v_sub_f32_e32 v10, v10, v26
	v_sub_f32_e32 v11, v11, v25
.LBB147_138:
	s_or_b64 exec, exec, s[10:11]
	v_cmp_eq_u32_e64 s[10:11], 6, v21
	s_and_b64 s[64:65], s[10:11], s[0:1]
	s_barrier
	s_and_saveexec_b64 s[10:11], s[64:65]
; %bb.139:
	v_xor_b32_e32 v25, 0x80000000, v11
	v_xor_b32_e32 v24, 0x80000000, v10
	ds_write_b64 v23, v[24:25]
; %bb.140:
	s_or_b64 exec, exec, s[10:11]
	v_cmp_gt_u32_e64 s[10:11], 6, v21
	s_and_b64 s[66:67], s[10:11], s[0:1]
	s_waitcnt lgkmcnt(0)
	s_barrier
	s_and_saveexec_b64 s[10:11], s[66:67]
	s_cbranch_execz .LBB147_142
; %bb.141:
	v_lshlrev_b32_e32 v24, 3, v21
	ds_read_b64 v[24:25], v24 offset:28032
	ds_read_b64 v[26:27], v23
	s_waitcnt lgkmcnt(0)
	v_mul_f32_e32 v28, v27, v25
	v_mul_f32_e32 v25, v26, v25
	v_fma_f32 v26, v26, v24, -v28
	v_fmac_f32_e32 v25, v27, v24
	v_sub_f32_e32 v10, v10, v26
	v_sub_f32_e32 v11, v11, v25
.LBB147_142:
	s_or_b64 exec, exec, s[10:11]
	v_cmp_eq_u32_e64 s[10:11], 5, v21
	s_and_b64 s[68:69], s[10:11], s[0:1]
	s_barrier
	s_and_saveexec_b64 s[10:11], s[68:69]
; %bb.143:
	v_xor_b32_e32 v25, 0x80000000, v11
	v_xor_b32_e32 v24, 0x80000000, v10
	ds_write_b64 v23, v[24:25]
; %bb.144:
	s_or_b64 exec, exec, s[10:11]
	v_cmp_gt_u32_e64 s[10:11], 5, v21
	;; [unrolled: 29-line block ×5, first 2 shown]
	s_and_b64 s[82:83], s[10:11], s[0:1]
	s_waitcnt lgkmcnt(0)
	s_barrier
	s_and_saveexec_b64 s[10:11], s[82:83]
	s_cbranch_execz .LBB147_158
; %bb.157:
	v_lshlrev_b32_e32 v24, 3, v21
	ds_read_b64 v[24:25], v24 offset:25984
	ds_read_b64 v[26:27], v23
	s_waitcnt lgkmcnt(0)
	v_mul_f32_e32 v28, v27, v25
	v_mul_f32_e32 v25, v26, v25
	v_fma_f32 v26, v26, v24, -v28
	v_fmac_f32_e32 v25, v27, v24
	v_sub_f32_e32 v10, v10, v26
	v_sub_f32_e32 v11, v11, v25
.LBB147_158:
	s_or_b64 exec, exec, s[10:11]
	v_cmp_eq_u32_e64 s[10:11], 1, v21
	s_and_b64 s[84:85], s[10:11], s[0:1]
	s_barrier
	s_and_saveexec_b64 s[10:11], s[84:85]
; %bb.159:
	v_xor_b32_e32 v25, 0x80000000, v11
	v_xor_b32_e32 v24, 0x80000000, v10
	ds_write_b64 v23, v[24:25]
; %bb.160:
	s_or_b64 exec, exec, s[10:11]
	v_cmp_eq_u32_e64 s[10:11], 0, v21
	s_and_b64 s[58:59], s[10:11], s[0:1]
	s_waitcnt lgkmcnt(0)
	s_barrier
	s_and_saveexec_b64 s[0:1], s[58:59]
	s_cbranch_execz .LBB147_162
; %bb.161:
	v_mov_b32_e32 v24, 0
	ds_read_b64 v[24:25], v24 offset:25472
	ds_read_b64 v[26:27], v23
	s_waitcnt lgkmcnt(0)
	v_mul_f32_e32 v28, v27, v25
	v_mul_f32_e32 v25, v26, v25
	v_fma_f32 v26, v26, v24, -v28
	v_fmac_f32_e32 v25, v27, v24
	v_sub_f32_e32 v10, v10, v26
	v_sub_f32_e32 v11, v11, v25
.LBB147_162:
	s_or_b64 exec, exec, s[0:1]
	s_barrier
	s_and_saveexec_b64 s[0:1], s[58:59]
; %bb.163:
	v_xor_b32_e32 v25, 0x80000000, v11
	v_xor_b32_e32 v24, 0x80000000, v10
	ds_write_b64 v23, v[24:25]
; %bb.164:
	s_or_b64 exec, exec, s[0:1]
	s_waitcnt lgkmcnt(0)
	s_barrier
	s_barrier
	s_and_saveexec_b64 s[0:1], s[8:9]
; %bb.165:
	v_lshlrev_b32_e32 v24, 3, v21
	v_lshl_or_b32 v24, v22, 9, v24
	ds_write_b64 v24, v[10:11] offset:29056
; %bb.166:
	s_or_b64 exec, exec, s[0:1]
	v_cmp_gt_u32_e64 s[10:11], 8, v0
	s_and_b64 s[86:87], s[12:13], s[10:11]
	s_waitcnt lgkmcnt(0)
	s_barrier
	s_barrier
	s_and_saveexec_b64 s[0:1], s[86:87]
	s_cbranch_execz .LBB147_168
; %bb.167:
	v_lshlrev_b32_e32 v24, 9, v0
	ds_read_b64 v[10:11], v24 offset:29056
	s_movk_i32 s10, 0xfe08
	v_mad_i32_i24 v25, v0, s10, v24
	s_waitcnt lgkmcnt(0)
	ds_write_b64 v25, v[10:11] offset:25024
	ds_read_b64 v[10:11], v24 offset:29064
	s_waitcnt lgkmcnt(0)
	ds_write_b64 v25, v[10:11] offset:25536
	ds_read_b64 v[10:11], v24 offset:29072
	;; [unrolled: 3-line block ×7, first 2 shown]
	s_waitcnt lgkmcnt(0)
	ds_write_b64 v25, v[10:11] offset:28608
.LBB147_168:
	s_or_b64 exec, exec, s[0:1]
	s_waitcnt lgkmcnt(0)
	s_barrier
	s_and_saveexec_b64 s[0:1], vcc
	s_cbranch_execz .LBB147_170
; %bb.169:
	v_mov_b32_e32 v26, 0
	ds_read_b64 v[10:11], v26 offset:28592
	s_mov_b64 s[10:11], 0x3f800000
	v_mov_b32_e32 v25, s11
	v_mov_b32_e32 v24, s10
	s_movk_i32 s10, 0x6800
	ds_write_b64 v26, v[24:25] offset:28600
	v_add_u32_e64 v26, s10, 0
	s_waitcnt lgkmcnt(1)
	ds_write2_b64 v26, v[24:25], v[10:11] offset0:182 offset1:183
.LBB147_170:
	s_or_b64 exec, exec, s[0:1]
	v_mov_b32_e32 v10, 0
	v_mov_b32_e32 v11, 0
	s_waitcnt lgkmcnt(0)
	s_barrier
	buffer_wbinvl1_vol
	s_and_saveexec_b64 s[0:1], s[2:3]
	s_cbranch_execz .LBB147_174
; %bb.171:
	v_lshlrev_b32_e32 v10, 3, v12
	v_lshlrev_b32_e32 v24, 9, v13
	ds_read_b64 v[10:11], v10 offset:28064
	ds_read_b64 v[24:25], v24 offset:28080
	v_cmp_gt_u32_e64 s[10:11], 2, v15
	s_waitcnt lgkmcnt(0)
	v_mul_f32_e32 v26, v25, v11
	v_mul_f32_e32 v11, v24, v11
	v_fma_f32 v24, v24, v10, -v26
	v_fmac_f32_e32 v11, v25, v10
	v_add_f32_e32 v10, 0, v24
	v_add_f32_e32 v11, 0, v11
	s_and_saveexec_b64 s[14:15], s[10:11]
	s_cbranch_execz .LBB147_173
; %bb.172:
	v_lshlrev_b32_e32 v24, 3, v0
	v_mov_b32_e32 v26, 0
	ds_read_b64 v[24:25], v24 offset:28576
	ds_read_b64 v[26:27], v26 offset:28600
	s_waitcnt lgkmcnt(0)
	v_mul_f32_e32 v28, v27, v25
	v_mul_f32_e32 v25, v26, v25
	v_fma_f32 v26, v26, v24, -v28
	v_fmac_f32_e32 v25, v27, v24
	v_add_f32_e32 v10, v10, v26
	v_add_f32_e32 v11, v11, v25
.LBB147_173:
	s_or_b64 exec, exec, s[14:15]
.LBB147_174:
	s_or_b64 exec, exec, s[0:1]
	s_and_saveexec_b64 s[0:1], s[40:41]
; %bb.175:
	v_xor_b32_e32 v25, 0x80000000, v11
	v_xor_b32_e32 v24, 0x80000000, v10
	ds_write_b64 v14, v[24:25]
; %bb.176:
	s_or_b64 exec, exec, s[0:1]
	s_waitcnt lgkmcnt(0)
	s_barrier
	s_and_saveexec_b64 s[0:1], s[38:39]
	s_cbranch_execz .LBB147_178
; %bb.177:
	v_mov_b32_e32 v24, 0
	ds_read_b64 v[24:25], v24 offset:27552
	ds_read_b64 v[26:27], v14
	s_waitcnt lgkmcnt(0)
	v_mul_f32_e32 v28, v26, v24
	v_mul_f32_e32 v26, v26, v25
	v_fmac_f32_e32 v26, v27, v24
	v_fma_f32 v24, v27, v25, -v28
	v_add_f32_e32 v10, v10, v24
	v_sub_f32_e32 v11, v11, v26
.LBB147_178:
	s_or_b64 exec, exec, s[0:1]
	s_barrier
	s_and_saveexec_b64 s[0:1], s[38:39]
; %bb.179:
	v_xor_b32_e32 v25, 0x80000000, v11
	v_xor_b32_e32 v24, 0x80000000, v10
	ds_write_b64 v14, v[24:25]
; %bb.180:
	s_or_b64 exec, exec, s[0:1]
	s_waitcnt lgkmcnt(0)
	s_barrier
	s_barrier
	s_and_saveexec_b64 s[0:1], s[2:3]
; %bb.181:
	v_lshlrev_b32_e32 v24, 3, v12
	v_lshl_or_b32 v24, v13, 9, v24
	ds_write_b64 v24, v[10:11] offset:28064
; %bb.182:
	s_or_b64 exec, exec, s[0:1]
	s_waitcnt lgkmcnt(0)
	s_barrier
	s_barrier
	s_and_saveexec_b64 s[0:1], s[42:43]
	s_cbranch_execz .LBB147_184
; %bb.183:
	v_lshlrev_b32_e32 v24, 3, v0
	s_movk_i32 s10, 0x1f8
	v_mad_u32_u24 v25, v0, s10, v24
	ds_read_b64 v[10:11], v25 offset:28064
	s_waitcnt lgkmcnt(0)
	ds_write_b64 v24, v[10:11] offset:27056
	ds_read_b64 v[10:11], v25 offset:28072
	s_waitcnt lgkmcnt(0)
	ds_write_b64 v24, v[10:11] offset:27568
.LBB147_184:
	s_or_b64 exec, exec, s[0:1]
	s_waitcnt lgkmcnt(0)
	s_barrier
	s_and_saveexec_b64 s[0:1], vcc
	s_cbranch_execz .LBB147_186
; %bb.185:
	v_mov_b32_e32 v26, 0
	ds_read_b64 v[10:11], v26 offset:27552
	s_mov_b64 s[10:11], 0x3f800000
	v_mov_b32_e32 v25, s11
	v_mov_b32_e32 v24, s10
	s_movk_i32 s10, 0x6800
	ds_write_b64 v26, v[24:25] offset:27560
	v_add_u32_e64 v26, s10, 0
	s_waitcnt lgkmcnt(1)
	ds_write2_b64 v26, v[24:25], v[10:11] offset0:52 offset1:53
.LBB147_186:
	s_or_b64 exec, exec, s[0:1]
	v_mov_b32_e32 v11, 0
	v_mov_b32_e32 v10, 0
	s_waitcnt lgkmcnt(0)
	s_barrier
	buffer_wbinvl1_vol
	s_and_saveexec_b64 s[0:1], s[18:19]
	s_cbranch_execz .LBB147_192
; %bb.187:
	v_lshlrev_b32_e32 v24, 3, v18
	v_lshlrev_b32_e32 v25, 9, v19
	ds_read_b64 v[10:11], v24 offset:27008
	ds_read_b64 v[26:27], v25 offset:27040
	v_cmp_gt_u32_e64 s[10:11], 12, v15
	s_waitcnt lgkmcnt(0)
	v_mul_f32_e32 v28, v27, v11
	v_mul_f32_e32 v11, v26, v11
	v_fma_f32 v26, v26, v10, -v28
	v_fmac_f32_e32 v11, v27, v10
	v_add_f32_e32 v10, 0, v26
	v_add_f32_e32 v11, 0, v11
	s_and_saveexec_b64 s[14:15], s[10:11]
	s_cbranch_execnz .LBB147_1069
; %bb.188:
	s_or_b64 exec, exec, s[14:15]
	v_cmp_gt_u32_e64 s[10:11], 8, v15
	s_and_saveexec_b64 s[14:15], s[10:11]
	s_cbranch_execnz .LBB147_1070
.LBB147_189:
	s_or_b64 exec, exec, s[14:15]
	v_cmp_gt_u32_e64 s[10:11], 4, v15
	s_and_saveexec_b64 s[14:15], s[10:11]
	s_cbranch_execz .LBB147_191
.LBB147_190:
	v_lshlrev_b32_e32 v24, 3, v0
	v_mov_b32_e32 v26, 0
	ds_read_b64 v[24:25], v24 offset:28544
	ds_read_b64 v[26:27], v26 offset:28600
	s_waitcnt lgkmcnt(0)
	v_mul_f32_e32 v28, v27, v25
	v_mul_f32_e32 v25, v26, v25
	v_fma_f32 v26, v26, v24, -v28
	v_fmac_f32_e32 v25, v27, v24
	v_add_f32_e32 v10, v10, v26
	v_add_f32_e32 v11, v11, v25
.LBB147_191:
	s_or_b64 exec, exec, s[14:15]
.LBB147_192:
	s_or_b64 exec, exec, s[0:1]
	s_and_saveexec_b64 s[0:1], s[46:47]
; %bb.193:
	v_xor_b32_e32 v24, 0x80000000, v10
	v_xor_b32_e32 v25, 0x80000000, v11
	ds_write_b64 v20, v[24:25]
; %bb.194:
	s_or_b64 exec, exec, s[0:1]
	s_waitcnt lgkmcnt(0)
	s_barrier
	s_and_saveexec_b64 s[0:1], s[48:49]
	s_cbranch_execz .LBB147_196
; %bb.195:
	v_lshlrev_b32_e32 v24, 3, v18
	ds_read_b64 v[24:25], v24 offset:26496
	ds_read_b64 v[26:27], v20
	s_waitcnt lgkmcnt(0)
	v_mul_f32_e32 v28, v27, v25
	v_mul_f32_e32 v25, v26, v25
	v_fma_f32 v26, v26, v24, -v28
	v_fmac_f32_e32 v25, v27, v24
	v_sub_f32_e32 v10, v10, v26
	v_sub_f32_e32 v11, v11, v25
.LBB147_196:
	s_or_b64 exec, exec, s[0:1]
	s_barrier
	s_and_saveexec_b64 s[0:1], s[50:51]
; %bb.197:
	v_xor_b32_e32 v24, 0x80000000, v10
	v_xor_b32_e32 v25, 0x80000000, v11
	ds_write_b64 v20, v[24:25]
; %bb.198:
	s_or_b64 exec, exec, s[0:1]
	s_waitcnt lgkmcnt(0)
	s_barrier
	s_and_saveexec_b64 s[0:1], s[52:53]
	s_cbranch_execz .LBB147_200
; %bb.199:
	v_lshlrev_b32_e32 v24, 3, v18
	ds_read_b64 v[24:25], v24 offset:25984
	ds_read_b64 v[26:27], v20
	s_waitcnt lgkmcnt(0)
	v_mul_f32_e32 v28, v27, v25
	v_mul_f32_e32 v25, v26, v25
	v_fma_f32 v26, v26, v24, -v28
	v_fmac_f32_e32 v25, v27, v24
	v_sub_f32_e32 v10, v10, v26
	v_sub_f32_e32 v11, v11, v25
.LBB147_200:
	s_or_b64 exec, exec, s[0:1]
	s_barrier
	s_and_saveexec_b64 s[0:1], s[54:55]
; %bb.201:
	v_xor_b32_e32 v24, 0x80000000, v10
	v_xor_b32_e32 v25, 0x80000000, v11
	ds_write_b64 v20, v[24:25]
; %bb.202:
	s_or_b64 exec, exec, s[0:1]
	s_waitcnt lgkmcnt(0)
	s_barrier
	s_and_saveexec_b64 s[0:1], s[44:45]
	s_cbranch_execz .LBB147_204
; %bb.203:
	v_mov_b32_e32 v24, 0
	ds_read_b64 v[24:25], v24 offset:25472
	ds_read_b64 v[26:27], v20
	s_waitcnt lgkmcnt(0)
	v_mul_f32_e32 v28, v27, v25
	v_mul_f32_e32 v25, v26, v25
	v_fma_f32 v26, v26, v24, -v28
	v_fmac_f32_e32 v25, v27, v24
	v_sub_f32_e32 v10, v10, v26
	v_sub_f32_e32 v11, v11, v25
.LBB147_204:
	s_or_b64 exec, exec, s[0:1]
	s_barrier
	s_and_saveexec_b64 s[0:1], s[44:45]
; %bb.205:
	v_xor_b32_e32 v24, 0x80000000, v10
	v_xor_b32_e32 v25, 0x80000000, v11
	ds_write_b64 v20, v[24:25]
; %bb.206:
	s_or_b64 exec, exec, s[0:1]
	s_waitcnt lgkmcnt(0)
	s_barrier
	s_barrier
	s_and_saveexec_b64 s[0:1], s[18:19]
; %bb.207:
	v_lshlrev_b32_e32 v24, 3, v18
	v_lshl_or_b32 v24, v19, 9, v24
	ds_write_b64 v24, v[10:11] offset:27008
; %bb.208:
	s_or_b64 exec, exec, s[0:1]
	s_waitcnt lgkmcnt(0)
	s_barrier
	s_barrier
	s_and_saveexec_b64 s[0:1], s[56:57]
	s_cbranch_execz .LBB147_210
; %bb.209:
	v_lshlrev_b32_e32 v24, 9, v0
	ds_read_b64 v[10:11], v24 offset:27008
	s_movk_i32 s10, 0xfe08
	v_mad_i32_i24 v25, v0, s10, v24
	s_waitcnt lgkmcnt(0)
	ds_write_b64 v25, v[10:11] offset:24992
	ds_read_b64 v[10:11], v24 offset:27016
	s_waitcnt lgkmcnt(0)
	ds_write_b64 v25, v[10:11] offset:25504
	ds_read_b64 v[10:11], v24 offset:27024
	;; [unrolled: 3-line block ×3, first 2 shown]
	s_waitcnt lgkmcnt(0)
	ds_write_b64 v25, v[10:11] offset:26528
.LBB147_210:
	s_or_b64 exec, exec, s[0:1]
	s_waitcnt lgkmcnt(0)
	s_barrier
	s_and_saveexec_b64 s[0:1], vcc
	s_cbranch_execz .LBB147_212
; %bb.211:
	v_mov_b32_e32 v26, 0
	ds_read_b64 v[10:11], v26 offset:26512
	s_mov_b64 s[10:11], 0x3f800000
	v_mov_b32_e32 v25, s11
	v_mov_b32_e32 v24, s10
	s_movk_i32 s10, 0x6000
	ds_write_b64 v26, v[24:25] offset:26520
	v_add_u32_e64 v26, s10, 0
	s_waitcnt lgkmcnt(1)
	ds_write2_b64 v26, v[24:25], v[10:11] offset0:178 offset1:179
.LBB147_212:
	s_or_b64 exec, exec, s[0:1]
	v_mov_b32_e32 v10, 0
	v_mov_b32_e32 v11, 0
	s_waitcnt lgkmcnt(0)
	s_barrier
	buffer_wbinvl1_vol
	s_and_saveexec_b64 s[0:1], s[2:3]
	s_cbranch_execz .LBB147_216
; %bb.213:
	v_lshlrev_b32_e32 v10, 3, v12
	v_lshlrev_b32_e32 v24, 9, v13
	ds_read_b64 v[10:11], v10 offset:25984
	ds_read_b64 v[24:25], v24 offset:26000
	v_cmp_gt_u32_e64 s[10:11], 2, v15
	s_waitcnt lgkmcnt(0)
	v_mul_f32_e32 v26, v25, v11
	v_mul_f32_e32 v11, v24, v11
	v_fma_f32 v24, v24, v10, -v26
	v_fmac_f32_e32 v11, v25, v10
	v_add_f32_e32 v10, 0, v24
	v_add_f32_e32 v11, 0, v11
	s_and_saveexec_b64 s[14:15], s[10:11]
	s_cbranch_execz .LBB147_215
; %bb.214:
	v_lshlrev_b32_e32 v24, 3, v0
	v_mov_b32_e32 v26, 0
	ds_read_b64 v[24:25], v24 offset:26496
	ds_read_b64 v[26:27], v26 offset:26520
	s_waitcnt lgkmcnt(0)
	v_mul_f32_e32 v28, v27, v25
	v_mul_f32_e32 v25, v26, v25
	v_fma_f32 v26, v26, v24, -v28
	v_fmac_f32_e32 v25, v27, v24
	v_add_f32_e32 v10, v10, v26
	v_add_f32_e32 v11, v11, v25
.LBB147_215:
	s_or_b64 exec, exec, s[14:15]
.LBB147_216:
	s_or_b64 exec, exec, s[0:1]
	s_and_saveexec_b64 s[0:1], s[40:41]
; %bb.217:
	v_xor_b32_e32 v25, 0x80000000, v11
	v_xor_b32_e32 v24, 0x80000000, v10
	ds_write_b64 v14, v[24:25]
; %bb.218:
	s_or_b64 exec, exec, s[0:1]
	s_waitcnt lgkmcnt(0)
	s_barrier
	s_and_saveexec_b64 s[0:1], s[38:39]
	s_cbranch_execz .LBB147_220
; %bb.219:
	v_mov_b32_e32 v24, 0
	ds_read_b64 v[24:25], v24 offset:25472
	ds_read_b64 v[26:27], v14
	s_waitcnt lgkmcnt(0)
	v_mul_f32_e32 v28, v26, v24
	v_mul_f32_e32 v26, v26, v25
	v_fmac_f32_e32 v26, v27, v24
	v_fma_f32 v24, v27, v25, -v28
	v_add_f32_e32 v10, v10, v24
	v_sub_f32_e32 v11, v11, v26
.LBB147_220:
	s_or_b64 exec, exec, s[0:1]
	s_barrier
	s_and_saveexec_b64 s[0:1], s[38:39]
; %bb.221:
	v_xor_b32_e32 v25, 0x80000000, v11
	v_xor_b32_e32 v24, 0x80000000, v10
	ds_write_b64 v14, v[24:25]
; %bb.222:
	s_or_b64 exec, exec, s[0:1]
	s_waitcnt lgkmcnt(0)
	s_barrier
	s_barrier
	s_and_saveexec_b64 s[0:1], s[2:3]
; %bb.223:
	v_lshlrev_b32_e32 v24, 3, v12
	v_lshl_or_b32 v24, v13, 9, v24
	ds_write_b64 v24, v[10:11] offset:25984
; %bb.224:
	s_or_b64 exec, exec, s[0:1]
	s_waitcnt lgkmcnt(0)
	s_barrier
	s_barrier
	s_and_saveexec_b64 s[0:1], s[42:43]
	s_cbranch_execz .LBB147_226
; %bb.225:
	v_lshlrev_b32_e32 v24, 3, v0
	s_movk_i32 s10, 0x1f8
	v_mad_u32_u24 v25, v0, s10, v24
	ds_read_b64 v[10:11], v25 offset:25984
	s_waitcnt lgkmcnt(0)
	ds_write_b64 v24, v[10:11] offset:24976
	ds_read_b64 v[10:11], v25 offset:25992
	s_waitcnt lgkmcnt(0)
	ds_write_b64 v24, v[10:11] offset:25488
.LBB147_226:
	s_or_b64 exec, exec, s[0:1]
	s_waitcnt lgkmcnt(0)
	s_barrier
	s_and_saveexec_b64 s[0:1], vcc
	s_cbranch_execz .LBB147_228
; %bb.227:
	v_mov_b32_e32 v26, 0
	ds_read_b64 v[10:11], v26 offset:25472
	s_mov_b64 s[10:11], 0x3f800000
	v_mov_b32_e32 v25, s11
	v_mov_b32_e32 v24, s10
	s_movk_i32 s10, 0x6000
	ds_write_b64 v26, v[24:25] offset:25480
	v_add_u32_e64 v26, s10, 0
	s_waitcnt lgkmcnt(1)
	ds_write2_b64 v26, v[24:25], v[10:11] offset0:48 offset1:49
.LBB147_228:
	s_or_b64 exec, exec, s[0:1]
	s_movk_i32 s0, 0xff
	v_lshrrev_b32_e32 v26, 4, v15
	v_cmp_lt_u32_e64 s[14:15], s0, v15
	s_movk_i32 s0, 0x100
	v_and_b32_e32 v24, 15, v0
	v_sub_u32_e32 v25, 15, v26
	v_cmp_gt_u32_e64 s[10:11], s0, v15
	v_mov_b32_e32 v11, 0
	v_mov_b32_e32 v10, 0
	s_waitcnt lgkmcnt(0)
	s_barrier
	buffer_wbinvl1_vol
	s_and_saveexec_b64 s[0:1], s[10:11]
	s_cbranch_execz .LBB147_256
; %bb.229:
	v_lshlrev_b32_e32 v27, 3, v24
	v_lshlrev_b32_e32 v28, 9, v25
	ds_read_b64 v[10:11], v27 offset:24832
	ds_read_b64 v[29:30], v28 offset:24960
	s_movk_i32 s16, 0xf0
	v_cmp_gt_u32_e64 s[16:17], s16, v15
	s_waitcnt lgkmcnt(0)
	v_mul_f32_e32 v31, v30, v11
	v_mul_f32_e32 v11, v29, v11
	v_fma_f32 v29, v29, v10, -v31
	v_fmac_f32_e32 v11, v30, v10
	v_add_f32_e32 v10, 0, v29
	v_add_f32_e32 v11, 0, v11
	s_and_saveexec_b64 s[20:21], s[16:17]
	s_cbranch_execz .LBB147_231
; %bb.230:
	ds_read_b64 v[29:30], v27 offset:25344
	ds_read_b64 v[31:32], v28 offset:24968
	s_waitcnt lgkmcnt(0)
	v_mul_f32_e32 v33, v32, v30
	v_mul_f32_e32 v30, v31, v30
	v_fma_f32 v31, v31, v29, -v33
	v_fmac_f32_e32 v30, v32, v29
	v_add_f32_e32 v10, v10, v31
	v_add_f32_e32 v11, v11, v30
.LBB147_231:
	s_or_b64 exec, exec, s[20:21]
	s_movk_i32 s16, 0xe0
	v_cmp_gt_u32_e64 s[16:17], s16, v15
	s_and_saveexec_b64 s[20:21], s[16:17]
	s_cbranch_execz .LBB147_233
; %bb.232:
	ds_read_b64 v[29:30], v27 offset:25856
	ds_read_b64 v[31:32], v28 offset:24976
	s_waitcnt lgkmcnt(0)
	v_mul_f32_e32 v33, v32, v30
	v_mul_f32_e32 v30, v31, v30
	v_fma_f32 v31, v31, v29, -v33
	v_fmac_f32_e32 v30, v32, v29
	v_add_f32_e32 v10, v10, v31
	v_add_f32_e32 v11, v11, v30
.LBB147_233:
	s_or_b64 exec, exec, s[20:21]
	s_movk_i32 s16, 0xd0
	v_cmp_gt_u32_e64 s[16:17], s16, v15
	;; [unrolled: 16-line block ×10, first 2 shown]
	s_and_saveexec_b64 s[20:21], s[16:17]
	s_cbranch_execnz .LBB147_1071
; %bb.250:
	s_or_b64 exec, exec, s[20:21]
	s_and_saveexec_b64 s[16:17], s[8:9]
	s_cbranch_execnz .LBB147_1072
.LBB147_251:
	s_or_b64 exec, exec, s[16:17]
	v_cmp_gt_u32_e64 s[16:17], 48, v15
	s_and_saveexec_b64 s[20:21], s[16:17]
	s_cbranch_execnz .LBB147_1073
.LBB147_252:
	s_or_b64 exec, exec, s[20:21]
	v_cmp_gt_u32_e64 s[16:17], 32, v15
	s_and_saveexec_b64 s[20:21], s[16:17]
	s_cbranch_execnz .LBB147_1074
.LBB147_253:
	s_or_b64 exec, exec, s[20:21]
	v_cmp_gt_u32_e64 s[16:17], 16, v15
	s_and_saveexec_b64 s[20:21], s[16:17]
	s_cbranch_execz .LBB147_255
.LBB147_254:
	v_lshlrev_b32_e32 v27, 3, v0
	v_mov_b32_e32 v29, 0
	ds_read_b64 v[27:28], v27 offset:32512
	ds_read_b64 v[29:30], v29 offset:32760
	s_waitcnt lgkmcnt(0)
	v_mul_f32_e32 v31, v30, v28
	v_mul_f32_e32 v28, v29, v28
	v_fma_f32 v29, v29, v27, -v31
	v_fmac_f32_e32 v28, v30, v27
	v_add_f32_e32 v10, v10, v29
	v_add_f32_e32 v11, v11, v28
.LBB147_255:
	s_or_b64 exec, exec, s[20:21]
.LBB147_256:
	s_or_b64 exec, exec, s[0:1]
	v_mov_b32_e32 v27, 0x8000
	v_lshl_add_u32 v26, v26, 3, v27
	v_cmp_eq_u32_e64 s[16:17], 15, v24
	s_xor_b64 s[20:21], s[14:15], -1
	s_and_b64 s[14:15], s[16:17], s[20:21]
	s_mov_b64 s[0:1], exec
	v_writelane_b32 v37, s14, 2
	v_writelane_b32 v37, s15, 3
	s_and_b64 s[14:15], s[0:1], s[14:15]
	s_mov_b64 exec, s[14:15]
; %bb.257:
	v_xor_b32_e32 v27, 0x80000000, v10
	v_xor_b32_e32 v28, 0x80000000, v11
	ds_write_b64 v26, v[27:28]
; %bb.258:
	s_or_b64 exec, exec, s[0:1]
	v_cmp_ne_u32_e64 s[14:15], 15, v24
	s_waitcnt lgkmcnt(0)
	s_barrier
	s_and_b64 s[14:15], s[14:15], s[20:21]
	s_mov_b64 s[0:1], exec
	v_writelane_b32 v37, s14, 4
	v_writelane_b32 v37, s15, 5
	s_and_b64 s[14:15], s[0:1], s[14:15]
	s_mov_b64 exec, s[14:15]
	s_cbranch_execz .LBB147_260
; %bb.259:
	v_lshlrev_b32_e32 v27, 3, v24
	ds_read_b64 v[27:28], v27 offset:24320
	ds_read_b64 v[29:30], v26
	s_waitcnt lgkmcnt(0)
	v_mul_f32_e32 v31, v30, v28
	v_mul_f32_e32 v28, v29, v28
	v_fma_f32 v29, v29, v27, -v31
	v_fmac_f32_e32 v28, v30, v27
	v_sub_f32_e32 v10, v10, v29
	v_sub_f32_e32 v11, v11, v28
.LBB147_260:
	s_or_b64 exec, exec, s[0:1]
	v_cmp_eq_u32_e64 s[14:15], 14, v24
	s_barrier
	s_and_b64 s[14:15], s[14:15], s[20:21]
	s_mov_b64 s[0:1], exec
	v_writelane_b32 v37, s14, 6
	v_writelane_b32 v37, s15, 7
	s_and_b64 s[14:15], s[0:1], s[14:15]
	s_mov_b64 exec, s[14:15]
; %bb.261:
	v_xor_b32_e32 v27, 0x80000000, v10
	v_xor_b32_e32 v28, 0x80000000, v11
	ds_write_b64 v26, v[27:28]
; %bb.262:
	s_or_b64 exec, exec, s[0:1]
	v_cmp_gt_u32_e64 s[14:15], 14, v24
	s_waitcnt lgkmcnt(0)
	s_barrier
	s_and_b64 s[14:15], s[14:15], s[20:21]
	s_mov_b64 s[0:1], exec
	v_writelane_b32 v37, s14, 8
	v_writelane_b32 v37, s15, 9
	s_and_b64 s[14:15], s[0:1], s[14:15]
	s_mov_b64 exec, s[14:15]
	s_cbranch_execz .LBB147_264
; %bb.263:
	v_lshlrev_b32_e32 v27, 3, v24
	ds_read_b64 v[27:28], v27 offset:23808
	ds_read_b64 v[29:30], v26
	s_waitcnt lgkmcnt(0)
	v_mul_f32_e32 v31, v30, v28
	v_mul_f32_e32 v28, v29, v28
	v_fma_f32 v29, v29, v27, -v31
	v_fmac_f32_e32 v28, v30, v27
	v_sub_f32_e32 v10, v10, v29
	v_sub_f32_e32 v11, v11, v28
.LBB147_264:
	s_or_b64 exec, exec, s[0:1]
	v_cmp_eq_u32_e64 s[14:15], 13, v24
	s_barrier
	s_and_b64 s[14:15], s[14:15], s[20:21]
	s_mov_b64 s[0:1], exec
	v_writelane_b32 v37, s14, 10
	v_writelane_b32 v37, s15, 11
	s_and_b64 s[14:15], s[0:1], s[14:15]
	s_mov_b64 exec, s[14:15]
; %bb.265:
	v_xor_b32_e32 v27, 0x80000000, v10
	v_xor_b32_e32 v28, 0x80000000, v11
	ds_write_b64 v26, v[27:28]
; %bb.266:
	s_or_b64 exec, exec, s[0:1]
	v_cmp_gt_u32_e64 s[14:15], 13, v24
	;; [unrolled: 37-line block ×13, first 2 shown]
	s_waitcnt lgkmcnt(0)
	s_barrier
	s_and_b64 s[14:15], s[14:15], s[20:21]
	s_mov_b64 s[0:1], exec
	v_writelane_b32 v37, s14, 56
	v_writelane_b32 v37, s15, 57
	s_and_b64 s[14:15], s[0:1], s[14:15]
	s_mov_b64 exec, s[14:15]
	s_cbranch_execz .LBB147_312
; %bb.311:
	v_lshlrev_b32_e32 v27, 3, v24
	ds_read_b64 v[27:28], v27 offset:17664
	ds_read_b64 v[29:30], v26
	s_waitcnt lgkmcnt(0)
	v_mul_f32_e32 v31, v30, v28
	v_mul_f32_e32 v28, v29, v28
	v_fma_f32 v29, v29, v27, -v31
	v_fmac_f32_e32 v28, v30, v27
	v_sub_f32_e32 v10, v10, v29
	v_sub_f32_e32 v11, v11, v28
.LBB147_312:
	s_or_b64 exec, exec, s[0:1]
	v_cmp_eq_u32_e64 s[14:15], 1, v24
	s_and_b64 s[0:1], s[14:15], s[20:21]
	s_barrier
	s_and_saveexec_b64 s[14:15], s[0:1]
; %bb.313:
	v_xor_b32_e32 v27, 0x80000000, v10
	v_xor_b32_e32 v28, 0x80000000, v11
	ds_write_b64 v26, v[27:28]
; %bb.314:
	s_or_b64 exec, exec, s[14:15]
	v_cmp_eq_u32_e64 s[14:15], 0, v24
	s_and_b64 s[94:95], s[14:15], s[20:21]
	s_waitcnt lgkmcnt(0)
	s_barrier
	s_and_saveexec_b64 s[14:15], s[94:95]
	s_cbranch_execz .LBB147_316
; %bb.315:
	v_mov_b32_e32 v27, 0
	ds_read_b64 v[27:28], v27 offset:17152
	ds_read_b64 v[29:30], v26
	s_waitcnt lgkmcnt(0)
	v_mul_f32_e32 v31, v30, v28
	v_mul_f32_e32 v28, v29, v28
	v_fma_f32 v29, v29, v27, -v31
	v_fmac_f32_e32 v28, v30, v27
	v_sub_f32_e32 v10, v10, v29
	v_sub_f32_e32 v11, v11, v28
.LBB147_316:
	s_or_b64 exec, exec, s[14:15]
	s_barrier
	s_and_saveexec_b64 s[14:15], s[94:95]
; %bb.317:
	v_xor_b32_e32 v27, 0x80000000, v10
	v_xor_b32_e32 v28, 0x80000000, v11
	ds_write_b64 v26, v[27:28]
; %bb.318:
	s_or_b64 exec, exec, s[14:15]
	s_waitcnt lgkmcnt(0)
	s_barrier
	s_barrier
	s_and_saveexec_b64 s[14:15], s[10:11]
; %bb.319:
	v_lshlrev_b32_e32 v27, 3, v24
	v_lshl_or_b32 v27, v25, 9, v27
	ds_write_b64 v27, v[10:11] offset:24832
; %bb.320:
	s_or_b64 exec, exec, s[14:15]
	v_cmp_gt_u32_e64 s[14:15], 16, v0
	s_waitcnt lgkmcnt(0)
	s_barrier
	s_barrier
	s_and_b64 s[16:17], s[12:13], s[14:15]
	s_mov_b64 s[14:15], exec
	v_writelane_b32 v37, s16, 58
	v_writelane_b32 v37, s17, 59
	s_and_b64 s[16:17], s[14:15], s[16:17]
	s_mov_b64 exec, s[16:17]
	s_cbranch_execz .LBB147_322
; %bb.321:
	v_lshlrev_b32_e32 v27, 9, v0
	ds_read_b64 v[10:11], v27 offset:24832
	s_movk_i32 s16, 0xfe08
	v_mad_i32_i24 v28, v0, s16, v27
	s_waitcnt lgkmcnt(0)
	ds_write_b64 v28, v[10:11] offset:16768
	ds_read_b64 v[10:11], v27 offset:24840
	s_waitcnt lgkmcnt(0)
	ds_write_b64 v28, v[10:11] offset:17280
	ds_read_b64 v[10:11], v27 offset:24848
	;; [unrolled: 3-line block ×15, first 2 shown]
	s_waitcnt lgkmcnt(0)
	ds_write_b64 v28, v[10:11] offset:24448
.LBB147_322:
	s_or_b64 exec, exec, s[14:15]
	s_waitcnt lgkmcnt(0)
	s_barrier
	s_and_saveexec_b64 s[14:15], vcc
	s_cbranch_execz .LBB147_324
; %bb.323:
	v_mov_b32_e32 v29, 0
	ds_read_b64 v[10:11], v29 offset:24432
	s_mov_b64 s[16:17], 0x3f800000
	v_mov_b32_e32 v28, s17
	v_mov_b32_e32 v27, s16
	s_movk_i32 s16, 0x5800
	ds_write_b64 v29, v[27:28] offset:24440
	v_add_u32_e64 v29, s16, 0
	s_waitcnt lgkmcnt(1)
	ds_write2_b64 v29, v[27:28], v[10:11] offset0:174 offset1:175
.LBB147_324:
	s_or_b64 exec, exec, s[14:15]
	v_mov_b32_e32 v10, 0
	v_mov_b32_e32 v11, 0
	s_waitcnt lgkmcnt(0)
	s_barrier
	buffer_wbinvl1_vol
	s_and_saveexec_b64 s[16:17], s[2:3]
	s_cbranch_execz .LBB147_328
; %bb.325:
	v_lshlrev_b32_e32 v10, 3, v12
	v_lshlrev_b32_e32 v27, 9, v13
	ds_read_b64 v[10:11], v10 offset:23904
	ds_read_b64 v[27:28], v27 offset:23920
	v_cmp_gt_u32_e64 s[14:15], 2, v15
	s_waitcnt lgkmcnt(0)
	v_mul_f32_e32 v29, v28, v11
	v_mul_f32_e32 v11, v27, v11
	v_fma_f32 v27, v27, v10, -v29
	v_fmac_f32_e32 v11, v28, v10
	v_add_f32_e32 v10, 0, v27
	v_add_f32_e32 v11, 0, v11
	s_and_saveexec_b64 s[20:21], s[14:15]
	s_cbranch_execz .LBB147_327
; %bb.326:
	v_lshlrev_b32_e32 v27, 3, v0
	v_mov_b32_e32 v29, 0
	ds_read_b64 v[27:28], v27 offset:24416
	ds_read_b64 v[29:30], v29 offset:24440
	s_waitcnt lgkmcnt(0)
	v_mul_f32_e32 v31, v30, v28
	v_mul_f32_e32 v28, v29, v28
	v_fma_f32 v29, v29, v27, -v31
	v_fmac_f32_e32 v28, v30, v27
	v_add_f32_e32 v10, v10, v29
	v_add_f32_e32 v11, v11, v28
.LBB147_327:
	s_or_b64 exec, exec, s[20:21]
.LBB147_328:
	s_or_b64 exec, exec, s[16:17]
	s_and_saveexec_b64 s[14:15], s[40:41]
; %bb.329:
	v_xor_b32_e32 v28, 0x80000000, v11
	v_xor_b32_e32 v27, 0x80000000, v10
	ds_write_b64 v14, v[27:28]
; %bb.330:
	s_or_b64 exec, exec, s[14:15]
	s_waitcnt lgkmcnt(0)
	s_barrier
	s_and_saveexec_b64 s[14:15], s[38:39]
	s_cbranch_execz .LBB147_332
; %bb.331:
	v_mov_b32_e32 v27, 0
	ds_read_b64 v[27:28], v27 offset:23392
	ds_read_b64 v[29:30], v14
	s_waitcnt lgkmcnt(0)
	v_mul_f32_e32 v31, v29, v27
	v_mul_f32_e32 v29, v29, v28
	v_fmac_f32_e32 v29, v30, v27
	v_fma_f32 v27, v30, v28, -v31
	v_add_f32_e32 v10, v10, v27
	v_sub_f32_e32 v11, v11, v29
.LBB147_332:
	s_or_b64 exec, exec, s[14:15]
	s_barrier
	s_and_saveexec_b64 s[14:15], s[38:39]
; %bb.333:
	v_xor_b32_e32 v28, 0x80000000, v11
	v_xor_b32_e32 v27, 0x80000000, v10
	ds_write_b64 v14, v[27:28]
; %bb.334:
	s_or_b64 exec, exec, s[14:15]
	s_waitcnt lgkmcnt(0)
	s_barrier
	s_barrier
	s_and_saveexec_b64 s[14:15], s[2:3]
; %bb.335:
	v_lshlrev_b32_e32 v27, 3, v12
	v_lshl_or_b32 v27, v13, 9, v27
	ds_write_b64 v27, v[10:11] offset:23904
; %bb.336:
	s_or_b64 exec, exec, s[14:15]
	s_waitcnt lgkmcnt(0)
	s_barrier
	s_barrier
	s_and_saveexec_b64 s[14:15], s[42:43]
	s_cbranch_execz .LBB147_338
; %bb.337:
	v_lshlrev_b32_e32 v27, 3, v0
	s_movk_i32 s16, 0x1f8
	v_mad_u32_u24 v28, v0, s16, v27
	ds_read_b64 v[10:11], v28 offset:23904
	s_waitcnt lgkmcnt(0)
	ds_write_b64 v27, v[10:11] offset:22896
	ds_read_b64 v[10:11], v28 offset:23912
	s_waitcnt lgkmcnt(0)
	ds_write_b64 v27, v[10:11] offset:23408
.LBB147_338:
	s_or_b64 exec, exec, s[14:15]
	s_waitcnt lgkmcnt(0)
	s_barrier
	s_and_saveexec_b64 s[14:15], vcc
	s_cbranch_execz .LBB147_340
; %bb.339:
	v_mov_b32_e32 v29, 0
	ds_read_b64 v[10:11], v29 offset:23392
	s_mov_b64 s[16:17], 0x3f800000
	v_mov_b32_e32 v28, s17
	v_mov_b32_e32 v27, s16
	s_movk_i32 s16, 0x5800
	ds_write_b64 v29, v[27:28] offset:23400
	v_add_u32_e64 v29, s16, 0
	s_waitcnt lgkmcnt(1)
	ds_write2_b64 v29, v[27:28], v[10:11] offset0:44 offset1:45
.LBB147_340:
	s_or_b64 exec, exec, s[14:15]
	v_mov_b32_e32 v11, 0
	v_mov_b32_e32 v10, 0
	s_waitcnt lgkmcnt(0)
	s_barrier
	buffer_wbinvl1_vol
	s_and_saveexec_b64 s[16:17], s[18:19]
	s_cbranch_execz .LBB147_346
; %bb.341:
	v_lshlrev_b32_e32 v27, 3, v18
	v_lshlrev_b32_e32 v28, 9, v19
	ds_read_b64 v[10:11], v27 offset:22848
	ds_read_b64 v[29:30], v28 offset:22880
	v_cmp_gt_u32_e64 s[14:15], 12, v15
	s_waitcnt lgkmcnt(0)
	v_mul_f32_e32 v31, v30, v11
	v_mul_f32_e32 v11, v29, v11
	v_fma_f32 v29, v29, v10, -v31
	v_fmac_f32_e32 v11, v30, v10
	v_add_f32_e32 v10, 0, v29
	v_add_f32_e32 v11, 0, v11
	s_and_saveexec_b64 s[20:21], s[14:15]
	s_cbranch_execnz .LBB147_1075
; %bb.342:
	s_or_b64 exec, exec, s[20:21]
	v_cmp_gt_u32_e64 s[14:15], 8, v15
	s_and_saveexec_b64 s[20:21], s[14:15]
	s_cbranch_execnz .LBB147_1076
.LBB147_343:
	s_or_b64 exec, exec, s[20:21]
	v_cmp_gt_u32_e64 s[14:15], 4, v15
	s_and_saveexec_b64 s[20:21], s[14:15]
	s_cbranch_execz .LBB147_345
.LBB147_344:
	v_lshlrev_b32_e32 v27, 3, v0
	v_mov_b32_e32 v29, 0
	ds_read_b64 v[27:28], v27 offset:24384
	ds_read_b64 v[29:30], v29 offset:24440
	s_waitcnt lgkmcnt(0)
	v_mul_f32_e32 v31, v30, v28
	v_mul_f32_e32 v28, v29, v28
	v_fma_f32 v29, v29, v27, -v31
	v_fmac_f32_e32 v28, v30, v27
	v_add_f32_e32 v10, v10, v29
	v_add_f32_e32 v11, v11, v28
.LBB147_345:
	s_or_b64 exec, exec, s[20:21]
.LBB147_346:
	s_or_b64 exec, exec, s[16:17]
	s_and_saveexec_b64 s[14:15], s[46:47]
; %bb.347:
	v_xor_b32_e32 v27, 0x80000000, v10
	v_xor_b32_e32 v28, 0x80000000, v11
	ds_write_b64 v20, v[27:28]
; %bb.348:
	s_or_b64 exec, exec, s[14:15]
	s_waitcnt lgkmcnt(0)
	s_barrier
	s_and_saveexec_b64 s[14:15], s[48:49]
	s_cbranch_execz .LBB147_350
; %bb.349:
	v_lshlrev_b32_e32 v27, 3, v18
	ds_read_b64 v[27:28], v27 offset:22336
	ds_read_b64 v[29:30], v20
	s_waitcnt lgkmcnt(0)
	v_mul_f32_e32 v31, v30, v28
	v_mul_f32_e32 v28, v29, v28
	v_fma_f32 v29, v29, v27, -v31
	v_fmac_f32_e32 v28, v30, v27
	v_sub_f32_e32 v10, v10, v29
	v_sub_f32_e32 v11, v11, v28
.LBB147_350:
	s_or_b64 exec, exec, s[14:15]
	s_barrier
	s_and_saveexec_b64 s[14:15], s[50:51]
; %bb.351:
	v_xor_b32_e32 v27, 0x80000000, v10
	v_xor_b32_e32 v28, 0x80000000, v11
	ds_write_b64 v20, v[27:28]
; %bb.352:
	s_or_b64 exec, exec, s[14:15]
	s_waitcnt lgkmcnt(0)
	s_barrier
	s_and_saveexec_b64 s[14:15], s[52:53]
	s_cbranch_execz .LBB147_354
; %bb.353:
	v_lshlrev_b32_e32 v27, 3, v18
	ds_read_b64 v[27:28], v27 offset:21824
	ds_read_b64 v[29:30], v20
	s_waitcnt lgkmcnt(0)
	v_mul_f32_e32 v31, v30, v28
	v_mul_f32_e32 v28, v29, v28
	v_fma_f32 v29, v29, v27, -v31
	v_fmac_f32_e32 v28, v30, v27
	v_sub_f32_e32 v10, v10, v29
	v_sub_f32_e32 v11, v11, v28
.LBB147_354:
	s_or_b64 exec, exec, s[14:15]
	s_barrier
	s_and_saveexec_b64 s[14:15], s[54:55]
; %bb.355:
	v_xor_b32_e32 v27, 0x80000000, v10
	v_xor_b32_e32 v28, 0x80000000, v11
	ds_write_b64 v20, v[27:28]
; %bb.356:
	s_or_b64 exec, exec, s[14:15]
	s_waitcnt lgkmcnt(0)
	s_barrier
	s_and_saveexec_b64 s[14:15], s[44:45]
	s_cbranch_execz .LBB147_358
; %bb.357:
	v_mov_b32_e32 v27, 0
	ds_read_b64 v[27:28], v27 offset:21312
	ds_read_b64 v[29:30], v20
	s_waitcnt lgkmcnt(0)
	v_mul_f32_e32 v31, v30, v28
	v_mul_f32_e32 v28, v29, v28
	v_fma_f32 v29, v29, v27, -v31
	v_fmac_f32_e32 v28, v30, v27
	v_sub_f32_e32 v10, v10, v29
	v_sub_f32_e32 v11, v11, v28
.LBB147_358:
	s_or_b64 exec, exec, s[14:15]
	s_barrier
	s_and_saveexec_b64 s[14:15], s[44:45]
; %bb.359:
	v_xor_b32_e32 v27, 0x80000000, v10
	v_xor_b32_e32 v28, 0x80000000, v11
	ds_write_b64 v20, v[27:28]
; %bb.360:
	s_or_b64 exec, exec, s[14:15]
	s_waitcnt lgkmcnt(0)
	s_barrier
	s_barrier
	s_and_saveexec_b64 s[14:15], s[18:19]
; %bb.361:
	v_lshlrev_b32_e32 v27, 3, v18
	v_lshl_or_b32 v27, v19, 9, v27
	ds_write_b64 v27, v[10:11] offset:22848
; %bb.362:
	s_or_b64 exec, exec, s[14:15]
	s_waitcnt lgkmcnt(0)
	s_barrier
	s_barrier
	s_and_saveexec_b64 s[14:15], s[56:57]
	s_cbranch_execz .LBB147_364
; %bb.363:
	v_lshlrev_b32_e32 v27, 9, v0
	ds_read_b64 v[10:11], v27 offset:22848
	s_movk_i32 s16, 0xfe08
	v_mad_i32_i24 v28, v0, s16, v27
	s_waitcnt lgkmcnt(0)
	ds_write_b64 v28, v[10:11] offset:20832
	ds_read_b64 v[10:11], v27 offset:22856
	s_waitcnt lgkmcnt(0)
	ds_write_b64 v28, v[10:11] offset:21344
	ds_read_b64 v[10:11], v27 offset:22864
	;; [unrolled: 3-line block ×3, first 2 shown]
	s_waitcnt lgkmcnt(0)
	ds_write_b64 v28, v[10:11] offset:22368
.LBB147_364:
	s_or_b64 exec, exec, s[14:15]
	s_waitcnt lgkmcnt(0)
	s_barrier
	s_and_saveexec_b64 s[14:15], vcc
	s_cbranch_execz .LBB147_366
; %bb.365:
	v_mov_b32_e32 v29, 0
	ds_read_b64 v[10:11], v29 offset:22352
	s_mov_b64 s[16:17], 0x3f800000
	v_mov_b32_e32 v28, s17
	v_mov_b32_e32 v27, s16
	s_movk_i32 s16, 0x5000
	ds_write_b64 v29, v[27:28] offset:22360
	v_add_u32_e64 v29, s16, 0
	s_waitcnt lgkmcnt(1)
	ds_write2_b64 v29, v[27:28], v[10:11] offset0:170 offset1:171
.LBB147_366:
	s_or_b64 exec, exec, s[14:15]
	v_mov_b32_e32 v10, 0
	v_mov_b32_e32 v11, 0
	s_waitcnt lgkmcnt(0)
	s_barrier
	buffer_wbinvl1_vol
	s_and_saveexec_b64 s[16:17], s[2:3]
	s_cbranch_execz .LBB147_370
; %bb.367:
	v_lshlrev_b32_e32 v10, 3, v12
	v_lshlrev_b32_e32 v27, 9, v13
	ds_read_b64 v[10:11], v10 offset:21824
	ds_read_b64 v[27:28], v27 offset:21840
	v_cmp_gt_u32_e64 s[14:15], 2, v15
	s_waitcnt lgkmcnt(0)
	v_mul_f32_e32 v29, v28, v11
	v_mul_f32_e32 v11, v27, v11
	v_fma_f32 v27, v27, v10, -v29
	v_fmac_f32_e32 v11, v28, v10
	v_add_f32_e32 v10, 0, v27
	v_add_f32_e32 v11, 0, v11
	s_and_saveexec_b64 s[20:21], s[14:15]
	s_cbranch_execz .LBB147_369
; %bb.368:
	v_lshlrev_b32_e32 v27, 3, v0
	v_mov_b32_e32 v29, 0
	ds_read_b64 v[27:28], v27 offset:22336
	ds_read_b64 v[29:30], v29 offset:22360
	s_waitcnt lgkmcnt(0)
	v_mul_f32_e32 v31, v30, v28
	v_mul_f32_e32 v28, v29, v28
	v_fma_f32 v29, v29, v27, -v31
	v_fmac_f32_e32 v28, v30, v27
	v_add_f32_e32 v10, v10, v29
	v_add_f32_e32 v11, v11, v28
.LBB147_369:
	s_or_b64 exec, exec, s[20:21]
.LBB147_370:
	s_or_b64 exec, exec, s[16:17]
	s_and_saveexec_b64 s[14:15], s[40:41]
; %bb.371:
	v_xor_b32_e32 v28, 0x80000000, v11
	v_xor_b32_e32 v27, 0x80000000, v10
	ds_write_b64 v14, v[27:28]
; %bb.372:
	s_or_b64 exec, exec, s[14:15]
	s_waitcnt lgkmcnt(0)
	s_barrier
	s_and_saveexec_b64 s[14:15], s[38:39]
	s_cbranch_execz .LBB147_374
; %bb.373:
	v_mov_b32_e32 v27, 0
	ds_read_b64 v[27:28], v27 offset:21312
	ds_read_b64 v[29:30], v14
	s_waitcnt lgkmcnt(0)
	v_mul_f32_e32 v31, v29, v27
	v_mul_f32_e32 v29, v29, v28
	v_fmac_f32_e32 v29, v30, v27
	v_fma_f32 v27, v30, v28, -v31
	v_add_f32_e32 v10, v10, v27
	v_sub_f32_e32 v11, v11, v29
.LBB147_374:
	s_or_b64 exec, exec, s[14:15]
	s_barrier
	s_and_saveexec_b64 s[14:15], s[38:39]
; %bb.375:
	v_xor_b32_e32 v28, 0x80000000, v11
	v_xor_b32_e32 v27, 0x80000000, v10
	ds_write_b64 v14, v[27:28]
; %bb.376:
	s_or_b64 exec, exec, s[14:15]
	s_waitcnt lgkmcnt(0)
	s_barrier
	s_barrier
	s_and_saveexec_b64 s[14:15], s[2:3]
; %bb.377:
	v_lshlrev_b32_e32 v27, 3, v12
	v_lshl_or_b32 v27, v13, 9, v27
	ds_write_b64 v27, v[10:11] offset:21824
; %bb.378:
	s_or_b64 exec, exec, s[14:15]
	s_waitcnt lgkmcnt(0)
	s_barrier
	s_barrier
	s_and_saveexec_b64 s[14:15], s[42:43]
	s_cbranch_execz .LBB147_380
; %bb.379:
	v_lshlrev_b32_e32 v27, 3, v0
	s_movk_i32 s16, 0x1f8
	v_mad_u32_u24 v28, v0, s16, v27
	ds_read_b64 v[10:11], v28 offset:21824
	s_waitcnt lgkmcnt(0)
	ds_write_b64 v27, v[10:11] offset:20816
	ds_read_b64 v[10:11], v28 offset:21832
	s_waitcnt lgkmcnt(0)
	ds_write_b64 v27, v[10:11] offset:21328
.LBB147_380:
	s_or_b64 exec, exec, s[14:15]
	s_waitcnt lgkmcnt(0)
	s_barrier
	s_and_saveexec_b64 s[14:15], vcc
	s_cbranch_execz .LBB147_382
; %bb.381:
	v_mov_b32_e32 v29, 0
	ds_read_b64 v[10:11], v29 offset:21312
	s_mov_b64 s[16:17], 0x3f800000
	v_mov_b32_e32 v28, s17
	v_mov_b32_e32 v27, s16
	s_movk_i32 s16, 0x5000
	ds_write_b64 v29, v[27:28] offset:21320
	v_add_u32_e64 v29, s16, 0
	s_waitcnt lgkmcnt(1)
	ds_write2_b64 v29, v[27:28], v[10:11] offset0:40 offset1:41
.LBB147_382:
	s_or_b64 exec, exec, s[14:15]
	v_mov_b32_e32 v11, 0
	v_mov_b32_e32 v10, 0
	s_waitcnt lgkmcnt(0)
	s_barrier
	buffer_wbinvl1_vol
	s_and_saveexec_b64 s[16:17], s[8:9]
	s_cbranch_execz .LBB147_392
; %bb.383:
	v_lshlrev_b32_e32 v27, 3, v21
	v_lshlrev_b32_e32 v28, 9, v22
	ds_read_b64 v[10:11], v27 offset:20736
	ds_read_b64 v[29:30], v28 offset:20800
	v_cmp_gt_u32_e64 s[14:15], 56, v15
	s_waitcnt lgkmcnt(0)
	v_mul_f32_e32 v31, v30, v11
	v_mul_f32_e32 v11, v29, v11
	v_fma_f32 v29, v29, v10, -v31
	v_fmac_f32_e32 v11, v30, v10
	v_add_f32_e32 v10, 0, v29
	v_add_f32_e32 v11, 0, v11
	s_and_saveexec_b64 s[20:21], s[14:15]
	s_cbranch_execnz .LBB147_1077
; %bb.384:
	s_or_b64 exec, exec, s[20:21]
	v_cmp_gt_u32_e64 s[14:15], 48, v15
	s_and_saveexec_b64 s[20:21], s[14:15]
	s_cbranch_execnz .LBB147_1078
.LBB147_385:
	s_or_b64 exec, exec, s[20:21]
	v_cmp_gt_u32_e64 s[14:15], 40, v15
	s_and_saveexec_b64 s[20:21], s[14:15]
	s_cbranch_execnz .LBB147_1079
.LBB147_386:
	s_or_b64 exec, exec, s[20:21]
	v_cmp_gt_u32_e64 s[14:15], 32, v15
	s_and_saveexec_b64 s[20:21], s[14:15]
	s_cbranch_execnz .LBB147_1080
.LBB147_387:
	s_or_b64 exec, exec, s[20:21]
	v_cmp_gt_u32_e64 s[14:15], 24, v15
	s_and_saveexec_b64 s[20:21], s[14:15]
	s_cbranch_execnz .LBB147_1081
.LBB147_388:
	s_or_b64 exec, exec, s[20:21]
	s_and_saveexec_b64 s[14:15], s[18:19]
	s_cbranch_execnz .LBB147_1082
.LBB147_389:
	s_or_b64 exec, exec, s[14:15]
	v_cmp_gt_u32_e64 s[14:15], 8, v15
	s_and_saveexec_b64 s[20:21], s[14:15]
	s_cbranch_execz .LBB147_391
.LBB147_390:
	v_lshlrev_b32_e32 v27, 3, v0
	v_mov_b32_e32 v29, 0
	ds_read_b64 v[27:28], v27 offset:24320
	ds_read_b64 v[29:30], v29 offset:24440
	s_waitcnt lgkmcnt(0)
	v_mul_f32_e32 v31, v30, v28
	v_mul_f32_e32 v28, v29, v28
	v_fma_f32 v29, v29, v27, -v31
	v_fmac_f32_e32 v28, v30, v27
	v_add_f32_e32 v10, v10, v29
	v_add_f32_e32 v11, v11, v28
.LBB147_391:
	s_or_b64 exec, exec, s[20:21]
.LBB147_392:
	s_or_b64 exec, exec, s[16:17]
	s_and_saveexec_b64 s[14:15], s[60:61]
; %bb.393:
	v_xor_b32_e32 v28, 0x80000000, v11
	v_xor_b32_e32 v27, 0x80000000, v10
	ds_write_b64 v23, v[27:28]
; %bb.394:
	s_or_b64 exec, exec, s[14:15]
	s_waitcnt lgkmcnt(0)
	s_barrier
	s_and_saveexec_b64 s[14:15], s[62:63]
	s_cbranch_execz .LBB147_396
; %bb.395:
	v_lshlrev_b32_e32 v27, 3, v21
	ds_read_b64 v[27:28], v27 offset:20224
	ds_read_b64 v[29:30], v23
	s_waitcnt lgkmcnt(0)
	v_mul_f32_e32 v31, v30, v28
	v_mul_f32_e32 v28, v29, v28
	v_fma_f32 v29, v29, v27, -v31
	v_fmac_f32_e32 v28, v30, v27
	v_sub_f32_e32 v10, v10, v29
	v_sub_f32_e32 v11, v11, v28
.LBB147_396:
	s_or_b64 exec, exec, s[14:15]
	s_barrier
	s_and_saveexec_b64 s[14:15], s[64:65]
; %bb.397:
	v_xor_b32_e32 v28, 0x80000000, v11
	v_xor_b32_e32 v27, 0x80000000, v10
	ds_write_b64 v23, v[27:28]
; %bb.398:
	s_or_b64 exec, exec, s[14:15]
	s_waitcnt lgkmcnt(0)
	s_barrier
	s_and_saveexec_b64 s[14:15], s[66:67]
	s_cbranch_execz .LBB147_400
; %bb.399:
	v_lshlrev_b32_e32 v27, 3, v21
	ds_read_b64 v[27:28], v27 offset:19712
	ds_read_b64 v[29:30], v23
	s_waitcnt lgkmcnt(0)
	v_mul_f32_e32 v31, v30, v28
	v_mul_f32_e32 v28, v29, v28
	v_fma_f32 v29, v29, v27, -v31
	v_fmac_f32_e32 v28, v30, v27
	v_sub_f32_e32 v10, v10, v29
	v_sub_f32_e32 v11, v11, v28
.LBB147_400:
	s_or_b64 exec, exec, s[14:15]
	s_barrier
	;; [unrolled: 25-line block ×6, first 2 shown]
	s_and_saveexec_b64 s[14:15], s[84:85]
; %bb.417:
	v_xor_b32_e32 v28, 0x80000000, v11
	v_xor_b32_e32 v27, 0x80000000, v10
	ds_write_b64 v23, v[27:28]
; %bb.418:
	s_or_b64 exec, exec, s[14:15]
	s_waitcnt lgkmcnt(0)
	s_barrier
	s_and_saveexec_b64 s[14:15], s[58:59]
	s_cbranch_execz .LBB147_420
; %bb.419:
	v_mov_b32_e32 v27, 0
	ds_read_b64 v[27:28], v27 offset:17152
	ds_read_b64 v[29:30], v23
	s_waitcnt lgkmcnt(0)
	v_mul_f32_e32 v31, v30, v28
	v_mul_f32_e32 v28, v29, v28
	v_fma_f32 v29, v29, v27, -v31
	v_fmac_f32_e32 v28, v30, v27
	v_sub_f32_e32 v10, v10, v29
	v_sub_f32_e32 v11, v11, v28
.LBB147_420:
	s_or_b64 exec, exec, s[14:15]
	s_barrier
	s_and_saveexec_b64 s[14:15], s[58:59]
; %bb.421:
	v_xor_b32_e32 v28, 0x80000000, v11
	v_xor_b32_e32 v27, 0x80000000, v10
	ds_write_b64 v23, v[27:28]
; %bb.422:
	s_or_b64 exec, exec, s[14:15]
	s_waitcnt lgkmcnt(0)
	s_barrier
	s_barrier
	s_and_saveexec_b64 s[14:15], s[8:9]
; %bb.423:
	v_lshlrev_b32_e32 v27, 3, v21
	v_lshl_or_b32 v27, v22, 9, v27
	ds_write_b64 v27, v[10:11] offset:20736
; %bb.424:
	s_or_b64 exec, exec, s[14:15]
	s_waitcnt lgkmcnt(0)
	s_barrier
	s_barrier
	s_and_saveexec_b64 s[14:15], s[86:87]
	s_cbranch_execz .LBB147_426
; %bb.425:
	v_lshlrev_b32_e32 v27, 9, v0
	ds_read_b64 v[10:11], v27 offset:20736
	s_movk_i32 s16, 0xfe08
	v_mad_i32_i24 v28, v0, s16, v27
	s_waitcnt lgkmcnt(0)
	ds_write_b64 v28, v[10:11] offset:16704
	ds_read_b64 v[10:11], v27 offset:20744
	s_waitcnt lgkmcnt(0)
	ds_write_b64 v28, v[10:11] offset:17216
	ds_read_b64 v[10:11], v27 offset:20752
	;; [unrolled: 3-line block ×7, first 2 shown]
	s_waitcnt lgkmcnt(0)
	ds_write_b64 v28, v[10:11] offset:20288
.LBB147_426:
	s_or_b64 exec, exec, s[14:15]
	s_waitcnt lgkmcnt(0)
	s_barrier
	s_and_saveexec_b64 s[14:15], vcc
	s_cbranch_execz .LBB147_428
; %bb.427:
	v_mov_b32_e32 v29, 0
	ds_read_b64 v[10:11], v29 offset:20272
	s_mov_b64 s[16:17], 0x3f800000
	v_mov_b32_e32 v28, s17
	v_mov_b32_e32 v27, s16
	s_movk_i32 s16, 0x4800
	ds_write_b64 v29, v[27:28] offset:20280
	v_add_u32_e64 v29, s16, 0
	s_waitcnt lgkmcnt(1)
	ds_write2_b64 v29, v[27:28], v[10:11] offset0:166 offset1:167
.LBB147_428:
	s_or_b64 exec, exec, s[14:15]
	v_mov_b32_e32 v10, 0
	v_mov_b32_e32 v11, 0
	s_waitcnt lgkmcnt(0)
	s_barrier
	buffer_wbinvl1_vol
	s_and_saveexec_b64 s[16:17], s[2:3]
	s_cbranch_execz .LBB147_432
; %bb.429:
	v_lshlrev_b32_e32 v10, 3, v12
	v_lshlrev_b32_e32 v27, 9, v13
	ds_read_b64 v[10:11], v10 offset:19744
	ds_read_b64 v[27:28], v27 offset:19760
	v_cmp_gt_u32_e64 s[14:15], 2, v15
	s_waitcnt lgkmcnt(0)
	v_mul_f32_e32 v29, v28, v11
	v_mul_f32_e32 v11, v27, v11
	v_fma_f32 v27, v27, v10, -v29
	v_fmac_f32_e32 v11, v28, v10
	v_add_f32_e32 v10, 0, v27
	v_add_f32_e32 v11, 0, v11
	s_and_saveexec_b64 s[20:21], s[14:15]
	s_cbranch_execz .LBB147_431
; %bb.430:
	v_lshlrev_b32_e32 v27, 3, v0
	v_mov_b32_e32 v29, 0
	ds_read_b64 v[27:28], v27 offset:20256
	ds_read_b64 v[29:30], v29 offset:20280
	s_waitcnt lgkmcnt(0)
	v_mul_f32_e32 v31, v30, v28
	v_mul_f32_e32 v28, v29, v28
	v_fma_f32 v29, v29, v27, -v31
	v_fmac_f32_e32 v28, v30, v27
	v_add_f32_e32 v10, v10, v29
	v_add_f32_e32 v11, v11, v28
.LBB147_431:
	s_or_b64 exec, exec, s[20:21]
.LBB147_432:
	s_or_b64 exec, exec, s[16:17]
	s_and_saveexec_b64 s[14:15], s[40:41]
; %bb.433:
	v_xor_b32_e32 v28, 0x80000000, v11
	v_xor_b32_e32 v27, 0x80000000, v10
	ds_write_b64 v14, v[27:28]
; %bb.434:
	s_or_b64 exec, exec, s[14:15]
	s_waitcnt lgkmcnt(0)
	s_barrier
	s_and_saveexec_b64 s[14:15], s[38:39]
	s_cbranch_execz .LBB147_436
; %bb.435:
	v_mov_b32_e32 v27, 0
	ds_read_b64 v[27:28], v27 offset:19232
	ds_read_b64 v[29:30], v14
	s_waitcnt lgkmcnt(0)
	v_mul_f32_e32 v31, v29, v27
	v_mul_f32_e32 v29, v29, v28
	v_fmac_f32_e32 v29, v30, v27
	v_fma_f32 v27, v30, v28, -v31
	v_add_f32_e32 v10, v10, v27
	v_sub_f32_e32 v11, v11, v29
.LBB147_436:
	s_or_b64 exec, exec, s[14:15]
	s_barrier
	s_and_saveexec_b64 s[14:15], s[38:39]
; %bb.437:
	v_xor_b32_e32 v28, 0x80000000, v11
	v_xor_b32_e32 v27, 0x80000000, v10
	ds_write_b64 v14, v[27:28]
; %bb.438:
	s_or_b64 exec, exec, s[14:15]
	s_waitcnt lgkmcnt(0)
	s_barrier
	s_barrier
	s_and_saveexec_b64 s[14:15], s[2:3]
; %bb.439:
	v_lshlrev_b32_e32 v27, 3, v12
	v_lshl_or_b32 v27, v13, 9, v27
	ds_write_b64 v27, v[10:11] offset:19744
; %bb.440:
	s_or_b64 exec, exec, s[14:15]
	s_waitcnt lgkmcnt(0)
	s_barrier
	s_barrier
	s_and_saveexec_b64 s[14:15], s[42:43]
	s_cbranch_execz .LBB147_442
; %bb.441:
	v_lshlrev_b32_e32 v27, 3, v0
	s_movk_i32 s16, 0x1f8
	v_mad_u32_u24 v28, v0, s16, v27
	ds_read_b64 v[10:11], v28 offset:19744
	s_waitcnt lgkmcnt(0)
	ds_write_b64 v27, v[10:11] offset:18736
	ds_read_b64 v[10:11], v28 offset:19752
	s_waitcnt lgkmcnt(0)
	ds_write_b64 v27, v[10:11] offset:19248
.LBB147_442:
	s_or_b64 exec, exec, s[14:15]
	s_waitcnt lgkmcnt(0)
	s_barrier
	s_and_saveexec_b64 s[14:15], vcc
	s_cbranch_execz .LBB147_444
; %bb.443:
	v_mov_b32_e32 v29, 0
	ds_read_b64 v[10:11], v29 offset:19232
	s_mov_b64 s[16:17], 0x3f800000
	v_mov_b32_e32 v28, s17
	v_mov_b32_e32 v27, s16
	s_movk_i32 s16, 0x4800
	ds_write_b64 v29, v[27:28] offset:19240
	v_add_u32_e64 v29, s16, 0
	s_waitcnt lgkmcnt(1)
	ds_write2_b64 v29, v[27:28], v[10:11] offset0:36 offset1:37
.LBB147_444:
	s_or_b64 exec, exec, s[14:15]
	v_mov_b32_e32 v11, 0
	v_mov_b32_e32 v10, 0
	s_waitcnt lgkmcnt(0)
	s_barrier
	buffer_wbinvl1_vol
	s_and_saveexec_b64 s[16:17], s[18:19]
	s_cbranch_execz .LBB147_450
; %bb.445:
	v_lshlrev_b32_e32 v27, 3, v18
	v_lshlrev_b32_e32 v28, 9, v19
	ds_read_b64 v[10:11], v27 offset:18688
	ds_read_b64 v[29:30], v28 offset:18720
	v_cmp_gt_u32_e64 s[14:15], 12, v15
	s_waitcnt lgkmcnt(0)
	v_mul_f32_e32 v31, v30, v11
	v_mul_f32_e32 v11, v29, v11
	v_fma_f32 v29, v29, v10, -v31
	v_fmac_f32_e32 v11, v30, v10
	v_add_f32_e32 v10, 0, v29
	v_add_f32_e32 v11, 0, v11
	s_and_saveexec_b64 s[20:21], s[14:15]
	s_cbranch_execnz .LBB147_1083
; %bb.446:
	s_or_b64 exec, exec, s[20:21]
	v_cmp_gt_u32_e64 s[14:15], 8, v15
	s_and_saveexec_b64 s[20:21], s[14:15]
	s_cbranch_execnz .LBB147_1084
.LBB147_447:
	s_or_b64 exec, exec, s[20:21]
	v_cmp_gt_u32_e64 s[14:15], 4, v15
	s_and_saveexec_b64 s[20:21], s[14:15]
	s_cbranch_execz .LBB147_449
.LBB147_448:
	v_lshlrev_b32_e32 v27, 3, v0
	v_mov_b32_e32 v29, 0
	ds_read_b64 v[27:28], v27 offset:20224
	ds_read_b64 v[29:30], v29 offset:20280
	s_waitcnt lgkmcnt(0)
	v_mul_f32_e32 v31, v30, v28
	v_mul_f32_e32 v28, v29, v28
	v_fma_f32 v29, v29, v27, -v31
	v_fmac_f32_e32 v28, v30, v27
	v_add_f32_e32 v10, v10, v29
	v_add_f32_e32 v11, v11, v28
.LBB147_449:
	s_or_b64 exec, exec, s[20:21]
.LBB147_450:
	s_or_b64 exec, exec, s[16:17]
	s_and_saveexec_b64 s[14:15], s[46:47]
; %bb.451:
	v_xor_b32_e32 v27, 0x80000000, v10
	v_xor_b32_e32 v28, 0x80000000, v11
	ds_write_b64 v20, v[27:28]
; %bb.452:
	s_or_b64 exec, exec, s[14:15]
	s_waitcnt lgkmcnt(0)
	s_barrier
	s_and_saveexec_b64 s[14:15], s[48:49]
	s_cbranch_execz .LBB147_454
; %bb.453:
	v_lshlrev_b32_e32 v27, 3, v18
	ds_read_b64 v[27:28], v27 offset:18176
	ds_read_b64 v[29:30], v20
	s_waitcnt lgkmcnt(0)
	v_mul_f32_e32 v31, v30, v28
	v_mul_f32_e32 v28, v29, v28
	v_fma_f32 v29, v29, v27, -v31
	v_fmac_f32_e32 v28, v30, v27
	v_sub_f32_e32 v10, v10, v29
	v_sub_f32_e32 v11, v11, v28
.LBB147_454:
	s_or_b64 exec, exec, s[14:15]
	s_barrier
	s_and_saveexec_b64 s[14:15], s[50:51]
; %bb.455:
	v_xor_b32_e32 v27, 0x80000000, v10
	v_xor_b32_e32 v28, 0x80000000, v11
	ds_write_b64 v20, v[27:28]
; %bb.456:
	s_or_b64 exec, exec, s[14:15]
	s_waitcnt lgkmcnt(0)
	s_barrier
	s_and_saveexec_b64 s[14:15], s[52:53]
	s_cbranch_execz .LBB147_458
; %bb.457:
	v_lshlrev_b32_e32 v27, 3, v18
	ds_read_b64 v[27:28], v27 offset:17664
	ds_read_b64 v[29:30], v20
	s_waitcnt lgkmcnt(0)
	v_mul_f32_e32 v31, v30, v28
	v_mul_f32_e32 v28, v29, v28
	v_fma_f32 v29, v29, v27, -v31
	v_fmac_f32_e32 v28, v30, v27
	v_sub_f32_e32 v10, v10, v29
	v_sub_f32_e32 v11, v11, v28
.LBB147_458:
	s_or_b64 exec, exec, s[14:15]
	s_barrier
	s_and_saveexec_b64 s[14:15], s[54:55]
; %bb.459:
	v_xor_b32_e32 v27, 0x80000000, v10
	v_xor_b32_e32 v28, 0x80000000, v11
	ds_write_b64 v20, v[27:28]
; %bb.460:
	s_or_b64 exec, exec, s[14:15]
	s_waitcnt lgkmcnt(0)
	s_barrier
	s_and_saveexec_b64 s[14:15], s[44:45]
	s_cbranch_execz .LBB147_462
; %bb.461:
	v_mov_b32_e32 v27, 0
	ds_read_b64 v[27:28], v27 offset:17152
	ds_read_b64 v[29:30], v20
	s_waitcnt lgkmcnt(0)
	v_mul_f32_e32 v31, v30, v28
	v_mul_f32_e32 v28, v29, v28
	v_fma_f32 v29, v29, v27, -v31
	v_fmac_f32_e32 v28, v30, v27
	v_sub_f32_e32 v10, v10, v29
	v_sub_f32_e32 v11, v11, v28
.LBB147_462:
	s_or_b64 exec, exec, s[14:15]
	s_barrier
	s_and_saveexec_b64 s[14:15], s[44:45]
; %bb.463:
	v_xor_b32_e32 v27, 0x80000000, v10
	v_xor_b32_e32 v28, 0x80000000, v11
	ds_write_b64 v20, v[27:28]
; %bb.464:
	s_or_b64 exec, exec, s[14:15]
	s_waitcnt lgkmcnt(0)
	s_barrier
	s_barrier
	s_and_saveexec_b64 s[14:15], s[18:19]
; %bb.465:
	v_lshlrev_b32_e32 v27, 3, v18
	v_lshl_or_b32 v27, v19, 9, v27
	ds_write_b64 v27, v[10:11] offset:18688
; %bb.466:
	s_or_b64 exec, exec, s[14:15]
	s_waitcnt lgkmcnt(0)
	s_barrier
	s_barrier
	s_and_saveexec_b64 s[14:15], s[56:57]
	s_cbranch_execz .LBB147_468
; %bb.467:
	v_lshlrev_b32_e32 v27, 9, v0
	ds_read_b64 v[10:11], v27 offset:18688
	s_movk_i32 s16, 0xfe08
	v_mad_i32_i24 v28, v0, s16, v27
	s_waitcnt lgkmcnt(0)
	ds_write_b64 v28, v[10:11] offset:16672
	ds_read_b64 v[10:11], v27 offset:18696
	s_waitcnt lgkmcnt(0)
	ds_write_b64 v28, v[10:11] offset:17184
	ds_read_b64 v[10:11], v27 offset:18704
	s_waitcnt lgkmcnt(0)
	ds_write_b64 v28, v[10:11] offset:17696
	ds_read_b64 v[10:11], v27 offset:18712
	s_waitcnt lgkmcnt(0)
	ds_write_b64 v28, v[10:11] offset:18208
.LBB147_468:
	s_or_b64 exec, exec, s[14:15]
	s_waitcnt lgkmcnt(0)
	s_barrier
	s_and_saveexec_b64 s[14:15], vcc
	s_cbranch_execz .LBB147_470
; %bb.469:
	v_mov_b32_e32 v29, 0
	ds_read_b64 v[10:11], v29 offset:18192
	s_mov_b64 s[16:17], 0x3f800000
	v_mov_b32_e32 v28, s17
	v_mov_b32_e32 v27, s16
	s_movk_i32 s16, 0x4000
	ds_write_b64 v29, v[27:28] offset:18200
	v_add_u32_e64 v29, s16, 0
	s_waitcnt lgkmcnt(1)
	ds_write2_b64 v29, v[27:28], v[10:11] offset0:162 offset1:163
.LBB147_470:
	s_or_b64 exec, exec, s[14:15]
	v_mov_b32_e32 v10, 0
	v_mov_b32_e32 v11, 0
	s_waitcnt lgkmcnt(0)
	s_barrier
	buffer_wbinvl1_vol
	s_and_saveexec_b64 s[16:17], s[2:3]
	s_cbranch_execz .LBB147_474
; %bb.471:
	v_lshlrev_b32_e32 v10, 3, v12
	v_lshlrev_b32_e32 v27, 9, v13
	ds_read_b64 v[10:11], v10 offset:17664
	ds_read_b64 v[27:28], v27 offset:17680
	v_cmp_gt_u32_e64 s[14:15], 2, v15
	s_waitcnt lgkmcnt(0)
	v_mul_f32_e32 v29, v28, v11
	v_mul_f32_e32 v11, v27, v11
	v_fma_f32 v27, v27, v10, -v29
	v_fmac_f32_e32 v11, v28, v10
	v_add_f32_e32 v10, 0, v27
	v_add_f32_e32 v11, 0, v11
	s_and_saveexec_b64 s[20:21], s[14:15]
	s_cbranch_execz .LBB147_473
; %bb.472:
	v_lshlrev_b32_e32 v27, 3, v0
	v_mov_b32_e32 v29, 0
	ds_read_b64 v[27:28], v27 offset:18176
	ds_read_b64 v[29:30], v29 offset:18200
	s_waitcnt lgkmcnt(0)
	v_mul_f32_e32 v31, v30, v28
	v_mul_f32_e32 v28, v29, v28
	v_fma_f32 v29, v29, v27, -v31
	v_fmac_f32_e32 v28, v30, v27
	v_add_f32_e32 v10, v10, v29
	v_add_f32_e32 v11, v11, v28
.LBB147_473:
	s_or_b64 exec, exec, s[20:21]
.LBB147_474:
	s_or_b64 exec, exec, s[16:17]
	s_and_saveexec_b64 s[14:15], s[40:41]
; %bb.475:
	v_xor_b32_e32 v28, 0x80000000, v11
	v_xor_b32_e32 v27, 0x80000000, v10
	ds_write_b64 v14, v[27:28]
; %bb.476:
	s_or_b64 exec, exec, s[14:15]
	s_waitcnt lgkmcnt(0)
	s_barrier
	s_and_saveexec_b64 s[14:15], s[38:39]
	s_cbranch_execz .LBB147_478
; %bb.477:
	v_mov_b32_e32 v27, 0
	ds_read_b64 v[27:28], v27 offset:17152
	ds_read_b64 v[29:30], v14
	s_waitcnt lgkmcnt(0)
	v_mul_f32_e32 v31, v29, v27
	v_mul_f32_e32 v29, v29, v28
	v_fmac_f32_e32 v29, v30, v27
	v_fma_f32 v27, v30, v28, -v31
	v_add_f32_e32 v10, v10, v27
	v_sub_f32_e32 v11, v11, v29
.LBB147_478:
	s_or_b64 exec, exec, s[14:15]
	s_barrier
	s_and_saveexec_b64 s[14:15], s[38:39]
; %bb.479:
	v_xor_b32_e32 v28, 0x80000000, v11
	v_xor_b32_e32 v27, 0x80000000, v10
	ds_write_b64 v14, v[27:28]
; %bb.480:
	s_or_b64 exec, exec, s[14:15]
	s_waitcnt lgkmcnt(0)
	s_barrier
	s_barrier
	s_and_saveexec_b64 s[14:15], s[2:3]
; %bb.481:
	v_lshlrev_b32_e32 v27, 3, v12
	v_lshl_or_b32 v27, v13, 9, v27
	ds_write_b64 v27, v[10:11] offset:17664
; %bb.482:
	s_or_b64 exec, exec, s[14:15]
	s_waitcnt lgkmcnt(0)
	s_barrier
	s_barrier
	s_and_saveexec_b64 s[14:15], s[42:43]
	s_cbranch_execz .LBB147_484
; %bb.483:
	v_lshlrev_b32_e32 v27, 3, v0
	s_movk_i32 s16, 0x1f8
	v_mad_u32_u24 v28, v0, s16, v27
	ds_read_b64 v[10:11], v28 offset:17664
	s_waitcnt lgkmcnt(0)
	ds_write_b64 v27, v[10:11] offset:16656
	ds_read_b64 v[10:11], v28 offset:17672
	s_waitcnt lgkmcnt(0)
	ds_write_b64 v27, v[10:11] offset:17168
.LBB147_484:
	s_or_b64 exec, exec, s[14:15]
	s_waitcnt lgkmcnt(0)
	s_barrier
	s_and_saveexec_b64 s[14:15], vcc
	s_cbranch_execz .LBB147_486
; %bb.485:
	v_mov_b32_e32 v29, 0
	ds_read_b64 v[10:11], v29 offset:17152
	s_mov_b64 s[16:17], 0x3f800000
	v_mov_b32_e32 v28, s17
	v_mov_b32_e32 v27, s16
	s_movk_i32 s16, 0x4000
	ds_write_b64 v29, v[27:28] offset:17160
	v_add_u32_e64 v29, s16, 0
	s_waitcnt lgkmcnt(1)
	ds_write2_b64 v29, v[27:28], v[10:11] offset0:32 offset1:33
.LBB147_486:
	s_or_b64 exec, exec, s[14:15]
	s_movk_i32 s14, 0x3ff
	v_lshrrev_b32_e32 v29, 5, v15
	v_cmp_lt_u32_e64 s[16:17], s14, v15
	s_movk_i32 s14, 0x400
	v_and_b32_e32 v27, 31, v0
	v_sub_u32_e32 v28, 31, v29
	v_cmp_gt_u32_e64 s[14:15], s14, v15
	v_mov_b32_e32 v11, 0
	v_mov_b32_e32 v10, 0
	s_waitcnt lgkmcnt(0)
	s_barrier
	buffer_wbinvl1_vol
	s_and_saveexec_b64 s[88:89], s[14:15]
	s_cbranch_execz .LBB147_548
; %bb.487:
	v_lshlrev_b32_e32 v30, 3, v27
	v_lshlrev_b32_e32 v31, 9, v28
	ds_read_b64 v[10:11], v30 offset:16384
	ds_read_b64 v[32:33], v31 offset:16640
	s_movk_i32 s20, 0x3e0
	v_cmp_gt_u32_e64 s[20:21], s20, v15
	s_waitcnt lgkmcnt(0)
	v_mul_f32_e32 v34, v33, v11
	v_mul_f32_e32 v11, v32, v11
	v_fma_f32 v32, v32, v10, -v34
	v_fmac_f32_e32 v11, v33, v10
	v_add_f32_e32 v10, 0, v32
	v_add_f32_e32 v11, 0, v11
	s_and_saveexec_b64 s[92:93], s[20:21]
	s_cbranch_execz .LBB147_489
; %bb.488:
	ds_read_b64 v[32:33], v30 offset:16896
	ds_read_b64 v[34:35], v31 offset:16648
	s_waitcnt lgkmcnt(0)
	v_mul_f32_e32 v36, v35, v33
	v_mul_f32_e32 v33, v34, v33
	v_fma_f32 v34, v34, v32, -v36
	v_fmac_f32_e32 v33, v35, v32
	v_add_f32_e32 v10, v10, v34
	v_add_f32_e32 v11, v11, v33
.LBB147_489:
	s_or_b64 exec, exec, s[92:93]
	s_movk_i32 s20, 0x3c0
	v_cmp_gt_u32_e64 s[20:21], s20, v15
	s_and_saveexec_b64 s[92:93], s[20:21]
	s_cbranch_execz .LBB147_491
; %bb.490:
	ds_read_b64 v[32:33], v30 offset:17408
	ds_read_b64 v[34:35], v31 offset:16656
	s_waitcnt lgkmcnt(0)
	v_mul_f32_e32 v36, v35, v33
	v_mul_f32_e32 v33, v34, v33
	v_fma_f32 v34, v34, v32, -v36
	v_fmac_f32_e32 v33, v35, v32
	v_add_f32_e32 v10, v10, v34
	v_add_f32_e32 v11, v11, v33
.LBB147_491:
	s_or_b64 exec, exec, s[92:93]
	s_movk_i32 s20, 0x3a0
	v_cmp_gt_u32_e64 s[20:21], s20, v15
	;; [unrolled: 16-line block ×22, first 2 shown]
	s_and_saveexec_b64 s[92:93], s[20:21]
	s_cbranch_execz .LBB147_533
; %bb.532:
	ds_read_b64 v[32:33], v30 offset:28160
	ds_read_b64 v[34:35], v31 offset:16824
	s_waitcnt lgkmcnt(0)
	v_mul_f32_e32 v36, v35, v33
	v_mul_f32_e32 v33, v34, v33
	v_fma_f32 v34, v34, v32, -v36
	v_fmac_f32_e32 v33, v35, v32
	v_add_f32_e32 v10, v10, v34
	v_add_f32_e32 v11, v11, v33
.LBB147_533:
	s_or_b64 exec, exec, s[92:93]
	s_and_saveexec_b64 s[20:21], s[10:11]
	s_cbranch_execz .LBB147_535
; %bb.534:
	ds_read_b64 v[32:33], v30 offset:28672
	ds_read_b64 v[34:35], v31 offset:16832
	s_waitcnt lgkmcnt(0)
	v_mul_f32_e32 v36, v35, v33
	v_mul_f32_e32 v33, v34, v33
	v_fma_f32 v34, v34, v32, -v36
	v_fmac_f32_e32 v33, v35, v32
	v_add_f32_e32 v10, v10, v34
	v_add_f32_e32 v11, v11, v33
.LBB147_535:
	s_or_b64 exec, exec, s[20:21]
	s_movk_i32 s20, 0xe0
	v_cmp_gt_u32_e64 s[20:21], s20, v15
	s_and_saveexec_b64 s[92:93], s[20:21]
	s_cbranch_execz .LBB147_537
; %bb.536:
	ds_read_b64 v[32:33], v30 offset:29184
	ds_read_b64 v[34:35], v31 offset:16840
	s_waitcnt lgkmcnt(0)
	v_mul_f32_e32 v36, v35, v33
	v_mul_f32_e32 v33, v34, v33
	v_fma_f32 v34, v34, v32, -v36
	v_fmac_f32_e32 v33, v35, v32
	v_add_f32_e32 v10, v10, v34
	v_add_f32_e32 v11, v11, v33
.LBB147_537:
	s_or_b64 exec, exec, s[92:93]
	s_movk_i32 s20, 0xc0
	v_cmp_gt_u32_e64 s[20:21], s20, v15
	;; [unrolled: 16-line block ×5, first 2 shown]
	s_and_saveexec_b64 s[92:93], s[20:21]
	s_cbranch_execnz .LBB147_1085
; %bb.544:
	s_or_b64 exec, exec, s[92:93]
	s_and_saveexec_b64 s[20:21], s[8:9]
	s_cbranch_execnz .LBB147_1086
.LBB147_545:
	s_or_b64 exec, exec, s[20:21]
	v_cmp_gt_u32_e64 s[20:21], 32, v15
	s_and_saveexec_b64 s[92:93], s[20:21]
	s_cbranch_execz .LBB147_547
.LBB147_546:
	ds_read_b64 v[32:33], v30 offset:32256
	ds_read_b64 v[30:31], v31 offset:16888
	s_waitcnt lgkmcnt(0)
	v_mul_f32_e32 v34, v31, v33
	v_mul_f32_e32 v33, v30, v33
	v_fma_f32 v30, v30, v32, -v34
	v_fmac_f32_e32 v33, v31, v32
	v_add_f32_e32 v10, v10, v30
	v_add_f32_e32 v11, v11, v33
.LBB147_547:
	s_or_b64 exec, exec, s[92:93]
.LBB147_548:
	s_or_b64 exec, exec, s[88:89]
	v_mov_b32_e32 v30, 0x8000
	v_lshl_add_u32 v29, v29, 3, v30
	v_mov_b32_e32 v30, 0x3c00
	v_lshl_or_b32 v30, v27, 3, v30
	s_mov_b32 s88, 31
	v_subrev_u32_e32 v31, 31, v27
	s_xor_b64 s[20:21], s[16:17], -1
	s_branch .LBB147_550
.LBB147_549:                            ;   in Loop: Header=BB147_550 Depth=1
	s_or_b64 exec, exec, s[16:17]
	s_add_i32 s88, s88, -2
	v_add_u32_e32 v30, 0xfffffc00, v30
	s_cmp_eq_u32 s89, 0
	v_add_u32_e32 v31, 2, v31
	s_barrier
	s_cbranch_scc1 .LBB147_558
.LBB147_550:                            ; =>This Inner Loop Header: Depth=1
	v_cmp_eq_u32_e64 s[16:17], 0, v31
	s_and_b64 s[92:93], s[20:21], s[16:17]
	s_and_saveexec_b64 s[16:17], s[92:93]
; %bb.551:                              ;   in Loop: Header=BB147_550 Depth=1
	v_xor_b32_e32 v33, 0x80000000, v11
	v_xor_b32_e32 v32, 0x80000000, v10
	ds_write_b64 v29, v[32:33]
; %bb.552:                              ;   in Loop: Header=BB147_550 Depth=1
	s_or_b64 exec, exec, s[16:17]
	v_cmp_gt_u32_e64 s[16:17], s88, v27
	s_and_b64 s[92:93], s[20:21], s[16:17]
	s_waitcnt lgkmcnt(0)
	s_barrier
	s_and_saveexec_b64 s[16:17], s[92:93]
	s_cbranch_execz .LBB147_554
; %bb.553:                              ;   in Loop: Header=BB147_550 Depth=1
	ds_read_b64 v[32:33], v30 offset:512
	ds_read_b64 v[34:35], v29
	s_waitcnt lgkmcnt(0)
	v_mul_f32_e32 v36, v35, v33
	v_mul_f32_e32 v33, v34, v33
	v_fma_f32 v34, v34, v32, -v36
	v_fmac_f32_e32 v33, v35, v32
	v_sub_f32_e32 v10, v10, v34
	v_sub_f32_e32 v11, v11, v33
.LBB147_554:                            ;   in Loop: Header=BB147_550 Depth=1
	s_or_b64 exec, exec, s[16:17]
	s_add_i32 s89, s88, -1
	v_cmp_eq_u32_e64 s[16:17], s89, v27
	s_and_b64 s[92:93], s[20:21], s[16:17]
	s_barrier
	s_and_saveexec_b64 s[16:17], s[92:93]
; %bb.555:                              ;   in Loop: Header=BB147_550 Depth=1
	v_xor_b32_e32 v33, 0x80000000, v11
	v_xor_b32_e32 v32, 0x80000000, v10
	ds_write_b64 v29, v[32:33]
; %bb.556:                              ;   in Loop: Header=BB147_550 Depth=1
	s_or_b64 exec, exec, s[16:17]
	v_cmp_gt_u32_e64 s[16:17], s89, v27
	s_and_b64 s[92:93], s[20:21], s[16:17]
	s_waitcnt lgkmcnt(0)
	s_barrier
	s_and_saveexec_b64 s[16:17], s[92:93]
	s_cbranch_execz .LBB147_549
; %bb.557:                              ;   in Loop: Header=BB147_550 Depth=1
	ds_read_b64 v[32:33], v30
	ds_read_b64 v[34:35], v29
	s_waitcnt lgkmcnt(0)
	v_mul_f32_e32 v36, v35, v33
	v_mul_f32_e32 v33, v34, v33
	v_fma_f32 v34, v34, v32, -v36
	v_fmac_f32_e32 v33, v35, v32
	v_sub_f32_e32 v10, v10, v34
	v_sub_f32_e32 v11, v11, v33
	s_branch .LBB147_549
.LBB147_558:
	s_and_saveexec_b64 s[16:17], s[14:15]
; %bb.559:
	v_lshlrev_b32_e32 v27, 3, v27
	v_lshl_or_b32 v27, v28, 9, v27
	ds_write_b64 v27, v[10:11] offset:16384
; %bb.560:
	s_or_b64 exec, exec, s[16:17]
	v_cmp_gt_u32_e64 s[14:15], 32, v0
	s_and_b64 s[14:15], s[12:13], s[14:15]
	s_waitcnt lgkmcnt(0)
	s_barrier
	s_barrier
	s_and_saveexec_b64 s[12:13], s[14:15]
	s_cbranch_execz .LBB147_562
; %bb.561:
	v_lshlrev_b32_e32 v27, 9, v0
	ds_read_b64 v[10:11], v27 offset:16384
	s_movk_i32 s14, 0xfe08
	v_mad_i32_i24 v28, v0, s14, v27
	s_waitcnt lgkmcnt(0)
	ds_write_b64 v28, v[10:11] offset:256
	ds_read_b64 v[10:11], v27 offset:16392
	s_waitcnt lgkmcnt(0)
	ds_write_b64 v28, v[10:11] offset:768
	ds_read_b64 v[10:11], v27 offset:16400
	;; [unrolled: 3-line block ×31, first 2 shown]
	s_waitcnt lgkmcnt(0)
	ds_write_b64 v28, v[10:11] offset:16128
.LBB147_562:
	s_or_b64 exec, exec, s[12:13]
	s_waitcnt lgkmcnt(0)
	s_barrier
	s_and_saveexec_b64 s[12:13], vcc
	s_cbranch_execz .LBB147_564
; %bb.563:
	v_mov_b32_e32 v29, 0
	ds_read_b64 v[10:11], v29 offset:16112
	s_mov_b64 s[14:15], 0x3f800000
	v_mov_b32_e32 v28, s15
	v_mov_b32_e32 v27, s14
	s_movk_i32 s14, 0x3800
	ds_write_b64 v29, v[27:28] offset:16120
	v_add_u32_e64 v29, s14, 0
	s_waitcnt lgkmcnt(1)
	ds_write2_b64 v29, v[27:28], v[10:11] offset0:158 offset1:159
.LBB147_564:
	s_or_b64 exec, exec, s[12:13]
	v_mov_b32_e32 v10, 0
	v_mov_b32_e32 v11, 0
	s_waitcnt lgkmcnt(0)
	s_barrier
	buffer_wbinvl1_vol
	s_and_saveexec_b64 s[14:15], s[2:3]
	s_cbranch_execz .LBB147_568
; %bb.565:
	v_lshlrev_b32_e32 v10, 3, v12
	v_lshlrev_b32_e32 v27, 9, v13
	ds_read_b64 v[10:11], v10 offset:15584
	ds_read_b64 v[27:28], v27 offset:15600
	v_cmp_gt_u32_e64 s[12:13], 2, v15
	s_waitcnt lgkmcnt(0)
	v_mul_f32_e32 v29, v28, v11
	v_mul_f32_e32 v11, v27, v11
	v_fma_f32 v27, v27, v10, -v29
	v_fmac_f32_e32 v11, v28, v10
	v_add_f32_e32 v10, 0, v27
	v_add_f32_e32 v11, 0, v11
	s_and_saveexec_b64 s[16:17], s[12:13]
	s_cbranch_execz .LBB147_567
; %bb.566:
	v_lshlrev_b32_e32 v27, 3, v0
	v_mov_b32_e32 v29, 0
	ds_read_b64 v[27:28], v27 offset:16096
	ds_read_b64 v[29:30], v29 offset:16120
	s_waitcnt lgkmcnt(0)
	v_mul_f32_e32 v31, v30, v28
	v_mul_f32_e32 v28, v29, v28
	v_fma_f32 v29, v29, v27, -v31
	v_fmac_f32_e32 v28, v30, v27
	v_add_f32_e32 v10, v10, v29
	v_add_f32_e32 v11, v11, v28
.LBB147_567:
	s_or_b64 exec, exec, s[16:17]
.LBB147_568:
	s_or_b64 exec, exec, s[14:15]
	s_and_saveexec_b64 s[12:13], s[40:41]
; %bb.569:
	v_xor_b32_e32 v28, 0x80000000, v11
	v_xor_b32_e32 v27, 0x80000000, v10
	ds_write_b64 v14, v[27:28]
; %bb.570:
	s_or_b64 exec, exec, s[12:13]
	s_waitcnt lgkmcnt(0)
	s_barrier
	s_and_saveexec_b64 s[12:13], s[38:39]
	s_cbranch_execz .LBB147_572
; %bb.571:
	v_mov_b32_e32 v27, 0
	ds_read_b64 v[27:28], v27 offset:15072
	ds_read_b64 v[29:30], v14
	s_waitcnt lgkmcnt(0)
	v_mul_f32_e32 v31, v29, v27
	v_mul_f32_e32 v29, v29, v28
	v_fmac_f32_e32 v29, v30, v27
	v_fma_f32 v27, v30, v28, -v31
	v_add_f32_e32 v10, v10, v27
	v_sub_f32_e32 v11, v11, v29
.LBB147_572:
	s_or_b64 exec, exec, s[12:13]
	s_barrier
	s_and_saveexec_b64 s[12:13], s[38:39]
; %bb.573:
	v_xor_b32_e32 v28, 0x80000000, v11
	v_xor_b32_e32 v27, 0x80000000, v10
	ds_write_b64 v14, v[27:28]
; %bb.574:
	s_or_b64 exec, exec, s[12:13]
	s_waitcnt lgkmcnt(0)
	s_barrier
	s_barrier
	s_and_saveexec_b64 s[12:13], s[2:3]
; %bb.575:
	v_lshlrev_b32_e32 v27, 3, v12
	v_lshl_or_b32 v27, v13, 9, v27
	ds_write_b64 v27, v[10:11] offset:15584
; %bb.576:
	s_or_b64 exec, exec, s[12:13]
	s_waitcnt lgkmcnt(0)
	s_barrier
	s_barrier
	s_and_saveexec_b64 s[12:13], s[42:43]
	s_cbranch_execz .LBB147_578
; %bb.577:
	v_lshlrev_b32_e32 v27, 3, v0
	s_movk_i32 s14, 0x1f8
	v_mad_u32_u24 v28, v0, s14, v27
	ds_read_b64 v[10:11], v28 offset:15584
	s_waitcnt lgkmcnt(0)
	ds_write_b64 v27, v[10:11] offset:14576
	ds_read_b64 v[10:11], v28 offset:15592
	s_waitcnt lgkmcnt(0)
	ds_write_b64 v27, v[10:11] offset:15088
.LBB147_578:
	s_or_b64 exec, exec, s[12:13]
	s_waitcnt lgkmcnt(0)
	s_barrier
	s_and_saveexec_b64 s[12:13], vcc
	s_cbranch_execz .LBB147_580
; %bb.579:
	v_mov_b32_e32 v29, 0
	ds_read_b64 v[10:11], v29 offset:15072
	s_mov_b64 s[14:15], 0x3f800000
	v_mov_b32_e32 v28, s15
	v_mov_b32_e32 v27, s14
	s_movk_i32 s14, 0x3800
	ds_write_b64 v29, v[27:28] offset:15080
	v_add_u32_e64 v29, s14, 0
	s_waitcnt lgkmcnt(1)
	ds_write2_b64 v29, v[27:28], v[10:11] offset0:28 offset1:29
.LBB147_580:
	s_or_b64 exec, exec, s[12:13]
	v_mov_b32_e32 v11, 0
	v_mov_b32_e32 v10, 0
	s_waitcnt lgkmcnt(0)
	s_barrier
	buffer_wbinvl1_vol
	s_and_saveexec_b64 s[14:15], s[18:19]
	s_cbranch_execz .LBB147_586
; %bb.581:
	v_lshlrev_b32_e32 v27, 3, v18
	v_lshlrev_b32_e32 v28, 9, v19
	ds_read_b64 v[10:11], v27 offset:14528
	ds_read_b64 v[29:30], v28 offset:14560
	v_cmp_gt_u32_e64 s[12:13], 12, v15
	s_waitcnt lgkmcnt(0)
	v_mul_f32_e32 v31, v30, v11
	v_mul_f32_e32 v11, v29, v11
	v_fma_f32 v29, v29, v10, -v31
	v_fmac_f32_e32 v11, v30, v10
	v_add_f32_e32 v10, 0, v29
	v_add_f32_e32 v11, 0, v11
	s_and_saveexec_b64 s[16:17], s[12:13]
	s_cbranch_execnz .LBB147_1087
; %bb.582:
	s_or_b64 exec, exec, s[16:17]
	v_cmp_gt_u32_e64 s[12:13], 8, v15
	s_and_saveexec_b64 s[16:17], s[12:13]
	s_cbranch_execnz .LBB147_1088
.LBB147_583:
	s_or_b64 exec, exec, s[16:17]
	v_cmp_gt_u32_e64 s[12:13], 4, v15
	s_and_saveexec_b64 s[16:17], s[12:13]
	s_cbranch_execz .LBB147_585
.LBB147_584:
	v_lshlrev_b32_e32 v27, 3, v0
	v_mov_b32_e32 v29, 0
	ds_read_b64 v[27:28], v27 offset:16064
	ds_read_b64 v[29:30], v29 offset:16120
	s_waitcnt lgkmcnt(0)
	v_mul_f32_e32 v31, v30, v28
	v_mul_f32_e32 v28, v29, v28
	v_fma_f32 v29, v29, v27, -v31
	v_fmac_f32_e32 v28, v30, v27
	v_add_f32_e32 v10, v10, v29
	v_add_f32_e32 v11, v11, v28
.LBB147_585:
	s_or_b64 exec, exec, s[16:17]
.LBB147_586:
	s_or_b64 exec, exec, s[14:15]
	s_and_saveexec_b64 s[12:13], s[46:47]
; %bb.587:
	v_xor_b32_e32 v27, 0x80000000, v10
	v_xor_b32_e32 v28, 0x80000000, v11
	ds_write_b64 v20, v[27:28]
; %bb.588:
	s_or_b64 exec, exec, s[12:13]
	s_waitcnt lgkmcnt(0)
	s_barrier
	s_and_saveexec_b64 s[12:13], s[48:49]
	s_cbranch_execz .LBB147_590
; %bb.589:
	v_lshlrev_b32_e32 v27, 3, v18
	ds_read_b64 v[27:28], v27 offset:14016
	ds_read_b64 v[29:30], v20
	s_waitcnt lgkmcnt(0)
	v_mul_f32_e32 v31, v30, v28
	v_mul_f32_e32 v28, v29, v28
	v_fma_f32 v29, v29, v27, -v31
	v_fmac_f32_e32 v28, v30, v27
	v_sub_f32_e32 v10, v10, v29
	v_sub_f32_e32 v11, v11, v28
.LBB147_590:
	s_or_b64 exec, exec, s[12:13]
	s_barrier
	s_and_saveexec_b64 s[12:13], s[50:51]
; %bb.591:
	v_xor_b32_e32 v27, 0x80000000, v10
	v_xor_b32_e32 v28, 0x80000000, v11
	ds_write_b64 v20, v[27:28]
; %bb.592:
	s_or_b64 exec, exec, s[12:13]
	s_waitcnt lgkmcnt(0)
	s_barrier
	s_and_saveexec_b64 s[12:13], s[52:53]
	s_cbranch_execz .LBB147_594
; %bb.593:
	v_lshlrev_b32_e32 v27, 3, v18
	ds_read_b64 v[27:28], v27 offset:13504
	ds_read_b64 v[29:30], v20
	s_waitcnt lgkmcnt(0)
	v_mul_f32_e32 v31, v30, v28
	v_mul_f32_e32 v28, v29, v28
	v_fma_f32 v29, v29, v27, -v31
	v_fmac_f32_e32 v28, v30, v27
	v_sub_f32_e32 v10, v10, v29
	v_sub_f32_e32 v11, v11, v28
.LBB147_594:
	s_or_b64 exec, exec, s[12:13]
	s_barrier
	s_and_saveexec_b64 s[12:13], s[54:55]
; %bb.595:
	v_xor_b32_e32 v27, 0x80000000, v10
	v_xor_b32_e32 v28, 0x80000000, v11
	ds_write_b64 v20, v[27:28]
; %bb.596:
	s_or_b64 exec, exec, s[12:13]
	s_waitcnt lgkmcnt(0)
	s_barrier
	s_and_saveexec_b64 s[12:13], s[44:45]
	s_cbranch_execz .LBB147_598
; %bb.597:
	v_mov_b32_e32 v27, 0
	ds_read_b64 v[27:28], v27 offset:12992
	ds_read_b64 v[29:30], v20
	s_waitcnt lgkmcnt(0)
	v_mul_f32_e32 v31, v30, v28
	v_mul_f32_e32 v28, v29, v28
	v_fma_f32 v29, v29, v27, -v31
	v_fmac_f32_e32 v28, v30, v27
	v_sub_f32_e32 v10, v10, v29
	v_sub_f32_e32 v11, v11, v28
.LBB147_598:
	s_or_b64 exec, exec, s[12:13]
	s_barrier
	s_and_saveexec_b64 s[12:13], s[44:45]
; %bb.599:
	v_xor_b32_e32 v27, 0x80000000, v10
	v_xor_b32_e32 v28, 0x80000000, v11
	ds_write_b64 v20, v[27:28]
; %bb.600:
	s_or_b64 exec, exec, s[12:13]
	s_waitcnt lgkmcnt(0)
	s_barrier
	s_barrier
	s_and_saveexec_b64 s[12:13], s[18:19]
; %bb.601:
	v_lshlrev_b32_e32 v27, 3, v18
	v_lshl_or_b32 v27, v19, 9, v27
	ds_write_b64 v27, v[10:11] offset:14528
; %bb.602:
	s_or_b64 exec, exec, s[12:13]
	s_waitcnt lgkmcnt(0)
	s_barrier
	s_barrier
	s_and_saveexec_b64 s[12:13], s[56:57]
	s_cbranch_execz .LBB147_604
; %bb.603:
	v_lshlrev_b32_e32 v27, 9, v0
	ds_read_b64 v[10:11], v27 offset:14528
	s_movk_i32 s14, 0xfe08
	v_mad_i32_i24 v28, v0, s14, v27
	s_waitcnt lgkmcnt(0)
	ds_write_b64 v28, v[10:11] offset:12512
	ds_read_b64 v[10:11], v27 offset:14536
	s_waitcnt lgkmcnt(0)
	ds_write_b64 v28, v[10:11] offset:13024
	ds_read_b64 v[10:11], v27 offset:14544
	;; [unrolled: 3-line block ×3, first 2 shown]
	s_waitcnt lgkmcnt(0)
	ds_write_b64 v28, v[10:11] offset:14048
.LBB147_604:
	s_or_b64 exec, exec, s[12:13]
	s_waitcnt lgkmcnt(0)
	s_barrier
	s_and_saveexec_b64 s[12:13], vcc
	s_cbranch_execz .LBB147_606
; %bb.605:
	v_mov_b32_e32 v29, 0
	ds_read_b64 v[10:11], v29 offset:14032
	s_mov_b64 s[14:15], 0x3f800000
	v_mov_b32_e32 v28, s15
	v_mov_b32_e32 v27, s14
	s_movk_i32 s14, 0x3000
	ds_write_b64 v29, v[27:28] offset:14040
	v_add_u32_e64 v29, s14, 0
	s_waitcnt lgkmcnt(1)
	ds_write2_b64 v29, v[27:28], v[10:11] offset0:154 offset1:155
.LBB147_606:
	s_or_b64 exec, exec, s[12:13]
	v_mov_b32_e32 v10, 0
	v_mov_b32_e32 v11, 0
	s_waitcnt lgkmcnt(0)
	s_barrier
	buffer_wbinvl1_vol
	s_and_saveexec_b64 s[14:15], s[2:3]
	s_cbranch_execz .LBB147_610
; %bb.607:
	v_lshlrev_b32_e32 v10, 3, v12
	v_lshlrev_b32_e32 v27, 9, v13
	ds_read_b64 v[10:11], v10 offset:13504
	ds_read_b64 v[27:28], v27 offset:13520
	v_cmp_gt_u32_e64 s[12:13], 2, v15
	s_waitcnt lgkmcnt(0)
	v_mul_f32_e32 v29, v28, v11
	v_mul_f32_e32 v11, v27, v11
	v_fma_f32 v27, v27, v10, -v29
	v_fmac_f32_e32 v11, v28, v10
	v_add_f32_e32 v10, 0, v27
	v_add_f32_e32 v11, 0, v11
	s_and_saveexec_b64 s[16:17], s[12:13]
	s_cbranch_execz .LBB147_609
; %bb.608:
	v_lshlrev_b32_e32 v27, 3, v0
	v_mov_b32_e32 v29, 0
	ds_read_b64 v[27:28], v27 offset:14016
	ds_read_b64 v[29:30], v29 offset:14040
	s_waitcnt lgkmcnt(0)
	v_mul_f32_e32 v31, v30, v28
	v_mul_f32_e32 v28, v29, v28
	v_fma_f32 v29, v29, v27, -v31
	v_fmac_f32_e32 v28, v30, v27
	v_add_f32_e32 v10, v10, v29
	v_add_f32_e32 v11, v11, v28
.LBB147_609:
	s_or_b64 exec, exec, s[16:17]
.LBB147_610:
	s_or_b64 exec, exec, s[14:15]
	s_and_saveexec_b64 s[12:13], s[40:41]
; %bb.611:
	v_xor_b32_e32 v28, 0x80000000, v11
	v_xor_b32_e32 v27, 0x80000000, v10
	ds_write_b64 v14, v[27:28]
; %bb.612:
	s_or_b64 exec, exec, s[12:13]
	s_waitcnt lgkmcnt(0)
	s_barrier
	s_and_saveexec_b64 s[12:13], s[38:39]
	s_cbranch_execz .LBB147_614
; %bb.613:
	v_mov_b32_e32 v27, 0
	ds_read_b64 v[27:28], v27 offset:12992
	ds_read_b64 v[29:30], v14
	s_waitcnt lgkmcnt(0)
	v_mul_f32_e32 v31, v29, v27
	v_mul_f32_e32 v29, v29, v28
	v_fmac_f32_e32 v29, v30, v27
	v_fma_f32 v27, v30, v28, -v31
	v_add_f32_e32 v10, v10, v27
	v_sub_f32_e32 v11, v11, v29
.LBB147_614:
	s_or_b64 exec, exec, s[12:13]
	s_barrier
	s_and_saveexec_b64 s[12:13], s[38:39]
; %bb.615:
	v_xor_b32_e32 v28, 0x80000000, v11
	v_xor_b32_e32 v27, 0x80000000, v10
	ds_write_b64 v14, v[27:28]
; %bb.616:
	s_or_b64 exec, exec, s[12:13]
	s_waitcnt lgkmcnt(0)
	s_barrier
	s_barrier
	s_and_saveexec_b64 s[12:13], s[2:3]
; %bb.617:
	v_lshlrev_b32_e32 v27, 3, v12
	v_lshl_or_b32 v27, v13, 9, v27
	ds_write_b64 v27, v[10:11] offset:13504
; %bb.618:
	s_or_b64 exec, exec, s[12:13]
	s_waitcnt lgkmcnt(0)
	s_barrier
	s_barrier
	s_and_saveexec_b64 s[12:13], s[42:43]
	s_cbranch_execz .LBB147_620
; %bb.619:
	v_lshlrev_b32_e32 v27, 3, v0
	s_movk_i32 s14, 0x1f8
	v_mad_u32_u24 v28, v0, s14, v27
	ds_read_b64 v[10:11], v28 offset:13504
	s_waitcnt lgkmcnt(0)
	ds_write_b64 v27, v[10:11] offset:12496
	ds_read_b64 v[10:11], v28 offset:13512
	s_waitcnt lgkmcnt(0)
	ds_write_b64 v27, v[10:11] offset:13008
.LBB147_620:
	s_or_b64 exec, exec, s[12:13]
	s_waitcnt lgkmcnt(0)
	s_barrier
	s_and_saveexec_b64 s[12:13], vcc
	s_cbranch_execz .LBB147_622
; %bb.621:
	v_mov_b32_e32 v29, 0
	ds_read_b64 v[10:11], v29 offset:12992
	s_mov_b64 s[14:15], 0x3f800000
	v_mov_b32_e32 v28, s15
	v_mov_b32_e32 v27, s14
	s_movk_i32 s14, 0x3000
	ds_write_b64 v29, v[27:28] offset:13000
	v_add_u32_e64 v29, s14, 0
	s_waitcnt lgkmcnt(1)
	ds_write2_b64 v29, v[27:28], v[10:11] offset0:24 offset1:25
.LBB147_622:
	s_or_b64 exec, exec, s[12:13]
	v_mov_b32_e32 v11, 0
	v_mov_b32_e32 v10, 0
	s_waitcnt lgkmcnt(0)
	s_barrier
	buffer_wbinvl1_vol
	s_and_saveexec_b64 s[14:15], s[8:9]
	s_cbranch_execz .LBB147_632
; %bb.623:
	v_lshlrev_b32_e32 v27, 3, v21
	v_lshlrev_b32_e32 v28, 9, v22
	ds_read_b64 v[10:11], v27 offset:12416
	ds_read_b64 v[29:30], v28 offset:12480
	v_cmp_gt_u32_e64 s[12:13], 56, v15
	s_waitcnt lgkmcnt(0)
	v_mul_f32_e32 v31, v30, v11
	v_mul_f32_e32 v11, v29, v11
	v_fma_f32 v29, v29, v10, -v31
	v_fmac_f32_e32 v11, v30, v10
	v_add_f32_e32 v10, 0, v29
	v_add_f32_e32 v11, 0, v11
	s_and_saveexec_b64 s[16:17], s[12:13]
	s_cbranch_execnz .LBB147_1089
; %bb.624:
	s_or_b64 exec, exec, s[16:17]
	v_cmp_gt_u32_e64 s[12:13], 48, v15
	s_and_saveexec_b64 s[16:17], s[12:13]
	s_cbranch_execnz .LBB147_1090
.LBB147_625:
	s_or_b64 exec, exec, s[16:17]
	v_cmp_gt_u32_e64 s[12:13], 40, v15
	s_and_saveexec_b64 s[16:17], s[12:13]
	s_cbranch_execnz .LBB147_1091
.LBB147_626:
	s_or_b64 exec, exec, s[16:17]
	v_cmp_gt_u32_e64 s[12:13], 32, v15
	s_and_saveexec_b64 s[16:17], s[12:13]
	s_cbranch_execnz .LBB147_1092
.LBB147_627:
	s_or_b64 exec, exec, s[16:17]
	v_cmp_gt_u32_e64 s[12:13], 24, v15
	s_and_saveexec_b64 s[16:17], s[12:13]
	s_cbranch_execnz .LBB147_1093
.LBB147_628:
	s_or_b64 exec, exec, s[16:17]
	s_and_saveexec_b64 s[12:13], s[18:19]
	s_cbranch_execnz .LBB147_1094
.LBB147_629:
	s_or_b64 exec, exec, s[12:13]
	v_cmp_gt_u32_e64 s[12:13], 8, v15
	s_and_saveexec_b64 s[16:17], s[12:13]
	s_cbranch_execz .LBB147_631
.LBB147_630:
	v_lshlrev_b32_e32 v27, 3, v0
	v_mov_b32_e32 v29, 0
	ds_read_b64 v[27:28], v27 offset:16000
	ds_read_b64 v[29:30], v29 offset:16120
	s_waitcnt lgkmcnt(0)
	v_mul_f32_e32 v31, v30, v28
	v_mul_f32_e32 v28, v29, v28
	v_fma_f32 v29, v29, v27, -v31
	v_fmac_f32_e32 v28, v30, v27
	v_add_f32_e32 v10, v10, v29
	v_add_f32_e32 v11, v11, v28
.LBB147_631:
	s_or_b64 exec, exec, s[16:17]
.LBB147_632:
	s_or_b64 exec, exec, s[14:15]
	s_and_saveexec_b64 s[12:13], s[60:61]
; %bb.633:
	v_xor_b32_e32 v28, 0x80000000, v11
	v_xor_b32_e32 v27, 0x80000000, v10
	ds_write_b64 v23, v[27:28]
; %bb.634:
	s_or_b64 exec, exec, s[12:13]
	s_waitcnt lgkmcnt(0)
	s_barrier
	s_and_saveexec_b64 s[12:13], s[62:63]
	s_cbranch_execz .LBB147_636
; %bb.635:
	v_lshlrev_b32_e32 v27, 3, v21
	ds_read_b64 v[27:28], v27 offset:11904
	ds_read_b64 v[29:30], v23
	s_waitcnt lgkmcnt(0)
	v_mul_f32_e32 v31, v30, v28
	v_mul_f32_e32 v28, v29, v28
	v_fma_f32 v29, v29, v27, -v31
	v_fmac_f32_e32 v28, v30, v27
	v_sub_f32_e32 v10, v10, v29
	v_sub_f32_e32 v11, v11, v28
.LBB147_636:
	s_or_b64 exec, exec, s[12:13]
	s_barrier
	s_and_saveexec_b64 s[12:13], s[64:65]
; %bb.637:
	v_xor_b32_e32 v28, 0x80000000, v11
	v_xor_b32_e32 v27, 0x80000000, v10
	ds_write_b64 v23, v[27:28]
; %bb.638:
	s_or_b64 exec, exec, s[12:13]
	s_waitcnt lgkmcnt(0)
	s_barrier
	s_and_saveexec_b64 s[12:13], s[66:67]
	s_cbranch_execz .LBB147_640
; %bb.639:
	v_lshlrev_b32_e32 v27, 3, v21
	ds_read_b64 v[27:28], v27 offset:11392
	ds_read_b64 v[29:30], v23
	s_waitcnt lgkmcnt(0)
	v_mul_f32_e32 v31, v30, v28
	v_mul_f32_e32 v28, v29, v28
	v_fma_f32 v29, v29, v27, -v31
	v_fmac_f32_e32 v28, v30, v27
	v_sub_f32_e32 v10, v10, v29
	v_sub_f32_e32 v11, v11, v28
.LBB147_640:
	s_or_b64 exec, exec, s[12:13]
	s_barrier
	;; [unrolled: 25-line block ×6, first 2 shown]
	s_and_saveexec_b64 s[12:13], s[84:85]
; %bb.657:
	v_xor_b32_e32 v28, 0x80000000, v11
	v_xor_b32_e32 v27, 0x80000000, v10
	ds_write_b64 v23, v[27:28]
; %bb.658:
	s_or_b64 exec, exec, s[12:13]
	s_waitcnt lgkmcnt(0)
	s_barrier
	s_and_saveexec_b64 s[12:13], s[58:59]
	s_cbranch_execz .LBB147_660
; %bb.659:
	v_mov_b32_e32 v27, 0
	ds_read_b64 v[27:28], v27 offset:8832
	ds_read_b64 v[29:30], v23
	s_waitcnt lgkmcnt(0)
	v_mul_f32_e32 v31, v30, v28
	v_mul_f32_e32 v28, v29, v28
	v_fma_f32 v29, v29, v27, -v31
	v_fmac_f32_e32 v28, v30, v27
	v_sub_f32_e32 v10, v10, v29
	v_sub_f32_e32 v11, v11, v28
.LBB147_660:
	s_or_b64 exec, exec, s[12:13]
	s_barrier
	s_and_saveexec_b64 s[12:13], s[58:59]
; %bb.661:
	v_xor_b32_e32 v28, 0x80000000, v11
	v_xor_b32_e32 v27, 0x80000000, v10
	ds_write_b64 v23, v[27:28]
; %bb.662:
	s_or_b64 exec, exec, s[12:13]
	s_waitcnt lgkmcnt(0)
	s_barrier
	s_barrier
	s_and_saveexec_b64 s[12:13], s[8:9]
; %bb.663:
	v_lshlrev_b32_e32 v27, 3, v21
	v_lshl_or_b32 v27, v22, 9, v27
	ds_write_b64 v27, v[10:11] offset:12416
; %bb.664:
	s_or_b64 exec, exec, s[12:13]
	s_waitcnt lgkmcnt(0)
	s_barrier
	s_barrier
	s_and_saveexec_b64 s[12:13], s[86:87]
	s_cbranch_execz .LBB147_666
; %bb.665:
	v_lshlrev_b32_e32 v27, 9, v0
	ds_read_b64 v[10:11], v27 offset:12416
	s_movk_i32 s14, 0xfe08
	v_mad_i32_i24 v28, v0, s14, v27
	s_waitcnt lgkmcnt(0)
	ds_write_b64 v28, v[10:11] offset:8384
	ds_read_b64 v[10:11], v27 offset:12424
	s_waitcnt lgkmcnt(0)
	ds_write_b64 v28, v[10:11] offset:8896
	ds_read_b64 v[10:11], v27 offset:12432
	;; [unrolled: 3-line block ×7, first 2 shown]
	s_waitcnt lgkmcnt(0)
	ds_write_b64 v28, v[10:11] offset:11968
.LBB147_666:
	s_or_b64 exec, exec, s[12:13]
	s_waitcnt lgkmcnt(0)
	s_barrier
	s_and_saveexec_b64 s[12:13], vcc
	s_cbranch_execz .LBB147_668
; %bb.667:
	v_mov_b32_e32 v29, 0
	ds_read_b64 v[10:11], v29 offset:11952
	s_mov_b64 s[14:15], 0x3f800000
	v_mov_b32_e32 v28, s15
	v_mov_b32_e32 v27, s14
	s_movk_i32 s14, 0x2800
	ds_write_b64 v29, v[27:28] offset:11960
	v_add_u32_e64 v29, s14, 0
	s_waitcnt lgkmcnt(1)
	ds_write2_b64 v29, v[27:28], v[10:11] offset0:150 offset1:151
.LBB147_668:
	s_or_b64 exec, exec, s[12:13]
	v_mov_b32_e32 v10, 0
	v_mov_b32_e32 v11, 0
	s_waitcnt lgkmcnt(0)
	s_barrier
	buffer_wbinvl1_vol
	s_and_saveexec_b64 s[14:15], s[2:3]
	s_cbranch_execz .LBB147_672
; %bb.669:
	v_lshlrev_b32_e32 v10, 3, v12
	v_lshlrev_b32_e32 v27, 9, v13
	ds_read_b64 v[10:11], v10 offset:11424
	ds_read_b64 v[27:28], v27 offset:11440
	v_cmp_gt_u32_e64 s[12:13], 2, v15
	s_waitcnt lgkmcnt(0)
	v_mul_f32_e32 v29, v28, v11
	v_mul_f32_e32 v11, v27, v11
	v_fma_f32 v27, v27, v10, -v29
	v_fmac_f32_e32 v11, v28, v10
	v_add_f32_e32 v10, 0, v27
	v_add_f32_e32 v11, 0, v11
	s_and_saveexec_b64 s[16:17], s[12:13]
	s_cbranch_execz .LBB147_671
; %bb.670:
	v_lshlrev_b32_e32 v27, 3, v0
	v_mov_b32_e32 v29, 0
	ds_read_b64 v[27:28], v27 offset:11936
	ds_read_b64 v[29:30], v29 offset:11960
	s_waitcnt lgkmcnt(0)
	v_mul_f32_e32 v31, v30, v28
	v_mul_f32_e32 v28, v29, v28
	v_fma_f32 v29, v29, v27, -v31
	v_fmac_f32_e32 v28, v30, v27
	v_add_f32_e32 v10, v10, v29
	v_add_f32_e32 v11, v11, v28
.LBB147_671:
	s_or_b64 exec, exec, s[16:17]
.LBB147_672:
	s_or_b64 exec, exec, s[14:15]
	s_and_saveexec_b64 s[12:13], s[40:41]
; %bb.673:
	v_xor_b32_e32 v28, 0x80000000, v11
	v_xor_b32_e32 v27, 0x80000000, v10
	ds_write_b64 v14, v[27:28]
; %bb.674:
	s_or_b64 exec, exec, s[12:13]
	s_waitcnt lgkmcnt(0)
	s_barrier
	s_and_saveexec_b64 s[12:13], s[38:39]
	s_cbranch_execz .LBB147_676
; %bb.675:
	v_mov_b32_e32 v27, 0
	ds_read_b64 v[27:28], v27 offset:10912
	ds_read_b64 v[29:30], v14
	s_waitcnt lgkmcnt(0)
	v_mul_f32_e32 v31, v29, v27
	v_mul_f32_e32 v29, v29, v28
	v_fmac_f32_e32 v29, v30, v27
	v_fma_f32 v27, v30, v28, -v31
	v_add_f32_e32 v10, v10, v27
	v_sub_f32_e32 v11, v11, v29
.LBB147_676:
	s_or_b64 exec, exec, s[12:13]
	s_barrier
	s_and_saveexec_b64 s[12:13], s[38:39]
; %bb.677:
	v_xor_b32_e32 v28, 0x80000000, v11
	v_xor_b32_e32 v27, 0x80000000, v10
	ds_write_b64 v14, v[27:28]
; %bb.678:
	s_or_b64 exec, exec, s[12:13]
	s_waitcnt lgkmcnt(0)
	s_barrier
	s_barrier
	s_and_saveexec_b64 s[12:13], s[2:3]
; %bb.679:
	v_lshlrev_b32_e32 v27, 3, v12
	v_lshl_or_b32 v27, v13, 9, v27
	ds_write_b64 v27, v[10:11] offset:11424
; %bb.680:
	s_or_b64 exec, exec, s[12:13]
	s_waitcnt lgkmcnt(0)
	s_barrier
	s_barrier
	s_and_saveexec_b64 s[12:13], s[42:43]
	s_cbranch_execz .LBB147_682
; %bb.681:
	v_lshlrev_b32_e32 v27, 3, v0
	s_movk_i32 s14, 0x1f8
	v_mad_u32_u24 v28, v0, s14, v27
	ds_read_b64 v[10:11], v28 offset:11424
	s_waitcnt lgkmcnt(0)
	ds_write_b64 v27, v[10:11] offset:10416
	ds_read_b64 v[10:11], v28 offset:11432
	s_waitcnt lgkmcnt(0)
	ds_write_b64 v27, v[10:11] offset:10928
.LBB147_682:
	s_or_b64 exec, exec, s[12:13]
	s_waitcnt lgkmcnt(0)
	s_barrier
	s_and_saveexec_b64 s[12:13], vcc
	s_cbranch_execz .LBB147_684
; %bb.683:
	v_mov_b32_e32 v29, 0
	ds_read_b64 v[10:11], v29 offset:10912
	s_mov_b64 s[14:15], 0x3f800000
	v_mov_b32_e32 v28, s15
	v_mov_b32_e32 v27, s14
	s_movk_i32 s14, 0x2800
	ds_write_b64 v29, v[27:28] offset:10920
	v_add_u32_e64 v29, s14, 0
	s_waitcnt lgkmcnt(1)
	ds_write2_b64 v29, v[27:28], v[10:11] offset0:20 offset1:21
.LBB147_684:
	s_or_b64 exec, exec, s[12:13]
	v_mov_b32_e32 v11, 0
	v_mov_b32_e32 v10, 0
	s_waitcnt lgkmcnt(0)
	s_barrier
	buffer_wbinvl1_vol
	s_and_saveexec_b64 s[14:15], s[18:19]
	s_cbranch_execz .LBB147_690
; %bb.685:
	v_lshlrev_b32_e32 v27, 3, v18
	v_lshlrev_b32_e32 v28, 9, v19
	ds_read_b64 v[10:11], v27 offset:10368
	ds_read_b64 v[29:30], v28 offset:10400
	v_cmp_gt_u32_e64 s[12:13], 12, v15
	s_waitcnt lgkmcnt(0)
	v_mul_f32_e32 v31, v30, v11
	v_mul_f32_e32 v11, v29, v11
	v_fma_f32 v29, v29, v10, -v31
	v_fmac_f32_e32 v11, v30, v10
	v_add_f32_e32 v10, 0, v29
	v_add_f32_e32 v11, 0, v11
	s_and_saveexec_b64 s[16:17], s[12:13]
	s_cbranch_execnz .LBB147_1095
; %bb.686:
	s_or_b64 exec, exec, s[16:17]
	v_cmp_gt_u32_e64 s[12:13], 8, v15
	s_and_saveexec_b64 s[16:17], s[12:13]
	s_cbranch_execnz .LBB147_1096
.LBB147_687:
	s_or_b64 exec, exec, s[16:17]
	v_cmp_gt_u32_e64 s[12:13], 4, v15
	s_and_saveexec_b64 s[16:17], s[12:13]
	s_cbranch_execz .LBB147_689
.LBB147_688:
	v_lshlrev_b32_e32 v27, 3, v0
	v_mov_b32_e32 v29, 0
	ds_read_b64 v[27:28], v27 offset:11904
	ds_read_b64 v[29:30], v29 offset:11960
	s_waitcnt lgkmcnt(0)
	v_mul_f32_e32 v31, v30, v28
	v_mul_f32_e32 v28, v29, v28
	v_fma_f32 v29, v29, v27, -v31
	v_fmac_f32_e32 v28, v30, v27
	v_add_f32_e32 v10, v10, v29
	v_add_f32_e32 v11, v11, v28
.LBB147_689:
	s_or_b64 exec, exec, s[16:17]
.LBB147_690:
	s_or_b64 exec, exec, s[14:15]
	s_and_saveexec_b64 s[12:13], s[46:47]
; %bb.691:
	v_xor_b32_e32 v27, 0x80000000, v10
	v_xor_b32_e32 v28, 0x80000000, v11
	ds_write_b64 v20, v[27:28]
; %bb.692:
	s_or_b64 exec, exec, s[12:13]
	s_waitcnt lgkmcnt(0)
	s_barrier
	s_and_saveexec_b64 s[12:13], s[48:49]
	s_cbranch_execz .LBB147_694
; %bb.693:
	v_lshlrev_b32_e32 v27, 3, v18
	ds_read_b64 v[27:28], v27 offset:9856
	ds_read_b64 v[29:30], v20
	s_waitcnt lgkmcnt(0)
	v_mul_f32_e32 v31, v30, v28
	v_mul_f32_e32 v28, v29, v28
	v_fma_f32 v29, v29, v27, -v31
	v_fmac_f32_e32 v28, v30, v27
	v_sub_f32_e32 v10, v10, v29
	v_sub_f32_e32 v11, v11, v28
.LBB147_694:
	s_or_b64 exec, exec, s[12:13]
	s_barrier
	s_and_saveexec_b64 s[12:13], s[50:51]
; %bb.695:
	v_xor_b32_e32 v27, 0x80000000, v10
	v_xor_b32_e32 v28, 0x80000000, v11
	ds_write_b64 v20, v[27:28]
; %bb.696:
	s_or_b64 exec, exec, s[12:13]
	s_waitcnt lgkmcnt(0)
	s_barrier
	s_and_saveexec_b64 s[12:13], s[52:53]
	s_cbranch_execz .LBB147_698
; %bb.697:
	v_lshlrev_b32_e32 v27, 3, v18
	ds_read_b64 v[27:28], v27 offset:9344
	ds_read_b64 v[29:30], v20
	s_waitcnt lgkmcnt(0)
	v_mul_f32_e32 v31, v30, v28
	v_mul_f32_e32 v28, v29, v28
	v_fma_f32 v29, v29, v27, -v31
	v_fmac_f32_e32 v28, v30, v27
	v_sub_f32_e32 v10, v10, v29
	v_sub_f32_e32 v11, v11, v28
.LBB147_698:
	s_or_b64 exec, exec, s[12:13]
	s_barrier
	s_and_saveexec_b64 s[12:13], s[54:55]
; %bb.699:
	v_xor_b32_e32 v27, 0x80000000, v10
	v_xor_b32_e32 v28, 0x80000000, v11
	ds_write_b64 v20, v[27:28]
; %bb.700:
	s_or_b64 exec, exec, s[12:13]
	s_waitcnt lgkmcnt(0)
	s_barrier
	s_and_saveexec_b64 s[12:13], s[44:45]
	s_cbranch_execz .LBB147_702
; %bb.701:
	v_mov_b32_e32 v27, 0
	ds_read_b64 v[27:28], v27 offset:8832
	ds_read_b64 v[29:30], v20
	s_waitcnt lgkmcnt(0)
	v_mul_f32_e32 v31, v30, v28
	v_mul_f32_e32 v28, v29, v28
	v_fma_f32 v29, v29, v27, -v31
	v_fmac_f32_e32 v28, v30, v27
	v_sub_f32_e32 v10, v10, v29
	v_sub_f32_e32 v11, v11, v28
.LBB147_702:
	s_or_b64 exec, exec, s[12:13]
	s_barrier
	s_and_saveexec_b64 s[12:13], s[44:45]
; %bb.703:
	v_xor_b32_e32 v27, 0x80000000, v10
	v_xor_b32_e32 v28, 0x80000000, v11
	ds_write_b64 v20, v[27:28]
; %bb.704:
	s_or_b64 exec, exec, s[12:13]
	s_waitcnt lgkmcnt(0)
	s_barrier
	s_barrier
	s_and_saveexec_b64 s[12:13], s[18:19]
; %bb.705:
	v_lshlrev_b32_e32 v27, 3, v18
	v_lshl_or_b32 v27, v19, 9, v27
	ds_write_b64 v27, v[10:11] offset:10368
; %bb.706:
	s_or_b64 exec, exec, s[12:13]
	s_waitcnt lgkmcnt(0)
	s_barrier
	s_barrier
	s_and_saveexec_b64 s[12:13], s[56:57]
	s_cbranch_execz .LBB147_708
; %bb.707:
	v_lshlrev_b32_e32 v27, 9, v0
	ds_read_b64 v[10:11], v27 offset:10368
	s_movk_i32 s14, 0xfe08
	v_mad_i32_i24 v28, v0, s14, v27
	s_waitcnt lgkmcnt(0)
	ds_write_b64 v28, v[10:11] offset:8352
	ds_read_b64 v[10:11], v27 offset:10376
	s_waitcnt lgkmcnt(0)
	ds_write_b64 v28, v[10:11] offset:8864
	ds_read_b64 v[10:11], v27 offset:10384
	;; [unrolled: 3-line block ×3, first 2 shown]
	s_waitcnt lgkmcnt(0)
	ds_write_b64 v28, v[10:11] offset:9888
.LBB147_708:
	s_or_b64 exec, exec, s[12:13]
	s_waitcnt lgkmcnt(0)
	s_barrier
	s_and_saveexec_b64 s[12:13], vcc
	s_cbranch_execz .LBB147_710
; %bb.709:
	v_mov_b32_e32 v29, 0
	ds_read_b64 v[10:11], v29 offset:9872
	s_mov_b64 s[14:15], 0x3f800000
	v_mov_b32_e32 v28, s15
	v_mov_b32_e32 v27, s14
	s_movk_i32 s14, 0x2000
	ds_write_b64 v29, v[27:28] offset:9880
	v_add_u32_e64 v29, s14, 0
	s_waitcnt lgkmcnt(1)
	ds_write2_b64 v29, v[27:28], v[10:11] offset0:146 offset1:147
.LBB147_710:
	s_or_b64 exec, exec, s[12:13]
	v_mov_b32_e32 v10, 0
	v_mov_b32_e32 v11, 0
	s_waitcnt lgkmcnt(0)
	s_barrier
	buffer_wbinvl1_vol
	s_and_saveexec_b64 s[14:15], s[2:3]
	s_cbranch_execz .LBB147_714
; %bb.711:
	v_lshlrev_b32_e32 v10, 3, v12
	v_lshlrev_b32_e32 v27, 9, v13
	ds_read_b64 v[10:11], v10 offset:9344
	ds_read_b64 v[27:28], v27 offset:9360
	v_cmp_gt_u32_e64 s[12:13], 2, v15
	s_waitcnt lgkmcnt(0)
	v_mul_f32_e32 v29, v28, v11
	v_mul_f32_e32 v11, v27, v11
	v_fma_f32 v27, v27, v10, -v29
	v_fmac_f32_e32 v11, v28, v10
	v_add_f32_e32 v10, 0, v27
	v_add_f32_e32 v11, 0, v11
	s_and_saveexec_b64 s[16:17], s[12:13]
	s_cbranch_execz .LBB147_713
; %bb.712:
	v_lshlrev_b32_e32 v27, 3, v0
	v_mov_b32_e32 v29, 0
	ds_read_b64 v[27:28], v27 offset:9856
	ds_read_b64 v[29:30], v29 offset:9880
	s_waitcnt lgkmcnt(0)
	v_mul_f32_e32 v31, v30, v28
	v_mul_f32_e32 v28, v29, v28
	v_fma_f32 v29, v29, v27, -v31
	v_fmac_f32_e32 v28, v30, v27
	v_add_f32_e32 v10, v10, v29
	v_add_f32_e32 v11, v11, v28
.LBB147_713:
	s_or_b64 exec, exec, s[16:17]
.LBB147_714:
	s_or_b64 exec, exec, s[14:15]
	s_and_saveexec_b64 s[12:13], s[40:41]
; %bb.715:
	v_xor_b32_e32 v28, 0x80000000, v11
	v_xor_b32_e32 v27, 0x80000000, v10
	ds_write_b64 v14, v[27:28]
; %bb.716:
	s_or_b64 exec, exec, s[12:13]
	s_waitcnt lgkmcnt(0)
	s_barrier
	s_and_saveexec_b64 s[12:13], s[38:39]
	s_cbranch_execz .LBB147_718
; %bb.717:
	v_mov_b32_e32 v27, 0
	ds_read_b64 v[27:28], v27 offset:8832
	ds_read_b64 v[29:30], v14
	s_waitcnt lgkmcnt(0)
	v_mul_f32_e32 v31, v29, v27
	v_mul_f32_e32 v29, v29, v28
	v_fmac_f32_e32 v29, v30, v27
	v_fma_f32 v27, v30, v28, -v31
	v_add_f32_e32 v10, v10, v27
	v_sub_f32_e32 v11, v11, v29
.LBB147_718:
	s_or_b64 exec, exec, s[12:13]
	s_barrier
	s_and_saveexec_b64 s[12:13], s[38:39]
; %bb.719:
	v_xor_b32_e32 v28, 0x80000000, v11
	v_xor_b32_e32 v27, 0x80000000, v10
	ds_write_b64 v14, v[27:28]
; %bb.720:
	s_or_b64 exec, exec, s[12:13]
	s_waitcnt lgkmcnt(0)
	s_barrier
	s_barrier
	s_and_saveexec_b64 s[12:13], s[2:3]
; %bb.721:
	v_lshlrev_b32_e32 v27, 3, v12
	v_lshl_or_b32 v27, v13, 9, v27
	ds_write_b64 v27, v[10:11] offset:9344
; %bb.722:
	s_or_b64 exec, exec, s[12:13]
	s_waitcnt lgkmcnt(0)
	s_barrier
	s_barrier
	s_and_saveexec_b64 s[12:13], s[42:43]
	s_cbranch_execz .LBB147_724
; %bb.723:
	v_lshlrev_b32_e32 v27, 3, v0
	s_movk_i32 s14, 0x1f8
	v_mad_u32_u24 v28, v0, s14, v27
	ds_read_b64 v[10:11], v28 offset:9344
	s_waitcnt lgkmcnt(0)
	ds_write_b64 v27, v[10:11] offset:8336
	ds_read_b64 v[10:11], v28 offset:9352
	s_waitcnt lgkmcnt(0)
	ds_write_b64 v27, v[10:11] offset:8848
.LBB147_724:
	s_or_b64 exec, exec, s[12:13]
	s_waitcnt lgkmcnt(0)
	s_barrier
	s_and_saveexec_b64 s[12:13], vcc
	s_cbranch_execz .LBB147_726
; %bb.725:
	v_mov_b32_e32 v29, 0
	ds_read_b64 v[10:11], v29 offset:8832
	s_mov_b64 s[14:15], 0x3f800000
	v_mov_b32_e32 v28, s15
	v_mov_b32_e32 v27, s14
	s_movk_i32 s14, 0x2000
	ds_write_b64 v29, v[27:28] offset:8840
	v_add_u32_e64 v29, s14, 0
	s_waitcnt lgkmcnt(1)
	ds_write2_b64 v29, v[27:28], v[10:11] offset0:16 offset1:17
.LBB147_726:
	s_or_b64 exec, exec, s[12:13]
	v_mov_b32_e32 v11, 0
	v_mov_b32_e32 v10, 0
	s_waitcnt lgkmcnt(0)
	s_barrier
	buffer_wbinvl1_vol
	s_and_saveexec_b64 s[14:15], s[10:11]
	s_cbranch_execz .LBB147_754
; %bb.727:
	v_lshlrev_b32_e32 v27, 3, v24
	v_lshlrev_b32_e32 v28, 9, v25
	ds_read_b64 v[10:11], v27 offset:8192
	ds_read_b64 v[29:30], v28 offset:8320
	s_movk_i32 s12, 0xf0
	v_cmp_gt_u32_e64 s[12:13], s12, v15
	s_waitcnt lgkmcnt(0)
	v_mul_f32_e32 v31, v30, v11
	v_mul_f32_e32 v11, v29, v11
	v_fma_f32 v29, v29, v10, -v31
	v_fmac_f32_e32 v11, v30, v10
	v_add_f32_e32 v10, 0, v29
	v_add_f32_e32 v11, 0, v11
	s_and_saveexec_b64 s[16:17], s[12:13]
	s_cbranch_execz .LBB147_729
; %bb.728:
	ds_read_b64 v[29:30], v27 offset:8704
	ds_read_b64 v[31:32], v28 offset:8328
	s_waitcnt lgkmcnt(0)
	v_mul_f32_e32 v33, v32, v30
	v_mul_f32_e32 v30, v31, v30
	v_fma_f32 v31, v31, v29, -v33
	v_fmac_f32_e32 v30, v32, v29
	v_add_f32_e32 v10, v10, v31
	v_add_f32_e32 v11, v11, v30
.LBB147_729:
	s_or_b64 exec, exec, s[16:17]
	s_movk_i32 s12, 0xe0
	v_cmp_gt_u32_e64 s[12:13], s12, v15
	s_and_saveexec_b64 s[16:17], s[12:13]
	s_cbranch_execz .LBB147_731
; %bb.730:
	ds_read_b64 v[29:30], v27 offset:9216
	ds_read_b64 v[31:32], v28 offset:8336
	s_waitcnt lgkmcnt(0)
	v_mul_f32_e32 v33, v32, v30
	v_mul_f32_e32 v30, v31, v30
	v_fma_f32 v31, v31, v29, -v33
	v_fmac_f32_e32 v30, v32, v29
	v_add_f32_e32 v10, v10, v31
	v_add_f32_e32 v11, v11, v30
.LBB147_731:
	s_or_b64 exec, exec, s[16:17]
	s_movk_i32 s12, 0xd0
	v_cmp_gt_u32_e64 s[12:13], s12, v15
	;; [unrolled: 16-line block ×10, first 2 shown]
	s_and_saveexec_b64 s[16:17], s[12:13]
	s_cbranch_execnz .LBB147_1097
; %bb.748:
	s_or_b64 exec, exec, s[16:17]
	s_and_saveexec_b64 s[12:13], s[8:9]
	s_cbranch_execnz .LBB147_1098
.LBB147_749:
	s_or_b64 exec, exec, s[12:13]
	v_cmp_gt_u32_e64 s[12:13], 48, v15
	s_and_saveexec_b64 s[16:17], s[12:13]
	s_cbranch_execnz .LBB147_1099
.LBB147_750:
	s_or_b64 exec, exec, s[16:17]
	v_cmp_gt_u32_e64 s[12:13], 32, v15
	s_and_saveexec_b64 s[16:17], s[12:13]
	s_cbranch_execnz .LBB147_1100
.LBB147_751:
	s_or_b64 exec, exec, s[16:17]
	v_cmp_gt_u32_e64 s[12:13], 16, v15
	s_and_saveexec_b64 s[16:17], s[12:13]
	s_cbranch_execz .LBB147_753
.LBB147_752:
	v_lshlrev_b32_e32 v27, 3, v0
	v_mov_b32_e32 v29, 0
	ds_read_b64 v[27:28], v27 offset:15872
	ds_read_b64 v[29:30], v29 offset:16120
	s_waitcnt lgkmcnt(0)
	v_mul_f32_e32 v31, v30, v28
	v_mul_f32_e32 v28, v29, v28
	v_fma_f32 v29, v29, v27, -v31
	v_fmac_f32_e32 v28, v30, v27
	v_add_f32_e32 v10, v10, v29
	v_add_f32_e32 v11, v11, v28
.LBB147_753:
	s_or_b64 exec, exec, s[16:17]
.LBB147_754:
	s_or_b64 exec, exec, s[14:15]
	s_mov_b64 s[12:13], exec
	v_readlane_b32 s14, v37, 2
	v_readlane_b32 s15, v37, 3
	s_and_b64 s[14:15], s[12:13], s[14:15]
	s_mov_b64 exec, s[14:15]
; %bb.755:
	v_xor_b32_e32 v27, 0x80000000, v10
	v_xor_b32_e32 v28, 0x80000000, v11
	ds_write_b64 v26, v[27:28]
; %bb.756:
	s_or_b64 exec, exec, s[12:13]
	s_waitcnt lgkmcnt(0)
	s_barrier
	s_mov_b64 s[12:13], exec
	v_readlane_b32 s14, v37, 4
	v_readlane_b32 s15, v37, 5
	s_and_b64 s[14:15], s[12:13], s[14:15]
	s_mov_b64 exec, s[14:15]
	s_cbranch_execz .LBB147_758
; %bb.757:
	v_lshlrev_b32_e32 v27, 3, v24
	ds_read_b64 v[27:28], v27 offset:7680
	ds_read_b64 v[29:30], v26
	s_waitcnt lgkmcnt(0)
	v_mul_f32_e32 v31, v30, v28
	v_mul_f32_e32 v28, v29, v28
	v_fma_f32 v29, v29, v27, -v31
	v_fmac_f32_e32 v28, v30, v27
	v_sub_f32_e32 v10, v10, v29
	v_sub_f32_e32 v11, v11, v28
.LBB147_758:
	s_or_b64 exec, exec, s[12:13]
	s_barrier
	s_mov_b64 s[12:13], exec
	v_readlane_b32 s14, v37, 6
	v_readlane_b32 s15, v37, 7
	s_and_b64 s[14:15], s[12:13], s[14:15]
	s_mov_b64 exec, s[14:15]
; %bb.759:
	v_xor_b32_e32 v27, 0x80000000, v10
	v_xor_b32_e32 v28, 0x80000000, v11
	ds_write_b64 v26, v[27:28]
; %bb.760:
	s_or_b64 exec, exec, s[12:13]
	s_waitcnt lgkmcnt(0)
	s_barrier
	s_mov_b64 s[12:13], exec
	v_readlane_b32 s14, v37, 8
	v_readlane_b32 s15, v37, 9
	s_and_b64 s[14:15], s[12:13], s[14:15]
	s_mov_b64 exec, s[14:15]
	s_cbranch_execz .LBB147_762
; %bb.761:
	v_lshlrev_b32_e32 v27, 3, v24
	ds_read_b64 v[27:28], v27 offset:7168
	ds_read_b64 v[29:30], v26
	s_waitcnt lgkmcnt(0)
	v_mul_f32_e32 v31, v30, v28
	v_mul_f32_e32 v28, v29, v28
	v_fma_f32 v29, v29, v27, -v31
	v_fmac_f32_e32 v28, v30, v27
	v_sub_f32_e32 v10, v10, v29
	v_sub_f32_e32 v11, v11, v28
.LBB147_762:
	s_or_b64 exec, exec, s[12:13]
	s_barrier
	;; [unrolled: 33-line block ×14, first 2 shown]
	s_and_saveexec_b64 s[12:13], s[0:1]
; %bb.811:
	v_xor_b32_e32 v27, 0x80000000, v10
	v_xor_b32_e32 v28, 0x80000000, v11
	ds_write_b64 v26, v[27:28]
; %bb.812:
	s_or_b64 exec, exec, s[12:13]
	s_waitcnt lgkmcnt(0)
	s_barrier
	s_and_saveexec_b64 s[0:1], s[94:95]
	s_cbranch_execz .LBB147_814
; %bb.813:
	v_mov_b32_e32 v27, 0
	ds_read_b64 v[27:28], v27 offset:512
	ds_read_b64 v[29:30], v26
	s_waitcnt lgkmcnt(0)
	v_mul_f32_e32 v31, v30, v28
	v_mul_f32_e32 v28, v29, v28
	v_fma_f32 v29, v29, v27, -v31
	v_fmac_f32_e32 v28, v30, v27
	v_sub_f32_e32 v10, v10, v29
	v_sub_f32_e32 v11, v11, v28
.LBB147_814:
	s_or_b64 exec, exec, s[0:1]
	s_barrier
	s_and_saveexec_b64 s[0:1], s[94:95]
; %bb.815:
	v_xor_b32_e32 v27, 0x80000000, v10
	v_xor_b32_e32 v28, 0x80000000, v11
	ds_write_b64 v26, v[27:28]
; %bb.816:
	s_or_b64 exec, exec, s[0:1]
	s_waitcnt lgkmcnt(0)
	s_barrier
	s_barrier
	s_and_saveexec_b64 s[0:1], s[10:11]
; %bb.817:
	v_lshlrev_b32_e32 v24, 3, v24
	v_lshl_or_b32 v24, v25, 9, v24
	ds_write_b64 v24, v[10:11] offset:8192
; %bb.818:
	s_or_b64 exec, exec, s[0:1]
	s_waitcnt lgkmcnt(0)
	s_barrier
	s_barrier
	s_mov_b64 s[0:1], exec
	v_readlane_b32 s10, v37, 58
	v_readlane_b32 s11, v37, 59
	s_and_b64 s[10:11], s[0:1], s[10:11]
	s_mov_b64 exec, s[10:11]
	s_cbranch_execz .LBB147_820
; %bb.819:
	v_lshlrev_b32_e32 v24, 9, v0
	ds_read_b64 v[10:11], v24 offset:8192
	s_movk_i32 s10, 0xfe08
	v_mad_i32_i24 v25, v0, s10, v24
	s_waitcnt lgkmcnt(0)
	ds_write_b64 v25, v[10:11] offset:128
	ds_read_b64 v[10:11], v24 offset:8200
	s_waitcnt lgkmcnt(0)
	ds_write_b64 v25, v[10:11] offset:640
	ds_read_b64 v[10:11], v24 offset:8208
	;; [unrolled: 3-line block ×15, first 2 shown]
	s_waitcnt lgkmcnt(0)
	ds_write_b64 v25, v[10:11] offset:7808
.LBB147_820:
	s_or_b64 exec, exec, s[0:1]
	s_waitcnt lgkmcnt(0)
	s_barrier
	s_and_saveexec_b64 s[0:1], vcc
	s_cbranch_execz .LBB147_822
; %bb.821:
	v_mov_b32_e32 v26, 0
	ds_read_b64 v[10:11], v26 offset:7792
	s_mov_b64 s[10:11], 0x3f800000
	v_mov_b32_e32 v25, s11
	v_mov_b32_e32 v24, s10
	s_movk_i32 s10, 0x1800
	ds_write_b64 v26, v[24:25] offset:7800
	v_add_u32_e64 v26, s10, 0
	s_waitcnt lgkmcnt(1)
	ds_write2_b64 v26, v[24:25], v[10:11] offset0:142 offset1:143
.LBB147_822:
	s_or_b64 exec, exec, s[0:1]
	v_mov_b32_e32 v10, 0
	v_mov_b32_e32 v11, 0
	s_waitcnt lgkmcnt(0)
	s_barrier
	buffer_wbinvl1_vol
	s_and_saveexec_b64 s[0:1], s[2:3]
	s_cbranch_execz .LBB147_826
; %bb.823:
	v_lshlrev_b32_e32 v10, 3, v12
	v_lshlrev_b32_e32 v24, 9, v13
	ds_read_b64 v[10:11], v10 offset:7264
	ds_read_b64 v[24:25], v24 offset:7280
	v_cmp_gt_u32_e64 s[10:11], 2, v15
	s_waitcnt lgkmcnt(0)
	v_mul_f32_e32 v26, v25, v11
	v_mul_f32_e32 v11, v24, v11
	v_fma_f32 v24, v24, v10, -v26
	v_fmac_f32_e32 v11, v25, v10
	v_add_f32_e32 v10, 0, v24
	v_add_f32_e32 v11, 0, v11
	s_and_saveexec_b64 s[12:13], s[10:11]
	s_cbranch_execz .LBB147_825
; %bb.824:
	v_lshlrev_b32_e32 v24, 3, v0
	v_mov_b32_e32 v26, 0
	ds_read_b64 v[24:25], v24 offset:7776
	ds_read_b64 v[26:27], v26 offset:7800
	s_waitcnt lgkmcnt(0)
	v_mul_f32_e32 v28, v27, v25
	v_mul_f32_e32 v25, v26, v25
	v_fma_f32 v26, v26, v24, -v28
	v_fmac_f32_e32 v25, v27, v24
	v_add_f32_e32 v10, v10, v26
	v_add_f32_e32 v11, v11, v25
.LBB147_825:
	s_or_b64 exec, exec, s[12:13]
.LBB147_826:
	s_or_b64 exec, exec, s[0:1]
	s_and_saveexec_b64 s[0:1], s[40:41]
; %bb.827:
	v_xor_b32_e32 v25, 0x80000000, v11
	v_xor_b32_e32 v24, 0x80000000, v10
	ds_write_b64 v14, v[24:25]
; %bb.828:
	s_or_b64 exec, exec, s[0:1]
	s_waitcnt lgkmcnt(0)
	s_barrier
	s_and_saveexec_b64 s[0:1], s[38:39]
	s_cbranch_execz .LBB147_830
; %bb.829:
	v_mov_b32_e32 v24, 0
	ds_read_b64 v[24:25], v24 offset:6752
	ds_read_b64 v[26:27], v14
	s_waitcnt lgkmcnt(0)
	v_mul_f32_e32 v28, v26, v24
	v_mul_f32_e32 v26, v26, v25
	v_fmac_f32_e32 v26, v27, v24
	v_fma_f32 v24, v27, v25, -v28
	v_add_f32_e32 v10, v10, v24
	v_sub_f32_e32 v11, v11, v26
.LBB147_830:
	s_or_b64 exec, exec, s[0:1]
	s_barrier
	s_and_saveexec_b64 s[0:1], s[38:39]
; %bb.831:
	v_xor_b32_e32 v25, 0x80000000, v11
	v_xor_b32_e32 v24, 0x80000000, v10
	ds_write_b64 v14, v[24:25]
; %bb.832:
	s_or_b64 exec, exec, s[0:1]
	s_waitcnt lgkmcnt(0)
	s_barrier
	s_barrier
	s_and_saveexec_b64 s[0:1], s[2:3]
; %bb.833:
	v_lshlrev_b32_e32 v24, 3, v12
	v_lshl_or_b32 v24, v13, 9, v24
	ds_write_b64 v24, v[10:11] offset:7264
; %bb.834:
	s_or_b64 exec, exec, s[0:1]
	s_waitcnt lgkmcnt(0)
	s_barrier
	s_barrier
	s_and_saveexec_b64 s[0:1], s[42:43]
	s_cbranch_execz .LBB147_836
; %bb.835:
	v_lshlrev_b32_e32 v24, 3, v0
	s_movk_i32 s10, 0x1f8
	v_mad_u32_u24 v25, v0, s10, v24
	ds_read_b64 v[10:11], v25 offset:7264
	s_waitcnt lgkmcnt(0)
	ds_write_b64 v24, v[10:11] offset:6256
	ds_read_b64 v[10:11], v25 offset:7272
	s_waitcnt lgkmcnt(0)
	ds_write_b64 v24, v[10:11] offset:6768
.LBB147_836:
	s_or_b64 exec, exec, s[0:1]
	s_waitcnt lgkmcnt(0)
	s_barrier
	s_and_saveexec_b64 s[0:1], vcc
	s_cbranch_execz .LBB147_838
; %bb.837:
	v_mov_b32_e32 v26, 0
	ds_read_b64 v[10:11], v26 offset:6752
	s_mov_b64 s[10:11], 0x3f800000
	v_mov_b32_e32 v25, s11
	v_mov_b32_e32 v24, s10
	s_movk_i32 s10, 0x1800
	ds_write_b64 v26, v[24:25] offset:6760
	v_add_u32_e64 v26, s10, 0
	s_waitcnt lgkmcnt(1)
	ds_write2_b64 v26, v[24:25], v[10:11] offset0:12 offset1:13
.LBB147_838:
	s_or_b64 exec, exec, s[0:1]
	v_mov_b32_e32 v11, 0
	v_mov_b32_e32 v10, 0
	s_waitcnt lgkmcnt(0)
	s_barrier
	buffer_wbinvl1_vol
	s_and_saveexec_b64 s[0:1], s[18:19]
	s_cbranch_execz .LBB147_844
; %bb.839:
	v_lshlrev_b32_e32 v24, 3, v18
	v_lshlrev_b32_e32 v25, 9, v19
	ds_read_b64 v[10:11], v24 offset:6208
	ds_read_b64 v[26:27], v25 offset:6240
	v_cmp_gt_u32_e64 s[10:11], 12, v15
	s_waitcnt lgkmcnt(0)
	v_mul_f32_e32 v28, v27, v11
	v_mul_f32_e32 v11, v26, v11
	v_fma_f32 v26, v26, v10, -v28
	v_fmac_f32_e32 v11, v27, v10
	v_add_f32_e32 v10, 0, v26
	v_add_f32_e32 v11, 0, v11
	s_and_saveexec_b64 s[12:13], s[10:11]
	s_cbranch_execnz .LBB147_1101
; %bb.840:
	s_or_b64 exec, exec, s[12:13]
	v_cmp_gt_u32_e64 s[10:11], 8, v15
	s_and_saveexec_b64 s[12:13], s[10:11]
	s_cbranch_execnz .LBB147_1102
.LBB147_841:
	s_or_b64 exec, exec, s[12:13]
	v_cmp_gt_u32_e64 s[10:11], 4, v15
	s_and_saveexec_b64 s[12:13], s[10:11]
	s_cbranch_execz .LBB147_843
.LBB147_842:
	v_lshlrev_b32_e32 v24, 3, v0
	v_mov_b32_e32 v26, 0
	ds_read_b64 v[24:25], v24 offset:7744
	ds_read_b64 v[26:27], v26 offset:7800
	s_waitcnt lgkmcnt(0)
	v_mul_f32_e32 v28, v27, v25
	v_mul_f32_e32 v25, v26, v25
	v_fma_f32 v26, v26, v24, -v28
	v_fmac_f32_e32 v25, v27, v24
	v_add_f32_e32 v10, v10, v26
	v_add_f32_e32 v11, v11, v25
.LBB147_843:
	s_or_b64 exec, exec, s[12:13]
.LBB147_844:
	s_or_b64 exec, exec, s[0:1]
	s_and_saveexec_b64 s[0:1], s[46:47]
; %bb.845:
	v_xor_b32_e32 v24, 0x80000000, v10
	v_xor_b32_e32 v25, 0x80000000, v11
	ds_write_b64 v20, v[24:25]
; %bb.846:
	s_or_b64 exec, exec, s[0:1]
	s_waitcnt lgkmcnt(0)
	s_barrier
	s_and_saveexec_b64 s[0:1], s[48:49]
	s_cbranch_execz .LBB147_848
; %bb.847:
	v_lshlrev_b32_e32 v24, 3, v18
	ds_read_b64 v[24:25], v24 offset:5696
	ds_read_b64 v[26:27], v20
	s_waitcnt lgkmcnt(0)
	v_mul_f32_e32 v28, v27, v25
	v_mul_f32_e32 v25, v26, v25
	v_fma_f32 v26, v26, v24, -v28
	v_fmac_f32_e32 v25, v27, v24
	v_sub_f32_e32 v10, v10, v26
	v_sub_f32_e32 v11, v11, v25
.LBB147_848:
	s_or_b64 exec, exec, s[0:1]
	s_barrier
	s_and_saveexec_b64 s[0:1], s[50:51]
; %bb.849:
	v_xor_b32_e32 v24, 0x80000000, v10
	v_xor_b32_e32 v25, 0x80000000, v11
	ds_write_b64 v20, v[24:25]
; %bb.850:
	s_or_b64 exec, exec, s[0:1]
	s_waitcnt lgkmcnt(0)
	s_barrier
	s_and_saveexec_b64 s[0:1], s[52:53]
	s_cbranch_execz .LBB147_852
; %bb.851:
	v_lshlrev_b32_e32 v24, 3, v18
	ds_read_b64 v[24:25], v24 offset:5184
	ds_read_b64 v[26:27], v20
	s_waitcnt lgkmcnt(0)
	v_mul_f32_e32 v28, v27, v25
	v_mul_f32_e32 v25, v26, v25
	v_fma_f32 v26, v26, v24, -v28
	v_fmac_f32_e32 v25, v27, v24
	v_sub_f32_e32 v10, v10, v26
	v_sub_f32_e32 v11, v11, v25
.LBB147_852:
	s_or_b64 exec, exec, s[0:1]
	s_barrier
	s_and_saveexec_b64 s[0:1], s[54:55]
; %bb.853:
	v_xor_b32_e32 v24, 0x80000000, v10
	v_xor_b32_e32 v25, 0x80000000, v11
	ds_write_b64 v20, v[24:25]
; %bb.854:
	s_or_b64 exec, exec, s[0:1]
	s_waitcnt lgkmcnt(0)
	s_barrier
	s_and_saveexec_b64 s[0:1], s[44:45]
	s_cbranch_execz .LBB147_856
; %bb.855:
	v_mov_b32_e32 v24, 0
	ds_read_b64 v[24:25], v24 offset:4672
	ds_read_b64 v[26:27], v20
	s_waitcnt lgkmcnt(0)
	v_mul_f32_e32 v28, v27, v25
	v_mul_f32_e32 v25, v26, v25
	v_fma_f32 v26, v26, v24, -v28
	v_fmac_f32_e32 v25, v27, v24
	v_sub_f32_e32 v10, v10, v26
	v_sub_f32_e32 v11, v11, v25
.LBB147_856:
	s_or_b64 exec, exec, s[0:1]
	s_barrier
	s_and_saveexec_b64 s[0:1], s[44:45]
; %bb.857:
	v_xor_b32_e32 v24, 0x80000000, v10
	v_xor_b32_e32 v25, 0x80000000, v11
	ds_write_b64 v20, v[24:25]
; %bb.858:
	s_or_b64 exec, exec, s[0:1]
	s_waitcnt lgkmcnt(0)
	s_barrier
	s_barrier
	s_and_saveexec_b64 s[0:1], s[18:19]
; %bb.859:
	v_lshlrev_b32_e32 v24, 3, v18
	v_lshl_or_b32 v24, v19, 9, v24
	ds_write_b64 v24, v[10:11] offset:6208
; %bb.860:
	s_or_b64 exec, exec, s[0:1]
	s_waitcnt lgkmcnt(0)
	s_barrier
	s_barrier
	s_and_saveexec_b64 s[0:1], s[56:57]
	s_cbranch_execz .LBB147_862
; %bb.861:
	v_lshlrev_b32_e32 v24, 9, v0
	ds_read_b64 v[10:11], v24 offset:6208
	s_movk_i32 s10, 0xfe08
	v_mad_i32_i24 v25, v0, s10, v24
	s_waitcnt lgkmcnt(0)
	ds_write_b64 v25, v[10:11] offset:4192
	ds_read_b64 v[10:11], v24 offset:6216
	s_waitcnt lgkmcnt(0)
	ds_write_b64 v25, v[10:11] offset:4704
	ds_read_b64 v[10:11], v24 offset:6224
	;; [unrolled: 3-line block ×3, first 2 shown]
	s_waitcnt lgkmcnt(0)
	ds_write_b64 v25, v[10:11] offset:5728
.LBB147_862:
	s_or_b64 exec, exec, s[0:1]
	s_waitcnt lgkmcnt(0)
	s_barrier
	s_and_saveexec_b64 s[0:1], vcc
	s_cbranch_execz .LBB147_864
; %bb.863:
	v_mov_b32_e32 v26, 0
	ds_read_b64 v[10:11], v26 offset:5712
	s_mov_b64 s[10:11], 0x3f800000
	v_mov_b32_e32 v25, s11
	v_mov_b32_e32 v24, s10
	s_movk_i32 s10, 0x1000
	ds_write_b64 v26, v[24:25] offset:5720
	v_add_u32_e64 v26, s10, 0
	s_waitcnt lgkmcnt(1)
	ds_write2_b64 v26, v[24:25], v[10:11] offset0:138 offset1:139
.LBB147_864:
	s_or_b64 exec, exec, s[0:1]
	v_mov_b32_e32 v10, 0
	v_mov_b32_e32 v11, 0
	s_waitcnt lgkmcnt(0)
	s_barrier
	buffer_wbinvl1_vol
	s_and_saveexec_b64 s[0:1], s[2:3]
	s_cbranch_execz .LBB147_868
; %bb.865:
	v_lshlrev_b32_e32 v10, 3, v12
	v_lshlrev_b32_e32 v24, 9, v13
	ds_read_b64 v[10:11], v10 offset:5184
	ds_read_b64 v[24:25], v24 offset:5200
	v_cmp_gt_u32_e64 s[10:11], 2, v15
	s_waitcnt lgkmcnt(0)
	v_mul_f32_e32 v26, v25, v11
	v_mul_f32_e32 v11, v24, v11
	v_fma_f32 v24, v24, v10, -v26
	v_fmac_f32_e32 v11, v25, v10
	v_add_f32_e32 v10, 0, v24
	v_add_f32_e32 v11, 0, v11
	s_and_saveexec_b64 s[12:13], s[10:11]
	s_cbranch_execz .LBB147_867
; %bb.866:
	v_lshlrev_b32_e32 v24, 3, v0
	v_mov_b32_e32 v26, 0
	ds_read_b64 v[24:25], v24 offset:5696
	ds_read_b64 v[26:27], v26 offset:5720
	s_waitcnt lgkmcnt(0)
	v_mul_f32_e32 v28, v27, v25
	v_mul_f32_e32 v25, v26, v25
	v_fma_f32 v26, v26, v24, -v28
	v_fmac_f32_e32 v25, v27, v24
	v_add_f32_e32 v10, v10, v26
	v_add_f32_e32 v11, v11, v25
.LBB147_867:
	s_or_b64 exec, exec, s[12:13]
.LBB147_868:
	s_or_b64 exec, exec, s[0:1]
	s_and_saveexec_b64 s[0:1], s[40:41]
; %bb.869:
	v_xor_b32_e32 v25, 0x80000000, v11
	v_xor_b32_e32 v24, 0x80000000, v10
	ds_write_b64 v14, v[24:25]
; %bb.870:
	s_or_b64 exec, exec, s[0:1]
	s_waitcnt lgkmcnt(0)
	s_barrier
	s_and_saveexec_b64 s[0:1], s[38:39]
	s_cbranch_execz .LBB147_872
; %bb.871:
	v_mov_b32_e32 v24, 0
	ds_read_b64 v[24:25], v24 offset:4672
	ds_read_b64 v[26:27], v14
	s_waitcnt lgkmcnt(0)
	v_mul_f32_e32 v28, v26, v24
	v_mul_f32_e32 v26, v26, v25
	v_fmac_f32_e32 v26, v27, v24
	v_fma_f32 v24, v27, v25, -v28
	v_add_f32_e32 v10, v10, v24
	v_sub_f32_e32 v11, v11, v26
.LBB147_872:
	s_or_b64 exec, exec, s[0:1]
	s_barrier
	s_and_saveexec_b64 s[0:1], s[38:39]
; %bb.873:
	v_xor_b32_e32 v25, 0x80000000, v11
	v_xor_b32_e32 v24, 0x80000000, v10
	ds_write_b64 v14, v[24:25]
; %bb.874:
	s_or_b64 exec, exec, s[0:1]
	s_waitcnt lgkmcnt(0)
	s_barrier
	s_barrier
	s_and_saveexec_b64 s[0:1], s[2:3]
; %bb.875:
	v_lshlrev_b32_e32 v24, 3, v12
	v_lshl_or_b32 v24, v13, 9, v24
	ds_write_b64 v24, v[10:11] offset:5184
; %bb.876:
	s_or_b64 exec, exec, s[0:1]
	s_waitcnt lgkmcnt(0)
	s_barrier
	s_barrier
	s_and_saveexec_b64 s[0:1], s[42:43]
	s_cbranch_execz .LBB147_878
; %bb.877:
	v_lshlrev_b32_e32 v24, 3, v0
	s_movk_i32 s10, 0x1f8
	v_mad_u32_u24 v25, v0, s10, v24
	ds_read_b64 v[10:11], v25 offset:5184
	s_waitcnt lgkmcnt(0)
	ds_write_b64 v24, v[10:11] offset:4176
	ds_read_b64 v[10:11], v25 offset:5192
	s_waitcnt lgkmcnt(0)
	ds_write_b64 v24, v[10:11] offset:4688
.LBB147_878:
	s_or_b64 exec, exec, s[0:1]
	s_waitcnt lgkmcnt(0)
	s_barrier
	s_and_saveexec_b64 s[0:1], vcc
	s_cbranch_execz .LBB147_880
; %bb.879:
	v_mov_b32_e32 v26, 0
	ds_read_b64 v[10:11], v26 offset:4672
	s_mov_b64 s[10:11], 0x3f800000
	v_mov_b32_e32 v25, s11
	v_mov_b32_e32 v24, s10
	s_movk_i32 s10, 0x1000
	ds_write_b64 v26, v[24:25] offset:4680
	v_add_u32_e64 v26, s10, 0
	s_waitcnt lgkmcnt(1)
	ds_write2_b64 v26, v[24:25], v[10:11] offset0:8 offset1:9
.LBB147_880:
	s_or_b64 exec, exec, s[0:1]
	v_mov_b32_e32 v11, 0
	v_mov_b32_e32 v10, 0
	s_waitcnt lgkmcnt(0)
	s_barrier
	buffer_wbinvl1_vol
	s_and_saveexec_b64 s[0:1], s[8:9]
	s_cbranch_execz .LBB147_890
; %bb.881:
	v_lshlrev_b32_e32 v24, 3, v21
	v_lshlrev_b32_e32 v25, 9, v22
	ds_read_b64 v[10:11], v24 offset:4096
	ds_read_b64 v[26:27], v25 offset:4160
	v_cmp_gt_u32_e64 s[10:11], 56, v15
	s_waitcnt lgkmcnt(0)
	v_mul_f32_e32 v28, v27, v11
	v_mul_f32_e32 v11, v26, v11
	v_fma_f32 v26, v26, v10, -v28
	v_fmac_f32_e32 v11, v27, v10
	v_add_f32_e32 v10, 0, v26
	v_add_f32_e32 v11, 0, v11
	s_and_saveexec_b64 s[12:13], s[10:11]
	s_cbranch_execnz .LBB147_1103
; %bb.882:
	s_or_b64 exec, exec, s[12:13]
	v_cmp_gt_u32_e64 s[10:11], 48, v15
	s_and_saveexec_b64 s[12:13], s[10:11]
	s_cbranch_execnz .LBB147_1104
.LBB147_883:
	s_or_b64 exec, exec, s[12:13]
	v_cmp_gt_u32_e64 s[10:11], 40, v15
	s_and_saveexec_b64 s[12:13], s[10:11]
	s_cbranch_execnz .LBB147_1105
.LBB147_884:
	s_or_b64 exec, exec, s[12:13]
	v_cmp_gt_u32_e64 s[10:11], 32, v15
	s_and_saveexec_b64 s[12:13], s[10:11]
	s_cbranch_execnz .LBB147_1106
.LBB147_885:
	s_or_b64 exec, exec, s[12:13]
	v_cmp_gt_u32_e64 s[10:11], 24, v15
	s_and_saveexec_b64 s[12:13], s[10:11]
	s_cbranch_execnz .LBB147_1107
.LBB147_886:
	s_or_b64 exec, exec, s[12:13]
	s_and_saveexec_b64 s[10:11], s[18:19]
	s_cbranch_execnz .LBB147_1108
.LBB147_887:
	s_or_b64 exec, exec, s[10:11]
	v_cmp_gt_u32_e64 s[10:11], 8, v15
	s_and_saveexec_b64 s[12:13], s[10:11]
	s_cbranch_execz .LBB147_889
.LBB147_888:
	v_lshlrev_b32_e32 v24, 3, v0
	v_mov_b32_e32 v26, 0
	ds_read_b64 v[24:25], v24 offset:7680
	ds_read_b64 v[26:27], v26 offset:7800
	s_waitcnt lgkmcnt(0)
	v_mul_f32_e32 v28, v27, v25
	v_mul_f32_e32 v25, v26, v25
	v_fma_f32 v26, v26, v24, -v28
	v_fmac_f32_e32 v25, v27, v24
	v_add_f32_e32 v10, v10, v26
	v_add_f32_e32 v11, v11, v25
.LBB147_889:
	s_or_b64 exec, exec, s[12:13]
.LBB147_890:
	s_or_b64 exec, exec, s[0:1]
	s_and_saveexec_b64 s[0:1], s[60:61]
; %bb.891:
	v_xor_b32_e32 v25, 0x80000000, v11
	v_xor_b32_e32 v24, 0x80000000, v10
	ds_write_b64 v23, v[24:25]
; %bb.892:
	s_or_b64 exec, exec, s[0:1]
	s_waitcnt lgkmcnt(0)
	s_barrier
	s_and_saveexec_b64 s[0:1], s[62:63]
	s_cbranch_execz .LBB147_894
; %bb.893:
	v_lshlrev_b32_e32 v24, 3, v21
	ds_read_b64 v[24:25], v24 offset:3584
	ds_read_b64 v[26:27], v23
	s_waitcnt lgkmcnt(0)
	v_mul_f32_e32 v28, v27, v25
	v_mul_f32_e32 v25, v26, v25
	v_fma_f32 v26, v26, v24, -v28
	v_fmac_f32_e32 v25, v27, v24
	v_sub_f32_e32 v10, v10, v26
	v_sub_f32_e32 v11, v11, v25
.LBB147_894:
	s_or_b64 exec, exec, s[0:1]
	s_barrier
	s_and_saveexec_b64 s[0:1], s[64:65]
; %bb.895:
	v_xor_b32_e32 v25, 0x80000000, v11
	v_xor_b32_e32 v24, 0x80000000, v10
	ds_write_b64 v23, v[24:25]
; %bb.896:
	s_or_b64 exec, exec, s[0:1]
	s_waitcnt lgkmcnt(0)
	s_barrier
	s_and_saveexec_b64 s[0:1], s[66:67]
	s_cbranch_execz .LBB147_898
; %bb.897:
	v_lshlrev_b32_e32 v24, 3, v21
	ds_read_b64 v[24:25], v24 offset:3072
	ds_read_b64 v[26:27], v23
	s_waitcnt lgkmcnt(0)
	v_mul_f32_e32 v28, v27, v25
	v_mul_f32_e32 v25, v26, v25
	v_fma_f32 v26, v26, v24, -v28
	v_fmac_f32_e32 v25, v27, v24
	v_sub_f32_e32 v10, v10, v26
	v_sub_f32_e32 v11, v11, v25
.LBB147_898:
	s_or_b64 exec, exec, s[0:1]
	s_barrier
	;; [unrolled: 25-line block ×6, first 2 shown]
	s_and_saveexec_b64 s[0:1], s[84:85]
; %bb.915:
	v_xor_b32_e32 v25, 0x80000000, v11
	v_xor_b32_e32 v24, 0x80000000, v10
	ds_write_b64 v23, v[24:25]
; %bb.916:
	s_or_b64 exec, exec, s[0:1]
	s_waitcnt lgkmcnt(0)
	s_barrier
	s_and_saveexec_b64 s[0:1], s[58:59]
	s_cbranch_execz .LBB147_918
; %bb.917:
	v_mov_b32_e32 v24, 0
	ds_read_b64 v[24:25], v24 offset:512
	ds_read_b64 v[26:27], v23
	s_waitcnt lgkmcnt(0)
	v_mul_f32_e32 v28, v27, v25
	v_mul_f32_e32 v25, v26, v25
	v_fma_f32 v26, v26, v24, -v28
	v_fmac_f32_e32 v25, v27, v24
	v_sub_f32_e32 v10, v10, v26
	v_sub_f32_e32 v11, v11, v25
.LBB147_918:
	s_or_b64 exec, exec, s[0:1]
	s_barrier
	s_and_saveexec_b64 s[0:1], s[58:59]
; %bb.919:
	v_xor_b32_e32 v25, 0x80000000, v11
	v_xor_b32_e32 v24, 0x80000000, v10
	ds_write_b64 v23, v[24:25]
; %bb.920:
	s_or_b64 exec, exec, s[0:1]
	s_waitcnt lgkmcnt(0)
	s_barrier
	s_barrier
	s_and_saveexec_b64 s[0:1], s[8:9]
; %bb.921:
	v_lshlrev_b32_e32 v21, 3, v21
	v_lshl_or_b32 v21, v22, 9, v21
	ds_write_b64 v21, v[10:11] offset:4096
; %bb.922:
	s_or_b64 exec, exec, s[0:1]
	s_waitcnt lgkmcnt(0)
	s_barrier
	s_barrier
	s_and_saveexec_b64 s[0:1], s[86:87]
	s_cbranch_execz .LBB147_924
; %bb.923:
	v_lshlrev_b32_e32 v21, 9, v0
	ds_read_b64 v[10:11], v21 offset:4096
	s_movk_i32 s8, 0xfe08
	v_mad_i32_i24 v22, v0, s8, v21
	s_waitcnt lgkmcnt(0)
	ds_write_b64 v22, v[10:11] offset:64
	ds_read_b64 v[10:11], v21 offset:4104
	s_waitcnt lgkmcnt(0)
	ds_write_b64 v22, v[10:11] offset:576
	ds_read_b64 v[10:11], v21 offset:4112
	;; [unrolled: 3-line block ×7, first 2 shown]
	s_waitcnt lgkmcnt(0)
	ds_write_b64 v22, v[10:11] offset:3648
.LBB147_924:
	s_or_b64 exec, exec, s[0:1]
	s_waitcnt lgkmcnt(0)
	s_barrier
	s_and_saveexec_b64 s[0:1], vcc
	s_cbranch_execz .LBB147_926
; %bb.925:
	v_mov_b32_e32 v23, 0
	ds_read_b64 v[10:11], v23 offset:3632
	s_mov_b64 s[8:9], 0x3f800000
	v_mov_b32_e32 v22, s9
	v_mov_b32_e32 v21, s8
	s_movk_i32 s8, 0x800
	ds_write_b64 v23, v[21:22] offset:3640
	v_add_u32_e64 v23, s8, 0
	s_waitcnt lgkmcnt(1)
	ds_write2_b64 v23, v[21:22], v[10:11] offset0:134 offset1:135
.LBB147_926:
	s_or_b64 exec, exec, s[0:1]
	v_mov_b32_e32 v10, 0
	v_mov_b32_e32 v11, 0
	s_waitcnt lgkmcnt(0)
	s_barrier
	buffer_wbinvl1_vol
	s_and_saveexec_b64 s[0:1], s[2:3]
	s_cbranch_execz .LBB147_930
; %bb.927:
	v_lshlrev_b32_e32 v10, 3, v12
	v_lshlrev_b32_e32 v21, 9, v13
	ds_read_b64 v[10:11], v10 offset:3104
	ds_read_b64 v[21:22], v21 offset:3120
	v_cmp_gt_u32_e64 s[8:9], 2, v15
	s_waitcnt lgkmcnt(0)
	v_mul_f32_e32 v23, v22, v11
	v_mul_f32_e32 v11, v21, v11
	v_fma_f32 v21, v21, v10, -v23
	v_fmac_f32_e32 v11, v22, v10
	v_add_f32_e32 v10, 0, v21
	v_add_f32_e32 v11, 0, v11
	s_and_saveexec_b64 s[10:11], s[8:9]
	s_cbranch_execz .LBB147_929
; %bb.928:
	v_lshlrev_b32_e32 v21, 3, v0
	v_mov_b32_e32 v23, 0
	ds_read_b64 v[21:22], v21 offset:3616
	ds_read_b64 v[23:24], v23 offset:3640
	s_waitcnt lgkmcnt(0)
	v_mul_f32_e32 v25, v24, v22
	v_mul_f32_e32 v22, v23, v22
	v_fma_f32 v23, v23, v21, -v25
	v_fmac_f32_e32 v22, v24, v21
	v_add_f32_e32 v10, v10, v23
	v_add_f32_e32 v11, v11, v22
.LBB147_929:
	s_or_b64 exec, exec, s[10:11]
.LBB147_930:
	s_or_b64 exec, exec, s[0:1]
	s_and_saveexec_b64 s[0:1], s[40:41]
; %bb.931:
	v_xor_b32_e32 v22, 0x80000000, v11
	v_xor_b32_e32 v21, 0x80000000, v10
	ds_write_b64 v14, v[21:22]
; %bb.932:
	s_or_b64 exec, exec, s[0:1]
	s_waitcnt lgkmcnt(0)
	s_barrier
	s_and_saveexec_b64 s[0:1], s[38:39]
	s_cbranch_execz .LBB147_934
; %bb.933:
	v_mov_b32_e32 v21, 0
	ds_read_b64 v[21:22], v21 offset:2592
	ds_read_b64 v[23:24], v14
	s_waitcnt lgkmcnt(0)
	v_mul_f32_e32 v25, v23, v21
	v_mul_f32_e32 v23, v23, v22
	v_fmac_f32_e32 v23, v24, v21
	v_fma_f32 v21, v24, v22, -v25
	v_add_f32_e32 v10, v10, v21
	v_sub_f32_e32 v11, v11, v23
.LBB147_934:
	s_or_b64 exec, exec, s[0:1]
	s_barrier
	s_and_saveexec_b64 s[0:1], s[38:39]
; %bb.935:
	v_xor_b32_e32 v22, 0x80000000, v11
	v_xor_b32_e32 v21, 0x80000000, v10
	ds_write_b64 v14, v[21:22]
; %bb.936:
	s_or_b64 exec, exec, s[0:1]
	s_waitcnt lgkmcnt(0)
	s_barrier
	s_barrier
	s_and_saveexec_b64 s[0:1], s[2:3]
; %bb.937:
	v_lshlrev_b32_e32 v21, 3, v12
	v_lshl_or_b32 v21, v13, 9, v21
	ds_write_b64 v21, v[10:11] offset:3104
; %bb.938:
	s_or_b64 exec, exec, s[0:1]
	s_waitcnt lgkmcnt(0)
	s_barrier
	s_barrier
	s_and_saveexec_b64 s[0:1], s[42:43]
	s_cbranch_execz .LBB147_940
; %bb.939:
	v_lshlrev_b32_e32 v21, 3, v0
	s_movk_i32 s8, 0x1f8
	v_mad_u32_u24 v22, v0, s8, v21
	ds_read_b64 v[10:11], v22 offset:3104
	s_waitcnt lgkmcnt(0)
	ds_write_b64 v21, v[10:11] offset:2096
	ds_read_b64 v[10:11], v22 offset:3112
	s_waitcnt lgkmcnt(0)
	ds_write_b64 v21, v[10:11] offset:2608
.LBB147_940:
	s_or_b64 exec, exec, s[0:1]
	s_waitcnt lgkmcnt(0)
	s_barrier
	s_and_saveexec_b64 s[0:1], vcc
	s_cbranch_execz .LBB147_942
; %bb.941:
	v_mov_b32_e32 v23, 0
	ds_read_b64 v[10:11], v23 offset:2592
	s_mov_b64 s[8:9], 0x3f800000
	v_mov_b32_e32 v22, s9
	v_mov_b32_e32 v21, s8
	s_movk_i32 s8, 0x800
	ds_write_b64 v23, v[21:22] offset:2600
	v_add_u32_e64 v23, s8, 0
	s_waitcnt lgkmcnt(1)
	ds_write2_b64 v23, v[21:22], v[10:11] offset0:4 offset1:5
.LBB147_942:
	s_or_b64 exec, exec, s[0:1]
	v_mov_b32_e32 v11, 0
	v_mov_b32_e32 v10, 0
	s_waitcnt lgkmcnt(0)
	s_barrier
	buffer_wbinvl1_vol
	s_and_saveexec_b64 s[0:1], s[18:19]
	s_cbranch_execz .LBB147_948
; %bb.943:
	v_lshlrev_b32_e32 v21, 3, v18
	v_lshlrev_b32_e32 v22, 9, v19
	ds_read_b64 v[10:11], v21 offset:2048
	ds_read_b64 v[23:24], v22 offset:2080
	v_cmp_gt_u32_e64 s[8:9], 12, v15
	s_waitcnt lgkmcnt(0)
	v_mul_f32_e32 v25, v24, v11
	v_mul_f32_e32 v11, v23, v11
	v_fma_f32 v23, v23, v10, -v25
	v_fmac_f32_e32 v11, v24, v10
	v_add_f32_e32 v10, 0, v23
	v_add_f32_e32 v11, 0, v11
	s_and_saveexec_b64 s[10:11], s[8:9]
	s_cbranch_execnz .LBB147_1109
; %bb.944:
	s_or_b64 exec, exec, s[10:11]
	v_cmp_gt_u32_e64 s[8:9], 8, v15
	s_and_saveexec_b64 s[10:11], s[8:9]
	s_cbranch_execnz .LBB147_1110
.LBB147_945:
	s_or_b64 exec, exec, s[10:11]
	v_cmp_gt_u32_e64 s[8:9], 4, v15
	s_and_saveexec_b64 s[10:11], s[8:9]
	s_cbranch_execz .LBB147_947
.LBB147_946:
	v_lshlrev_b32_e32 v21, 3, v0
	v_mov_b32_e32 v23, 0
	ds_read_b64 v[21:22], v21 offset:3584
	ds_read_b64 v[23:24], v23 offset:3640
	s_waitcnt lgkmcnt(0)
	v_mul_f32_e32 v25, v24, v22
	v_mul_f32_e32 v22, v23, v22
	v_fma_f32 v23, v23, v21, -v25
	v_fmac_f32_e32 v22, v24, v21
	v_add_f32_e32 v10, v10, v23
	v_add_f32_e32 v11, v11, v22
.LBB147_947:
	s_or_b64 exec, exec, s[10:11]
.LBB147_948:
	s_or_b64 exec, exec, s[0:1]
	s_and_saveexec_b64 s[0:1], s[46:47]
; %bb.949:
	v_xor_b32_e32 v21, 0x80000000, v10
	v_xor_b32_e32 v22, 0x80000000, v11
	ds_write_b64 v20, v[21:22]
; %bb.950:
	s_or_b64 exec, exec, s[0:1]
	s_waitcnt lgkmcnt(0)
	s_barrier
	s_and_saveexec_b64 s[0:1], s[48:49]
	s_load_dword s16, s[4:5], 0x6c
	v_readlane_b32 s46, v37, 0
	v_readlane_b32 s47, v37, 1
	s_cbranch_execz .LBB147_952
; %bb.951:
	v_lshlrev_b32_e32 v21, 3, v18
	ds_read_b64 v[21:22], v21 offset:1536
	ds_read_b64 v[23:24], v20
	s_waitcnt lgkmcnt(0)
	v_mul_f32_e32 v25, v24, v22
	v_mul_f32_e32 v22, v23, v22
	v_fma_f32 v23, v23, v21, -v25
	v_fmac_f32_e32 v22, v24, v21
	v_sub_f32_e32 v10, v10, v23
	v_sub_f32_e32 v11, v11, v22
.LBB147_952:
	s_or_b64 exec, exec, s[0:1]
	s_waitcnt lgkmcnt(0)
	s_barrier
	s_and_saveexec_b64 s[0:1], s[50:51]
; %bb.953:
	v_xor_b32_e32 v21, 0x80000000, v10
	v_xor_b32_e32 v22, 0x80000000, v11
	ds_write_b64 v20, v[21:22]
; %bb.954:
	s_or_b64 exec, exec, s[0:1]
	s_waitcnt lgkmcnt(0)
	s_barrier
	s_and_saveexec_b64 s[0:1], s[52:53]
	s_cbranch_execz .LBB147_956
; %bb.955:
	v_lshlrev_b32_e32 v21, 3, v18
	ds_read_b64 v[21:22], v21 offset:1024
	ds_read_b64 v[23:24], v20
	s_waitcnt lgkmcnt(0)
	v_mul_f32_e32 v25, v24, v22
	v_mul_f32_e32 v22, v23, v22
	v_fma_f32 v23, v23, v21, -v25
	v_fmac_f32_e32 v22, v24, v21
	v_sub_f32_e32 v10, v10, v23
	v_sub_f32_e32 v11, v11, v22
.LBB147_956:
	s_or_b64 exec, exec, s[0:1]
	s_barrier
	s_and_saveexec_b64 s[0:1], s[54:55]
; %bb.957:
	v_xor_b32_e32 v21, 0x80000000, v10
	v_xor_b32_e32 v22, 0x80000000, v11
	ds_write_b64 v20, v[21:22]
; %bb.958:
	s_or_b64 exec, exec, s[0:1]
	s_waitcnt lgkmcnt(0)
	s_barrier
	s_and_saveexec_b64 s[0:1], s[44:45]
	s_cbranch_execz .LBB147_960
; %bb.959:
	v_mov_b32_e32 v21, 0
	ds_read_b64 v[21:22], v21 offset:512
	ds_read_b64 v[23:24], v20
	s_waitcnt lgkmcnt(0)
	v_mul_f32_e32 v25, v24, v22
	v_mul_f32_e32 v22, v23, v22
	v_fma_f32 v23, v23, v21, -v25
	v_fmac_f32_e32 v22, v24, v21
	v_sub_f32_e32 v10, v10, v23
	v_sub_f32_e32 v11, v11, v22
.LBB147_960:
	s_or_b64 exec, exec, s[0:1]
	s_barrier
	s_and_saveexec_b64 s[0:1], s[44:45]
; %bb.961:
	v_xor_b32_e32 v21, 0x80000000, v10
	v_xor_b32_e32 v22, 0x80000000, v11
	ds_write_b64 v20, v[21:22]
; %bb.962:
	s_or_b64 exec, exec, s[0:1]
	s_waitcnt lgkmcnt(0)
	s_barrier
	s_barrier
	s_and_saveexec_b64 s[0:1], s[18:19]
; %bb.963:
	v_lshlrev_b32_e32 v18, 3, v18
	v_lshl_or_b32 v18, v19, 9, v18
	ds_write_b64 v18, v[10:11] offset:2048
; %bb.964:
	s_or_b64 exec, exec, s[0:1]
	s_waitcnt lgkmcnt(0)
	s_barrier
	s_barrier
	s_and_saveexec_b64 s[0:1], s[56:57]
	s_cbranch_execz .LBB147_966
; %bb.965:
	v_lshlrev_b32_e32 v18, 9, v0
	ds_read_b64 v[10:11], v18 offset:2048
	s_movk_i32 s8, 0xfe08
	v_mad_i32_i24 v19, v0, s8, v18
	s_waitcnt lgkmcnt(0)
	ds_write_b64 v19, v[10:11] offset:32
	ds_read_b64 v[10:11], v18 offset:2056
	s_waitcnt lgkmcnt(0)
	ds_write_b64 v19, v[10:11] offset:544
	ds_read_b64 v[10:11], v18 offset:2064
	;; [unrolled: 3-line block ×3, first 2 shown]
	s_waitcnt lgkmcnt(0)
	ds_write_b64 v19, v[10:11] offset:1568
.LBB147_966:
	s_or_b64 exec, exec, s[0:1]
	s_waitcnt lgkmcnt(0)
	s_barrier
	s_and_saveexec_b64 s[0:1], vcc
	s_cbranch_execz .LBB147_968
; %bb.967:
	v_mov_b32_e32 v20, 0
	ds_read_b64 v[10:11], v20 offset:1552
	s_mov_b64 s[8:9], 0x3f800000
	v_mov_b32_e32 v19, s9
	v_mov_b32_e32 v18, s8
	ds_write_b64 v20, v[18:19] offset:1560
	s_waitcnt lgkmcnt(1)
	ds_write2_b64 v20, v[18:19], v[10:11] offset0:130 offset1:131
.LBB147_968:
	s_or_b64 exec, exec, s[0:1]
	v_mov_b32_e32 v10, 0
	v_mov_b32_e32 v11, 0
	s_waitcnt lgkmcnt(0)
	s_barrier
	buffer_wbinvl1_vol
	s_and_saveexec_b64 s[0:1], s[2:3]
	s_cbranch_execz .LBB147_972
; %bb.969:
	v_lshlrev_b32_e32 v10, 3, v12
	v_lshlrev_b32_e32 v18, 9, v13
	ds_read_b64 v[10:11], v10 offset:1024
	ds_read_b64 v[18:19], v18 offset:1040
	v_cmp_gt_u32_e64 s[8:9], 2, v15
	s_waitcnt lgkmcnt(0)
	v_mul_f32_e32 v20, v19, v11
	v_mul_f32_e32 v11, v18, v11
	v_fma_f32 v18, v18, v10, -v20
	v_fmac_f32_e32 v11, v19, v10
	v_add_f32_e32 v10, 0, v18
	v_add_f32_e32 v11, 0, v11
	s_and_saveexec_b64 s[10:11], s[8:9]
	s_cbranch_execz .LBB147_971
; %bb.970:
	v_lshlrev_b32_e32 v15, 3, v0
	v_mov_b32_e32 v20, 0
	ds_read_b64 v[18:19], v15 offset:1536
	ds_read_b64 v[20:21], v20 offset:1560
	s_waitcnt lgkmcnt(0)
	v_mul_f32_e32 v15, v21, v19
	v_mul_f32_e32 v19, v20, v19
	v_fma_f32 v15, v20, v18, -v15
	v_fmac_f32_e32 v19, v21, v18
	v_add_f32_e32 v10, v10, v15
	v_add_f32_e32 v11, v11, v19
.LBB147_971:
	s_or_b64 exec, exec, s[10:11]
.LBB147_972:
	s_or_b64 exec, exec, s[0:1]
	s_and_saveexec_b64 s[0:1], s[40:41]
; %bb.973:
	v_xor_b32_e32 v19, 0x80000000, v11
	v_xor_b32_e32 v18, 0x80000000, v10
	ds_write_b64 v14, v[18:19]
; %bb.974:
	s_or_b64 exec, exec, s[0:1]
	s_waitcnt lgkmcnt(0)
	s_barrier
	s_and_saveexec_b64 s[0:1], s[38:39]
	s_cbranch_execz .LBB147_976
; %bb.975:
	v_mov_b32_e32 v15, 0
	ds_read_b64 v[18:19], v15 offset:512
	ds_read_b64 v[20:21], v14
	s_waitcnt lgkmcnt(0)
	v_mul_f32_e32 v15, v20, v18
	v_mul_f32_e32 v20, v20, v19
	v_fmac_f32_e32 v20, v21, v18
	v_fma_f32 v15, v21, v19, -v15
	v_add_f32_e32 v10, v10, v15
	v_sub_f32_e32 v11, v11, v20
.LBB147_976:
	s_or_b64 exec, exec, s[0:1]
	s_barrier
	s_and_saveexec_b64 s[0:1], s[38:39]
; %bb.977:
	v_xor_b32_e32 v19, 0x80000000, v11
	v_xor_b32_e32 v18, 0x80000000, v10
	ds_write_b64 v14, v[18:19]
; %bb.978:
	s_or_b64 exec, exec, s[0:1]
	s_waitcnt lgkmcnt(0)
	s_barrier
	s_barrier
	s_and_saveexec_b64 s[0:1], s[2:3]
; %bb.979:
	v_lshlrev_b32_e32 v12, 3, v12
	v_lshl_or_b32 v12, v13, 9, v12
	ds_write_b64 v12, v[10:11] offset:1024
; %bb.980:
	s_or_b64 exec, exec, s[0:1]
	s_waitcnt lgkmcnt(0)
	s_barrier
	s_barrier
	s_and_saveexec_b64 s[0:1], s[42:43]
	s_cbranch_execz .LBB147_982
; %bb.981:
	v_lshlrev_b32_e32 v12, 3, v0
	s_movk_i32 s2, 0x1f8
	v_mad_u32_u24 v13, v0, s2, v12
	ds_read_b64 v[10:11], v13 offset:1024
	s_waitcnt lgkmcnt(0)
	ds_write_b64 v12, v[10:11] offset:16
	ds_read_b64 v[10:11], v13 offset:1032
	s_waitcnt lgkmcnt(0)
	ds_write_b64 v12, v[10:11] offset:528
.LBB147_982:
	s_or_b64 exec, exec, s[0:1]
	s_waitcnt lgkmcnt(0)
	s_barrier
	s_and_saveexec_b64 s[0:1], vcc
	s_cbranch_execz .LBB147_984
; %bb.983:
	v_mov_b32_e32 v14, 0
	ds_read_b64 v[10:11], v14 offset:512
	s_mov_b64 s[2:3], 0x3f800000
	v_mov_b32_e32 v13, s3
	v_mov_b32_e32 v12, s2
	ds_write_b64 v14, v[12:13] offset:520
	s_waitcnt lgkmcnt(1)
	ds_write2_b64 v14, v[12:13], v[10:11] offset1:1
.LBB147_984:
	s_or_b64 exec, exec, s[0:1]
.LBB147_985:
	s_lshl_b64 s[0:1], s[24:25], 3
	s_add_u32 s20, s36, s0
	v_cmp_le_i32_e32 vcc, s7, v0
	s_addc_u32 s21, s37, s1
	s_and_b64 s[14:15], vcc, s[22:23]
	v_cmp_eq_u32_e64 s[2:3], 0, v1
	s_xor_b64 s[0:1], s[14:15], -1
	v_mov_b32_e32 v10, 0
	s_and_b64 s[8:9], s[2:3], s[0:1]
	v_lshl_add_u32 v12, s6, 6, v0
	v_mov_b32_e32 v11, v10
	s_waitcnt lgkmcnt(0)
	s_barrier
	s_and_saveexec_b64 s[0:1], s[8:9]
	s_cbranch_execz .LBB147_987
; %bb.986:
	v_ashrrev_i32_e32 v13, 31, v12
	v_mul_lo_u32 v14, s27, v12
	v_mad_u64_u32 v[10:11], s[8:9], s26, v12, 0
	v_mul_lo_u32 v13, s26, v13
	v_add3_u32 v11, v11, v13, v14
	v_lshlrev_b64 v[10:11], 3, v[10:11]
	v_mov_b32_e32 v13, s21
	v_add_co_u32_e32 v10, vcc, s20, v10
	v_addc_co_u32_e32 v11, vcc, v13, v11, vcc
	flat_load_dwordx2 v[13:14], v[10:11]
	s_waitcnt vmcnt(0) lgkmcnt(0)
	v_mul_f32_e32 v10, s34, v13
	v_mul_f32_e32 v11, s34, v14
	v_fma_f32 v10, s35, v14, -v10
	v_fma_f32 v11, v13, -s35, -v11
.LBB147_987:
	s_or_b64 exec, exec, s[0:1]
	s_load_dwordx2 s[0:1], s[4:5], 0x50
	s_and_b32 s4, 0xffff, s16
	v_mad_u32_u24 v18, v1, s4, v0
	s_cmp_lt_i32 s6, 1
	v_cmp_eq_u32_e64 s[4:5], 0, v18
	s_cbranch_scc1 .LBB147_1022
; %bb.988:
	v_mad_u64_u32 v[13:14], s[8:9], s30, v12, 0
	s_mov_b32 s24, 0
	v_cmp_gt_u32_e64 s[12:13], 64, v18
	v_mad_u64_u32 v[14:15], s[8:9], s31, v12, v[14:15]
	s_lshl_b64 s[8:9], s[28:29], 2
	s_waitcnt lgkmcnt(0)
	s_add_u32 s16, s0, s8
	s_addc_u32 s17, s1, s9
	v_cmp_gt_i32_e64 s[8:9], s33, v12
	v_lshlrev_b64 v[12:13], 3, v[13:14]
	v_mov_b32_e32 v15, 0xa000
	v_mov_b32_e32 v14, s91
	v_add_co_u32_e32 v21, vcc, s90, v12
	v_lshl_add_u32 v19, v18, 3, v15
	v_lshl_or_b32 v20, v1, 3, v15
	s_add_i32 s25, s6, -1
	v_addc_co_u32_e32 v22, vcc, v14, v13, vcc
	v_mov_b32_e32 v23, -1
	v_mov_b32_e32 v13, 0
	s_branch .LBB147_991
.LBB147_989:                            ;   in Loop: Header=BB147_991 Depth=1
	ds_read_b64 v[14:15], v20 offset:384
	s_waitcnt vmcnt(0) lgkmcnt(0)
	v_mul_f32_e32 v25, v24, v15
	v_mul_f32_e32 v24, v24, v14
	v_fmac_f32_e32 v25, v12, v14
	v_fma_f32 v12, v12, v15, -v24
	v_add_f32_e32 v10, v10, v25
	v_add_f32_e32 v11, v11, v12
.LBB147_990:                            ;   in Loop: Header=BB147_991 Depth=1
	s_or_b64 exec, exec, s[18:19]
	s_add_i32 s24, s24, 1
	s_cmp_eq_u32 s24, s6
	s_cbranch_scc1 .LBB147_1022
.LBB147_991:                            ; =>This Loop Header: Depth=1
                                        ;     Child Loop BB147_993 Depth 2
	v_cmp_gt_i32_e32 vcc, s24, v23
	s_and_b64 s[18:19], s[4:5], vcc
	s_and_saveexec_b64 s[10:11], s[18:19]
	s_cbranch_execz .LBB147_994
; %bb.992:                              ;   in Loop: Header=BB147_991 Depth=1
	global_load_dword v23, v13, s[16:17]
	s_waitcnt vmcnt(0)
	v_cmp_le_i32_e32 vcc, s24, v23
	s_cbranch_vccnz .LBB147_994
.LBB147_993:                            ;   Parent Loop BB147_991 Depth=1
                                        ; =>  This Inner Loop Header: Depth=2
	buffer_wbinvl1_vol
	global_load_dword v23, v13, s[16:17]
	s_waitcnt vmcnt(0)
	v_cmp_gt_i32_e32 vcc, s24, v23
	s_cbranch_vccnz .LBB147_993
.LBB147_994:                            ;   in Loop: Header=BB147_991 Depth=1
	s_or_b64 exec, exec, s[10:11]
	s_lshl_b32 s30, s24, 6
	buffer_wbinvl1_vol
	s_barrier
	s_and_saveexec_b64 s[10:11], s[12:13]
	s_cbranch_execz .LBB147_999
; %bb.995:                              ;   in Loop: Header=BB147_991 Depth=1
	v_or_b32_e32 v12, s30, v18
	v_cmp_le_i32_e32 vcc, s33, v12
	s_and_saveexec_b64 s[18:19], vcc
	s_xor_b64 s[18:19], exec, s[18:19]
; %bb.996:                              ;   in Loop: Header=BB147_991 Depth=1
	v_mov_b32_e32 v12, v13
	ds_write_b64 v19, v[12:13]
                                        ; implicit-def: $vgpr12
; %bb.997:                              ;   in Loop: Header=BB147_991 Depth=1
	s_andn2_saveexec_b64 s[18:19], s[18:19]
	s_cbranch_execz .LBB147_999
; %bb.998:                              ;   in Loop: Header=BB147_991 Depth=1
	v_mad_u64_u32 v[14:15], s[18:19], s26, v12, 0
	v_mad_u64_u32 v[24:25], s[18:19], s27, v12, v[15:16]
	v_mov_b32_e32 v12, s21
	v_mov_b32_e32 v15, v24
	v_lshlrev_b64 v[14:15], 3, v[14:15]
	v_add_co_u32_e32 v14, vcc, s20, v14
	v_addc_co_u32_e32 v15, vcc, v12, v15, vcc
	flat_load_dwordx2 v[14:15], v[14:15]
	s_waitcnt vmcnt(0) lgkmcnt(0)
	ds_write_b64 v19, v[14:15]
.LBB147_999:                            ;   in Loop: Header=BB147_991 Depth=1
	s_or_b64 exec, exec, s[10:11]
	v_add_u32_e32 v12, s30, v1
	v_lshlrev_b64 v[14:15], 3, v[12:13]
	s_cmp_lg_u32 s24, s25
	v_add_co_u32_e32 v14, vcc, v21, v14
	s_cselect_b64 s[10:11], -1, 0
	v_addc_co_u32_e32 v15, vcc, v22, v15, vcc
	v_cmp_gt_i32_e32 vcc, s33, v12
	v_cndmask_b32_e64 v24, 0, 1, s[10:11]
	s_and_b64 s[30:31], vcc, s[8:9]
	v_cmp_ne_u32_e64 s[10:11], 1, v24
	s_waitcnt lgkmcnt(0)
	s_barrier
	s_and_saveexec_b64 s[18:19], s[30:31]
	s_cbranch_execz .LBB147_1005
; %bb.1000:                             ;   in Loop: Header=BB147_991 Depth=1
	s_and_b64 vcc, exec, s[10:11]
	v_mov_b32_e32 v24, v4
	s_cbranch_vccnz .LBB147_1002
; %bb.1001:                             ;   in Loop: Header=BB147_991 Depth=1
	flat_load_dword v24, v[14:15]
.LBB147_1002:                           ;   in Loop: Header=BB147_991 Depth=1
	s_and_b64 vcc, exec, s[10:11]
	v_mov_b32_e32 v25, v5
	s_cbranch_vccnz .LBB147_1004
; %bb.1003:                             ;   in Loop: Header=BB147_991 Depth=1
	flat_load_dword v25, v[14:15] offset:4
.LBB147_1004:                           ;   in Loop: Header=BB147_991 Depth=1
	ds_read_b64 v[26:27], v20
	s_waitcnt vmcnt(0) lgkmcnt(0)
	v_mul_f32_e32 v28, v25, v27
	v_mul_f32_e32 v25, v25, v26
	v_fmac_f32_e32 v28, v24, v26
	v_fma_f32 v24, v24, v27, -v25
	v_add_f32_e32 v10, v10, v28
	v_add_f32_e32 v11, v11, v24
.LBB147_1005:                           ;   in Loop: Header=BB147_991 Depth=1
	s_or_b64 exec, exec, s[18:19]
	v_add_u32_e32 v24, 16, v12
	v_cmp_gt_i32_e32 vcc, s33, v24
	s_and_b64 s[30:31], vcc, s[8:9]
	s_and_saveexec_b64 s[18:19], s[30:31]
	s_cbranch_execz .LBB147_1011
; %bb.1006:                             ;   in Loop: Header=BB147_991 Depth=1
	s_and_b64 vcc, exec, s[10:11]
	v_mov_b32_e32 v24, v2
	s_cbranch_vccnz .LBB147_1008
; %bb.1007:                             ;   in Loop: Header=BB147_991 Depth=1
	flat_load_dword v24, v[14:15] offset:128
.LBB147_1008:                           ;   in Loop: Header=BB147_991 Depth=1
	s_and_b64 vcc, exec, s[10:11]
	v_mov_b32_e32 v25, v3
	s_cbranch_vccnz .LBB147_1010
; %bb.1009:                             ;   in Loop: Header=BB147_991 Depth=1
	flat_load_dword v25, v[14:15] offset:132
.LBB147_1010:                           ;   in Loop: Header=BB147_991 Depth=1
	ds_read_b64 v[26:27], v20 offset:128
	s_waitcnt vmcnt(0) lgkmcnt(0)
	v_mul_f32_e32 v28, v25, v27
	v_mul_f32_e32 v25, v25, v26
	v_fmac_f32_e32 v28, v24, v26
	v_fma_f32 v24, v24, v27, -v25
	v_add_f32_e32 v10, v10, v28
	v_add_f32_e32 v11, v11, v24
.LBB147_1011:                           ;   in Loop: Header=BB147_991 Depth=1
	s_or_b64 exec, exec, s[18:19]
	v_add_u32_e32 v24, 32, v12
	v_cmp_gt_i32_e32 vcc, s33, v24
	s_and_b64 s[30:31], vcc, s[8:9]
	s_and_saveexec_b64 s[18:19], s[30:31]
	s_cbranch_execz .LBB147_1017
; %bb.1012:                             ;   in Loop: Header=BB147_991 Depth=1
	s_and_b64 vcc, exec, s[10:11]
	v_mov_b32_e32 v24, v8
	s_cbranch_vccnz .LBB147_1014
; %bb.1013:                             ;   in Loop: Header=BB147_991 Depth=1
	flat_load_dword v24, v[14:15] offset:256
.LBB147_1014:                           ;   in Loop: Header=BB147_991 Depth=1
	s_and_b64 vcc, exec, s[10:11]
	v_mov_b32_e32 v25, v9
	s_cbranch_vccnz .LBB147_1016
; %bb.1015:                             ;   in Loop: Header=BB147_991 Depth=1
	flat_load_dword v25, v[14:15] offset:260
.LBB147_1016:                           ;   in Loop: Header=BB147_991 Depth=1
	ds_read_b64 v[26:27], v20 offset:256
	s_waitcnt vmcnt(0) lgkmcnt(0)
	v_mul_f32_e32 v28, v25, v27
	v_mul_f32_e32 v25, v25, v26
	v_fmac_f32_e32 v28, v24, v26
	v_fma_f32 v24, v24, v27, -v25
	v_add_f32_e32 v10, v10, v28
	v_add_f32_e32 v11, v11, v24
.LBB147_1017:                           ;   in Loop: Header=BB147_991 Depth=1
	s_or_b64 exec, exec, s[18:19]
	v_add_u32_e32 v12, 48, v12
	v_cmp_gt_i32_e32 vcc, s33, v12
	s_and_b64 s[30:31], vcc, s[8:9]
	s_and_saveexec_b64 s[18:19], s[30:31]
	s_cbranch_execz .LBB147_990
; %bb.1018:                             ;   in Loop: Header=BB147_991 Depth=1
	s_and_b64 vcc, exec, s[10:11]
	v_mov_b32_e32 v12, v6
	s_cbranch_vccnz .LBB147_1020
; %bb.1019:                             ;   in Loop: Header=BB147_991 Depth=1
	flat_load_dword v12, v[14:15] offset:384
.LBB147_1020:                           ;   in Loop: Header=BB147_991 Depth=1
	s_and_b64 vcc, exec, s[10:11]
	v_mov_b32_e32 v24, v7
	s_cbranch_vccnz .LBB147_989
; %bb.1021:                             ;   in Loop: Header=BB147_991 Depth=1
	flat_load_dword v24, v[14:15] offset:388
	s_branch .LBB147_989
.LBB147_1022:
	s_xor_b64 s[4:5], s[22:23], -1
	v_lshlrev_b32_e32 v4, 3, v17
	ds_write_b64 v4, v[10:11] offset:32768
	s_waitcnt lgkmcnt(0)
	s_barrier
	s_and_saveexec_b64 s[8:9], s[2:3]
	s_cbranch_execz .LBB147_1024
; %bb.1023:
	v_lshlrev_b32_e32 v17, 3, v0
	ds_read2st64_b64 v[5:8], v17 offset0:65 offset1:66
	ds_read2st64_b64 v[12:15], v17 offset0:67 offset1:68
	ds_read_b64 v[2:3], v17 offset:40448
	s_waitcnt lgkmcnt(2)
	v_add_f32_e32 v5, v10, v5
	v_add_f32_e32 v6, v11, v6
	;; [unrolled: 1-line block ×4, first 2 shown]
	ds_read2st64_b64 v[5:8], v17 offset0:69 offset1:70
	s_waitcnt lgkmcnt(2)
	v_add_f32_e32 v9, v9, v12
	v_add_f32_e32 v10, v10, v13
	;; [unrolled: 1-line block ×4, first 2 shown]
	s_waitcnt lgkmcnt(0)
	v_add_f32_e32 v5, v9, v5
	ds_read2st64_b64 v[9:12], v17 offset0:71 offset1:72
	v_add_f32_e32 v6, v13, v6
	v_add_f32_e32 v13, v5, v7
	;; [unrolled: 1-line block ×3, first 2 shown]
	ds_read2st64_b64 v[5:8], v17 offset0:73 offset1:74
	s_waitcnt lgkmcnt(1)
	v_add_f32_e32 v9, v13, v9
	v_add_f32_e32 v10, v14, v10
	;; [unrolled: 1-line block ×4, first 2 shown]
	s_waitcnt lgkmcnt(0)
	v_add_f32_e32 v5, v9, v5
	ds_read2st64_b64 v[9:12], v17 offset0:75 offset1:76
	v_add_f32_e32 v6, v13, v6
	v_add_f32_e32 v13, v5, v7
	;; [unrolled: 1-line block ×3, first 2 shown]
	ds_read2st64_b64 v[5:8], v17 offset0:77 offset1:78
	s_waitcnt lgkmcnt(1)
	v_add_f32_e32 v9, v13, v9
	v_add_f32_e32 v10, v14, v10
	;; [unrolled: 1-line block ×4, first 2 shown]
	s_waitcnt lgkmcnt(0)
	v_add_f32_e32 v5, v9, v5
	v_add_f32_e32 v6, v10, v6
	;; [unrolled: 1-line block ×6, first 2 shown]
	v_cndmask_b32_e64 v10, -v2, 0, s[14:15]
	v_cndmask_b32_e64 v11, -v3, 0, s[14:15]
.LBB147_1024:
	s_or_b64 exec, exec, s[8:9]
	s_and_b64 vcc, exec, s[46:47]
	s_cbranch_vccnz .LBB147_1037
; %bb.1025:
	v_mov_b32_e32 v2, 0xa000
	v_lshl_or_b32 v5, v1, 3, v2
	s_and_saveexec_b64 s[8:9], s[2:3]
; %bb.1026:
	v_lshl_add_u32 v2, v0, 3, v5
	ds_write_b64 v2, v[10:11]
; %bb.1027:
	s_or_b64 exec, exec, s[8:9]
	v_cmp_le_u32_e32 vcc, v1, v0
	v_mov_b32_e32 v2, 0
	v_mov_b32_e32 v3, 0
	s_waitcnt lgkmcnt(0)
	s_barrier
	s_and_saveexec_b64 s[8:9], vcc
	s_cbranch_execz .LBB147_1029
; %bb.1028:
	ds_read_b64 v[2:3], v4
	ds_read_b64 v[6:7], v5
	s_waitcnt lgkmcnt(0)
	v_mul_f32_e32 v8, v7, v3
	v_mul_f32_e32 v3, v6, v3
	v_fma_f32 v6, v6, v2, -v8
	v_fmac_f32_e32 v3, v7, v2
	v_add_f32_e32 v2, 0, v6
	v_add_f32_e32 v3, 0, v3
.LBB147_1029:
	s_or_b64 exec, exec, s[8:9]
	v_add_u32_e32 v6, 16, v1
	v_cmp_ge_u32_e32 vcc, v0, v6
	s_and_saveexec_b64 s[8:9], vcc
	s_cbranch_execz .LBB147_1031
; %bb.1030:
	ds_read_b64 v[6:7], v4 offset:8192
	ds_read_b64 v[8:9], v5 offset:128
	s_waitcnt lgkmcnt(0)
	v_mul_f32_e32 v12, v9, v7
	v_mul_f32_e32 v7, v8, v7
	v_fma_f32 v8, v8, v6, -v12
	v_fmac_f32_e32 v7, v9, v6
	v_add_f32_e32 v2, v2, v8
	v_add_f32_e32 v3, v3, v7
.LBB147_1031:
	s_or_b64 exec, exec, s[8:9]
	v_add_u32_e32 v6, 32, v1
	v_cmp_ge_u32_e32 vcc, v0, v6
	s_and_saveexec_b64 s[8:9], vcc
	s_cbranch_execz .LBB147_1033
; %bb.1032:
	ds_read_b64 v[6:7], v4 offset:16384
	ds_read_b64 v[8:9], v5 offset:256
	s_waitcnt lgkmcnt(0)
	v_mul_f32_e32 v12, v9, v7
	v_mul_f32_e32 v7, v8, v7
	v_fma_f32 v8, v8, v6, -v12
	v_fmac_f32_e32 v7, v9, v6
	v_add_f32_e32 v2, v2, v8
	v_add_f32_e32 v3, v3, v7
.LBB147_1033:
	s_or_b64 exec, exec, s[8:9]
	v_add_u32_e32 v1, 48, v1
	v_add_u32_e32 v6, 0x8000, v4
	v_cmp_ge_u32_e32 vcc, v0, v1
	s_and_saveexec_b64 s[8:9], vcc
	s_cbranch_execz .LBB147_1035
; %bb.1034:
	ds_read_b64 v[7:8], v4 offset:24576
	ds_read_b64 v[4:5], v5 offset:384
	s_waitcnt lgkmcnt(0)
	v_mul_f32_e32 v1, v5, v8
	v_mul_f32_e32 v8, v4, v8
	v_fma_f32 v1, v4, v7, -v1
	v_fmac_f32_e32 v8, v5, v7
	v_add_f32_e32 v2, v2, v1
	v_add_f32_e32 v3, v3, v8
.LBB147_1035:
	s_or_b64 exec, exec, s[8:9]
	s_mov_b64 s[10:11], 0
	s_mov_b64 s[8:9], 0
	ds_write_b64 v6, v[2:3]
	s_waitcnt lgkmcnt(0)
	s_barrier
                                        ; implicit-def: $vgpr1
                                        ; implicit-def: $vgpr6
                                        ; implicit-def: $vgpr4_vgpr5
	s_and_saveexec_b64 s[12:13], s[2:3]
	s_cbranch_execz .LBB147_1050
; %bb.1036:
	v_lshlrev_b32_e32 v9, 3, v0
	ds_read2st64_b64 v[4:7], v9 offset0:65 offset1:66
	ds_read2st64_b64 v[12:15], v9 offset0:67 offset1:68
	ds_read_b64 v[19:20], v9 offset:40448
	s_mov_b64 s[8:9], exec
	s_waitcnt lgkmcnt(2)
	v_add_f32_e32 v1, v2, v4
	v_add_f32_e32 v2, v3, v5
	v_add_f32_e32 v5, v1, v6
	v_add_f32_e32 v6, v2, v7
	ds_read2st64_b64 v[1:4], v9 offset0:69 offset1:70
	s_waitcnt lgkmcnt(2)
	v_add_f32_e32 v5, v5, v12
	v_add_f32_e32 v6, v6, v13
	;; [unrolled: 1-line block ×4, first 2 shown]
	s_waitcnt lgkmcnt(0)
	v_add_f32_e32 v1, v5, v1
	ds_read2st64_b64 v[5:8], v9 offset0:71 offset1:72
	v_add_f32_e32 v2, v12, v2
	v_add_f32_e32 v12, v1, v3
	;; [unrolled: 1-line block ×3, first 2 shown]
	ds_read2st64_b64 v[1:4], v9 offset0:73 offset1:74
	s_waitcnt lgkmcnt(1)
	v_add_f32_e32 v5, v12, v5
	v_add_f32_e32 v6, v13, v6
	;; [unrolled: 1-line block ×4, first 2 shown]
	s_waitcnt lgkmcnt(0)
	v_add_f32_e32 v1, v5, v1
	ds_read2st64_b64 v[5:8], v9 offset0:75 offset1:76
	v_add_f32_e32 v2, v12, v2
	ds_read2st64_b64 v[12:15], v9 offset0:77 offset1:78
	v_add_f32_e32 v1, v1, v3
	v_lshl_add_u32 v3, s6, 6, v18
	v_add_f32_e32 v2, v2, v4
	s_waitcnt lgkmcnt(1)
	v_add_f32_e32 v1, v1, v5
	v_mad_u64_u32 v[4:5], s[14:15], s26, v3, 0
	v_add_f32_e32 v1, v1, v7
	v_add_f32_e32 v2, v2, v6
	s_waitcnt lgkmcnt(0)
	v_add_f32_e32 v1, v1, v12
	v_add_f32_e32 v2, v2, v8
	;; [unrolled: 1-line block ×3, first 2 shown]
	v_mov_b32_e32 v1, v5
	v_add_f32_e32 v6, v2, v13
	v_mad_u64_u32 v[2:3], s[14:15], s27, v3, v[1:2]
	v_add_f32_e32 v1, v6, v15
	v_add_f32_e32 v6, v7, v19
	;; [unrolled: 1-line block ×3, first 2 shown]
	v_mov_b32_e32 v5, v2
	s_or_b64 exec, exec, s[12:13]
	s_and_b64 vcc, exec, s[10:11]
	s_cbranch_vccnz .LBB147_1038
	s_branch .LBB147_1051
.LBB147_1037:
	s_mov_b64 s[8:9], 0
                                        ; implicit-def: $vgpr1
                                        ; implicit-def: $vgpr6
                                        ; implicit-def: $vgpr4_vgpr5
	s_cbranch_execz .LBB147_1051
.LBB147_1038:
	s_mov_b32 s12, 0
	v_mov_b32_e32 v1, 0
	v_mov_b32_e32 v2, v0
	s_branch .LBB147_1040
.LBB147_1039:                           ;   in Loop: Header=BB147_1040 Depth=1
	s_or_b64 exec, exec, s[10:11]
	s_add_i32 s12, s12, 2
	v_add_u32_e32 v16, 0x400, v16
	s_cmp_lg_u32 s12, 64
	v_add_u32_e32 v2, -2, v2
	s_barrier
	s_cbranch_scc0 .LBB147_1048
.LBB147_1040:                           ; =>This Inner Loop Header: Depth=1
	v_cmp_eq_u32_e32 vcc, 0, v2
	s_and_b64 s[14:15], s[2:3], vcc
	s_and_saveexec_b64 s[10:11], s[14:15]
; %bb.1041:                             ;   in Loop: Header=BB147_1040 Depth=1
	ds_write_b64 v1, v[10:11] offset:41472
; %bb.1042:                             ;   in Loop: Header=BB147_1040 Depth=1
	s_or_b64 exec, exec, s[10:11]
	v_cmp_lt_u32_e32 vcc, s12, v0
	s_and_b64 s[14:15], s[2:3], vcc
	s_waitcnt lgkmcnt(0)
	s_barrier
	s_and_saveexec_b64 s[10:11], s[14:15]
	s_cbranch_execz .LBB147_1044
; %bb.1043:                             ;   in Loop: Header=BB147_1040 Depth=1
	ds_read_b64 v[3:4], v16
	ds_read_b64 v[5:6], v1 offset:41472
	s_waitcnt lgkmcnt(0)
	v_mul_f32_e32 v7, v6, v4
	v_mul_f32_e32 v4, v5, v4
	v_fma_f32 v5, v5, v3, -v7
	v_fmac_f32_e32 v4, v6, v3
	v_add_f32_e32 v10, v10, v5
	v_add_f32_e32 v11, v11, v4
.LBB147_1044:                           ;   in Loop: Header=BB147_1040 Depth=1
	s_or_b64 exec, exec, s[10:11]
	s_or_b32 s13, s12, 1
	v_cmp_eq_u32_e32 vcc, s13, v0
	s_and_b64 s[14:15], s[2:3], vcc
	s_barrier
	s_and_saveexec_b64 s[10:11], s[14:15]
; %bb.1045:                             ;   in Loop: Header=BB147_1040 Depth=1
	ds_write_b64 v1, v[10:11] offset:41472
; %bb.1046:                             ;   in Loop: Header=BB147_1040 Depth=1
	s_or_b64 exec, exec, s[10:11]
	v_cmp_lt_u32_e32 vcc, s13, v0
	s_and_b64 s[14:15], s[2:3], vcc
	s_waitcnt lgkmcnt(0)
	s_barrier
	s_and_saveexec_b64 s[10:11], s[14:15]
	s_cbranch_execz .LBB147_1039
; %bb.1047:                             ;   in Loop: Header=BB147_1040 Depth=1
	ds_read_b64 v[3:4], v16 offset:512
	ds_read_b64 v[5:6], v1 offset:41472
	s_waitcnt lgkmcnt(0)
	v_mul_f32_e32 v7, v6, v4
	v_mul_f32_e32 v4, v5, v4
	v_fma_f32 v5, v5, v3, -v7
	v_fmac_f32_e32 v4, v6, v3
	v_add_f32_e32 v10, v10, v5
	v_add_f32_e32 v11, v11, v4
	s_branch .LBB147_1039
.LBB147_1048:
	s_and_b64 vcc, exec, s[4:5]
	s_cbranch_vccz .LBB147_1052
; %bb.1049:
	s_and_b64 s[4:5], s[2:3], exec
	s_cbranch_execz .LBB147_1053
	s_branch .LBB147_1054
.LBB147_1050:
	s_or_b64 exec, exec, s[12:13]
	s_and_b64 vcc, exec, s[10:11]
	s_cbranch_vccnz .LBB147_1038
.LBB147_1051:
	v_mov_b32_e32 v11, v1
	v_mov_b32_e32 v10, v6
	s_and_saveexec_b64 s[2:3], s[8:9]
	s_cbranch_execnz .LBB147_1057
	s_branch .LBB147_1058
.LBB147_1052:
	s_mov_b64 s[4:5], 0
.LBB147_1053:
	v_cmp_gt_i32_e32 vcc, s7, v0
	s_and_b64 s[2:3], s[2:3], vcc
	s_andn2_b64 s[4:5], s[4:5], exec
	s_and_b64 s[2:3], s[2:3], exec
	s_or_b64 s[4:5], s[4:5], s[2:3]
.LBB147_1054:
                                        ; implicit-def: $vgpr4_vgpr5
	s_and_saveexec_b64 s[2:3], s[4:5]
	s_cbranch_execz .LBB147_1056
; %bb.1055:
	s_lshl_b32 s4, s6, 6
	s_ashr_i32 s5, s4, 31
	v_mov_b32_e32 v0, s5
	v_add_co_u32_e32 v1, vcc, s4, v18
	v_addc_co_u32_e32 v0, vcc, 0, v0, vcc
	v_mul_lo_u32 v0, v0, s26
	v_mul_lo_u32 v2, v1, s27
	v_mad_u64_u32 v[4:5], s[4:5], v1, s26, 0
	s_or_b64 s[8:9], s[8:9], exec
	v_add3_u32 v5, v5, v2, v0
.LBB147_1056:
	s_or_b64 exec, exec, s[2:3]
	s_and_saveexec_b64 s[2:3], s[8:9]
	s_cbranch_execz .LBB147_1058
.LBB147_1057:
	v_lshlrev_b64 v[0:1], 3, v[4:5]
	v_mov_b32_e32 v2, s21
	v_add_co_u32_e32 v0, vcc, s20, v0
	v_addc_co_u32_e32 v1, vcc, v2, v1, vcc
	flat_store_dwordx2 v[0:1], v[10:11]
.LBB147_1058:
	s_or_b64 exec, exec, s[2:3]
	v_cmp_eq_u32_e32 vcc, 0, v18
	s_waitcnt vmcnt(0) lgkmcnt(0)
	buffer_wbinvl1_vol
	s_barrier
	s_and_saveexec_b64 s[2:3], vcc
	s_cbranch_execz .LBB147_1060
; %bb.1059:
	s_lshl_b64 s[4:5], s[28:29], 2
	s_add_u32 s0, s0, s4
	s_addc_u32 s1, s1, s5
	v_mov_b32_e32 v0, 0
	global_load_dword v1, v0, s[0:1]
	s_waitcnt vmcnt(0)
	v_add_u32_e32 v1, 1, v1
	global_store_dword v0, v1, s[0:1]
.LBB147_1060:
	s_or_b64 exec, exec, s[2:3]
	s_waitcnt vmcnt(0)
	buffer_wbinvl1_vol
	s_endpgm
.LBB147_1061:
	ds_read_b64 v[23:24], v21 offset:31680
	ds_read_b64 v[25:26], v22 offset:31208
	s_waitcnt lgkmcnt(0)
	v_mul_f32_e32 v27, v26, v24
	v_mul_f32_e32 v24, v25, v24
	v_fma_f32 v25, v25, v23, -v27
	v_fmac_f32_e32 v24, v26, v23
	v_add_f32_e32 v10, v10, v25
	v_add_f32_e32 v11, v11, v24
	s_or_b64 exec, exec, s[14:15]
	v_cmp_gt_u32_e64 s[10:11], 8, v15
	s_and_saveexec_b64 s[14:15], s[10:11]
	s_cbranch_execz .LBB147_85
.LBB147_1062:
	ds_read_b64 v[23:24], v21 offset:32192
	ds_read_b64 v[21:22], v22 offset:31216
	s_waitcnt lgkmcnt(0)
	v_mul_f32_e32 v25, v22, v24
	v_mul_f32_e32 v24, v21, v24
	v_fma_f32 v21, v21, v23, -v25
	v_fmac_f32_e32 v24, v22, v23
	v_add_f32_e32 v10, v10, v21
	v_add_f32_e32 v11, v11, v24
	s_or_b64 exec, exec, s[14:15]
	v_cmp_gt_u32_e64 s[10:11], 4, v15
	s_and_saveexec_b64 s[14:15], s[10:11]
	s_cbranch_execnz .LBB147_86
	s_branch .LBB147_87
.LBB147_1063:
	ds_read_b64 v[26:27], v24 offset:29568
	ds_read_b64 v[28:29], v25 offset:29128
	s_waitcnt lgkmcnt(0)
	v_mul_f32_e32 v30, v29, v27
	v_mul_f32_e32 v27, v28, v27
	v_fma_f32 v28, v28, v26, -v30
	v_fmac_f32_e32 v27, v29, v26
	v_add_f32_e32 v10, v10, v28
	v_add_f32_e32 v11, v11, v27
	s_or_b64 exec, exec, s[16:17]
	v_cmp_gt_u32_e64 s[14:15], 48, v15
	s_and_saveexec_b64 s[16:17], s[14:15]
	s_cbranch_execz .LBB147_127
.LBB147_1064:
	ds_read_b64 v[26:27], v24 offset:30080
	ds_read_b64 v[28:29], v25 offset:29136
	s_waitcnt lgkmcnt(0)
	v_mul_f32_e32 v30, v29, v27
	v_mul_f32_e32 v27, v28, v27
	v_fma_f32 v28, v28, v26, -v30
	v_fmac_f32_e32 v27, v29, v26
	v_add_f32_e32 v10, v10, v28
	v_add_f32_e32 v11, v11, v27
	s_or_b64 exec, exec, s[16:17]
	v_cmp_gt_u32_e64 s[14:15], 40, v15
	s_and_saveexec_b64 s[16:17], s[14:15]
	s_cbranch_execz .LBB147_128
.LBB147_1065:
	ds_read_b64 v[26:27], v24 offset:30592
	ds_read_b64 v[28:29], v25 offset:29144
	s_waitcnt lgkmcnt(0)
	v_mul_f32_e32 v30, v29, v27
	v_mul_f32_e32 v27, v28, v27
	v_fma_f32 v28, v28, v26, -v30
	v_fmac_f32_e32 v27, v29, v26
	v_add_f32_e32 v10, v10, v28
	v_add_f32_e32 v11, v11, v27
	s_or_b64 exec, exec, s[16:17]
	v_cmp_gt_u32_e64 s[14:15], 32, v15
	s_and_saveexec_b64 s[16:17], s[14:15]
	s_cbranch_execz .LBB147_129
.LBB147_1066:
	ds_read_b64 v[26:27], v24 offset:31104
	ds_read_b64 v[28:29], v25 offset:29152
	s_waitcnt lgkmcnt(0)
	v_mul_f32_e32 v30, v29, v27
	v_mul_f32_e32 v27, v28, v27
	v_fma_f32 v28, v28, v26, -v30
	v_fmac_f32_e32 v27, v29, v26
	v_add_f32_e32 v10, v10, v28
	v_add_f32_e32 v11, v11, v27
	s_or_b64 exec, exec, s[16:17]
	v_cmp_gt_u32_e64 s[14:15], 24, v15
	s_and_saveexec_b64 s[16:17], s[14:15]
	s_cbranch_execz .LBB147_130
.LBB147_1067:
	ds_read_b64 v[26:27], v24 offset:31616
	ds_read_b64 v[28:29], v25 offset:29160
	s_waitcnt lgkmcnt(0)
	v_mul_f32_e32 v30, v29, v27
	v_mul_f32_e32 v27, v28, v27
	v_fma_f32 v28, v28, v26, -v30
	v_fmac_f32_e32 v27, v29, v26
	v_add_f32_e32 v10, v10, v28
	v_add_f32_e32 v11, v11, v27
	s_or_b64 exec, exec, s[16:17]
	s_and_saveexec_b64 s[14:15], s[18:19]
	s_cbranch_execz .LBB147_131
.LBB147_1068:
	ds_read_b64 v[26:27], v24 offset:32128
	ds_read_b64 v[24:25], v25 offset:29168
	s_waitcnt lgkmcnt(0)
	v_mul_f32_e32 v28, v25, v27
	v_mul_f32_e32 v27, v24, v27
	v_fma_f32 v24, v24, v26, -v28
	v_fmac_f32_e32 v27, v25, v26
	v_add_f32_e32 v10, v10, v24
	v_add_f32_e32 v11, v11, v27
	s_or_b64 exec, exec, s[14:15]
	v_cmp_gt_u32_e64 s[14:15], 8, v15
	s_and_saveexec_b64 s[16:17], s[14:15]
	s_cbranch_execnz .LBB147_132
	s_branch .LBB147_133
.LBB147_1069:
	ds_read_b64 v[26:27], v24 offset:27520
	ds_read_b64 v[28:29], v25 offset:27048
	s_waitcnt lgkmcnt(0)
	v_mul_f32_e32 v30, v29, v27
	v_mul_f32_e32 v27, v28, v27
	v_fma_f32 v28, v28, v26, -v30
	v_fmac_f32_e32 v27, v29, v26
	v_add_f32_e32 v10, v10, v28
	v_add_f32_e32 v11, v11, v27
	s_or_b64 exec, exec, s[14:15]
	v_cmp_gt_u32_e64 s[10:11], 8, v15
	s_and_saveexec_b64 s[14:15], s[10:11]
	s_cbranch_execz .LBB147_189
.LBB147_1070:
	ds_read_b64 v[26:27], v24 offset:28032
	ds_read_b64 v[24:25], v25 offset:27056
	s_waitcnt lgkmcnt(0)
	v_mul_f32_e32 v28, v25, v27
	v_mul_f32_e32 v27, v24, v27
	v_fma_f32 v24, v24, v26, -v28
	v_fmac_f32_e32 v27, v25, v26
	v_add_f32_e32 v10, v10, v24
	v_add_f32_e32 v11, v11, v27
	s_or_b64 exec, exec, s[14:15]
	v_cmp_gt_u32_e64 s[10:11], 4, v15
	s_and_saveexec_b64 s[14:15], s[10:11]
	s_cbranch_execnz .LBB147_190
	s_branch .LBB147_191
.LBB147_1071:
	ds_read_b64 v[29:30], v27 offset:30464
	ds_read_b64 v[31:32], v28 offset:25048
	s_waitcnt lgkmcnt(0)
	v_mul_f32_e32 v33, v32, v30
	v_mul_f32_e32 v30, v31, v30
	v_fma_f32 v31, v31, v29, -v33
	v_fmac_f32_e32 v30, v32, v29
	v_add_f32_e32 v10, v10, v31
	v_add_f32_e32 v11, v11, v30
	s_or_b64 exec, exec, s[20:21]
	s_and_saveexec_b64 s[16:17], s[8:9]
	s_cbranch_execz .LBB147_251
.LBB147_1072:
	ds_read_b64 v[29:30], v27 offset:30976
	ds_read_b64 v[31:32], v28 offset:25056
	s_waitcnt lgkmcnt(0)
	v_mul_f32_e32 v33, v32, v30
	v_mul_f32_e32 v30, v31, v30
	v_fma_f32 v31, v31, v29, -v33
	v_fmac_f32_e32 v30, v32, v29
	v_add_f32_e32 v10, v10, v31
	v_add_f32_e32 v11, v11, v30
	s_or_b64 exec, exec, s[16:17]
	v_cmp_gt_u32_e64 s[16:17], 48, v15
	s_and_saveexec_b64 s[20:21], s[16:17]
	s_cbranch_execz .LBB147_252
.LBB147_1073:
	ds_read_b64 v[29:30], v27 offset:31488
	ds_read_b64 v[31:32], v28 offset:25064
	s_waitcnt lgkmcnt(0)
	v_mul_f32_e32 v33, v32, v30
	v_mul_f32_e32 v30, v31, v30
	v_fma_f32 v31, v31, v29, -v33
	v_fmac_f32_e32 v30, v32, v29
	v_add_f32_e32 v10, v10, v31
	v_add_f32_e32 v11, v11, v30
	s_or_b64 exec, exec, s[20:21]
	v_cmp_gt_u32_e64 s[16:17], 32, v15
	s_and_saveexec_b64 s[20:21], s[16:17]
	s_cbranch_execz .LBB147_253
.LBB147_1074:
	ds_read_b64 v[29:30], v27 offset:32000
	ds_read_b64 v[27:28], v28 offset:25072
	s_waitcnt lgkmcnt(0)
	v_mul_f32_e32 v31, v28, v30
	v_mul_f32_e32 v30, v27, v30
	v_fma_f32 v27, v27, v29, -v31
	v_fmac_f32_e32 v30, v28, v29
	v_add_f32_e32 v10, v10, v27
	v_add_f32_e32 v11, v11, v30
	s_or_b64 exec, exec, s[20:21]
	v_cmp_gt_u32_e64 s[16:17], 16, v15
	s_and_saveexec_b64 s[20:21], s[16:17]
	s_cbranch_execnz .LBB147_254
	s_branch .LBB147_255
.LBB147_1075:
	ds_read_b64 v[29:30], v27 offset:23360
	ds_read_b64 v[31:32], v28 offset:22888
	s_waitcnt lgkmcnt(0)
	v_mul_f32_e32 v33, v32, v30
	v_mul_f32_e32 v30, v31, v30
	v_fma_f32 v31, v31, v29, -v33
	v_fmac_f32_e32 v30, v32, v29
	v_add_f32_e32 v10, v10, v31
	v_add_f32_e32 v11, v11, v30
	s_or_b64 exec, exec, s[20:21]
	v_cmp_gt_u32_e64 s[14:15], 8, v15
	s_and_saveexec_b64 s[20:21], s[14:15]
	s_cbranch_execz .LBB147_343
.LBB147_1076:
	ds_read_b64 v[29:30], v27 offset:23872
	ds_read_b64 v[27:28], v28 offset:22896
	s_waitcnt lgkmcnt(0)
	v_mul_f32_e32 v31, v28, v30
	v_mul_f32_e32 v30, v27, v30
	v_fma_f32 v27, v27, v29, -v31
	v_fmac_f32_e32 v30, v28, v29
	v_add_f32_e32 v10, v10, v27
	v_add_f32_e32 v11, v11, v30
	s_or_b64 exec, exec, s[20:21]
	v_cmp_gt_u32_e64 s[14:15], 4, v15
	s_and_saveexec_b64 s[20:21], s[14:15]
	s_cbranch_execnz .LBB147_344
	s_branch .LBB147_345
.LBB147_1077:
	ds_read_b64 v[29:30], v27 offset:21248
	ds_read_b64 v[31:32], v28 offset:20808
	s_waitcnt lgkmcnt(0)
	v_mul_f32_e32 v33, v32, v30
	v_mul_f32_e32 v30, v31, v30
	v_fma_f32 v31, v31, v29, -v33
	v_fmac_f32_e32 v30, v32, v29
	v_add_f32_e32 v10, v10, v31
	v_add_f32_e32 v11, v11, v30
	s_or_b64 exec, exec, s[20:21]
	v_cmp_gt_u32_e64 s[14:15], 48, v15
	s_and_saveexec_b64 s[20:21], s[14:15]
	s_cbranch_execz .LBB147_385
.LBB147_1078:
	ds_read_b64 v[29:30], v27 offset:21760
	ds_read_b64 v[31:32], v28 offset:20816
	s_waitcnt lgkmcnt(0)
	v_mul_f32_e32 v33, v32, v30
	v_mul_f32_e32 v30, v31, v30
	v_fma_f32 v31, v31, v29, -v33
	v_fmac_f32_e32 v30, v32, v29
	v_add_f32_e32 v10, v10, v31
	v_add_f32_e32 v11, v11, v30
	s_or_b64 exec, exec, s[20:21]
	v_cmp_gt_u32_e64 s[14:15], 40, v15
	s_and_saveexec_b64 s[20:21], s[14:15]
	s_cbranch_execz .LBB147_386
.LBB147_1079:
	ds_read_b64 v[29:30], v27 offset:22272
	ds_read_b64 v[31:32], v28 offset:20824
	s_waitcnt lgkmcnt(0)
	v_mul_f32_e32 v33, v32, v30
	v_mul_f32_e32 v30, v31, v30
	v_fma_f32 v31, v31, v29, -v33
	v_fmac_f32_e32 v30, v32, v29
	v_add_f32_e32 v10, v10, v31
	v_add_f32_e32 v11, v11, v30
	s_or_b64 exec, exec, s[20:21]
	v_cmp_gt_u32_e64 s[14:15], 32, v15
	s_and_saveexec_b64 s[20:21], s[14:15]
	s_cbranch_execz .LBB147_387
.LBB147_1080:
	ds_read_b64 v[29:30], v27 offset:22784
	ds_read_b64 v[31:32], v28 offset:20832
	s_waitcnt lgkmcnt(0)
	v_mul_f32_e32 v33, v32, v30
	v_mul_f32_e32 v30, v31, v30
	v_fma_f32 v31, v31, v29, -v33
	v_fmac_f32_e32 v30, v32, v29
	v_add_f32_e32 v10, v10, v31
	v_add_f32_e32 v11, v11, v30
	s_or_b64 exec, exec, s[20:21]
	v_cmp_gt_u32_e64 s[14:15], 24, v15
	s_and_saveexec_b64 s[20:21], s[14:15]
	s_cbranch_execz .LBB147_388
.LBB147_1081:
	ds_read_b64 v[29:30], v27 offset:23296
	ds_read_b64 v[31:32], v28 offset:20840
	s_waitcnt lgkmcnt(0)
	v_mul_f32_e32 v33, v32, v30
	v_mul_f32_e32 v30, v31, v30
	v_fma_f32 v31, v31, v29, -v33
	v_fmac_f32_e32 v30, v32, v29
	v_add_f32_e32 v10, v10, v31
	v_add_f32_e32 v11, v11, v30
	s_or_b64 exec, exec, s[20:21]
	s_and_saveexec_b64 s[14:15], s[18:19]
	s_cbranch_execz .LBB147_389
.LBB147_1082:
	ds_read_b64 v[29:30], v27 offset:23808
	ds_read_b64 v[27:28], v28 offset:20848
	s_waitcnt lgkmcnt(0)
	v_mul_f32_e32 v31, v28, v30
	v_mul_f32_e32 v30, v27, v30
	v_fma_f32 v27, v27, v29, -v31
	v_fmac_f32_e32 v30, v28, v29
	v_add_f32_e32 v10, v10, v27
	v_add_f32_e32 v11, v11, v30
	s_or_b64 exec, exec, s[14:15]
	v_cmp_gt_u32_e64 s[14:15], 8, v15
	s_and_saveexec_b64 s[20:21], s[14:15]
	s_cbranch_execnz .LBB147_390
	s_branch .LBB147_391
.LBB147_1083:
	ds_read_b64 v[29:30], v27 offset:19200
	ds_read_b64 v[31:32], v28 offset:18728
	s_waitcnt lgkmcnt(0)
	v_mul_f32_e32 v33, v32, v30
	v_mul_f32_e32 v30, v31, v30
	v_fma_f32 v31, v31, v29, -v33
	v_fmac_f32_e32 v30, v32, v29
	v_add_f32_e32 v10, v10, v31
	v_add_f32_e32 v11, v11, v30
	s_or_b64 exec, exec, s[20:21]
	v_cmp_gt_u32_e64 s[14:15], 8, v15
	s_and_saveexec_b64 s[20:21], s[14:15]
	s_cbranch_execz .LBB147_447
.LBB147_1084:
	ds_read_b64 v[29:30], v27 offset:19712
	ds_read_b64 v[27:28], v28 offset:18736
	s_waitcnt lgkmcnt(0)
	v_mul_f32_e32 v31, v28, v30
	v_mul_f32_e32 v30, v27, v30
	v_fma_f32 v27, v27, v29, -v31
	v_fmac_f32_e32 v30, v28, v29
	v_add_f32_e32 v10, v10, v27
	v_add_f32_e32 v11, v11, v30
	s_or_b64 exec, exec, s[20:21]
	v_cmp_gt_u32_e64 s[14:15], 4, v15
	s_and_saveexec_b64 s[20:21], s[14:15]
	s_cbranch_execnz .LBB147_448
	s_branch .LBB147_449
.LBB147_1085:
	ds_read_b64 v[32:33], v30 offset:31232
	ds_read_b64 v[34:35], v31 offset:16872
	s_waitcnt lgkmcnt(0)
	v_mul_f32_e32 v36, v35, v33
	v_mul_f32_e32 v33, v34, v33
	v_fma_f32 v34, v34, v32, -v36
	v_fmac_f32_e32 v33, v35, v32
	v_add_f32_e32 v10, v10, v34
	v_add_f32_e32 v11, v11, v33
	s_or_b64 exec, exec, s[92:93]
	s_and_saveexec_b64 s[20:21], s[8:9]
	s_cbranch_execz .LBB147_545
.LBB147_1086:
	ds_read_b64 v[32:33], v30 offset:31744
	ds_read_b64 v[34:35], v31 offset:16880
	s_waitcnt lgkmcnt(0)
	v_mul_f32_e32 v36, v35, v33
	v_mul_f32_e32 v33, v34, v33
	v_fma_f32 v34, v34, v32, -v36
	v_fmac_f32_e32 v33, v35, v32
	v_add_f32_e32 v10, v10, v34
	v_add_f32_e32 v11, v11, v33
	s_or_b64 exec, exec, s[20:21]
	v_cmp_gt_u32_e64 s[20:21], 32, v15
	s_and_saveexec_b64 s[92:93], s[20:21]
	s_cbranch_execnz .LBB147_546
	s_branch .LBB147_547
.LBB147_1087:
	ds_read_b64 v[29:30], v27 offset:15040
	ds_read_b64 v[31:32], v28 offset:14568
	s_waitcnt lgkmcnt(0)
	v_mul_f32_e32 v33, v32, v30
	v_mul_f32_e32 v30, v31, v30
	v_fma_f32 v31, v31, v29, -v33
	v_fmac_f32_e32 v30, v32, v29
	v_add_f32_e32 v10, v10, v31
	v_add_f32_e32 v11, v11, v30
	s_or_b64 exec, exec, s[16:17]
	v_cmp_gt_u32_e64 s[12:13], 8, v15
	s_and_saveexec_b64 s[16:17], s[12:13]
	s_cbranch_execz .LBB147_583
.LBB147_1088:
	ds_read_b64 v[29:30], v27 offset:15552
	ds_read_b64 v[27:28], v28 offset:14576
	s_waitcnt lgkmcnt(0)
	v_mul_f32_e32 v31, v28, v30
	v_mul_f32_e32 v30, v27, v30
	v_fma_f32 v27, v27, v29, -v31
	v_fmac_f32_e32 v30, v28, v29
	v_add_f32_e32 v10, v10, v27
	v_add_f32_e32 v11, v11, v30
	s_or_b64 exec, exec, s[16:17]
	v_cmp_gt_u32_e64 s[12:13], 4, v15
	s_and_saveexec_b64 s[16:17], s[12:13]
	s_cbranch_execnz .LBB147_584
	s_branch .LBB147_585
.LBB147_1089:
	ds_read_b64 v[29:30], v27 offset:12928
	ds_read_b64 v[31:32], v28 offset:12488
	s_waitcnt lgkmcnt(0)
	v_mul_f32_e32 v33, v32, v30
	v_mul_f32_e32 v30, v31, v30
	v_fma_f32 v31, v31, v29, -v33
	v_fmac_f32_e32 v30, v32, v29
	v_add_f32_e32 v10, v10, v31
	v_add_f32_e32 v11, v11, v30
	s_or_b64 exec, exec, s[16:17]
	v_cmp_gt_u32_e64 s[12:13], 48, v15
	s_and_saveexec_b64 s[16:17], s[12:13]
	s_cbranch_execz .LBB147_625
.LBB147_1090:
	ds_read_b64 v[29:30], v27 offset:13440
	ds_read_b64 v[31:32], v28 offset:12496
	s_waitcnt lgkmcnt(0)
	v_mul_f32_e32 v33, v32, v30
	v_mul_f32_e32 v30, v31, v30
	v_fma_f32 v31, v31, v29, -v33
	v_fmac_f32_e32 v30, v32, v29
	v_add_f32_e32 v10, v10, v31
	v_add_f32_e32 v11, v11, v30
	s_or_b64 exec, exec, s[16:17]
	v_cmp_gt_u32_e64 s[12:13], 40, v15
	s_and_saveexec_b64 s[16:17], s[12:13]
	s_cbranch_execz .LBB147_626
.LBB147_1091:
	ds_read_b64 v[29:30], v27 offset:13952
	ds_read_b64 v[31:32], v28 offset:12504
	s_waitcnt lgkmcnt(0)
	v_mul_f32_e32 v33, v32, v30
	v_mul_f32_e32 v30, v31, v30
	v_fma_f32 v31, v31, v29, -v33
	v_fmac_f32_e32 v30, v32, v29
	v_add_f32_e32 v10, v10, v31
	v_add_f32_e32 v11, v11, v30
	s_or_b64 exec, exec, s[16:17]
	v_cmp_gt_u32_e64 s[12:13], 32, v15
	s_and_saveexec_b64 s[16:17], s[12:13]
	s_cbranch_execz .LBB147_627
.LBB147_1092:
	ds_read_b64 v[29:30], v27 offset:14464
	ds_read_b64 v[31:32], v28 offset:12512
	s_waitcnt lgkmcnt(0)
	v_mul_f32_e32 v33, v32, v30
	v_mul_f32_e32 v30, v31, v30
	v_fma_f32 v31, v31, v29, -v33
	v_fmac_f32_e32 v30, v32, v29
	v_add_f32_e32 v10, v10, v31
	v_add_f32_e32 v11, v11, v30
	s_or_b64 exec, exec, s[16:17]
	v_cmp_gt_u32_e64 s[12:13], 24, v15
	s_and_saveexec_b64 s[16:17], s[12:13]
	s_cbranch_execz .LBB147_628
.LBB147_1093:
	ds_read_b64 v[29:30], v27 offset:14976
	ds_read_b64 v[31:32], v28 offset:12520
	s_waitcnt lgkmcnt(0)
	v_mul_f32_e32 v33, v32, v30
	v_mul_f32_e32 v30, v31, v30
	v_fma_f32 v31, v31, v29, -v33
	v_fmac_f32_e32 v30, v32, v29
	v_add_f32_e32 v10, v10, v31
	v_add_f32_e32 v11, v11, v30
	s_or_b64 exec, exec, s[16:17]
	s_and_saveexec_b64 s[12:13], s[18:19]
	s_cbranch_execz .LBB147_629
.LBB147_1094:
	ds_read_b64 v[29:30], v27 offset:15488
	ds_read_b64 v[27:28], v28 offset:12528
	s_waitcnt lgkmcnt(0)
	v_mul_f32_e32 v31, v28, v30
	v_mul_f32_e32 v30, v27, v30
	v_fma_f32 v27, v27, v29, -v31
	v_fmac_f32_e32 v30, v28, v29
	v_add_f32_e32 v10, v10, v27
	v_add_f32_e32 v11, v11, v30
	s_or_b64 exec, exec, s[12:13]
	v_cmp_gt_u32_e64 s[12:13], 8, v15
	s_and_saveexec_b64 s[16:17], s[12:13]
	s_cbranch_execnz .LBB147_630
	s_branch .LBB147_631
.LBB147_1095:
	ds_read_b64 v[29:30], v27 offset:10880
	ds_read_b64 v[31:32], v28 offset:10408
	s_waitcnt lgkmcnt(0)
	v_mul_f32_e32 v33, v32, v30
	v_mul_f32_e32 v30, v31, v30
	v_fma_f32 v31, v31, v29, -v33
	v_fmac_f32_e32 v30, v32, v29
	v_add_f32_e32 v10, v10, v31
	v_add_f32_e32 v11, v11, v30
	s_or_b64 exec, exec, s[16:17]
	v_cmp_gt_u32_e64 s[12:13], 8, v15
	s_and_saveexec_b64 s[16:17], s[12:13]
	s_cbranch_execz .LBB147_687
.LBB147_1096:
	ds_read_b64 v[29:30], v27 offset:11392
	ds_read_b64 v[27:28], v28 offset:10416
	s_waitcnt lgkmcnt(0)
	v_mul_f32_e32 v31, v28, v30
	v_mul_f32_e32 v30, v27, v30
	v_fma_f32 v27, v27, v29, -v31
	v_fmac_f32_e32 v30, v28, v29
	v_add_f32_e32 v10, v10, v27
	v_add_f32_e32 v11, v11, v30
	s_or_b64 exec, exec, s[16:17]
	v_cmp_gt_u32_e64 s[12:13], 4, v15
	s_and_saveexec_b64 s[16:17], s[12:13]
	s_cbranch_execnz .LBB147_688
	s_branch .LBB147_689
.LBB147_1097:
	ds_read_b64 v[29:30], v27 offset:13824
	ds_read_b64 v[31:32], v28 offset:8408
	s_waitcnt lgkmcnt(0)
	v_mul_f32_e32 v33, v32, v30
	v_mul_f32_e32 v30, v31, v30
	v_fma_f32 v31, v31, v29, -v33
	v_fmac_f32_e32 v30, v32, v29
	v_add_f32_e32 v10, v10, v31
	v_add_f32_e32 v11, v11, v30
	s_or_b64 exec, exec, s[16:17]
	s_and_saveexec_b64 s[12:13], s[8:9]
	s_cbranch_execz .LBB147_749
.LBB147_1098:
	ds_read_b64 v[29:30], v27 offset:14336
	ds_read_b64 v[31:32], v28 offset:8416
	s_waitcnt lgkmcnt(0)
	v_mul_f32_e32 v33, v32, v30
	v_mul_f32_e32 v30, v31, v30
	v_fma_f32 v31, v31, v29, -v33
	v_fmac_f32_e32 v30, v32, v29
	v_add_f32_e32 v10, v10, v31
	v_add_f32_e32 v11, v11, v30
	s_or_b64 exec, exec, s[12:13]
	v_cmp_gt_u32_e64 s[12:13], 48, v15
	s_and_saveexec_b64 s[16:17], s[12:13]
	s_cbranch_execz .LBB147_750
.LBB147_1099:
	ds_read_b64 v[29:30], v27 offset:14848
	ds_read_b64 v[31:32], v28 offset:8424
	s_waitcnt lgkmcnt(0)
	v_mul_f32_e32 v33, v32, v30
	v_mul_f32_e32 v30, v31, v30
	v_fma_f32 v31, v31, v29, -v33
	v_fmac_f32_e32 v30, v32, v29
	v_add_f32_e32 v10, v10, v31
	v_add_f32_e32 v11, v11, v30
	s_or_b64 exec, exec, s[16:17]
	v_cmp_gt_u32_e64 s[12:13], 32, v15
	s_and_saveexec_b64 s[16:17], s[12:13]
	s_cbranch_execz .LBB147_751
.LBB147_1100:
	ds_read_b64 v[29:30], v27 offset:15360
	ds_read_b64 v[27:28], v28 offset:8432
	s_waitcnt lgkmcnt(0)
	v_mul_f32_e32 v31, v28, v30
	v_mul_f32_e32 v30, v27, v30
	v_fma_f32 v27, v27, v29, -v31
	v_fmac_f32_e32 v30, v28, v29
	v_add_f32_e32 v10, v10, v27
	v_add_f32_e32 v11, v11, v30
	s_or_b64 exec, exec, s[16:17]
	v_cmp_gt_u32_e64 s[12:13], 16, v15
	s_and_saveexec_b64 s[16:17], s[12:13]
	s_cbranch_execnz .LBB147_752
	s_branch .LBB147_753
.LBB147_1101:
	ds_read_b64 v[26:27], v24 offset:6720
	ds_read_b64 v[28:29], v25 offset:6248
	s_waitcnt lgkmcnt(0)
	v_mul_f32_e32 v30, v29, v27
	v_mul_f32_e32 v27, v28, v27
	v_fma_f32 v28, v28, v26, -v30
	v_fmac_f32_e32 v27, v29, v26
	v_add_f32_e32 v10, v10, v28
	v_add_f32_e32 v11, v11, v27
	s_or_b64 exec, exec, s[12:13]
	v_cmp_gt_u32_e64 s[10:11], 8, v15
	s_and_saveexec_b64 s[12:13], s[10:11]
	s_cbranch_execz .LBB147_841
.LBB147_1102:
	ds_read_b64 v[26:27], v24 offset:7232
	ds_read_b64 v[24:25], v25 offset:6256
	s_waitcnt lgkmcnt(0)
	v_mul_f32_e32 v28, v25, v27
	v_mul_f32_e32 v27, v24, v27
	v_fma_f32 v24, v24, v26, -v28
	v_fmac_f32_e32 v27, v25, v26
	v_add_f32_e32 v10, v10, v24
	v_add_f32_e32 v11, v11, v27
	s_or_b64 exec, exec, s[12:13]
	v_cmp_gt_u32_e64 s[10:11], 4, v15
	s_and_saveexec_b64 s[12:13], s[10:11]
	s_cbranch_execnz .LBB147_842
	s_branch .LBB147_843
.LBB147_1103:
	ds_read_b64 v[26:27], v24 offset:4608
	ds_read_b64 v[28:29], v25 offset:4168
	s_waitcnt lgkmcnt(0)
	v_mul_f32_e32 v30, v29, v27
	v_mul_f32_e32 v27, v28, v27
	v_fma_f32 v28, v28, v26, -v30
	v_fmac_f32_e32 v27, v29, v26
	v_add_f32_e32 v10, v10, v28
	v_add_f32_e32 v11, v11, v27
	s_or_b64 exec, exec, s[12:13]
	v_cmp_gt_u32_e64 s[10:11], 48, v15
	s_and_saveexec_b64 s[12:13], s[10:11]
	s_cbranch_execz .LBB147_883
.LBB147_1104:
	ds_read_b64 v[26:27], v24 offset:5120
	ds_read_b64 v[28:29], v25 offset:4176
	s_waitcnt lgkmcnt(0)
	v_mul_f32_e32 v30, v29, v27
	v_mul_f32_e32 v27, v28, v27
	v_fma_f32 v28, v28, v26, -v30
	v_fmac_f32_e32 v27, v29, v26
	v_add_f32_e32 v10, v10, v28
	v_add_f32_e32 v11, v11, v27
	s_or_b64 exec, exec, s[12:13]
	v_cmp_gt_u32_e64 s[10:11], 40, v15
	s_and_saveexec_b64 s[12:13], s[10:11]
	s_cbranch_execz .LBB147_884
.LBB147_1105:
	ds_read_b64 v[26:27], v24 offset:5632
	ds_read_b64 v[28:29], v25 offset:4184
	s_waitcnt lgkmcnt(0)
	v_mul_f32_e32 v30, v29, v27
	v_mul_f32_e32 v27, v28, v27
	v_fma_f32 v28, v28, v26, -v30
	v_fmac_f32_e32 v27, v29, v26
	v_add_f32_e32 v10, v10, v28
	v_add_f32_e32 v11, v11, v27
	s_or_b64 exec, exec, s[12:13]
	v_cmp_gt_u32_e64 s[10:11], 32, v15
	s_and_saveexec_b64 s[12:13], s[10:11]
	s_cbranch_execz .LBB147_885
.LBB147_1106:
	ds_read_b64 v[26:27], v24 offset:6144
	ds_read_b64 v[28:29], v25 offset:4192
	s_waitcnt lgkmcnt(0)
	v_mul_f32_e32 v30, v29, v27
	v_mul_f32_e32 v27, v28, v27
	v_fma_f32 v28, v28, v26, -v30
	v_fmac_f32_e32 v27, v29, v26
	v_add_f32_e32 v10, v10, v28
	v_add_f32_e32 v11, v11, v27
	s_or_b64 exec, exec, s[12:13]
	v_cmp_gt_u32_e64 s[10:11], 24, v15
	s_and_saveexec_b64 s[12:13], s[10:11]
	s_cbranch_execz .LBB147_886
.LBB147_1107:
	ds_read_b64 v[26:27], v24 offset:6656
	ds_read_b64 v[28:29], v25 offset:4200
	s_waitcnt lgkmcnt(0)
	v_mul_f32_e32 v30, v29, v27
	v_mul_f32_e32 v27, v28, v27
	v_fma_f32 v28, v28, v26, -v30
	v_fmac_f32_e32 v27, v29, v26
	v_add_f32_e32 v10, v10, v28
	v_add_f32_e32 v11, v11, v27
	s_or_b64 exec, exec, s[12:13]
	s_and_saveexec_b64 s[10:11], s[18:19]
	s_cbranch_execz .LBB147_887
.LBB147_1108:
	ds_read_b64 v[26:27], v24 offset:7168
	ds_read_b64 v[24:25], v25 offset:4208
	s_waitcnt lgkmcnt(0)
	v_mul_f32_e32 v28, v25, v27
	v_mul_f32_e32 v27, v24, v27
	v_fma_f32 v24, v24, v26, -v28
	v_fmac_f32_e32 v27, v25, v26
	v_add_f32_e32 v10, v10, v24
	v_add_f32_e32 v11, v11, v27
	s_or_b64 exec, exec, s[10:11]
	v_cmp_gt_u32_e64 s[10:11], 8, v15
	s_and_saveexec_b64 s[12:13], s[10:11]
	s_cbranch_execnz .LBB147_888
	s_branch .LBB147_889
.LBB147_1109:
	ds_read_b64 v[23:24], v21 offset:2560
	ds_read_b64 v[25:26], v22 offset:2088
	s_waitcnt lgkmcnt(0)
	v_mul_f32_e32 v27, v26, v24
	v_mul_f32_e32 v24, v25, v24
	v_fma_f32 v25, v25, v23, -v27
	v_fmac_f32_e32 v24, v26, v23
	v_add_f32_e32 v10, v10, v25
	v_add_f32_e32 v11, v11, v24
	s_or_b64 exec, exec, s[10:11]
	v_cmp_gt_u32_e64 s[8:9], 8, v15
	s_and_saveexec_b64 s[10:11], s[8:9]
	s_cbranch_execz .LBB147_945
.LBB147_1110:
	ds_read_b64 v[23:24], v21 offset:3072
	ds_read_b64 v[21:22], v22 offset:2096
	s_waitcnt lgkmcnt(0)
	v_mul_f32_e32 v25, v22, v24
	v_mul_f32_e32 v24, v21, v24
	v_fma_f32 v21, v21, v23, -v25
	v_fmac_f32_e32 v24, v22, v23
	v_add_f32_e32 v10, v10, v21
	v_add_f32_e32 v11, v11, v24
	s_or_b64 exec, exec, s[10:11]
	v_cmp_gt_u32_e64 s[8:9], 4, v15
	s_and_saveexec_b64 s[10:11], s[8:9]
	s_cbranch_execnz .LBB147_946
	s_branch .LBB147_947
	.section	.rodata,"a",@progbits
	.p2align	6, 0x0
	.amdhsa_kernel _ZL19rocblas_trsv_deviceILi64ELi16ELb0ELb1ELb1ELb1E19rocblas_complex_numIfEPKS1_PKS3_PKPS1_EviT7_lllT6_T8_lllPii
		.amdhsa_group_segment_fixed_size 41480
		.amdhsa_private_segment_fixed_size 0
		.amdhsa_kernarg_size 352
		.amdhsa_user_sgpr_count 6
		.amdhsa_user_sgpr_private_segment_buffer 1
		.amdhsa_user_sgpr_dispatch_ptr 0
		.amdhsa_user_sgpr_queue_ptr 0
		.amdhsa_user_sgpr_kernarg_segment_ptr 1
		.amdhsa_user_sgpr_dispatch_id 0
		.amdhsa_user_sgpr_flat_scratch_init 0
		.amdhsa_user_sgpr_private_segment_size 0
		.amdhsa_uses_dynamic_stack 0
		.amdhsa_system_sgpr_private_segment_wavefront_offset 0
		.amdhsa_system_sgpr_workgroup_id_x 1
		.amdhsa_system_sgpr_workgroup_id_y 0
		.amdhsa_system_sgpr_workgroup_id_z 1
		.amdhsa_system_sgpr_workgroup_info 0
		.amdhsa_system_vgpr_workitem_id 1
		.amdhsa_next_free_vgpr 49
		.amdhsa_next_free_sgpr 98
		.amdhsa_reserve_vcc 1
		.amdhsa_reserve_flat_scratch 0
		.amdhsa_float_round_mode_32 0
		.amdhsa_float_round_mode_16_64 0
		.amdhsa_float_denorm_mode_32 3
		.amdhsa_float_denorm_mode_16_64 3
		.amdhsa_dx10_clamp 1
		.amdhsa_ieee_mode 1
		.amdhsa_fp16_overflow 0
		.amdhsa_exception_fp_ieee_invalid_op 0
		.amdhsa_exception_fp_denorm_src 0
		.amdhsa_exception_fp_ieee_div_zero 0
		.amdhsa_exception_fp_ieee_overflow 0
		.amdhsa_exception_fp_ieee_underflow 0
		.amdhsa_exception_fp_ieee_inexact 0
		.amdhsa_exception_int_div_zero 0
	.end_amdhsa_kernel
	.section	.text._ZL19rocblas_trsv_deviceILi64ELi16ELb0ELb1ELb1ELb1E19rocblas_complex_numIfEPKS1_PKS3_PKPS1_EviT7_lllT6_T8_lllPii,"axG",@progbits,_ZL19rocblas_trsv_deviceILi64ELi16ELb0ELb1ELb1ELb1E19rocblas_complex_numIfEPKS1_PKS3_PKPS1_EviT7_lllT6_T8_lllPii,comdat
.Lfunc_end147:
	.size	_ZL19rocblas_trsv_deviceILi64ELi16ELb0ELb1ELb1ELb1E19rocblas_complex_numIfEPKS1_PKS3_PKPS1_EviT7_lllT6_T8_lllPii, .Lfunc_end147-_ZL19rocblas_trsv_deviceILi64ELi16ELb0ELb1ELb1ELb1E19rocblas_complex_numIfEPKS1_PKS3_PKPS1_EviT7_lllT6_T8_lllPii
                                        ; -- End function
	.set _ZL19rocblas_trsv_deviceILi64ELi16ELb0ELb1ELb1ELb1E19rocblas_complex_numIfEPKS1_PKS3_PKPS1_EviT7_lllT6_T8_lllPii.num_vgpr, 38
	.set _ZL19rocblas_trsv_deviceILi64ELi16ELb0ELb1ELb1ELb1E19rocblas_complex_numIfEPKS1_PKS3_PKPS1_EviT7_lllT6_T8_lllPii.num_agpr, 0
	.set _ZL19rocblas_trsv_deviceILi64ELi16ELb0ELb1ELb1ELb1E19rocblas_complex_numIfEPKS1_PKS3_PKPS1_EviT7_lllT6_T8_lllPii.numbered_sgpr, 96
	.set _ZL19rocblas_trsv_deviceILi64ELi16ELb0ELb1ELb1ELb1E19rocblas_complex_numIfEPKS1_PKS3_PKPS1_EviT7_lllT6_T8_lllPii.num_named_barrier, 0
	.set _ZL19rocblas_trsv_deviceILi64ELi16ELb0ELb1ELb1ELb1E19rocblas_complex_numIfEPKS1_PKS3_PKPS1_EviT7_lllT6_T8_lllPii.private_seg_size, 0
	.set _ZL19rocblas_trsv_deviceILi64ELi16ELb0ELb1ELb1ELb1E19rocblas_complex_numIfEPKS1_PKS3_PKPS1_EviT7_lllT6_T8_lllPii.uses_vcc, 1
	.set _ZL19rocblas_trsv_deviceILi64ELi16ELb0ELb1ELb1ELb1E19rocblas_complex_numIfEPKS1_PKS3_PKPS1_EviT7_lllT6_T8_lllPii.uses_flat_scratch, 0
	.set _ZL19rocblas_trsv_deviceILi64ELi16ELb0ELb1ELb1ELb1E19rocblas_complex_numIfEPKS1_PKS3_PKPS1_EviT7_lllT6_T8_lllPii.has_dyn_sized_stack, 0
	.set _ZL19rocblas_trsv_deviceILi64ELi16ELb0ELb1ELb1ELb1E19rocblas_complex_numIfEPKS1_PKS3_PKPS1_EviT7_lllT6_T8_lllPii.has_recursion, 0
	.set _ZL19rocblas_trsv_deviceILi64ELi16ELb0ELb1ELb1ELb1E19rocblas_complex_numIfEPKS1_PKS3_PKPS1_EviT7_lllT6_T8_lllPii.has_indirect_call, 0
	.section	.AMDGPU.csdata,"",@progbits
; Kernel info:
; codeLenInByte = 39980
; TotalNumSgprs: 100
; NumVgprs: 38
; ScratchSize: 0
; MemoryBound: 0
; FloatMode: 240
; IeeeMode: 1
; LDSByteSize: 41480 bytes/workgroup (compile time only)
; SGPRBlocks: 12
; VGPRBlocks: 12
; NumSGPRsForWavesPerEU: 102
; NumVGPRsForWavesPerEU: 49
; Occupancy: 4
; WaveLimiterHint : 1
; COMPUTE_PGM_RSRC2:SCRATCH_EN: 0
; COMPUTE_PGM_RSRC2:USER_SGPR: 6
; COMPUTE_PGM_RSRC2:TRAP_HANDLER: 0
; COMPUTE_PGM_RSRC2:TGID_X_EN: 1
; COMPUTE_PGM_RSRC2:TGID_Y_EN: 0
; COMPUTE_PGM_RSRC2:TGID_Z_EN: 1
; COMPUTE_PGM_RSRC2:TIDIG_COMP_CNT: 1
	.section	.text._ZL19rocblas_trsv_deviceILi64ELi16ELb0ELb0ELb0ELb0E19rocblas_complex_numIfEPKS1_PKS3_PKPS1_EviT7_lllT6_T8_lllPii,"axG",@progbits,_ZL19rocblas_trsv_deviceILi64ELi16ELb0ELb0ELb0ELb0E19rocblas_complex_numIfEPKS1_PKS3_PKPS1_EviT7_lllT6_T8_lllPii,comdat
	.globl	_ZL19rocblas_trsv_deviceILi64ELi16ELb0ELb0ELb0ELb0E19rocblas_complex_numIfEPKS1_PKS3_PKPS1_EviT7_lllT6_T8_lllPii ; -- Begin function _ZL19rocblas_trsv_deviceILi64ELi16ELb0ELb0ELb0ELb0E19rocblas_complex_numIfEPKS1_PKS3_PKPS1_EviT7_lllT6_T8_lllPii
	.p2align	8
	.type	_ZL19rocblas_trsv_deviceILi64ELi16ELb0ELb0ELb0ELb0E19rocblas_complex_numIfEPKS1_PKS3_PKPS1_EviT7_lllT6_T8_lllPii,@function
_ZL19rocblas_trsv_deviceILi64ELi16ELb0ELb0ELb0ELb0E19rocblas_complex_numIfEPKS1_PKS3_PKPS1_EviT7_lllT6_T8_lllPii: ; @_ZL19rocblas_trsv_deviceILi64ELi16ELb0ELb0ELb0ELb0E19rocblas_complex_numIfEPKS1_PKS3_PKPS1_EviT7_lllT6_T8_lllPii
; %bb.0:
	s_load_dwordx4 s[12:15], s[4:5], 0x8
	s_add_u32 flat_scratch_lo, s6, s10
	s_addc_u32 flat_scratch_hi, s7, 0
	s_add_u32 s0, s0, s10
	s_mov_b32 s28, s9
	s_mov_b32 s29, 0
	s_addc_u32 s1, s1, 0
	s_lshl_b64 s[6:7], s[28:29], 3
	s_waitcnt lgkmcnt(0)
	s_add_u32 s10, s12, s6
	s_addc_u32 s11, s13, s7
	s_load_dwordx2 s[12:13], s[10:11], 0x0
	s_load_dword s30, s[4:5], 0x0
	s_load_dwordx8 s[20:27], s[4:5], 0x28
	s_load_dwordx2 s[34:35], s[4:5], 0x18
	s_lshl_b64 s[10:11], s[14:15], 3
	s_waitcnt lgkmcnt(0)
	s_add_u32 s99, s12, s10
	s_addc_u32 s38, s13, s11
	s_add_u32 s6, s22, s6
	s_load_dword s9, s[4:5], 0x60
	s_addc_u32 s7, s23, s7
	s_load_dwordx2 s[10:11], s[6:7], 0x0
	s_load_dwordx2 s[48:49], s[20:21], 0x0
	s_load_dword s36, s[4:5], 0x6c
                                        ; implicit-def: $vgpr30 : SGPR spill to VGPR lane
	v_mov_b32_e32 v2, v1
	s_waitcnt lgkmcnt(0)
	s_add_i32 s9, s9, -1
	s_sub_i32 s39, s9, s8
	v_writelane_b32 v30, s10, 0
	s_cmp_lg_u32 s8, 0
	v_writelane_b32 v30, s11, 1
                                        ; kill: killed $sgpr6 killed $sgpr7
	s_cbranch_scc0 .LBB148_1049
; %bb.1:
	s_lshl_b32 s33, s39, 6
	v_add3_u32 v1, v2, s33, 64
	v_ashrrev_i32_e32 v3, 31, v1
	v_mul_lo_u32 v7, s34, v3
	v_mul_lo_u32 v8, s35, v1
	v_mad_u64_u32 v[3:4], s[6:7], s34, v1, 0
	v_add_u32_e32 v5, s33, v0
	v_ashrrev_i32_e32 v6, 31, v5
	v_add3_u32 v4, v4, v7, v8
	v_lshlrev_b64 v[3:4], 3, v[3:4]
	v_mov_b32_e32 v7, s38
	v_add_co_u32_e64 v8, s[6:7], s99, v3
	v_addc_co_u32_e64 v7, s[6:7], v7, v4, s[6:7]
	v_lshlrev_b64 v[3:4], 3, v[5:6]
	v_cmp_gt_i32_e32 vcc, s30, v5
	v_add_co_u32_e64 v3, s[6:7], v8, v3
	v_addc_co_u32_e64 v4, s[6:7], v7, v4, s[6:7]
	v_max_i32_e32 v5, v5, v1
	v_cmp_le_i32_e64 s[6:7], s30, v5
	s_barrier
	s_and_saveexec_b64 s[10:11], s[6:7]
	s_xor_b64 s[6:7], exec, s[10:11]
	s_cbranch_execz .LBB148_3
; %bb.2:
	v_mov_b32_e32 v5, 0
	buffer_store_dword v5, off, s[0:3], 0
	buffer_store_dword v5, off, s[0:3], 0 offset:4
.LBB148_3:
	s_andn2_saveexec_b64 s[6:7], s[6:7]
	s_cbranch_execz .LBB148_5
; %bb.4:
	flat_load_dwordx2 v[5:6], v[3:4]
	s_waitcnt vmcnt(0) lgkmcnt(0)
	buffer_store_dword v6, off, s[0:3], 0 offset:4
	buffer_store_dword v5, off, s[0:3], 0
.LBB148_5:
	s_or_b64 exec, exec, s[6:7]
	v_add_u32_e32 v5, 16, v1
	v_cmp_le_i32_e64 s[6:7], s30, v5
	s_xor_b64 s[10:11], vcc, -1
	s_or_b64 s[6:7], s[10:11], s[6:7]
	s_waitcnt vmcnt(0)
	s_barrier
	s_and_saveexec_b64 s[12:13], s[6:7]
	s_xor_b64 s[6:7], exec, s[12:13]
	s_cbranch_execz .LBB148_7
; %bb.6:
	v_mov_b32_e32 v5, 0
	buffer_store_dword v5, off, s[0:3], 0 offset:8
	buffer_store_dword v5, off, s[0:3], 0 offset:12
.LBB148_7:
	s_andn2_saveexec_b64 s[6:7], s[6:7]
	s_cbranch_execz .LBB148_9
; %bb.8:
	s_lshl_b64 s[12:13], s[34:35], 7
	v_mov_b32_e32 v6, s13
	v_add_co_u32_e32 v5, vcc, s12, v3
	v_addc_co_u32_e32 v6, vcc, v4, v6, vcc
	flat_load_dwordx2 v[5:6], v[5:6]
	s_waitcnt vmcnt(0) lgkmcnt(0)
	buffer_store_dword v6, off, s[0:3], 0 offset:12
	buffer_store_dword v5, off, s[0:3], 0 offset:8
.LBB148_9:
	s_or_b64 exec, exec, s[6:7]
	v_add_u32_e32 v5, 32, v1
	v_cmp_le_i32_e32 vcc, s30, v5
	s_or_b64 s[6:7], s[10:11], vcc
	s_waitcnt vmcnt(0)
	s_barrier
	s_and_saveexec_b64 s[12:13], s[6:7]
	s_xor_b64 s[6:7], exec, s[12:13]
	s_cbranch_execz .LBB148_11
; %bb.10:
	v_mov_b32_e32 v5, 0
	buffer_store_dword v5, off, s[0:3], 0 offset:16
	buffer_store_dword v5, off, s[0:3], 0 offset:20
.LBB148_11:
	s_andn2_saveexec_b64 s[6:7], s[6:7]
	s_cbranch_execz .LBB148_13
; %bb.12:
	s_lshl_b64 s[12:13], s[34:35], 8
	v_mov_b32_e32 v6, s13
	v_add_co_u32_e32 v5, vcc, s12, v3
	v_addc_co_u32_e32 v6, vcc, v4, v6, vcc
	flat_load_dwordx2 v[5:6], v[5:6]
	s_waitcnt vmcnt(0) lgkmcnt(0)
	buffer_store_dword v6, off, s[0:3], 0 offset:20
	buffer_store_dword v5, off, s[0:3], 0 offset:16
.LBB148_13:
	s_or_b64 exec, exec, s[6:7]
	v_add_u32_e32 v1, 48, v1
	v_cmp_le_i32_e32 vcc, s30, v1
	s_or_b64 s[6:7], s[10:11], vcc
	s_waitcnt vmcnt(0)
	s_barrier
	s_and_saveexec_b64 s[10:11], s[6:7]
	s_xor_b64 s[6:7], exec, s[10:11]
	s_cbranch_execz .LBB148_15
; %bb.14:
	v_mov_b32_e32 v1, 0
	buffer_store_dword v1, off, s[0:3], 0 offset:24
	buffer_store_dword v1, off, s[0:3], 0 offset:28
                                        ; implicit-def: $vgpr3_vgpr4
.LBB148_15:
	s_andn2_saveexec_b64 s[6:7], s[6:7]
	s_cbranch_execz .LBB148_17
; %bb.16:
	v_mov_b32_e32 v1, 0x180
	v_mad_u64_u32 v[3:4], s[10:11], s34, v1, v[3:4]
	s_mul_i32 s10, s35, 0x180
	v_add_u32_e32 v4, s10, v4
	flat_load_dwordx2 v[3:4], v[3:4]
	s_waitcnt vmcnt(0) lgkmcnt(0)
	buffer_store_dword v4, off, s[0:3], 0 offset:28
	buffer_store_dword v3, off, s[0:3], 0 offset:24
.LBB148_17:
	s_or_b64 exec, exec, s[6:7]
	s_branch .LBB148_19
.LBB148_18:
	s_lshl_b32 s33, s39, 6
.LBB148_19:
	s_ashr_i32 s31, s30, 31
	s_lshr_b32 s6, s31, 26
	s_add_i32 s6, s30, s6
	s_andn2_b32 s6, s6, 63
	s_sub_i32 s98, s30, s6
	s_add_i32 s6, s30, -1
	s_ashr_i32 s7, s6, 31
	s_lshr_b32 s7, s7, 26
	s_add_i32 s6, s6, s7
	s_ashr_i32 s6, s6, 6
	s_cmp_eq_u32 s6, s39
	s_cselect_b64 s[6:7], -1, 0
	s_cmp_lg_u32 s98, 0
	s_cselect_b64 s[10:11], -1, 0
	s_and_b64 s[22:23], s[10:11], s[6:7]
	s_ashr_i32 s60, s33, 31
	s_add_u32 s12, s34, 1
	v_mov_b32_e32 v1, 0
	v_mov_b32_e32 v3, s33
	v_mad_u64_u32 v[3:4], s[6:7], s12, v3, v[0:1]
	s_addc_u32 s13, s35, 0
	s_mul_i32 s6, s12, s60
	s_mul_i32 s13, s13, s33
	s_add_i32 s6, s6, s13
	s_mov_b64 s[10:11], -1
	v_add_u32_e32 v4, s6, v4
	s_and_b64 vcc, exec, s[22:23]
	v_cmp_le_u32_e64 s[6:7], v2, v0
	v_lshl_add_u32 v1, v2, 6, v0
	s_cbranch_vccnz .LBB148_77
; %bb.20:
	v_mad_u64_u32 v[5:6], s[10:11], s34, v2, v[3:4]
	v_mad_u64_u32 v[6:7], s[10:11], s35, v2, v[6:7]
	s_and_saveexec_b64 s[10:11], s[6:7]
	s_xor_b64 s[6:7], exec, s[10:11]
	s_cbranch_execz .LBB148_32
; %bb.21:
	v_cmp_ne_u32_e32 vcc, v0, v2
	s_and_saveexec_b64 s[10:11], vcc
	s_xor_b64 s[10:11], exec, s[10:11]
	s_cbranch_execz .LBB148_25
; %bb.22:
	v_or_b32_e32 v5, v2, v0
	v_cmp_gt_u32_e32 vcc, 64, v5
	s_and_saveexec_b64 s[12:13], vcc
; %bb.23:
	v_mov_b32_e32 v5, 0
	v_lshlrev_b32_e32 v7, 3, v1
	v_mov_b32_e32 v6, v5
	ds_write_b64 v7, v[5:6]
; %bb.24:
	s_or_b64 exec, exec, s[12:13]
                                        ; implicit-def: $vgpr5_vgpr6
.LBB148_25:
	s_andn2_saveexec_b64 s[10:11], s[10:11]
	s_cbranch_execz .LBB148_31
; %bb.26:
	v_lshlrev_b64 v[5:6], 3, v[5:6]
	v_mov_b32_e32 v7, s38
	v_add_co_u32_e32 v5, vcc, s99, v5
	v_addc_co_u32_e32 v6, vcc, v7, v6, vcc
	flat_load_dwordx2 v[5:6], v[5:6]
                                        ; implicit-def: $vgpr7
	s_waitcnt vmcnt(0) lgkmcnt(0)
	v_cmp_ngt_f32_e64 s[12:13], |v5|, |v6|
	s_and_saveexec_b64 s[14:15], s[12:13]
	s_xor_b64 s[12:13], exec, s[14:15]
	s_cbranch_execz .LBB148_28
; %bb.27:
	v_div_scale_f32 v7, s[14:15], v6, v6, v5
	v_div_scale_f32 v8, vcc, v5, v6, v5
	v_rcp_f32_e32 v9, v7
	v_fma_f32 v10, -v7, v9, 1.0
	v_fmac_f32_e32 v9, v10, v9
	v_mul_f32_e32 v10, v8, v9
	v_fma_f32 v11, -v7, v10, v8
	v_fmac_f32_e32 v10, v11, v9
	v_fma_f32 v7, -v7, v10, v8
	v_div_fmas_f32 v7, v7, v9, v10
	v_div_fixup_f32 v7, v7, v6, v5
	v_fmac_f32_e32 v6, v5, v7
	v_div_scale_f32 v5, s[14:15], v6, v6, 1.0
	v_div_scale_f32 v8, vcc, 1.0, v6, 1.0
	v_rcp_f32_e32 v9, v5
	v_fma_f32 v10, -v5, v9, 1.0
	v_fmac_f32_e32 v9, v10, v9
	v_mul_f32_e32 v10, v8, v9
	v_fma_f32 v11, -v5, v10, v8
	v_fmac_f32_e32 v10, v11, v9
	v_fma_f32 v5, -v5, v10, v8
	v_div_fmas_f32 v5, v5, v9, v10
	v_div_fixup_f32 v5, v5, v6, 1.0
	v_mul_f32_e32 v7, v7, v5
	v_xor_b32_e32 v8, 0x80000000, v5
                                        ; implicit-def: $vgpr5_vgpr6
.LBB148_28:
	s_andn2_saveexec_b64 s[12:13], s[12:13]
	s_cbranch_execz .LBB148_30
; %bb.29:
	v_div_scale_f32 v7, s[14:15], v5, v5, v6
	v_div_scale_f32 v8, vcc, v6, v5, v6
	v_rcp_f32_e32 v9, v7
	v_fma_f32 v10, -v7, v9, 1.0
	v_fmac_f32_e32 v9, v10, v9
	v_mul_f32_e32 v10, v8, v9
	v_fma_f32 v11, -v7, v10, v8
	v_fmac_f32_e32 v10, v11, v9
	v_fma_f32 v7, -v7, v10, v8
	v_div_fmas_f32 v7, v7, v9, v10
	v_div_fixup_f32 v8, v7, v5, v6
	v_fmac_f32_e32 v5, v6, v8
	v_div_scale_f32 v6, s[14:15], v5, v5, 1.0
	v_div_scale_f32 v7, vcc, 1.0, v5, 1.0
	v_rcp_f32_e32 v9, v6
	v_fma_f32 v10, -v6, v9, 1.0
	v_fmac_f32_e32 v9, v10, v9
	v_mul_f32_e32 v10, v7, v9
	v_fma_f32 v11, -v6, v10, v7
	v_fmac_f32_e32 v10, v11, v9
	v_fma_f32 v6, -v6, v10, v7
	v_div_fmas_f32 v6, v6, v9, v10
	v_div_fixup_f32 v7, v6, v5, 1.0
	v_mul_f32_e64 v8, v8, -v7
.LBB148_30:
	s_or_b64 exec, exec, s[12:13]
	v_lshlrev_b32_e32 v5, 3, v1
	ds_write_b64 v5, v[7:8]
.LBB148_31:
	s_or_b64 exec, exec, s[10:11]
                                        ; implicit-def: $vgpr5_vgpr6
.LBB148_32:
	s_andn2_saveexec_b64 s[6:7], s[6:7]
	s_cbranch_execz .LBB148_34
; %bb.33:
	v_lshlrev_b64 v[5:6], 3, v[5:6]
	v_mov_b32_e32 v7, s38
	v_add_co_u32_e32 v5, vcc, s99, v5
	v_addc_co_u32_e32 v6, vcc, v7, v6, vcc
	flat_load_dwordx2 v[5:6], v[5:6]
	v_lshlrev_b32_e32 v7, 3, v1
	s_waitcnt vmcnt(0) lgkmcnt(0)
	v_xor_b32_e32 v5, 0x80000000, v5
	v_xor_b32_e32 v6, 0x80000000, v6
	ds_write_b64 v7, v[5:6]
.LBB148_34:
	s_or_b64 exec, exec, s[6:7]
	v_add_u32_e32 v7, 16, v2
	v_mad_u64_u32 v[5:6], s[6:7], s34, v7, v[3:4]
	v_cmp_le_u32_e32 vcc, v7, v0
	v_mad_u64_u32 v[8:9], s[6:7], s35, v7, v[6:7]
	v_lshl_add_u32 v9, v7, 6, v0
	v_mov_b32_e32 v6, v8
	s_and_saveexec_b64 s[6:7], vcc
	s_xor_b64 s[6:7], exec, s[6:7]
	s_cbranch_execz .LBB148_46
; %bb.35:
	v_cmp_ne_u32_e32 vcc, v0, v7
	s_and_saveexec_b64 s[10:11], vcc
	s_xor_b64 s[10:11], exec, s[10:11]
	s_cbranch_execz .LBB148_39
; %bb.36:
	v_or_b32_e32 v5, v7, v0
	v_cmp_gt_u32_e32 vcc, 64, v5
	s_and_saveexec_b64 s[12:13], vcc
; %bb.37:
	v_mov_b32_e32 v5, 0
	v_lshlrev_b32_e32 v7, 3, v9
	v_mov_b32_e32 v6, v5
	ds_write_b64 v7, v[5:6]
; %bb.38:
	s_or_b64 exec, exec, s[12:13]
                                        ; implicit-def: $vgpr9
                                        ; implicit-def: $vgpr5_vgpr6
.LBB148_39:
	s_andn2_saveexec_b64 s[10:11], s[10:11]
	s_cbranch_execz .LBB148_45
; %bb.40:
	v_lshlrev_b64 v[5:6], 3, v[5:6]
	v_mov_b32_e32 v7, s38
	v_add_co_u32_e32 v5, vcc, s99, v5
	v_addc_co_u32_e32 v6, vcc, v7, v6, vcc
	flat_load_dwordx2 v[5:6], v[5:6]
                                        ; implicit-def: $vgpr7
	s_waitcnt vmcnt(0) lgkmcnt(0)
	v_cmp_ngt_f32_e64 s[12:13], |v5|, |v6|
	s_and_saveexec_b64 s[14:15], s[12:13]
	s_xor_b64 s[12:13], exec, s[14:15]
	s_cbranch_execz .LBB148_42
; %bb.41:
	v_div_scale_f32 v7, s[14:15], v6, v6, v5
	v_div_scale_f32 v8, vcc, v5, v6, v5
	v_rcp_f32_e32 v10, v7
	v_fma_f32 v11, -v7, v10, 1.0
	v_fmac_f32_e32 v10, v11, v10
	v_mul_f32_e32 v11, v8, v10
	v_fma_f32 v12, -v7, v11, v8
	v_fmac_f32_e32 v11, v12, v10
	v_fma_f32 v7, -v7, v11, v8
	v_div_fmas_f32 v7, v7, v10, v11
	v_div_fixup_f32 v7, v7, v6, v5
	v_fmac_f32_e32 v6, v5, v7
	v_div_scale_f32 v5, s[14:15], v6, v6, 1.0
	v_div_scale_f32 v8, vcc, 1.0, v6, 1.0
	v_rcp_f32_e32 v10, v5
	v_fma_f32 v11, -v5, v10, 1.0
	v_fmac_f32_e32 v10, v11, v10
	v_mul_f32_e32 v11, v8, v10
	v_fma_f32 v12, -v5, v11, v8
	v_fmac_f32_e32 v11, v12, v10
	v_fma_f32 v5, -v5, v11, v8
	v_div_fmas_f32 v5, v5, v10, v11
	v_div_fixup_f32 v5, v5, v6, 1.0
	v_mul_f32_e32 v7, v7, v5
	v_xor_b32_e32 v8, 0x80000000, v5
                                        ; implicit-def: $vgpr5_vgpr6
.LBB148_42:
	s_andn2_saveexec_b64 s[12:13], s[12:13]
	s_cbranch_execz .LBB148_44
; %bb.43:
	v_div_scale_f32 v7, s[14:15], v5, v5, v6
	v_div_scale_f32 v8, vcc, v6, v5, v6
	v_rcp_f32_e32 v10, v7
	v_fma_f32 v11, -v7, v10, 1.0
	v_fmac_f32_e32 v10, v11, v10
	v_mul_f32_e32 v11, v8, v10
	v_fma_f32 v12, -v7, v11, v8
	v_fmac_f32_e32 v11, v12, v10
	v_fma_f32 v7, -v7, v11, v8
	v_div_fmas_f32 v7, v7, v10, v11
	v_div_fixup_f32 v8, v7, v5, v6
	v_fmac_f32_e32 v5, v6, v8
	v_div_scale_f32 v6, s[14:15], v5, v5, 1.0
	v_div_scale_f32 v7, vcc, 1.0, v5, 1.0
	v_rcp_f32_e32 v10, v6
	v_fma_f32 v11, -v6, v10, 1.0
	v_fmac_f32_e32 v10, v11, v10
	v_mul_f32_e32 v11, v7, v10
	v_fma_f32 v12, -v6, v11, v7
	v_fmac_f32_e32 v11, v12, v10
	v_fma_f32 v6, -v6, v11, v7
	v_div_fmas_f32 v6, v6, v10, v11
	v_div_fixup_f32 v7, v6, v5, 1.0
	v_mul_f32_e64 v8, v8, -v7
.LBB148_44:
	s_or_b64 exec, exec, s[12:13]
	v_lshlrev_b32_e32 v5, 3, v9
	ds_write_b64 v5, v[7:8]
.LBB148_45:
	s_or_b64 exec, exec, s[10:11]
                                        ; implicit-def: $vgpr5_vgpr6
                                        ; implicit-def: $vgpr9
.LBB148_46:
	s_andn2_saveexec_b64 s[6:7], s[6:7]
	s_cbranch_execz .LBB148_48
; %bb.47:
	v_lshlrev_b64 v[5:6], 3, v[5:6]
	v_mov_b32_e32 v7, s38
	v_add_co_u32_e32 v5, vcc, s99, v5
	v_addc_co_u32_e32 v6, vcc, v7, v6, vcc
	flat_load_dwordx2 v[5:6], v[5:6]
	v_lshlrev_b32_e32 v7, 3, v9
	s_waitcnt vmcnt(0) lgkmcnt(0)
	v_xor_b32_e32 v5, 0x80000000, v5
	v_xor_b32_e32 v6, 0x80000000, v6
	ds_write_b64 v7, v[5:6]
.LBB148_48:
	s_or_b64 exec, exec, s[6:7]
	v_add_u32_e32 v7, 32, v2
	v_mad_u64_u32 v[5:6], s[6:7], s34, v7, v[3:4]
	v_cmp_le_u32_e32 vcc, v7, v0
	v_mad_u64_u32 v[8:9], s[6:7], s35, v7, v[6:7]
	v_lshl_add_u32 v9, v7, 6, v0
	v_mov_b32_e32 v6, v8
	s_and_saveexec_b64 s[6:7], vcc
	s_xor_b64 s[6:7], exec, s[6:7]
	s_cbranch_execz .LBB148_60
; %bb.49:
	v_cmp_ne_u32_e32 vcc, v0, v7
	s_and_saveexec_b64 s[10:11], vcc
	s_xor_b64 s[10:11], exec, s[10:11]
	s_cbranch_execz .LBB148_53
; %bb.50:
	v_or_b32_e32 v5, v7, v0
	v_cmp_gt_u32_e32 vcc, 64, v5
	s_and_saveexec_b64 s[12:13], vcc
; %bb.51:
	v_mov_b32_e32 v5, 0
	v_lshlrev_b32_e32 v7, 3, v9
	v_mov_b32_e32 v6, v5
	ds_write_b64 v7, v[5:6]
; %bb.52:
	s_or_b64 exec, exec, s[12:13]
                                        ; implicit-def: $vgpr9
                                        ; implicit-def: $vgpr5_vgpr6
.LBB148_53:
	s_andn2_saveexec_b64 s[10:11], s[10:11]
	s_cbranch_execz .LBB148_59
; %bb.54:
	v_lshlrev_b64 v[5:6], 3, v[5:6]
	v_mov_b32_e32 v7, s38
	v_add_co_u32_e32 v5, vcc, s99, v5
	v_addc_co_u32_e32 v6, vcc, v7, v6, vcc
	flat_load_dwordx2 v[5:6], v[5:6]
                                        ; implicit-def: $vgpr7
	s_waitcnt vmcnt(0) lgkmcnt(0)
	v_cmp_ngt_f32_e64 s[12:13], |v5|, |v6|
	s_and_saveexec_b64 s[14:15], s[12:13]
	s_xor_b64 s[12:13], exec, s[14:15]
	s_cbranch_execz .LBB148_56
; %bb.55:
	v_div_scale_f32 v7, s[14:15], v6, v6, v5
	v_div_scale_f32 v8, vcc, v5, v6, v5
	v_rcp_f32_e32 v10, v7
	v_fma_f32 v11, -v7, v10, 1.0
	v_fmac_f32_e32 v10, v11, v10
	v_mul_f32_e32 v11, v8, v10
	v_fma_f32 v12, -v7, v11, v8
	v_fmac_f32_e32 v11, v12, v10
	v_fma_f32 v7, -v7, v11, v8
	v_div_fmas_f32 v7, v7, v10, v11
	v_div_fixup_f32 v7, v7, v6, v5
	v_fmac_f32_e32 v6, v5, v7
	v_div_scale_f32 v5, s[14:15], v6, v6, 1.0
	v_div_scale_f32 v8, vcc, 1.0, v6, 1.0
	v_rcp_f32_e32 v10, v5
	v_fma_f32 v11, -v5, v10, 1.0
	v_fmac_f32_e32 v10, v11, v10
	v_mul_f32_e32 v11, v8, v10
	v_fma_f32 v12, -v5, v11, v8
	v_fmac_f32_e32 v11, v12, v10
	v_fma_f32 v5, -v5, v11, v8
	v_div_fmas_f32 v5, v5, v10, v11
	v_div_fixup_f32 v5, v5, v6, 1.0
	v_mul_f32_e32 v7, v7, v5
	v_xor_b32_e32 v8, 0x80000000, v5
                                        ; implicit-def: $vgpr5_vgpr6
.LBB148_56:
	s_andn2_saveexec_b64 s[12:13], s[12:13]
	s_cbranch_execz .LBB148_58
; %bb.57:
	v_div_scale_f32 v7, s[14:15], v5, v5, v6
	v_div_scale_f32 v8, vcc, v6, v5, v6
	v_rcp_f32_e32 v10, v7
	v_fma_f32 v11, -v7, v10, 1.0
	v_fmac_f32_e32 v10, v11, v10
	v_mul_f32_e32 v11, v8, v10
	v_fma_f32 v12, -v7, v11, v8
	v_fmac_f32_e32 v11, v12, v10
	v_fma_f32 v7, -v7, v11, v8
	v_div_fmas_f32 v7, v7, v10, v11
	v_div_fixup_f32 v8, v7, v5, v6
	v_fmac_f32_e32 v5, v6, v8
	v_div_scale_f32 v6, s[14:15], v5, v5, 1.0
	v_div_scale_f32 v7, vcc, 1.0, v5, 1.0
	v_rcp_f32_e32 v10, v6
	v_fma_f32 v11, -v6, v10, 1.0
	v_fmac_f32_e32 v10, v11, v10
	v_mul_f32_e32 v11, v7, v10
	v_fma_f32 v12, -v6, v11, v7
	v_fmac_f32_e32 v11, v12, v10
	v_fma_f32 v6, -v6, v11, v7
	v_div_fmas_f32 v6, v6, v10, v11
	v_div_fixup_f32 v7, v6, v5, 1.0
	v_mul_f32_e64 v8, v8, -v7
.LBB148_58:
	s_or_b64 exec, exec, s[12:13]
	v_lshlrev_b32_e32 v5, 3, v9
	ds_write_b64 v5, v[7:8]
.LBB148_59:
	s_or_b64 exec, exec, s[10:11]
                                        ; implicit-def: $vgpr5_vgpr6
                                        ; implicit-def: $vgpr9
.LBB148_60:
	s_andn2_saveexec_b64 s[6:7], s[6:7]
	s_cbranch_execz .LBB148_62
; %bb.61:
	v_lshlrev_b64 v[5:6], 3, v[5:6]
	v_mov_b32_e32 v7, s38
	v_add_co_u32_e32 v5, vcc, s99, v5
	v_addc_co_u32_e32 v6, vcc, v7, v6, vcc
	flat_load_dwordx2 v[5:6], v[5:6]
	v_lshlrev_b32_e32 v7, 3, v9
	s_waitcnt vmcnt(0) lgkmcnt(0)
	v_xor_b32_e32 v5, 0x80000000, v5
	v_xor_b32_e32 v6, 0x80000000, v6
	ds_write_b64 v7, v[5:6]
.LBB148_62:
	s_or_b64 exec, exec, s[6:7]
	v_add_u32_e32 v7, 48, v2
	v_mad_u64_u32 v[5:6], s[6:7], s34, v7, v[3:4]
	v_cmp_le_u32_e32 vcc, v7, v0
	v_mad_u64_u32 v[8:9], s[6:7], s35, v7, v[6:7]
	v_lshl_add_u32 v9, v7, 6, v0
	v_mov_b32_e32 v6, v8
	s_and_saveexec_b64 s[6:7], vcc
	s_xor_b64 s[6:7], exec, s[6:7]
	s_cbranch_execz .LBB148_74
; %bb.63:
	v_cmp_ne_u32_e32 vcc, v0, v7
	s_and_saveexec_b64 s[10:11], vcc
	s_xor_b64 s[10:11], exec, s[10:11]
	s_cbranch_execz .LBB148_67
; %bb.64:
	v_or_b32_e32 v5, v7, v0
	v_cmp_gt_u32_e32 vcc, 64, v5
	s_and_saveexec_b64 s[12:13], vcc
; %bb.65:
	v_mov_b32_e32 v5, 0
	v_lshlrev_b32_e32 v7, 3, v9
	v_mov_b32_e32 v6, v5
	ds_write_b64 v7, v[5:6]
; %bb.66:
	s_or_b64 exec, exec, s[12:13]
                                        ; implicit-def: $vgpr9
                                        ; implicit-def: $vgpr5_vgpr6
.LBB148_67:
	s_andn2_saveexec_b64 s[10:11], s[10:11]
	s_cbranch_execz .LBB148_73
; %bb.68:
	v_lshlrev_b64 v[5:6], 3, v[5:6]
	v_mov_b32_e32 v7, s38
	v_add_co_u32_e32 v5, vcc, s99, v5
	v_addc_co_u32_e32 v6, vcc, v7, v6, vcc
	flat_load_dwordx2 v[5:6], v[5:6]
                                        ; implicit-def: $vgpr7
	s_waitcnt vmcnt(0) lgkmcnt(0)
	v_cmp_ngt_f32_e64 s[12:13], |v5|, |v6|
	s_and_saveexec_b64 s[14:15], s[12:13]
	s_xor_b64 s[12:13], exec, s[14:15]
	s_cbranch_execz .LBB148_70
; %bb.69:
	v_div_scale_f32 v7, s[14:15], v6, v6, v5
	v_div_scale_f32 v8, vcc, v5, v6, v5
	v_rcp_f32_e32 v10, v7
	v_fma_f32 v11, -v7, v10, 1.0
	v_fmac_f32_e32 v10, v11, v10
	v_mul_f32_e32 v11, v8, v10
	v_fma_f32 v12, -v7, v11, v8
	v_fmac_f32_e32 v11, v12, v10
	v_fma_f32 v7, -v7, v11, v8
	v_div_fmas_f32 v7, v7, v10, v11
	v_div_fixup_f32 v7, v7, v6, v5
	v_fmac_f32_e32 v6, v5, v7
	v_div_scale_f32 v5, s[14:15], v6, v6, 1.0
	v_div_scale_f32 v8, vcc, 1.0, v6, 1.0
	v_rcp_f32_e32 v10, v5
	v_fma_f32 v11, -v5, v10, 1.0
	v_fmac_f32_e32 v10, v11, v10
	v_mul_f32_e32 v11, v8, v10
	v_fma_f32 v12, -v5, v11, v8
	v_fmac_f32_e32 v11, v12, v10
	v_fma_f32 v5, -v5, v11, v8
	v_div_fmas_f32 v5, v5, v10, v11
	v_div_fixup_f32 v5, v5, v6, 1.0
	v_mul_f32_e32 v7, v7, v5
	v_xor_b32_e32 v8, 0x80000000, v5
                                        ; implicit-def: $vgpr5_vgpr6
.LBB148_70:
	s_andn2_saveexec_b64 s[12:13], s[12:13]
	s_cbranch_execz .LBB148_72
; %bb.71:
	v_div_scale_f32 v7, s[14:15], v5, v5, v6
	v_div_scale_f32 v8, vcc, v6, v5, v6
	v_rcp_f32_e32 v10, v7
	v_fma_f32 v11, -v7, v10, 1.0
	v_fmac_f32_e32 v10, v11, v10
	v_mul_f32_e32 v11, v8, v10
	v_fma_f32 v12, -v7, v11, v8
	v_fmac_f32_e32 v11, v12, v10
	v_fma_f32 v7, -v7, v11, v8
	v_div_fmas_f32 v7, v7, v10, v11
	v_div_fixup_f32 v8, v7, v5, v6
	v_fmac_f32_e32 v5, v6, v8
	v_div_scale_f32 v6, s[14:15], v5, v5, 1.0
	v_div_scale_f32 v7, vcc, 1.0, v5, 1.0
	v_rcp_f32_e32 v10, v6
	v_fma_f32 v11, -v6, v10, 1.0
	v_fmac_f32_e32 v10, v11, v10
	v_mul_f32_e32 v11, v7, v10
	v_fma_f32 v12, -v6, v11, v7
	v_fmac_f32_e32 v11, v12, v10
	v_fma_f32 v6, -v6, v11, v7
	v_div_fmas_f32 v6, v6, v10, v11
	v_div_fixup_f32 v7, v6, v5, 1.0
	v_mul_f32_e64 v8, v8, -v7
.LBB148_72:
	s_or_b64 exec, exec, s[12:13]
	v_lshlrev_b32_e32 v5, 3, v9
	ds_write_b64 v5, v[7:8]
.LBB148_73:
	s_or_b64 exec, exec, s[10:11]
                                        ; implicit-def: $vgpr5_vgpr6
                                        ; implicit-def: $vgpr9
.LBB148_74:
	s_andn2_saveexec_b64 s[6:7], s[6:7]
	s_cbranch_execz .LBB148_76
; %bb.75:
	v_lshlrev_b64 v[5:6], 3, v[5:6]
	v_mov_b32_e32 v7, s38
	v_add_co_u32_e32 v5, vcc, s99, v5
	v_addc_co_u32_e32 v6, vcc, v7, v6, vcc
	flat_load_dwordx2 v[5:6], v[5:6]
	v_lshlrev_b32_e32 v7, 3, v9
	s_waitcnt vmcnt(0) lgkmcnt(0)
	v_xor_b32_e32 v5, 0x80000000, v5
	v_xor_b32_e32 v6, 0x80000000, v6
	ds_write_b64 v7, v[5:6]
.LBB148_76:
	s_or_b64 exec, exec, s[6:7]
	s_mov_b64 s[10:11], 0
.LBB148_77:
	s_and_b64 vcc, exec, s[10:11]
	s_cbranch_vccz .LBB148_135
; %bb.78:
	v_mad_u64_u32 v[5:6], s[6:7], s34, v2, v[3:4]
	v_cmp_le_u32_e32 vcc, v2, v0
	v_cmp_gt_i32_e64 s[6:7], s98, v0
	v_mad_u64_u32 v[6:7], s[10:11], s35, v2, v[6:7]
	v_max_i32_e32 v7, v2, v0
	v_cmp_le_i32_e64 s[10:11], s98, v7
	s_or_b64 s[10:11], s[10:11], vcc
	s_and_saveexec_b64 s[12:13], s[10:11]
	s_xor_b64 s[10:11], exec, s[12:13]
	s_cbranch_execz .LBB148_90
; %bb.79:
	v_cmp_ne_u32_e32 vcc, v0, v2
	s_xor_b64 s[12:13], s[6:7], -1
	s_or_b64 s[12:13], s[12:13], vcc
	s_and_saveexec_b64 s[14:15], s[12:13]
	s_xor_b64 s[12:13], exec, s[14:15]
	s_cbranch_execz .LBB148_83
; %bb.80:
	v_or_b32_e32 v5, v2, v0
	v_cmp_gt_u32_e32 vcc, 64, v5
	s_and_saveexec_b64 s[14:15], vcc
; %bb.81:
	v_mov_b32_e32 v5, 0
	v_lshlrev_b32_e32 v7, 3, v1
	v_mov_b32_e32 v6, v5
	ds_write_b64 v7, v[5:6]
; %bb.82:
	s_or_b64 exec, exec, s[14:15]
                                        ; implicit-def: $vgpr5_vgpr6
.LBB148_83:
	s_andn2_saveexec_b64 s[12:13], s[12:13]
	s_cbranch_execz .LBB148_89
; %bb.84:
	v_lshlrev_b64 v[5:6], 3, v[5:6]
	v_mov_b32_e32 v7, s38
	v_add_co_u32_e32 v5, vcc, s99, v5
	v_addc_co_u32_e32 v6, vcc, v7, v6, vcc
	flat_load_dwordx2 v[5:6], v[5:6]
                                        ; implicit-def: $vgpr7
	s_waitcnt vmcnt(0) lgkmcnt(0)
	v_cmp_ngt_f32_e64 s[14:15], |v5|, |v6|
	s_and_saveexec_b64 s[16:17], s[14:15]
	s_xor_b64 s[14:15], exec, s[16:17]
	s_cbranch_execz .LBB148_86
; %bb.85:
	v_div_scale_f32 v7, s[16:17], v6, v6, v5
	v_div_scale_f32 v8, vcc, v5, v6, v5
	v_rcp_f32_e32 v9, v7
	v_fma_f32 v10, -v7, v9, 1.0
	v_fmac_f32_e32 v9, v10, v9
	v_mul_f32_e32 v10, v8, v9
	v_fma_f32 v11, -v7, v10, v8
	v_fmac_f32_e32 v10, v11, v9
	v_fma_f32 v7, -v7, v10, v8
	v_div_fmas_f32 v7, v7, v9, v10
	v_div_fixup_f32 v7, v7, v6, v5
	v_fmac_f32_e32 v6, v5, v7
	v_div_scale_f32 v5, s[16:17], v6, v6, 1.0
	v_div_scale_f32 v8, vcc, 1.0, v6, 1.0
	v_rcp_f32_e32 v9, v5
	v_fma_f32 v10, -v5, v9, 1.0
	v_fmac_f32_e32 v9, v10, v9
	v_mul_f32_e32 v10, v8, v9
	v_fma_f32 v11, -v5, v10, v8
	v_fmac_f32_e32 v10, v11, v9
	v_fma_f32 v5, -v5, v10, v8
	v_div_fmas_f32 v5, v5, v9, v10
	v_div_fixup_f32 v5, v5, v6, 1.0
	v_mul_f32_e32 v7, v7, v5
	v_xor_b32_e32 v8, 0x80000000, v5
                                        ; implicit-def: $vgpr5_vgpr6
.LBB148_86:
	s_andn2_saveexec_b64 s[14:15], s[14:15]
	s_cbranch_execz .LBB148_88
; %bb.87:
	v_div_scale_f32 v7, s[16:17], v5, v5, v6
	v_div_scale_f32 v8, vcc, v6, v5, v6
	v_rcp_f32_e32 v9, v7
	v_fma_f32 v10, -v7, v9, 1.0
	v_fmac_f32_e32 v9, v10, v9
	v_mul_f32_e32 v10, v8, v9
	v_fma_f32 v11, -v7, v10, v8
	v_fmac_f32_e32 v10, v11, v9
	v_fma_f32 v7, -v7, v10, v8
	v_div_fmas_f32 v7, v7, v9, v10
	v_div_fixup_f32 v8, v7, v5, v6
	v_fmac_f32_e32 v5, v6, v8
	v_div_scale_f32 v6, s[16:17], v5, v5, 1.0
	v_div_scale_f32 v7, vcc, 1.0, v5, 1.0
	v_rcp_f32_e32 v9, v6
	v_fma_f32 v10, -v6, v9, 1.0
	v_fmac_f32_e32 v9, v10, v9
	v_mul_f32_e32 v10, v7, v9
	v_fma_f32 v11, -v6, v10, v7
	v_fmac_f32_e32 v10, v11, v9
	v_fma_f32 v6, -v6, v10, v7
	v_div_fmas_f32 v6, v6, v9, v10
	v_div_fixup_f32 v7, v6, v5, 1.0
	v_mul_f32_e64 v8, v8, -v7
.LBB148_88:
	s_or_b64 exec, exec, s[14:15]
	v_lshlrev_b32_e32 v5, 3, v1
	ds_write_b64 v5, v[7:8]
.LBB148_89:
	s_or_b64 exec, exec, s[12:13]
                                        ; implicit-def: $vgpr5_vgpr6
.LBB148_90:
	s_andn2_saveexec_b64 s[10:11], s[10:11]
	s_cbranch_execz .LBB148_92
; %bb.91:
	v_lshlrev_b64 v[5:6], 3, v[5:6]
	v_mov_b32_e32 v7, s38
	v_add_co_u32_e32 v5, vcc, s99, v5
	v_addc_co_u32_e32 v6, vcc, v7, v6, vcc
	flat_load_dwordx2 v[5:6], v[5:6]
	v_lshlrev_b32_e32 v7, 3, v1
	s_waitcnt vmcnt(0) lgkmcnt(0)
	v_xor_b32_e32 v5, 0x80000000, v5
	v_xor_b32_e32 v6, 0x80000000, v6
	ds_write_b64 v7, v[5:6]
.LBB148_92:
	s_or_b64 exec, exec, s[10:11]
	v_add_u32_e32 v7, 16, v2
	v_mad_u64_u32 v[5:6], s[10:11], s34, v7, v[3:4]
	v_cmp_gt_u32_e32 vcc, v7, v0
	v_lshl_add_u32 v9, v7, 6, v0
	v_mad_u64_u32 v[10:11], s[10:11], s35, v7, v[6:7]
	v_cmp_gt_i32_e64 s[10:11], s98, v7
	s_and_b64 s[10:11], vcc, s[10:11]
	s_and_b64 s[10:11], s[6:7], s[10:11]
	v_mov_b32_e32 v6, v10
	s_xor_b64 s[10:11], s[10:11], -1
	s_and_saveexec_b64 s[12:13], s[10:11]
	s_xor_b64 s[10:11], exec, s[12:13]
	s_cbranch_execz .LBB148_104
; %bb.93:
	v_cmp_ne_u32_e32 vcc, v0, v7
	s_xor_b64 s[12:13], s[6:7], -1
	s_or_b64 s[12:13], s[12:13], vcc
	s_and_saveexec_b64 s[14:15], s[12:13]
	s_xor_b64 s[12:13], exec, s[14:15]
	s_cbranch_execz .LBB148_97
; %bb.94:
	v_or_b32_e32 v5, v7, v0
	v_cmp_gt_u32_e32 vcc, 64, v5
	s_and_saveexec_b64 s[14:15], vcc
; %bb.95:
	v_mov_b32_e32 v5, 0
	v_lshlrev_b32_e32 v7, 3, v9
	v_mov_b32_e32 v6, v5
	ds_write_b64 v7, v[5:6]
; %bb.96:
	s_or_b64 exec, exec, s[14:15]
                                        ; implicit-def: $vgpr9
                                        ; implicit-def: $vgpr5_vgpr6
.LBB148_97:
	s_andn2_saveexec_b64 s[12:13], s[12:13]
	s_cbranch_execz .LBB148_103
; %bb.98:
	v_lshlrev_b64 v[5:6], 3, v[5:6]
	v_mov_b32_e32 v7, s38
	v_add_co_u32_e32 v5, vcc, s99, v5
	v_addc_co_u32_e32 v6, vcc, v7, v6, vcc
	flat_load_dwordx2 v[5:6], v[5:6]
                                        ; implicit-def: $vgpr7
	s_waitcnt vmcnt(0) lgkmcnt(0)
	v_cmp_ngt_f32_e64 s[14:15], |v5|, |v6|
	s_and_saveexec_b64 s[16:17], s[14:15]
	s_xor_b64 s[14:15], exec, s[16:17]
	s_cbranch_execz .LBB148_100
; %bb.99:
	v_div_scale_f32 v7, s[16:17], v6, v6, v5
	v_div_scale_f32 v8, vcc, v5, v6, v5
	v_rcp_f32_e32 v10, v7
	v_fma_f32 v11, -v7, v10, 1.0
	v_fmac_f32_e32 v10, v11, v10
	v_mul_f32_e32 v11, v8, v10
	v_fma_f32 v12, -v7, v11, v8
	v_fmac_f32_e32 v11, v12, v10
	v_fma_f32 v7, -v7, v11, v8
	v_div_fmas_f32 v7, v7, v10, v11
	v_div_fixup_f32 v7, v7, v6, v5
	v_fmac_f32_e32 v6, v5, v7
	v_div_scale_f32 v5, s[16:17], v6, v6, 1.0
	v_div_scale_f32 v8, vcc, 1.0, v6, 1.0
	v_rcp_f32_e32 v10, v5
	v_fma_f32 v11, -v5, v10, 1.0
	v_fmac_f32_e32 v10, v11, v10
	v_mul_f32_e32 v11, v8, v10
	v_fma_f32 v12, -v5, v11, v8
	v_fmac_f32_e32 v11, v12, v10
	v_fma_f32 v5, -v5, v11, v8
	v_div_fmas_f32 v5, v5, v10, v11
	v_div_fixup_f32 v5, v5, v6, 1.0
	v_mul_f32_e32 v7, v7, v5
	v_xor_b32_e32 v8, 0x80000000, v5
                                        ; implicit-def: $vgpr5_vgpr6
.LBB148_100:
	s_andn2_saveexec_b64 s[14:15], s[14:15]
	s_cbranch_execz .LBB148_102
; %bb.101:
	v_div_scale_f32 v7, s[16:17], v5, v5, v6
	v_div_scale_f32 v8, vcc, v6, v5, v6
	v_rcp_f32_e32 v10, v7
	v_fma_f32 v11, -v7, v10, 1.0
	v_fmac_f32_e32 v10, v11, v10
	v_mul_f32_e32 v11, v8, v10
	v_fma_f32 v12, -v7, v11, v8
	v_fmac_f32_e32 v11, v12, v10
	v_fma_f32 v7, -v7, v11, v8
	v_div_fmas_f32 v7, v7, v10, v11
	v_div_fixup_f32 v8, v7, v5, v6
	v_fmac_f32_e32 v5, v6, v8
	v_div_scale_f32 v6, s[16:17], v5, v5, 1.0
	v_div_scale_f32 v7, vcc, 1.0, v5, 1.0
	v_rcp_f32_e32 v10, v6
	v_fma_f32 v11, -v6, v10, 1.0
	v_fmac_f32_e32 v10, v11, v10
	v_mul_f32_e32 v11, v7, v10
	v_fma_f32 v12, -v6, v11, v7
	v_fmac_f32_e32 v11, v12, v10
	v_fma_f32 v6, -v6, v11, v7
	v_div_fmas_f32 v6, v6, v10, v11
	v_div_fixup_f32 v7, v6, v5, 1.0
	v_mul_f32_e64 v8, v8, -v7
.LBB148_102:
	s_or_b64 exec, exec, s[14:15]
	v_lshlrev_b32_e32 v5, 3, v9
	ds_write_b64 v5, v[7:8]
.LBB148_103:
	s_or_b64 exec, exec, s[12:13]
                                        ; implicit-def: $vgpr5_vgpr6
                                        ; implicit-def: $vgpr9
.LBB148_104:
	s_andn2_saveexec_b64 s[10:11], s[10:11]
	s_cbranch_execz .LBB148_106
; %bb.105:
	v_lshlrev_b64 v[5:6], 3, v[5:6]
	v_mov_b32_e32 v7, s38
	v_add_co_u32_e32 v5, vcc, s99, v5
	v_addc_co_u32_e32 v6, vcc, v7, v6, vcc
	flat_load_dwordx2 v[5:6], v[5:6]
	v_lshlrev_b32_e32 v7, 3, v9
	s_waitcnt vmcnt(0) lgkmcnt(0)
	v_xor_b32_e32 v5, 0x80000000, v5
	v_xor_b32_e32 v6, 0x80000000, v6
	ds_write_b64 v7, v[5:6]
.LBB148_106:
	s_or_b64 exec, exec, s[10:11]
	v_add_u32_e32 v7, 32, v2
	v_mad_u64_u32 v[5:6], s[10:11], s34, v7, v[3:4]
	v_cmp_gt_u32_e32 vcc, v7, v0
	v_lshl_add_u32 v9, v7, 6, v0
	v_mad_u64_u32 v[10:11], s[10:11], s35, v7, v[6:7]
	v_cmp_gt_i32_e64 s[10:11], s98, v7
	s_and_b64 s[10:11], vcc, s[10:11]
	s_and_b64 s[10:11], s[6:7], s[10:11]
	v_mov_b32_e32 v6, v10
	s_xor_b64 s[10:11], s[10:11], -1
	s_and_saveexec_b64 s[12:13], s[10:11]
	s_xor_b64 s[10:11], exec, s[12:13]
	s_cbranch_execz .LBB148_118
; %bb.107:
	v_cmp_ne_u32_e32 vcc, v0, v7
	s_xor_b64 s[12:13], s[6:7], -1
	s_or_b64 s[12:13], s[12:13], vcc
	s_and_saveexec_b64 s[14:15], s[12:13]
	s_xor_b64 s[12:13], exec, s[14:15]
	s_cbranch_execz .LBB148_111
; %bb.108:
	v_or_b32_e32 v5, v7, v0
	v_cmp_gt_u32_e32 vcc, 64, v5
	s_and_saveexec_b64 s[14:15], vcc
; %bb.109:
	v_mov_b32_e32 v5, 0
	v_lshlrev_b32_e32 v7, 3, v9
	v_mov_b32_e32 v6, v5
	ds_write_b64 v7, v[5:6]
; %bb.110:
	s_or_b64 exec, exec, s[14:15]
                                        ; implicit-def: $vgpr9
                                        ; implicit-def: $vgpr5_vgpr6
.LBB148_111:
	s_andn2_saveexec_b64 s[12:13], s[12:13]
	s_cbranch_execz .LBB148_117
; %bb.112:
	v_lshlrev_b64 v[5:6], 3, v[5:6]
	v_mov_b32_e32 v7, s38
	v_add_co_u32_e32 v5, vcc, s99, v5
	v_addc_co_u32_e32 v6, vcc, v7, v6, vcc
	flat_load_dwordx2 v[5:6], v[5:6]
                                        ; implicit-def: $vgpr7
	s_waitcnt vmcnt(0) lgkmcnt(0)
	v_cmp_ngt_f32_e64 s[14:15], |v5|, |v6|
	s_and_saveexec_b64 s[16:17], s[14:15]
	s_xor_b64 s[14:15], exec, s[16:17]
	s_cbranch_execz .LBB148_114
; %bb.113:
	v_div_scale_f32 v7, s[16:17], v6, v6, v5
	v_div_scale_f32 v8, vcc, v5, v6, v5
	v_rcp_f32_e32 v10, v7
	v_fma_f32 v11, -v7, v10, 1.0
	v_fmac_f32_e32 v10, v11, v10
	v_mul_f32_e32 v11, v8, v10
	v_fma_f32 v12, -v7, v11, v8
	v_fmac_f32_e32 v11, v12, v10
	v_fma_f32 v7, -v7, v11, v8
	v_div_fmas_f32 v7, v7, v10, v11
	v_div_fixup_f32 v7, v7, v6, v5
	v_fmac_f32_e32 v6, v5, v7
	v_div_scale_f32 v5, s[16:17], v6, v6, 1.0
	v_div_scale_f32 v8, vcc, 1.0, v6, 1.0
	v_rcp_f32_e32 v10, v5
	v_fma_f32 v11, -v5, v10, 1.0
	v_fmac_f32_e32 v10, v11, v10
	v_mul_f32_e32 v11, v8, v10
	v_fma_f32 v12, -v5, v11, v8
	v_fmac_f32_e32 v11, v12, v10
	v_fma_f32 v5, -v5, v11, v8
	v_div_fmas_f32 v5, v5, v10, v11
	v_div_fixup_f32 v5, v5, v6, 1.0
	v_mul_f32_e32 v7, v7, v5
	v_xor_b32_e32 v8, 0x80000000, v5
                                        ; implicit-def: $vgpr5_vgpr6
.LBB148_114:
	s_andn2_saveexec_b64 s[14:15], s[14:15]
	s_cbranch_execz .LBB148_116
; %bb.115:
	v_div_scale_f32 v7, s[16:17], v5, v5, v6
	v_div_scale_f32 v8, vcc, v6, v5, v6
	v_rcp_f32_e32 v10, v7
	v_fma_f32 v11, -v7, v10, 1.0
	v_fmac_f32_e32 v10, v11, v10
	v_mul_f32_e32 v11, v8, v10
	v_fma_f32 v12, -v7, v11, v8
	v_fmac_f32_e32 v11, v12, v10
	v_fma_f32 v7, -v7, v11, v8
	v_div_fmas_f32 v7, v7, v10, v11
	v_div_fixup_f32 v8, v7, v5, v6
	v_fmac_f32_e32 v5, v6, v8
	v_div_scale_f32 v6, s[16:17], v5, v5, 1.0
	v_div_scale_f32 v7, vcc, 1.0, v5, 1.0
	v_rcp_f32_e32 v10, v6
	v_fma_f32 v11, -v6, v10, 1.0
	v_fmac_f32_e32 v10, v11, v10
	v_mul_f32_e32 v11, v7, v10
	v_fma_f32 v12, -v6, v11, v7
	v_fmac_f32_e32 v11, v12, v10
	v_fma_f32 v6, -v6, v11, v7
	v_div_fmas_f32 v6, v6, v10, v11
	v_div_fixup_f32 v7, v6, v5, 1.0
	v_mul_f32_e64 v8, v8, -v7
.LBB148_116:
	s_or_b64 exec, exec, s[14:15]
	v_lshlrev_b32_e32 v5, 3, v9
	ds_write_b64 v5, v[7:8]
.LBB148_117:
	s_or_b64 exec, exec, s[12:13]
                                        ; implicit-def: $vgpr5_vgpr6
                                        ; implicit-def: $vgpr9
.LBB148_118:
	s_andn2_saveexec_b64 s[10:11], s[10:11]
	s_cbranch_execz .LBB148_120
; %bb.119:
	v_lshlrev_b64 v[5:6], 3, v[5:6]
	v_mov_b32_e32 v7, s38
	v_add_co_u32_e32 v5, vcc, s99, v5
	v_addc_co_u32_e32 v6, vcc, v7, v6, vcc
	flat_load_dwordx2 v[5:6], v[5:6]
	v_lshlrev_b32_e32 v7, 3, v9
	s_waitcnt vmcnt(0) lgkmcnt(0)
	v_xor_b32_e32 v5, 0x80000000, v5
	v_xor_b32_e32 v6, 0x80000000, v6
	ds_write_b64 v7, v[5:6]
.LBB148_120:
	s_or_b64 exec, exec, s[10:11]
	v_add_u32_e32 v5, 48, v2
	v_mad_u64_u32 v[3:4], s[10:11], s34, v5, v[3:4]
	v_cmp_gt_u32_e32 vcc, v5, v0
	v_lshl_add_u32 v7, v5, 6, v0
	v_mad_u64_u32 v[8:9], s[10:11], s35, v5, v[4:5]
	v_cmp_gt_i32_e64 s[10:11], s98, v5
	s_and_b64 s[10:11], vcc, s[10:11]
	s_and_b64 s[10:11], s[6:7], s[10:11]
	v_mov_b32_e32 v4, v8
	s_xor_b64 s[10:11], s[10:11], -1
	s_and_saveexec_b64 s[12:13], s[10:11]
	s_xor_b64 s[10:11], exec, s[12:13]
	s_cbranch_execz .LBB148_132
; %bb.121:
	v_cmp_ne_u32_e32 vcc, v0, v5
	s_xor_b64 s[6:7], s[6:7], -1
	s_or_b64 s[6:7], s[6:7], vcc
	s_and_saveexec_b64 s[12:13], s[6:7]
	s_xor_b64 s[6:7], exec, s[12:13]
	s_cbranch_execz .LBB148_125
; %bb.122:
	v_or_b32_e32 v3, v5, v0
	v_cmp_gt_u32_e32 vcc, 64, v3
	s_and_saveexec_b64 s[12:13], vcc
; %bb.123:
	v_mov_b32_e32 v3, 0
	v_lshlrev_b32_e32 v5, 3, v7
	v_mov_b32_e32 v4, v3
	ds_write_b64 v5, v[3:4]
; %bb.124:
	s_or_b64 exec, exec, s[12:13]
                                        ; implicit-def: $vgpr7
                                        ; implicit-def: $vgpr3_vgpr4
.LBB148_125:
	s_andn2_saveexec_b64 s[6:7], s[6:7]
	s_cbranch_execz .LBB148_131
; %bb.126:
	v_lshlrev_b64 v[3:4], 3, v[3:4]
	v_mov_b32_e32 v5, s38
	v_add_co_u32_e32 v3, vcc, s99, v3
	v_addc_co_u32_e32 v4, vcc, v5, v4, vcc
	flat_load_dwordx2 v[3:4], v[3:4]
                                        ; implicit-def: $vgpr5
	s_waitcnt vmcnt(0) lgkmcnt(0)
	v_cmp_ngt_f32_e64 s[12:13], |v3|, |v4|
	s_and_saveexec_b64 s[14:15], s[12:13]
	s_xor_b64 s[12:13], exec, s[14:15]
	s_cbranch_execz .LBB148_128
; %bb.127:
	v_div_scale_f32 v5, s[14:15], v4, v4, v3
	v_div_scale_f32 v6, vcc, v3, v4, v3
	v_rcp_f32_e32 v8, v5
	v_fma_f32 v9, -v5, v8, 1.0
	v_fmac_f32_e32 v8, v9, v8
	v_mul_f32_e32 v9, v6, v8
	v_fma_f32 v10, -v5, v9, v6
	v_fmac_f32_e32 v9, v10, v8
	v_fma_f32 v5, -v5, v9, v6
	v_div_fmas_f32 v5, v5, v8, v9
	v_div_fixup_f32 v5, v5, v4, v3
	v_fmac_f32_e32 v4, v3, v5
	v_div_scale_f32 v3, s[14:15], v4, v4, 1.0
	v_div_scale_f32 v6, vcc, 1.0, v4, 1.0
	v_rcp_f32_e32 v8, v3
	v_fma_f32 v9, -v3, v8, 1.0
	v_fmac_f32_e32 v8, v9, v8
	v_mul_f32_e32 v9, v6, v8
	v_fma_f32 v10, -v3, v9, v6
	v_fmac_f32_e32 v9, v10, v8
	v_fma_f32 v3, -v3, v9, v6
	v_div_fmas_f32 v3, v3, v8, v9
	v_div_fixup_f32 v3, v3, v4, 1.0
	v_mul_f32_e32 v5, v5, v3
	v_xor_b32_e32 v6, 0x80000000, v3
                                        ; implicit-def: $vgpr3_vgpr4
.LBB148_128:
	s_andn2_saveexec_b64 s[12:13], s[12:13]
	s_cbranch_execz .LBB148_130
; %bb.129:
	v_div_scale_f32 v5, s[14:15], v3, v3, v4
	v_div_scale_f32 v6, vcc, v4, v3, v4
	v_rcp_f32_e32 v8, v5
	v_fma_f32 v9, -v5, v8, 1.0
	v_fmac_f32_e32 v8, v9, v8
	v_mul_f32_e32 v9, v6, v8
	v_fma_f32 v10, -v5, v9, v6
	v_fmac_f32_e32 v9, v10, v8
	v_fma_f32 v5, -v5, v9, v6
	v_div_fmas_f32 v5, v5, v8, v9
	v_div_fixup_f32 v6, v5, v3, v4
	v_fmac_f32_e32 v3, v4, v6
	v_div_scale_f32 v4, s[14:15], v3, v3, 1.0
	v_div_scale_f32 v5, vcc, 1.0, v3, 1.0
	v_rcp_f32_e32 v8, v4
	v_fma_f32 v9, -v4, v8, 1.0
	v_fmac_f32_e32 v8, v9, v8
	v_mul_f32_e32 v9, v5, v8
	v_fma_f32 v10, -v4, v9, v5
	v_fmac_f32_e32 v9, v10, v8
	v_fma_f32 v4, -v4, v9, v5
	v_div_fmas_f32 v4, v4, v8, v9
	v_div_fixup_f32 v5, v4, v3, 1.0
	v_mul_f32_e64 v6, v6, -v5
.LBB148_130:
	s_or_b64 exec, exec, s[12:13]
	v_lshlrev_b32_e32 v3, 3, v7
	ds_write_b64 v3, v[5:6]
.LBB148_131:
	s_or_b64 exec, exec, s[6:7]
                                        ; implicit-def: $vgpr3_vgpr4
                                        ; implicit-def: $vgpr7
.LBB148_132:
	s_andn2_saveexec_b64 s[6:7], s[10:11]
	s_cbranch_execz .LBB148_134
; %bb.133:
	v_lshlrev_b64 v[3:4], 3, v[3:4]
	v_mov_b32_e32 v5, s38
	v_add_co_u32_e32 v3, vcc, s99, v3
	v_addc_co_u32_e32 v4, vcc, v5, v4, vcc
	flat_load_dwordx2 v[3:4], v[3:4]
	v_lshlrev_b32_e32 v5, 3, v7
	s_waitcnt vmcnt(0) lgkmcnt(0)
	v_xor_b32_e32 v3, 0x80000000, v3
	v_xor_b32_e32 v4, 0x80000000, v4
	ds_write_b64 v5, v[3:4]
.LBB148_134:
	s_or_b64 exec, exec, s[6:7]
.LBB148_135:
	s_cmp_lt_i32 s8, 5
	s_cselect_b64 s[6:7], -1, 0
	s_or_b64 s[40:41], s[6:7], s[22:23]
	s_and_b64 vcc, exec, s[40:41]
	s_waitcnt vmcnt(0) lgkmcnt(0)
	s_barrier
	s_cbranch_vccnz .LBB148_995
; %bb.136:
	v_or_b32_e32 v3, v0, v2
	v_cmp_eq_u32_e32 vcc, 0, v3
	s_and_saveexec_b64 s[6:7], vcc
	s_cbranch_execz .LBB148_138
; %bb.137:
	s_movk_i32 s10, 0x1f0
	v_mov_b32_e32 v9, 0
	v_add_u32_e64 v3, s10, 0
	ds_read_b64 v[7:8], v9 offset:32760
	ds_read2st64_b64 v[3:6], v3 offset0:62 offset1:63
	s_waitcnt lgkmcnt(0)
	v_mul_f32_e32 v11, v7, v4
	v_mul_f32_e32 v10, v8, v4
	v_fmac_f32_e32 v11, v8, v3
	v_fma_f32 v4, v7, v3, -v10
	v_mul_f32_e32 v3, v11, v6
	v_fma_f32 v3, v4, v5, -v3
	v_mul_f32_e32 v4, v4, v6
	v_fmac_f32_e32 v4, v11, v5
	ds_write_b64 v9, v[3:4] offset:32752
.LBB148_138:
	s_or_b64 exec, exec, s[6:7]
	v_lshlrev_b32_e32 v3, 6, v2
	v_add_u32_e32 v8, v3, v0
	v_and_b32_e32 v4, v3, v0
	v_xor_b32_e32 v3, v3, v0
	v_lshrrev_b16_e32 v3, 1, v3
	v_add_u16_e32 v7, v4, v3
	v_and_b32_e32 v5, 1, v0
	v_sub_u32_e32 v6, 1, v7
	v_cmp_lt_u32_e64 s[10:11], 3, v8
	v_cmp_gt_u32_e64 s[6:7], 4, v8
	v_mov_b32_e32 v3, 0
	v_mov_b32_e32 v4, 0
	s_waitcnt lgkmcnt(0)
	s_barrier
	buffer_wbinvl1_vol
	s_and_saveexec_b64 s[14:15], s[6:7]
	s_cbranch_execz .LBB148_142
; %bb.139:
	v_lshlrev_b32_e32 v3, 3, v5
	v_lshlrev_b32_e32 v9, 9, v6
	ds_read_b64 v[3:4], v3 offset:32224
	ds_read_b64 v[9:10], v9 offset:32240
	v_cmp_gt_u32_e64 s[12:13], 2, v8
	s_waitcnt lgkmcnt(0)
	v_mul_f32_e32 v11, v10, v4
	v_mul_f32_e32 v4, v9, v4
	v_fma_f32 v9, v9, v3, -v11
	v_fmac_f32_e32 v4, v10, v3
	v_add_f32_e32 v3, 0, v9
	v_add_f32_e32 v4, 0, v4
	s_and_saveexec_b64 s[16:17], s[12:13]
	s_cbranch_execz .LBB148_141
; %bb.140:
	v_lshlrev_b32_e32 v9, 3, v0
	v_mov_b32_e32 v11, 0
	ds_read_b64 v[9:10], v9 offset:32736
	ds_read_b64 v[11:12], v11 offset:32760
	s_waitcnt lgkmcnt(0)
	v_mul_f32_e32 v13, v12, v10
	v_mul_f32_e32 v10, v11, v10
	v_fma_f32 v11, v11, v9, -v13
	v_fmac_f32_e32 v10, v12, v9
	v_add_f32_e32 v3, v3, v11
	v_add_f32_e32 v4, v4, v10
.LBB148_141:
	s_or_b64 exec, exec, s[16:17]
.LBB148_142:
	s_or_b64 exec, exec, s[14:15]
	v_mov_b32_e32 v9, 0x8000
	v_cmp_ne_u32_e64 s[12:13], 0, v5
	s_xor_b64 s[14:15], s[10:11], -1
	v_lshl_add_u32 v7, v7, 3, v9
	s_and_b64 s[44:45], s[12:13], s[14:15]
	s_and_saveexec_b64 s[10:11], s[44:45]
	s_cbranch_execz .LBB148_144
; %bb.143:
	v_mov_b32_e32 v9, 0
	ds_read_b64 v[9:10], v9 offset:31720
	s_waitcnt lgkmcnt(0)
	v_mul_f32_e32 v11, v4, v10
	v_mul_f32_e32 v12, v3, v10
	v_fma_f32 v3, v3, v9, -v11
	v_fmac_f32_e32 v12, v4, v9
	v_xor_b32_e32 v9, 0x80000000, v3
	v_xor_b32_e32 v10, 0x80000000, v12
	v_mov_b32_e32 v4, v12
	ds_write_b64 v7, v[9:10]
.LBB148_144:
	s_or_b64 exec, exec, s[10:11]
	v_cmp_eq_u32_e64 s[10:11], 0, v5
	s_and_b64 s[42:43], s[10:11], s[14:15]
	s_waitcnt lgkmcnt(0)
	s_barrier
	s_and_saveexec_b64 s[10:11], s[42:43]
	s_cbranch_execz .LBB148_146
; %bb.145:
	v_mov_b32_e32 v9, 0
	ds_read_b64 v[9:10], v9 offset:31712
	ds_read_b64 v[11:12], v7
	s_waitcnt lgkmcnt(0)
	v_mul_f32_e32 v13, v12, v10
	v_mul_f32_e32 v10, v11, v10
	v_fma_f32 v11, v11, v9, -v13
	v_fmac_f32_e32 v10, v12, v9
	v_sub_f32_e32 v3, v3, v11
	v_sub_f32_e32 v4, v4, v10
.LBB148_146:
	s_or_b64 exec, exec, s[10:11]
	s_barrier
	s_and_saveexec_b64 s[10:11], s[42:43]
	s_cbranch_execz .LBB148_148
; %bb.147:
	v_mov_b32_e32 v9, 0
	ds_read_b64 v[9:10], v9 offset:31200
	s_waitcnt lgkmcnt(0)
	v_mul_f32_e32 v11, v4, v10
	v_mul_f32_e32 v12, v3, v10
	v_fma_f32 v3, v3, v9, -v11
	v_fmac_f32_e32 v12, v4, v9
	v_xor_b32_e32 v9, 0x80000000, v3
	v_xor_b32_e32 v10, 0x80000000, v12
	v_mov_b32_e32 v4, v12
	ds_write_b64 v7, v[9:10]
.LBB148_148:
	s_or_b64 exec, exec, s[10:11]
	s_waitcnt lgkmcnt(0)
	s_barrier
	s_barrier
	s_and_saveexec_b64 s[10:11], s[6:7]
; %bb.149:
	v_lshlrev_b32_e32 v9, 3, v5
	v_lshl_or_b32 v9, v6, 9, v9
	ds_write_b64 v9, v[3:4] offset:32224
; %bb.150:
	s_or_b64 exec, exec, s[10:11]
	s_waitcnt lgkmcnt(0)
	s_barrier
	s_barrier
	s_and_saveexec_b64 s[10:11], vcc
	s_cbranch_execz .LBB148_152
; %bb.151:
	s_movk_i32 s12, 0x1e0
	v_mov_b32_e32 v13, 0
	v_add_u32_e64 v9, s12, 0
	ds_read_b64 v[3:4], v13 offset:31720
	ds_read2st64_b64 v[9:12], v9 offset0:60 offset1:61
	s_waitcnt lgkmcnt(0)
	v_mul_f32_e32 v14, v4, v10
	v_mul_f32_e32 v10, v3, v10
	v_fma_f32 v14, v3, v9, -v14
	v_fmac_f32_e32 v10, v4, v9
	v_mul_f32_e32 v3, v10, v12
	v_mul_f32_e32 v4, v14, v12
	v_fma_f32 v3, v14, v11, -v3
	v_fmac_f32_e32 v4, v10, v11
	ds_write_b64 v13, v[3:4] offset:31712
.LBB148_152:
	s_or_b64 exec, exec, s[10:11]
	v_lshrrev_b32_e32 v11, 2, v8
	v_and_b32_e32 v9, 3, v0
	v_sub_u32_e32 v10, 3, v11
	v_cmp_lt_u32_e64 s[10:11], 15, v8
	v_cmp_gt_u32_e64 s[18:19], 16, v8
	v_mov_b32_e32 v4, 0
	v_mov_b32_e32 v3, 0
	s_waitcnt lgkmcnt(0)
	s_barrier
	buffer_wbinvl1_vol
	s_and_saveexec_b64 s[14:15], s[18:19]
	s_cbranch_execz .LBB148_158
; %bb.153:
	v_lshlrev_b32_e32 v12, 3, v9
	v_lshlrev_b32_e32 v13, 9, v10
	ds_read_b64 v[3:4], v12 offset:31168
	ds_read_b64 v[14:15], v13 offset:31200
	v_cmp_gt_u32_e64 s[12:13], 12, v8
	s_waitcnt lgkmcnt(0)
	v_mul_f32_e32 v16, v15, v4
	v_mul_f32_e32 v4, v14, v4
	v_fma_f32 v14, v14, v3, -v16
	v_fmac_f32_e32 v4, v15, v3
	v_add_f32_e32 v3, 0, v14
	v_add_f32_e32 v4, 0, v4
	s_and_saveexec_b64 s[16:17], s[12:13]
	s_cbranch_execnz .LBB148_1054
; %bb.154:
	s_or_b64 exec, exec, s[16:17]
	v_cmp_gt_u32_e64 s[12:13], 8, v8
	s_and_saveexec_b64 s[16:17], s[12:13]
	s_cbranch_execnz .LBB148_1055
.LBB148_155:
	s_or_b64 exec, exec, s[16:17]
	v_cmp_gt_u32_e64 s[12:13], 4, v8
	s_and_saveexec_b64 s[16:17], s[12:13]
	s_cbranch_execz .LBB148_157
.LBB148_156:
	v_lshlrev_b32_e32 v12, 3, v0
	v_mov_b32_e32 v14, 0
	ds_read_b64 v[12:13], v12 offset:32704
	ds_read_b64 v[14:15], v14 offset:32760
	s_waitcnt lgkmcnt(0)
	v_mul_f32_e32 v16, v15, v13
	v_mul_f32_e32 v13, v14, v13
	v_fma_f32 v14, v14, v12, -v16
	v_fmac_f32_e32 v13, v15, v12
	v_add_f32_e32 v3, v3, v14
	v_add_f32_e32 v4, v4, v13
.LBB148_157:
	s_or_b64 exec, exec, s[16:17]
.LBB148_158:
	v_writelane_b32 v30, s48, 2
	v_writelane_b32 v30, s49, 3
	s_or_b64 exec, exec, s[14:15]
	v_mov_b32_e32 v12, 0x8000
	v_cmp_eq_u32_e64 s[12:13], 3, v9
	s_xor_b64 s[14:15], s[10:11], -1
	v_lshl_add_u32 v11, v11, 3, v12
	s_and_b64 s[48:49], s[12:13], s[14:15]
	s_and_saveexec_b64 s[10:11], s[48:49]
	s_cbranch_execz .LBB148_160
; %bb.159:
	v_mov_b32_e32 v12, 0
	ds_read_b64 v[12:13], v12 offset:30680
	s_waitcnt lgkmcnt(0)
	v_mul_f32_e32 v14, v4, v13
	v_mul_f32_e32 v15, v3, v13
	v_fma_f32 v3, v3, v12, -v14
	v_fmac_f32_e32 v15, v4, v12
	v_xor_b32_e32 v12, 0x80000000, v3
	v_xor_b32_e32 v13, 0x80000000, v15
	v_mov_b32_e32 v4, v15
	ds_write_b64 v11, v[12:13]
.LBB148_160:
	s_or_b64 exec, exec, s[10:11]
	v_cmp_ne_u32_e64 s[10:11], 3, v9
	s_and_b64 s[50:51], s[10:11], s[14:15]
	s_waitcnt lgkmcnt(0)
	s_barrier
	s_and_saveexec_b64 s[10:11], s[50:51]
	s_cbranch_execz .LBB148_162
; %bb.161:
	v_lshlrev_b32_e32 v12, 3, v9
	ds_read_b64 v[12:13], v12 offset:30656
	ds_read_b64 v[14:15], v11
	s_waitcnt lgkmcnt(0)
	v_mul_f32_e32 v16, v15, v13
	v_mul_f32_e32 v13, v14, v13
	v_fma_f32 v14, v14, v12, -v16
	v_fmac_f32_e32 v13, v15, v12
	v_sub_f32_e32 v3, v3, v14
	v_sub_f32_e32 v4, v4, v13
.LBB148_162:
	s_or_b64 exec, exec, s[10:11]
	v_cmp_eq_u32_e64 s[10:11], 2, v9
	s_and_b64 s[52:53], s[10:11], s[14:15]
	s_barrier
	s_and_saveexec_b64 s[10:11], s[52:53]
	s_cbranch_execz .LBB148_164
; %bb.163:
	v_mov_b32_e32 v12, 0
	ds_read_b64 v[12:13], v12 offset:30160
	s_waitcnt lgkmcnt(0)
	v_mul_f32_e32 v14, v4, v13
	v_mul_f32_e32 v15, v3, v13
	v_fma_f32 v3, v3, v12, -v14
	v_fmac_f32_e32 v15, v4, v12
	v_xor_b32_e32 v12, 0x80000000, v3
	v_xor_b32_e32 v13, 0x80000000, v15
	v_mov_b32_e32 v4, v15
	ds_write_b64 v11, v[12:13]
.LBB148_164:
	s_or_b64 exec, exec, s[10:11]
	v_cmp_gt_u32_e64 s[10:11], 2, v9
	s_and_b64 s[54:55], s[10:11], s[14:15]
	s_waitcnt lgkmcnt(0)
	s_barrier
	s_and_saveexec_b64 s[10:11], s[54:55]
	s_cbranch_execz .LBB148_166
; %bb.165:
	v_lshlrev_b32_e32 v12, 3, v9
	ds_read_b64 v[12:13], v12 offset:30144
	ds_read_b64 v[14:15], v11
	s_waitcnt lgkmcnt(0)
	v_mul_f32_e32 v16, v15, v13
	v_mul_f32_e32 v13, v14, v13
	v_fma_f32 v14, v14, v12, -v16
	v_fmac_f32_e32 v13, v15, v12
	v_sub_f32_e32 v3, v3, v14
	v_sub_f32_e32 v4, v4, v13
.LBB148_166:
	s_or_b64 exec, exec, s[10:11]
	v_cmp_eq_u32_e64 s[10:11], 1, v9
	s_and_b64 s[56:57], s[10:11], s[14:15]
	s_barrier
	s_and_saveexec_b64 s[10:11], s[56:57]
	s_cbranch_execz .LBB148_168
; %bb.167:
	v_mov_b32_e32 v12, 0
	ds_read_b64 v[12:13], v12 offset:29640
	s_waitcnt lgkmcnt(0)
	v_mul_f32_e32 v14, v4, v13
	v_mul_f32_e32 v15, v3, v13
	v_fma_f32 v3, v3, v12, -v14
	v_fmac_f32_e32 v15, v4, v12
	v_xor_b32_e32 v12, 0x80000000, v3
	v_xor_b32_e32 v13, 0x80000000, v15
	v_mov_b32_e32 v4, v15
	ds_write_b64 v11, v[12:13]
.LBB148_168:
	s_or_b64 exec, exec, s[10:11]
	v_cmp_eq_u32_e64 s[10:11], 0, v9
	s_and_b64 s[46:47], s[10:11], s[14:15]
	s_waitcnt lgkmcnt(0)
	s_barrier
	s_and_saveexec_b64 s[10:11], s[46:47]
	s_cbranch_execz .LBB148_170
; %bb.169:
	v_mov_b32_e32 v12, 0
	ds_read_b64 v[12:13], v12 offset:29632
	ds_read_b64 v[14:15], v11
	s_waitcnt lgkmcnt(0)
	v_mul_f32_e32 v16, v15, v13
	v_mul_f32_e32 v13, v14, v13
	v_fma_f32 v14, v14, v12, -v16
	v_fmac_f32_e32 v13, v15, v12
	v_sub_f32_e32 v3, v3, v14
	v_sub_f32_e32 v4, v4, v13
.LBB148_170:
	s_or_b64 exec, exec, s[10:11]
	s_barrier
	s_and_saveexec_b64 s[10:11], s[46:47]
	s_cbranch_execz .LBB148_172
; %bb.171:
	v_mov_b32_e32 v12, 0
	ds_read_b64 v[12:13], v12 offset:29120
	s_waitcnt lgkmcnt(0)
	v_mul_f32_e32 v14, v4, v13
	v_mul_f32_e32 v15, v3, v13
	v_fma_f32 v3, v3, v12, -v14
	v_fmac_f32_e32 v15, v4, v12
	v_xor_b32_e32 v12, 0x80000000, v3
	v_xor_b32_e32 v13, 0x80000000, v15
	v_mov_b32_e32 v4, v15
	ds_write_b64 v11, v[12:13]
.LBB148_172:
	s_or_b64 exec, exec, s[10:11]
	s_waitcnt lgkmcnt(0)
	s_barrier
	s_barrier
	s_and_saveexec_b64 s[10:11], s[18:19]
; %bb.173:
	v_lshlrev_b32_e32 v12, 3, v9
	v_lshl_or_b32 v12, v10, 9, v12
	ds_write_b64 v12, v[3:4] offset:31168
; %bb.174:
	s_or_b64 exec, exec, s[10:11]
	s_waitcnt lgkmcnt(0)
	s_barrier
	s_barrier
	s_and_saveexec_b64 s[10:11], vcc
	s_cbranch_execz .LBB148_176
; %bb.175:
	s_movk_i32 s12, 0x1d0
	v_mov_b32_e32 v16, 0
	v_add_u32_e64 v12, s12, 0
	ds_read_b64 v[3:4], v16 offset:30680
	ds_read2st64_b64 v[12:15], v12 offset0:58 offset1:59
	s_waitcnt lgkmcnt(0)
	v_mul_f32_e32 v17, v4, v13
	v_mul_f32_e32 v13, v3, v13
	v_fma_f32 v17, v3, v12, -v17
	v_fmac_f32_e32 v13, v4, v12
	v_mul_f32_e32 v3, v13, v15
	v_mul_f32_e32 v4, v17, v15
	v_fma_f32 v3, v17, v14, -v3
	v_fmac_f32_e32 v4, v13, v14
	ds_write_b64 v16, v[3:4] offset:30672
.LBB148_176:
	s_or_b64 exec, exec, s[10:11]
	v_mov_b32_e32 v3, 0
	v_mov_b32_e32 v4, 0
	s_waitcnt lgkmcnt(0)
	s_barrier
	buffer_wbinvl1_vol
	s_and_saveexec_b64 s[12:13], s[6:7]
	s_cbranch_execz .LBB148_180
; %bb.177:
	v_lshlrev_b32_e32 v3, 3, v5
	v_lshlrev_b32_e32 v12, 9, v6
	ds_read_b64 v[3:4], v3 offset:30144
	ds_read_b64 v[12:13], v12 offset:30160
	v_cmp_gt_u32_e64 s[10:11], 2, v8
	s_waitcnt lgkmcnt(0)
	v_mul_f32_e32 v14, v13, v4
	v_mul_f32_e32 v4, v12, v4
	v_fma_f32 v12, v12, v3, -v14
	v_fmac_f32_e32 v4, v13, v3
	v_add_f32_e32 v3, 0, v12
	v_add_f32_e32 v4, 0, v4
	s_and_saveexec_b64 s[14:15], s[10:11]
	s_cbranch_execz .LBB148_179
; %bb.178:
	v_lshlrev_b32_e32 v12, 3, v0
	v_mov_b32_e32 v14, 0
	ds_read_b64 v[12:13], v12 offset:30656
	ds_read_b64 v[14:15], v14 offset:30680
	s_waitcnt lgkmcnt(0)
	v_mul_f32_e32 v16, v15, v13
	v_mul_f32_e32 v13, v14, v13
	v_fma_f32 v14, v14, v12, -v16
	v_fmac_f32_e32 v13, v15, v12
	v_add_f32_e32 v3, v3, v14
	v_add_f32_e32 v4, v4, v13
.LBB148_179:
	s_or_b64 exec, exec, s[14:15]
.LBB148_180:
	s_or_b64 exec, exec, s[12:13]
	s_and_saveexec_b64 s[10:11], s[44:45]
	s_cbranch_execz .LBB148_182
; %bb.181:
	v_mov_b32_e32 v12, 0
	ds_read_b64 v[12:13], v12 offset:29640
	s_waitcnt lgkmcnt(0)
	v_mul_f32_e32 v14, v4, v13
	v_mul_f32_e32 v15, v3, v13
	v_fma_f32 v3, v3, v12, -v14
	v_fmac_f32_e32 v15, v4, v12
	v_xor_b32_e32 v12, 0x80000000, v3
	v_xor_b32_e32 v13, 0x80000000, v15
	v_mov_b32_e32 v4, v15
	ds_write_b64 v7, v[12:13]
.LBB148_182:
	s_or_b64 exec, exec, s[10:11]
	s_waitcnt lgkmcnt(0)
	s_barrier
	s_and_saveexec_b64 s[10:11], s[42:43]
	s_cbranch_execz .LBB148_184
; %bb.183:
	v_mov_b32_e32 v12, 0
	ds_read_b64 v[12:13], v12 offset:29632
	ds_read_b64 v[14:15], v7
	s_waitcnt lgkmcnt(0)
	v_mul_f32_e32 v16, v15, v13
	v_mul_f32_e32 v13, v14, v13
	v_fma_f32 v14, v14, v12, -v16
	v_fmac_f32_e32 v13, v15, v12
	v_sub_f32_e32 v3, v3, v14
	v_sub_f32_e32 v4, v4, v13
.LBB148_184:
	s_or_b64 exec, exec, s[10:11]
	s_barrier
	s_and_saveexec_b64 s[10:11], s[42:43]
	s_cbranch_execz .LBB148_186
; %bb.185:
	v_mov_b32_e32 v12, 0
	ds_read_b64 v[12:13], v12 offset:29120
	s_waitcnt lgkmcnt(0)
	v_mul_f32_e32 v14, v4, v13
	v_mul_f32_e32 v15, v3, v13
	v_fma_f32 v3, v3, v12, -v14
	v_fmac_f32_e32 v15, v4, v12
	v_xor_b32_e32 v12, 0x80000000, v3
	v_xor_b32_e32 v13, 0x80000000, v15
	v_mov_b32_e32 v4, v15
	ds_write_b64 v7, v[12:13]
.LBB148_186:
	s_or_b64 exec, exec, s[10:11]
	s_waitcnt lgkmcnt(0)
	s_barrier
	s_barrier
	s_and_saveexec_b64 s[10:11], s[6:7]
; %bb.187:
	v_lshlrev_b32_e32 v12, 3, v5
	v_lshl_or_b32 v12, v6, 9, v12
	ds_write_b64 v12, v[3:4] offset:30144
; %bb.188:
	s_or_b64 exec, exec, s[10:11]
	s_waitcnt lgkmcnt(0)
	s_barrier
	s_barrier
	s_and_saveexec_b64 s[10:11], vcc
	s_cbranch_execz .LBB148_190
; %bb.189:
	s_movk_i32 s12, 0x1c0
	v_mov_b32_e32 v16, 0
	v_add_u32_e64 v12, s12, 0
	ds_read_b64 v[3:4], v16 offset:29640
	ds_read2st64_b64 v[12:15], v12 offset0:56 offset1:57
	s_waitcnt lgkmcnt(0)
	v_mul_f32_e32 v17, v4, v13
	v_mul_f32_e32 v13, v3, v13
	v_fma_f32 v17, v3, v12, -v17
	v_fmac_f32_e32 v13, v4, v12
	v_mul_f32_e32 v3, v13, v15
	v_mul_f32_e32 v4, v17, v15
	v_fma_f32 v3, v17, v14, -v3
	v_fmac_f32_e32 v4, v13, v14
	ds_write_b64 v16, v[3:4] offset:29632
.LBB148_190:
	s_or_b64 exec, exec, s[10:11]
	v_lshrrev_b32_e32 v14, 3, v8
	v_and_b32_e32 v12, 7, v0
	v_sub_u32_e32 v13, 7, v14
	v_cmp_lt_u32_e64 s[12:13], 63, v8
	v_cmp_gt_u32_e64 s[10:11], 64, v8
	v_mov_b32_e32 v4, 0
	v_mov_b32_e32 v3, 0
	s_waitcnt lgkmcnt(0)
	s_barrier
	buffer_wbinvl1_vol
	s_and_saveexec_b64 s[16:17], s[10:11]
	s_cbranch_execz .LBB148_200
; %bb.191:
	v_lshlrev_b32_e32 v15, 3, v12
	v_lshlrev_b32_e32 v16, 9, v13
	ds_read_b64 v[3:4], v15 offset:29056
	ds_read_b64 v[17:18], v16 offset:29120
	v_cmp_gt_u32_e64 s[14:15], 56, v8
	s_waitcnt lgkmcnt(0)
	v_mul_f32_e32 v19, v18, v4
	v_mul_f32_e32 v4, v17, v4
	v_fma_f32 v17, v17, v3, -v19
	v_fmac_f32_e32 v4, v18, v3
	v_add_f32_e32 v3, 0, v17
	v_add_f32_e32 v4, 0, v4
	s_and_saveexec_b64 s[20:21], s[14:15]
	s_cbranch_execnz .LBB148_1056
; %bb.192:
	s_or_b64 exec, exec, s[20:21]
	v_cmp_gt_u32_e64 s[14:15], 48, v8
	s_and_saveexec_b64 s[20:21], s[14:15]
	s_cbranch_execnz .LBB148_1057
.LBB148_193:
	s_or_b64 exec, exec, s[20:21]
	v_cmp_gt_u32_e64 s[14:15], 40, v8
	s_and_saveexec_b64 s[20:21], s[14:15]
	s_cbranch_execnz .LBB148_1058
.LBB148_194:
	s_or_b64 exec, exec, s[20:21]
	v_cmp_gt_u32_e64 s[14:15], 32, v8
	s_and_saveexec_b64 s[20:21], s[14:15]
	s_cbranch_execnz .LBB148_1059
.LBB148_195:
	s_or_b64 exec, exec, s[20:21]
	v_cmp_gt_u32_e64 s[14:15], 24, v8
	s_and_saveexec_b64 s[20:21], s[14:15]
	s_cbranch_execnz .LBB148_1060
.LBB148_196:
	s_or_b64 exec, exec, s[20:21]
	s_and_saveexec_b64 s[14:15], s[18:19]
	s_cbranch_execnz .LBB148_1061
.LBB148_197:
	s_or_b64 exec, exec, s[14:15]
	v_cmp_gt_u32_e64 s[14:15], 8, v8
	s_and_saveexec_b64 s[20:21], s[14:15]
	s_cbranch_execz .LBB148_199
.LBB148_198:
	v_lshlrev_b32_e32 v15, 3, v0
	v_mov_b32_e32 v17, 0
	ds_read_b64 v[15:16], v15 offset:32640
	ds_read_b64 v[17:18], v17 offset:32760
	s_waitcnt lgkmcnt(0)
	v_mul_f32_e32 v19, v18, v16
	v_mul_f32_e32 v16, v17, v16
	v_fma_f32 v17, v17, v15, -v19
	v_fmac_f32_e32 v16, v18, v15
	v_add_f32_e32 v3, v3, v17
	v_add_f32_e32 v4, v4, v16
.LBB148_199:
	s_or_b64 exec, exec, s[20:21]
.LBB148_200:
	v_writelane_b32 v30, s60, 4
	s_or_b64 exec, exec, s[16:17]
	v_mov_b32_e32 v15, 0x8000
	v_cmp_eq_u32_e64 s[14:15], 7, v12
	s_xor_b64 s[16:17], s[12:13], -1
	v_lshl_add_u32 v14, v14, 3, v15
	s_and_b64 s[60:61], s[14:15], s[16:17]
	s_and_saveexec_b64 s[12:13], s[60:61]
	s_cbranch_execz .LBB148_202
; %bb.201:
	v_mov_b32_e32 v15, 0
	ds_read_b64 v[15:16], v15 offset:28600
	s_waitcnt lgkmcnt(0)
	v_mul_f32_e32 v17, v4, v16
	v_mul_f32_e32 v18, v3, v16
	v_fma_f32 v3, v3, v15, -v17
	v_fmac_f32_e32 v18, v4, v15
	v_xor_b32_e32 v15, 0x80000000, v3
	v_xor_b32_e32 v16, 0x80000000, v18
	v_mov_b32_e32 v4, v18
	ds_write_b64 v14, v[15:16]
.LBB148_202:
	s_or_b64 exec, exec, s[12:13]
	v_cmp_ne_u32_e64 s[12:13], 7, v12
	s_and_b64 s[62:63], s[12:13], s[16:17]
	s_waitcnt lgkmcnt(0)
	s_barrier
	s_and_saveexec_b64 s[12:13], s[62:63]
	s_cbranch_execz .LBB148_204
; %bb.203:
	v_lshlrev_b32_e32 v15, 3, v12
	ds_read_b64 v[15:16], v15 offset:28544
	ds_read_b64 v[17:18], v14
	s_waitcnt lgkmcnt(0)
	v_mul_f32_e32 v19, v18, v16
	v_mul_f32_e32 v16, v17, v16
	v_fma_f32 v17, v17, v15, -v19
	v_fmac_f32_e32 v16, v18, v15
	v_sub_f32_e32 v3, v3, v17
	v_sub_f32_e32 v4, v4, v16
.LBB148_204:
	s_or_b64 exec, exec, s[12:13]
	v_cmp_eq_u32_e64 s[12:13], 6, v12
	s_and_b64 s[64:65], s[12:13], s[16:17]
	s_barrier
	s_and_saveexec_b64 s[12:13], s[64:65]
	s_cbranch_execz .LBB148_206
; %bb.205:
	v_mov_b32_e32 v15, 0
	ds_read_b64 v[15:16], v15 offset:28080
	s_waitcnt lgkmcnt(0)
	v_mul_f32_e32 v17, v4, v16
	v_mul_f32_e32 v18, v3, v16
	v_fma_f32 v3, v3, v15, -v17
	v_fmac_f32_e32 v18, v4, v15
	v_xor_b32_e32 v15, 0x80000000, v3
	v_xor_b32_e32 v16, 0x80000000, v18
	v_mov_b32_e32 v4, v18
	ds_write_b64 v14, v[15:16]
.LBB148_206:
	s_or_b64 exec, exec, s[12:13]
	v_cmp_gt_u32_e64 s[12:13], 6, v12
	s_and_b64 s[66:67], s[12:13], s[16:17]
	s_waitcnt lgkmcnt(0)
	s_barrier
	s_and_saveexec_b64 s[12:13], s[66:67]
	s_cbranch_execz .LBB148_208
; %bb.207:
	v_lshlrev_b32_e32 v15, 3, v12
	ds_read_b64 v[15:16], v15 offset:28032
	ds_read_b64 v[17:18], v14
	s_waitcnt lgkmcnt(0)
	v_mul_f32_e32 v19, v18, v16
	v_mul_f32_e32 v16, v17, v16
	v_fma_f32 v17, v17, v15, -v19
	v_fmac_f32_e32 v16, v18, v15
	v_sub_f32_e32 v3, v3, v17
	v_sub_f32_e32 v4, v4, v16
.LBB148_208:
	s_or_b64 exec, exec, s[12:13]
	v_cmp_eq_u32_e64 s[12:13], 5, v12
	s_and_b64 s[68:69], s[12:13], s[16:17]
	s_barrier
	s_and_saveexec_b64 s[12:13], s[68:69]
	s_cbranch_execz .LBB148_210
; %bb.209:
	v_mov_b32_e32 v15, 0
	ds_read_b64 v[15:16], v15 offset:27560
	s_waitcnt lgkmcnt(0)
	v_mul_f32_e32 v17, v4, v16
	v_mul_f32_e32 v18, v3, v16
	v_fma_f32 v3, v3, v15, -v17
	v_fmac_f32_e32 v18, v4, v15
	v_xor_b32_e32 v15, 0x80000000, v3
	v_xor_b32_e32 v16, 0x80000000, v18
	v_mov_b32_e32 v4, v18
	ds_write_b64 v14, v[15:16]
.LBB148_210:
	s_or_b64 exec, exec, s[12:13]
	v_cmp_gt_u32_e64 s[12:13], 5, v12
	s_and_b64 s[70:71], s[12:13], s[16:17]
	s_waitcnt lgkmcnt(0)
	s_barrier
	s_and_saveexec_b64 s[12:13], s[70:71]
	s_cbranch_execz .LBB148_212
; %bb.211:
	v_lshlrev_b32_e32 v15, 3, v12
	ds_read_b64 v[15:16], v15 offset:27520
	ds_read_b64 v[17:18], v14
	s_waitcnt lgkmcnt(0)
	v_mul_f32_e32 v19, v18, v16
	v_mul_f32_e32 v16, v17, v16
	v_fma_f32 v17, v17, v15, -v19
	v_fmac_f32_e32 v16, v18, v15
	v_sub_f32_e32 v3, v3, v17
	v_sub_f32_e32 v4, v4, v16
.LBB148_212:
	s_or_b64 exec, exec, s[12:13]
	v_cmp_eq_u32_e64 s[12:13], 4, v12
	s_and_b64 s[72:73], s[12:13], s[16:17]
	s_barrier
	s_and_saveexec_b64 s[12:13], s[72:73]
	s_cbranch_execz .LBB148_214
; %bb.213:
	v_mov_b32_e32 v15, 0
	ds_read_b64 v[15:16], v15 offset:27040
	s_waitcnt lgkmcnt(0)
	v_mul_f32_e32 v17, v4, v16
	v_mul_f32_e32 v18, v3, v16
	v_fma_f32 v3, v3, v15, -v17
	v_fmac_f32_e32 v18, v4, v15
	v_xor_b32_e32 v15, 0x80000000, v3
	v_xor_b32_e32 v16, 0x80000000, v18
	v_mov_b32_e32 v4, v18
	ds_write_b64 v14, v[15:16]
.LBB148_214:
	s_or_b64 exec, exec, s[12:13]
	v_cmp_gt_u32_e64 s[12:13], 4, v12
	s_and_b64 s[74:75], s[12:13], s[16:17]
	s_waitcnt lgkmcnt(0)
	s_barrier
	s_and_saveexec_b64 s[12:13], s[74:75]
	s_cbranch_execz .LBB148_216
; %bb.215:
	v_lshlrev_b32_e32 v15, 3, v12
	ds_read_b64 v[15:16], v15 offset:27008
	ds_read_b64 v[17:18], v14
	s_waitcnt lgkmcnt(0)
	v_mul_f32_e32 v19, v18, v16
	v_mul_f32_e32 v16, v17, v16
	v_fma_f32 v17, v17, v15, -v19
	v_fmac_f32_e32 v16, v18, v15
	v_sub_f32_e32 v3, v3, v17
	v_sub_f32_e32 v4, v4, v16
.LBB148_216:
	s_or_b64 exec, exec, s[12:13]
	v_cmp_eq_u32_e64 s[12:13], 3, v12
	s_and_b64 s[76:77], s[12:13], s[16:17]
	s_barrier
	s_and_saveexec_b64 s[12:13], s[76:77]
	s_cbranch_execz .LBB148_218
; %bb.217:
	v_mov_b32_e32 v15, 0
	ds_read_b64 v[15:16], v15 offset:26520
	s_waitcnt lgkmcnt(0)
	v_mul_f32_e32 v17, v4, v16
	v_mul_f32_e32 v18, v3, v16
	v_fma_f32 v3, v3, v15, -v17
	v_fmac_f32_e32 v18, v4, v15
	v_xor_b32_e32 v15, 0x80000000, v3
	v_xor_b32_e32 v16, 0x80000000, v18
	v_mov_b32_e32 v4, v18
	ds_write_b64 v14, v[15:16]
.LBB148_218:
	s_or_b64 exec, exec, s[12:13]
	v_cmp_gt_u32_e64 s[12:13], 3, v12
	s_and_b64 s[78:79], s[12:13], s[16:17]
	s_waitcnt lgkmcnt(0)
	s_barrier
	s_and_saveexec_b64 s[12:13], s[78:79]
	s_cbranch_execz .LBB148_220
; %bb.219:
	v_lshlrev_b32_e32 v15, 3, v12
	ds_read_b64 v[15:16], v15 offset:26496
	ds_read_b64 v[17:18], v14
	s_waitcnt lgkmcnt(0)
	v_mul_f32_e32 v19, v18, v16
	v_mul_f32_e32 v16, v17, v16
	v_fma_f32 v17, v17, v15, -v19
	v_fmac_f32_e32 v16, v18, v15
	v_sub_f32_e32 v3, v3, v17
	v_sub_f32_e32 v4, v4, v16
.LBB148_220:
	s_or_b64 exec, exec, s[12:13]
	v_cmp_eq_u32_e64 s[12:13], 2, v12
	s_and_b64 s[80:81], s[12:13], s[16:17]
	s_barrier
	s_and_saveexec_b64 s[12:13], s[80:81]
	s_cbranch_execz .LBB148_222
; %bb.221:
	v_mov_b32_e32 v15, 0
	ds_read_b64 v[15:16], v15 offset:26000
	s_waitcnt lgkmcnt(0)
	v_mul_f32_e32 v17, v4, v16
	v_mul_f32_e32 v18, v3, v16
	v_fma_f32 v3, v3, v15, -v17
	v_fmac_f32_e32 v18, v4, v15
	v_xor_b32_e32 v15, 0x80000000, v3
	v_xor_b32_e32 v16, 0x80000000, v18
	v_mov_b32_e32 v4, v18
	ds_write_b64 v14, v[15:16]
.LBB148_222:
	s_or_b64 exec, exec, s[12:13]
	v_cmp_gt_u32_e64 s[12:13], 2, v12
	s_and_b64 s[82:83], s[12:13], s[16:17]
	s_waitcnt lgkmcnt(0)
	s_barrier
	s_and_saveexec_b64 s[12:13], s[82:83]
	s_cbranch_execz .LBB148_224
; %bb.223:
	v_lshlrev_b32_e32 v15, 3, v12
	ds_read_b64 v[15:16], v15 offset:25984
	ds_read_b64 v[17:18], v14
	s_waitcnt lgkmcnt(0)
	v_mul_f32_e32 v19, v18, v16
	v_mul_f32_e32 v16, v17, v16
	v_fma_f32 v17, v17, v15, -v19
	v_fmac_f32_e32 v16, v18, v15
	v_sub_f32_e32 v3, v3, v17
	v_sub_f32_e32 v4, v4, v16
.LBB148_224:
	s_or_b64 exec, exec, s[12:13]
	v_cmp_eq_u32_e64 s[12:13], 1, v12
	s_and_b64 s[84:85], s[12:13], s[16:17]
	s_barrier
	s_and_saveexec_b64 s[12:13], s[84:85]
	s_cbranch_execz .LBB148_226
; %bb.225:
	v_mov_b32_e32 v15, 0
	ds_read_b64 v[15:16], v15 offset:25480
	s_waitcnt lgkmcnt(0)
	v_mul_f32_e32 v17, v4, v16
	v_mul_f32_e32 v18, v3, v16
	v_fma_f32 v3, v3, v15, -v17
	v_fmac_f32_e32 v18, v4, v15
	v_xor_b32_e32 v15, 0x80000000, v3
	v_xor_b32_e32 v16, 0x80000000, v18
	v_mov_b32_e32 v4, v18
	ds_write_b64 v14, v[15:16]
.LBB148_226:
	s_or_b64 exec, exec, s[12:13]
	v_cmp_eq_u32_e64 s[12:13], 0, v12
	s_and_b64 s[58:59], s[12:13], s[16:17]
	s_waitcnt lgkmcnt(0)
	s_barrier
	s_and_saveexec_b64 s[12:13], s[58:59]
	s_cbranch_execz .LBB148_228
; %bb.227:
	v_mov_b32_e32 v15, 0
	ds_read_b64 v[15:16], v15 offset:25472
	ds_read_b64 v[17:18], v14
	s_waitcnt lgkmcnt(0)
	v_mul_f32_e32 v19, v18, v16
	v_mul_f32_e32 v16, v17, v16
	v_fma_f32 v17, v17, v15, -v19
	v_fmac_f32_e32 v16, v18, v15
	v_sub_f32_e32 v3, v3, v17
	v_sub_f32_e32 v4, v4, v16
.LBB148_228:
	s_or_b64 exec, exec, s[12:13]
	s_barrier
	s_and_saveexec_b64 s[12:13], s[58:59]
	s_cbranch_execz .LBB148_230
; %bb.229:
	v_mov_b32_e32 v15, 0
	ds_read_b64 v[15:16], v15 offset:24960
	s_waitcnt lgkmcnt(0)
	v_mul_f32_e32 v17, v4, v16
	v_mul_f32_e32 v18, v3, v16
	v_fma_f32 v3, v3, v15, -v17
	v_fmac_f32_e32 v18, v4, v15
	v_xor_b32_e32 v15, 0x80000000, v3
	v_xor_b32_e32 v16, 0x80000000, v18
	v_mov_b32_e32 v4, v18
	ds_write_b64 v14, v[15:16]
.LBB148_230:
	s_or_b64 exec, exec, s[12:13]
	s_waitcnt lgkmcnt(0)
	s_barrier
	s_barrier
	s_and_saveexec_b64 s[12:13], s[10:11]
; %bb.231:
	v_lshlrev_b32_e32 v15, 3, v12
	v_lshl_or_b32 v15, v13, 9, v15
	ds_write_b64 v15, v[3:4] offset:29056
; %bb.232:
	s_or_b64 exec, exec, s[12:13]
	s_waitcnt lgkmcnt(0)
	s_barrier
	s_barrier
	s_and_saveexec_b64 s[12:13], vcc
	s_cbranch_execz .LBB148_234
; %bb.233:
	s_movk_i32 s14, 0x1b0
	v_mov_b32_e32 v19, 0
	v_add_u32_e64 v15, s14, 0
	ds_read_b64 v[3:4], v19 offset:28600
	ds_read2st64_b64 v[15:18], v15 offset0:54 offset1:55
	s_waitcnt lgkmcnt(0)
	v_mul_f32_e32 v20, v4, v16
	v_mul_f32_e32 v16, v3, v16
	v_fma_f32 v20, v3, v15, -v20
	v_fmac_f32_e32 v16, v4, v15
	v_mul_f32_e32 v3, v16, v18
	v_mul_f32_e32 v4, v20, v18
	v_fma_f32 v3, v20, v17, -v3
	v_fmac_f32_e32 v4, v16, v17
	ds_write_b64 v19, v[3:4] offset:28592
.LBB148_234:
	s_or_b64 exec, exec, s[12:13]
	v_mov_b32_e32 v3, 0
	v_mov_b32_e32 v4, 0
	s_waitcnt lgkmcnt(0)
	s_barrier
	buffer_wbinvl1_vol
	s_and_saveexec_b64 s[14:15], s[6:7]
	s_cbranch_execz .LBB148_238
; %bb.235:
	v_lshlrev_b32_e32 v3, 3, v5
	v_lshlrev_b32_e32 v15, 9, v6
	ds_read_b64 v[3:4], v3 offset:28064
	ds_read_b64 v[15:16], v15 offset:28080
	v_cmp_gt_u32_e64 s[12:13], 2, v8
	s_waitcnt lgkmcnt(0)
	v_mul_f32_e32 v17, v16, v4
	v_mul_f32_e32 v4, v15, v4
	v_fma_f32 v15, v15, v3, -v17
	v_fmac_f32_e32 v4, v16, v3
	v_add_f32_e32 v3, 0, v15
	v_add_f32_e32 v4, 0, v4
	s_and_saveexec_b64 s[16:17], s[12:13]
	s_cbranch_execz .LBB148_237
; %bb.236:
	v_lshlrev_b32_e32 v15, 3, v0
	v_mov_b32_e32 v17, 0
	ds_read_b64 v[15:16], v15 offset:28576
	ds_read_b64 v[17:18], v17 offset:28600
	s_waitcnt lgkmcnt(0)
	v_mul_f32_e32 v19, v18, v16
	v_mul_f32_e32 v16, v17, v16
	v_fma_f32 v17, v17, v15, -v19
	v_fmac_f32_e32 v16, v18, v15
	v_add_f32_e32 v3, v3, v17
	v_add_f32_e32 v4, v4, v16
.LBB148_237:
	s_or_b64 exec, exec, s[16:17]
.LBB148_238:
	s_or_b64 exec, exec, s[14:15]
	s_and_saveexec_b64 s[12:13], s[44:45]
	s_cbranch_execz .LBB148_240
; %bb.239:
	v_mov_b32_e32 v15, 0
	ds_read_b64 v[15:16], v15 offset:27560
	s_waitcnt lgkmcnt(0)
	v_mul_f32_e32 v17, v4, v16
	v_mul_f32_e32 v18, v3, v16
	v_fma_f32 v3, v3, v15, -v17
	v_fmac_f32_e32 v18, v4, v15
	v_xor_b32_e32 v15, 0x80000000, v3
	v_xor_b32_e32 v16, 0x80000000, v18
	v_mov_b32_e32 v4, v18
	ds_write_b64 v7, v[15:16]
.LBB148_240:
	s_or_b64 exec, exec, s[12:13]
	s_waitcnt lgkmcnt(0)
	s_barrier
	s_and_saveexec_b64 s[12:13], s[42:43]
	s_cbranch_execz .LBB148_242
; %bb.241:
	v_mov_b32_e32 v15, 0
	ds_read_b64 v[15:16], v15 offset:27552
	ds_read_b64 v[17:18], v7
	s_waitcnt lgkmcnt(0)
	v_mul_f32_e32 v19, v18, v16
	v_mul_f32_e32 v16, v17, v16
	v_fma_f32 v17, v17, v15, -v19
	v_fmac_f32_e32 v16, v18, v15
	v_sub_f32_e32 v3, v3, v17
	v_sub_f32_e32 v4, v4, v16
.LBB148_242:
	s_or_b64 exec, exec, s[12:13]
	s_barrier
	s_and_saveexec_b64 s[12:13], s[42:43]
	s_cbranch_execz .LBB148_244
; %bb.243:
	v_mov_b32_e32 v15, 0
	ds_read_b64 v[15:16], v15 offset:27040
	s_waitcnt lgkmcnt(0)
	v_mul_f32_e32 v17, v4, v16
	v_mul_f32_e32 v18, v3, v16
	v_fma_f32 v3, v3, v15, -v17
	v_fmac_f32_e32 v18, v4, v15
	v_xor_b32_e32 v15, 0x80000000, v3
	v_xor_b32_e32 v16, 0x80000000, v18
	v_mov_b32_e32 v4, v18
	ds_write_b64 v7, v[15:16]
.LBB148_244:
	s_or_b64 exec, exec, s[12:13]
	s_waitcnt lgkmcnt(0)
	s_barrier
	s_barrier
	s_and_saveexec_b64 s[12:13], s[6:7]
; %bb.245:
	v_lshlrev_b32_e32 v15, 3, v5
	v_lshl_or_b32 v15, v6, 9, v15
	ds_write_b64 v15, v[3:4] offset:28064
; %bb.246:
	s_or_b64 exec, exec, s[12:13]
	s_waitcnt lgkmcnt(0)
	s_barrier
	s_barrier
	s_and_saveexec_b64 s[12:13], vcc
	s_cbranch_execz .LBB148_248
; %bb.247:
	s_movk_i32 s14, 0x1a0
	v_mov_b32_e32 v19, 0
	v_add_u32_e64 v15, s14, 0
	ds_read_b64 v[3:4], v19 offset:27560
	ds_read2st64_b64 v[15:18], v15 offset0:52 offset1:53
	s_waitcnt lgkmcnt(0)
	v_mul_f32_e32 v20, v4, v16
	v_mul_f32_e32 v16, v3, v16
	v_fma_f32 v20, v3, v15, -v20
	v_fmac_f32_e32 v16, v4, v15
	v_mul_f32_e32 v3, v16, v18
	v_mul_f32_e32 v4, v20, v18
	v_fma_f32 v3, v20, v17, -v3
	v_fmac_f32_e32 v4, v16, v17
	ds_write_b64 v19, v[3:4] offset:27552
.LBB148_248:
	s_or_b64 exec, exec, s[12:13]
	v_mov_b32_e32 v4, 0
	v_mov_b32_e32 v3, 0
	s_waitcnt lgkmcnt(0)
	s_barrier
	buffer_wbinvl1_vol
	s_and_saveexec_b64 s[14:15], s[18:19]
	s_cbranch_execz .LBB148_254
; %bb.249:
	v_lshlrev_b32_e32 v15, 3, v9
	v_lshlrev_b32_e32 v16, 9, v10
	ds_read_b64 v[3:4], v15 offset:27008
	ds_read_b64 v[17:18], v16 offset:27040
	v_cmp_gt_u32_e64 s[12:13], 12, v8
	s_waitcnt lgkmcnt(0)
	v_mul_f32_e32 v19, v18, v4
	v_mul_f32_e32 v4, v17, v4
	v_fma_f32 v17, v17, v3, -v19
	v_fmac_f32_e32 v4, v18, v3
	v_add_f32_e32 v3, 0, v17
	v_add_f32_e32 v4, 0, v4
	s_and_saveexec_b64 s[16:17], s[12:13]
	s_cbranch_execnz .LBB148_1062
; %bb.250:
	s_or_b64 exec, exec, s[16:17]
	v_cmp_gt_u32_e64 s[12:13], 8, v8
	s_and_saveexec_b64 s[16:17], s[12:13]
	s_cbranch_execnz .LBB148_1063
.LBB148_251:
	s_or_b64 exec, exec, s[16:17]
	v_cmp_gt_u32_e64 s[12:13], 4, v8
	s_and_saveexec_b64 s[16:17], s[12:13]
	s_cbranch_execz .LBB148_253
.LBB148_252:
	v_lshlrev_b32_e32 v15, 3, v0
	v_mov_b32_e32 v17, 0
	ds_read_b64 v[15:16], v15 offset:28544
	ds_read_b64 v[17:18], v17 offset:28600
	s_waitcnt lgkmcnt(0)
	v_mul_f32_e32 v19, v18, v16
	v_mul_f32_e32 v16, v17, v16
	v_fma_f32 v17, v17, v15, -v19
	v_fmac_f32_e32 v16, v18, v15
	v_add_f32_e32 v3, v3, v17
	v_add_f32_e32 v4, v4, v16
.LBB148_253:
	s_or_b64 exec, exec, s[16:17]
.LBB148_254:
	s_or_b64 exec, exec, s[14:15]
	s_and_saveexec_b64 s[12:13], s[48:49]
	s_cbranch_execz .LBB148_256
; %bb.255:
	v_mov_b32_e32 v15, 0
	ds_read_b64 v[15:16], v15 offset:26520
	s_waitcnt lgkmcnt(0)
	v_mul_f32_e32 v17, v4, v16
	v_mul_f32_e32 v18, v3, v16
	v_fma_f32 v3, v3, v15, -v17
	v_fmac_f32_e32 v18, v4, v15
	v_xor_b32_e32 v15, 0x80000000, v3
	v_xor_b32_e32 v16, 0x80000000, v18
	v_mov_b32_e32 v4, v18
	ds_write_b64 v11, v[15:16]
.LBB148_256:
	s_or_b64 exec, exec, s[12:13]
	s_waitcnt lgkmcnt(0)
	s_barrier
	s_and_saveexec_b64 s[12:13], s[50:51]
	s_cbranch_execz .LBB148_258
; %bb.257:
	v_lshlrev_b32_e32 v15, 3, v9
	ds_read_b64 v[15:16], v15 offset:26496
	ds_read_b64 v[17:18], v11
	s_waitcnt lgkmcnt(0)
	v_mul_f32_e32 v19, v18, v16
	v_mul_f32_e32 v16, v17, v16
	v_fma_f32 v17, v17, v15, -v19
	v_fmac_f32_e32 v16, v18, v15
	v_sub_f32_e32 v3, v3, v17
	v_sub_f32_e32 v4, v4, v16
.LBB148_258:
	s_or_b64 exec, exec, s[12:13]
	s_barrier
	s_and_saveexec_b64 s[12:13], s[52:53]
	s_cbranch_execz .LBB148_260
; %bb.259:
	v_mov_b32_e32 v15, 0
	ds_read_b64 v[15:16], v15 offset:26000
	s_waitcnt lgkmcnt(0)
	v_mul_f32_e32 v17, v4, v16
	v_mul_f32_e32 v18, v3, v16
	v_fma_f32 v3, v3, v15, -v17
	v_fmac_f32_e32 v18, v4, v15
	v_xor_b32_e32 v15, 0x80000000, v3
	v_xor_b32_e32 v16, 0x80000000, v18
	v_mov_b32_e32 v4, v18
	ds_write_b64 v11, v[15:16]
.LBB148_260:
	s_or_b64 exec, exec, s[12:13]
	s_waitcnt lgkmcnt(0)
	s_barrier
	s_and_saveexec_b64 s[12:13], s[54:55]
	s_cbranch_execz .LBB148_262
; %bb.261:
	v_lshlrev_b32_e32 v15, 3, v9
	ds_read_b64 v[15:16], v15 offset:25984
	ds_read_b64 v[17:18], v11
	s_waitcnt lgkmcnt(0)
	v_mul_f32_e32 v19, v18, v16
	v_mul_f32_e32 v16, v17, v16
	v_fma_f32 v17, v17, v15, -v19
	v_fmac_f32_e32 v16, v18, v15
	v_sub_f32_e32 v3, v3, v17
	v_sub_f32_e32 v4, v4, v16
.LBB148_262:
	s_or_b64 exec, exec, s[12:13]
	s_barrier
	s_and_saveexec_b64 s[12:13], s[56:57]
	s_cbranch_execz .LBB148_264
; %bb.263:
	v_mov_b32_e32 v15, 0
	ds_read_b64 v[15:16], v15 offset:25480
	s_waitcnt lgkmcnt(0)
	v_mul_f32_e32 v17, v4, v16
	v_mul_f32_e32 v18, v3, v16
	v_fma_f32 v3, v3, v15, -v17
	v_fmac_f32_e32 v18, v4, v15
	v_xor_b32_e32 v15, 0x80000000, v3
	v_xor_b32_e32 v16, 0x80000000, v18
	v_mov_b32_e32 v4, v18
	ds_write_b64 v11, v[15:16]
.LBB148_264:
	s_or_b64 exec, exec, s[12:13]
	s_waitcnt lgkmcnt(0)
	s_barrier
	s_and_saveexec_b64 s[12:13], s[46:47]
	s_cbranch_execz .LBB148_266
; %bb.265:
	v_mov_b32_e32 v15, 0
	ds_read_b64 v[15:16], v15 offset:25472
	ds_read_b64 v[17:18], v11
	s_waitcnt lgkmcnt(0)
	v_mul_f32_e32 v19, v18, v16
	v_mul_f32_e32 v16, v17, v16
	v_fma_f32 v17, v17, v15, -v19
	v_fmac_f32_e32 v16, v18, v15
	v_sub_f32_e32 v3, v3, v17
	v_sub_f32_e32 v4, v4, v16
.LBB148_266:
	s_or_b64 exec, exec, s[12:13]
	s_barrier
	s_and_saveexec_b64 s[12:13], s[46:47]
	s_cbranch_execz .LBB148_268
; %bb.267:
	v_mov_b32_e32 v15, 0
	ds_read_b64 v[15:16], v15 offset:24960
	s_waitcnt lgkmcnt(0)
	v_mul_f32_e32 v17, v4, v16
	v_mul_f32_e32 v18, v3, v16
	v_fma_f32 v3, v3, v15, -v17
	v_fmac_f32_e32 v18, v4, v15
	v_xor_b32_e32 v15, 0x80000000, v3
	v_xor_b32_e32 v16, 0x80000000, v18
	v_mov_b32_e32 v4, v18
	ds_write_b64 v11, v[15:16]
.LBB148_268:
	s_or_b64 exec, exec, s[12:13]
	s_waitcnt lgkmcnt(0)
	s_barrier
	s_barrier
	s_and_saveexec_b64 s[12:13], s[18:19]
; %bb.269:
	v_lshlrev_b32_e32 v15, 3, v9
	v_lshl_or_b32 v15, v10, 9, v15
	ds_write_b64 v15, v[3:4] offset:27008
; %bb.270:
	s_or_b64 exec, exec, s[12:13]
	s_waitcnt lgkmcnt(0)
	s_barrier
	s_barrier
	s_and_saveexec_b64 s[12:13], vcc
	s_cbranch_execz .LBB148_272
; %bb.271:
	s_movk_i32 s14, 0x190
	v_mov_b32_e32 v19, 0
	v_add_u32_e64 v15, s14, 0
	ds_read_b64 v[3:4], v19 offset:26520
	ds_read2st64_b64 v[15:18], v15 offset0:50 offset1:51
	s_waitcnt lgkmcnt(0)
	v_mul_f32_e32 v20, v4, v16
	v_mul_f32_e32 v16, v3, v16
	v_fma_f32 v20, v3, v15, -v20
	v_fmac_f32_e32 v16, v4, v15
	v_mul_f32_e32 v3, v16, v18
	v_mul_f32_e32 v4, v20, v18
	v_fma_f32 v3, v20, v17, -v3
	v_fmac_f32_e32 v4, v16, v17
	ds_write_b64 v19, v[3:4] offset:26512
.LBB148_272:
	s_or_b64 exec, exec, s[12:13]
	v_mov_b32_e32 v3, 0
	v_mov_b32_e32 v4, 0
	s_waitcnt lgkmcnt(0)
	s_barrier
	buffer_wbinvl1_vol
	s_and_saveexec_b64 s[14:15], s[6:7]
	s_cbranch_execz .LBB148_276
; %bb.273:
	v_lshlrev_b32_e32 v3, 3, v5
	v_lshlrev_b32_e32 v15, 9, v6
	ds_read_b64 v[3:4], v3 offset:25984
	ds_read_b64 v[15:16], v15 offset:26000
	v_cmp_gt_u32_e64 s[12:13], 2, v8
	s_waitcnt lgkmcnt(0)
	v_mul_f32_e32 v17, v16, v4
	v_mul_f32_e32 v4, v15, v4
	v_fma_f32 v15, v15, v3, -v17
	v_fmac_f32_e32 v4, v16, v3
	v_add_f32_e32 v3, 0, v15
	v_add_f32_e32 v4, 0, v4
	s_and_saveexec_b64 s[16:17], s[12:13]
	s_cbranch_execz .LBB148_275
; %bb.274:
	v_lshlrev_b32_e32 v15, 3, v0
	v_mov_b32_e32 v17, 0
	ds_read_b64 v[15:16], v15 offset:26496
	ds_read_b64 v[17:18], v17 offset:26520
	s_waitcnt lgkmcnt(0)
	v_mul_f32_e32 v19, v18, v16
	v_mul_f32_e32 v16, v17, v16
	v_fma_f32 v17, v17, v15, -v19
	v_fmac_f32_e32 v16, v18, v15
	v_add_f32_e32 v3, v3, v17
	v_add_f32_e32 v4, v4, v16
.LBB148_275:
	s_or_b64 exec, exec, s[16:17]
.LBB148_276:
	s_or_b64 exec, exec, s[14:15]
	s_and_saveexec_b64 s[12:13], s[44:45]
	s_cbranch_execz .LBB148_278
; %bb.277:
	v_mov_b32_e32 v15, 0
	ds_read_b64 v[15:16], v15 offset:25480
	s_waitcnt lgkmcnt(0)
	v_mul_f32_e32 v17, v4, v16
	v_mul_f32_e32 v18, v3, v16
	v_fma_f32 v3, v3, v15, -v17
	v_fmac_f32_e32 v18, v4, v15
	v_xor_b32_e32 v15, 0x80000000, v3
	v_xor_b32_e32 v16, 0x80000000, v18
	v_mov_b32_e32 v4, v18
	ds_write_b64 v7, v[15:16]
.LBB148_278:
	s_or_b64 exec, exec, s[12:13]
	s_waitcnt lgkmcnt(0)
	s_barrier
	s_and_saveexec_b64 s[12:13], s[42:43]
	s_cbranch_execz .LBB148_280
; %bb.279:
	v_mov_b32_e32 v15, 0
	ds_read_b64 v[15:16], v15 offset:25472
	ds_read_b64 v[17:18], v7
	s_waitcnt lgkmcnt(0)
	v_mul_f32_e32 v19, v18, v16
	v_mul_f32_e32 v16, v17, v16
	v_fma_f32 v17, v17, v15, -v19
	v_fmac_f32_e32 v16, v18, v15
	v_sub_f32_e32 v3, v3, v17
	v_sub_f32_e32 v4, v4, v16
.LBB148_280:
	s_or_b64 exec, exec, s[12:13]
	s_barrier
	s_and_saveexec_b64 s[12:13], s[42:43]
	s_cbranch_execz .LBB148_282
; %bb.281:
	v_mov_b32_e32 v15, 0
	ds_read_b64 v[15:16], v15 offset:24960
	s_waitcnt lgkmcnt(0)
	v_mul_f32_e32 v17, v4, v16
	v_mul_f32_e32 v18, v3, v16
	v_fma_f32 v3, v3, v15, -v17
	v_fmac_f32_e32 v18, v4, v15
	v_xor_b32_e32 v15, 0x80000000, v3
	v_xor_b32_e32 v16, 0x80000000, v18
	v_mov_b32_e32 v4, v18
	ds_write_b64 v7, v[15:16]
.LBB148_282:
	s_or_b64 exec, exec, s[12:13]
	s_waitcnt lgkmcnt(0)
	s_barrier
	s_barrier
	s_and_saveexec_b64 s[12:13], s[6:7]
; %bb.283:
	v_lshlrev_b32_e32 v15, 3, v5
	v_lshl_or_b32 v15, v6, 9, v15
	ds_write_b64 v15, v[3:4] offset:25984
; %bb.284:
	s_or_b64 exec, exec, s[12:13]
	s_waitcnt lgkmcnt(0)
	s_barrier
	s_barrier
	s_and_saveexec_b64 s[12:13], vcc
	s_cbranch_execz .LBB148_286
; %bb.285:
	s_movk_i32 s14, 0x180
	v_mov_b32_e32 v19, 0
	v_add_u32_e64 v15, s14, 0
	ds_read_b64 v[3:4], v19 offset:25480
	ds_read2st64_b64 v[15:18], v15 offset0:48 offset1:49
	s_waitcnt lgkmcnt(0)
	v_mul_f32_e32 v20, v4, v16
	v_mul_f32_e32 v16, v3, v16
	v_fma_f32 v20, v3, v15, -v20
	v_fmac_f32_e32 v16, v4, v15
	v_mul_f32_e32 v3, v16, v18
	v_mul_f32_e32 v4, v20, v18
	v_fma_f32 v3, v20, v17, -v3
	v_fmac_f32_e32 v4, v16, v17
	ds_write_b64 v19, v[3:4] offset:25472
.LBB148_286:
	s_or_b64 exec, exec, s[12:13]
	s_movk_i32 s12, 0xff
	v_lshrrev_b32_e32 v17, 4, v8
	v_cmp_lt_u32_e64 s[14:15], s12, v8
	s_movk_i32 s12, 0x100
	v_and_b32_e32 v15, 15, v0
	v_sub_u32_e32 v16, 15, v17
	v_cmp_gt_u32_e64 s[12:13], s12, v8
	v_mov_b32_e32 v4, 0
	v_mov_b32_e32 v3, 0
	s_waitcnt lgkmcnt(0)
	s_barrier
	buffer_wbinvl1_vol
	s_and_saveexec_b64 s[20:21], s[12:13]
	s_cbranch_execz .LBB148_314
; %bb.287:
	v_lshlrev_b32_e32 v18, 3, v15
	v_lshlrev_b32_e32 v19, 9, v16
	ds_read_b64 v[3:4], v18 offset:24832
	ds_read_b64 v[20:21], v19 offset:24960
	s_movk_i32 s16, 0xf0
	v_cmp_gt_u32_e64 s[16:17], s16, v8
	s_waitcnt lgkmcnt(0)
	v_mul_f32_e32 v22, v21, v4
	v_mul_f32_e32 v4, v20, v4
	v_fma_f32 v20, v20, v3, -v22
	v_fmac_f32_e32 v4, v21, v3
	v_add_f32_e32 v3, 0, v20
	v_add_f32_e32 v4, 0, v4
	s_and_saveexec_b64 s[36:37], s[16:17]
	s_cbranch_execz .LBB148_289
; %bb.288:
	ds_read_b64 v[20:21], v18 offset:25344
	ds_read_b64 v[22:23], v19 offset:24968
	s_waitcnt lgkmcnt(0)
	v_mul_f32_e32 v24, v23, v21
	v_mul_f32_e32 v21, v22, v21
	v_fma_f32 v22, v22, v20, -v24
	v_fmac_f32_e32 v21, v23, v20
	v_add_f32_e32 v3, v3, v22
	v_add_f32_e32 v4, v4, v21
.LBB148_289:
	s_or_b64 exec, exec, s[36:37]
	s_movk_i32 s16, 0xe0
	v_cmp_gt_u32_e64 s[16:17], s16, v8
	s_and_saveexec_b64 s[36:37], s[16:17]
	s_cbranch_execz .LBB148_291
; %bb.290:
	ds_read_b64 v[20:21], v18 offset:25856
	ds_read_b64 v[22:23], v19 offset:24976
	s_waitcnt lgkmcnt(0)
	v_mul_f32_e32 v24, v23, v21
	v_mul_f32_e32 v21, v22, v21
	v_fma_f32 v22, v22, v20, -v24
	v_fmac_f32_e32 v21, v23, v20
	v_add_f32_e32 v3, v3, v22
	v_add_f32_e32 v4, v4, v21
.LBB148_291:
	s_or_b64 exec, exec, s[36:37]
	s_movk_i32 s16, 0xd0
	v_cmp_gt_u32_e64 s[16:17], s16, v8
	s_and_saveexec_b64 s[36:37], s[16:17]
	s_cbranch_execz .LBB148_293
; %bb.292:
	ds_read_b64 v[20:21], v18 offset:26368
	ds_read_b64 v[22:23], v19 offset:24984
	s_waitcnt lgkmcnt(0)
	v_mul_f32_e32 v24, v23, v21
	v_mul_f32_e32 v21, v22, v21
	v_fma_f32 v22, v22, v20, -v24
	v_fmac_f32_e32 v21, v23, v20
	v_add_f32_e32 v3, v3, v22
	v_add_f32_e32 v4, v4, v21
.LBB148_293:
	s_or_b64 exec, exec, s[36:37]
	s_movk_i32 s16, 0xc0
	v_cmp_gt_u32_e64 s[16:17], s16, v8
	s_and_saveexec_b64 s[36:37], s[16:17]
	s_cbranch_execz .LBB148_295
; %bb.294:
	ds_read_b64 v[20:21], v18 offset:26880
	ds_read_b64 v[22:23], v19 offset:24992
	s_waitcnt lgkmcnt(0)
	v_mul_f32_e32 v24, v23, v21
	v_mul_f32_e32 v21, v22, v21
	v_fma_f32 v22, v22, v20, -v24
	v_fmac_f32_e32 v21, v23, v20
	v_add_f32_e32 v3, v3, v22
	v_add_f32_e32 v4, v4, v21
.LBB148_295:
	s_or_b64 exec, exec, s[36:37]
	s_movk_i32 s16, 0xb0
	v_cmp_gt_u32_e64 s[16:17], s16, v8
	s_and_saveexec_b64 s[36:37], s[16:17]
	s_cbranch_execz .LBB148_297
; %bb.296:
	ds_read_b64 v[20:21], v18 offset:27392
	ds_read_b64 v[22:23], v19 offset:25000
	s_waitcnt lgkmcnt(0)
	v_mul_f32_e32 v24, v23, v21
	v_mul_f32_e32 v21, v22, v21
	v_fma_f32 v22, v22, v20, -v24
	v_fmac_f32_e32 v21, v23, v20
	v_add_f32_e32 v3, v3, v22
	v_add_f32_e32 v4, v4, v21
.LBB148_297:
	s_or_b64 exec, exec, s[36:37]
	s_movk_i32 s16, 0xa0
	v_cmp_gt_u32_e64 s[16:17], s16, v8
	s_and_saveexec_b64 s[36:37], s[16:17]
	s_cbranch_execz .LBB148_299
; %bb.298:
	ds_read_b64 v[20:21], v18 offset:27904
	ds_read_b64 v[22:23], v19 offset:25008
	s_waitcnt lgkmcnt(0)
	v_mul_f32_e32 v24, v23, v21
	v_mul_f32_e32 v21, v22, v21
	v_fma_f32 v22, v22, v20, -v24
	v_fmac_f32_e32 v21, v23, v20
	v_add_f32_e32 v3, v3, v22
	v_add_f32_e32 v4, v4, v21
.LBB148_299:
	s_or_b64 exec, exec, s[36:37]
	s_movk_i32 s16, 0x90
	v_cmp_gt_u32_e64 s[16:17], s16, v8
	s_and_saveexec_b64 s[36:37], s[16:17]
	s_cbranch_execz .LBB148_301
; %bb.300:
	ds_read_b64 v[20:21], v18 offset:28416
	ds_read_b64 v[22:23], v19 offset:25016
	s_waitcnt lgkmcnt(0)
	v_mul_f32_e32 v24, v23, v21
	v_mul_f32_e32 v21, v22, v21
	v_fma_f32 v22, v22, v20, -v24
	v_fmac_f32_e32 v21, v23, v20
	v_add_f32_e32 v3, v3, v22
	v_add_f32_e32 v4, v4, v21
.LBB148_301:
	s_or_b64 exec, exec, s[36:37]
	s_movk_i32 s16, 0x80
	v_cmp_gt_u32_e64 s[16:17], s16, v8
	s_and_saveexec_b64 s[36:37], s[16:17]
	s_cbranch_execz .LBB148_303
; %bb.302:
	ds_read_b64 v[20:21], v18 offset:28928
	ds_read_b64 v[22:23], v19 offset:25024
	s_waitcnt lgkmcnt(0)
	v_mul_f32_e32 v24, v23, v21
	v_mul_f32_e32 v21, v22, v21
	v_fma_f32 v22, v22, v20, -v24
	v_fmac_f32_e32 v21, v23, v20
	v_add_f32_e32 v3, v3, v22
	v_add_f32_e32 v4, v4, v21
.LBB148_303:
	s_or_b64 exec, exec, s[36:37]
	s_movk_i32 s16, 0x70
	v_cmp_gt_u32_e64 s[16:17], s16, v8
	s_and_saveexec_b64 s[36:37], s[16:17]
	s_cbranch_execz .LBB148_305
; %bb.304:
	ds_read_b64 v[20:21], v18 offset:29440
	ds_read_b64 v[22:23], v19 offset:25032
	s_waitcnt lgkmcnt(0)
	v_mul_f32_e32 v24, v23, v21
	v_mul_f32_e32 v21, v22, v21
	v_fma_f32 v22, v22, v20, -v24
	v_fmac_f32_e32 v21, v23, v20
	v_add_f32_e32 v3, v3, v22
	v_add_f32_e32 v4, v4, v21
.LBB148_305:
	s_or_b64 exec, exec, s[36:37]
	s_movk_i32 s16, 0x60
	v_cmp_gt_u32_e64 s[16:17], s16, v8
	s_and_saveexec_b64 s[36:37], s[16:17]
	s_cbranch_execz .LBB148_307
; %bb.306:
	ds_read_b64 v[20:21], v18 offset:29952
	ds_read_b64 v[22:23], v19 offset:25040
	s_waitcnt lgkmcnt(0)
	v_mul_f32_e32 v24, v23, v21
	v_mul_f32_e32 v21, v22, v21
	v_fma_f32 v22, v22, v20, -v24
	v_fmac_f32_e32 v21, v23, v20
	v_add_f32_e32 v3, v3, v22
	v_add_f32_e32 v4, v4, v21
.LBB148_307:
	s_or_b64 exec, exec, s[36:37]
	s_movk_i32 s16, 0x50
	v_cmp_gt_u32_e64 s[16:17], s16, v8
	s_and_saveexec_b64 s[36:37], s[16:17]
	s_cbranch_execnz .LBB148_1064
; %bb.308:
	s_or_b64 exec, exec, s[36:37]
	s_and_saveexec_b64 s[16:17], s[10:11]
	s_cbranch_execnz .LBB148_1065
.LBB148_309:
	s_or_b64 exec, exec, s[16:17]
	v_cmp_gt_u32_e64 s[16:17], 48, v8
	s_and_saveexec_b64 s[36:37], s[16:17]
	s_cbranch_execnz .LBB148_1066
.LBB148_310:
	s_or_b64 exec, exec, s[36:37]
	v_cmp_gt_u32_e64 s[16:17], 32, v8
	s_and_saveexec_b64 s[36:37], s[16:17]
	s_cbranch_execnz .LBB148_1067
.LBB148_311:
	s_or_b64 exec, exec, s[36:37]
	v_cmp_gt_u32_e64 s[16:17], 16, v8
	s_and_saveexec_b64 s[36:37], s[16:17]
	s_cbranch_execz .LBB148_313
.LBB148_312:
	v_lshlrev_b32_e32 v18, 3, v0
	v_mov_b32_e32 v20, 0
	ds_read_b64 v[18:19], v18 offset:32512
	ds_read_b64 v[20:21], v20 offset:32760
	s_waitcnt lgkmcnt(0)
	v_mul_f32_e32 v22, v21, v19
	v_mul_f32_e32 v19, v20, v19
	v_fma_f32 v20, v20, v18, -v22
	v_fmac_f32_e32 v19, v21, v18
	v_add_f32_e32 v3, v3, v20
	v_add_f32_e32 v4, v4, v19
.LBB148_313:
	s_or_b64 exec, exec, s[36:37]
.LBB148_314:
	s_or_b64 exec, exec, s[20:21]
	v_mov_b32_e32 v18, 0x8000
	v_lshl_add_u32 v17, v17, 3, v18
	v_cmp_eq_u32_e64 s[16:17], 15, v15
	s_xor_b64 s[20:21], s[14:15], -1
	s_and_b64 s[16:17], s[16:17], s[20:21]
	s_mov_b64 s[14:15], exec
	v_writelane_b32 v30, s16, 5
	v_writelane_b32 v30, s17, 6
	s_and_b64 s[16:17], s[14:15], s[16:17]
	s_mov_b64 exec, s[16:17]
	s_cbranch_execz .LBB148_316
; %bb.315:
	v_mov_b32_e32 v18, 0
	ds_read_b64 v[18:19], v18 offset:24440
	s_waitcnt lgkmcnt(0)
	v_mul_f32_e32 v20, v4, v19
	v_mul_f32_e32 v21, v3, v19
	v_fma_f32 v3, v3, v18, -v20
	v_fmac_f32_e32 v21, v4, v18
	v_xor_b32_e32 v18, 0x80000000, v3
	v_xor_b32_e32 v19, 0x80000000, v21
	v_mov_b32_e32 v4, v21
	ds_write_b64 v17, v[18:19]
.LBB148_316:
	s_or_b64 exec, exec, s[14:15]
	v_cmp_ne_u32_e64 s[14:15], 15, v15
	s_waitcnt lgkmcnt(0)
	s_barrier
	s_and_b64 s[16:17], s[14:15], s[20:21]
	s_mov_b64 s[14:15], exec
	v_writelane_b32 v30, s16, 7
	v_writelane_b32 v30, s17, 8
	s_and_b64 s[16:17], s[14:15], s[16:17]
	s_mov_b64 exec, s[16:17]
	s_cbranch_execz .LBB148_318
; %bb.317:
	v_lshlrev_b32_e32 v18, 3, v15
	ds_read_b64 v[18:19], v18 offset:24320
	ds_read_b64 v[20:21], v17
	s_waitcnt lgkmcnt(0)
	v_mul_f32_e32 v22, v21, v19
	v_mul_f32_e32 v19, v20, v19
	v_fma_f32 v20, v20, v18, -v22
	v_fmac_f32_e32 v19, v21, v18
	v_sub_f32_e32 v3, v3, v20
	v_sub_f32_e32 v4, v4, v19
.LBB148_318:
	s_or_b64 exec, exec, s[14:15]
	v_cmp_eq_u32_e64 s[14:15], 14, v15
	s_barrier
	s_and_b64 s[16:17], s[14:15], s[20:21]
	s_mov_b64 s[14:15], exec
	v_writelane_b32 v30, s16, 9
	v_writelane_b32 v30, s17, 10
	s_and_b64 s[16:17], s[14:15], s[16:17]
	s_mov_b64 exec, s[16:17]
	s_cbranch_execz .LBB148_320
; %bb.319:
	v_mov_b32_e32 v18, 0
	ds_read_b64 v[18:19], v18 offset:23920
	s_waitcnt lgkmcnt(0)
	v_mul_f32_e32 v20, v4, v19
	v_mul_f32_e32 v21, v3, v19
	v_fma_f32 v3, v3, v18, -v20
	v_fmac_f32_e32 v21, v4, v18
	v_xor_b32_e32 v18, 0x80000000, v3
	v_xor_b32_e32 v19, 0x80000000, v21
	v_mov_b32_e32 v4, v21
	ds_write_b64 v17, v[18:19]
.LBB148_320:
	s_or_b64 exec, exec, s[14:15]
	v_cmp_gt_u32_e64 s[14:15], 14, v15
	s_waitcnt lgkmcnt(0)
	s_barrier
	s_and_b64 s[16:17], s[14:15], s[20:21]
	s_mov_b64 s[14:15], exec
	v_writelane_b32 v30, s16, 11
	v_writelane_b32 v30, s17, 12
	s_and_b64 s[16:17], s[14:15], s[16:17]
	s_mov_b64 exec, s[16:17]
	s_cbranch_execz .LBB148_322
; %bb.321:
	v_lshlrev_b32_e32 v18, 3, v15
	ds_read_b64 v[18:19], v18 offset:23808
	ds_read_b64 v[20:21], v17
	s_waitcnt lgkmcnt(0)
	v_mul_f32_e32 v22, v21, v19
	v_mul_f32_e32 v19, v20, v19
	v_fma_f32 v20, v20, v18, -v22
	v_fmac_f32_e32 v19, v21, v18
	v_sub_f32_e32 v3, v3, v20
	v_sub_f32_e32 v4, v4, v19
.LBB148_322:
	s_or_b64 exec, exec, s[14:15]
	v_cmp_eq_u32_e64 s[14:15], 13, v15
	s_barrier
	s_and_b64 s[16:17], s[14:15], s[20:21]
	s_mov_b64 s[14:15], exec
	v_writelane_b32 v30, s16, 13
	v_writelane_b32 v30, s17, 14
	s_and_b64 s[16:17], s[14:15], s[16:17]
	s_mov_b64 exec, s[16:17]
	s_cbranch_execz .LBB148_324
; %bb.323:
	v_mov_b32_e32 v18, 0
	ds_read_b64 v[18:19], v18 offset:23400
	s_waitcnt lgkmcnt(0)
	v_mul_f32_e32 v20, v4, v19
	v_mul_f32_e32 v21, v3, v19
	v_fma_f32 v3, v3, v18, -v20
	v_fmac_f32_e32 v21, v4, v18
	v_xor_b32_e32 v18, 0x80000000, v3
	v_xor_b32_e32 v19, 0x80000000, v21
	v_mov_b32_e32 v4, v21
	ds_write_b64 v17, v[18:19]
.LBB148_324:
	s_or_b64 exec, exec, s[14:15]
	v_cmp_gt_u32_e64 s[14:15], 13, v15
	;; [unrolled: 46-line block ×12, first 2 shown]
	s_and_b64 s[36:37], s[14:15], s[20:21]
	s_waitcnt lgkmcnt(0)
	s_barrier
	s_and_saveexec_b64 s[14:15], s[36:37]
	s_cbranch_execz .LBB148_366
; %bb.365:
	v_lshlrev_b32_e32 v18, 3, v15
	ds_read_b64 v[18:19], v18 offset:18176
	ds_read_b64 v[20:21], v17
	s_waitcnt lgkmcnt(0)
	v_mul_f32_e32 v22, v21, v19
	v_mul_f32_e32 v19, v20, v19
	v_fma_f32 v20, v20, v18, -v22
	v_fmac_f32_e32 v19, v21, v18
	v_sub_f32_e32 v3, v3, v20
	v_sub_f32_e32 v4, v4, v19
.LBB148_366:
	s_or_b64 exec, exec, s[14:15]
	v_cmp_eq_u32_e64 s[14:15], 2, v15
	s_and_b64 s[86:87], s[14:15], s[20:21]
	s_barrier
	s_and_saveexec_b64 s[14:15], s[86:87]
	s_cbranch_execz .LBB148_368
; %bb.367:
	v_mov_b32_e32 v18, 0
	ds_read_b64 v[18:19], v18 offset:17680
	s_waitcnt lgkmcnt(0)
	v_mul_f32_e32 v20, v4, v19
	v_mul_f32_e32 v21, v3, v19
	v_fma_f32 v3, v3, v18, -v20
	v_fmac_f32_e32 v21, v4, v18
	v_xor_b32_e32 v18, 0x80000000, v3
	v_xor_b32_e32 v19, 0x80000000, v21
	v_mov_b32_e32 v4, v21
	ds_write_b64 v17, v[18:19]
.LBB148_368:
	s_or_b64 exec, exec, s[14:15]
	v_cmp_gt_u32_e64 s[14:15], 2, v15
	s_and_b64 s[88:89], s[14:15], s[20:21]
	s_waitcnt lgkmcnt(0)
	s_barrier
	s_and_saveexec_b64 s[14:15], s[88:89]
	s_cbranch_execz .LBB148_370
; %bb.369:
	v_lshlrev_b32_e32 v18, 3, v15
	ds_read_b64 v[18:19], v18 offset:17664
	ds_read_b64 v[20:21], v17
	s_waitcnt lgkmcnt(0)
	v_mul_f32_e32 v22, v21, v19
	v_mul_f32_e32 v19, v20, v19
	v_fma_f32 v20, v20, v18, -v22
	v_fmac_f32_e32 v19, v21, v18
	v_sub_f32_e32 v3, v3, v20
	v_sub_f32_e32 v4, v4, v19
.LBB148_370:
	s_or_b64 exec, exec, s[14:15]
	v_cmp_eq_u32_e64 s[14:15], 1, v15
	s_and_b64 s[92:93], s[14:15], s[20:21]
	s_barrier
	s_and_saveexec_b64 s[14:15], s[92:93]
	s_cbranch_execz .LBB148_372
; %bb.371:
	v_mov_b32_e32 v18, 0
	ds_read_b64 v[18:19], v18 offset:17160
	s_waitcnt lgkmcnt(0)
	v_mul_f32_e32 v20, v4, v19
	v_mul_f32_e32 v21, v3, v19
	v_fma_f32 v3, v3, v18, -v20
	v_fmac_f32_e32 v21, v4, v18
	v_xor_b32_e32 v18, 0x80000000, v3
	v_xor_b32_e32 v19, 0x80000000, v21
	v_mov_b32_e32 v4, v21
	ds_write_b64 v17, v[18:19]
.LBB148_372:
	s_or_b64 exec, exec, s[14:15]
	v_cmp_eq_u32_e64 s[14:15], 0, v15
	s_and_b64 s[90:91], s[14:15], s[20:21]
	s_waitcnt lgkmcnt(0)
	s_barrier
	s_and_saveexec_b64 s[14:15], s[90:91]
	s_cbranch_execz .LBB148_374
; %bb.373:
	v_mov_b32_e32 v18, 0
	ds_read_b64 v[18:19], v18 offset:17152
	ds_read_b64 v[20:21], v17
	s_waitcnt lgkmcnt(0)
	v_mul_f32_e32 v22, v21, v19
	v_mul_f32_e32 v19, v20, v19
	v_fma_f32 v20, v20, v18, -v22
	v_fmac_f32_e32 v19, v21, v18
	v_sub_f32_e32 v3, v3, v20
	v_sub_f32_e32 v4, v4, v19
.LBB148_374:
	s_or_b64 exec, exec, s[14:15]
	s_barrier
	s_and_saveexec_b64 s[14:15], s[90:91]
	s_cbranch_execz .LBB148_376
; %bb.375:
	v_mov_b32_e32 v18, 0
	ds_read_b64 v[18:19], v18 offset:16640
	s_waitcnt lgkmcnt(0)
	v_mul_f32_e32 v20, v4, v19
	v_mul_f32_e32 v21, v3, v19
	v_fma_f32 v3, v3, v18, -v20
	v_fmac_f32_e32 v21, v4, v18
	v_xor_b32_e32 v18, 0x80000000, v3
	v_xor_b32_e32 v19, 0x80000000, v21
	v_mov_b32_e32 v4, v21
	ds_write_b64 v17, v[18:19]
.LBB148_376:
	s_or_b64 exec, exec, s[14:15]
	s_waitcnt lgkmcnt(0)
	s_barrier
	s_barrier
	s_and_saveexec_b64 s[14:15], s[12:13]
; %bb.377:
	v_lshlrev_b32_e32 v18, 3, v15
	v_lshl_or_b32 v18, v16, 9, v18
	ds_write_b64 v18, v[3:4] offset:24832
; %bb.378:
	s_or_b64 exec, exec, s[14:15]
	s_waitcnt lgkmcnt(0)
	s_barrier
	s_barrier
	s_and_saveexec_b64 s[14:15], vcc
	s_cbranch_execz .LBB148_380
; %bb.379:
	s_movk_i32 s16, 0x170
	v_mov_b32_e32 v22, 0
	v_add_u32_e64 v18, s16, 0
	ds_read_b64 v[3:4], v22 offset:24440
	ds_read2st64_b64 v[18:21], v18 offset0:46 offset1:47
	s_waitcnt lgkmcnt(0)
	v_mul_f32_e32 v23, v4, v19
	v_mul_f32_e32 v19, v3, v19
	v_fma_f32 v23, v3, v18, -v23
	v_fmac_f32_e32 v19, v4, v18
	v_mul_f32_e32 v3, v19, v21
	v_mul_f32_e32 v4, v23, v21
	v_fma_f32 v3, v23, v20, -v3
	v_fmac_f32_e32 v4, v19, v20
	ds_write_b64 v22, v[3:4] offset:24432
.LBB148_380:
	s_or_b64 exec, exec, s[14:15]
	v_mov_b32_e32 v3, 0
	v_mov_b32_e32 v4, 0
	s_waitcnt lgkmcnt(0)
	s_barrier
	buffer_wbinvl1_vol
	s_and_saveexec_b64 s[16:17], s[6:7]
	s_cbranch_execz .LBB148_384
; %bb.381:
	v_lshlrev_b32_e32 v3, 3, v5
	v_lshlrev_b32_e32 v18, 9, v6
	ds_read_b64 v[3:4], v3 offset:23904
	ds_read_b64 v[18:19], v18 offset:23920
	v_cmp_gt_u32_e64 s[14:15], 2, v8
	s_waitcnt lgkmcnt(0)
	v_mul_f32_e32 v20, v19, v4
	v_mul_f32_e32 v4, v18, v4
	v_fma_f32 v18, v18, v3, -v20
	v_fmac_f32_e32 v4, v19, v3
	v_add_f32_e32 v3, 0, v18
	v_add_f32_e32 v4, 0, v4
	s_and_saveexec_b64 s[20:21], s[14:15]
	s_cbranch_execz .LBB148_383
; %bb.382:
	v_lshlrev_b32_e32 v18, 3, v0
	v_mov_b32_e32 v20, 0
	ds_read_b64 v[18:19], v18 offset:24416
	ds_read_b64 v[20:21], v20 offset:24440
	s_waitcnt lgkmcnt(0)
	v_mul_f32_e32 v22, v21, v19
	v_mul_f32_e32 v19, v20, v19
	v_fma_f32 v20, v20, v18, -v22
	v_fmac_f32_e32 v19, v21, v18
	v_add_f32_e32 v3, v3, v20
	v_add_f32_e32 v4, v4, v19
.LBB148_383:
	s_or_b64 exec, exec, s[20:21]
.LBB148_384:
	s_or_b64 exec, exec, s[16:17]
	s_and_saveexec_b64 s[14:15], s[44:45]
	s_cbranch_execz .LBB148_386
; %bb.385:
	v_mov_b32_e32 v18, 0
	ds_read_b64 v[18:19], v18 offset:23400
	s_waitcnt lgkmcnt(0)
	v_mul_f32_e32 v20, v4, v19
	v_mul_f32_e32 v21, v3, v19
	v_fma_f32 v3, v3, v18, -v20
	v_fmac_f32_e32 v21, v4, v18
	v_xor_b32_e32 v18, 0x80000000, v3
	v_xor_b32_e32 v19, 0x80000000, v21
	v_mov_b32_e32 v4, v21
	ds_write_b64 v7, v[18:19]
.LBB148_386:
	s_or_b64 exec, exec, s[14:15]
	s_waitcnt lgkmcnt(0)
	s_barrier
	s_and_saveexec_b64 s[14:15], s[42:43]
	s_cbranch_execz .LBB148_388
; %bb.387:
	v_mov_b32_e32 v18, 0
	ds_read_b64 v[18:19], v18 offset:23392
	ds_read_b64 v[20:21], v7
	s_waitcnt lgkmcnt(0)
	v_mul_f32_e32 v22, v21, v19
	v_mul_f32_e32 v19, v20, v19
	v_fma_f32 v20, v20, v18, -v22
	v_fmac_f32_e32 v19, v21, v18
	v_sub_f32_e32 v3, v3, v20
	v_sub_f32_e32 v4, v4, v19
.LBB148_388:
	s_or_b64 exec, exec, s[14:15]
	s_barrier
	s_and_saveexec_b64 s[14:15], s[42:43]
	s_cbranch_execz .LBB148_390
; %bb.389:
	v_mov_b32_e32 v18, 0
	ds_read_b64 v[18:19], v18 offset:22880
	s_waitcnt lgkmcnt(0)
	v_mul_f32_e32 v20, v4, v19
	v_mul_f32_e32 v21, v3, v19
	v_fma_f32 v3, v3, v18, -v20
	v_fmac_f32_e32 v21, v4, v18
	v_xor_b32_e32 v18, 0x80000000, v3
	v_xor_b32_e32 v19, 0x80000000, v21
	v_mov_b32_e32 v4, v21
	ds_write_b64 v7, v[18:19]
.LBB148_390:
	s_or_b64 exec, exec, s[14:15]
	s_waitcnt lgkmcnt(0)
	s_barrier
	s_barrier
	s_and_saveexec_b64 s[14:15], s[6:7]
; %bb.391:
	v_lshlrev_b32_e32 v18, 3, v5
	v_lshl_or_b32 v18, v6, 9, v18
	ds_write_b64 v18, v[3:4] offset:23904
; %bb.392:
	s_or_b64 exec, exec, s[14:15]
	s_waitcnt lgkmcnt(0)
	s_barrier
	s_barrier
	s_and_saveexec_b64 s[14:15], vcc
	s_cbranch_execz .LBB148_394
; %bb.393:
	s_movk_i32 s16, 0x160
	v_mov_b32_e32 v22, 0
	v_add_u32_e64 v18, s16, 0
	ds_read_b64 v[3:4], v22 offset:23400
	ds_read2st64_b64 v[18:21], v18 offset0:44 offset1:45
	s_waitcnt lgkmcnt(0)
	v_mul_f32_e32 v23, v4, v19
	v_mul_f32_e32 v19, v3, v19
	v_fma_f32 v23, v3, v18, -v23
	v_fmac_f32_e32 v19, v4, v18
	v_mul_f32_e32 v3, v19, v21
	v_mul_f32_e32 v4, v23, v21
	v_fma_f32 v3, v23, v20, -v3
	v_fmac_f32_e32 v4, v19, v20
	ds_write_b64 v22, v[3:4] offset:23392
.LBB148_394:
	s_or_b64 exec, exec, s[14:15]
	v_mov_b32_e32 v4, 0
	v_mov_b32_e32 v3, 0
	s_waitcnt lgkmcnt(0)
	s_barrier
	buffer_wbinvl1_vol
	s_and_saveexec_b64 s[16:17], s[18:19]
	s_cbranch_execz .LBB148_400
; %bb.395:
	v_lshlrev_b32_e32 v18, 3, v9
	v_lshlrev_b32_e32 v19, 9, v10
	ds_read_b64 v[3:4], v18 offset:22848
	ds_read_b64 v[20:21], v19 offset:22880
	v_cmp_gt_u32_e64 s[14:15], 12, v8
	s_waitcnt lgkmcnt(0)
	v_mul_f32_e32 v22, v21, v4
	v_mul_f32_e32 v4, v20, v4
	v_fma_f32 v20, v20, v3, -v22
	v_fmac_f32_e32 v4, v21, v3
	v_add_f32_e32 v3, 0, v20
	v_add_f32_e32 v4, 0, v4
	s_and_saveexec_b64 s[20:21], s[14:15]
	s_cbranch_execnz .LBB148_1068
; %bb.396:
	s_or_b64 exec, exec, s[20:21]
	v_cmp_gt_u32_e64 s[14:15], 8, v8
	s_and_saveexec_b64 s[20:21], s[14:15]
	s_cbranch_execnz .LBB148_1069
.LBB148_397:
	s_or_b64 exec, exec, s[20:21]
	v_cmp_gt_u32_e64 s[14:15], 4, v8
	s_and_saveexec_b64 s[20:21], s[14:15]
	s_cbranch_execz .LBB148_399
.LBB148_398:
	v_lshlrev_b32_e32 v18, 3, v0
	v_mov_b32_e32 v20, 0
	ds_read_b64 v[18:19], v18 offset:24384
	ds_read_b64 v[20:21], v20 offset:24440
	s_waitcnt lgkmcnt(0)
	v_mul_f32_e32 v22, v21, v19
	v_mul_f32_e32 v19, v20, v19
	v_fma_f32 v20, v20, v18, -v22
	v_fmac_f32_e32 v19, v21, v18
	v_add_f32_e32 v3, v3, v20
	v_add_f32_e32 v4, v4, v19
.LBB148_399:
	s_or_b64 exec, exec, s[20:21]
.LBB148_400:
	s_or_b64 exec, exec, s[16:17]
	s_and_saveexec_b64 s[14:15], s[48:49]
	s_cbranch_execz .LBB148_402
; %bb.401:
	v_mov_b32_e32 v18, 0
	ds_read_b64 v[18:19], v18 offset:22360
	s_waitcnt lgkmcnt(0)
	v_mul_f32_e32 v20, v4, v19
	v_mul_f32_e32 v21, v3, v19
	v_fma_f32 v3, v3, v18, -v20
	v_fmac_f32_e32 v21, v4, v18
	v_xor_b32_e32 v18, 0x80000000, v3
	v_xor_b32_e32 v19, 0x80000000, v21
	v_mov_b32_e32 v4, v21
	ds_write_b64 v11, v[18:19]
.LBB148_402:
	s_or_b64 exec, exec, s[14:15]
	s_waitcnt lgkmcnt(0)
	s_barrier
	s_and_saveexec_b64 s[14:15], s[50:51]
	s_cbranch_execz .LBB148_404
; %bb.403:
	v_lshlrev_b32_e32 v18, 3, v9
	ds_read_b64 v[18:19], v18 offset:22336
	ds_read_b64 v[20:21], v11
	s_waitcnt lgkmcnt(0)
	v_mul_f32_e32 v22, v21, v19
	v_mul_f32_e32 v19, v20, v19
	v_fma_f32 v20, v20, v18, -v22
	v_fmac_f32_e32 v19, v21, v18
	v_sub_f32_e32 v3, v3, v20
	v_sub_f32_e32 v4, v4, v19
.LBB148_404:
	s_or_b64 exec, exec, s[14:15]
	s_barrier
	s_and_saveexec_b64 s[14:15], s[52:53]
	s_cbranch_execz .LBB148_406
; %bb.405:
	v_mov_b32_e32 v18, 0
	ds_read_b64 v[18:19], v18 offset:21840
	s_waitcnt lgkmcnt(0)
	v_mul_f32_e32 v20, v4, v19
	v_mul_f32_e32 v21, v3, v19
	v_fma_f32 v3, v3, v18, -v20
	v_fmac_f32_e32 v21, v4, v18
	v_xor_b32_e32 v18, 0x80000000, v3
	v_xor_b32_e32 v19, 0x80000000, v21
	v_mov_b32_e32 v4, v21
	ds_write_b64 v11, v[18:19]
.LBB148_406:
	s_or_b64 exec, exec, s[14:15]
	s_waitcnt lgkmcnt(0)
	s_barrier
	s_and_saveexec_b64 s[14:15], s[54:55]
	s_cbranch_execz .LBB148_408
; %bb.407:
	v_lshlrev_b32_e32 v18, 3, v9
	ds_read_b64 v[18:19], v18 offset:21824
	ds_read_b64 v[20:21], v11
	s_waitcnt lgkmcnt(0)
	v_mul_f32_e32 v22, v21, v19
	v_mul_f32_e32 v19, v20, v19
	v_fma_f32 v20, v20, v18, -v22
	v_fmac_f32_e32 v19, v21, v18
	v_sub_f32_e32 v3, v3, v20
	v_sub_f32_e32 v4, v4, v19
.LBB148_408:
	s_or_b64 exec, exec, s[14:15]
	s_barrier
	s_and_saveexec_b64 s[14:15], s[56:57]
	s_cbranch_execz .LBB148_410
; %bb.409:
	v_mov_b32_e32 v18, 0
	ds_read_b64 v[18:19], v18 offset:21320
	s_waitcnt lgkmcnt(0)
	v_mul_f32_e32 v20, v4, v19
	v_mul_f32_e32 v21, v3, v19
	v_fma_f32 v3, v3, v18, -v20
	v_fmac_f32_e32 v21, v4, v18
	v_xor_b32_e32 v18, 0x80000000, v3
	v_xor_b32_e32 v19, 0x80000000, v21
	v_mov_b32_e32 v4, v21
	ds_write_b64 v11, v[18:19]
.LBB148_410:
	s_or_b64 exec, exec, s[14:15]
	s_waitcnt lgkmcnt(0)
	s_barrier
	s_and_saveexec_b64 s[14:15], s[46:47]
	s_cbranch_execz .LBB148_412
; %bb.411:
	v_mov_b32_e32 v18, 0
	ds_read_b64 v[18:19], v18 offset:21312
	ds_read_b64 v[20:21], v11
	s_waitcnt lgkmcnt(0)
	v_mul_f32_e32 v22, v21, v19
	v_mul_f32_e32 v19, v20, v19
	v_fma_f32 v20, v20, v18, -v22
	v_fmac_f32_e32 v19, v21, v18
	v_sub_f32_e32 v3, v3, v20
	v_sub_f32_e32 v4, v4, v19
.LBB148_412:
	s_or_b64 exec, exec, s[14:15]
	s_barrier
	s_and_saveexec_b64 s[14:15], s[46:47]
	s_cbranch_execz .LBB148_414
; %bb.413:
	v_mov_b32_e32 v18, 0
	ds_read_b64 v[18:19], v18 offset:20800
	s_waitcnt lgkmcnt(0)
	v_mul_f32_e32 v20, v4, v19
	v_mul_f32_e32 v21, v3, v19
	v_fma_f32 v3, v3, v18, -v20
	v_fmac_f32_e32 v21, v4, v18
	v_xor_b32_e32 v18, 0x80000000, v3
	v_xor_b32_e32 v19, 0x80000000, v21
	v_mov_b32_e32 v4, v21
	ds_write_b64 v11, v[18:19]
.LBB148_414:
	s_or_b64 exec, exec, s[14:15]
	s_waitcnt lgkmcnt(0)
	s_barrier
	s_barrier
	s_and_saveexec_b64 s[14:15], s[18:19]
; %bb.415:
	v_lshlrev_b32_e32 v18, 3, v9
	v_lshl_or_b32 v18, v10, 9, v18
	ds_write_b64 v18, v[3:4] offset:22848
; %bb.416:
	s_or_b64 exec, exec, s[14:15]
	s_waitcnt lgkmcnt(0)
	s_barrier
	s_barrier
	s_and_saveexec_b64 s[14:15], vcc
	s_cbranch_execz .LBB148_418
; %bb.417:
	s_movk_i32 s16, 0x150
	v_mov_b32_e32 v22, 0
	v_add_u32_e64 v18, s16, 0
	ds_read_b64 v[3:4], v22 offset:22360
	ds_read2st64_b64 v[18:21], v18 offset0:42 offset1:43
	s_waitcnt lgkmcnt(0)
	v_mul_f32_e32 v23, v4, v19
	v_mul_f32_e32 v19, v3, v19
	v_fma_f32 v23, v3, v18, -v23
	v_fmac_f32_e32 v19, v4, v18
	v_mul_f32_e32 v3, v19, v21
	v_mul_f32_e32 v4, v23, v21
	v_fma_f32 v3, v23, v20, -v3
	v_fmac_f32_e32 v4, v19, v20
	ds_write_b64 v22, v[3:4] offset:22352
.LBB148_418:
	s_or_b64 exec, exec, s[14:15]
	v_mov_b32_e32 v3, 0
	v_mov_b32_e32 v4, 0
	s_waitcnt lgkmcnt(0)
	s_barrier
	buffer_wbinvl1_vol
	s_and_saveexec_b64 s[16:17], s[6:7]
	s_cbranch_execz .LBB148_422
; %bb.419:
	v_lshlrev_b32_e32 v3, 3, v5
	v_lshlrev_b32_e32 v18, 9, v6
	ds_read_b64 v[3:4], v3 offset:21824
	ds_read_b64 v[18:19], v18 offset:21840
	v_cmp_gt_u32_e64 s[14:15], 2, v8
	s_waitcnt lgkmcnt(0)
	v_mul_f32_e32 v20, v19, v4
	v_mul_f32_e32 v4, v18, v4
	v_fma_f32 v18, v18, v3, -v20
	v_fmac_f32_e32 v4, v19, v3
	v_add_f32_e32 v3, 0, v18
	v_add_f32_e32 v4, 0, v4
	s_and_saveexec_b64 s[20:21], s[14:15]
	s_cbranch_execz .LBB148_421
; %bb.420:
	v_lshlrev_b32_e32 v18, 3, v0
	v_mov_b32_e32 v20, 0
	ds_read_b64 v[18:19], v18 offset:22336
	ds_read_b64 v[20:21], v20 offset:22360
	s_waitcnt lgkmcnt(0)
	v_mul_f32_e32 v22, v21, v19
	v_mul_f32_e32 v19, v20, v19
	v_fma_f32 v20, v20, v18, -v22
	v_fmac_f32_e32 v19, v21, v18
	v_add_f32_e32 v3, v3, v20
	v_add_f32_e32 v4, v4, v19
.LBB148_421:
	s_or_b64 exec, exec, s[20:21]
.LBB148_422:
	s_or_b64 exec, exec, s[16:17]
	s_and_saveexec_b64 s[14:15], s[44:45]
	s_cbranch_execz .LBB148_424
; %bb.423:
	v_mov_b32_e32 v18, 0
	ds_read_b64 v[18:19], v18 offset:21320
	s_waitcnt lgkmcnt(0)
	v_mul_f32_e32 v20, v4, v19
	v_mul_f32_e32 v21, v3, v19
	v_fma_f32 v3, v3, v18, -v20
	v_fmac_f32_e32 v21, v4, v18
	v_xor_b32_e32 v18, 0x80000000, v3
	v_xor_b32_e32 v19, 0x80000000, v21
	v_mov_b32_e32 v4, v21
	ds_write_b64 v7, v[18:19]
.LBB148_424:
	s_or_b64 exec, exec, s[14:15]
	s_waitcnt lgkmcnt(0)
	s_barrier
	s_and_saveexec_b64 s[14:15], s[42:43]
	s_cbranch_execz .LBB148_426
; %bb.425:
	v_mov_b32_e32 v18, 0
	ds_read_b64 v[18:19], v18 offset:21312
	ds_read_b64 v[20:21], v7
	s_waitcnt lgkmcnt(0)
	v_mul_f32_e32 v22, v21, v19
	v_mul_f32_e32 v19, v20, v19
	v_fma_f32 v20, v20, v18, -v22
	v_fmac_f32_e32 v19, v21, v18
	v_sub_f32_e32 v3, v3, v20
	v_sub_f32_e32 v4, v4, v19
.LBB148_426:
	s_or_b64 exec, exec, s[14:15]
	s_barrier
	s_and_saveexec_b64 s[14:15], s[42:43]
	s_cbranch_execz .LBB148_428
; %bb.427:
	v_mov_b32_e32 v18, 0
	ds_read_b64 v[18:19], v18 offset:20800
	s_waitcnt lgkmcnt(0)
	v_mul_f32_e32 v20, v4, v19
	v_mul_f32_e32 v21, v3, v19
	v_fma_f32 v3, v3, v18, -v20
	v_fmac_f32_e32 v21, v4, v18
	v_xor_b32_e32 v18, 0x80000000, v3
	v_xor_b32_e32 v19, 0x80000000, v21
	v_mov_b32_e32 v4, v21
	ds_write_b64 v7, v[18:19]
.LBB148_428:
	s_or_b64 exec, exec, s[14:15]
	s_waitcnt lgkmcnt(0)
	s_barrier
	s_barrier
	s_and_saveexec_b64 s[14:15], s[6:7]
; %bb.429:
	v_lshlrev_b32_e32 v18, 3, v5
	v_lshl_or_b32 v18, v6, 9, v18
	ds_write_b64 v18, v[3:4] offset:21824
; %bb.430:
	s_or_b64 exec, exec, s[14:15]
	s_waitcnt lgkmcnt(0)
	s_barrier
	s_barrier
	s_and_saveexec_b64 s[14:15], vcc
	s_cbranch_execz .LBB148_432
; %bb.431:
	s_movk_i32 s16, 0x140
	v_mov_b32_e32 v22, 0
	v_add_u32_e64 v18, s16, 0
	ds_read_b64 v[3:4], v22 offset:21320
	ds_read2st64_b64 v[18:21], v18 offset0:40 offset1:41
	s_waitcnt lgkmcnt(0)
	v_mul_f32_e32 v23, v4, v19
	v_mul_f32_e32 v19, v3, v19
	v_fma_f32 v23, v3, v18, -v23
	v_fmac_f32_e32 v19, v4, v18
	v_mul_f32_e32 v3, v19, v21
	v_mul_f32_e32 v4, v23, v21
	v_fma_f32 v3, v23, v20, -v3
	v_fmac_f32_e32 v4, v19, v20
	ds_write_b64 v22, v[3:4] offset:21312
.LBB148_432:
	s_or_b64 exec, exec, s[14:15]
	v_mov_b32_e32 v4, 0
	v_mov_b32_e32 v3, 0
	s_waitcnt lgkmcnt(0)
	s_barrier
	buffer_wbinvl1_vol
	s_and_saveexec_b64 s[16:17], s[10:11]
	s_cbranch_execz .LBB148_442
; %bb.433:
	v_lshlrev_b32_e32 v18, 3, v12
	v_lshlrev_b32_e32 v19, 9, v13
	ds_read_b64 v[3:4], v18 offset:20736
	ds_read_b64 v[20:21], v19 offset:20800
	v_cmp_gt_u32_e64 s[14:15], 56, v8
	s_waitcnt lgkmcnt(0)
	v_mul_f32_e32 v22, v21, v4
	v_mul_f32_e32 v4, v20, v4
	v_fma_f32 v20, v20, v3, -v22
	v_fmac_f32_e32 v4, v21, v3
	v_add_f32_e32 v3, 0, v20
	v_add_f32_e32 v4, 0, v4
	s_and_saveexec_b64 s[20:21], s[14:15]
	s_cbranch_execnz .LBB148_1070
; %bb.434:
	s_or_b64 exec, exec, s[20:21]
	v_cmp_gt_u32_e64 s[14:15], 48, v8
	s_and_saveexec_b64 s[20:21], s[14:15]
	s_cbranch_execnz .LBB148_1071
.LBB148_435:
	s_or_b64 exec, exec, s[20:21]
	v_cmp_gt_u32_e64 s[14:15], 40, v8
	s_and_saveexec_b64 s[20:21], s[14:15]
	s_cbranch_execnz .LBB148_1072
.LBB148_436:
	s_or_b64 exec, exec, s[20:21]
	v_cmp_gt_u32_e64 s[14:15], 32, v8
	s_and_saveexec_b64 s[20:21], s[14:15]
	s_cbranch_execnz .LBB148_1073
.LBB148_437:
	s_or_b64 exec, exec, s[20:21]
	v_cmp_gt_u32_e64 s[14:15], 24, v8
	s_and_saveexec_b64 s[20:21], s[14:15]
	s_cbranch_execnz .LBB148_1074
.LBB148_438:
	s_or_b64 exec, exec, s[20:21]
	s_and_saveexec_b64 s[14:15], s[18:19]
	s_cbranch_execnz .LBB148_1075
.LBB148_439:
	s_or_b64 exec, exec, s[14:15]
	v_cmp_gt_u32_e64 s[14:15], 8, v8
	s_and_saveexec_b64 s[20:21], s[14:15]
	s_cbranch_execz .LBB148_441
.LBB148_440:
	v_lshlrev_b32_e32 v18, 3, v0
	v_mov_b32_e32 v20, 0
	ds_read_b64 v[18:19], v18 offset:24320
	ds_read_b64 v[20:21], v20 offset:24440
	s_waitcnt lgkmcnt(0)
	v_mul_f32_e32 v22, v21, v19
	v_mul_f32_e32 v19, v20, v19
	v_fma_f32 v20, v20, v18, -v22
	v_fmac_f32_e32 v19, v21, v18
	v_add_f32_e32 v3, v3, v20
	v_add_f32_e32 v4, v4, v19
.LBB148_441:
	s_or_b64 exec, exec, s[20:21]
.LBB148_442:
	s_or_b64 exec, exec, s[16:17]
	s_and_saveexec_b64 s[14:15], s[60:61]
	s_cbranch_execz .LBB148_444
; %bb.443:
	v_mov_b32_e32 v18, 0
	ds_read_b64 v[18:19], v18 offset:20280
	s_waitcnt lgkmcnt(0)
	v_mul_f32_e32 v20, v4, v19
	v_mul_f32_e32 v21, v3, v19
	v_fma_f32 v3, v3, v18, -v20
	v_fmac_f32_e32 v21, v4, v18
	v_xor_b32_e32 v18, 0x80000000, v3
	v_xor_b32_e32 v19, 0x80000000, v21
	v_mov_b32_e32 v4, v21
	ds_write_b64 v14, v[18:19]
.LBB148_444:
	s_or_b64 exec, exec, s[14:15]
	s_waitcnt lgkmcnt(0)
	s_barrier
	s_and_saveexec_b64 s[14:15], s[62:63]
	s_cbranch_execz .LBB148_446
; %bb.445:
	v_lshlrev_b32_e32 v18, 3, v12
	ds_read_b64 v[18:19], v18 offset:20224
	ds_read_b64 v[20:21], v14
	s_waitcnt lgkmcnt(0)
	v_mul_f32_e32 v22, v21, v19
	v_mul_f32_e32 v19, v20, v19
	v_fma_f32 v20, v20, v18, -v22
	v_fmac_f32_e32 v19, v21, v18
	v_sub_f32_e32 v3, v3, v20
	v_sub_f32_e32 v4, v4, v19
.LBB148_446:
	s_or_b64 exec, exec, s[14:15]
	s_barrier
	s_and_saveexec_b64 s[14:15], s[64:65]
	s_cbranch_execz .LBB148_448
; %bb.447:
	v_mov_b32_e32 v18, 0
	ds_read_b64 v[18:19], v18 offset:19760
	s_waitcnt lgkmcnt(0)
	v_mul_f32_e32 v20, v4, v19
	v_mul_f32_e32 v21, v3, v19
	v_fma_f32 v3, v3, v18, -v20
	v_fmac_f32_e32 v21, v4, v18
	v_xor_b32_e32 v18, 0x80000000, v3
	v_xor_b32_e32 v19, 0x80000000, v21
	v_mov_b32_e32 v4, v21
	ds_write_b64 v14, v[18:19]
.LBB148_448:
	s_or_b64 exec, exec, s[14:15]
	s_waitcnt lgkmcnt(0)
	s_barrier
	s_and_saveexec_b64 s[14:15], s[66:67]
	s_cbranch_execz .LBB148_450
; %bb.449:
	v_lshlrev_b32_e32 v18, 3, v12
	ds_read_b64 v[18:19], v18 offset:19712
	ds_read_b64 v[20:21], v14
	s_waitcnt lgkmcnt(0)
	v_mul_f32_e32 v22, v21, v19
	v_mul_f32_e32 v19, v20, v19
	v_fma_f32 v20, v20, v18, -v22
	v_fmac_f32_e32 v19, v21, v18
	v_sub_f32_e32 v3, v3, v20
	v_sub_f32_e32 v4, v4, v19
.LBB148_450:
	s_or_b64 exec, exec, s[14:15]
	s_barrier
	;; [unrolled: 34-line block ×6, first 2 shown]
	s_and_saveexec_b64 s[14:15], s[84:85]
	s_cbranch_execz .LBB148_468
; %bb.467:
	v_mov_b32_e32 v18, 0
	ds_read_b64 v[18:19], v18 offset:17160
	s_waitcnt lgkmcnt(0)
	v_mul_f32_e32 v20, v4, v19
	v_mul_f32_e32 v21, v3, v19
	v_fma_f32 v3, v3, v18, -v20
	v_fmac_f32_e32 v21, v4, v18
	v_xor_b32_e32 v18, 0x80000000, v3
	v_xor_b32_e32 v19, 0x80000000, v21
	v_mov_b32_e32 v4, v21
	ds_write_b64 v14, v[18:19]
.LBB148_468:
	s_or_b64 exec, exec, s[14:15]
	s_waitcnt lgkmcnt(0)
	s_barrier
	s_and_saveexec_b64 s[14:15], s[58:59]
	s_cbranch_execz .LBB148_470
; %bb.469:
	v_mov_b32_e32 v18, 0
	ds_read_b64 v[18:19], v18 offset:17152
	ds_read_b64 v[20:21], v14
	s_waitcnt lgkmcnt(0)
	v_mul_f32_e32 v22, v21, v19
	v_mul_f32_e32 v19, v20, v19
	v_fma_f32 v20, v20, v18, -v22
	v_fmac_f32_e32 v19, v21, v18
	v_sub_f32_e32 v3, v3, v20
	v_sub_f32_e32 v4, v4, v19
.LBB148_470:
	s_or_b64 exec, exec, s[14:15]
	s_barrier
	s_and_saveexec_b64 s[14:15], s[58:59]
	s_cbranch_execz .LBB148_472
; %bb.471:
	v_mov_b32_e32 v18, 0
	ds_read_b64 v[18:19], v18 offset:16640
	s_waitcnt lgkmcnt(0)
	v_mul_f32_e32 v20, v4, v19
	v_mul_f32_e32 v21, v3, v19
	v_fma_f32 v3, v3, v18, -v20
	v_fmac_f32_e32 v21, v4, v18
	v_xor_b32_e32 v18, 0x80000000, v3
	v_xor_b32_e32 v19, 0x80000000, v21
	v_mov_b32_e32 v4, v21
	ds_write_b64 v14, v[18:19]
.LBB148_472:
	s_or_b64 exec, exec, s[14:15]
	s_waitcnt lgkmcnt(0)
	s_barrier
	s_barrier
	s_and_saveexec_b64 s[14:15], s[10:11]
; %bb.473:
	v_lshlrev_b32_e32 v18, 3, v12
	v_lshl_or_b32 v18, v13, 9, v18
	ds_write_b64 v18, v[3:4] offset:20736
; %bb.474:
	s_or_b64 exec, exec, s[14:15]
	s_waitcnt lgkmcnt(0)
	s_barrier
	s_barrier
	s_and_saveexec_b64 s[14:15], vcc
	s_cbranch_execz .LBB148_476
; %bb.475:
	s_movk_i32 s16, 0x130
	v_mov_b32_e32 v22, 0
	v_add_u32_e64 v18, s16, 0
	ds_read_b64 v[3:4], v22 offset:20280
	ds_read2st64_b64 v[18:21], v18 offset0:38 offset1:39
	s_waitcnt lgkmcnt(0)
	v_mul_f32_e32 v23, v4, v19
	v_mul_f32_e32 v19, v3, v19
	v_fma_f32 v23, v3, v18, -v23
	v_fmac_f32_e32 v19, v4, v18
	v_mul_f32_e32 v3, v19, v21
	v_mul_f32_e32 v4, v23, v21
	v_fma_f32 v3, v23, v20, -v3
	v_fmac_f32_e32 v4, v19, v20
	ds_write_b64 v22, v[3:4] offset:20272
.LBB148_476:
	s_or_b64 exec, exec, s[14:15]
	v_mov_b32_e32 v3, 0
	v_mov_b32_e32 v4, 0
	s_waitcnt lgkmcnt(0)
	s_barrier
	buffer_wbinvl1_vol
	s_and_saveexec_b64 s[16:17], s[6:7]
	s_cbranch_execz .LBB148_480
; %bb.477:
	v_lshlrev_b32_e32 v3, 3, v5
	v_lshlrev_b32_e32 v18, 9, v6
	ds_read_b64 v[3:4], v3 offset:19744
	ds_read_b64 v[18:19], v18 offset:19760
	v_cmp_gt_u32_e64 s[14:15], 2, v8
	s_waitcnt lgkmcnt(0)
	v_mul_f32_e32 v20, v19, v4
	v_mul_f32_e32 v4, v18, v4
	v_fma_f32 v18, v18, v3, -v20
	v_fmac_f32_e32 v4, v19, v3
	v_add_f32_e32 v3, 0, v18
	v_add_f32_e32 v4, 0, v4
	s_and_saveexec_b64 s[20:21], s[14:15]
	s_cbranch_execz .LBB148_479
; %bb.478:
	v_lshlrev_b32_e32 v18, 3, v0
	v_mov_b32_e32 v20, 0
	ds_read_b64 v[18:19], v18 offset:20256
	ds_read_b64 v[20:21], v20 offset:20280
	s_waitcnt lgkmcnt(0)
	v_mul_f32_e32 v22, v21, v19
	v_mul_f32_e32 v19, v20, v19
	v_fma_f32 v20, v20, v18, -v22
	v_fmac_f32_e32 v19, v21, v18
	v_add_f32_e32 v3, v3, v20
	v_add_f32_e32 v4, v4, v19
.LBB148_479:
	s_or_b64 exec, exec, s[20:21]
.LBB148_480:
	s_or_b64 exec, exec, s[16:17]
	s_and_saveexec_b64 s[14:15], s[44:45]
	s_cbranch_execz .LBB148_482
; %bb.481:
	v_mov_b32_e32 v18, 0
	ds_read_b64 v[18:19], v18 offset:19240
	s_waitcnt lgkmcnt(0)
	v_mul_f32_e32 v20, v4, v19
	v_mul_f32_e32 v21, v3, v19
	v_fma_f32 v3, v3, v18, -v20
	v_fmac_f32_e32 v21, v4, v18
	v_xor_b32_e32 v18, 0x80000000, v3
	v_xor_b32_e32 v19, 0x80000000, v21
	v_mov_b32_e32 v4, v21
	ds_write_b64 v7, v[18:19]
.LBB148_482:
	s_or_b64 exec, exec, s[14:15]
	s_waitcnt lgkmcnt(0)
	s_barrier
	s_and_saveexec_b64 s[14:15], s[42:43]
	s_cbranch_execz .LBB148_484
; %bb.483:
	v_mov_b32_e32 v18, 0
	ds_read_b64 v[18:19], v18 offset:19232
	ds_read_b64 v[20:21], v7
	s_waitcnt lgkmcnt(0)
	v_mul_f32_e32 v22, v21, v19
	v_mul_f32_e32 v19, v20, v19
	v_fma_f32 v20, v20, v18, -v22
	v_fmac_f32_e32 v19, v21, v18
	v_sub_f32_e32 v3, v3, v20
	v_sub_f32_e32 v4, v4, v19
.LBB148_484:
	s_or_b64 exec, exec, s[14:15]
	s_barrier
	s_and_saveexec_b64 s[14:15], s[42:43]
	s_cbranch_execz .LBB148_486
; %bb.485:
	v_mov_b32_e32 v18, 0
	ds_read_b64 v[18:19], v18 offset:18720
	s_waitcnt lgkmcnt(0)
	v_mul_f32_e32 v20, v4, v19
	v_mul_f32_e32 v21, v3, v19
	v_fma_f32 v3, v3, v18, -v20
	v_fmac_f32_e32 v21, v4, v18
	v_xor_b32_e32 v18, 0x80000000, v3
	v_xor_b32_e32 v19, 0x80000000, v21
	v_mov_b32_e32 v4, v21
	ds_write_b64 v7, v[18:19]
.LBB148_486:
	s_or_b64 exec, exec, s[14:15]
	s_waitcnt lgkmcnt(0)
	s_barrier
	s_barrier
	s_and_saveexec_b64 s[14:15], s[6:7]
; %bb.487:
	v_lshlrev_b32_e32 v18, 3, v5
	v_lshl_or_b32 v18, v6, 9, v18
	ds_write_b64 v18, v[3:4] offset:19744
; %bb.488:
	s_or_b64 exec, exec, s[14:15]
	s_waitcnt lgkmcnt(0)
	s_barrier
	s_barrier
	s_and_saveexec_b64 s[14:15], vcc
	s_cbranch_execz .LBB148_490
; %bb.489:
	s_movk_i32 s16, 0x120
	v_mov_b32_e32 v22, 0
	v_add_u32_e64 v18, s16, 0
	ds_read_b64 v[3:4], v22 offset:19240
	ds_read2st64_b64 v[18:21], v18 offset0:36 offset1:37
	s_waitcnt lgkmcnt(0)
	v_mul_f32_e32 v23, v4, v19
	v_mul_f32_e32 v19, v3, v19
	v_fma_f32 v23, v3, v18, -v23
	v_fmac_f32_e32 v19, v4, v18
	v_mul_f32_e32 v3, v19, v21
	v_mul_f32_e32 v4, v23, v21
	v_fma_f32 v3, v23, v20, -v3
	v_fmac_f32_e32 v4, v19, v20
	ds_write_b64 v22, v[3:4] offset:19232
.LBB148_490:
	s_or_b64 exec, exec, s[14:15]
	v_mov_b32_e32 v4, 0
	v_mov_b32_e32 v3, 0
	s_waitcnt lgkmcnt(0)
	s_barrier
	buffer_wbinvl1_vol
	s_and_saveexec_b64 s[16:17], s[18:19]
	s_cbranch_execz .LBB148_496
; %bb.491:
	v_lshlrev_b32_e32 v18, 3, v9
	v_lshlrev_b32_e32 v19, 9, v10
	ds_read_b64 v[3:4], v18 offset:18688
	ds_read_b64 v[20:21], v19 offset:18720
	v_cmp_gt_u32_e64 s[14:15], 12, v8
	s_waitcnt lgkmcnt(0)
	v_mul_f32_e32 v22, v21, v4
	v_mul_f32_e32 v4, v20, v4
	v_fma_f32 v20, v20, v3, -v22
	v_fmac_f32_e32 v4, v21, v3
	v_add_f32_e32 v3, 0, v20
	v_add_f32_e32 v4, 0, v4
	s_and_saveexec_b64 s[20:21], s[14:15]
	s_cbranch_execnz .LBB148_1076
; %bb.492:
	s_or_b64 exec, exec, s[20:21]
	v_cmp_gt_u32_e64 s[14:15], 8, v8
	s_and_saveexec_b64 s[20:21], s[14:15]
	s_cbranch_execnz .LBB148_1077
.LBB148_493:
	s_or_b64 exec, exec, s[20:21]
	v_cmp_gt_u32_e64 s[14:15], 4, v8
	s_and_saveexec_b64 s[20:21], s[14:15]
	s_cbranch_execz .LBB148_495
.LBB148_494:
	v_lshlrev_b32_e32 v18, 3, v0
	v_mov_b32_e32 v20, 0
	ds_read_b64 v[18:19], v18 offset:20224
	ds_read_b64 v[20:21], v20 offset:20280
	s_waitcnt lgkmcnt(0)
	v_mul_f32_e32 v22, v21, v19
	v_mul_f32_e32 v19, v20, v19
	v_fma_f32 v20, v20, v18, -v22
	v_fmac_f32_e32 v19, v21, v18
	v_add_f32_e32 v3, v3, v20
	v_add_f32_e32 v4, v4, v19
.LBB148_495:
	s_or_b64 exec, exec, s[20:21]
.LBB148_496:
	s_or_b64 exec, exec, s[16:17]
	s_and_saveexec_b64 s[14:15], s[48:49]
	s_cbranch_execz .LBB148_498
; %bb.497:
	v_mov_b32_e32 v18, 0
	ds_read_b64 v[18:19], v18 offset:18200
	s_waitcnt lgkmcnt(0)
	v_mul_f32_e32 v20, v4, v19
	v_mul_f32_e32 v21, v3, v19
	v_fma_f32 v3, v3, v18, -v20
	v_fmac_f32_e32 v21, v4, v18
	v_xor_b32_e32 v18, 0x80000000, v3
	v_xor_b32_e32 v19, 0x80000000, v21
	v_mov_b32_e32 v4, v21
	ds_write_b64 v11, v[18:19]
.LBB148_498:
	s_or_b64 exec, exec, s[14:15]
	s_waitcnt lgkmcnt(0)
	s_barrier
	s_and_saveexec_b64 s[14:15], s[50:51]
	s_cbranch_execz .LBB148_500
; %bb.499:
	v_lshlrev_b32_e32 v18, 3, v9
	ds_read_b64 v[18:19], v18 offset:18176
	ds_read_b64 v[20:21], v11
	s_waitcnt lgkmcnt(0)
	v_mul_f32_e32 v22, v21, v19
	v_mul_f32_e32 v19, v20, v19
	v_fma_f32 v20, v20, v18, -v22
	v_fmac_f32_e32 v19, v21, v18
	v_sub_f32_e32 v3, v3, v20
	v_sub_f32_e32 v4, v4, v19
.LBB148_500:
	s_or_b64 exec, exec, s[14:15]
	s_barrier
	s_and_saveexec_b64 s[14:15], s[52:53]
	s_cbranch_execz .LBB148_502
; %bb.501:
	v_mov_b32_e32 v18, 0
	ds_read_b64 v[18:19], v18 offset:17680
	s_waitcnt lgkmcnt(0)
	v_mul_f32_e32 v20, v4, v19
	v_mul_f32_e32 v21, v3, v19
	v_fma_f32 v3, v3, v18, -v20
	v_fmac_f32_e32 v21, v4, v18
	v_xor_b32_e32 v18, 0x80000000, v3
	v_xor_b32_e32 v19, 0x80000000, v21
	v_mov_b32_e32 v4, v21
	ds_write_b64 v11, v[18:19]
.LBB148_502:
	s_or_b64 exec, exec, s[14:15]
	s_waitcnt lgkmcnt(0)
	s_barrier
	s_and_saveexec_b64 s[14:15], s[54:55]
	s_cbranch_execz .LBB148_504
; %bb.503:
	v_lshlrev_b32_e32 v18, 3, v9
	ds_read_b64 v[18:19], v18 offset:17664
	ds_read_b64 v[20:21], v11
	s_waitcnt lgkmcnt(0)
	v_mul_f32_e32 v22, v21, v19
	v_mul_f32_e32 v19, v20, v19
	v_fma_f32 v20, v20, v18, -v22
	v_fmac_f32_e32 v19, v21, v18
	v_sub_f32_e32 v3, v3, v20
	v_sub_f32_e32 v4, v4, v19
.LBB148_504:
	s_or_b64 exec, exec, s[14:15]
	s_barrier
	s_and_saveexec_b64 s[14:15], s[56:57]
	s_cbranch_execz .LBB148_506
; %bb.505:
	v_mov_b32_e32 v18, 0
	ds_read_b64 v[18:19], v18 offset:17160
	s_waitcnt lgkmcnt(0)
	v_mul_f32_e32 v20, v4, v19
	v_mul_f32_e32 v21, v3, v19
	v_fma_f32 v3, v3, v18, -v20
	v_fmac_f32_e32 v21, v4, v18
	v_xor_b32_e32 v18, 0x80000000, v3
	v_xor_b32_e32 v19, 0x80000000, v21
	v_mov_b32_e32 v4, v21
	ds_write_b64 v11, v[18:19]
.LBB148_506:
	s_or_b64 exec, exec, s[14:15]
	s_waitcnt lgkmcnt(0)
	s_barrier
	s_and_saveexec_b64 s[14:15], s[46:47]
	s_cbranch_execz .LBB148_508
; %bb.507:
	v_mov_b32_e32 v18, 0
	ds_read_b64 v[18:19], v18 offset:17152
	ds_read_b64 v[20:21], v11
	s_waitcnt lgkmcnt(0)
	v_mul_f32_e32 v22, v21, v19
	v_mul_f32_e32 v19, v20, v19
	v_fma_f32 v20, v20, v18, -v22
	v_fmac_f32_e32 v19, v21, v18
	v_sub_f32_e32 v3, v3, v20
	v_sub_f32_e32 v4, v4, v19
.LBB148_508:
	s_or_b64 exec, exec, s[14:15]
	s_barrier
	s_and_saveexec_b64 s[14:15], s[46:47]
	s_cbranch_execz .LBB148_510
; %bb.509:
	v_mov_b32_e32 v18, 0
	ds_read_b64 v[18:19], v18 offset:16640
	s_waitcnt lgkmcnt(0)
	v_mul_f32_e32 v20, v4, v19
	v_mul_f32_e32 v21, v3, v19
	v_fma_f32 v3, v3, v18, -v20
	v_fmac_f32_e32 v21, v4, v18
	v_xor_b32_e32 v18, 0x80000000, v3
	v_xor_b32_e32 v19, 0x80000000, v21
	v_mov_b32_e32 v4, v21
	ds_write_b64 v11, v[18:19]
.LBB148_510:
	s_or_b64 exec, exec, s[14:15]
	s_waitcnt lgkmcnt(0)
	s_barrier
	s_barrier
	s_and_saveexec_b64 s[14:15], s[18:19]
; %bb.511:
	v_lshlrev_b32_e32 v18, 3, v9
	v_lshl_or_b32 v18, v10, 9, v18
	ds_write_b64 v18, v[3:4] offset:18688
; %bb.512:
	s_or_b64 exec, exec, s[14:15]
	s_waitcnt lgkmcnt(0)
	s_barrier
	s_barrier
	s_and_saveexec_b64 s[14:15], vcc
	s_cbranch_execz .LBB148_514
; %bb.513:
	s_movk_i32 s16, 0x110
	v_mov_b32_e32 v22, 0
	v_add_u32_e64 v18, s16, 0
	ds_read_b64 v[3:4], v22 offset:18200
	ds_read2st64_b64 v[18:21], v18 offset0:34 offset1:35
	s_waitcnt lgkmcnt(0)
	v_mul_f32_e32 v23, v4, v19
	v_mul_f32_e32 v19, v3, v19
	v_fma_f32 v23, v3, v18, -v23
	v_fmac_f32_e32 v19, v4, v18
	v_mul_f32_e32 v3, v19, v21
	v_mul_f32_e32 v4, v23, v21
	v_fma_f32 v3, v23, v20, -v3
	v_fmac_f32_e32 v4, v19, v20
	ds_write_b64 v22, v[3:4] offset:18192
.LBB148_514:
	s_or_b64 exec, exec, s[14:15]
	v_mov_b32_e32 v3, 0
	v_mov_b32_e32 v4, 0
	s_waitcnt lgkmcnt(0)
	s_barrier
	buffer_wbinvl1_vol
	s_and_saveexec_b64 s[16:17], s[6:7]
	s_cbranch_execz .LBB148_518
; %bb.515:
	v_lshlrev_b32_e32 v3, 3, v5
	v_lshlrev_b32_e32 v18, 9, v6
	ds_read_b64 v[3:4], v3 offset:17664
	ds_read_b64 v[18:19], v18 offset:17680
	v_cmp_gt_u32_e64 s[14:15], 2, v8
	s_waitcnt lgkmcnt(0)
	v_mul_f32_e32 v20, v19, v4
	v_mul_f32_e32 v4, v18, v4
	v_fma_f32 v18, v18, v3, -v20
	v_fmac_f32_e32 v4, v19, v3
	v_add_f32_e32 v3, 0, v18
	v_add_f32_e32 v4, 0, v4
	s_and_saveexec_b64 s[20:21], s[14:15]
	s_cbranch_execz .LBB148_517
; %bb.516:
	v_lshlrev_b32_e32 v18, 3, v0
	v_mov_b32_e32 v20, 0
	ds_read_b64 v[18:19], v18 offset:18176
	ds_read_b64 v[20:21], v20 offset:18200
	s_waitcnt lgkmcnt(0)
	v_mul_f32_e32 v22, v21, v19
	v_mul_f32_e32 v19, v20, v19
	v_fma_f32 v20, v20, v18, -v22
	v_fmac_f32_e32 v19, v21, v18
	v_add_f32_e32 v3, v3, v20
	v_add_f32_e32 v4, v4, v19
.LBB148_517:
	s_or_b64 exec, exec, s[20:21]
.LBB148_518:
	s_or_b64 exec, exec, s[16:17]
	s_and_saveexec_b64 s[14:15], s[44:45]
	s_cbranch_execz .LBB148_520
; %bb.519:
	v_mov_b32_e32 v18, 0
	ds_read_b64 v[18:19], v18 offset:17160
	s_waitcnt lgkmcnt(0)
	v_mul_f32_e32 v20, v4, v19
	v_mul_f32_e32 v21, v3, v19
	v_fma_f32 v3, v3, v18, -v20
	v_fmac_f32_e32 v21, v4, v18
	v_xor_b32_e32 v18, 0x80000000, v3
	v_xor_b32_e32 v19, 0x80000000, v21
	v_mov_b32_e32 v4, v21
	ds_write_b64 v7, v[18:19]
.LBB148_520:
	s_or_b64 exec, exec, s[14:15]
	s_waitcnt lgkmcnt(0)
	s_barrier
	s_and_saveexec_b64 s[14:15], s[42:43]
	s_cbranch_execz .LBB148_522
; %bb.521:
	v_mov_b32_e32 v18, 0
	ds_read_b64 v[18:19], v18 offset:17152
	ds_read_b64 v[20:21], v7
	s_waitcnt lgkmcnt(0)
	v_mul_f32_e32 v22, v21, v19
	v_mul_f32_e32 v19, v20, v19
	v_fma_f32 v20, v20, v18, -v22
	v_fmac_f32_e32 v19, v21, v18
	v_sub_f32_e32 v3, v3, v20
	v_sub_f32_e32 v4, v4, v19
.LBB148_522:
	s_or_b64 exec, exec, s[14:15]
	s_barrier
	s_and_saveexec_b64 s[14:15], s[42:43]
	s_cbranch_execz .LBB148_524
; %bb.523:
	v_mov_b32_e32 v18, 0
	ds_read_b64 v[18:19], v18 offset:16640
	s_waitcnt lgkmcnt(0)
	v_mul_f32_e32 v20, v4, v19
	v_mul_f32_e32 v21, v3, v19
	v_fma_f32 v3, v3, v18, -v20
	v_fmac_f32_e32 v21, v4, v18
	v_xor_b32_e32 v18, 0x80000000, v3
	v_xor_b32_e32 v19, 0x80000000, v21
	v_mov_b32_e32 v4, v21
	ds_write_b64 v7, v[18:19]
.LBB148_524:
	s_or_b64 exec, exec, s[14:15]
	s_waitcnt lgkmcnt(0)
	s_barrier
	s_barrier
	s_and_saveexec_b64 s[14:15], s[6:7]
; %bb.525:
	v_lshlrev_b32_e32 v18, 3, v5
	v_lshl_or_b32 v18, v6, 9, v18
	ds_write_b64 v18, v[3:4] offset:17664
; %bb.526:
	s_or_b64 exec, exec, s[14:15]
	s_waitcnt lgkmcnt(0)
	s_barrier
	s_barrier
	s_and_saveexec_b64 s[14:15], vcc
	s_cbranch_execz .LBB148_528
; %bb.527:
	s_movk_i32 s16, 0x100
	v_mov_b32_e32 v22, 0
	v_add_u32_e64 v18, s16, 0
	ds_read_b64 v[3:4], v22 offset:17160
	ds_read2st64_b64 v[18:21], v18 offset0:32 offset1:33
	s_waitcnt lgkmcnt(0)
	v_mul_f32_e32 v23, v4, v19
	v_mul_f32_e32 v19, v3, v19
	v_fma_f32 v23, v3, v18, -v23
	v_fmac_f32_e32 v19, v4, v18
	v_mul_f32_e32 v3, v19, v21
	v_mul_f32_e32 v4, v23, v21
	v_fma_f32 v3, v23, v20, -v3
	v_fmac_f32_e32 v4, v19, v20
	ds_write_b64 v22, v[3:4] offset:17152
.LBB148_528:
	s_or_b64 exec, exec, s[14:15]
	s_movk_i32 s14, 0x3ff
	v_lshrrev_b32_e32 v20, 5, v8
	v_cmp_lt_u32_e64 s[16:17], s14, v8
	s_movk_i32 s14, 0x400
	v_and_b32_e32 v18, 31, v0
	v_sub_u32_e32 v19, 31, v20
	v_cmp_gt_u32_e64 s[14:15], s14, v8
	v_mov_b32_e32 v4, 0
	v_mov_b32_e32 v3, 0
	s_waitcnt lgkmcnt(0)
	s_barrier
	buffer_wbinvl1_vol
	s_and_saveexec_b64 s[94:95], s[14:15]
	s_cbranch_execz .LBB148_590
; %bb.529:
	v_lshlrev_b32_e32 v21, 3, v18
	v_lshlrev_b32_e32 v22, 9, v19
	ds_read_b64 v[3:4], v21 offset:16384
	ds_read_b64 v[23:24], v22 offset:16640
	s_movk_i32 s20, 0x3e0
	v_cmp_gt_u32_e64 s[20:21], s20, v8
	s_waitcnt lgkmcnt(0)
	v_mul_f32_e32 v25, v24, v4
	v_mul_f32_e32 v4, v23, v4
	v_fma_f32 v23, v23, v3, -v25
	v_fmac_f32_e32 v4, v24, v3
	v_add_f32_e32 v3, 0, v23
	v_add_f32_e32 v4, 0, v4
	s_and_saveexec_b64 s[96:97], s[20:21]
	s_cbranch_execz .LBB148_531
; %bb.530:
	ds_read_b64 v[23:24], v21 offset:16896
	ds_read_b64 v[25:26], v22 offset:16648
	s_waitcnt lgkmcnt(0)
	v_mul_f32_e32 v27, v26, v24
	v_mul_f32_e32 v24, v25, v24
	v_fma_f32 v25, v25, v23, -v27
	v_fmac_f32_e32 v24, v26, v23
	v_add_f32_e32 v3, v3, v25
	v_add_f32_e32 v4, v4, v24
.LBB148_531:
	s_or_b64 exec, exec, s[96:97]
	s_movk_i32 s20, 0x3c0
	v_cmp_gt_u32_e64 s[20:21], s20, v8
	s_and_saveexec_b64 s[96:97], s[20:21]
	s_cbranch_execz .LBB148_533
; %bb.532:
	ds_read_b64 v[23:24], v21 offset:17408
	ds_read_b64 v[25:26], v22 offset:16656
	s_waitcnt lgkmcnt(0)
	v_mul_f32_e32 v27, v26, v24
	v_mul_f32_e32 v24, v25, v24
	v_fma_f32 v25, v25, v23, -v27
	v_fmac_f32_e32 v24, v26, v23
	v_add_f32_e32 v3, v3, v25
	v_add_f32_e32 v4, v4, v24
.LBB148_533:
	s_or_b64 exec, exec, s[96:97]
	s_movk_i32 s20, 0x3a0
	v_cmp_gt_u32_e64 s[20:21], s20, v8
	s_and_saveexec_b64 s[96:97], s[20:21]
	s_cbranch_execz .LBB148_535
; %bb.534:
	ds_read_b64 v[23:24], v21 offset:17920
	ds_read_b64 v[25:26], v22 offset:16664
	s_waitcnt lgkmcnt(0)
	v_mul_f32_e32 v27, v26, v24
	v_mul_f32_e32 v24, v25, v24
	v_fma_f32 v25, v25, v23, -v27
	v_fmac_f32_e32 v24, v26, v23
	v_add_f32_e32 v3, v3, v25
	v_add_f32_e32 v4, v4, v24
.LBB148_535:
	s_or_b64 exec, exec, s[96:97]
	s_movk_i32 s20, 0x380
	v_cmp_gt_u32_e64 s[20:21], s20, v8
	s_and_saveexec_b64 s[96:97], s[20:21]
	s_cbranch_execz .LBB148_537
; %bb.536:
	ds_read_b64 v[23:24], v21 offset:18432
	ds_read_b64 v[25:26], v22 offset:16672
	s_waitcnt lgkmcnt(0)
	v_mul_f32_e32 v27, v26, v24
	v_mul_f32_e32 v24, v25, v24
	v_fma_f32 v25, v25, v23, -v27
	v_fmac_f32_e32 v24, v26, v23
	v_add_f32_e32 v3, v3, v25
	v_add_f32_e32 v4, v4, v24
.LBB148_537:
	s_or_b64 exec, exec, s[96:97]
	s_movk_i32 s20, 0x360
	v_cmp_gt_u32_e64 s[20:21], s20, v8
	s_and_saveexec_b64 s[96:97], s[20:21]
	s_cbranch_execz .LBB148_539
; %bb.538:
	ds_read_b64 v[23:24], v21 offset:18944
	ds_read_b64 v[25:26], v22 offset:16680
	s_waitcnt lgkmcnt(0)
	v_mul_f32_e32 v27, v26, v24
	v_mul_f32_e32 v24, v25, v24
	v_fma_f32 v25, v25, v23, -v27
	v_fmac_f32_e32 v24, v26, v23
	v_add_f32_e32 v3, v3, v25
	v_add_f32_e32 v4, v4, v24
.LBB148_539:
	s_or_b64 exec, exec, s[96:97]
	s_movk_i32 s20, 0x340
	v_cmp_gt_u32_e64 s[20:21], s20, v8
	s_and_saveexec_b64 s[96:97], s[20:21]
	s_cbranch_execz .LBB148_541
; %bb.540:
	ds_read_b64 v[23:24], v21 offset:19456
	ds_read_b64 v[25:26], v22 offset:16688
	s_waitcnt lgkmcnt(0)
	v_mul_f32_e32 v27, v26, v24
	v_mul_f32_e32 v24, v25, v24
	v_fma_f32 v25, v25, v23, -v27
	v_fmac_f32_e32 v24, v26, v23
	v_add_f32_e32 v3, v3, v25
	v_add_f32_e32 v4, v4, v24
.LBB148_541:
	s_or_b64 exec, exec, s[96:97]
	s_movk_i32 s20, 0x320
	v_cmp_gt_u32_e64 s[20:21], s20, v8
	s_and_saveexec_b64 s[96:97], s[20:21]
	s_cbranch_execz .LBB148_543
; %bb.542:
	ds_read_b64 v[23:24], v21 offset:19968
	ds_read_b64 v[25:26], v22 offset:16696
	s_waitcnt lgkmcnt(0)
	v_mul_f32_e32 v27, v26, v24
	v_mul_f32_e32 v24, v25, v24
	v_fma_f32 v25, v25, v23, -v27
	v_fmac_f32_e32 v24, v26, v23
	v_add_f32_e32 v3, v3, v25
	v_add_f32_e32 v4, v4, v24
.LBB148_543:
	s_or_b64 exec, exec, s[96:97]
	s_movk_i32 s20, 0x300
	v_cmp_gt_u32_e64 s[20:21], s20, v8
	s_and_saveexec_b64 s[96:97], s[20:21]
	s_cbranch_execz .LBB148_545
; %bb.544:
	ds_read_b64 v[23:24], v21 offset:20480
	ds_read_b64 v[25:26], v22 offset:16704
	s_waitcnt lgkmcnt(0)
	v_mul_f32_e32 v27, v26, v24
	v_mul_f32_e32 v24, v25, v24
	v_fma_f32 v25, v25, v23, -v27
	v_fmac_f32_e32 v24, v26, v23
	v_add_f32_e32 v3, v3, v25
	v_add_f32_e32 v4, v4, v24
.LBB148_545:
	s_or_b64 exec, exec, s[96:97]
	s_movk_i32 s20, 0x2e0
	v_cmp_gt_u32_e64 s[20:21], s20, v8
	s_and_saveexec_b64 s[96:97], s[20:21]
	s_cbranch_execz .LBB148_547
; %bb.546:
	ds_read_b64 v[23:24], v21 offset:20992
	ds_read_b64 v[25:26], v22 offset:16712
	s_waitcnt lgkmcnt(0)
	v_mul_f32_e32 v27, v26, v24
	v_mul_f32_e32 v24, v25, v24
	v_fma_f32 v25, v25, v23, -v27
	v_fmac_f32_e32 v24, v26, v23
	v_add_f32_e32 v3, v3, v25
	v_add_f32_e32 v4, v4, v24
.LBB148_547:
	s_or_b64 exec, exec, s[96:97]
	s_movk_i32 s20, 0x2c0
	v_cmp_gt_u32_e64 s[20:21], s20, v8
	s_and_saveexec_b64 s[96:97], s[20:21]
	s_cbranch_execz .LBB148_549
; %bb.548:
	ds_read_b64 v[23:24], v21 offset:21504
	ds_read_b64 v[25:26], v22 offset:16720
	s_waitcnt lgkmcnt(0)
	v_mul_f32_e32 v27, v26, v24
	v_mul_f32_e32 v24, v25, v24
	v_fma_f32 v25, v25, v23, -v27
	v_fmac_f32_e32 v24, v26, v23
	v_add_f32_e32 v3, v3, v25
	v_add_f32_e32 v4, v4, v24
.LBB148_549:
	s_or_b64 exec, exec, s[96:97]
	s_movk_i32 s20, 0x2a0
	v_cmp_gt_u32_e64 s[20:21], s20, v8
	s_and_saveexec_b64 s[96:97], s[20:21]
	s_cbranch_execz .LBB148_551
; %bb.550:
	ds_read_b64 v[23:24], v21 offset:22016
	ds_read_b64 v[25:26], v22 offset:16728
	s_waitcnt lgkmcnt(0)
	v_mul_f32_e32 v27, v26, v24
	v_mul_f32_e32 v24, v25, v24
	v_fma_f32 v25, v25, v23, -v27
	v_fmac_f32_e32 v24, v26, v23
	v_add_f32_e32 v3, v3, v25
	v_add_f32_e32 v4, v4, v24
.LBB148_551:
	s_or_b64 exec, exec, s[96:97]
	s_movk_i32 s20, 0x280
	v_cmp_gt_u32_e64 s[20:21], s20, v8
	s_and_saveexec_b64 s[96:97], s[20:21]
	s_cbranch_execz .LBB148_553
; %bb.552:
	ds_read_b64 v[23:24], v21 offset:22528
	ds_read_b64 v[25:26], v22 offset:16736
	s_waitcnt lgkmcnt(0)
	v_mul_f32_e32 v27, v26, v24
	v_mul_f32_e32 v24, v25, v24
	v_fma_f32 v25, v25, v23, -v27
	v_fmac_f32_e32 v24, v26, v23
	v_add_f32_e32 v3, v3, v25
	v_add_f32_e32 v4, v4, v24
.LBB148_553:
	s_or_b64 exec, exec, s[96:97]
	s_movk_i32 s20, 0x260
	v_cmp_gt_u32_e64 s[20:21], s20, v8
	s_and_saveexec_b64 s[96:97], s[20:21]
	s_cbranch_execz .LBB148_555
; %bb.554:
	ds_read_b64 v[23:24], v21 offset:23040
	ds_read_b64 v[25:26], v22 offset:16744
	s_waitcnt lgkmcnt(0)
	v_mul_f32_e32 v27, v26, v24
	v_mul_f32_e32 v24, v25, v24
	v_fma_f32 v25, v25, v23, -v27
	v_fmac_f32_e32 v24, v26, v23
	v_add_f32_e32 v3, v3, v25
	v_add_f32_e32 v4, v4, v24
.LBB148_555:
	s_or_b64 exec, exec, s[96:97]
	s_movk_i32 s20, 0x240
	v_cmp_gt_u32_e64 s[20:21], s20, v8
	s_and_saveexec_b64 s[96:97], s[20:21]
	s_cbranch_execz .LBB148_557
; %bb.556:
	ds_read_b64 v[23:24], v21 offset:23552
	ds_read_b64 v[25:26], v22 offset:16752
	s_waitcnt lgkmcnt(0)
	v_mul_f32_e32 v27, v26, v24
	v_mul_f32_e32 v24, v25, v24
	v_fma_f32 v25, v25, v23, -v27
	v_fmac_f32_e32 v24, v26, v23
	v_add_f32_e32 v3, v3, v25
	v_add_f32_e32 v4, v4, v24
.LBB148_557:
	s_or_b64 exec, exec, s[96:97]
	s_movk_i32 s20, 0x220
	v_cmp_gt_u32_e64 s[20:21], s20, v8
	s_and_saveexec_b64 s[96:97], s[20:21]
	s_cbranch_execz .LBB148_559
; %bb.558:
	ds_read_b64 v[23:24], v21 offset:24064
	ds_read_b64 v[25:26], v22 offset:16760
	s_waitcnt lgkmcnt(0)
	v_mul_f32_e32 v27, v26, v24
	v_mul_f32_e32 v24, v25, v24
	v_fma_f32 v25, v25, v23, -v27
	v_fmac_f32_e32 v24, v26, v23
	v_add_f32_e32 v3, v3, v25
	v_add_f32_e32 v4, v4, v24
.LBB148_559:
	s_or_b64 exec, exec, s[96:97]
	s_movk_i32 s20, 0x200
	v_cmp_gt_u32_e64 s[20:21], s20, v8
	s_and_saveexec_b64 s[96:97], s[20:21]
	s_cbranch_execz .LBB148_561
; %bb.560:
	ds_read_b64 v[23:24], v21 offset:24576
	ds_read_b64 v[25:26], v22 offset:16768
	s_waitcnt lgkmcnt(0)
	v_mul_f32_e32 v27, v26, v24
	v_mul_f32_e32 v24, v25, v24
	v_fma_f32 v25, v25, v23, -v27
	v_fmac_f32_e32 v24, v26, v23
	v_add_f32_e32 v3, v3, v25
	v_add_f32_e32 v4, v4, v24
.LBB148_561:
	s_or_b64 exec, exec, s[96:97]
	s_movk_i32 s20, 0x1e0
	v_cmp_gt_u32_e64 s[20:21], s20, v8
	s_and_saveexec_b64 s[96:97], s[20:21]
	s_cbranch_execz .LBB148_563
; %bb.562:
	ds_read_b64 v[23:24], v21 offset:25088
	ds_read_b64 v[25:26], v22 offset:16776
	s_waitcnt lgkmcnt(0)
	v_mul_f32_e32 v27, v26, v24
	v_mul_f32_e32 v24, v25, v24
	v_fma_f32 v25, v25, v23, -v27
	v_fmac_f32_e32 v24, v26, v23
	v_add_f32_e32 v3, v3, v25
	v_add_f32_e32 v4, v4, v24
.LBB148_563:
	s_or_b64 exec, exec, s[96:97]
	s_movk_i32 s20, 0x1c0
	v_cmp_gt_u32_e64 s[20:21], s20, v8
	s_and_saveexec_b64 s[96:97], s[20:21]
	s_cbranch_execz .LBB148_565
; %bb.564:
	ds_read_b64 v[23:24], v21 offset:25600
	ds_read_b64 v[25:26], v22 offset:16784
	s_waitcnt lgkmcnt(0)
	v_mul_f32_e32 v27, v26, v24
	v_mul_f32_e32 v24, v25, v24
	v_fma_f32 v25, v25, v23, -v27
	v_fmac_f32_e32 v24, v26, v23
	v_add_f32_e32 v3, v3, v25
	v_add_f32_e32 v4, v4, v24
.LBB148_565:
	s_or_b64 exec, exec, s[96:97]
	s_movk_i32 s20, 0x1a0
	v_cmp_gt_u32_e64 s[20:21], s20, v8
	s_and_saveexec_b64 s[96:97], s[20:21]
	s_cbranch_execz .LBB148_567
; %bb.566:
	ds_read_b64 v[23:24], v21 offset:26112
	ds_read_b64 v[25:26], v22 offset:16792
	s_waitcnt lgkmcnt(0)
	v_mul_f32_e32 v27, v26, v24
	v_mul_f32_e32 v24, v25, v24
	v_fma_f32 v25, v25, v23, -v27
	v_fmac_f32_e32 v24, v26, v23
	v_add_f32_e32 v3, v3, v25
	v_add_f32_e32 v4, v4, v24
.LBB148_567:
	s_or_b64 exec, exec, s[96:97]
	s_movk_i32 s20, 0x180
	v_cmp_gt_u32_e64 s[20:21], s20, v8
	s_and_saveexec_b64 s[96:97], s[20:21]
	s_cbranch_execz .LBB148_569
; %bb.568:
	ds_read_b64 v[23:24], v21 offset:26624
	ds_read_b64 v[25:26], v22 offset:16800
	s_waitcnt lgkmcnt(0)
	v_mul_f32_e32 v27, v26, v24
	v_mul_f32_e32 v24, v25, v24
	v_fma_f32 v25, v25, v23, -v27
	v_fmac_f32_e32 v24, v26, v23
	v_add_f32_e32 v3, v3, v25
	v_add_f32_e32 v4, v4, v24
.LBB148_569:
	s_or_b64 exec, exec, s[96:97]
	s_movk_i32 s20, 0x160
	v_cmp_gt_u32_e64 s[20:21], s20, v8
	s_and_saveexec_b64 s[96:97], s[20:21]
	s_cbranch_execz .LBB148_571
; %bb.570:
	ds_read_b64 v[23:24], v21 offset:27136
	ds_read_b64 v[25:26], v22 offset:16808
	s_waitcnt lgkmcnt(0)
	v_mul_f32_e32 v27, v26, v24
	v_mul_f32_e32 v24, v25, v24
	v_fma_f32 v25, v25, v23, -v27
	v_fmac_f32_e32 v24, v26, v23
	v_add_f32_e32 v3, v3, v25
	v_add_f32_e32 v4, v4, v24
.LBB148_571:
	s_or_b64 exec, exec, s[96:97]
	s_movk_i32 s20, 0x140
	v_cmp_gt_u32_e64 s[20:21], s20, v8
	s_and_saveexec_b64 s[96:97], s[20:21]
	s_cbranch_execz .LBB148_573
; %bb.572:
	ds_read_b64 v[23:24], v21 offset:27648
	ds_read_b64 v[25:26], v22 offset:16816
	s_waitcnt lgkmcnt(0)
	v_mul_f32_e32 v27, v26, v24
	v_mul_f32_e32 v24, v25, v24
	v_fma_f32 v25, v25, v23, -v27
	v_fmac_f32_e32 v24, v26, v23
	v_add_f32_e32 v3, v3, v25
	v_add_f32_e32 v4, v4, v24
.LBB148_573:
	s_or_b64 exec, exec, s[96:97]
	s_movk_i32 s20, 0x120
	v_cmp_gt_u32_e64 s[20:21], s20, v8
	s_and_saveexec_b64 s[96:97], s[20:21]
	s_cbranch_execz .LBB148_575
; %bb.574:
	ds_read_b64 v[23:24], v21 offset:28160
	ds_read_b64 v[25:26], v22 offset:16824
	s_waitcnt lgkmcnt(0)
	v_mul_f32_e32 v27, v26, v24
	v_mul_f32_e32 v24, v25, v24
	v_fma_f32 v25, v25, v23, -v27
	v_fmac_f32_e32 v24, v26, v23
	v_add_f32_e32 v3, v3, v25
	v_add_f32_e32 v4, v4, v24
.LBB148_575:
	s_or_b64 exec, exec, s[96:97]
	s_and_saveexec_b64 s[20:21], s[12:13]
	s_cbranch_execz .LBB148_577
; %bb.576:
	ds_read_b64 v[23:24], v21 offset:28672
	ds_read_b64 v[25:26], v22 offset:16832
	s_waitcnt lgkmcnt(0)
	v_mul_f32_e32 v27, v26, v24
	v_mul_f32_e32 v24, v25, v24
	v_fma_f32 v25, v25, v23, -v27
	v_fmac_f32_e32 v24, v26, v23
	v_add_f32_e32 v3, v3, v25
	v_add_f32_e32 v4, v4, v24
.LBB148_577:
	s_or_b64 exec, exec, s[20:21]
	s_movk_i32 s20, 0xe0
	v_cmp_gt_u32_e64 s[20:21], s20, v8
	s_and_saveexec_b64 s[96:97], s[20:21]
	s_cbranch_execz .LBB148_579
; %bb.578:
	ds_read_b64 v[23:24], v21 offset:29184
	ds_read_b64 v[25:26], v22 offset:16840
	s_waitcnt lgkmcnt(0)
	v_mul_f32_e32 v27, v26, v24
	v_mul_f32_e32 v24, v25, v24
	v_fma_f32 v25, v25, v23, -v27
	v_fmac_f32_e32 v24, v26, v23
	v_add_f32_e32 v3, v3, v25
	v_add_f32_e32 v4, v4, v24
.LBB148_579:
	s_or_b64 exec, exec, s[96:97]
	s_movk_i32 s20, 0xc0
	v_cmp_gt_u32_e64 s[20:21], s20, v8
	;; [unrolled: 16-line block ×5, first 2 shown]
	s_and_saveexec_b64 s[96:97], s[20:21]
	s_cbranch_execnz .LBB148_1078
; %bb.586:
	s_or_b64 exec, exec, s[96:97]
	s_and_saveexec_b64 s[20:21], s[10:11]
	s_cbranch_execnz .LBB148_1079
.LBB148_587:
	s_or_b64 exec, exec, s[20:21]
	v_cmp_gt_u32_e64 s[20:21], 32, v8
	s_and_saveexec_b64 s[96:97], s[20:21]
	s_cbranch_execz .LBB148_589
.LBB148_588:
	ds_read_b64 v[23:24], v21 offset:32256
	ds_read_b64 v[21:22], v22 offset:16888
	s_waitcnt lgkmcnt(0)
	v_mul_f32_e32 v25, v22, v24
	v_mul_f32_e32 v24, v21, v24
	v_fma_f32 v21, v21, v23, -v25
	v_fmac_f32_e32 v24, v22, v23
	v_add_f32_e32 v3, v3, v21
	v_add_f32_e32 v4, v4, v24
.LBB148_589:
	s_or_b64 exec, exec, s[96:97]
.LBB148_590:
	s_or_b64 exec, exec, s[94:95]
	v_mov_b32_e32 v21, 0x8000
	s_movk_i32 s20, 0x208
	v_lshlrev_b32_e32 v22, 9, v18
	v_mov_b32_e32 v23, 0x3c00
	v_lshl_add_u32 v20, v20, 3, v21
	v_mul_u32_u24_e32 v21, 0x208, v18
	v_sub_u32_e32 v22, 0, v22
	v_mad_u32_u24 v23, v18, s20, v23
	s_mov_b32 s94, 31
	s_xor_b64 s[20:21], s[16:17], -1
	s_branch .LBB148_592
.LBB148_591:                            ;   in Loop: Header=BB148_592 Depth=1
	s_or_b64 exec, exec, s[16:17]
	s_add_i32 s94, s94, -2
	s_cmp_eq_u32 s95, 0
	v_add_u32_e32 v22, 0xfffffc00, v22
	s_barrier
	s_cbranch_scc1 .LBB148_600
.LBB148_592:                            ; =>This Inner Loop Header: Depth=1
	s_movk_i32 s16, 0xc200
	v_cmp_eq_u32_e64 s[16:17], s16, v22
	s_and_b64 s[96:97], s[20:21], s[16:17]
	s_and_saveexec_b64 s[16:17], s[96:97]
	s_cbranch_execz .LBB148_594
; %bb.593:                              ;   in Loop: Header=BB148_592 Depth=1
	ds_read_b64 v[24:25], v21
	s_waitcnt lgkmcnt(0)
	v_mul_f32_e32 v26, v4, v25
	v_mul_f32_e32 v27, v3, v25
	v_fma_f32 v3, v3, v24, -v26
	v_fmac_f32_e32 v27, v4, v24
	v_xor_b32_e32 v24, 0x80000000, v3
	v_xor_b32_e32 v25, 0x80000000, v27
	v_mov_b32_e32 v4, v27
	ds_write_b64 v20, v[24:25]
.LBB148_594:                            ;   in Loop: Header=BB148_592 Depth=1
	s_or_b64 exec, exec, s[16:17]
	v_cmp_gt_u32_e64 s[16:17], s94, v18
	s_and_b64 s[96:97], s[20:21], s[16:17]
	v_add_u32_e32 v24, v23, v22
	s_waitcnt lgkmcnt(0)
	s_barrier
	s_and_saveexec_b64 s[16:17], s[96:97]
	s_cbranch_execz .LBB148_596
; %bb.595:                              ;   in Loop: Header=BB148_592 Depth=1
	ds_read_b64 v[25:26], v24 offset:512
	ds_read_b64 v[27:28], v20
	s_waitcnt lgkmcnt(0)
	v_mul_f32_e32 v29, v28, v26
	v_mul_f32_e32 v26, v27, v26
	v_fma_f32 v27, v27, v25, -v29
	v_fmac_f32_e32 v26, v28, v25
	v_sub_f32_e32 v3, v3, v27
	v_sub_f32_e32 v4, v4, v26
.LBB148_596:                            ;   in Loop: Header=BB148_592 Depth=1
	s_or_b64 exec, exec, s[16:17]
	s_add_i32 s95, s94, -1
	v_cmp_eq_u32_e64 s[16:17], s95, v18
	s_and_b64 s[96:97], s[20:21], s[16:17]
	s_barrier
	s_and_saveexec_b64 s[16:17], s[96:97]
	s_cbranch_execz .LBB148_598
; %bb.597:                              ;   in Loop: Header=BB148_592 Depth=1
	ds_read_b64 v[25:26], v21
	s_waitcnt lgkmcnt(0)
	v_mul_f32_e32 v27, v4, v26
	v_mul_f32_e32 v28, v3, v26
	v_fma_f32 v3, v3, v25, -v27
	v_fmac_f32_e32 v28, v4, v25
	v_xor_b32_e32 v25, 0x80000000, v3
	v_xor_b32_e32 v26, 0x80000000, v28
	v_mov_b32_e32 v4, v28
	ds_write_b64 v20, v[25:26]
.LBB148_598:                            ;   in Loop: Header=BB148_592 Depth=1
	s_or_b64 exec, exec, s[16:17]
	v_cmp_gt_u32_e64 s[16:17], s95, v18
	s_and_b64 s[96:97], s[20:21], s[16:17]
	s_waitcnt lgkmcnt(0)
	s_barrier
	s_and_saveexec_b64 s[16:17], s[96:97]
	s_cbranch_execz .LBB148_591
; %bb.599:                              ;   in Loop: Header=BB148_592 Depth=1
	ds_read_b64 v[24:25], v24
	ds_read_b64 v[26:27], v20
	s_waitcnt lgkmcnt(0)
	v_mul_f32_e32 v28, v27, v25
	v_mul_f32_e32 v25, v26, v25
	v_fma_f32 v26, v26, v24, -v28
	v_fmac_f32_e32 v25, v27, v24
	v_sub_f32_e32 v3, v3, v26
	v_sub_f32_e32 v4, v4, v25
	s_branch .LBB148_591
.LBB148_600:
	s_and_saveexec_b64 s[16:17], s[14:15]
; %bb.601:
	v_lshlrev_b32_e32 v18, 3, v18
	v_lshl_or_b32 v18, v19, 9, v18
	ds_write_b64 v18, v[3:4] offset:16384
; %bb.602:
	s_or_b64 exec, exec, s[16:17]
	s_waitcnt lgkmcnt(0)
	s_barrier
	s_barrier
	s_and_saveexec_b64 s[14:15], vcc
	s_cbranch_execz .LBB148_604
; %bb.603:
	s_movk_i32 s16, 0xf0
	v_mov_b32_e32 v22, 0
	v_add_u32_e64 v18, s16, 0
	ds_read_b64 v[3:4], v22 offset:16120
	ds_read2st64_b64 v[18:21], v18 offset0:30 offset1:31
	s_waitcnt lgkmcnt(0)
	v_mul_f32_e32 v23, v4, v19
	v_mul_f32_e32 v19, v3, v19
	v_fma_f32 v23, v3, v18, -v23
	v_fmac_f32_e32 v19, v4, v18
	v_mul_f32_e32 v3, v19, v21
	v_mul_f32_e32 v4, v23, v21
	v_fma_f32 v3, v23, v20, -v3
	v_fmac_f32_e32 v4, v19, v20
	ds_write_b64 v22, v[3:4] offset:16112
.LBB148_604:
	s_or_b64 exec, exec, s[14:15]
	v_mov_b32_e32 v3, 0
	v_mov_b32_e32 v4, 0
	s_waitcnt lgkmcnt(0)
	s_barrier
	buffer_wbinvl1_vol
	s_and_saveexec_b64 s[16:17], s[6:7]
	s_cbranch_execz .LBB148_608
; %bb.605:
	v_lshlrev_b32_e32 v3, 3, v5
	v_lshlrev_b32_e32 v18, 9, v6
	ds_read_b64 v[3:4], v3 offset:15584
	ds_read_b64 v[18:19], v18 offset:15600
	v_cmp_gt_u32_e64 s[14:15], 2, v8
	s_waitcnt lgkmcnt(0)
	v_mul_f32_e32 v20, v19, v4
	v_mul_f32_e32 v4, v18, v4
	v_fma_f32 v18, v18, v3, -v20
	v_fmac_f32_e32 v4, v19, v3
	v_add_f32_e32 v3, 0, v18
	v_add_f32_e32 v4, 0, v4
	s_and_saveexec_b64 s[20:21], s[14:15]
	s_cbranch_execz .LBB148_607
; %bb.606:
	v_lshlrev_b32_e32 v18, 3, v0
	v_mov_b32_e32 v20, 0
	ds_read_b64 v[18:19], v18 offset:16096
	ds_read_b64 v[20:21], v20 offset:16120
	s_waitcnt lgkmcnt(0)
	v_mul_f32_e32 v22, v21, v19
	v_mul_f32_e32 v19, v20, v19
	v_fma_f32 v20, v20, v18, -v22
	v_fmac_f32_e32 v19, v21, v18
	v_add_f32_e32 v3, v3, v20
	v_add_f32_e32 v4, v4, v19
.LBB148_607:
	s_or_b64 exec, exec, s[20:21]
.LBB148_608:
	s_or_b64 exec, exec, s[16:17]
	s_and_saveexec_b64 s[14:15], s[44:45]
	s_cbranch_execz .LBB148_610
; %bb.609:
	v_mov_b32_e32 v18, 0
	ds_read_b64 v[18:19], v18 offset:15080
	s_waitcnt lgkmcnt(0)
	v_mul_f32_e32 v20, v4, v19
	v_mul_f32_e32 v21, v3, v19
	v_fma_f32 v3, v3, v18, -v20
	v_fmac_f32_e32 v21, v4, v18
	v_xor_b32_e32 v18, 0x80000000, v3
	v_xor_b32_e32 v19, 0x80000000, v21
	v_mov_b32_e32 v4, v21
	ds_write_b64 v7, v[18:19]
.LBB148_610:
	s_or_b64 exec, exec, s[14:15]
	s_waitcnt lgkmcnt(0)
	s_barrier
	s_and_saveexec_b64 s[14:15], s[42:43]
	s_cbranch_execz .LBB148_612
; %bb.611:
	v_mov_b32_e32 v18, 0
	ds_read_b64 v[18:19], v18 offset:15072
	ds_read_b64 v[20:21], v7
	s_waitcnt lgkmcnt(0)
	v_mul_f32_e32 v22, v21, v19
	v_mul_f32_e32 v19, v20, v19
	v_fma_f32 v20, v20, v18, -v22
	v_fmac_f32_e32 v19, v21, v18
	v_sub_f32_e32 v3, v3, v20
	v_sub_f32_e32 v4, v4, v19
.LBB148_612:
	s_or_b64 exec, exec, s[14:15]
	s_barrier
	s_and_saveexec_b64 s[14:15], s[42:43]
	s_cbranch_execz .LBB148_614
; %bb.613:
	v_mov_b32_e32 v18, 0
	ds_read_b64 v[18:19], v18 offset:14560
	s_waitcnt lgkmcnt(0)
	v_mul_f32_e32 v20, v4, v19
	v_mul_f32_e32 v21, v3, v19
	v_fma_f32 v3, v3, v18, -v20
	v_fmac_f32_e32 v21, v4, v18
	v_xor_b32_e32 v18, 0x80000000, v3
	v_xor_b32_e32 v19, 0x80000000, v21
	v_mov_b32_e32 v4, v21
	ds_write_b64 v7, v[18:19]
.LBB148_614:
	s_or_b64 exec, exec, s[14:15]
	s_waitcnt lgkmcnt(0)
	s_barrier
	s_barrier
	s_and_saveexec_b64 s[14:15], s[6:7]
; %bb.615:
	v_lshlrev_b32_e32 v18, 3, v5
	v_lshl_or_b32 v18, v6, 9, v18
	ds_write_b64 v18, v[3:4] offset:15584
; %bb.616:
	s_or_b64 exec, exec, s[14:15]
	s_waitcnt lgkmcnt(0)
	s_barrier
	s_barrier
	s_and_saveexec_b64 s[14:15], vcc
	s_cbranch_execz .LBB148_618
; %bb.617:
	s_movk_i32 s16, 0xe0
	v_mov_b32_e32 v22, 0
	v_add_u32_e64 v18, s16, 0
	ds_read_b64 v[3:4], v22 offset:15080
	ds_read2st64_b64 v[18:21], v18 offset0:28 offset1:29
	s_waitcnt lgkmcnt(0)
	v_mul_f32_e32 v23, v4, v19
	v_mul_f32_e32 v19, v3, v19
	v_fma_f32 v23, v3, v18, -v23
	v_fmac_f32_e32 v19, v4, v18
	v_mul_f32_e32 v3, v19, v21
	v_mul_f32_e32 v4, v23, v21
	v_fma_f32 v3, v23, v20, -v3
	v_fmac_f32_e32 v4, v19, v20
	ds_write_b64 v22, v[3:4] offset:15072
.LBB148_618:
	s_or_b64 exec, exec, s[14:15]
	v_mov_b32_e32 v4, 0
	v_mov_b32_e32 v3, 0
	s_waitcnt lgkmcnt(0)
	s_barrier
	buffer_wbinvl1_vol
	s_and_saveexec_b64 s[16:17], s[18:19]
	s_cbranch_execz .LBB148_624
; %bb.619:
	v_lshlrev_b32_e32 v18, 3, v9
	v_lshlrev_b32_e32 v19, 9, v10
	ds_read_b64 v[3:4], v18 offset:14528
	ds_read_b64 v[20:21], v19 offset:14560
	v_cmp_gt_u32_e64 s[14:15], 12, v8
	s_waitcnt lgkmcnt(0)
	v_mul_f32_e32 v22, v21, v4
	v_mul_f32_e32 v4, v20, v4
	v_fma_f32 v20, v20, v3, -v22
	v_fmac_f32_e32 v4, v21, v3
	v_add_f32_e32 v3, 0, v20
	v_add_f32_e32 v4, 0, v4
	s_and_saveexec_b64 s[20:21], s[14:15]
	s_cbranch_execnz .LBB148_1080
; %bb.620:
	s_or_b64 exec, exec, s[20:21]
	v_cmp_gt_u32_e64 s[14:15], 8, v8
	s_and_saveexec_b64 s[20:21], s[14:15]
	s_cbranch_execnz .LBB148_1081
.LBB148_621:
	s_or_b64 exec, exec, s[20:21]
	v_cmp_gt_u32_e64 s[14:15], 4, v8
	s_and_saveexec_b64 s[20:21], s[14:15]
	s_cbranch_execz .LBB148_623
.LBB148_622:
	v_lshlrev_b32_e32 v18, 3, v0
	v_mov_b32_e32 v20, 0
	ds_read_b64 v[18:19], v18 offset:16064
	ds_read_b64 v[20:21], v20 offset:16120
	s_waitcnt lgkmcnt(0)
	v_mul_f32_e32 v22, v21, v19
	v_mul_f32_e32 v19, v20, v19
	v_fma_f32 v20, v20, v18, -v22
	v_fmac_f32_e32 v19, v21, v18
	v_add_f32_e32 v3, v3, v20
	v_add_f32_e32 v4, v4, v19
.LBB148_623:
	s_or_b64 exec, exec, s[20:21]
.LBB148_624:
	s_or_b64 exec, exec, s[16:17]
	s_and_saveexec_b64 s[14:15], s[48:49]
	s_cbranch_execz .LBB148_626
; %bb.625:
	v_mov_b32_e32 v18, 0
	ds_read_b64 v[18:19], v18 offset:14040
	s_waitcnt lgkmcnt(0)
	v_mul_f32_e32 v20, v4, v19
	v_mul_f32_e32 v21, v3, v19
	v_fma_f32 v3, v3, v18, -v20
	v_fmac_f32_e32 v21, v4, v18
	v_xor_b32_e32 v18, 0x80000000, v3
	v_xor_b32_e32 v19, 0x80000000, v21
	v_mov_b32_e32 v4, v21
	ds_write_b64 v11, v[18:19]
.LBB148_626:
	s_or_b64 exec, exec, s[14:15]
	s_waitcnt lgkmcnt(0)
	s_barrier
	s_and_saveexec_b64 s[14:15], s[50:51]
	s_cbranch_execz .LBB148_628
; %bb.627:
	v_lshlrev_b32_e32 v18, 3, v9
	ds_read_b64 v[18:19], v18 offset:14016
	ds_read_b64 v[20:21], v11
	s_waitcnt lgkmcnt(0)
	v_mul_f32_e32 v22, v21, v19
	v_mul_f32_e32 v19, v20, v19
	v_fma_f32 v20, v20, v18, -v22
	v_fmac_f32_e32 v19, v21, v18
	v_sub_f32_e32 v3, v3, v20
	v_sub_f32_e32 v4, v4, v19
.LBB148_628:
	s_or_b64 exec, exec, s[14:15]
	s_barrier
	s_and_saveexec_b64 s[14:15], s[52:53]
	s_cbranch_execz .LBB148_630
; %bb.629:
	v_mov_b32_e32 v18, 0
	ds_read_b64 v[18:19], v18 offset:13520
	s_waitcnt lgkmcnt(0)
	v_mul_f32_e32 v20, v4, v19
	v_mul_f32_e32 v21, v3, v19
	v_fma_f32 v3, v3, v18, -v20
	v_fmac_f32_e32 v21, v4, v18
	v_xor_b32_e32 v18, 0x80000000, v3
	v_xor_b32_e32 v19, 0x80000000, v21
	v_mov_b32_e32 v4, v21
	ds_write_b64 v11, v[18:19]
.LBB148_630:
	s_or_b64 exec, exec, s[14:15]
	s_waitcnt lgkmcnt(0)
	s_barrier
	s_and_saveexec_b64 s[14:15], s[54:55]
	s_cbranch_execz .LBB148_632
; %bb.631:
	v_lshlrev_b32_e32 v18, 3, v9
	ds_read_b64 v[18:19], v18 offset:13504
	ds_read_b64 v[20:21], v11
	s_waitcnt lgkmcnt(0)
	v_mul_f32_e32 v22, v21, v19
	v_mul_f32_e32 v19, v20, v19
	v_fma_f32 v20, v20, v18, -v22
	v_fmac_f32_e32 v19, v21, v18
	v_sub_f32_e32 v3, v3, v20
	v_sub_f32_e32 v4, v4, v19
.LBB148_632:
	s_or_b64 exec, exec, s[14:15]
	s_barrier
	s_and_saveexec_b64 s[14:15], s[56:57]
	s_cbranch_execz .LBB148_634
; %bb.633:
	v_mov_b32_e32 v18, 0
	ds_read_b64 v[18:19], v18 offset:13000
	s_waitcnt lgkmcnt(0)
	v_mul_f32_e32 v20, v4, v19
	v_mul_f32_e32 v21, v3, v19
	v_fma_f32 v3, v3, v18, -v20
	v_fmac_f32_e32 v21, v4, v18
	v_xor_b32_e32 v18, 0x80000000, v3
	v_xor_b32_e32 v19, 0x80000000, v21
	v_mov_b32_e32 v4, v21
	ds_write_b64 v11, v[18:19]
.LBB148_634:
	s_or_b64 exec, exec, s[14:15]
	s_waitcnt lgkmcnt(0)
	s_barrier
	s_and_saveexec_b64 s[14:15], s[46:47]
	s_cbranch_execz .LBB148_636
; %bb.635:
	v_mov_b32_e32 v18, 0
	ds_read_b64 v[18:19], v18 offset:12992
	ds_read_b64 v[20:21], v11
	s_waitcnt lgkmcnt(0)
	v_mul_f32_e32 v22, v21, v19
	v_mul_f32_e32 v19, v20, v19
	v_fma_f32 v20, v20, v18, -v22
	v_fmac_f32_e32 v19, v21, v18
	v_sub_f32_e32 v3, v3, v20
	v_sub_f32_e32 v4, v4, v19
.LBB148_636:
	s_or_b64 exec, exec, s[14:15]
	s_barrier
	s_and_saveexec_b64 s[14:15], s[46:47]
	s_cbranch_execz .LBB148_638
; %bb.637:
	v_mov_b32_e32 v18, 0
	ds_read_b64 v[18:19], v18 offset:12480
	s_waitcnt lgkmcnt(0)
	v_mul_f32_e32 v20, v4, v19
	v_mul_f32_e32 v21, v3, v19
	v_fma_f32 v3, v3, v18, -v20
	v_fmac_f32_e32 v21, v4, v18
	v_xor_b32_e32 v18, 0x80000000, v3
	v_xor_b32_e32 v19, 0x80000000, v21
	v_mov_b32_e32 v4, v21
	ds_write_b64 v11, v[18:19]
.LBB148_638:
	s_or_b64 exec, exec, s[14:15]
	s_waitcnt lgkmcnt(0)
	s_barrier
	s_barrier
	s_and_saveexec_b64 s[14:15], s[18:19]
; %bb.639:
	v_lshlrev_b32_e32 v18, 3, v9
	v_lshl_or_b32 v18, v10, 9, v18
	ds_write_b64 v18, v[3:4] offset:14528
; %bb.640:
	s_or_b64 exec, exec, s[14:15]
	s_waitcnt lgkmcnt(0)
	s_barrier
	s_barrier
	s_and_saveexec_b64 s[14:15], vcc
	s_cbranch_execz .LBB148_642
; %bb.641:
	s_movk_i32 s16, 0xd0
	v_mov_b32_e32 v22, 0
	v_add_u32_e64 v18, s16, 0
	ds_read_b64 v[3:4], v22 offset:14040
	ds_read2st64_b64 v[18:21], v18 offset0:26 offset1:27
	s_waitcnt lgkmcnt(0)
	v_mul_f32_e32 v23, v4, v19
	v_mul_f32_e32 v19, v3, v19
	v_fma_f32 v23, v3, v18, -v23
	v_fmac_f32_e32 v19, v4, v18
	v_mul_f32_e32 v3, v19, v21
	v_mul_f32_e32 v4, v23, v21
	v_fma_f32 v3, v23, v20, -v3
	v_fmac_f32_e32 v4, v19, v20
	ds_write_b64 v22, v[3:4] offset:14032
.LBB148_642:
	s_or_b64 exec, exec, s[14:15]
	v_mov_b32_e32 v3, 0
	v_mov_b32_e32 v4, 0
	s_waitcnt lgkmcnt(0)
	s_barrier
	buffer_wbinvl1_vol
	s_and_saveexec_b64 s[16:17], s[6:7]
	s_cbranch_execz .LBB148_646
; %bb.643:
	v_lshlrev_b32_e32 v3, 3, v5
	v_lshlrev_b32_e32 v18, 9, v6
	ds_read_b64 v[3:4], v3 offset:13504
	ds_read_b64 v[18:19], v18 offset:13520
	v_cmp_gt_u32_e64 s[14:15], 2, v8
	s_waitcnt lgkmcnt(0)
	v_mul_f32_e32 v20, v19, v4
	v_mul_f32_e32 v4, v18, v4
	v_fma_f32 v18, v18, v3, -v20
	v_fmac_f32_e32 v4, v19, v3
	v_add_f32_e32 v3, 0, v18
	v_add_f32_e32 v4, 0, v4
	s_and_saveexec_b64 s[20:21], s[14:15]
	s_cbranch_execz .LBB148_645
; %bb.644:
	v_lshlrev_b32_e32 v18, 3, v0
	v_mov_b32_e32 v20, 0
	ds_read_b64 v[18:19], v18 offset:14016
	ds_read_b64 v[20:21], v20 offset:14040
	s_waitcnt lgkmcnt(0)
	v_mul_f32_e32 v22, v21, v19
	v_mul_f32_e32 v19, v20, v19
	v_fma_f32 v20, v20, v18, -v22
	v_fmac_f32_e32 v19, v21, v18
	v_add_f32_e32 v3, v3, v20
	v_add_f32_e32 v4, v4, v19
.LBB148_645:
	s_or_b64 exec, exec, s[20:21]
.LBB148_646:
	s_or_b64 exec, exec, s[16:17]
	s_and_saveexec_b64 s[14:15], s[44:45]
	s_cbranch_execz .LBB148_648
; %bb.647:
	v_mov_b32_e32 v18, 0
	ds_read_b64 v[18:19], v18 offset:13000
	s_waitcnt lgkmcnt(0)
	v_mul_f32_e32 v20, v4, v19
	v_mul_f32_e32 v21, v3, v19
	v_fma_f32 v3, v3, v18, -v20
	v_fmac_f32_e32 v21, v4, v18
	v_xor_b32_e32 v18, 0x80000000, v3
	v_xor_b32_e32 v19, 0x80000000, v21
	v_mov_b32_e32 v4, v21
	ds_write_b64 v7, v[18:19]
.LBB148_648:
	s_or_b64 exec, exec, s[14:15]
	s_waitcnt lgkmcnt(0)
	s_barrier
	s_and_saveexec_b64 s[14:15], s[42:43]
	s_cbranch_execz .LBB148_650
; %bb.649:
	v_mov_b32_e32 v18, 0
	ds_read_b64 v[18:19], v18 offset:12992
	ds_read_b64 v[20:21], v7
	s_waitcnt lgkmcnt(0)
	v_mul_f32_e32 v22, v21, v19
	v_mul_f32_e32 v19, v20, v19
	v_fma_f32 v20, v20, v18, -v22
	v_fmac_f32_e32 v19, v21, v18
	v_sub_f32_e32 v3, v3, v20
	v_sub_f32_e32 v4, v4, v19
.LBB148_650:
	s_or_b64 exec, exec, s[14:15]
	s_barrier
	s_and_saveexec_b64 s[14:15], s[42:43]
	s_cbranch_execz .LBB148_652
; %bb.651:
	v_mov_b32_e32 v18, 0
	ds_read_b64 v[18:19], v18 offset:12480
	s_waitcnt lgkmcnt(0)
	v_mul_f32_e32 v20, v4, v19
	v_mul_f32_e32 v21, v3, v19
	v_fma_f32 v3, v3, v18, -v20
	v_fmac_f32_e32 v21, v4, v18
	v_xor_b32_e32 v18, 0x80000000, v3
	v_xor_b32_e32 v19, 0x80000000, v21
	v_mov_b32_e32 v4, v21
	ds_write_b64 v7, v[18:19]
.LBB148_652:
	s_or_b64 exec, exec, s[14:15]
	s_waitcnt lgkmcnt(0)
	s_barrier
	s_barrier
	s_and_saveexec_b64 s[14:15], s[6:7]
; %bb.653:
	v_lshlrev_b32_e32 v18, 3, v5
	v_lshl_or_b32 v18, v6, 9, v18
	ds_write_b64 v18, v[3:4] offset:13504
; %bb.654:
	s_or_b64 exec, exec, s[14:15]
	s_waitcnt lgkmcnt(0)
	s_barrier
	s_barrier
	s_and_saveexec_b64 s[14:15], vcc
	s_cbranch_execz .LBB148_656
; %bb.655:
	s_movk_i32 s16, 0xc0
	v_mov_b32_e32 v22, 0
	v_add_u32_e64 v18, s16, 0
	ds_read_b64 v[3:4], v22 offset:13000
	ds_read2st64_b64 v[18:21], v18 offset0:24 offset1:25
	s_waitcnt lgkmcnt(0)
	v_mul_f32_e32 v23, v4, v19
	v_mul_f32_e32 v19, v3, v19
	v_fma_f32 v23, v3, v18, -v23
	v_fmac_f32_e32 v19, v4, v18
	v_mul_f32_e32 v3, v19, v21
	v_mul_f32_e32 v4, v23, v21
	v_fma_f32 v3, v23, v20, -v3
	v_fmac_f32_e32 v4, v19, v20
	ds_write_b64 v22, v[3:4] offset:12992
.LBB148_656:
	s_or_b64 exec, exec, s[14:15]
	v_mov_b32_e32 v4, 0
	v_mov_b32_e32 v3, 0
	s_waitcnt lgkmcnt(0)
	s_barrier
	buffer_wbinvl1_vol
	s_and_saveexec_b64 s[16:17], s[10:11]
	s_cbranch_execz .LBB148_666
; %bb.657:
	v_lshlrev_b32_e32 v18, 3, v12
	v_lshlrev_b32_e32 v19, 9, v13
	ds_read_b64 v[3:4], v18 offset:12416
	ds_read_b64 v[20:21], v19 offset:12480
	v_cmp_gt_u32_e64 s[14:15], 56, v8
	s_waitcnt lgkmcnt(0)
	v_mul_f32_e32 v22, v21, v4
	v_mul_f32_e32 v4, v20, v4
	v_fma_f32 v20, v20, v3, -v22
	v_fmac_f32_e32 v4, v21, v3
	v_add_f32_e32 v3, 0, v20
	v_add_f32_e32 v4, 0, v4
	s_and_saveexec_b64 s[20:21], s[14:15]
	s_cbranch_execnz .LBB148_1082
; %bb.658:
	s_or_b64 exec, exec, s[20:21]
	v_cmp_gt_u32_e64 s[14:15], 48, v8
	s_and_saveexec_b64 s[20:21], s[14:15]
	s_cbranch_execnz .LBB148_1083
.LBB148_659:
	s_or_b64 exec, exec, s[20:21]
	v_cmp_gt_u32_e64 s[14:15], 40, v8
	s_and_saveexec_b64 s[20:21], s[14:15]
	s_cbranch_execnz .LBB148_1084
.LBB148_660:
	s_or_b64 exec, exec, s[20:21]
	v_cmp_gt_u32_e64 s[14:15], 32, v8
	s_and_saveexec_b64 s[20:21], s[14:15]
	s_cbranch_execnz .LBB148_1085
.LBB148_661:
	s_or_b64 exec, exec, s[20:21]
	v_cmp_gt_u32_e64 s[14:15], 24, v8
	s_and_saveexec_b64 s[20:21], s[14:15]
	s_cbranch_execnz .LBB148_1086
.LBB148_662:
	s_or_b64 exec, exec, s[20:21]
	s_and_saveexec_b64 s[14:15], s[18:19]
	s_cbranch_execnz .LBB148_1087
.LBB148_663:
	s_or_b64 exec, exec, s[14:15]
	v_cmp_gt_u32_e64 s[14:15], 8, v8
	s_and_saveexec_b64 s[20:21], s[14:15]
	s_cbranch_execz .LBB148_665
.LBB148_664:
	v_lshlrev_b32_e32 v18, 3, v0
	v_mov_b32_e32 v20, 0
	ds_read_b64 v[18:19], v18 offset:16000
	ds_read_b64 v[20:21], v20 offset:16120
	s_waitcnt lgkmcnt(0)
	v_mul_f32_e32 v22, v21, v19
	v_mul_f32_e32 v19, v20, v19
	v_fma_f32 v20, v20, v18, -v22
	v_fmac_f32_e32 v19, v21, v18
	v_add_f32_e32 v3, v3, v20
	v_add_f32_e32 v4, v4, v19
.LBB148_665:
	s_or_b64 exec, exec, s[20:21]
.LBB148_666:
	s_or_b64 exec, exec, s[16:17]
	s_and_saveexec_b64 s[14:15], s[60:61]
	s_cbranch_execz .LBB148_668
; %bb.667:
	v_mov_b32_e32 v18, 0
	ds_read_b64 v[18:19], v18 offset:11960
	s_waitcnt lgkmcnt(0)
	v_mul_f32_e32 v20, v4, v19
	v_mul_f32_e32 v21, v3, v19
	v_fma_f32 v3, v3, v18, -v20
	v_fmac_f32_e32 v21, v4, v18
	v_xor_b32_e32 v18, 0x80000000, v3
	v_xor_b32_e32 v19, 0x80000000, v21
	v_mov_b32_e32 v4, v21
	ds_write_b64 v14, v[18:19]
.LBB148_668:
	s_or_b64 exec, exec, s[14:15]
	s_waitcnt lgkmcnt(0)
	s_barrier
	s_and_saveexec_b64 s[14:15], s[62:63]
	s_cbranch_execz .LBB148_670
; %bb.669:
	v_lshlrev_b32_e32 v18, 3, v12
	ds_read_b64 v[18:19], v18 offset:11904
	ds_read_b64 v[20:21], v14
	s_waitcnt lgkmcnt(0)
	v_mul_f32_e32 v22, v21, v19
	v_mul_f32_e32 v19, v20, v19
	v_fma_f32 v20, v20, v18, -v22
	v_fmac_f32_e32 v19, v21, v18
	v_sub_f32_e32 v3, v3, v20
	v_sub_f32_e32 v4, v4, v19
.LBB148_670:
	s_or_b64 exec, exec, s[14:15]
	s_barrier
	s_and_saveexec_b64 s[14:15], s[64:65]
	s_cbranch_execz .LBB148_672
; %bb.671:
	v_mov_b32_e32 v18, 0
	ds_read_b64 v[18:19], v18 offset:11440
	s_waitcnt lgkmcnt(0)
	v_mul_f32_e32 v20, v4, v19
	v_mul_f32_e32 v21, v3, v19
	v_fma_f32 v3, v3, v18, -v20
	v_fmac_f32_e32 v21, v4, v18
	v_xor_b32_e32 v18, 0x80000000, v3
	v_xor_b32_e32 v19, 0x80000000, v21
	v_mov_b32_e32 v4, v21
	ds_write_b64 v14, v[18:19]
.LBB148_672:
	s_or_b64 exec, exec, s[14:15]
	s_waitcnt lgkmcnt(0)
	s_barrier
	s_and_saveexec_b64 s[14:15], s[66:67]
	s_cbranch_execz .LBB148_674
; %bb.673:
	v_lshlrev_b32_e32 v18, 3, v12
	ds_read_b64 v[18:19], v18 offset:11392
	ds_read_b64 v[20:21], v14
	s_waitcnt lgkmcnt(0)
	v_mul_f32_e32 v22, v21, v19
	v_mul_f32_e32 v19, v20, v19
	v_fma_f32 v20, v20, v18, -v22
	v_fmac_f32_e32 v19, v21, v18
	v_sub_f32_e32 v3, v3, v20
	v_sub_f32_e32 v4, v4, v19
.LBB148_674:
	s_or_b64 exec, exec, s[14:15]
	s_barrier
	;; [unrolled: 34-line block ×6, first 2 shown]
	s_and_saveexec_b64 s[14:15], s[84:85]
	s_cbranch_execz .LBB148_692
; %bb.691:
	v_mov_b32_e32 v18, 0
	ds_read_b64 v[18:19], v18 offset:8840
	s_waitcnt lgkmcnt(0)
	v_mul_f32_e32 v20, v4, v19
	v_mul_f32_e32 v21, v3, v19
	v_fma_f32 v3, v3, v18, -v20
	v_fmac_f32_e32 v21, v4, v18
	v_xor_b32_e32 v18, 0x80000000, v3
	v_xor_b32_e32 v19, 0x80000000, v21
	v_mov_b32_e32 v4, v21
	ds_write_b64 v14, v[18:19]
.LBB148_692:
	s_or_b64 exec, exec, s[14:15]
	s_waitcnt lgkmcnt(0)
	s_barrier
	s_and_saveexec_b64 s[14:15], s[58:59]
	s_cbranch_execz .LBB148_694
; %bb.693:
	v_mov_b32_e32 v18, 0
	ds_read_b64 v[18:19], v18 offset:8832
	ds_read_b64 v[20:21], v14
	s_waitcnt lgkmcnt(0)
	v_mul_f32_e32 v22, v21, v19
	v_mul_f32_e32 v19, v20, v19
	v_fma_f32 v20, v20, v18, -v22
	v_fmac_f32_e32 v19, v21, v18
	v_sub_f32_e32 v3, v3, v20
	v_sub_f32_e32 v4, v4, v19
.LBB148_694:
	s_or_b64 exec, exec, s[14:15]
	s_barrier
	s_and_saveexec_b64 s[14:15], s[58:59]
	s_cbranch_execz .LBB148_696
; %bb.695:
	v_mov_b32_e32 v18, 0
	ds_read_b64 v[18:19], v18 offset:8320
	s_waitcnt lgkmcnt(0)
	v_mul_f32_e32 v20, v4, v19
	v_mul_f32_e32 v21, v3, v19
	v_fma_f32 v3, v3, v18, -v20
	v_fmac_f32_e32 v21, v4, v18
	v_xor_b32_e32 v18, 0x80000000, v3
	v_xor_b32_e32 v19, 0x80000000, v21
	v_mov_b32_e32 v4, v21
	ds_write_b64 v14, v[18:19]
.LBB148_696:
	s_or_b64 exec, exec, s[14:15]
	s_waitcnt lgkmcnt(0)
	s_barrier
	s_barrier
	s_and_saveexec_b64 s[14:15], s[10:11]
; %bb.697:
	v_lshlrev_b32_e32 v18, 3, v12
	v_lshl_or_b32 v18, v13, 9, v18
	ds_write_b64 v18, v[3:4] offset:12416
; %bb.698:
	s_or_b64 exec, exec, s[14:15]
	s_waitcnt lgkmcnt(0)
	s_barrier
	s_barrier
	s_and_saveexec_b64 s[14:15], vcc
	s_cbranch_execz .LBB148_700
; %bb.699:
	s_movk_i32 s16, 0xb0
	v_mov_b32_e32 v22, 0
	v_add_u32_e64 v18, s16, 0
	ds_read_b64 v[3:4], v22 offset:11960
	ds_read2st64_b64 v[18:21], v18 offset0:22 offset1:23
	s_waitcnt lgkmcnt(0)
	v_mul_f32_e32 v23, v4, v19
	v_mul_f32_e32 v19, v3, v19
	v_fma_f32 v23, v3, v18, -v23
	v_fmac_f32_e32 v19, v4, v18
	v_mul_f32_e32 v3, v19, v21
	v_mul_f32_e32 v4, v23, v21
	v_fma_f32 v3, v23, v20, -v3
	v_fmac_f32_e32 v4, v19, v20
	ds_write_b64 v22, v[3:4] offset:11952
.LBB148_700:
	s_or_b64 exec, exec, s[14:15]
	v_mov_b32_e32 v3, 0
	v_mov_b32_e32 v4, 0
	s_waitcnt lgkmcnt(0)
	s_barrier
	buffer_wbinvl1_vol
	s_and_saveexec_b64 s[16:17], s[6:7]
	s_cbranch_execz .LBB148_704
; %bb.701:
	v_lshlrev_b32_e32 v3, 3, v5
	v_lshlrev_b32_e32 v18, 9, v6
	ds_read_b64 v[3:4], v3 offset:11424
	ds_read_b64 v[18:19], v18 offset:11440
	v_cmp_gt_u32_e64 s[14:15], 2, v8
	s_waitcnt lgkmcnt(0)
	v_mul_f32_e32 v20, v19, v4
	v_mul_f32_e32 v4, v18, v4
	v_fma_f32 v18, v18, v3, -v20
	v_fmac_f32_e32 v4, v19, v3
	v_add_f32_e32 v3, 0, v18
	v_add_f32_e32 v4, 0, v4
	s_and_saveexec_b64 s[20:21], s[14:15]
	s_cbranch_execz .LBB148_703
; %bb.702:
	v_lshlrev_b32_e32 v18, 3, v0
	v_mov_b32_e32 v20, 0
	ds_read_b64 v[18:19], v18 offset:11936
	ds_read_b64 v[20:21], v20 offset:11960
	s_waitcnt lgkmcnt(0)
	v_mul_f32_e32 v22, v21, v19
	v_mul_f32_e32 v19, v20, v19
	v_fma_f32 v20, v20, v18, -v22
	v_fmac_f32_e32 v19, v21, v18
	v_add_f32_e32 v3, v3, v20
	v_add_f32_e32 v4, v4, v19
.LBB148_703:
	s_or_b64 exec, exec, s[20:21]
.LBB148_704:
	s_or_b64 exec, exec, s[16:17]
	s_and_saveexec_b64 s[14:15], s[44:45]
	s_cbranch_execz .LBB148_706
; %bb.705:
	v_mov_b32_e32 v18, 0
	ds_read_b64 v[18:19], v18 offset:10920
	s_waitcnt lgkmcnt(0)
	v_mul_f32_e32 v20, v4, v19
	v_mul_f32_e32 v21, v3, v19
	v_fma_f32 v3, v3, v18, -v20
	v_fmac_f32_e32 v21, v4, v18
	v_xor_b32_e32 v18, 0x80000000, v3
	v_xor_b32_e32 v19, 0x80000000, v21
	v_mov_b32_e32 v4, v21
	ds_write_b64 v7, v[18:19]
.LBB148_706:
	s_or_b64 exec, exec, s[14:15]
	s_waitcnt lgkmcnt(0)
	s_barrier
	s_and_saveexec_b64 s[14:15], s[42:43]
	s_cbranch_execz .LBB148_708
; %bb.707:
	v_mov_b32_e32 v18, 0
	ds_read_b64 v[18:19], v18 offset:10912
	ds_read_b64 v[20:21], v7
	s_waitcnt lgkmcnt(0)
	v_mul_f32_e32 v22, v21, v19
	v_mul_f32_e32 v19, v20, v19
	v_fma_f32 v20, v20, v18, -v22
	v_fmac_f32_e32 v19, v21, v18
	v_sub_f32_e32 v3, v3, v20
	v_sub_f32_e32 v4, v4, v19
.LBB148_708:
	s_or_b64 exec, exec, s[14:15]
	s_barrier
	s_and_saveexec_b64 s[14:15], s[42:43]
	s_cbranch_execz .LBB148_710
; %bb.709:
	v_mov_b32_e32 v18, 0
	ds_read_b64 v[18:19], v18 offset:10400
	s_waitcnt lgkmcnt(0)
	v_mul_f32_e32 v20, v4, v19
	v_mul_f32_e32 v21, v3, v19
	v_fma_f32 v3, v3, v18, -v20
	v_fmac_f32_e32 v21, v4, v18
	v_xor_b32_e32 v18, 0x80000000, v3
	v_xor_b32_e32 v19, 0x80000000, v21
	v_mov_b32_e32 v4, v21
	ds_write_b64 v7, v[18:19]
.LBB148_710:
	s_or_b64 exec, exec, s[14:15]
	s_waitcnt lgkmcnt(0)
	s_barrier
	s_barrier
	s_and_saveexec_b64 s[14:15], s[6:7]
; %bb.711:
	v_lshlrev_b32_e32 v18, 3, v5
	v_lshl_or_b32 v18, v6, 9, v18
	ds_write_b64 v18, v[3:4] offset:11424
; %bb.712:
	s_or_b64 exec, exec, s[14:15]
	s_waitcnt lgkmcnt(0)
	s_barrier
	s_barrier
	s_and_saveexec_b64 s[14:15], vcc
	s_cbranch_execz .LBB148_714
; %bb.713:
	s_movk_i32 s16, 0xa0
	v_mov_b32_e32 v22, 0
	v_add_u32_e64 v18, s16, 0
	ds_read_b64 v[3:4], v22 offset:10920
	ds_read2st64_b64 v[18:21], v18 offset0:20 offset1:21
	s_waitcnt lgkmcnt(0)
	v_mul_f32_e32 v23, v4, v19
	v_mul_f32_e32 v19, v3, v19
	v_fma_f32 v23, v3, v18, -v23
	v_fmac_f32_e32 v19, v4, v18
	v_mul_f32_e32 v3, v19, v21
	v_mul_f32_e32 v4, v23, v21
	v_fma_f32 v3, v23, v20, -v3
	v_fmac_f32_e32 v4, v19, v20
	ds_write_b64 v22, v[3:4] offset:10912
.LBB148_714:
	s_or_b64 exec, exec, s[14:15]
	v_mov_b32_e32 v4, 0
	v_mov_b32_e32 v3, 0
	s_waitcnt lgkmcnt(0)
	s_barrier
	buffer_wbinvl1_vol
	s_and_saveexec_b64 s[16:17], s[18:19]
	s_cbranch_execz .LBB148_720
; %bb.715:
	v_lshlrev_b32_e32 v18, 3, v9
	v_lshlrev_b32_e32 v19, 9, v10
	ds_read_b64 v[3:4], v18 offset:10368
	ds_read_b64 v[20:21], v19 offset:10400
	v_cmp_gt_u32_e64 s[14:15], 12, v8
	s_waitcnt lgkmcnt(0)
	v_mul_f32_e32 v22, v21, v4
	v_mul_f32_e32 v4, v20, v4
	v_fma_f32 v20, v20, v3, -v22
	v_fmac_f32_e32 v4, v21, v3
	v_add_f32_e32 v3, 0, v20
	v_add_f32_e32 v4, 0, v4
	s_and_saveexec_b64 s[20:21], s[14:15]
	s_cbranch_execnz .LBB148_1088
; %bb.716:
	s_or_b64 exec, exec, s[20:21]
	v_cmp_gt_u32_e64 s[14:15], 8, v8
	s_and_saveexec_b64 s[20:21], s[14:15]
	s_cbranch_execnz .LBB148_1089
.LBB148_717:
	s_or_b64 exec, exec, s[20:21]
	v_cmp_gt_u32_e64 s[14:15], 4, v8
	s_and_saveexec_b64 s[20:21], s[14:15]
	s_cbranch_execz .LBB148_719
.LBB148_718:
	v_lshlrev_b32_e32 v18, 3, v0
	v_mov_b32_e32 v20, 0
	ds_read_b64 v[18:19], v18 offset:11904
	ds_read_b64 v[20:21], v20 offset:11960
	s_waitcnt lgkmcnt(0)
	v_mul_f32_e32 v22, v21, v19
	v_mul_f32_e32 v19, v20, v19
	v_fma_f32 v20, v20, v18, -v22
	v_fmac_f32_e32 v19, v21, v18
	v_add_f32_e32 v3, v3, v20
	v_add_f32_e32 v4, v4, v19
.LBB148_719:
	s_or_b64 exec, exec, s[20:21]
.LBB148_720:
	s_or_b64 exec, exec, s[16:17]
	s_and_saveexec_b64 s[14:15], s[48:49]
	s_cbranch_execz .LBB148_722
; %bb.721:
	v_mov_b32_e32 v18, 0
	ds_read_b64 v[18:19], v18 offset:9880
	s_waitcnt lgkmcnt(0)
	v_mul_f32_e32 v20, v4, v19
	v_mul_f32_e32 v21, v3, v19
	v_fma_f32 v3, v3, v18, -v20
	v_fmac_f32_e32 v21, v4, v18
	v_xor_b32_e32 v18, 0x80000000, v3
	v_xor_b32_e32 v19, 0x80000000, v21
	v_mov_b32_e32 v4, v21
	ds_write_b64 v11, v[18:19]
.LBB148_722:
	s_or_b64 exec, exec, s[14:15]
	s_waitcnt lgkmcnt(0)
	s_barrier
	s_and_saveexec_b64 s[14:15], s[50:51]
	s_cbranch_execz .LBB148_724
; %bb.723:
	v_lshlrev_b32_e32 v18, 3, v9
	ds_read_b64 v[18:19], v18 offset:9856
	ds_read_b64 v[20:21], v11
	s_waitcnt lgkmcnt(0)
	v_mul_f32_e32 v22, v21, v19
	v_mul_f32_e32 v19, v20, v19
	v_fma_f32 v20, v20, v18, -v22
	v_fmac_f32_e32 v19, v21, v18
	v_sub_f32_e32 v3, v3, v20
	v_sub_f32_e32 v4, v4, v19
.LBB148_724:
	s_or_b64 exec, exec, s[14:15]
	s_barrier
	s_and_saveexec_b64 s[14:15], s[52:53]
	s_cbranch_execz .LBB148_726
; %bb.725:
	v_mov_b32_e32 v18, 0
	ds_read_b64 v[18:19], v18 offset:9360
	s_waitcnt lgkmcnt(0)
	v_mul_f32_e32 v20, v4, v19
	v_mul_f32_e32 v21, v3, v19
	v_fma_f32 v3, v3, v18, -v20
	v_fmac_f32_e32 v21, v4, v18
	v_xor_b32_e32 v18, 0x80000000, v3
	v_xor_b32_e32 v19, 0x80000000, v21
	v_mov_b32_e32 v4, v21
	ds_write_b64 v11, v[18:19]
.LBB148_726:
	s_or_b64 exec, exec, s[14:15]
	s_waitcnt lgkmcnt(0)
	s_barrier
	s_and_saveexec_b64 s[14:15], s[54:55]
	s_cbranch_execz .LBB148_728
; %bb.727:
	v_lshlrev_b32_e32 v18, 3, v9
	ds_read_b64 v[18:19], v18 offset:9344
	ds_read_b64 v[20:21], v11
	s_waitcnt lgkmcnt(0)
	v_mul_f32_e32 v22, v21, v19
	v_mul_f32_e32 v19, v20, v19
	v_fma_f32 v20, v20, v18, -v22
	v_fmac_f32_e32 v19, v21, v18
	v_sub_f32_e32 v3, v3, v20
	v_sub_f32_e32 v4, v4, v19
.LBB148_728:
	s_or_b64 exec, exec, s[14:15]
	s_barrier
	s_and_saveexec_b64 s[14:15], s[56:57]
	s_cbranch_execz .LBB148_730
; %bb.729:
	v_mov_b32_e32 v18, 0
	ds_read_b64 v[18:19], v18 offset:8840
	s_waitcnt lgkmcnt(0)
	v_mul_f32_e32 v20, v4, v19
	v_mul_f32_e32 v21, v3, v19
	v_fma_f32 v3, v3, v18, -v20
	v_fmac_f32_e32 v21, v4, v18
	v_xor_b32_e32 v18, 0x80000000, v3
	v_xor_b32_e32 v19, 0x80000000, v21
	v_mov_b32_e32 v4, v21
	ds_write_b64 v11, v[18:19]
.LBB148_730:
	s_or_b64 exec, exec, s[14:15]
	s_waitcnt lgkmcnt(0)
	s_barrier
	s_and_saveexec_b64 s[14:15], s[46:47]
	s_cbranch_execz .LBB148_732
; %bb.731:
	v_mov_b32_e32 v18, 0
	ds_read_b64 v[18:19], v18 offset:8832
	ds_read_b64 v[20:21], v11
	s_waitcnt lgkmcnt(0)
	v_mul_f32_e32 v22, v21, v19
	v_mul_f32_e32 v19, v20, v19
	v_fma_f32 v20, v20, v18, -v22
	v_fmac_f32_e32 v19, v21, v18
	v_sub_f32_e32 v3, v3, v20
	v_sub_f32_e32 v4, v4, v19
.LBB148_732:
	s_or_b64 exec, exec, s[14:15]
	s_barrier
	s_and_saveexec_b64 s[14:15], s[46:47]
	s_cbranch_execz .LBB148_734
; %bb.733:
	v_mov_b32_e32 v18, 0
	ds_read_b64 v[18:19], v18 offset:8320
	s_waitcnt lgkmcnt(0)
	v_mul_f32_e32 v20, v4, v19
	v_mul_f32_e32 v21, v3, v19
	v_fma_f32 v3, v3, v18, -v20
	v_fmac_f32_e32 v21, v4, v18
	v_xor_b32_e32 v18, 0x80000000, v3
	v_xor_b32_e32 v19, 0x80000000, v21
	v_mov_b32_e32 v4, v21
	ds_write_b64 v11, v[18:19]
.LBB148_734:
	s_or_b64 exec, exec, s[14:15]
	s_waitcnt lgkmcnt(0)
	s_barrier
	s_barrier
	s_and_saveexec_b64 s[14:15], s[18:19]
; %bb.735:
	v_lshlrev_b32_e32 v18, 3, v9
	v_lshl_or_b32 v18, v10, 9, v18
	ds_write_b64 v18, v[3:4] offset:10368
; %bb.736:
	s_or_b64 exec, exec, s[14:15]
	s_waitcnt lgkmcnt(0)
	s_barrier
	s_barrier
	s_and_saveexec_b64 s[14:15], vcc
	s_cbranch_execz .LBB148_738
; %bb.737:
	s_movk_i32 s16, 0x90
	v_mov_b32_e32 v22, 0
	v_add_u32_e64 v18, s16, 0
	ds_read_b64 v[3:4], v22 offset:9880
	ds_read2st64_b64 v[18:21], v18 offset0:18 offset1:19
	s_waitcnt lgkmcnt(0)
	v_mul_f32_e32 v23, v4, v19
	v_mul_f32_e32 v19, v3, v19
	v_fma_f32 v23, v3, v18, -v23
	v_fmac_f32_e32 v19, v4, v18
	v_mul_f32_e32 v3, v19, v21
	v_mul_f32_e32 v4, v23, v21
	v_fma_f32 v3, v23, v20, -v3
	v_fmac_f32_e32 v4, v19, v20
	ds_write_b64 v22, v[3:4] offset:9872
.LBB148_738:
	s_or_b64 exec, exec, s[14:15]
	v_mov_b32_e32 v3, 0
	v_mov_b32_e32 v4, 0
	s_waitcnt lgkmcnt(0)
	s_barrier
	buffer_wbinvl1_vol
	s_and_saveexec_b64 s[16:17], s[6:7]
	s_cbranch_execz .LBB148_742
; %bb.739:
	v_lshlrev_b32_e32 v3, 3, v5
	v_lshlrev_b32_e32 v18, 9, v6
	ds_read_b64 v[3:4], v3 offset:9344
	ds_read_b64 v[18:19], v18 offset:9360
	v_cmp_gt_u32_e64 s[14:15], 2, v8
	s_waitcnt lgkmcnt(0)
	v_mul_f32_e32 v20, v19, v4
	v_mul_f32_e32 v4, v18, v4
	v_fma_f32 v18, v18, v3, -v20
	v_fmac_f32_e32 v4, v19, v3
	v_add_f32_e32 v3, 0, v18
	v_add_f32_e32 v4, 0, v4
	s_and_saveexec_b64 s[20:21], s[14:15]
	s_cbranch_execz .LBB148_741
; %bb.740:
	v_lshlrev_b32_e32 v18, 3, v0
	v_mov_b32_e32 v20, 0
	ds_read_b64 v[18:19], v18 offset:9856
	ds_read_b64 v[20:21], v20 offset:9880
	s_waitcnt lgkmcnt(0)
	v_mul_f32_e32 v22, v21, v19
	v_mul_f32_e32 v19, v20, v19
	v_fma_f32 v20, v20, v18, -v22
	v_fmac_f32_e32 v19, v21, v18
	v_add_f32_e32 v3, v3, v20
	v_add_f32_e32 v4, v4, v19
.LBB148_741:
	s_or_b64 exec, exec, s[20:21]
.LBB148_742:
	s_or_b64 exec, exec, s[16:17]
	s_and_saveexec_b64 s[14:15], s[44:45]
	s_cbranch_execz .LBB148_744
; %bb.743:
	v_mov_b32_e32 v18, 0
	ds_read_b64 v[18:19], v18 offset:8840
	s_waitcnt lgkmcnt(0)
	v_mul_f32_e32 v20, v4, v19
	v_mul_f32_e32 v21, v3, v19
	v_fma_f32 v3, v3, v18, -v20
	v_fmac_f32_e32 v21, v4, v18
	v_xor_b32_e32 v18, 0x80000000, v3
	v_xor_b32_e32 v19, 0x80000000, v21
	v_mov_b32_e32 v4, v21
	ds_write_b64 v7, v[18:19]
.LBB148_744:
	s_or_b64 exec, exec, s[14:15]
	s_waitcnt lgkmcnt(0)
	s_barrier
	s_and_saveexec_b64 s[14:15], s[42:43]
	s_cbranch_execz .LBB148_746
; %bb.745:
	v_mov_b32_e32 v18, 0
	ds_read_b64 v[18:19], v18 offset:8832
	ds_read_b64 v[20:21], v7
	s_waitcnt lgkmcnt(0)
	v_mul_f32_e32 v22, v21, v19
	v_mul_f32_e32 v19, v20, v19
	v_fma_f32 v20, v20, v18, -v22
	v_fmac_f32_e32 v19, v21, v18
	v_sub_f32_e32 v3, v3, v20
	v_sub_f32_e32 v4, v4, v19
.LBB148_746:
	s_or_b64 exec, exec, s[14:15]
	s_barrier
	s_and_saveexec_b64 s[14:15], s[42:43]
	s_cbranch_execz .LBB148_748
; %bb.747:
	v_mov_b32_e32 v18, 0
	ds_read_b64 v[18:19], v18 offset:8320
	s_waitcnt lgkmcnt(0)
	v_mul_f32_e32 v20, v4, v19
	v_mul_f32_e32 v21, v3, v19
	v_fma_f32 v3, v3, v18, -v20
	v_fmac_f32_e32 v21, v4, v18
	v_xor_b32_e32 v18, 0x80000000, v3
	v_xor_b32_e32 v19, 0x80000000, v21
	v_mov_b32_e32 v4, v21
	ds_write_b64 v7, v[18:19]
.LBB148_748:
	s_or_b64 exec, exec, s[14:15]
	s_waitcnt lgkmcnt(0)
	s_barrier
	s_barrier
	s_and_saveexec_b64 s[14:15], s[6:7]
; %bb.749:
	v_lshlrev_b32_e32 v18, 3, v5
	v_lshl_or_b32 v18, v6, 9, v18
	ds_write_b64 v18, v[3:4] offset:9344
; %bb.750:
	s_or_b64 exec, exec, s[14:15]
	s_waitcnt lgkmcnt(0)
	s_barrier
	s_barrier
	s_and_saveexec_b64 s[14:15], vcc
	s_cbranch_execz .LBB148_752
; %bb.751:
	s_movk_i32 s16, 0x80
	v_mov_b32_e32 v22, 0
	v_add_u32_e64 v18, s16, 0
	ds_read_b64 v[3:4], v22 offset:8840
	ds_read2st64_b64 v[18:21], v18 offset0:16 offset1:17
	s_waitcnt lgkmcnt(0)
	v_mul_f32_e32 v23, v4, v19
	v_mul_f32_e32 v19, v3, v19
	v_fma_f32 v23, v3, v18, -v23
	v_fmac_f32_e32 v19, v4, v18
	v_mul_f32_e32 v3, v19, v21
	v_mul_f32_e32 v4, v23, v21
	v_fma_f32 v3, v23, v20, -v3
	v_fmac_f32_e32 v4, v19, v20
	ds_write_b64 v22, v[3:4] offset:8832
.LBB148_752:
	s_or_b64 exec, exec, s[14:15]
	v_mov_b32_e32 v4, 0
	v_mov_b32_e32 v3, 0
	s_waitcnt lgkmcnt(0)
	s_barrier
	buffer_wbinvl1_vol
	s_and_saveexec_b64 s[16:17], s[12:13]
	s_cbranch_execz .LBB148_780
; %bb.753:
	v_lshlrev_b32_e32 v18, 3, v15
	v_lshlrev_b32_e32 v19, 9, v16
	ds_read_b64 v[3:4], v18 offset:8192
	ds_read_b64 v[20:21], v19 offset:8320
	s_movk_i32 s14, 0xf0
	v_cmp_gt_u32_e64 s[14:15], s14, v8
	s_waitcnt lgkmcnt(0)
	v_mul_f32_e32 v22, v21, v4
	v_mul_f32_e32 v4, v20, v4
	v_fma_f32 v20, v20, v3, -v22
	v_fmac_f32_e32 v4, v21, v3
	v_add_f32_e32 v3, 0, v20
	v_add_f32_e32 v4, 0, v4
	s_and_saveexec_b64 s[20:21], s[14:15]
	s_cbranch_execz .LBB148_755
; %bb.754:
	ds_read_b64 v[20:21], v18 offset:8704
	ds_read_b64 v[22:23], v19 offset:8328
	s_waitcnt lgkmcnt(0)
	v_mul_f32_e32 v24, v23, v21
	v_mul_f32_e32 v21, v22, v21
	v_fma_f32 v22, v22, v20, -v24
	v_fmac_f32_e32 v21, v23, v20
	v_add_f32_e32 v3, v3, v22
	v_add_f32_e32 v4, v4, v21
.LBB148_755:
	s_or_b64 exec, exec, s[20:21]
	s_movk_i32 s14, 0xe0
	v_cmp_gt_u32_e64 s[14:15], s14, v8
	s_and_saveexec_b64 s[20:21], s[14:15]
	s_cbranch_execz .LBB148_757
; %bb.756:
	ds_read_b64 v[20:21], v18 offset:9216
	ds_read_b64 v[22:23], v19 offset:8336
	s_waitcnt lgkmcnt(0)
	v_mul_f32_e32 v24, v23, v21
	v_mul_f32_e32 v21, v22, v21
	v_fma_f32 v22, v22, v20, -v24
	v_fmac_f32_e32 v21, v23, v20
	v_add_f32_e32 v3, v3, v22
	v_add_f32_e32 v4, v4, v21
.LBB148_757:
	s_or_b64 exec, exec, s[20:21]
	s_movk_i32 s14, 0xd0
	v_cmp_gt_u32_e64 s[14:15], s14, v8
	;; [unrolled: 16-line block ×10, first 2 shown]
	s_and_saveexec_b64 s[20:21], s[14:15]
	s_cbranch_execnz .LBB148_1090
; %bb.774:
	s_or_b64 exec, exec, s[20:21]
	s_and_saveexec_b64 s[14:15], s[10:11]
	s_cbranch_execnz .LBB148_1091
.LBB148_775:
	s_or_b64 exec, exec, s[14:15]
	v_cmp_gt_u32_e64 s[14:15], 48, v8
	s_and_saveexec_b64 s[20:21], s[14:15]
	s_cbranch_execnz .LBB148_1092
.LBB148_776:
	s_or_b64 exec, exec, s[20:21]
	v_cmp_gt_u32_e64 s[14:15], 32, v8
	s_and_saveexec_b64 s[20:21], s[14:15]
	s_cbranch_execnz .LBB148_1093
.LBB148_777:
	s_or_b64 exec, exec, s[20:21]
	v_cmp_gt_u32_e64 s[14:15], 16, v8
	s_and_saveexec_b64 s[20:21], s[14:15]
	s_cbranch_execz .LBB148_779
.LBB148_778:
	v_lshlrev_b32_e32 v18, 3, v0
	v_mov_b32_e32 v20, 0
	ds_read_b64 v[18:19], v18 offset:15872
	ds_read_b64 v[20:21], v20 offset:16120
	s_waitcnt lgkmcnt(0)
	v_mul_f32_e32 v22, v21, v19
	v_mul_f32_e32 v19, v20, v19
	v_fma_f32 v20, v20, v18, -v22
	v_fmac_f32_e32 v19, v21, v18
	v_add_f32_e32 v3, v3, v20
	v_add_f32_e32 v4, v4, v19
.LBB148_779:
	s_or_b64 exec, exec, s[20:21]
.LBB148_780:
	s_or_b64 exec, exec, s[16:17]
	s_mov_b64 s[14:15], exec
	v_readlane_b32 s16, v30, 5
	v_readlane_b32 s17, v30, 6
	s_and_b64 s[16:17], s[14:15], s[16:17]
	s_mov_b64 exec, s[16:17]
	s_cbranch_execz .LBB148_782
; %bb.781:
	v_mov_b32_e32 v18, 0
	ds_read_b64 v[18:19], v18 offset:7800
	s_waitcnt lgkmcnt(0)
	v_mul_f32_e32 v20, v4, v19
	v_mul_f32_e32 v21, v3, v19
	v_fma_f32 v3, v3, v18, -v20
	v_fmac_f32_e32 v21, v4, v18
	v_xor_b32_e32 v18, 0x80000000, v3
	v_xor_b32_e32 v19, 0x80000000, v21
	v_mov_b32_e32 v4, v21
	ds_write_b64 v17, v[18:19]
.LBB148_782:
	s_or_b64 exec, exec, s[14:15]
	s_waitcnt lgkmcnt(0)
	s_barrier
	s_mov_b64 s[14:15], exec
	v_readlane_b32 s16, v30, 7
	v_readlane_b32 s17, v30, 8
	s_and_b64 s[16:17], s[14:15], s[16:17]
	s_mov_b64 exec, s[16:17]
	s_cbranch_execz .LBB148_784
; %bb.783:
	v_lshlrev_b32_e32 v18, 3, v15
	ds_read_b64 v[18:19], v18 offset:7680
	ds_read_b64 v[20:21], v17
	s_waitcnt lgkmcnt(0)
	v_mul_f32_e32 v22, v21, v19
	v_mul_f32_e32 v19, v20, v19
	v_fma_f32 v20, v20, v18, -v22
	v_fmac_f32_e32 v19, v21, v18
	v_sub_f32_e32 v3, v3, v20
	v_sub_f32_e32 v4, v4, v19
.LBB148_784:
	s_or_b64 exec, exec, s[14:15]
	s_barrier
	s_mov_b64 s[14:15], exec
	v_readlane_b32 s16, v30, 9
	v_readlane_b32 s17, v30, 10
	s_and_b64 s[16:17], s[14:15], s[16:17]
	s_mov_b64 exec, s[16:17]
	s_cbranch_execz .LBB148_786
; %bb.785:
	v_mov_b32_e32 v18, 0
	ds_read_b64 v[18:19], v18 offset:7280
	s_waitcnt lgkmcnt(0)
	v_mul_f32_e32 v20, v4, v19
	v_mul_f32_e32 v21, v3, v19
	v_fma_f32 v3, v3, v18, -v20
	v_fmac_f32_e32 v21, v4, v18
	v_xor_b32_e32 v18, 0x80000000, v3
	v_xor_b32_e32 v19, 0x80000000, v21
	v_mov_b32_e32 v4, v21
	ds_write_b64 v17, v[18:19]
.LBB148_786:
	s_or_b64 exec, exec, s[14:15]
	s_waitcnt lgkmcnt(0)
	s_barrier
	s_mov_b64 s[14:15], exec
	v_readlane_b32 s16, v30, 11
	v_readlane_b32 s17, v30, 12
	s_and_b64 s[16:17], s[14:15], s[16:17]
	s_mov_b64 exec, s[16:17]
	s_cbranch_execz .LBB148_788
; %bb.787:
	v_lshlrev_b32_e32 v18, 3, v15
	ds_read_b64 v[18:19], v18 offset:7168
	ds_read_b64 v[20:21], v17
	s_waitcnt lgkmcnt(0)
	v_mul_f32_e32 v22, v21, v19
	v_mul_f32_e32 v19, v20, v19
	v_fma_f32 v20, v20, v18, -v22
	v_fmac_f32_e32 v19, v21, v18
	v_sub_f32_e32 v3, v3, v20
	v_sub_f32_e32 v4, v4, v19
.LBB148_788:
	s_or_b64 exec, exec, s[14:15]
	s_barrier
	;; [unrolled: 42-line block ×12, first 2 shown]
	s_mov_b64 s[14:15], exec
	v_readlane_b32 s16, v30, 53
	v_readlane_b32 s17, v30, 54
	s_and_b64 s[16:17], s[14:15], s[16:17]
	s_mov_b64 exec, s[16:17]
	s_cbranch_execz .LBB148_830
; %bb.829:
	v_mov_b32_e32 v18, 0
	ds_read_b64 v[18:19], v18 offset:1560
	s_waitcnt lgkmcnt(0)
	v_mul_f32_e32 v20, v4, v19
	v_mul_f32_e32 v21, v3, v19
	v_fma_f32 v3, v3, v18, -v20
	v_fmac_f32_e32 v21, v4, v18
	v_xor_b32_e32 v18, 0x80000000, v3
	v_xor_b32_e32 v19, 0x80000000, v21
	v_mov_b32_e32 v4, v21
	ds_write_b64 v17, v[18:19]
.LBB148_830:
	s_or_b64 exec, exec, s[14:15]
	s_waitcnt lgkmcnt(0)
	s_barrier
	s_and_saveexec_b64 s[14:15], s[36:37]
	s_cbranch_execz .LBB148_832
; %bb.831:
	v_lshlrev_b32_e32 v18, 3, v15
	ds_read_b64 v[18:19], v18 offset:1536
	ds_read_b64 v[20:21], v17
	s_waitcnt lgkmcnt(0)
	v_mul_f32_e32 v22, v21, v19
	v_mul_f32_e32 v19, v20, v19
	v_fma_f32 v20, v20, v18, -v22
	v_fmac_f32_e32 v19, v21, v18
	v_sub_f32_e32 v3, v3, v20
	v_sub_f32_e32 v4, v4, v19
.LBB148_832:
	s_or_b64 exec, exec, s[14:15]
	s_barrier
	s_and_saveexec_b64 s[14:15], s[86:87]
	s_cbranch_execz .LBB148_834
; %bb.833:
	v_mov_b32_e32 v18, 0
	ds_read_b64 v[18:19], v18 offset:1040
	s_waitcnt lgkmcnt(0)
	v_mul_f32_e32 v20, v4, v19
	v_mul_f32_e32 v21, v3, v19
	v_fma_f32 v3, v3, v18, -v20
	v_fmac_f32_e32 v21, v4, v18
	v_xor_b32_e32 v18, 0x80000000, v3
	v_xor_b32_e32 v19, 0x80000000, v21
	v_mov_b32_e32 v4, v21
	ds_write_b64 v17, v[18:19]
.LBB148_834:
	s_or_b64 exec, exec, s[14:15]
	s_waitcnt lgkmcnt(0)
	s_barrier
	s_and_saveexec_b64 s[14:15], s[88:89]
	s_cbranch_execz .LBB148_836
; %bb.835:
	v_lshlrev_b32_e32 v18, 3, v15
	ds_read_b64 v[18:19], v18 offset:1024
	ds_read_b64 v[20:21], v17
	s_waitcnt lgkmcnt(0)
	v_mul_f32_e32 v22, v21, v19
	v_mul_f32_e32 v19, v20, v19
	v_fma_f32 v20, v20, v18, -v22
	v_fmac_f32_e32 v19, v21, v18
	v_sub_f32_e32 v3, v3, v20
	v_sub_f32_e32 v4, v4, v19
.LBB148_836:
	s_or_b64 exec, exec, s[14:15]
	s_barrier
	s_and_saveexec_b64 s[14:15], s[92:93]
	s_cbranch_execz .LBB148_838
; %bb.837:
	v_mov_b32_e32 v18, 0
	ds_read_b64 v[18:19], v18 offset:520
	s_waitcnt lgkmcnt(0)
	v_mul_f32_e32 v20, v4, v19
	v_mul_f32_e32 v21, v3, v19
	v_fma_f32 v3, v3, v18, -v20
	v_fmac_f32_e32 v21, v4, v18
	v_xor_b32_e32 v18, 0x80000000, v3
	v_xor_b32_e32 v19, 0x80000000, v21
	v_mov_b32_e32 v4, v21
	ds_write_b64 v17, v[18:19]
.LBB148_838:
	s_or_b64 exec, exec, s[14:15]
	s_waitcnt lgkmcnt(0)
	s_barrier
	s_and_saveexec_b64 s[14:15], s[90:91]
	s_cbranch_execz .LBB148_840
; %bb.839:
	v_mov_b32_e32 v18, 0
	ds_read_b64 v[18:19], v18 offset:512
	ds_read_b64 v[20:21], v17
	s_waitcnt lgkmcnt(0)
	v_mul_f32_e32 v22, v21, v19
	v_mul_f32_e32 v19, v20, v19
	v_fma_f32 v20, v20, v18, -v22
	v_fmac_f32_e32 v19, v21, v18
	v_sub_f32_e32 v3, v3, v20
	v_sub_f32_e32 v4, v4, v19
.LBB148_840:
	s_or_b64 exec, exec, s[14:15]
	s_barrier
	s_and_saveexec_b64 s[14:15], s[90:91]
	s_cbranch_execz .LBB148_842
; %bb.841:
	v_mov_b32_e32 v18, 0
	ds_read_b64 v[18:19], v18
	s_waitcnt lgkmcnt(0)
	v_mul_f32_e32 v20, v4, v19
	v_mul_f32_e32 v21, v3, v19
	v_fma_f32 v3, v3, v18, -v20
	v_fmac_f32_e32 v21, v4, v18
	v_xor_b32_e32 v18, 0x80000000, v3
	v_xor_b32_e32 v19, 0x80000000, v21
	v_mov_b32_e32 v4, v21
	ds_write_b64 v17, v[18:19]
.LBB148_842:
	s_or_b64 exec, exec, s[14:15]
	s_waitcnt lgkmcnt(0)
	s_barrier
	s_barrier
	s_and_saveexec_b64 s[14:15], s[12:13]
; %bb.843:
	v_lshlrev_b32_e32 v15, 3, v15
	v_lshl_or_b32 v15, v16, 9, v15
	ds_write_b64 v15, v[3:4] offset:8192
; %bb.844:
	s_or_b64 exec, exec, s[14:15]
	s_waitcnt lgkmcnt(0)
	s_barrier
	s_barrier
	s_and_saveexec_b64 s[12:13], vcc
	s_cbranch_execz .LBB148_846
; %bb.845:
	s_movk_i32 s14, 0x70
	v_mov_b32_e32 v19, 0
	v_add_u32_e64 v15, s14, 0
	ds_read_b64 v[3:4], v19 offset:7800
	ds_read2st64_b64 v[15:18], v15 offset0:14 offset1:15
	s_waitcnt lgkmcnt(0)
	v_mul_f32_e32 v20, v4, v16
	v_mul_f32_e32 v16, v3, v16
	v_fma_f32 v20, v3, v15, -v20
	v_fmac_f32_e32 v16, v4, v15
	v_mul_f32_e32 v3, v16, v18
	v_mul_f32_e32 v4, v20, v18
	v_fma_f32 v3, v20, v17, -v3
	v_fmac_f32_e32 v4, v16, v17
	ds_write_b64 v19, v[3:4] offset:7792
.LBB148_846:
	s_or_b64 exec, exec, s[12:13]
	v_mov_b32_e32 v3, 0
	v_mov_b32_e32 v4, 0
	s_waitcnt lgkmcnt(0)
	s_barrier
	buffer_wbinvl1_vol
	s_and_saveexec_b64 s[14:15], s[6:7]
	s_cbranch_execz .LBB148_850
; %bb.847:
	v_lshlrev_b32_e32 v3, 3, v5
	v_lshlrev_b32_e32 v15, 9, v6
	ds_read_b64 v[3:4], v3 offset:7264
	ds_read_b64 v[15:16], v15 offset:7280
	v_cmp_gt_u32_e64 s[12:13], 2, v8
	s_waitcnt lgkmcnt(0)
	v_mul_f32_e32 v17, v16, v4
	v_mul_f32_e32 v4, v15, v4
	v_fma_f32 v15, v15, v3, -v17
	v_fmac_f32_e32 v4, v16, v3
	v_add_f32_e32 v3, 0, v15
	v_add_f32_e32 v4, 0, v4
	s_and_saveexec_b64 s[16:17], s[12:13]
	s_cbranch_execz .LBB148_849
; %bb.848:
	v_lshlrev_b32_e32 v15, 3, v0
	v_mov_b32_e32 v17, 0
	ds_read_b64 v[15:16], v15 offset:7776
	ds_read_b64 v[17:18], v17 offset:7800
	s_waitcnt lgkmcnt(0)
	v_mul_f32_e32 v19, v18, v16
	v_mul_f32_e32 v16, v17, v16
	v_fma_f32 v17, v17, v15, -v19
	v_fmac_f32_e32 v16, v18, v15
	v_add_f32_e32 v3, v3, v17
	v_add_f32_e32 v4, v4, v16
.LBB148_849:
	s_or_b64 exec, exec, s[16:17]
.LBB148_850:
	s_or_b64 exec, exec, s[14:15]
	s_and_saveexec_b64 s[12:13], s[44:45]
	s_cbranch_execz .LBB148_852
; %bb.851:
	v_mov_b32_e32 v15, 0
	ds_read_b64 v[15:16], v15 offset:6760
	s_waitcnt lgkmcnt(0)
	v_mul_f32_e32 v17, v4, v16
	v_mul_f32_e32 v18, v3, v16
	v_fma_f32 v3, v3, v15, -v17
	v_fmac_f32_e32 v18, v4, v15
	v_xor_b32_e32 v15, 0x80000000, v3
	v_xor_b32_e32 v16, 0x80000000, v18
	v_mov_b32_e32 v4, v18
	ds_write_b64 v7, v[15:16]
.LBB148_852:
	s_or_b64 exec, exec, s[12:13]
	s_waitcnt lgkmcnt(0)
	s_barrier
	s_and_saveexec_b64 s[12:13], s[42:43]
	s_cbranch_execz .LBB148_854
; %bb.853:
	v_mov_b32_e32 v15, 0
	ds_read_b64 v[15:16], v15 offset:6752
	ds_read_b64 v[17:18], v7
	s_waitcnt lgkmcnt(0)
	v_mul_f32_e32 v19, v18, v16
	v_mul_f32_e32 v16, v17, v16
	v_fma_f32 v17, v17, v15, -v19
	v_fmac_f32_e32 v16, v18, v15
	v_sub_f32_e32 v3, v3, v17
	v_sub_f32_e32 v4, v4, v16
.LBB148_854:
	s_or_b64 exec, exec, s[12:13]
	s_barrier
	s_and_saveexec_b64 s[12:13], s[42:43]
	s_cbranch_execz .LBB148_856
; %bb.855:
	v_mov_b32_e32 v15, 0
	ds_read_b64 v[15:16], v15 offset:6240
	s_waitcnt lgkmcnt(0)
	v_mul_f32_e32 v17, v4, v16
	v_mul_f32_e32 v18, v3, v16
	v_fma_f32 v3, v3, v15, -v17
	v_fmac_f32_e32 v18, v4, v15
	v_xor_b32_e32 v15, 0x80000000, v3
	v_xor_b32_e32 v16, 0x80000000, v18
	v_mov_b32_e32 v4, v18
	ds_write_b64 v7, v[15:16]
.LBB148_856:
	s_or_b64 exec, exec, s[12:13]
	s_waitcnt lgkmcnt(0)
	s_barrier
	s_barrier
	s_and_saveexec_b64 s[12:13], s[6:7]
; %bb.857:
	v_lshlrev_b32_e32 v15, 3, v5
	v_lshl_or_b32 v15, v6, 9, v15
	ds_write_b64 v15, v[3:4] offset:7264
; %bb.858:
	s_or_b64 exec, exec, s[12:13]
	s_waitcnt lgkmcnt(0)
	s_barrier
	s_barrier
	s_and_saveexec_b64 s[12:13], vcc
	s_cbranch_execz .LBB148_860
; %bb.859:
	s_movk_i32 s14, 0x60
	v_mov_b32_e32 v19, 0
	v_add_u32_e64 v15, s14, 0
	ds_read_b64 v[3:4], v19 offset:6760
	ds_read2st64_b64 v[15:18], v15 offset0:12 offset1:13
	s_waitcnt lgkmcnt(0)
	v_mul_f32_e32 v20, v4, v16
	v_mul_f32_e32 v16, v3, v16
	v_fma_f32 v20, v3, v15, -v20
	v_fmac_f32_e32 v16, v4, v15
	v_mul_f32_e32 v3, v16, v18
	v_mul_f32_e32 v4, v20, v18
	v_fma_f32 v3, v20, v17, -v3
	v_fmac_f32_e32 v4, v16, v17
	ds_write_b64 v19, v[3:4] offset:6752
.LBB148_860:
	s_or_b64 exec, exec, s[12:13]
	v_mov_b32_e32 v4, 0
	v_mov_b32_e32 v3, 0
	s_waitcnt lgkmcnt(0)
	s_barrier
	buffer_wbinvl1_vol
	s_and_saveexec_b64 s[14:15], s[18:19]
	s_cbranch_execz .LBB148_866
; %bb.861:
	v_lshlrev_b32_e32 v15, 3, v9
	v_lshlrev_b32_e32 v16, 9, v10
	ds_read_b64 v[3:4], v15 offset:6208
	ds_read_b64 v[17:18], v16 offset:6240
	v_cmp_gt_u32_e64 s[12:13], 12, v8
	s_waitcnt lgkmcnt(0)
	v_mul_f32_e32 v19, v18, v4
	v_mul_f32_e32 v4, v17, v4
	v_fma_f32 v17, v17, v3, -v19
	v_fmac_f32_e32 v4, v18, v3
	v_add_f32_e32 v3, 0, v17
	v_add_f32_e32 v4, 0, v4
	s_and_saveexec_b64 s[16:17], s[12:13]
	s_cbranch_execnz .LBB148_1094
; %bb.862:
	s_or_b64 exec, exec, s[16:17]
	v_cmp_gt_u32_e64 s[12:13], 8, v8
	s_and_saveexec_b64 s[16:17], s[12:13]
	s_cbranch_execnz .LBB148_1095
.LBB148_863:
	s_or_b64 exec, exec, s[16:17]
	v_cmp_gt_u32_e64 s[12:13], 4, v8
	s_and_saveexec_b64 s[16:17], s[12:13]
	s_cbranch_execz .LBB148_865
.LBB148_864:
	v_lshlrev_b32_e32 v15, 3, v0
	v_mov_b32_e32 v17, 0
	ds_read_b64 v[15:16], v15 offset:7744
	ds_read_b64 v[17:18], v17 offset:7800
	s_waitcnt lgkmcnt(0)
	v_mul_f32_e32 v19, v18, v16
	v_mul_f32_e32 v16, v17, v16
	v_fma_f32 v17, v17, v15, -v19
	v_fmac_f32_e32 v16, v18, v15
	v_add_f32_e32 v3, v3, v17
	v_add_f32_e32 v4, v4, v16
.LBB148_865:
	s_or_b64 exec, exec, s[16:17]
.LBB148_866:
	s_or_b64 exec, exec, s[14:15]
	s_and_saveexec_b64 s[12:13], s[48:49]
	s_cbranch_execz .LBB148_868
; %bb.867:
	v_mov_b32_e32 v15, 0
	ds_read_b64 v[15:16], v15 offset:5720
	s_waitcnt lgkmcnt(0)
	v_mul_f32_e32 v17, v4, v16
	v_mul_f32_e32 v18, v3, v16
	v_fma_f32 v3, v3, v15, -v17
	v_fmac_f32_e32 v18, v4, v15
	v_xor_b32_e32 v15, 0x80000000, v3
	v_xor_b32_e32 v16, 0x80000000, v18
	v_mov_b32_e32 v4, v18
	ds_write_b64 v11, v[15:16]
.LBB148_868:
	s_or_b64 exec, exec, s[12:13]
	s_waitcnt lgkmcnt(0)
	s_barrier
	s_and_saveexec_b64 s[12:13], s[50:51]
	s_cbranch_execz .LBB148_870
; %bb.869:
	v_lshlrev_b32_e32 v15, 3, v9
	ds_read_b64 v[15:16], v15 offset:5696
	ds_read_b64 v[17:18], v11
	s_waitcnt lgkmcnt(0)
	v_mul_f32_e32 v19, v18, v16
	v_mul_f32_e32 v16, v17, v16
	v_fma_f32 v17, v17, v15, -v19
	v_fmac_f32_e32 v16, v18, v15
	v_sub_f32_e32 v3, v3, v17
	v_sub_f32_e32 v4, v4, v16
.LBB148_870:
	s_or_b64 exec, exec, s[12:13]
	s_barrier
	s_and_saveexec_b64 s[12:13], s[52:53]
	s_cbranch_execz .LBB148_872
; %bb.871:
	v_mov_b32_e32 v15, 0
	ds_read_b64 v[15:16], v15 offset:5200
	s_waitcnt lgkmcnt(0)
	v_mul_f32_e32 v17, v4, v16
	v_mul_f32_e32 v18, v3, v16
	v_fma_f32 v3, v3, v15, -v17
	v_fmac_f32_e32 v18, v4, v15
	v_xor_b32_e32 v15, 0x80000000, v3
	v_xor_b32_e32 v16, 0x80000000, v18
	v_mov_b32_e32 v4, v18
	ds_write_b64 v11, v[15:16]
.LBB148_872:
	s_or_b64 exec, exec, s[12:13]
	s_waitcnt lgkmcnt(0)
	s_barrier
	s_and_saveexec_b64 s[12:13], s[54:55]
	s_cbranch_execz .LBB148_874
; %bb.873:
	v_lshlrev_b32_e32 v15, 3, v9
	ds_read_b64 v[15:16], v15 offset:5184
	ds_read_b64 v[17:18], v11
	s_waitcnt lgkmcnt(0)
	v_mul_f32_e32 v19, v18, v16
	v_mul_f32_e32 v16, v17, v16
	v_fma_f32 v17, v17, v15, -v19
	v_fmac_f32_e32 v16, v18, v15
	v_sub_f32_e32 v3, v3, v17
	v_sub_f32_e32 v4, v4, v16
.LBB148_874:
	s_or_b64 exec, exec, s[12:13]
	s_barrier
	s_and_saveexec_b64 s[12:13], s[56:57]
	s_cbranch_execz .LBB148_876
; %bb.875:
	v_mov_b32_e32 v15, 0
	ds_read_b64 v[15:16], v15 offset:4680
	s_waitcnt lgkmcnt(0)
	v_mul_f32_e32 v17, v4, v16
	v_mul_f32_e32 v18, v3, v16
	v_fma_f32 v3, v3, v15, -v17
	v_fmac_f32_e32 v18, v4, v15
	v_xor_b32_e32 v15, 0x80000000, v3
	v_xor_b32_e32 v16, 0x80000000, v18
	v_mov_b32_e32 v4, v18
	ds_write_b64 v11, v[15:16]
.LBB148_876:
	s_or_b64 exec, exec, s[12:13]
	s_waitcnt lgkmcnt(0)
	s_barrier
	s_and_saveexec_b64 s[12:13], s[46:47]
	s_cbranch_execz .LBB148_878
; %bb.877:
	v_mov_b32_e32 v15, 0
	ds_read_b64 v[15:16], v15 offset:4672
	ds_read_b64 v[17:18], v11
	s_waitcnt lgkmcnt(0)
	v_mul_f32_e32 v19, v18, v16
	v_mul_f32_e32 v16, v17, v16
	v_fma_f32 v17, v17, v15, -v19
	v_fmac_f32_e32 v16, v18, v15
	v_sub_f32_e32 v3, v3, v17
	v_sub_f32_e32 v4, v4, v16
.LBB148_878:
	s_or_b64 exec, exec, s[12:13]
	s_barrier
	s_and_saveexec_b64 s[12:13], s[46:47]
	s_cbranch_execz .LBB148_880
; %bb.879:
	v_mov_b32_e32 v15, 0
	ds_read_b64 v[15:16], v15 offset:4160
	s_waitcnt lgkmcnt(0)
	v_mul_f32_e32 v17, v4, v16
	v_mul_f32_e32 v18, v3, v16
	v_fma_f32 v3, v3, v15, -v17
	v_fmac_f32_e32 v18, v4, v15
	v_xor_b32_e32 v15, 0x80000000, v3
	v_xor_b32_e32 v16, 0x80000000, v18
	v_mov_b32_e32 v4, v18
	ds_write_b64 v11, v[15:16]
.LBB148_880:
	s_or_b64 exec, exec, s[12:13]
	s_waitcnt lgkmcnt(0)
	s_barrier
	s_barrier
	s_and_saveexec_b64 s[12:13], s[18:19]
; %bb.881:
	v_lshlrev_b32_e32 v15, 3, v9
	v_lshl_or_b32 v15, v10, 9, v15
	ds_write_b64 v15, v[3:4] offset:6208
; %bb.882:
	s_or_b64 exec, exec, s[12:13]
	s_waitcnt lgkmcnt(0)
	s_barrier
	s_barrier
	s_and_saveexec_b64 s[12:13], vcc
	s_cbranch_execz .LBB148_884
; %bb.883:
	s_movk_i32 s14, 0x50
	v_mov_b32_e32 v19, 0
	v_add_u32_e64 v15, s14, 0
	ds_read_b64 v[3:4], v19 offset:5720
	ds_read2st64_b64 v[15:18], v15 offset0:10 offset1:11
	s_waitcnt lgkmcnt(0)
	v_mul_f32_e32 v20, v4, v16
	v_mul_f32_e32 v16, v3, v16
	v_fma_f32 v20, v3, v15, -v20
	v_fmac_f32_e32 v16, v4, v15
	v_mul_f32_e32 v3, v16, v18
	v_mul_f32_e32 v4, v20, v18
	v_fma_f32 v3, v20, v17, -v3
	v_fmac_f32_e32 v4, v16, v17
	ds_write_b64 v19, v[3:4] offset:5712
.LBB148_884:
	s_or_b64 exec, exec, s[12:13]
	v_mov_b32_e32 v3, 0
	v_mov_b32_e32 v4, 0
	s_waitcnt lgkmcnt(0)
	s_barrier
	buffer_wbinvl1_vol
	s_and_saveexec_b64 s[14:15], s[6:7]
	s_cbranch_execz .LBB148_888
; %bb.885:
	v_lshlrev_b32_e32 v3, 3, v5
	v_lshlrev_b32_e32 v15, 9, v6
	ds_read_b64 v[3:4], v3 offset:5184
	ds_read_b64 v[15:16], v15 offset:5200
	v_cmp_gt_u32_e64 s[12:13], 2, v8
	s_waitcnt lgkmcnt(0)
	v_mul_f32_e32 v17, v16, v4
	v_mul_f32_e32 v4, v15, v4
	v_fma_f32 v15, v15, v3, -v17
	v_fmac_f32_e32 v4, v16, v3
	v_add_f32_e32 v3, 0, v15
	v_add_f32_e32 v4, 0, v4
	s_and_saveexec_b64 s[16:17], s[12:13]
	s_cbranch_execz .LBB148_887
; %bb.886:
	v_lshlrev_b32_e32 v15, 3, v0
	v_mov_b32_e32 v17, 0
	ds_read_b64 v[15:16], v15 offset:5696
	ds_read_b64 v[17:18], v17 offset:5720
	s_waitcnt lgkmcnt(0)
	v_mul_f32_e32 v19, v18, v16
	v_mul_f32_e32 v16, v17, v16
	v_fma_f32 v17, v17, v15, -v19
	v_fmac_f32_e32 v16, v18, v15
	v_add_f32_e32 v3, v3, v17
	v_add_f32_e32 v4, v4, v16
.LBB148_887:
	s_or_b64 exec, exec, s[16:17]
.LBB148_888:
	s_or_b64 exec, exec, s[14:15]
	s_and_saveexec_b64 s[12:13], s[44:45]
	s_cbranch_execz .LBB148_890
; %bb.889:
	v_mov_b32_e32 v15, 0
	ds_read_b64 v[15:16], v15 offset:4680
	s_waitcnt lgkmcnt(0)
	v_mul_f32_e32 v17, v4, v16
	v_mul_f32_e32 v18, v3, v16
	v_fma_f32 v3, v3, v15, -v17
	v_fmac_f32_e32 v18, v4, v15
	v_xor_b32_e32 v15, 0x80000000, v3
	v_xor_b32_e32 v16, 0x80000000, v18
	v_mov_b32_e32 v4, v18
	ds_write_b64 v7, v[15:16]
.LBB148_890:
	s_or_b64 exec, exec, s[12:13]
	s_waitcnt lgkmcnt(0)
	s_barrier
	s_and_saveexec_b64 s[12:13], s[42:43]
	s_cbranch_execz .LBB148_892
; %bb.891:
	v_mov_b32_e32 v15, 0
	ds_read_b64 v[15:16], v15 offset:4672
	ds_read_b64 v[17:18], v7
	s_waitcnt lgkmcnt(0)
	v_mul_f32_e32 v19, v18, v16
	v_mul_f32_e32 v16, v17, v16
	v_fma_f32 v17, v17, v15, -v19
	v_fmac_f32_e32 v16, v18, v15
	v_sub_f32_e32 v3, v3, v17
	v_sub_f32_e32 v4, v4, v16
.LBB148_892:
	s_or_b64 exec, exec, s[12:13]
	s_barrier
	s_and_saveexec_b64 s[12:13], s[42:43]
	s_cbranch_execz .LBB148_894
; %bb.893:
	v_mov_b32_e32 v15, 0
	ds_read_b64 v[15:16], v15 offset:4160
	s_waitcnt lgkmcnt(0)
	v_mul_f32_e32 v17, v4, v16
	v_mul_f32_e32 v18, v3, v16
	v_fma_f32 v3, v3, v15, -v17
	v_fmac_f32_e32 v18, v4, v15
	v_xor_b32_e32 v15, 0x80000000, v3
	v_xor_b32_e32 v16, 0x80000000, v18
	v_mov_b32_e32 v4, v18
	ds_write_b64 v7, v[15:16]
.LBB148_894:
	s_or_b64 exec, exec, s[12:13]
	s_waitcnt lgkmcnt(0)
	s_barrier
	s_barrier
	s_and_saveexec_b64 s[12:13], s[6:7]
; %bb.895:
	v_lshlrev_b32_e32 v15, 3, v5
	v_lshl_or_b32 v15, v6, 9, v15
	ds_write_b64 v15, v[3:4] offset:5184
; %bb.896:
	s_or_b64 exec, exec, s[12:13]
	s_waitcnt lgkmcnt(0)
	s_barrier
	s_barrier
	s_and_saveexec_b64 s[12:13], vcc
	s_cbranch_execz .LBB148_898
; %bb.897:
	v_add_u32_e64 v3, 64, 0
	v_mov_b32_e32 v19, 0
	ds_read2st64_b64 v[15:18], v3 offset0:8 offset1:9
	ds_read_b64 v[3:4], v19 offset:4680
	s_waitcnt lgkmcnt(0)
	v_mul_f32_e32 v20, v4, v16
	v_mul_f32_e32 v16, v3, v16
	v_fma_f32 v20, v3, v15, -v20
	v_fmac_f32_e32 v16, v4, v15
	v_mul_f32_e32 v3, v16, v18
	v_mul_f32_e32 v4, v20, v18
	v_fma_f32 v3, v20, v17, -v3
	v_fmac_f32_e32 v4, v16, v17
	ds_write_b64 v19, v[3:4] offset:4672
.LBB148_898:
	s_or_b64 exec, exec, s[12:13]
	v_mov_b32_e32 v4, 0
	v_mov_b32_e32 v3, 0
	s_waitcnt lgkmcnt(0)
	s_barrier
	buffer_wbinvl1_vol
	s_and_saveexec_b64 s[14:15], s[10:11]
	s_cbranch_execz .LBB148_908
; %bb.899:
	v_lshlrev_b32_e32 v15, 3, v12
	v_lshlrev_b32_e32 v16, 9, v13
	ds_read_b64 v[3:4], v15 offset:4096
	ds_read_b64 v[17:18], v16 offset:4160
	v_cmp_gt_u32_e64 s[12:13], 56, v8
	s_waitcnt lgkmcnt(0)
	v_mul_f32_e32 v19, v18, v4
	v_mul_f32_e32 v4, v17, v4
	v_fma_f32 v17, v17, v3, -v19
	v_fmac_f32_e32 v4, v18, v3
	v_add_f32_e32 v3, 0, v17
	v_add_f32_e32 v4, 0, v4
	s_and_saveexec_b64 s[16:17], s[12:13]
	s_cbranch_execnz .LBB148_1096
; %bb.900:
	s_or_b64 exec, exec, s[16:17]
	v_cmp_gt_u32_e64 s[12:13], 48, v8
	s_and_saveexec_b64 s[16:17], s[12:13]
	s_cbranch_execnz .LBB148_1097
.LBB148_901:
	s_or_b64 exec, exec, s[16:17]
	v_cmp_gt_u32_e64 s[12:13], 40, v8
	s_and_saveexec_b64 s[16:17], s[12:13]
	s_cbranch_execnz .LBB148_1098
.LBB148_902:
	s_or_b64 exec, exec, s[16:17]
	v_cmp_gt_u32_e64 s[12:13], 32, v8
	s_and_saveexec_b64 s[16:17], s[12:13]
	s_cbranch_execnz .LBB148_1099
.LBB148_903:
	s_or_b64 exec, exec, s[16:17]
	v_cmp_gt_u32_e64 s[12:13], 24, v8
	s_and_saveexec_b64 s[16:17], s[12:13]
	s_cbranch_execnz .LBB148_1100
.LBB148_904:
	s_or_b64 exec, exec, s[16:17]
	s_and_saveexec_b64 s[12:13], s[18:19]
	s_cbranch_execnz .LBB148_1101
.LBB148_905:
	s_or_b64 exec, exec, s[12:13]
	v_cmp_gt_u32_e64 s[12:13], 8, v8
	s_and_saveexec_b64 s[16:17], s[12:13]
	s_cbranch_execz .LBB148_907
.LBB148_906:
	v_lshlrev_b32_e32 v15, 3, v0
	v_mov_b32_e32 v17, 0
	ds_read_b64 v[15:16], v15 offset:7680
	ds_read_b64 v[17:18], v17 offset:7800
	s_waitcnt lgkmcnt(0)
	v_mul_f32_e32 v19, v18, v16
	v_mul_f32_e32 v16, v17, v16
	v_fma_f32 v17, v17, v15, -v19
	v_fmac_f32_e32 v16, v18, v15
	v_add_f32_e32 v3, v3, v17
	v_add_f32_e32 v4, v4, v16
.LBB148_907:
	s_or_b64 exec, exec, s[16:17]
.LBB148_908:
	s_or_b64 exec, exec, s[14:15]
	s_and_saveexec_b64 s[12:13], s[60:61]
	s_cbranch_execz .LBB148_910
; %bb.909:
	v_mov_b32_e32 v15, 0
	ds_read_b64 v[15:16], v15 offset:3640
	s_waitcnt lgkmcnt(0)
	v_mul_f32_e32 v17, v4, v16
	v_mul_f32_e32 v18, v3, v16
	v_fma_f32 v3, v3, v15, -v17
	v_fmac_f32_e32 v18, v4, v15
	v_xor_b32_e32 v15, 0x80000000, v3
	v_xor_b32_e32 v16, 0x80000000, v18
	v_mov_b32_e32 v4, v18
	ds_write_b64 v14, v[15:16]
.LBB148_910:
	s_or_b64 exec, exec, s[12:13]
	s_waitcnt lgkmcnt(0)
	s_barrier
	s_and_saveexec_b64 s[12:13], s[62:63]
	v_readlane_b32 s60, v30, 4
	s_cbranch_execz .LBB148_912
; %bb.911:
	v_lshlrev_b32_e32 v15, 3, v12
	ds_read_b64 v[15:16], v15 offset:3584
	ds_read_b64 v[17:18], v14
	s_waitcnt lgkmcnt(0)
	v_mul_f32_e32 v19, v18, v16
	v_mul_f32_e32 v16, v17, v16
	v_fma_f32 v17, v17, v15, -v19
	v_fmac_f32_e32 v16, v18, v15
	v_sub_f32_e32 v3, v3, v17
	v_sub_f32_e32 v4, v4, v16
.LBB148_912:
	s_or_b64 exec, exec, s[12:13]
	s_barrier
	s_and_saveexec_b64 s[12:13], s[64:65]
	s_cbranch_execz .LBB148_914
; %bb.913:
	v_mov_b32_e32 v15, 0
	ds_read_b64 v[15:16], v15 offset:3120
	s_waitcnt lgkmcnt(0)
	v_mul_f32_e32 v17, v4, v16
	v_mul_f32_e32 v18, v3, v16
	v_fma_f32 v3, v3, v15, -v17
	v_fmac_f32_e32 v18, v4, v15
	v_xor_b32_e32 v15, 0x80000000, v3
	v_xor_b32_e32 v16, 0x80000000, v18
	v_mov_b32_e32 v4, v18
	ds_write_b64 v14, v[15:16]
.LBB148_914:
	s_or_b64 exec, exec, s[12:13]
	s_waitcnt lgkmcnt(0)
	s_barrier
	s_and_saveexec_b64 s[12:13], s[66:67]
	s_cbranch_execz .LBB148_916
; %bb.915:
	v_lshlrev_b32_e32 v15, 3, v12
	ds_read_b64 v[15:16], v15 offset:3072
	ds_read_b64 v[17:18], v14
	s_waitcnt lgkmcnt(0)
	v_mul_f32_e32 v19, v18, v16
	v_mul_f32_e32 v16, v17, v16
	v_fma_f32 v17, v17, v15, -v19
	v_fmac_f32_e32 v16, v18, v15
	v_sub_f32_e32 v3, v3, v17
	v_sub_f32_e32 v4, v4, v16
.LBB148_916:
	s_or_b64 exec, exec, s[12:13]
	s_barrier
	s_and_saveexec_b64 s[12:13], s[68:69]
	s_cbranch_execz .LBB148_918
; %bb.917:
	v_mov_b32_e32 v15, 0
	ds_read_b64 v[15:16], v15 offset:2600
	s_waitcnt lgkmcnt(0)
	v_mul_f32_e32 v17, v4, v16
	v_mul_f32_e32 v18, v3, v16
	v_fma_f32 v3, v3, v15, -v17
	v_fmac_f32_e32 v18, v4, v15
	v_xor_b32_e32 v15, 0x80000000, v3
	v_xor_b32_e32 v16, 0x80000000, v18
	v_mov_b32_e32 v4, v18
	ds_write_b64 v14, v[15:16]
.LBB148_918:
	s_or_b64 exec, exec, s[12:13]
	s_waitcnt lgkmcnt(0)
	s_barrier
	s_and_saveexec_b64 s[12:13], s[70:71]
	s_cbranch_execz .LBB148_920
; %bb.919:
	v_lshlrev_b32_e32 v15, 3, v12
	ds_read_b64 v[15:16], v15 offset:2560
	ds_read_b64 v[17:18], v14
	s_waitcnt lgkmcnt(0)
	v_mul_f32_e32 v19, v18, v16
	v_mul_f32_e32 v16, v17, v16
	v_fma_f32 v17, v17, v15, -v19
	v_fmac_f32_e32 v16, v18, v15
	v_sub_f32_e32 v3, v3, v17
	v_sub_f32_e32 v4, v4, v16
.LBB148_920:
	s_or_b64 exec, exec, s[12:13]
	s_barrier
	s_and_saveexec_b64 s[12:13], s[72:73]
	s_cbranch_execz .LBB148_922
; %bb.921:
	v_mov_b32_e32 v15, 0
	ds_read_b64 v[15:16], v15 offset:2080
	s_waitcnt lgkmcnt(0)
	v_mul_f32_e32 v17, v4, v16
	v_mul_f32_e32 v18, v3, v16
	v_fma_f32 v3, v3, v15, -v17
	v_fmac_f32_e32 v18, v4, v15
	v_xor_b32_e32 v15, 0x80000000, v3
	v_xor_b32_e32 v16, 0x80000000, v18
	v_mov_b32_e32 v4, v18
	ds_write_b64 v14, v[15:16]
.LBB148_922:
	s_or_b64 exec, exec, s[12:13]
	s_waitcnt lgkmcnt(0)
	s_barrier
	s_and_saveexec_b64 s[12:13], s[74:75]
	s_cbranch_execz .LBB148_924
; %bb.923:
	v_lshlrev_b32_e32 v15, 3, v12
	ds_read_b64 v[15:16], v15 offset:2048
	ds_read_b64 v[17:18], v14
	s_waitcnt lgkmcnt(0)
	v_mul_f32_e32 v19, v18, v16
	v_mul_f32_e32 v16, v17, v16
	v_fma_f32 v17, v17, v15, -v19
	v_fmac_f32_e32 v16, v18, v15
	v_sub_f32_e32 v3, v3, v17
	v_sub_f32_e32 v4, v4, v16
.LBB148_924:
	s_or_b64 exec, exec, s[12:13]
	s_barrier
	s_and_saveexec_b64 s[12:13], s[76:77]
	s_cbranch_execz .LBB148_926
; %bb.925:
	v_mov_b32_e32 v15, 0
	ds_read_b64 v[15:16], v15 offset:1560
	s_waitcnt lgkmcnt(0)
	v_mul_f32_e32 v17, v4, v16
	v_mul_f32_e32 v18, v3, v16
	v_fma_f32 v3, v3, v15, -v17
	v_fmac_f32_e32 v18, v4, v15
	v_xor_b32_e32 v15, 0x80000000, v3
	v_xor_b32_e32 v16, 0x80000000, v18
	v_mov_b32_e32 v4, v18
	ds_write_b64 v14, v[15:16]
.LBB148_926:
	s_or_b64 exec, exec, s[12:13]
	s_waitcnt lgkmcnt(0)
	s_barrier
	s_and_saveexec_b64 s[12:13], s[78:79]
	s_cbranch_execz .LBB148_928
; %bb.927:
	v_lshlrev_b32_e32 v15, 3, v12
	ds_read_b64 v[15:16], v15 offset:1536
	ds_read_b64 v[17:18], v14
	s_waitcnt lgkmcnt(0)
	v_mul_f32_e32 v19, v18, v16
	v_mul_f32_e32 v16, v17, v16
	v_fma_f32 v17, v17, v15, -v19
	v_fmac_f32_e32 v16, v18, v15
	v_sub_f32_e32 v3, v3, v17
	v_sub_f32_e32 v4, v4, v16
.LBB148_928:
	s_or_b64 exec, exec, s[12:13]
	s_barrier
	s_and_saveexec_b64 s[12:13], s[80:81]
	s_cbranch_execz .LBB148_930
; %bb.929:
	v_mov_b32_e32 v15, 0
	ds_read_b64 v[15:16], v15 offset:1040
	s_waitcnt lgkmcnt(0)
	v_mul_f32_e32 v17, v4, v16
	v_mul_f32_e32 v18, v3, v16
	v_fma_f32 v3, v3, v15, -v17
	v_fmac_f32_e32 v18, v4, v15
	v_xor_b32_e32 v15, 0x80000000, v3
	v_xor_b32_e32 v16, 0x80000000, v18
	v_mov_b32_e32 v4, v18
	ds_write_b64 v14, v[15:16]
.LBB148_930:
	s_or_b64 exec, exec, s[12:13]
	s_waitcnt lgkmcnt(0)
	s_barrier
	s_and_saveexec_b64 s[12:13], s[82:83]
	s_cbranch_execz .LBB148_932
; %bb.931:
	v_lshlrev_b32_e32 v15, 3, v12
	ds_read_b64 v[15:16], v15 offset:1024
	ds_read_b64 v[17:18], v14
	s_waitcnt lgkmcnt(0)
	v_mul_f32_e32 v19, v18, v16
	v_mul_f32_e32 v16, v17, v16
	v_fma_f32 v17, v17, v15, -v19
	v_fmac_f32_e32 v16, v18, v15
	v_sub_f32_e32 v3, v3, v17
	v_sub_f32_e32 v4, v4, v16
.LBB148_932:
	s_or_b64 exec, exec, s[12:13]
	s_barrier
	s_and_saveexec_b64 s[12:13], s[84:85]
	s_cbranch_execz .LBB148_934
; %bb.933:
	v_mov_b32_e32 v15, 0
	ds_read_b64 v[15:16], v15 offset:520
	s_waitcnt lgkmcnt(0)
	v_mul_f32_e32 v17, v4, v16
	v_mul_f32_e32 v18, v3, v16
	v_fma_f32 v3, v3, v15, -v17
	v_fmac_f32_e32 v18, v4, v15
	v_xor_b32_e32 v15, 0x80000000, v3
	v_xor_b32_e32 v16, 0x80000000, v18
	v_mov_b32_e32 v4, v18
	ds_write_b64 v14, v[15:16]
.LBB148_934:
	s_or_b64 exec, exec, s[12:13]
	s_waitcnt lgkmcnt(0)
	s_barrier
	s_and_saveexec_b64 s[12:13], s[58:59]
	s_cbranch_execz .LBB148_936
; %bb.935:
	v_mov_b32_e32 v15, 0
	ds_read_b64 v[15:16], v15 offset:512
	ds_read_b64 v[17:18], v14
	s_waitcnt lgkmcnt(0)
	v_mul_f32_e32 v19, v18, v16
	v_mul_f32_e32 v16, v17, v16
	v_fma_f32 v17, v17, v15, -v19
	v_fmac_f32_e32 v16, v18, v15
	v_sub_f32_e32 v3, v3, v17
	v_sub_f32_e32 v4, v4, v16
.LBB148_936:
	s_or_b64 exec, exec, s[12:13]
	s_barrier
	s_and_saveexec_b64 s[12:13], s[58:59]
	s_cbranch_execz .LBB148_938
; %bb.937:
	v_mov_b32_e32 v15, 0
	ds_read_b64 v[15:16], v15
	s_waitcnt lgkmcnt(0)
	v_mul_f32_e32 v17, v4, v16
	v_mul_f32_e32 v18, v3, v16
	v_fma_f32 v3, v3, v15, -v17
	v_fmac_f32_e32 v18, v4, v15
	v_xor_b32_e32 v15, 0x80000000, v3
	v_xor_b32_e32 v16, 0x80000000, v18
	v_mov_b32_e32 v4, v18
	ds_write_b64 v14, v[15:16]
.LBB148_938:
	s_or_b64 exec, exec, s[12:13]
	s_waitcnt lgkmcnt(0)
	s_barrier
	s_barrier
	s_and_saveexec_b64 s[12:13], s[10:11]
; %bb.939:
	v_lshlrev_b32_e32 v12, 3, v12
	v_lshl_or_b32 v12, v13, 9, v12
	ds_write_b64 v12, v[3:4] offset:4096
; %bb.940:
	s_or_b64 exec, exec, s[12:13]
	s_waitcnt lgkmcnt(0)
	s_barrier
	s_barrier
	s_and_saveexec_b64 s[10:11], vcc
	s_cbranch_execz .LBB148_942
; %bb.941:
	v_add_u32_e64 v3, 48, 0
	v_mov_b32_e32 v16, 0
	ds_read2st64_b64 v[12:15], v3 offset0:6 offset1:7
	ds_read_b64 v[3:4], v16 offset:3640
	s_waitcnt lgkmcnt(0)
	v_mul_f32_e32 v17, v4, v13
	v_mul_f32_e32 v13, v3, v13
	v_fma_f32 v17, v3, v12, -v17
	v_fmac_f32_e32 v13, v4, v12
	v_mul_f32_e32 v3, v13, v15
	v_mul_f32_e32 v4, v17, v15
	v_fma_f32 v3, v17, v14, -v3
	v_fmac_f32_e32 v4, v13, v14
	ds_write_b64 v16, v[3:4] offset:3632
.LBB148_942:
	s_or_b64 exec, exec, s[10:11]
	v_mov_b32_e32 v3, 0
	v_mov_b32_e32 v4, 0
	s_waitcnt lgkmcnt(0)
	s_barrier
	buffer_wbinvl1_vol
	s_and_saveexec_b64 s[12:13], s[6:7]
	s_cbranch_execz .LBB148_946
; %bb.943:
	v_lshlrev_b32_e32 v3, 3, v5
	v_lshlrev_b32_e32 v12, 9, v6
	ds_read_b64 v[3:4], v3 offset:3104
	ds_read_b64 v[12:13], v12 offset:3120
	v_cmp_gt_u32_e64 s[10:11], 2, v8
	s_waitcnt lgkmcnt(0)
	v_mul_f32_e32 v14, v13, v4
	v_mul_f32_e32 v4, v12, v4
	v_fma_f32 v12, v12, v3, -v14
	v_fmac_f32_e32 v4, v13, v3
	v_add_f32_e32 v3, 0, v12
	v_add_f32_e32 v4, 0, v4
	s_and_saveexec_b64 s[14:15], s[10:11]
	s_cbranch_execz .LBB148_945
; %bb.944:
	v_lshlrev_b32_e32 v12, 3, v0
	v_mov_b32_e32 v14, 0
	ds_read_b64 v[12:13], v12 offset:3616
	ds_read_b64 v[14:15], v14 offset:3640
	s_waitcnt lgkmcnt(0)
	v_mul_f32_e32 v16, v15, v13
	v_mul_f32_e32 v13, v14, v13
	v_fma_f32 v14, v14, v12, -v16
	v_fmac_f32_e32 v13, v15, v12
	v_add_f32_e32 v3, v3, v14
	v_add_f32_e32 v4, v4, v13
.LBB148_945:
	s_or_b64 exec, exec, s[14:15]
.LBB148_946:
	s_or_b64 exec, exec, s[12:13]
	s_and_saveexec_b64 s[10:11], s[44:45]
	s_cbranch_execz .LBB148_948
; %bb.947:
	v_mov_b32_e32 v12, 0
	ds_read_b64 v[12:13], v12 offset:2600
	s_waitcnt lgkmcnt(0)
	v_mul_f32_e32 v14, v4, v13
	v_mul_f32_e32 v15, v3, v13
	v_fma_f32 v3, v3, v12, -v14
	v_fmac_f32_e32 v15, v4, v12
	v_xor_b32_e32 v12, 0x80000000, v3
	v_xor_b32_e32 v13, 0x80000000, v15
	v_mov_b32_e32 v4, v15
	ds_write_b64 v7, v[12:13]
.LBB148_948:
	s_or_b64 exec, exec, s[10:11]
	s_waitcnt lgkmcnt(0)
	s_barrier
	s_and_saveexec_b64 s[10:11], s[42:43]
	s_cbranch_execz .LBB148_950
; %bb.949:
	v_mov_b32_e32 v12, 0
	ds_read_b64 v[12:13], v12 offset:2592
	ds_read_b64 v[14:15], v7
	s_waitcnt lgkmcnt(0)
	v_mul_f32_e32 v16, v15, v13
	v_mul_f32_e32 v13, v14, v13
	v_fma_f32 v14, v14, v12, -v16
	v_fmac_f32_e32 v13, v15, v12
	v_sub_f32_e32 v3, v3, v14
	v_sub_f32_e32 v4, v4, v13
.LBB148_950:
	s_or_b64 exec, exec, s[10:11]
	s_barrier
	s_and_saveexec_b64 s[10:11], s[42:43]
	s_cbranch_execz .LBB148_952
; %bb.951:
	v_mov_b32_e32 v12, 0
	ds_read_b64 v[12:13], v12 offset:2080
	s_waitcnt lgkmcnt(0)
	v_mul_f32_e32 v14, v4, v13
	v_mul_f32_e32 v15, v3, v13
	v_fma_f32 v3, v3, v12, -v14
	v_fmac_f32_e32 v15, v4, v12
	v_xor_b32_e32 v12, 0x80000000, v3
	v_xor_b32_e32 v13, 0x80000000, v15
	v_mov_b32_e32 v4, v15
	ds_write_b64 v7, v[12:13]
.LBB148_952:
	s_or_b64 exec, exec, s[10:11]
	s_waitcnt lgkmcnt(0)
	s_barrier
	s_barrier
	s_and_saveexec_b64 s[10:11], s[6:7]
; %bb.953:
	v_lshlrev_b32_e32 v12, 3, v5
	v_lshl_or_b32 v12, v6, 9, v12
	ds_write_b64 v12, v[3:4] offset:3104
; %bb.954:
	s_or_b64 exec, exec, s[10:11]
	s_waitcnt lgkmcnt(0)
	s_barrier
	s_barrier
	s_and_saveexec_b64 s[10:11], vcc
	s_cbranch_execz .LBB148_956
; %bb.955:
	v_add_u32_e64 v3, 32, 0
	v_mov_b32_e32 v16, 0
	ds_read2st64_b64 v[12:15], v3 offset0:4 offset1:5
	ds_read_b64 v[3:4], v16 offset:2600
	s_waitcnt lgkmcnt(0)
	v_mul_f32_e32 v17, v4, v13
	v_mul_f32_e32 v13, v3, v13
	v_fma_f32 v17, v3, v12, -v17
	v_fmac_f32_e32 v13, v4, v12
	v_mul_f32_e32 v3, v13, v15
	v_mul_f32_e32 v4, v17, v15
	v_fma_f32 v3, v17, v14, -v3
	v_fmac_f32_e32 v4, v13, v14
	ds_write_b64 v16, v[3:4] offset:2592
.LBB148_956:
	s_or_b64 exec, exec, s[10:11]
	v_mov_b32_e32 v4, 0
	v_mov_b32_e32 v3, 0
	s_waitcnt lgkmcnt(0)
	s_barrier
	buffer_wbinvl1_vol
	s_and_saveexec_b64 s[12:13], s[18:19]
	s_cbranch_execz .LBB148_962
; %bb.957:
	v_lshlrev_b32_e32 v12, 3, v9
	v_lshlrev_b32_e32 v13, 9, v10
	ds_read_b64 v[3:4], v12 offset:2048
	ds_read_b64 v[14:15], v13 offset:2080
	v_cmp_gt_u32_e64 s[10:11], 12, v8
	s_waitcnt lgkmcnt(0)
	v_mul_f32_e32 v16, v15, v4
	v_mul_f32_e32 v4, v14, v4
	v_fma_f32 v14, v14, v3, -v16
	v_fmac_f32_e32 v4, v15, v3
	v_add_f32_e32 v3, 0, v14
	v_add_f32_e32 v4, 0, v4
	s_and_saveexec_b64 s[14:15], s[10:11]
	s_cbranch_execnz .LBB148_1102
; %bb.958:
	s_or_b64 exec, exec, s[14:15]
	v_cmp_gt_u32_e64 s[10:11], 8, v8
	s_and_saveexec_b64 s[14:15], s[10:11]
	s_cbranch_execnz .LBB148_1103
.LBB148_959:
	s_or_b64 exec, exec, s[14:15]
	v_cmp_gt_u32_e64 s[10:11], 4, v8
	s_and_saveexec_b64 s[14:15], s[10:11]
	s_cbranch_execz .LBB148_961
.LBB148_960:
	v_lshlrev_b32_e32 v12, 3, v0
	v_mov_b32_e32 v14, 0
	ds_read_b64 v[12:13], v12 offset:3584
	ds_read_b64 v[14:15], v14 offset:3640
	s_waitcnt lgkmcnt(0)
	v_mul_f32_e32 v16, v15, v13
	v_mul_f32_e32 v13, v14, v13
	v_fma_f32 v14, v14, v12, -v16
	v_fmac_f32_e32 v13, v15, v12
	v_add_f32_e32 v3, v3, v14
	v_add_f32_e32 v4, v4, v13
.LBB148_961:
	s_or_b64 exec, exec, s[14:15]
.LBB148_962:
	s_or_b64 exec, exec, s[12:13]
	s_and_saveexec_b64 s[10:11], s[48:49]
	s_cbranch_execz .LBB148_964
; %bb.963:
	v_mov_b32_e32 v12, 0
	ds_read_b64 v[12:13], v12 offset:1560
	s_waitcnt lgkmcnt(0)
	v_mul_f32_e32 v14, v4, v13
	v_mul_f32_e32 v15, v3, v13
	v_fma_f32 v3, v3, v12, -v14
	v_fmac_f32_e32 v15, v4, v12
	v_xor_b32_e32 v12, 0x80000000, v3
	v_xor_b32_e32 v13, 0x80000000, v15
	v_mov_b32_e32 v4, v15
	ds_write_b64 v11, v[12:13]
.LBB148_964:
	s_or_b64 exec, exec, s[10:11]
	s_waitcnt lgkmcnt(0)
	s_barrier
	s_and_saveexec_b64 s[10:11], s[50:51]
	s_load_dword s36, s[4:5], 0x6c
	v_readlane_b32 s48, v30, 2
	v_readlane_b32 s49, v30, 3
	s_cbranch_execz .LBB148_966
; %bb.965:
	v_lshlrev_b32_e32 v12, 3, v9
	ds_read_b64 v[12:13], v12 offset:1536
	ds_read_b64 v[14:15], v11
	s_waitcnt lgkmcnt(0)
	v_mul_f32_e32 v16, v15, v13
	v_mul_f32_e32 v13, v14, v13
	v_fma_f32 v14, v14, v12, -v16
	v_fmac_f32_e32 v13, v15, v12
	v_sub_f32_e32 v3, v3, v14
	v_sub_f32_e32 v4, v4, v13
.LBB148_966:
	s_or_b64 exec, exec, s[10:11]
	s_waitcnt lgkmcnt(0)
	s_barrier
	s_and_saveexec_b64 s[10:11], s[52:53]
	s_cbranch_execz .LBB148_968
; %bb.967:
	v_mov_b32_e32 v12, 0
	ds_read_b64 v[12:13], v12 offset:1040
	s_waitcnt lgkmcnt(0)
	v_mul_f32_e32 v14, v4, v13
	v_mul_f32_e32 v15, v3, v13
	v_fma_f32 v3, v3, v12, -v14
	v_fmac_f32_e32 v15, v4, v12
	v_xor_b32_e32 v12, 0x80000000, v3
	v_xor_b32_e32 v13, 0x80000000, v15
	v_mov_b32_e32 v4, v15
	ds_write_b64 v11, v[12:13]
.LBB148_968:
	s_or_b64 exec, exec, s[10:11]
	s_waitcnt lgkmcnt(0)
	s_barrier
	s_and_saveexec_b64 s[10:11], s[54:55]
	s_cbranch_execz .LBB148_970
; %bb.969:
	v_lshlrev_b32_e32 v12, 3, v9
	ds_read_b64 v[12:13], v12 offset:1024
	ds_read_b64 v[14:15], v11
	s_waitcnt lgkmcnt(0)
	v_mul_f32_e32 v16, v15, v13
	v_mul_f32_e32 v13, v14, v13
	v_fma_f32 v14, v14, v12, -v16
	v_fmac_f32_e32 v13, v15, v12
	v_sub_f32_e32 v3, v3, v14
	v_sub_f32_e32 v4, v4, v13
.LBB148_970:
	s_or_b64 exec, exec, s[10:11]
	s_barrier
	s_and_saveexec_b64 s[10:11], s[56:57]
	s_cbranch_execz .LBB148_972
; %bb.971:
	v_mov_b32_e32 v12, 0
	ds_read_b64 v[12:13], v12 offset:520
	s_waitcnt lgkmcnt(0)
	v_mul_f32_e32 v14, v4, v13
	v_mul_f32_e32 v15, v3, v13
	v_fma_f32 v3, v3, v12, -v14
	v_fmac_f32_e32 v15, v4, v12
	v_xor_b32_e32 v12, 0x80000000, v3
	v_xor_b32_e32 v13, 0x80000000, v15
	v_mov_b32_e32 v4, v15
	ds_write_b64 v11, v[12:13]
.LBB148_972:
	s_or_b64 exec, exec, s[10:11]
	s_waitcnt lgkmcnt(0)
	s_barrier
	s_and_saveexec_b64 s[10:11], s[46:47]
	s_cbranch_execz .LBB148_974
; %bb.973:
	v_mov_b32_e32 v12, 0
	ds_read_b64 v[12:13], v12 offset:512
	ds_read_b64 v[14:15], v11
	s_waitcnt lgkmcnt(0)
	v_mul_f32_e32 v16, v15, v13
	v_mul_f32_e32 v13, v14, v13
	v_fma_f32 v14, v14, v12, -v16
	v_fmac_f32_e32 v13, v15, v12
	v_sub_f32_e32 v3, v3, v14
	v_sub_f32_e32 v4, v4, v13
.LBB148_974:
	s_or_b64 exec, exec, s[10:11]
	s_barrier
	s_and_saveexec_b64 s[10:11], s[46:47]
	s_cbranch_execz .LBB148_976
; %bb.975:
	v_mov_b32_e32 v12, 0
	ds_read_b64 v[12:13], v12
	s_waitcnt lgkmcnt(0)
	v_mul_f32_e32 v14, v4, v13
	v_mul_f32_e32 v15, v3, v13
	v_fma_f32 v3, v3, v12, -v14
	v_fmac_f32_e32 v15, v4, v12
	v_xor_b32_e32 v12, 0x80000000, v3
	v_xor_b32_e32 v13, 0x80000000, v15
	v_mov_b32_e32 v4, v15
	ds_write_b64 v11, v[12:13]
.LBB148_976:
	s_or_b64 exec, exec, s[10:11]
	s_waitcnt lgkmcnt(0)
	s_barrier
	s_barrier
	s_and_saveexec_b64 s[10:11], s[18:19]
; %bb.977:
	v_lshlrev_b32_e32 v9, 3, v9
	v_lshl_or_b32 v9, v10, 9, v9
	ds_write_b64 v9, v[3:4] offset:2048
; %bb.978:
	s_or_b64 exec, exec, s[10:11]
	s_waitcnt lgkmcnt(0)
	s_barrier
	s_barrier
	s_and_saveexec_b64 s[10:11], vcc
	s_cbranch_execz .LBB148_980
; %bb.979:
	v_mov_b32_e32 v13, 0
	ds_read2_b64 v[9:12], v13 offset0:130 offset1:194
	ds_read_b64 v[3:4], v13 offset:1560
	s_waitcnt lgkmcnt(0)
	v_mul_f32_e32 v14, v4, v10
	v_mul_f32_e32 v10, v3, v10
	v_fma_f32 v3, v3, v9, -v14
	v_fmac_f32_e32 v10, v4, v9
	v_mul_f32_e32 v9, v10, v12
	v_mul_f32_e32 v4, v3, v12
	v_fma_f32 v3, v3, v11, -v9
	v_fmac_f32_e32 v4, v10, v11
	ds_write_b64 v13, v[3:4] offset:1552
.LBB148_980:
	s_or_b64 exec, exec, s[10:11]
	v_mov_b32_e32 v3, 0
	v_mov_b32_e32 v4, 0
	s_waitcnt lgkmcnt(0)
	s_barrier
	buffer_wbinvl1_vol
	s_and_saveexec_b64 s[12:13], s[6:7]
	s_cbranch_execz .LBB148_984
; %bb.981:
	v_lshlrev_b32_e32 v3, 3, v5
	v_lshlrev_b32_e32 v9, 9, v6
	ds_read_b64 v[3:4], v3 offset:1024
	ds_read_b64 v[9:10], v9 offset:1040
	v_cmp_gt_u32_e64 s[10:11], 2, v8
	s_waitcnt lgkmcnt(0)
	v_mul_f32_e32 v11, v10, v4
	v_mul_f32_e32 v4, v9, v4
	v_fma_f32 v9, v9, v3, -v11
	v_fmac_f32_e32 v4, v10, v3
	v_add_f32_e32 v3, 0, v9
	v_add_f32_e32 v4, 0, v4
	s_and_saveexec_b64 s[14:15], s[10:11]
	s_cbranch_execz .LBB148_983
; %bb.982:
	v_lshlrev_b32_e32 v8, 3, v0
	v_mov_b32_e32 v10, 0
	ds_read_b64 v[8:9], v8 offset:1536
	ds_read_b64 v[10:11], v10 offset:1560
	s_waitcnt lgkmcnt(0)
	v_mul_f32_e32 v12, v11, v9
	v_mul_f32_e32 v9, v10, v9
	v_fma_f32 v10, v10, v8, -v12
	v_fmac_f32_e32 v9, v11, v8
	v_add_f32_e32 v3, v3, v10
	v_add_f32_e32 v4, v4, v9
.LBB148_983:
	s_or_b64 exec, exec, s[14:15]
.LBB148_984:
	s_or_b64 exec, exec, s[12:13]
	s_and_saveexec_b64 s[10:11], s[44:45]
	s_cbranch_execz .LBB148_986
; %bb.985:
	v_mov_b32_e32 v8, 0
	ds_read_b64 v[8:9], v8 offset:520
	s_waitcnt lgkmcnt(0)
	v_mul_f32_e32 v10, v4, v9
	v_mul_f32_e32 v11, v3, v9
	v_fma_f32 v3, v3, v8, -v10
	v_fmac_f32_e32 v11, v4, v8
	v_xor_b32_e32 v8, 0x80000000, v3
	v_xor_b32_e32 v9, 0x80000000, v11
	v_mov_b32_e32 v4, v11
	ds_write_b64 v7, v[8:9]
.LBB148_986:
	s_or_b64 exec, exec, s[10:11]
	s_waitcnt lgkmcnt(0)
	s_barrier
	s_and_saveexec_b64 s[10:11], s[42:43]
	s_cbranch_execz .LBB148_988
; %bb.987:
	v_mov_b32_e32 v8, 0
	ds_read_b64 v[8:9], v8 offset:512
	ds_read_b64 v[10:11], v7
	s_waitcnt lgkmcnt(0)
	v_mul_f32_e32 v12, v11, v9
	v_mul_f32_e32 v9, v10, v9
	v_fma_f32 v10, v10, v8, -v12
	v_fmac_f32_e32 v9, v11, v8
	v_sub_f32_e32 v3, v3, v10
	v_sub_f32_e32 v4, v4, v9
.LBB148_988:
	s_or_b64 exec, exec, s[10:11]
	s_barrier
	s_and_saveexec_b64 s[10:11], s[42:43]
	s_cbranch_execz .LBB148_990
; %bb.989:
	v_mov_b32_e32 v8, 0
	ds_read_b64 v[8:9], v8
	s_waitcnt lgkmcnt(0)
	v_mul_f32_e32 v10, v4, v9
	v_mul_f32_e32 v11, v3, v9
	v_fma_f32 v3, v3, v8, -v10
	v_fmac_f32_e32 v11, v4, v8
	v_xor_b32_e32 v8, 0x80000000, v3
	v_xor_b32_e32 v9, 0x80000000, v11
	v_mov_b32_e32 v4, v11
	ds_write_b64 v7, v[8:9]
.LBB148_990:
	s_or_b64 exec, exec, s[10:11]
	s_waitcnt lgkmcnt(0)
	s_barrier
	s_barrier
	s_and_saveexec_b64 s[10:11], s[6:7]
; %bb.991:
	v_lshlrev_b32_e32 v5, 3, v5
	v_lshl_or_b32 v5, v6, 9, v5
	ds_write_b64 v5, v[3:4] offset:1024
; %bb.992:
	s_or_b64 exec, exec, s[10:11]
	s_waitcnt lgkmcnt(0)
	s_barrier
	s_barrier
	s_and_saveexec_b64 s[6:7], vcc
	s_cbranch_execz .LBB148_994
; %bb.993:
	v_mov_b32_e32 v9, 0
	ds_read2st64_b64 v[3:6], v9 offset1:1
	ds_read_b64 v[7:8], v9 offset:520
	s_waitcnt lgkmcnt(0)
	v_mul_f32_e32 v10, v8, v4
	v_mul_f32_e32 v11, v7, v4
	v_fma_f32 v7, v7, v3, -v10
	v_fmac_f32_e32 v11, v8, v3
	v_mul_f32_e32 v3, v11, v6
	v_mul_f32_e32 v4, v7, v6
	v_fma_f32 v3, v7, v5, -v3
	v_fmac_f32_e32 v4, v11, v5
	ds_write_b64 v9, v[3:4] offset:512
.LBB148_994:
	s_or_b64 exec, exec, s[6:7]
.LBB148_995:
	s_lshl_b64 s[6:7], s[24:25], 3
	v_readlane_b32 s10, v30, 0
	v_readlane_b32 s11, v30, 1
	s_add_u32 s44, s10, s6
	v_cmp_le_i32_e32 vcc, s98, v0
	s_addc_u32 s45, s11, s7
	s_and_b64 s[18:19], vcc, s[22:23]
	v_cmp_eq_u32_e64 s[6:7], 0, v2
	s_xor_b64 s[10:11], s[18:19], -1
	s_and_b64 s[12:13], s[6:7], s[10:11]
	v_mov_b32_e32 v3, 0
	v_add_u32_e32 v5, s33, v0
	v_mov_b32_e32 v4, 0
	s_waitcnt lgkmcnt(0)
	s_barrier
	s_and_saveexec_b64 s[10:11], s[12:13]
	s_cbranch_execz .LBB148_997
; %bb.996:
	v_ashrrev_i32_e32 v6, 31, v5
	v_mul_lo_u32 v7, s27, v5
	v_mad_u64_u32 v[3:4], s[12:13], s26, v5, 0
	v_mul_lo_u32 v6, s26, v6
	v_add3_u32 v4, v4, v6, v7
	v_lshlrev_b64 v[3:4], 3, v[3:4]
	v_mov_b32_e32 v6, s45
	v_add_co_u32_e32 v3, vcc, s44, v3
	v_addc_co_u32_e32 v4, vcc, v6, v4, vcc
	flat_load_dwordx2 v[6:7], v[3:4]
	s_waitcnt vmcnt(0) lgkmcnt(0)
	v_mul_f32_e32 v3, s48, v6
	v_mul_f32_e32 v4, s48, v7
	v_fma_f32 v3, s49, v7, -v3
	v_fma_f32 v4, v6, -s49, -v4
.LBB148_997:
	s_or_b64 exec, exec, s[10:11]
	s_load_dwordx2 s[16:17], s[4:5], 0x50
	s_and_b32 s4, 0xffff, s36
	v_mad_u32_u24 v8, v2, s4, v0
	s_cmp_lt_i32 s8, 1
	v_cmp_eq_u32_e64 s[4:5], 0, v8
	s_cbranch_scc1 .LBB148_1016
; %bb.998:
	s_lshl_b64 s[10:11], s[28:29], 2
	v_ashrrev_i32_e32 v6, 31, v5
	s_waitcnt lgkmcnt(0)
	s_add_u32 s24, s16, s10
	s_addc_u32 s25, s17, s11
	v_cmp_gt_i32_e64 s[10:11], s30, v5
	v_lshlrev_b64 v[5:6], 3, v[5:6]
	v_mov_b32_e32 v7, 0xa000
	s_mov_b64 s[20:21], src_private_base
	v_lshl_add_u32 v9, v8, 3, v7
	v_lshl_or_b32 v10, v2, 3, v7
	v_mov_b32_e32 v7, s38
	v_add_co_u32_e32 v11, vcc, s99, v5
	s_mul_i32 s14, s35, 0x180
	s_mul_hi_u32 s15, s34, 0x180
	s_mov_b32 s20, 0
	v_cmp_gt_u32_e64 s[12:13], 64, v8
	s_add_i32 s46, s39, 1
	v_addc_co_u32_e32 v12, vcc, v7, v6, vcc
	s_lshl_b64 s[36:37], s[34:35], 7
	s_lshl_b64 s[38:39], s[34:35], 8
	s_add_i32 s47, s15, s14
	s_mul_i32 s48, s34, 0x180
	v_mov_b32_e32 v15, -1
	v_mov_b32_e32 v5, 0
	v_mov_b32_e32 v13, 0
	;; [unrolled: 1-line block ×5, first 2 shown]
	s_branch .LBB148_1000
.LBB148_999:                            ;   in Loop: Header=BB148_1000 Depth=1
	s_or_b64 exec, exec, s[42:43]
	s_add_i32 s20, s20, 1
	s_cmp_eq_u32 s20, s8
	s_cbranch_scc1 .LBB148_1016
.LBB148_1000:                           ; =>This Loop Header: Depth=1
                                        ;     Child Loop BB148_1002 Depth 2
	v_cmp_gt_i32_e32 vcc, s20, v15
	s_and_b64 s[42:43], s[4:5], vcc
	s_and_saveexec_b64 s[14:15], s[42:43]
	s_cbranch_execz .LBB148_1003
; %bb.1001:                             ;   in Loop: Header=BB148_1000 Depth=1
	global_load_dword v15, v5, s[24:25]
	s_waitcnt vmcnt(0)
	v_cmp_le_i32_e32 vcc, s20, v15
	s_cbranch_vccnz .LBB148_1003
.LBB148_1002:                           ;   Parent Loop BB148_1000 Depth=1
                                        ; =>  This Inner Loop Header: Depth=2
	buffer_wbinvl1_vol
	global_load_dword v15, v5, s[24:25]
	s_waitcnt vmcnt(0)
	v_cmp_gt_i32_e32 vcc, s20, v15
	s_cbranch_vccnz .LBB148_1002
.LBB148_1003:                           ;   in Loop: Header=BB148_1000 Depth=1
	s_or_b64 exec, exec, s[14:15]
	s_sub_i32 s49, s9, s20
	s_lshl_b32 s50, s49, 6
	buffer_wbinvl1_vol
	s_barrier
	s_and_saveexec_b64 s[14:15], s[12:13]
	s_cbranch_execz .LBB148_1008
; %bb.1004:                             ;   in Loop: Header=BB148_1000 Depth=1
	s_ashr_i32 s42, s50, 31
	v_mov_b32_e32 v7, s42
	v_or_b32_e32 v6, s50, v8
	v_cmp_le_i64_e32 vcc, s[30:31], v[6:7]
	s_and_saveexec_b64 s[42:43], vcc
	s_xor_b64 s[42:43], exec, s[42:43]
; %bb.1005:                             ;   in Loop: Header=BB148_1000 Depth=1
	v_mov_b32_e32 v6, v5
	ds_write_b64 v9, v[5:6]
                                        ; implicit-def: $vgpr6_vgpr7
; %bb.1006:                             ;   in Loop: Header=BB148_1000 Depth=1
	s_andn2_saveexec_b64 s[42:43], s[42:43]
	s_cbranch_execz .LBB148_1008
; %bb.1007:                             ;   in Loop: Header=BB148_1000 Depth=1
	v_mul_lo_u32 v18, v7, s26
	v_mul_lo_u32 v19, v6, s27
	v_mad_u64_u32 v[6:7], s[42:43], v6, s26, 0
	v_add3_u32 v7, v7, v19, v18
	v_lshlrev_b64 v[6:7], 3, v[6:7]
	v_mov_b32_e32 v18, s45
	v_add_co_u32_e32 v6, vcc, s44, v6
	v_addc_co_u32_e32 v7, vcc, v18, v7, vcc
	flat_load_dwordx2 v[6:7], v[6:7]
	s_waitcnt vmcnt(0) lgkmcnt(0)
	ds_write_b64 v9, v[6:7]
.LBB148_1008:                           ;   in Loop: Header=BB148_1000 Depth=1
	s_or_b64 exec, exec, s[14:15]
	v_add_u32_e32 v6, s50, v2
	v_ashrrev_i32_e32 v7, 31, v6
	v_mul_lo_u32 v20, s35, v6
	v_mad_u64_u32 v[18:19], s[14:15], s34, v6, 0
	v_mul_lo_u32 v7, s34, v7
	s_cmp_eq_u32 s49, s46
	s_cselect_b64 vcc, -1, 0
	s_waitcnt lgkmcnt(0)
	v_add3_u32 v19, v19, v7, v20
	v_lshlrev_b64 v[18:19], 3, v[18:19]
	s_barrier
	v_add_co_u32_e64 v7, s[14:15], v11, v18
	v_addc_co_u32_e64 v18, s[14:15], v12, v19, s[14:15]
	v_cmp_gt_i32_e64 s[14:15], s30, v6
	s_and_b64 s[42:43], s[10:11], s[14:15]
	s_and_saveexec_b64 s[14:15], s[42:43]
	s_cbranch_execz .LBB148_1010
; %bb.1009:                             ;   in Loop: Header=BB148_1000 Depth=1
	v_mov_b32_e32 v19, s21
	v_cndmask_b32_e32 v20, v18, v19, vcc
	v_cndmask_b32_e32 v19, v7, v13, vcc
	flat_load_dwordx2 v[19:20], v[19:20]
	ds_read_b64 v[21:22], v10
	s_waitcnt vmcnt(0) lgkmcnt(0)
	v_mul_f32_e32 v23, v22, v20
	v_mul_f32_e32 v20, v21, v20
	v_fma_f32 v21, v21, v19, -v23
	v_fmac_f32_e32 v20, v22, v19
	v_add_f32_e32 v3, v3, v21
	v_add_f32_e32 v4, v4, v20
.LBB148_1010:                           ;   in Loop: Header=BB148_1000 Depth=1
	s_or_b64 exec, exec, s[14:15]
	v_add_u32_e32 v19, 16, v6
	v_cmp_gt_i32_e64 s[14:15], s30, v19
	s_and_b64 s[14:15], s[10:11], s[14:15]
	s_and_saveexec_b64 s[42:43], s[14:15]
	s_cbranch_execz .LBB148_1012
; %bb.1011:                             ;   in Loop: Header=BB148_1000 Depth=1
	v_mov_b32_e32 v19, s37
	v_add_co_u32_e64 v21, s[14:15], s36, v7
	v_addc_co_u32_e64 v19, s[14:15], v18, v19, s[14:15]
	v_mov_b32_e32 v20, s21
	v_cndmask_b32_e32 v20, v19, v20, vcc
	v_cndmask_b32_e32 v19, v21, v14, vcc
	flat_load_dwordx2 v[19:20], v[19:20]
	ds_read_b64 v[21:22], v10 offset:128
	s_waitcnt vmcnt(0) lgkmcnt(0)
	v_mul_f32_e32 v23, v22, v20
	v_mul_f32_e32 v20, v21, v20
	v_fma_f32 v21, v21, v19, -v23
	v_fmac_f32_e32 v20, v22, v19
	v_add_f32_e32 v3, v3, v21
	v_add_f32_e32 v4, v4, v20
.LBB148_1012:                           ;   in Loop: Header=BB148_1000 Depth=1
	s_or_b64 exec, exec, s[42:43]
	v_add_u32_e32 v19, 32, v6
	v_cmp_gt_i32_e64 s[14:15], s30, v19
	s_and_b64 s[14:15], s[10:11], s[14:15]
	s_and_saveexec_b64 s[42:43], s[14:15]
	s_cbranch_execz .LBB148_1014
; %bb.1013:                             ;   in Loop: Header=BB148_1000 Depth=1
	v_mov_b32_e32 v19, s39
	v_add_co_u32_e64 v21, s[14:15], s38, v7
	v_addc_co_u32_e64 v19, s[14:15], v18, v19, s[14:15]
	v_mov_b32_e32 v20, s21
	v_cndmask_b32_e32 v20, v19, v20, vcc
	v_cndmask_b32_e32 v19, v21, v16, vcc
	flat_load_dwordx2 v[19:20], v[19:20]
	ds_read_b64 v[21:22], v10 offset:256
	s_waitcnt vmcnt(0) lgkmcnt(0)
	v_mul_f32_e32 v23, v22, v20
	v_mul_f32_e32 v20, v21, v20
	v_fma_f32 v21, v21, v19, -v23
	v_fmac_f32_e32 v20, v22, v19
	v_add_f32_e32 v3, v3, v21
	v_add_f32_e32 v4, v4, v20
.LBB148_1014:                           ;   in Loop: Header=BB148_1000 Depth=1
	s_or_b64 exec, exec, s[42:43]
	v_add_u32_e32 v6, 48, v6
	v_cmp_gt_i32_e64 s[14:15], s30, v6
	s_and_b64 s[14:15], s[10:11], s[14:15]
	s_and_saveexec_b64 s[42:43], s[14:15]
	s_cbranch_execz .LBB148_999
; %bb.1015:                             ;   in Loop: Header=BB148_1000 Depth=1
	v_mov_b32_e32 v6, s47
	v_add_co_u32_e64 v19, s[14:15], s48, v7
	v_addc_co_u32_e64 v6, s[14:15], v18, v6, s[14:15]
	v_mov_b32_e32 v7, s21
	v_cndmask_b32_e32 v7, v6, v7, vcc
	v_cndmask_b32_e32 v6, v19, v17, vcc
	flat_load_dwordx2 v[6:7], v[6:7]
	ds_read_b64 v[18:19], v10 offset:384
	s_waitcnt vmcnt(0) lgkmcnt(0)
	v_mul_f32_e32 v20, v19, v7
	v_mul_f32_e32 v7, v18, v7
	v_fma_f32 v18, v18, v6, -v20
	v_fmac_f32_e32 v7, v19, v6
	v_add_f32_e32 v3, v3, v18
	v_add_f32_e32 v4, v4, v7
	s_branch .LBB148_999
.LBB148_1016:
	s_xor_b64 s[4:5], s[22:23], -1
	s_xor_b64 s[8:9], s[40:41], -1
	v_lshlrev_b32_e32 v1, 3, v1
	ds_write_b64 v1, v[3:4] offset:32768
	s_waitcnt lgkmcnt(0)
	s_barrier
	s_and_saveexec_b64 s[10:11], s[6:7]
	s_cbranch_execz .LBB148_1018
; %bb.1017:
	v_lshlrev_b32_e32 v7, 3, v0
	ds_read2st64_b64 v[9:12], v7 offset0:65 offset1:66
	ds_read2st64_b64 v[13:16], v7 offset0:67 offset1:68
	ds_read_b64 v[17:18], v7 offset:40448
	s_waitcnt lgkmcnt(2)
	v_add_f32_e32 v3, v3, v9
	v_add_f32_e32 v4, v4, v10
	;; [unrolled: 1-line block ×4, first 2 shown]
	ds_read2st64_b64 v[3:6], v7 offset0:69 offset1:70
	s_waitcnt lgkmcnt(2)
	v_add_f32_e32 v9, v9, v13
	v_add_f32_e32 v10, v10, v14
	;; [unrolled: 1-line block ×4, first 2 shown]
	s_waitcnt lgkmcnt(0)
	v_add_f32_e32 v3, v9, v3
	ds_read2st64_b64 v[9:12], v7 offset0:71 offset1:72
	v_add_f32_e32 v4, v13, v4
	v_add_f32_e32 v13, v3, v5
	;; [unrolled: 1-line block ×3, first 2 shown]
	ds_read2st64_b64 v[3:6], v7 offset0:73 offset1:74
	s_waitcnt lgkmcnt(1)
	v_add_f32_e32 v9, v13, v9
	v_add_f32_e32 v10, v14, v10
	;; [unrolled: 1-line block ×4, first 2 shown]
	s_waitcnt lgkmcnt(0)
	v_add_f32_e32 v3, v9, v3
	ds_read2st64_b64 v[9:12], v7 offset0:75 offset1:76
	v_add_f32_e32 v4, v13, v4
	v_add_f32_e32 v13, v3, v5
	;; [unrolled: 1-line block ×3, first 2 shown]
	ds_read2st64_b64 v[3:6], v7 offset0:77 offset1:78
	s_waitcnt lgkmcnt(1)
	v_add_f32_e32 v7, v13, v9
	v_add_f32_e32 v9, v14, v10
	v_add_f32_e32 v7, v7, v11
	v_add_f32_e32 v9, v9, v12
	s_waitcnt lgkmcnt(0)
	v_add_f32_e32 v3, v7, v3
	v_add_f32_e32 v4, v9, v4
	;; [unrolled: 1-line block ×6, first 2 shown]
	v_cndmask_b32_e64 v3, -v3, 0, s[18:19]
	v_cndmask_b32_e64 v4, -v4, 0, s[18:19]
.LBB148_1018:
	s_or_b64 exec, exec, s[10:11]
	s_andn2_b64 vcc, exec, s[8:9]
	s_cbranch_vccnz .LBB148_1031
; %bb.1019:
	v_mov_b32_e32 v5, 0xa000
	v_lshl_or_b32 v7, v2, 3, v5
	s_and_saveexec_b64 s[8:9], s[6:7]
; %bb.1020:
	v_lshl_add_u32 v5, v0, 3, v7
	ds_write_b64 v5, v[3:4]
; %bb.1021:
	s_or_b64 exec, exec, s[8:9]
	v_cmp_le_u32_e32 vcc, v0, v2
	v_mov_b32_e32 v5, 0
	v_mov_b32_e32 v6, 0
	s_waitcnt lgkmcnt(0)
	s_barrier
	s_and_saveexec_b64 s[8:9], vcc
	s_cbranch_execz .LBB148_1023
; %bb.1022:
	ds_read_b64 v[5:6], v1
	ds_read_b64 v[9:10], v7
	s_waitcnt lgkmcnt(0)
	v_mul_f32_e32 v11, v10, v6
	v_mul_f32_e32 v6, v9, v6
	v_fma_f32 v9, v9, v5, -v11
	v_fmac_f32_e32 v6, v10, v5
	v_add_f32_e32 v5, 0, v9
	v_add_f32_e32 v6, 0, v6
.LBB148_1023:
	s_or_b64 exec, exec, s[8:9]
	v_add_u32_e32 v9, 16, v2
	v_cmp_le_u32_e32 vcc, v0, v9
	s_and_saveexec_b64 s[8:9], vcc
	s_cbranch_execz .LBB148_1025
; %bb.1024:
	ds_read_b64 v[9:10], v1 offset:8192
	ds_read_b64 v[11:12], v7 offset:128
	s_waitcnt lgkmcnt(0)
	v_mul_f32_e32 v13, v12, v10
	v_mul_f32_e32 v10, v11, v10
	v_fma_f32 v11, v11, v9, -v13
	v_fmac_f32_e32 v10, v12, v9
	v_add_f32_e32 v5, v5, v11
	v_add_f32_e32 v6, v6, v10
.LBB148_1025:
	s_or_b64 exec, exec, s[8:9]
	v_add_u32_e32 v9, 32, v2
	v_cmp_le_u32_e32 vcc, v0, v9
	s_and_saveexec_b64 s[8:9], vcc
	s_cbranch_execz .LBB148_1027
; %bb.1026:
	ds_read_b64 v[9:10], v1 offset:16384
	ds_read_b64 v[11:12], v7 offset:256
	s_waitcnt lgkmcnt(0)
	v_mul_f32_e32 v13, v12, v10
	v_mul_f32_e32 v10, v11, v10
	v_fma_f32 v11, v11, v9, -v13
	v_fmac_f32_e32 v10, v12, v9
	v_add_f32_e32 v5, v5, v11
	v_add_f32_e32 v6, v6, v10
.LBB148_1027:
	s_or_b64 exec, exec, s[8:9]
	v_add_u32_e32 v2, 48, v2
	v_add_u32_e32 v9, 0x8000, v1
	v_cmp_le_u32_e32 vcc, v0, v2
	s_and_saveexec_b64 s[8:9], vcc
	s_cbranch_execz .LBB148_1029
; %bb.1028:
	ds_read_b64 v[1:2], v1 offset:24576
	ds_read_b64 v[10:11], v7 offset:384
	s_waitcnt lgkmcnt(0)
	v_mul_f32_e32 v7, v11, v2
	v_mul_f32_e32 v2, v10, v2
	v_fma_f32 v7, v10, v1, -v7
	v_fmac_f32_e32 v2, v11, v1
	v_add_f32_e32 v5, v5, v7
	v_add_f32_e32 v6, v6, v2
.LBB148_1029:
	s_or_b64 exec, exec, s[8:9]
	s_mov_b64 s[10:11], 0
	s_mov_b64 s[8:9], 0
	ds_write_b64 v9, v[5:6]
	s_waitcnt lgkmcnt(0)
	s_barrier
                                        ; implicit-def: $vgpr1
                                        ; implicit-def: $vgpr2
	s_and_saveexec_b64 s[12:13], s[6:7]
	s_cbranch_execz .LBB148_1050
; %bb.1030:
	v_lshlrev_b32_e32 v1, 3, v0
	ds_read2st64_b64 v[9:12], v1 offset0:65 offset1:66
	ds_read2st64_b64 v[13:16], v1 offset0:67 offset1:68
	ds_read_b64 v[17:18], v1 offset:40448
	s_mov_b64 s[8:9], exec
	s_waitcnt lgkmcnt(2)
	v_add_f32_e32 v2, v5, v9
	v_add_f32_e32 v5, v6, v10
	v_add_f32_e32 v2, v2, v11
	v_add_f32_e32 v5, v5, v12
	ds_read2st64_b64 v[9:12], v1 offset0:69 offset1:70
	s_waitcnt lgkmcnt(2)
	v_add_f32_e32 v2, v2, v13
	v_add_f32_e32 v5, v5, v14
	v_add_f32_e32 v2, v2, v15
	v_add_f32_e32 v5, v5, v16
	ds_read2st64_b64 v[13:16], v1 offset0:71 offset1:72
	;; [unrolled: 6-line block ×5, first 2 shown]
	s_waitcnt lgkmcnt(1)
	v_add_f32_e32 v1, v2, v13
	v_add_f32_e32 v2, v5, v14
	;; [unrolled: 1-line block ×4, first 2 shown]
	s_waitcnt lgkmcnt(0)
	v_add_f32_e32 v1, v1, v9
	v_add_f32_e32 v2, v2, v10
	;; [unrolled: 1-line block ×6, first 2 shown]
	s_or_b64 exec, exec, s[12:13]
	s_and_b64 vcc, exec, s[10:11]
	s_cbranch_vccnz .LBB148_1032
	s_branch .LBB148_1051
.LBB148_1031:
	s_mov_b64 s[8:9], 0
                                        ; implicit-def: $vgpr1
                                        ; implicit-def: $vgpr2
	s_cbranch_execz .LBB148_1051
.LBB148_1032:
	s_movk_i32 s10, 0x208
	v_lshlrev_b32_e32 v2, 9, v0
	v_mov_b32_e32 v5, 0x7c00
	v_mul_u32_u24_e32 v1, 0x208, v0
	v_sub_u32_e32 v2, 0, v2
	v_mad_u32_u24 v5, v0, s10, v5
	s_mov_b32 s12, 63
	s_movk_i32 s13, 0x8200
	v_mov_b32_e32 v6, 0
	s_branch .LBB148_1034
.LBB148_1033:                           ;   in Loop: Header=BB148_1034 Depth=1
	s_or_b64 exec, exec, s[10:11]
	s_add_i32 s12, s12, -2
	s_cmp_lg_u32 s14, 0
	v_add_u32_e32 v2, 0xfffffc00, v2
	s_barrier
	s_cbranch_scc0 .LBB148_1042
.LBB148_1034:                           ; =>This Inner Loop Header: Depth=1
	v_cmp_eq_u32_e32 vcc, s13, v2
	s_and_b64 s[14:15], s[6:7], vcc
	s_and_saveexec_b64 s[10:11], s[14:15]
	s_cbranch_execz .LBB148_1036
; %bb.1035:                             ;   in Loop: Header=BB148_1034 Depth=1
	ds_read_b64 v[9:10], v1
	s_waitcnt lgkmcnt(0)
	v_mul_f32_e32 v7, v4, v10
	v_mul_f32_e32 v11, v3, v10
	v_fma_f32 v10, v3, v9, -v7
	v_fmac_f32_e32 v11, v4, v9
	v_mov_b32_e32 v3, v10
	v_mov_b32_e32 v4, v11
	ds_write_b64 v6, v[10:11] offset:41472
.LBB148_1036:                           ;   in Loop: Header=BB148_1034 Depth=1
	s_or_b64 exec, exec, s[10:11]
	v_cmp_gt_u32_e32 vcc, s12, v0
	s_and_b64 s[14:15], s[6:7], vcc
	v_add_u32_e32 v7, v5, v2
	s_waitcnt lgkmcnt(0)
	s_barrier
	s_and_saveexec_b64 s[10:11], s[14:15]
	s_cbranch_execz .LBB148_1038
; %bb.1037:                             ;   in Loop: Header=BB148_1034 Depth=1
	ds_read_b64 v[9:10], v7 offset:512
	ds_read_b64 v[11:12], v6 offset:41472
	s_waitcnt lgkmcnt(0)
	v_mul_f32_e32 v13, v12, v10
	v_mul_f32_e32 v10, v11, v10
	v_fma_f32 v11, v11, v9, -v13
	v_fmac_f32_e32 v10, v12, v9
	v_add_f32_e32 v3, v3, v11
	v_add_f32_e32 v4, v4, v10
.LBB148_1038:                           ;   in Loop: Header=BB148_1034 Depth=1
	s_or_b64 exec, exec, s[10:11]
	s_add_i32 s14, s12, -1
	v_cmp_eq_u32_e32 vcc, s14, v0
	s_and_b64 s[18:19], s[6:7], vcc
	s_barrier
	s_and_saveexec_b64 s[10:11], s[18:19]
	s_cbranch_execz .LBB148_1040
; %bb.1039:                             ;   in Loop: Header=BB148_1034 Depth=1
	ds_read_b64 v[9:10], v1
	s_waitcnt lgkmcnt(0)
	v_mul_f32_e32 v12, v4, v10
	v_mul_f32_e32 v11, v3, v10
	v_fma_f32 v10, v3, v9, -v12
	v_fmac_f32_e32 v11, v4, v9
	v_mov_b32_e32 v3, v10
	v_mov_b32_e32 v4, v11
	ds_write_b64 v6, v[10:11] offset:41472
.LBB148_1040:                           ;   in Loop: Header=BB148_1034 Depth=1
	s_or_b64 exec, exec, s[10:11]
	v_cmp_gt_u32_e32 vcc, s14, v0
	s_and_b64 s[18:19], s[6:7], vcc
	s_waitcnt lgkmcnt(0)
	s_barrier
	s_and_saveexec_b64 s[10:11], s[18:19]
	s_cbranch_execz .LBB148_1033
; %bb.1041:                             ;   in Loop: Header=BB148_1034 Depth=1
	ds_read_b64 v[9:10], v7
	ds_read_b64 v[11:12], v6 offset:41472
	s_waitcnt lgkmcnt(0)
	v_mul_f32_e32 v7, v12, v10
	v_mul_f32_e32 v10, v11, v10
	v_fma_f32 v7, v11, v9, -v7
	v_fmac_f32_e32 v10, v12, v9
	v_add_f32_e32 v3, v3, v7
	v_add_f32_e32 v4, v4, v10
	s_branch .LBB148_1033
.LBB148_1042:
	s_mov_b64 s[10:11], -1
	s_and_b64 vcc, exec, s[4:5]
	s_cbranch_vccnz .LBB148_1052
; %bb.1043:
	s_andn2_b64 vcc, exec, s[10:11]
	s_cbranch_vccz .LBB148_1053
.LBB148_1044:
	s_and_saveexec_b64 s[4:5], s[8:9]
	s_cbranch_execz .LBB148_1046
.LBB148_1045:
	v_mov_b32_e32 v0, s60
	v_add_co_u32_e32 v1, vcc, s33, v8
	v_addc_co_u32_e32 v0, vcc, 0, v0, vcc
	v_mul_lo_u32 v2, v0, s26
	v_mul_lo_u32 v5, v1, s27
	v_mad_u64_u32 v[0:1], s[6:7], v1, s26, 0
	v_add3_u32 v1, v1, v5, v2
	v_lshlrev_b64 v[0:1], 3, v[0:1]
	v_mov_b32_e32 v2, s45
	v_add_co_u32_e32 v0, vcc, s44, v0
	v_addc_co_u32_e32 v1, vcc, v2, v1, vcc
	flat_store_dwordx2 v[0:1], v[3:4]
.LBB148_1046:
	s_or_b64 exec, exec, s[4:5]
	v_cmp_eq_u32_e32 vcc, 0, v8
	s_waitcnt vmcnt(0) lgkmcnt(0)
	buffer_wbinvl1_vol
	s_barrier
	s_and_saveexec_b64 s[4:5], vcc
	s_cbranch_execz .LBB148_1048
; %bb.1047:
	s_lshl_b64 s[6:7], s[28:29], 2
	s_add_u32 s6, s16, s6
	s_addc_u32 s7, s17, s7
	v_mov_b32_e32 v0, 0
	global_load_dword v1, v0, s[6:7]
	s_waitcnt vmcnt(0)
	v_add_u32_e32 v1, 1, v1
	global_store_dword v0, v1, s[6:7]
.LBB148_1048:
	s_or_b64 exec, exec, s[4:5]
	s_waitcnt vmcnt(0)
	buffer_wbinvl1_vol
	s_endpgm
.LBB148_1049:
                                        ; implicit-def: $sgpr33
	s_cbranch_execnz .LBB148_18
	s_branch .LBB148_19
.LBB148_1050:
	s_or_b64 exec, exec, s[12:13]
	s_and_b64 vcc, exec, s[10:11]
	s_cbranch_vccnz .LBB148_1032
.LBB148_1051:
	v_mov_b32_e32 v4, v1
	v_mov_b32_e32 v3, v2
	s_and_saveexec_b64 s[4:5], s[8:9]
	s_cbranch_execnz .LBB148_1045
	s_branch .LBB148_1046
.LBB148_1052:
	s_andn2_b64 s[4:5], s[8:9], exec
	s_and_b64 s[8:9], s[6:7], exec
	s_or_b64 s[8:9], s[4:5], s[8:9]
	s_cbranch_execnz .LBB148_1044
.LBB148_1053:
	v_cmp_gt_i32_e32 vcc, s98, v0
	s_and_b64 s[4:5], s[6:7], vcc
	s_andn2_b64 s[6:7], s[8:9], exec
	s_and_b64 s[4:5], s[4:5], exec
	s_or_b64 s[8:9], s[6:7], s[4:5]
	s_and_saveexec_b64 s[4:5], s[8:9]
	s_cbranch_execnz .LBB148_1045
	s_branch .LBB148_1046
.LBB148_1054:
	ds_read_b64 v[14:15], v12 offset:31680
	ds_read_b64 v[16:17], v13 offset:31208
	s_waitcnt lgkmcnt(0)
	v_mul_f32_e32 v18, v17, v15
	v_mul_f32_e32 v15, v16, v15
	v_fma_f32 v16, v16, v14, -v18
	v_fmac_f32_e32 v15, v17, v14
	v_add_f32_e32 v3, v3, v16
	v_add_f32_e32 v4, v4, v15
	s_or_b64 exec, exec, s[16:17]
	v_cmp_gt_u32_e64 s[12:13], 8, v8
	s_and_saveexec_b64 s[16:17], s[12:13]
	s_cbranch_execz .LBB148_155
.LBB148_1055:
	ds_read_b64 v[14:15], v12 offset:32192
	ds_read_b64 v[12:13], v13 offset:31216
	s_waitcnt lgkmcnt(0)
	v_mul_f32_e32 v16, v13, v15
	v_mul_f32_e32 v15, v12, v15
	v_fma_f32 v12, v12, v14, -v16
	v_fmac_f32_e32 v15, v13, v14
	v_add_f32_e32 v3, v3, v12
	v_add_f32_e32 v4, v4, v15
	s_or_b64 exec, exec, s[16:17]
	v_cmp_gt_u32_e64 s[12:13], 4, v8
	s_and_saveexec_b64 s[16:17], s[12:13]
	s_cbranch_execnz .LBB148_156
	s_branch .LBB148_157
.LBB148_1056:
	ds_read_b64 v[17:18], v15 offset:29568
	ds_read_b64 v[19:20], v16 offset:29128
	s_waitcnt lgkmcnt(0)
	v_mul_f32_e32 v21, v20, v18
	v_mul_f32_e32 v18, v19, v18
	v_fma_f32 v19, v19, v17, -v21
	v_fmac_f32_e32 v18, v20, v17
	v_add_f32_e32 v3, v3, v19
	v_add_f32_e32 v4, v4, v18
	s_or_b64 exec, exec, s[20:21]
	v_cmp_gt_u32_e64 s[14:15], 48, v8
	s_and_saveexec_b64 s[20:21], s[14:15]
	s_cbranch_execz .LBB148_193
.LBB148_1057:
	ds_read_b64 v[17:18], v15 offset:30080
	ds_read_b64 v[19:20], v16 offset:29136
	s_waitcnt lgkmcnt(0)
	v_mul_f32_e32 v21, v20, v18
	v_mul_f32_e32 v18, v19, v18
	v_fma_f32 v19, v19, v17, -v21
	v_fmac_f32_e32 v18, v20, v17
	v_add_f32_e32 v3, v3, v19
	v_add_f32_e32 v4, v4, v18
	s_or_b64 exec, exec, s[20:21]
	v_cmp_gt_u32_e64 s[14:15], 40, v8
	s_and_saveexec_b64 s[20:21], s[14:15]
	s_cbranch_execz .LBB148_194
.LBB148_1058:
	ds_read_b64 v[17:18], v15 offset:30592
	ds_read_b64 v[19:20], v16 offset:29144
	s_waitcnt lgkmcnt(0)
	v_mul_f32_e32 v21, v20, v18
	v_mul_f32_e32 v18, v19, v18
	v_fma_f32 v19, v19, v17, -v21
	v_fmac_f32_e32 v18, v20, v17
	v_add_f32_e32 v3, v3, v19
	v_add_f32_e32 v4, v4, v18
	s_or_b64 exec, exec, s[20:21]
	v_cmp_gt_u32_e64 s[14:15], 32, v8
	s_and_saveexec_b64 s[20:21], s[14:15]
	s_cbranch_execz .LBB148_195
.LBB148_1059:
	ds_read_b64 v[17:18], v15 offset:31104
	ds_read_b64 v[19:20], v16 offset:29152
	s_waitcnt lgkmcnt(0)
	v_mul_f32_e32 v21, v20, v18
	v_mul_f32_e32 v18, v19, v18
	v_fma_f32 v19, v19, v17, -v21
	v_fmac_f32_e32 v18, v20, v17
	v_add_f32_e32 v3, v3, v19
	v_add_f32_e32 v4, v4, v18
	s_or_b64 exec, exec, s[20:21]
	v_cmp_gt_u32_e64 s[14:15], 24, v8
	s_and_saveexec_b64 s[20:21], s[14:15]
	s_cbranch_execz .LBB148_196
.LBB148_1060:
	ds_read_b64 v[17:18], v15 offset:31616
	ds_read_b64 v[19:20], v16 offset:29160
	s_waitcnt lgkmcnt(0)
	v_mul_f32_e32 v21, v20, v18
	v_mul_f32_e32 v18, v19, v18
	v_fma_f32 v19, v19, v17, -v21
	v_fmac_f32_e32 v18, v20, v17
	v_add_f32_e32 v3, v3, v19
	v_add_f32_e32 v4, v4, v18
	s_or_b64 exec, exec, s[20:21]
	s_and_saveexec_b64 s[14:15], s[18:19]
	s_cbranch_execz .LBB148_197
.LBB148_1061:
	ds_read_b64 v[17:18], v15 offset:32128
	ds_read_b64 v[15:16], v16 offset:29168
	s_waitcnt lgkmcnt(0)
	v_mul_f32_e32 v19, v16, v18
	v_mul_f32_e32 v18, v15, v18
	v_fma_f32 v15, v15, v17, -v19
	v_fmac_f32_e32 v18, v16, v17
	v_add_f32_e32 v3, v3, v15
	v_add_f32_e32 v4, v4, v18
	s_or_b64 exec, exec, s[14:15]
	v_cmp_gt_u32_e64 s[14:15], 8, v8
	s_and_saveexec_b64 s[20:21], s[14:15]
	s_cbranch_execnz .LBB148_198
	s_branch .LBB148_199
.LBB148_1062:
	ds_read_b64 v[17:18], v15 offset:27520
	ds_read_b64 v[19:20], v16 offset:27048
	s_waitcnt lgkmcnt(0)
	v_mul_f32_e32 v21, v20, v18
	v_mul_f32_e32 v18, v19, v18
	v_fma_f32 v19, v19, v17, -v21
	v_fmac_f32_e32 v18, v20, v17
	v_add_f32_e32 v3, v3, v19
	v_add_f32_e32 v4, v4, v18
	s_or_b64 exec, exec, s[16:17]
	v_cmp_gt_u32_e64 s[12:13], 8, v8
	s_and_saveexec_b64 s[16:17], s[12:13]
	s_cbranch_execz .LBB148_251
.LBB148_1063:
	ds_read_b64 v[17:18], v15 offset:28032
	ds_read_b64 v[15:16], v16 offset:27056
	s_waitcnt lgkmcnt(0)
	v_mul_f32_e32 v19, v16, v18
	v_mul_f32_e32 v18, v15, v18
	v_fma_f32 v15, v15, v17, -v19
	v_fmac_f32_e32 v18, v16, v17
	v_add_f32_e32 v3, v3, v15
	v_add_f32_e32 v4, v4, v18
	s_or_b64 exec, exec, s[16:17]
	v_cmp_gt_u32_e64 s[12:13], 4, v8
	s_and_saveexec_b64 s[16:17], s[12:13]
	s_cbranch_execnz .LBB148_252
	s_branch .LBB148_253
.LBB148_1064:
	ds_read_b64 v[20:21], v18 offset:30464
	ds_read_b64 v[22:23], v19 offset:25048
	s_waitcnt lgkmcnt(0)
	v_mul_f32_e32 v24, v23, v21
	v_mul_f32_e32 v21, v22, v21
	v_fma_f32 v22, v22, v20, -v24
	v_fmac_f32_e32 v21, v23, v20
	v_add_f32_e32 v3, v3, v22
	v_add_f32_e32 v4, v4, v21
	s_or_b64 exec, exec, s[36:37]
	s_and_saveexec_b64 s[16:17], s[10:11]
	s_cbranch_execz .LBB148_309
.LBB148_1065:
	ds_read_b64 v[20:21], v18 offset:30976
	ds_read_b64 v[22:23], v19 offset:25056
	s_waitcnt lgkmcnt(0)
	v_mul_f32_e32 v24, v23, v21
	v_mul_f32_e32 v21, v22, v21
	v_fma_f32 v22, v22, v20, -v24
	v_fmac_f32_e32 v21, v23, v20
	v_add_f32_e32 v3, v3, v22
	v_add_f32_e32 v4, v4, v21
	s_or_b64 exec, exec, s[16:17]
	v_cmp_gt_u32_e64 s[16:17], 48, v8
	s_and_saveexec_b64 s[36:37], s[16:17]
	s_cbranch_execz .LBB148_310
.LBB148_1066:
	ds_read_b64 v[20:21], v18 offset:31488
	ds_read_b64 v[22:23], v19 offset:25064
	s_waitcnt lgkmcnt(0)
	v_mul_f32_e32 v24, v23, v21
	v_mul_f32_e32 v21, v22, v21
	v_fma_f32 v22, v22, v20, -v24
	v_fmac_f32_e32 v21, v23, v20
	v_add_f32_e32 v3, v3, v22
	v_add_f32_e32 v4, v4, v21
	s_or_b64 exec, exec, s[36:37]
	v_cmp_gt_u32_e64 s[16:17], 32, v8
	s_and_saveexec_b64 s[36:37], s[16:17]
	s_cbranch_execz .LBB148_311
.LBB148_1067:
	ds_read_b64 v[20:21], v18 offset:32000
	ds_read_b64 v[18:19], v19 offset:25072
	s_waitcnt lgkmcnt(0)
	v_mul_f32_e32 v22, v19, v21
	v_mul_f32_e32 v21, v18, v21
	v_fma_f32 v18, v18, v20, -v22
	v_fmac_f32_e32 v21, v19, v20
	v_add_f32_e32 v3, v3, v18
	v_add_f32_e32 v4, v4, v21
	s_or_b64 exec, exec, s[36:37]
	v_cmp_gt_u32_e64 s[16:17], 16, v8
	s_and_saveexec_b64 s[36:37], s[16:17]
	s_cbranch_execnz .LBB148_312
	s_branch .LBB148_313
.LBB148_1068:
	ds_read_b64 v[20:21], v18 offset:23360
	ds_read_b64 v[22:23], v19 offset:22888
	s_waitcnt lgkmcnt(0)
	v_mul_f32_e32 v24, v23, v21
	v_mul_f32_e32 v21, v22, v21
	v_fma_f32 v22, v22, v20, -v24
	v_fmac_f32_e32 v21, v23, v20
	v_add_f32_e32 v3, v3, v22
	v_add_f32_e32 v4, v4, v21
	s_or_b64 exec, exec, s[20:21]
	v_cmp_gt_u32_e64 s[14:15], 8, v8
	s_and_saveexec_b64 s[20:21], s[14:15]
	s_cbranch_execz .LBB148_397
.LBB148_1069:
	ds_read_b64 v[20:21], v18 offset:23872
	ds_read_b64 v[18:19], v19 offset:22896
	s_waitcnt lgkmcnt(0)
	v_mul_f32_e32 v22, v19, v21
	v_mul_f32_e32 v21, v18, v21
	v_fma_f32 v18, v18, v20, -v22
	v_fmac_f32_e32 v21, v19, v20
	v_add_f32_e32 v3, v3, v18
	v_add_f32_e32 v4, v4, v21
	s_or_b64 exec, exec, s[20:21]
	v_cmp_gt_u32_e64 s[14:15], 4, v8
	s_and_saveexec_b64 s[20:21], s[14:15]
	s_cbranch_execnz .LBB148_398
	s_branch .LBB148_399
.LBB148_1070:
	ds_read_b64 v[20:21], v18 offset:21248
	ds_read_b64 v[22:23], v19 offset:20808
	s_waitcnt lgkmcnt(0)
	v_mul_f32_e32 v24, v23, v21
	v_mul_f32_e32 v21, v22, v21
	v_fma_f32 v22, v22, v20, -v24
	v_fmac_f32_e32 v21, v23, v20
	v_add_f32_e32 v3, v3, v22
	v_add_f32_e32 v4, v4, v21
	s_or_b64 exec, exec, s[20:21]
	v_cmp_gt_u32_e64 s[14:15], 48, v8
	s_and_saveexec_b64 s[20:21], s[14:15]
	s_cbranch_execz .LBB148_435
.LBB148_1071:
	ds_read_b64 v[20:21], v18 offset:21760
	ds_read_b64 v[22:23], v19 offset:20816
	s_waitcnt lgkmcnt(0)
	v_mul_f32_e32 v24, v23, v21
	v_mul_f32_e32 v21, v22, v21
	v_fma_f32 v22, v22, v20, -v24
	v_fmac_f32_e32 v21, v23, v20
	v_add_f32_e32 v3, v3, v22
	v_add_f32_e32 v4, v4, v21
	s_or_b64 exec, exec, s[20:21]
	v_cmp_gt_u32_e64 s[14:15], 40, v8
	s_and_saveexec_b64 s[20:21], s[14:15]
	s_cbranch_execz .LBB148_436
.LBB148_1072:
	ds_read_b64 v[20:21], v18 offset:22272
	ds_read_b64 v[22:23], v19 offset:20824
	s_waitcnt lgkmcnt(0)
	v_mul_f32_e32 v24, v23, v21
	v_mul_f32_e32 v21, v22, v21
	v_fma_f32 v22, v22, v20, -v24
	v_fmac_f32_e32 v21, v23, v20
	v_add_f32_e32 v3, v3, v22
	v_add_f32_e32 v4, v4, v21
	s_or_b64 exec, exec, s[20:21]
	v_cmp_gt_u32_e64 s[14:15], 32, v8
	s_and_saveexec_b64 s[20:21], s[14:15]
	s_cbranch_execz .LBB148_437
.LBB148_1073:
	ds_read_b64 v[20:21], v18 offset:22784
	ds_read_b64 v[22:23], v19 offset:20832
	s_waitcnt lgkmcnt(0)
	v_mul_f32_e32 v24, v23, v21
	v_mul_f32_e32 v21, v22, v21
	v_fma_f32 v22, v22, v20, -v24
	v_fmac_f32_e32 v21, v23, v20
	v_add_f32_e32 v3, v3, v22
	v_add_f32_e32 v4, v4, v21
	s_or_b64 exec, exec, s[20:21]
	v_cmp_gt_u32_e64 s[14:15], 24, v8
	s_and_saveexec_b64 s[20:21], s[14:15]
	s_cbranch_execz .LBB148_438
.LBB148_1074:
	ds_read_b64 v[20:21], v18 offset:23296
	ds_read_b64 v[22:23], v19 offset:20840
	s_waitcnt lgkmcnt(0)
	v_mul_f32_e32 v24, v23, v21
	v_mul_f32_e32 v21, v22, v21
	v_fma_f32 v22, v22, v20, -v24
	v_fmac_f32_e32 v21, v23, v20
	v_add_f32_e32 v3, v3, v22
	v_add_f32_e32 v4, v4, v21
	s_or_b64 exec, exec, s[20:21]
	s_and_saveexec_b64 s[14:15], s[18:19]
	s_cbranch_execz .LBB148_439
.LBB148_1075:
	ds_read_b64 v[20:21], v18 offset:23808
	ds_read_b64 v[18:19], v19 offset:20848
	s_waitcnt lgkmcnt(0)
	v_mul_f32_e32 v22, v19, v21
	v_mul_f32_e32 v21, v18, v21
	v_fma_f32 v18, v18, v20, -v22
	v_fmac_f32_e32 v21, v19, v20
	v_add_f32_e32 v3, v3, v18
	v_add_f32_e32 v4, v4, v21
	s_or_b64 exec, exec, s[14:15]
	v_cmp_gt_u32_e64 s[14:15], 8, v8
	s_and_saveexec_b64 s[20:21], s[14:15]
	s_cbranch_execnz .LBB148_440
	s_branch .LBB148_441
.LBB148_1076:
	ds_read_b64 v[20:21], v18 offset:19200
	ds_read_b64 v[22:23], v19 offset:18728
	s_waitcnt lgkmcnt(0)
	v_mul_f32_e32 v24, v23, v21
	v_mul_f32_e32 v21, v22, v21
	v_fma_f32 v22, v22, v20, -v24
	v_fmac_f32_e32 v21, v23, v20
	v_add_f32_e32 v3, v3, v22
	v_add_f32_e32 v4, v4, v21
	s_or_b64 exec, exec, s[20:21]
	v_cmp_gt_u32_e64 s[14:15], 8, v8
	s_and_saveexec_b64 s[20:21], s[14:15]
	s_cbranch_execz .LBB148_493
.LBB148_1077:
	ds_read_b64 v[20:21], v18 offset:19712
	ds_read_b64 v[18:19], v19 offset:18736
	s_waitcnt lgkmcnt(0)
	v_mul_f32_e32 v22, v19, v21
	v_mul_f32_e32 v21, v18, v21
	v_fma_f32 v18, v18, v20, -v22
	v_fmac_f32_e32 v21, v19, v20
	v_add_f32_e32 v3, v3, v18
	v_add_f32_e32 v4, v4, v21
	s_or_b64 exec, exec, s[20:21]
	v_cmp_gt_u32_e64 s[14:15], 4, v8
	s_and_saveexec_b64 s[20:21], s[14:15]
	s_cbranch_execnz .LBB148_494
	s_branch .LBB148_495
.LBB148_1078:
	ds_read_b64 v[23:24], v21 offset:31232
	ds_read_b64 v[25:26], v22 offset:16872
	s_waitcnt lgkmcnt(0)
	v_mul_f32_e32 v27, v26, v24
	v_mul_f32_e32 v24, v25, v24
	v_fma_f32 v25, v25, v23, -v27
	v_fmac_f32_e32 v24, v26, v23
	v_add_f32_e32 v3, v3, v25
	v_add_f32_e32 v4, v4, v24
	s_or_b64 exec, exec, s[96:97]
	s_and_saveexec_b64 s[20:21], s[10:11]
	s_cbranch_execz .LBB148_587
.LBB148_1079:
	ds_read_b64 v[23:24], v21 offset:31744
	ds_read_b64 v[25:26], v22 offset:16880
	s_waitcnt lgkmcnt(0)
	v_mul_f32_e32 v27, v26, v24
	v_mul_f32_e32 v24, v25, v24
	v_fma_f32 v25, v25, v23, -v27
	v_fmac_f32_e32 v24, v26, v23
	v_add_f32_e32 v3, v3, v25
	v_add_f32_e32 v4, v4, v24
	s_or_b64 exec, exec, s[20:21]
	v_cmp_gt_u32_e64 s[20:21], 32, v8
	s_and_saveexec_b64 s[96:97], s[20:21]
	s_cbranch_execnz .LBB148_588
	s_branch .LBB148_589
.LBB148_1080:
	ds_read_b64 v[20:21], v18 offset:15040
	ds_read_b64 v[22:23], v19 offset:14568
	s_waitcnt lgkmcnt(0)
	v_mul_f32_e32 v24, v23, v21
	v_mul_f32_e32 v21, v22, v21
	v_fma_f32 v22, v22, v20, -v24
	v_fmac_f32_e32 v21, v23, v20
	v_add_f32_e32 v3, v3, v22
	v_add_f32_e32 v4, v4, v21
	s_or_b64 exec, exec, s[20:21]
	v_cmp_gt_u32_e64 s[14:15], 8, v8
	s_and_saveexec_b64 s[20:21], s[14:15]
	s_cbranch_execz .LBB148_621
.LBB148_1081:
	ds_read_b64 v[20:21], v18 offset:15552
	ds_read_b64 v[18:19], v19 offset:14576
	s_waitcnt lgkmcnt(0)
	v_mul_f32_e32 v22, v19, v21
	v_mul_f32_e32 v21, v18, v21
	v_fma_f32 v18, v18, v20, -v22
	v_fmac_f32_e32 v21, v19, v20
	v_add_f32_e32 v3, v3, v18
	v_add_f32_e32 v4, v4, v21
	s_or_b64 exec, exec, s[20:21]
	v_cmp_gt_u32_e64 s[14:15], 4, v8
	s_and_saveexec_b64 s[20:21], s[14:15]
	s_cbranch_execnz .LBB148_622
	s_branch .LBB148_623
.LBB148_1082:
	ds_read_b64 v[20:21], v18 offset:12928
	ds_read_b64 v[22:23], v19 offset:12488
	s_waitcnt lgkmcnt(0)
	v_mul_f32_e32 v24, v23, v21
	v_mul_f32_e32 v21, v22, v21
	v_fma_f32 v22, v22, v20, -v24
	v_fmac_f32_e32 v21, v23, v20
	v_add_f32_e32 v3, v3, v22
	v_add_f32_e32 v4, v4, v21
	s_or_b64 exec, exec, s[20:21]
	v_cmp_gt_u32_e64 s[14:15], 48, v8
	s_and_saveexec_b64 s[20:21], s[14:15]
	s_cbranch_execz .LBB148_659
.LBB148_1083:
	ds_read_b64 v[20:21], v18 offset:13440
	ds_read_b64 v[22:23], v19 offset:12496
	s_waitcnt lgkmcnt(0)
	v_mul_f32_e32 v24, v23, v21
	v_mul_f32_e32 v21, v22, v21
	v_fma_f32 v22, v22, v20, -v24
	v_fmac_f32_e32 v21, v23, v20
	v_add_f32_e32 v3, v3, v22
	v_add_f32_e32 v4, v4, v21
	s_or_b64 exec, exec, s[20:21]
	v_cmp_gt_u32_e64 s[14:15], 40, v8
	s_and_saveexec_b64 s[20:21], s[14:15]
	s_cbranch_execz .LBB148_660
.LBB148_1084:
	ds_read_b64 v[20:21], v18 offset:13952
	ds_read_b64 v[22:23], v19 offset:12504
	s_waitcnt lgkmcnt(0)
	v_mul_f32_e32 v24, v23, v21
	v_mul_f32_e32 v21, v22, v21
	v_fma_f32 v22, v22, v20, -v24
	v_fmac_f32_e32 v21, v23, v20
	v_add_f32_e32 v3, v3, v22
	v_add_f32_e32 v4, v4, v21
	s_or_b64 exec, exec, s[20:21]
	v_cmp_gt_u32_e64 s[14:15], 32, v8
	s_and_saveexec_b64 s[20:21], s[14:15]
	s_cbranch_execz .LBB148_661
.LBB148_1085:
	ds_read_b64 v[20:21], v18 offset:14464
	ds_read_b64 v[22:23], v19 offset:12512
	s_waitcnt lgkmcnt(0)
	v_mul_f32_e32 v24, v23, v21
	v_mul_f32_e32 v21, v22, v21
	v_fma_f32 v22, v22, v20, -v24
	v_fmac_f32_e32 v21, v23, v20
	v_add_f32_e32 v3, v3, v22
	v_add_f32_e32 v4, v4, v21
	s_or_b64 exec, exec, s[20:21]
	v_cmp_gt_u32_e64 s[14:15], 24, v8
	s_and_saveexec_b64 s[20:21], s[14:15]
	s_cbranch_execz .LBB148_662
.LBB148_1086:
	ds_read_b64 v[20:21], v18 offset:14976
	ds_read_b64 v[22:23], v19 offset:12520
	s_waitcnt lgkmcnt(0)
	v_mul_f32_e32 v24, v23, v21
	v_mul_f32_e32 v21, v22, v21
	v_fma_f32 v22, v22, v20, -v24
	v_fmac_f32_e32 v21, v23, v20
	v_add_f32_e32 v3, v3, v22
	v_add_f32_e32 v4, v4, v21
	s_or_b64 exec, exec, s[20:21]
	s_and_saveexec_b64 s[14:15], s[18:19]
	s_cbranch_execz .LBB148_663
.LBB148_1087:
	ds_read_b64 v[20:21], v18 offset:15488
	ds_read_b64 v[18:19], v19 offset:12528
	s_waitcnt lgkmcnt(0)
	v_mul_f32_e32 v22, v19, v21
	v_mul_f32_e32 v21, v18, v21
	v_fma_f32 v18, v18, v20, -v22
	v_fmac_f32_e32 v21, v19, v20
	v_add_f32_e32 v3, v3, v18
	v_add_f32_e32 v4, v4, v21
	s_or_b64 exec, exec, s[14:15]
	v_cmp_gt_u32_e64 s[14:15], 8, v8
	s_and_saveexec_b64 s[20:21], s[14:15]
	s_cbranch_execnz .LBB148_664
	s_branch .LBB148_665
.LBB148_1088:
	ds_read_b64 v[20:21], v18 offset:10880
	ds_read_b64 v[22:23], v19 offset:10408
	s_waitcnt lgkmcnt(0)
	v_mul_f32_e32 v24, v23, v21
	v_mul_f32_e32 v21, v22, v21
	v_fma_f32 v22, v22, v20, -v24
	v_fmac_f32_e32 v21, v23, v20
	v_add_f32_e32 v3, v3, v22
	v_add_f32_e32 v4, v4, v21
	s_or_b64 exec, exec, s[20:21]
	v_cmp_gt_u32_e64 s[14:15], 8, v8
	s_and_saveexec_b64 s[20:21], s[14:15]
	s_cbranch_execz .LBB148_717
.LBB148_1089:
	ds_read_b64 v[20:21], v18 offset:11392
	ds_read_b64 v[18:19], v19 offset:10416
	s_waitcnt lgkmcnt(0)
	v_mul_f32_e32 v22, v19, v21
	v_mul_f32_e32 v21, v18, v21
	v_fma_f32 v18, v18, v20, -v22
	v_fmac_f32_e32 v21, v19, v20
	v_add_f32_e32 v3, v3, v18
	v_add_f32_e32 v4, v4, v21
	s_or_b64 exec, exec, s[20:21]
	v_cmp_gt_u32_e64 s[14:15], 4, v8
	s_and_saveexec_b64 s[20:21], s[14:15]
	s_cbranch_execnz .LBB148_718
	s_branch .LBB148_719
.LBB148_1090:
	ds_read_b64 v[20:21], v18 offset:13824
	ds_read_b64 v[22:23], v19 offset:8408
	s_waitcnt lgkmcnt(0)
	v_mul_f32_e32 v24, v23, v21
	v_mul_f32_e32 v21, v22, v21
	v_fma_f32 v22, v22, v20, -v24
	v_fmac_f32_e32 v21, v23, v20
	v_add_f32_e32 v3, v3, v22
	v_add_f32_e32 v4, v4, v21
	s_or_b64 exec, exec, s[20:21]
	s_and_saveexec_b64 s[14:15], s[10:11]
	s_cbranch_execz .LBB148_775
.LBB148_1091:
	ds_read_b64 v[20:21], v18 offset:14336
	ds_read_b64 v[22:23], v19 offset:8416
	s_waitcnt lgkmcnt(0)
	v_mul_f32_e32 v24, v23, v21
	v_mul_f32_e32 v21, v22, v21
	v_fma_f32 v22, v22, v20, -v24
	v_fmac_f32_e32 v21, v23, v20
	v_add_f32_e32 v3, v3, v22
	v_add_f32_e32 v4, v4, v21
	s_or_b64 exec, exec, s[14:15]
	v_cmp_gt_u32_e64 s[14:15], 48, v8
	s_and_saveexec_b64 s[20:21], s[14:15]
	s_cbranch_execz .LBB148_776
.LBB148_1092:
	ds_read_b64 v[20:21], v18 offset:14848
	ds_read_b64 v[22:23], v19 offset:8424
	s_waitcnt lgkmcnt(0)
	v_mul_f32_e32 v24, v23, v21
	v_mul_f32_e32 v21, v22, v21
	v_fma_f32 v22, v22, v20, -v24
	v_fmac_f32_e32 v21, v23, v20
	v_add_f32_e32 v3, v3, v22
	v_add_f32_e32 v4, v4, v21
	s_or_b64 exec, exec, s[20:21]
	v_cmp_gt_u32_e64 s[14:15], 32, v8
	s_and_saveexec_b64 s[20:21], s[14:15]
	s_cbranch_execz .LBB148_777
.LBB148_1093:
	ds_read_b64 v[20:21], v18 offset:15360
	ds_read_b64 v[18:19], v19 offset:8432
	s_waitcnt lgkmcnt(0)
	v_mul_f32_e32 v22, v19, v21
	v_mul_f32_e32 v21, v18, v21
	v_fma_f32 v18, v18, v20, -v22
	v_fmac_f32_e32 v21, v19, v20
	v_add_f32_e32 v3, v3, v18
	v_add_f32_e32 v4, v4, v21
	s_or_b64 exec, exec, s[20:21]
	v_cmp_gt_u32_e64 s[14:15], 16, v8
	s_and_saveexec_b64 s[20:21], s[14:15]
	s_cbranch_execnz .LBB148_778
	s_branch .LBB148_779
.LBB148_1094:
	ds_read_b64 v[17:18], v15 offset:6720
	ds_read_b64 v[19:20], v16 offset:6248
	s_waitcnt lgkmcnt(0)
	v_mul_f32_e32 v21, v20, v18
	v_mul_f32_e32 v18, v19, v18
	v_fma_f32 v19, v19, v17, -v21
	v_fmac_f32_e32 v18, v20, v17
	v_add_f32_e32 v3, v3, v19
	v_add_f32_e32 v4, v4, v18
	s_or_b64 exec, exec, s[16:17]
	v_cmp_gt_u32_e64 s[12:13], 8, v8
	s_and_saveexec_b64 s[16:17], s[12:13]
	s_cbranch_execz .LBB148_863
.LBB148_1095:
	ds_read_b64 v[17:18], v15 offset:7232
	ds_read_b64 v[15:16], v16 offset:6256
	s_waitcnt lgkmcnt(0)
	v_mul_f32_e32 v19, v16, v18
	v_mul_f32_e32 v18, v15, v18
	v_fma_f32 v15, v15, v17, -v19
	v_fmac_f32_e32 v18, v16, v17
	v_add_f32_e32 v3, v3, v15
	v_add_f32_e32 v4, v4, v18
	s_or_b64 exec, exec, s[16:17]
	v_cmp_gt_u32_e64 s[12:13], 4, v8
	s_and_saveexec_b64 s[16:17], s[12:13]
	s_cbranch_execnz .LBB148_864
	s_branch .LBB148_865
.LBB148_1096:
	ds_read_b64 v[17:18], v15 offset:4608
	ds_read_b64 v[19:20], v16 offset:4168
	s_waitcnt lgkmcnt(0)
	v_mul_f32_e32 v21, v20, v18
	v_mul_f32_e32 v18, v19, v18
	v_fma_f32 v19, v19, v17, -v21
	v_fmac_f32_e32 v18, v20, v17
	v_add_f32_e32 v3, v3, v19
	v_add_f32_e32 v4, v4, v18
	s_or_b64 exec, exec, s[16:17]
	v_cmp_gt_u32_e64 s[12:13], 48, v8
	s_and_saveexec_b64 s[16:17], s[12:13]
	s_cbranch_execz .LBB148_901
.LBB148_1097:
	ds_read_b64 v[17:18], v15 offset:5120
	ds_read_b64 v[19:20], v16 offset:4176
	s_waitcnt lgkmcnt(0)
	v_mul_f32_e32 v21, v20, v18
	v_mul_f32_e32 v18, v19, v18
	v_fma_f32 v19, v19, v17, -v21
	v_fmac_f32_e32 v18, v20, v17
	v_add_f32_e32 v3, v3, v19
	v_add_f32_e32 v4, v4, v18
	s_or_b64 exec, exec, s[16:17]
	v_cmp_gt_u32_e64 s[12:13], 40, v8
	s_and_saveexec_b64 s[16:17], s[12:13]
	s_cbranch_execz .LBB148_902
.LBB148_1098:
	ds_read_b64 v[17:18], v15 offset:5632
	ds_read_b64 v[19:20], v16 offset:4184
	s_waitcnt lgkmcnt(0)
	v_mul_f32_e32 v21, v20, v18
	v_mul_f32_e32 v18, v19, v18
	v_fma_f32 v19, v19, v17, -v21
	v_fmac_f32_e32 v18, v20, v17
	v_add_f32_e32 v3, v3, v19
	v_add_f32_e32 v4, v4, v18
	s_or_b64 exec, exec, s[16:17]
	v_cmp_gt_u32_e64 s[12:13], 32, v8
	s_and_saveexec_b64 s[16:17], s[12:13]
	s_cbranch_execz .LBB148_903
.LBB148_1099:
	ds_read_b64 v[17:18], v15 offset:6144
	ds_read_b64 v[19:20], v16 offset:4192
	s_waitcnt lgkmcnt(0)
	v_mul_f32_e32 v21, v20, v18
	v_mul_f32_e32 v18, v19, v18
	v_fma_f32 v19, v19, v17, -v21
	v_fmac_f32_e32 v18, v20, v17
	v_add_f32_e32 v3, v3, v19
	v_add_f32_e32 v4, v4, v18
	s_or_b64 exec, exec, s[16:17]
	v_cmp_gt_u32_e64 s[12:13], 24, v8
	s_and_saveexec_b64 s[16:17], s[12:13]
	s_cbranch_execz .LBB148_904
.LBB148_1100:
	ds_read_b64 v[17:18], v15 offset:6656
	ds_read_b64 v[19:20], v16 offset:4200
	s_waitcnt lgkmcnt(0)
	v_mul_f32_e32 v21, v20, v18
	v_mul_f32_e32 v18, v19, v18
	v_fma_f32 v19, v19, v17, -v21
	v_fmac_f32_e32 v18, v20, v17
	v_add_f32_e32 v3, v3, v19
	v_add_f32_e32 v4, v4, v18
	s_or_b64 exec, exec, s[16:17]
	s_and_saveexec_b64 s[12:13], s[18:19]
	s_cbranch_execz .LBB148_905
.LBB148_1101:
	ds_read_b64 v[17:18], v15 offset:7168
	ds_read_b64 v[15:16], v16 offset:4208
	s_waitcnt lgkmcnt(0)
	v_mul_f32_e32 v19, v16, v18
	v_mul_f32_e32 v18, v15, v18
	v_fma_f32 v15, v15, v17, -v19
	v_fmac_f32_e32 v18, v16, v17
	v_add_f32_e32 v3, v3, v15
	v_add_f32_e32 v4, v4, v18
	s_or_b64 exec, exec, s[12:13]
	v_cmp_gt_u32_e64 s[12:13], 8, v8
	s_and_saveexec_b64 s[16:17], s[12:13]
	s_cbranch_execnz .LBB148_906
	s_branch .LBB148_907
.LBB148_1102:
	ds_read_b64 v[14:15], v12 offset:2560
	ds_read_b64 v[16:17], v13 offset:2088
	s_waitcnt lgkmcnt(0)
	v_mul_f32_e32 v18, v17, v15
	v_mul_f32_e32 v15, v16, v15
	v_fma_f32 v16, v16, v14, -v18
	v_fmac_f32_e32 v15, v17, v14
	v_add_f32_e32 v3, v3, v16
	v_add_f32_e32 v4, v4, v15
	s_or_b64 exec, exec, s[14:15]
	v_cmp_gt_u32_e64 s[10:11], 8, v8
	s_and_saveexec_b64 s[14:15], s[10:11]
	s_cbranch_execz .LBB148_959
.LBB148_1103:
	ds_read_b64 v[14:15], v12 offset:3072
	ds_read_b64 v[12:13], v13 offset:2096
	s_waitcnt lgkmcnt(0)
	v_mul_f32_e32 v16, v13, v15
	v_mul_f32_e32 v15, v12, v15
	v_fma_f32 v12, v12, v14, -v16
	v_fmac_f32_e32 v15, v13, v14
	v_add_f32_e32 v3, v3, v12
	v_add_f32_e32 v4, v4, v15
	s_or_b64 exec, exec, s[14:15]
	v_cmp_gt_u32_e64 s[10:11], 4, v8
	s_and_saveexec_b64 s[14:15], s[10:11]
	s_cbranch_execnz .LBB148_960
	s_branch .LBB148_961
	.section	.rodata,"a",@progbits
	.p2align	6, 0x0
	.amdhsa_kernel _ZL19rocblas_trsv_deviceILi64ELi16ELb0ELb0ELb0ELb0E19rocblas_complex_numIfEPKS1_PKS3_PKPS1_EviT7_lllT6_T8_lllPii
		.amdhsa_group_segment_fixed_size 41480
		.amdhsa_private_segment_fixed_size 48
		.amdhsa_kernarg_size 352
		.amdhsa_user_sgpr_count 8
		.amdhsa_user_sgpr_private_segment_buffer 1
		.amdhsa_user_sgpr_dispatch_ptr 0
		.amdhsa_user_sgpr_queue_ptr 0
		.amdhsa_user_sgpr_kernarg_segment_ptr 1
		.amdhsa_user_sgpr_dispatch_id 0
		.amdhsa_user_sgpr_flat_scratch_init 1
		.amdhsa_user_sgpr_private_segment_size 0
		.amdhsa_uses_dynamic_stack 0
		.amdhsa_system_sgpr_private_segment_wavefront_offset 1
		.amdhsa_system_sgpr_workgroup_id_x 1
		.amdhsa_system_sgpr_workgroup_id_y 0
		.amdhsa_system_sgpr_workgroup_id_z 1
		.amdhsa_system_sgpr_workgroup_info 0
		.amdhsa_system_vgpr_workitem_id 1
		.amdhsa_next_free_vgpr 49
		.amdhsa_next_free_sgpr 100
		.amdhsa_reserve_vcc 1
		.amdhsa_reserve_flat_scratch 1
		.amdhsa_float_round_mode_32 0
		.amdhsa_float_round_mode_16_64 0
		.amdhsa_float_denorm_mode_32 3
		.amdhsa_float_denorm_mode_16_64 3
		.amdhsa_dx10_clamp 1
		.amdhsa_ieee_mode 1
		.amdhsa_fp16_overflow 0
		.amdhsa_exception_fp_ieee_invalid_op 0
		.amdhsa_exception_fp_denorm_src 0
		.amdhsa_exception_fp_ieee_div_zero 0
		.amdhsa_exception_fp_ieee_overflow 0
		.amdhsa_exception_fp_ieee_underflow 0
		.amdhsa_exception_fp_ieee_inexact 0
		.amdhsa_exception_int_div_zero 0
	.end_amdhsa_kernel
	.section	.text._ZL19rocblas_trsv_deviceILi64ELi16ELb0ELb0ELb0ELb0E19rocblas_complex_numIfEPKS1_PKS3_PKPS1_EviT7_lllT6_T8_lllPii,"axG",@progbits,_ZL19rocblas_trsv_deviceILi64ELi16ELb0ELb0ELb0ELb0E19rocblas_complex_numIfEPKS1_PKS3_PKPS1_EviT7_lllT6_T8_lllPii,comdat
.Lfunc_end148:
	.size	_ZL19rocblas_trsv_deviceILi64ELi16ELb0ELb0ELb0ELb0E19rocblas_complex_numIfEPKS1_PKS3_PKPS1_EviT7_lllT6_T8_lllPii, .Lfunc_end148-_ZL19rocblas_trsv_deviceILi64ELi16ELb0ELb0ELb0ELb0E19rocblas_complex_numIfEPKS1_PKS3_PKPS1_EviT7_lllT6_T8_lllPii
                                        ; -- End function
	.set _ZL19rocblas_trsv_deviceILi64ELi16ELb0ELb0ELb0ELb0E19rocblas_complex_numIfEPKS1_PKS3_PKPS1_EviT7_lllT6_T8_lllPii.num_vgpr, 31
	.set _ZL19rocblas_trsv_deviceILi64ELi16ELb0ELb0ELb0ELb0E19rocblas_complex_numIfEPKS1_PKS3_PKPS1_EviT7_lllT6_T8_lllPii.num_agpr, 0
	.set _ZL19rocblas_trsv_deviceILi64ELi16ELb0ELb0ELb0ELb0E19rocblas_complex_numIfEPKS1_PKS3_PKPS1_EviT7_lllT6_T8_lllPii.numbered_sgpr, 100
	.set _ZL19rocblas_trsv_deviceILi64ELi16ELb0ELb0ELb0ELb0E19rocblas_complex_numIfEPKS1_PKS3_PKPS1_EviT7_lllT6_T8_lllPii.num_named_barrier, 0
	.set _ZL19rocblas_trsv_deviceILi64ELi16ELb0ELb0ELb0ELb0E19rocblas_complex_numIfEPKS1_PKS3_PKPS1_EviT7_lllT6_T8_lllPii.private_seg_size, 48
	.set _ZL19rocblas_trsv_deviceILi64ELi16ELb0ELb0ELb0ELb0E19rocblas_complex_numIfEPKS1_PKS3_PKPS1_EviT7_lllT6_T8_lllPii.uses_vcc, 1
	.set _ZL19rocblas_trsv_deviceILi64ELi16ELb0ELb0ELb0ELb0E19rocblas_complex_numIfEPKS1_PKS3_PKPS1_EviT7_lllT6_T8_lllPii.uses_flat_scratch, 1
	.set _ZL19rocblas_trsv_deviceILi64ELi16ELb0ELb0ELb0ELb0E19rocblas_complex_numIfEPKS1_PKS3_PKPS1_EviT7_lllT6_T8_lllPii.has_dyn_sized_stack, 0
	.set _ZL19rocblas_trsv_deviceILi64ELi16ELb0ELb0ELb0ELb0E19rocblas_complex_numIfEPKS1_PKS3_PKPS1_EviT7_lllT6_T8_lllPii.has_recursion, 0
	.set _ZL19rocblas_trsv_deviceILi64ELi16ELb0ELb0ELb0ELb0E19rocblas_complex_numIfEPKS1_PKS3_PKPS1_EviT7_lllT6_T8_lllPii.has_indirect_call, 0
	.section	.AMDGPU.csdata,"",@progbits
; Kernel info:
; codeLenInByte = 45628
; TotalNumSgprs: 106
; NumVgprs: 31
; ScratchSize: 48
; MemoryBound: 1
; FloatMode: 240
; IeeeMode: 1
; LDSByteSize: 41480 bytes/workgroup (compile time only)
; SGPRBlocks: 13
; VGPRBlocks: 12
; NumSGPRsForWavesPerEU: 106
; NumVGPRsForWavesPerEU: 49
; Occupancy: 4
; WaveLimiterHint : 1
; COMPUTE_PGM_RSRC2:SCRATCH_EN: 1
; COMPUTE_PGM_RSRC2:USER_SGPR: 8
; COMPUTE_PGM_RSRC2:TRAP_HANDLER: 0
; COMPUTE_PGM_RSRC2:TGID_X_EN: 1
; COMPUTE_PGM_RSRC2:TGID_Y_EN: 0
; COMPUTE_PGM_RSRC2:TGID_Z_EN: 1
; COMPUTE_PGM_RSRC2:TIDIG_COMP_CNT: 1
	.section	.text._ZL19rocblas_trsv_deviceILi64ELi16ELb0ELb1ELb0ELb0E19rocblas_complex_numIfEPKS1_PKS3_PKPS1_EviT7_lllT6_T8_lllPii,"axG",@progbits,_ZL19rocblas_trsv_deviceILi64ELi16ELb0ELb1ELb0ELb0E19rocblas_complex_numIfEPKS1_PKS3_PKPS1_EviT7_lllT6_T8_lllPii,comdat
	.globl	_ZL19rocblas_trsv_deviceILi64ELi16ELb0ELb1ELb0ELb0E19rocblas_complex_numIfEPKS1_PKS3_PKPS1_EviT7_lllT6_T8_lllPii ; -- Begin function _ZL19rocblas_trsv_deviceILi64ELi16ELb0ELb1ELb0ELb0E19rocblas_complex_numIfEPKS1_PKS3_PKPS1_EviT7_lllT6_T8_lllPii
	.p2align	8
	.type	_ZL19rocblas_trsv_deviceILi64ELi16ELb0ELb1ELb0ELb0E19rocblas_complex_numIfEPKS1_PKS3_PKPS1_EviT7_lllT6_T8_lllPii,@function
_ZL19rocblas_trsv_deviceILi64ELi16ELb0ELb1ELb0ELb0E19rocblas_complex_numIfEPKS1_PKS3_PKPS1_EviT7_lllT6_T8_lllPii: ; @_ZL19rocblas_trsv_deviceILi64ELi16ELb0ELb1ELb0ELb0E19rocblas_complex_numIfEPKS1_PKS3_PKPS1_EviT7_lllT6_T8_lllPii
; %bb.0:
	s_load_dwordx4 s[12:15], s[4:5], 0x8
	s_add_u32 flat_scratch_lo, s6, s10
	s_addc_u32 flat_scratch_hi, s7, 0
	s_add_u32 s0, s0, s10
	s_mov_b32 s34, s9
	s_mov_b32 s35, 0
	s_addc_u32 s1, s1, 0
	s_lshl_b64 s[6:7], s[34:35], 3
	s_waitcnt lgkmcnt(0)
	s_add_u32 s10, s12, s6
	s_addc_u32 s11, s13, s7
	s_load_dwordx2 s[12:13], s[10:11], 0x0
	s_load_dword s9, s[4:5], 0x0
	s_load_dwordx8 s[24:31], s[4:5], 0x28
	s_load_dwordx2 s[36:37], s[4:5], 0x18
	s_lshl_b64 s[10:11], s[14:15], 3
	s_waitcnt lgkmcnt(0)
	s_add_u32 s93, s12, s10
	s_addc_u32 s94, s13, s11
	s_add_u32 s6, s26, s6
	s_addc_u32 s7, s27, s7
	s_load_dwordx2 s[50:51], s[6:7], 0x0
	s_load_dwordx2 s[38:39], s[24:25], 0x0
	s_load_dword s95, s[4:5], 0x6c
	v_mov_b32_e32 v2, v1
	s_cmp_eq_u32 s8, 0
	s_mov_b32 s33, s35
	s_cbranch_scc1 .LBB149_18
; %bb.1:
	s_lshl_b32 s33, s8, 6
	v_add_u32_e32 v1, s33, v0
	v_ashrrev_i32_e32 v3, 31, v1
	v_mul_lo_u32 v7, s36, v3
	v_mul_lo_u32 v8, s37, v1
	v_mad_u64_u32 v[3:4], s[6:7], s36, v1, 0
	v_add_u32_e32 v5, s33, v2
	v_subrev_u32_e32 v5, 64, v5
	v_add3_u32 v4, v4, v7, v8
	v_lshlrev_b64 v[3:4], 3, v[3:4]
	v_ashrrev_i32_e32 v6, 31, v5
	v_mov_b32_e32 v7, s94
	v_add_co_u32_e64 v8, s[6:7], s93, v3
	v_addc_co_u32_e64 v7, s[6:7], v7, v4, s[6:7]
	v_lshlrev_b64 v[3:4], 3, v[5:6]
	v_cmp_gt_i32_e32 vcc, s9, v1
	v_add_co_u32_e64 v3, s[6:7], v8, v3
	v_addc_co_u32_e64 v4, s[6:7], v7, v4, s[6:7]
	v_max_i32_e32 v1, v5, v1
	v_cmp_le_i32_e64 s[6:7], s9, v1
	s_waitcnt lgkmcnt(0)
	s_barrier
	s_and_saveexec_b64 s[10:11], s[6:7]
	s_xor_b64 s[6:7], exec, s[10:11]
	s_cbranch_execz .LBB149_3
; %bb.2:
	v_mov_b32_e32 v1, 0
	buffer_store_dword v1, off, s[0:3], 0
	buffer_store_dword v1, off, s[0:3], 0 offset:4
.LBB149_3:
	s_andn2_saveexec_b64 s[6:7], s[6:7]
	s_cbranch_execz .LBB149_5
; %bb.4:
	flat_load_dwordx2 v[6:7], v[3:4]
	s_waitcnt vmcnt(0) lgkmcnt(0)
	buffer_store_dword v7, off, s[0:3], 0 offset:4
	buffer_store_dword v6, off, s[0:3], 0
.LBB149_5:
	s_or_b64 exec, exec, s[6:7]
	v_add_u32_e32 v1, 16, v5
	v_cmp_le_i32_e64 s[6:7], s9, v1
	s_xor_b64 s[10:11], vcc, -1
	s_or_b64 s[6:7], s[6:7], s[10:11]
	s_waitcnt vmcnt(0)
	s_barrier
	s_and_saveexec_b64 s[12:13], s[6:7]
	s_xor_b64 s[6:7], exec, s[12:13]
	s_cbranch_execz .LBB149_7
; %bb.6:
	v_mov_b32_e32 v1, 0
	buffer_store_dword v1, off, s[0:3], 0 offset:8
	buffer_store_dword v1, off, s[0:3], 0 offset:12
.LBB149_7:
	s_andn2_saveexec_b64 s[6:7], s[6:7]
	s_cbranch_execz .LBB149_9
; %bb.8:
	flat_load_dwordx2 v[6:7], v[3:4] offset:128
	s_waitcnt vmcnt(0) lgkmcnt(0)
	buffer_store_dword v7, off, s[0:3], 0 offset:12
	buffer_store_dword v6, off, s[0:3], 0 offset:8
.LBB149_9:
	s_or_b64 exec, exec, s[6:7]
	v_add_u32_e32 v1, 32, v5
	v_cmp_le_i32_e32 vcc, s9, v1
	s_or_b64 s[6:7], vcc, s[10:11]
	s_waitcnt vmcnt(0)
	s_barrier
	s_and_saveexec_b64 s[12:13], s[6:7]
	s_xor_b64 s[6:7], exec, s[12:13]
	s_cbranch_execz .LBB149_11
; %bb.10:
	v_mov_b32_e32 v1, 0
	buffer_store_dword v1, off, s[0:3], 0 offset:16
	buffer_store_dword v1, off, s[0:3], 0 offset:20
.LBB149_11:
	s_andn2_saveexec_b64 s[6:7], s[6:7]
	s_cbranch_execz .LBB149_13
; %bb.12:
	flat_load_dwordx2 v[6:7], v[3:4] offset:256
	s_waitcnt vmcnt(0) lgkmcnt(0)
	buffer_store_dword v7, off, s[0:3], 0 offset:20
	buffer_store_dword v6, off, s[0:3], 0 offset:16
.LBB149_13:
	s_or_b64 exec, exec, s[6:7]
	v_add_u32_e32 v1, 48, v5
	v_cmp_le_i32_e32 vcc, s9, v1
	s_or_b64 s[6:7], vcc, s[10:11]
	s_waitcnt vmcnt(0)
	s_barrier
	s_and_saveexec_b64 s[10:11], s[6:7]
	s_xor_b64 s[6:7], exec, s[10:11]
	s_cbranch_execz .LBB149_15
; %bb.14:
	v_mov_b32_e32 v1, 0
	buffer_store_dword v1, off, s[0:3], 0 offset:24
	buffer_store_dword v1, off, s[0:3], 0 offset:28
                                        ; implicit-def: $vgpr3_vgpr4
.LBB149_15:
	s_andn2_saveexec_b64 s[6:7], s[6:7]
	s_cbranch_execz .LBB149_17
; %bb.16:
	flat_load_dwordx2 v[3:4], v[3:4] offset:384
	s_waitcnt vmcnt(0) lgkmcnt(0)
	buffer_store_dword v4, off, s[0:3], 0 offset:28
	buffer_store_dword v3, off, s[0:3], 0 offset:24
.LBB149_17:
	s_or_b64 exec, exec, s[6:7]
.LBB149_18:
	s_ashr_i32 s6, s9, 31
	s_lshr_b32 s6, s6, 26
	s_add_i32 s6, s9, s6
	s_andn2_b32 s6, s6, 63
	s_sub_i32 s92, s9, s6
	s_add_i32 s6, s9, -1
	s_ashr_i32 s7, s6, 31
	s_lshr_b32 s7, s7, 26
	s_add_i32 s6, s6, s7
	s_ashr_i32 s6, s6, 6
	s_cmp_eq_u32 s6, s8
	s_cselect_b64 s[6:7], -1, 0
	s_cmp_lg_u32 s92, 0
	s_cselect_b64 s[10:11], -1, 0
	s_and_b64 s[26:27], s[10:11], s[6:7]
	s_cmp_lt_i32 s8, 5
	s_cselect_b64 s[12:13], -1, 0
	s_or_b64 s[6:7], s[12:13], s[26:27]
	s_ashr_i32 s40, s33, 31
	s_add_u32 s14, s36, 1
	v_mov_b32_e32 v1, 0
	v_mov_b32_e32 v3, s33
	v_mad_u64_u32 v[3:4], s[10:11], s14, v3, v[0:1]
	s_addc_u32 s15, s37, 0
	s_mul_i32 s10, s14, s40
	s_mul_i32 s15, s15, s33
	v_lshlrev_b32_e32 v9, 6, v0
	s_add_i32 s10, s10, s15
	s_mov_b64 s[16:17], -1
	v_add_u32_e32 v4, s10, v4
	s_and_b64 vcc, exec, s[26:27]
	v_add_u32_e32 v10, v2, v9
	v_cmp_le_u32_e64 s[10:11], v2, v0
	v_lshl_add_u32 v1, v2, 6, v0
	s_cbranch_vccnz .LBB149_76
; %bb.19:
	v_mad_u64_u32 v[5:6], s[14:15], s36, v2, v[3:4]
	v_cndmask_b32_e64 v11, v1, v10, s[12:13]
	v_mad_u64_u32 v[6:7], s[14:15], s37, v2, v[6:7]
	s_and_saveexec_b64 s[12:13], s[10:11]
	s_xor_b64 s[10:11], exec, s[12:13]
	s_cbranch_execz .LBB149_31
; %bb.20:
	v_cmp_ne_u32_e32 vcc, v0, v2
	s_and_saveexec_b64 s[12:13], vcc
	s_xor_b64 s[12:13], exec, s[12:13]
	s_cbranch_execz .LBB149_24
; %bb.21:
	v_or_b32_e32 v5, v2, v0
	v_cmp_gt_u32_e32 vcc, 64, v5
	s_and_saveexec_b64 s[14:15], vcc
; %bb.22:
	v_mov_b32_e32 v5, 0
	v_lshlrev_b32_e32 v7, 3, v11
	v_mov_b32_e32 v6, v5
	ds_write_b64 v7, v[5:6]
; %bb.23:
	s_or_b64 exec, exec, s[14:15]
                                        ; implicit-def: $vgpr11
                                        ; implicit-def: $vgpr5_vgpr6
.LBB149_24:
	s_andn2_saveexec_b64 s[12:13], s[12:13]
	s_cbranch_execz .LBB149_30
; %bb.25:
	v_lshlrev_b64 v[5:6], 3, v[5:6]
	v_mov_b32_e32 v7, s94
	v_add_co_u32_e32 v5, vcc, s93, v5
	v_addc_co_u32_e32 v6, vcc, v7, v6, vcc
	flat_load_dwordx2 v[5:6], v[5:6]
                                        ; implicit-def: $vgpr7
	s_waitcnt vmcnt(0) lgkmcnt(0)
	v_cmp_ngt_f32_e64 s[14:15], |v5|, |v6|
	s_and_saveexec_b64 s[16:17], s[14:15]
	s_xor_b64 s[14:15], exec, s[16:17]
	s_cbranch_execz .LBB149_27
; %bb.26:
	v_div_scale_f32 v7, s[16:17], v6, v6, v5
	v_div_scale_f32 v8, vcc, v5, v6, v5
	v_rcp_f32_e32 v12, v7
	v_fma_f32 v13, -v7, v12, 1.0
	v_fmac_f32_e32 v12, v13, v12
	v_mul_f32_e32 v13, v8, v12
	v_fma_f32 v14, -v7, v13, v8
	v_fmac_f32_e32 v13, v14, v12
	v_fma_f32 v7, -v7, v13, v8
	v_div_fmas_f32 v7, v7, v12, v13
	v_div_fixup_f32 v7, v7, v6, v5
	v_fmac_f32_e32 v6, v5, v7
	v_div_scale_f32 v5, s[16:17], v6, v6, 1.0
	v_div_scale_f32 v8, vcc, 1.0, v6, 1.0
	v_rcp_f32_e32 v12, v5
	v_fma_f32 v13, -v5, v12, 1.0
	v_fmac_f32_e32 v12, v13, v12
	v_mul_f32_e32 v13, v8, v12
	v_fma_f32 v14, -v5, v13, v8
	v_fmac_f32_e32 v13, v14, v12
	v_fma_f32 v5, -v5, v13, v8
	v_div_fmas_f32 v5, v5, v12, v13
	v_div_fixup_f32 v5, v5, v6, 1.0
	v_mul_f32_e32 v7, v7, v5
	v_xor_b32_e32 v8, 0x80000000, v5
                                        ; implicit-def: $vgpr5_vgpr6
.LBB149_27:
	s_andn2_saveexec_b64 s[14:15], s[14:15]
	s_cbranch_execz .LBB149_29
; %bb.28:
	v_div_scale_f32 v7, s[16:17], v5, v5, v6
	v_div_scale_f32 v8, vcc, v6, v5, v6
	v_rcp_f32_e32 v12, v7
	v_fma_f32 v13, -v7, v12, 1.0
	v_fmac_f32_e32 v12, v13, v12
	v_mul_f32_e32 v13, v8, v12
	v_fma_f32 v14, -v7, v13, v8
	v_fmac_f32_e32 v13, v14, v12
	v_fma_f32 v7, -v7, v13, v8
	v_div_fmas_f32 v7, v7, v12, v13
	v_div_fixup_f32 v8, v7, v5, v6
	v_fmac_f32_e32 v5, v6, v8
	v_div_scale_f32 v6, s[16:17], v5, v5, 1.0
	v_div_scale_f32 v7, vcc, 1.0, v5, 1.0
	v_rcp_f32_e32 v12, v6
	v_fma_f32 v13, -v6, v12, 1.0
	v_fmac_f32_e32 v12, v13, v12
	v_mul_f32_e32 v13, v7, v12
	v_fma_f32 v14, -v6, v13, v7
	v_fmac_f32_e32 v13, v14, v12
	v_fma_f32 v6, -v6, v13, v7
	v_div_fmas_f32 v6, v6, v12, v13
	v_div_fixup_f32 v7, v6, v5, 1.0
	v_mul_f32_e64 v8, v8, -v7
.LBB149_29:
	s_or_b64 exec, exec, s[14:15]
	v_lshlrev_b32_e32 v5, 3, v11
	ds_write_b64 v5, v[7:8]
.LBB149_30:
	s_or_b64 exec, exec, s[12:13]
                                        ; implicit-def: $vgpr5_vgpr6
                                        ; implicit-def: $vgpr11
.LBB149_31:
	s_andn2_saveexec_b64 s[10:11], s[10:11]
	s_cbranch_execz .LBB149_33
; %bb.32:
	v_lshlrev_b64 v[5:6], 3, v[5:6]
	v_mov_b32_e32 v7, s94
	v_add_co_u32_e32 v5, vcc, s93, v5
	v_addc_co_u32_e32 v6, vcc, v7, v6, vcc
	flat_load_dwordx2 v[5:6], v[5:6]
	v_lshlrev_b32_e32 v7, 3, v11
	s_waitcnt vmcnt(0) lgkmcnt(0)
	v_xor_b32_e32 v5, 0x80000000, v5
	v_xor_b32_e32 v6, 0x80000000, v6
	ds_write_b64 v7, v[5:6]
.LBB149_33:
	s_or_b64 exec, exec, s[10:11]
	v_add_u32_e32 v7, 16, v2
	v_mad_u64_u32 v[5:6], s[10:11], s36, v7, v[3:4]
	v_lshl_add_u32 v8, v7, 6, v0
	v_cmp_le_u32_e32 vcc, v7, v0
	v_mad_u64_u32 v[12:13], s[10:11], s37, v7, v[6:7]
	v_add_u32_e32 v6, v7, v9
	v_cndmask_b32_e64 v11, v8, v6, s[6:7]
	v_mov_b32_e32 v6, v12
	s_and_saveexec_b64 s[10:11], vcc
	s_xor_b64 s[10:11], exec, s[10:11]
	s_cbranch_execz .LBB149_45
; %bb.34:
	v_cmp_ne_u32_e32 vcc, v0, v7
	s_and_saveexec_b64 s[12:13], vcc
	s_xor_b64 s[12:13], exec, s[12:13]
	s_cbranch_execz .LBB149_38
; %bb.35:
	v_or_b32_e32 v5, v7, v0
	v_cmp_gt_u32_e32 vcc, 64, v5
	s_and_saveexec_b64 s[14:15], vcc
; %bb.36:
	v_mov_b32_e32 v5, 0
	v_lshlrev_b32_e32 v7, 3, v11
	v_mov_b32_e32 v6, v5
	ds_write_b64 v7, v[5:6]
; %bb.37:
	s_or_b64 exec, exec, s[14:15]
                                        ; implicit-def: $vgpr11
                                        ; implicit-def: $vgpr5_vgpr6
.LBB149_38:
	s_andn2_saveexec_b64 s[12:13], s[12:13]
	s_cbranch_execz .LBB149_44
; %bb.39:
	v_lshlrev_b64 v[5:6], 3, v[5:6]
	v_mov_b32_e32 v7, s94
	v_add_co_u32_e32 v5, vcc, s93, v5
	v_addc_co_u32_e32 v6, vcc, v7, v6, vcc
	flat_load_dwordx2 v[5:6], v[5:6]
                                        ; implicit-def: $vgpr7
	s_waitcnt vmcnt(0) lgkmcnt(0)
	v_cmp_ngt_f32_e64 s[14:15], |v5|, |v6|
	s_and_saveexec_b64 s[16:17], s[14:15]
	s_xor_b64 s[14:15], exec, s[16:17]
	s_cbranch_execz .LBB149_41
; %bb.40:
	v_div_scale_f32 v7, s[16:17], v6, v6, v5
	v_div_scale_f32 v8, vcc, v5, v6, v5
	v_rcp_f32_e32 v12, v7
	v_fma_f32 v13, -v7, v12, 1.0
	v_fmac_f32_e32 v12, v13, v12
	v_mul_f32_e32 v13, v8, v12
	v_fma_f32 v14, -v7, v13, v8
	v_fmac_f32_e32 v13, v14, v12
	v_fma_f32 v7, -v7, v13, v8
	v_div_fmas_f32 v7, v7, v12, v13
	v_div_fixup_f32 v7, v7, v6, v5
	v_fmac_f32_e32 v6, v5, v7
	v_div_scale_f32 v5, s[16:17], v6, v6, 1.0
	v_div_scale_f32 v8, vcc, 1.0, v6, 1.0
	v_rcp_f32_e32 v12, v5
	v_fma_f32 v13, -v5, v12, 1.0
	v_fmac_f32_e32 v12, v13, v12
	v_mul_f32_e32 v13, v8, v12
	v_fma_f32 v14, -v5, v13, v8
	v_fmac_f32_e32 v13, v14, v12
	v_fma_f32 v5, -v5, v13, v8
	v_div_fmas_f32 v5, v5, v12, v13
	v_div_fixup_f32 v5, v5, v6, 1.0
	v_mul_f32_e32 v7, v7, v5
	v_xor_b32_e32 v8, 0x80000000, v5
                                        ; implicit-def: $vgpr5_vgpr6
.LBB149_41:
	s_andn2_saveexec_b64 s[14:15], s[14:15]
	s_cbranch_execz .LBB149_43
; %bb.42:
	v_div_scale_f32 v7, s[16:17], v5, v5, v6
	v_div_scale_f32 v8, vcc, v6, v5, v6
	v_rcp_f32_e32 v12, v7
	v_fma_f32 v13, -v7, v12, 1.0
	v_fmac_f32_e32 v12, v13, v12
	v_mul_f32_e32 v13, v8, v12
	v_fma_f32 v14, -v7, v13, v8
	v_fmac_f32_e32 v13, v14, v12
	v_fma_f32 v7, -v7, v13, v8
	v_div_fmas_f32 v7, v7, v12, v13
	v_div_fixup_f32 v8, v7, v5, v6
	v_fmac_f32_e32 v5, v6, v8
	v_div_scale_f32 v6, s[16:17], v5, v5, 1.0
	v_div_scale_f32 v7, vcc, 1.0, v5, 1.0
	v_rcp_f32_e32 v12, v6
	v_fma_f32 v13, -v6, v12, 1.0
	v_fmac_f32_e32 v12, v13, v12
	v_mul_f32_e32 v13, v7, v12
	v_fma_f32 v14, -v6, v13, v7
	v_fmac_f32_e32 v13, v14, v12
	v_fma_f32 v6, -v6, v13, v7
	v_div_fmas_f32 v6, v6, v12, v13
	v_div_fixup_f32 v7, v6, v5, 1.0
	v_mul_f32_e64 v8, v8, -v7
.LBB149_43:
	s_or_b64 exec, exec, s[14:15]
	v_lshlrev_b32_e32 v5, 3, v11
	ds_write_b64 v5, v[7:8]
.LBB149_44:
	s_or_b64 exec, exec, s[12:13]
                                        ; implicit-def: $vgpr5_vgpr6
                                        ; implicit-def: $vgpr11
.LBB149_45:
	s_andn2_saveexec_b64 s[10:11], s[10:11]
	s_cbranch_execz .LBB149_47
; %bb.46:
	v_lshlrev_b64 v[5:6], 3, v[5:6]
	v_mov_b32_e32 v7, s94
	v_add_co_u32_e32 v5, vcc, s93, v5
	v_addc_co_u32_e32 v6, vcc, v7, v6, vcc
	flat_load_dwordx2 v[5:6], v[5:6]
	v_lshlrev_b32_e32 v7, 3, v11
	s_waitcnt vmcnt(0) lgkmcnt(0)
	v_xor_b32_e32 v5, 0x80000000, v5
	v_xor_b32_e32 v6, 0x80000000, v6
	ds_write_b64 v7, v[5:6]
.LBB149_47:
	s_or_b64 exec, exec, s[10:11]
	v_add_u32_e32 v7, 32, v2
	v_mad_u64_u32 v[5:6], s[10:11], s36, v7, v[3:4]
	v_lshl_add_u32 v8, v7, 6, v0
	v_cmp_le_u32_e32 vcc, v7, v0
	v_mad_u64_u32 v[12:13], s[10:11], s37, v7, v[6:7]
	v_add_u32_e32 v6, v7, v9
	v_cndmask_b32_e64 v11, v8, v6, s[6:7]
	v_mov_b32_e32 v6, v12
	s_and_saveexec_b64 s[10:11], vcc
	s_xor_b64 s[10:11], exec, s[10:11]
	s_cbranch_execz .LBB149_59
; %bb.48:
	v_cmp_ne_u32_e32 vcc, v0, v7
	s_and_saveexec_b64 s[12:13], vcc
	s_xor_b64 s[12:13], exec, s[12:13]
	s_cbranch_execz .LBB149_52
; %bb.49:
	v_or_b32_e32 v5, v7, v0
	v_cmp_gt_u32_e32 vcc, 64, v5
	s_and_saveexec_b64 s[14:15], vcc
; %bb.50:
	v_mov_b32_e32 v5, 0
	v_lshlrev_b32_e32 v7, 3, v11
	v_mov_b32_e32 v6, v5
	ds_write_b64 v7, v[5:6]
; %bb.51:
	s_or_b64 exec, exec, s[14:15]
                                        ; implicit-def: $vgpr11
                                        ; implicit-def: $vgpr5_vgpr6
.LBB149_52:
	s_andn2_saveexec_b64 s[12:13], s[12:13]
	s_cbranch_execz .LBB149_58
; %bb.53:
	v_lshlrev_b64 v[5:6], 3, v[5:6]
	v_mov_b32_e32 v7, s94
	v_add_co_u32_e32 v5, vcc, s93, v5
	v_addc_co_u32_e32 v6, vcc, v7, v6, vcc
	flat_load_dwordx2 v[5:6], v[5:6]
                                        ; implicit-def: $vgpr7
	s_waitcnt vmcnt(0) lgkmcnt(0)
	v_cmp_ngt_f32_e64 s[14:15], |v5|, |v6|
	s_and_saveexec_b64 s[16:17], s[14:15]
	s_xor_b64 s[14:15], exec, s[16:17]
	s_cbranch_execz .LBB149_55
; %bb.54:
	v_div_scale_f32 v7, s[16:17], v6, v6, v5
	v_div_scale_f32 v8, vcc, v5, v6, v5
	v_rcp_f32_e32 v12, v7
	v_fma_f32 v13, -v7, v12, 1.0
	v_fmac_f32_e32 v12, v13, v12
	v_mul_f32_e32 v13, v8, v12
	v_fma_f32 v14, -v7, v13, v8
	v_fmac_f32_e32 v13, v14, v12
	v_fma_f32 v7, -v7, v13, v8
	v_div_fmas_f32 v7, v7, v12, v13
	v_div_fixup_f32 v7, v7, v6, v5
	v_fmac_f32_e32 v6, v5, v7
	v_div_scale_f32 v5, s[16:17], v6, v6, 1.0
	v_div_scale_f32 v8, vcc, 1.0, v6, 1.0
	v_rcp_f32_e32 v12, v5
	v_fma_f32 v13, -v5, v12, 1.0
	v_fmac_f32_e32 v12, v13, v12
	v_mul_f32_e32 v13, v8, v12
	v_fma_f32 v14, -v5, v13, v8
	v_fmac_f32_e32 v13, v14, v12
	v_fma_f32 v5, -v5, v13, v8
	v_div_fmas_f32 v5, v5, v12, v13
	v_div_fixup_f32 v5, v5, v6, 1.0
	v_mul_f32_e32 v7, v7, v5
	v_xor_b32_e32 v8, 0x80000000, v5
                                        ; implicit-def: $vgpr5_vgpr6
.LBB149_55:
	s_andn2_saveexec_b64 s[14:15], s[14:15]
	s_cbranch_execz .LBB149_57
; %bb.56:
	v_div_scale_f32 v7, s[16:17], v5, v5, v6
	v_div_scale_f32 v8, vcc, v6, v5, v6
	v_rcp_f32_e32 v12, v7
	v_fma_f32 v13, -v7, v12, 1.0
	v_fmac_f32_e32 v12, v13, v12
	v_mul_f32_e32 v13, v8, v12
	v_fma_f32 v14, -v7, v13, v8
	v_fmac_f32_e32 v13, v14, v12
	v_fma_f32 v7, -v7, v13, v8
	v_div_fmas_f32 v7, v7, v12, v13
	v_div_fixup_f32 v8, v7, v5, v6
	v_fmac_f32_e32 v5, v6, v8
	v_div_scale_f32 v6, s[16:17], v5, v5, 1.0
	v_div_scale_f32 v7, vcc, 1.0, v5, 1.0
	v_rcp_f32_e32 v12, v6
	v_fma_f32 v13, -v6, v12, 1.0
	v_fmac_f32_e32 v12, v13, v12
	v_mul_f32_e32 v13, v7, v12
	v_fma_f32 v14, -v6, v13, v7
	v_fmac_f32_e32 v13, v14, v12
	v_fma_f32 v6, -v6, v13, v7
	v_div_fmas_f32 v6, v6, v12, v13
	v_div_fixup_f32 v7, v6, v5, 1.0
	v_mul_f32_e64 v8, v8, -v7
.LBB149_57:
	s_or_b64 exec, exec, s[14:15]
	v_lshlrev_b32_e32 v5, 3, v11
	ds_write_b64 v5, v[7:8]
.LBB149_58:
	s_or_b64 exec, exec, s[12:13]
                                        ; implicit-def: $vgpr5_vgpr6
                                        ; implicit-def: $vgpr11
.LBB149_59:
	s_andn2_saveexec_b64 s[10:11], s[10:11]
	s_cbranch_execz .LBB149_61
; %bb.60:
	v_lshlrev_b64 v[5:6], 3, v[5:6]
	v_mov_b32_e32 v7, s94
	v_add_co_u32_e32 v5, vcc, s93, v5
	v_addc_co_u32_e32 v6, vcc, v7, v6, vcc
	flat_load_dwordx2 v[5:6], v[5:6]
	v_lshlrev_b32_e32 v7, 3, v11
	s_waitcnt vmcnt(0) lgkmcnt(0)
	v_xor_b32_e32 v5, 0x80000000, v5
	v_xor_b32_e32 v6, 0x80000000, v6
	ds_write_b64 v7, v[5:6]
.LBB149_61:
	s_or_b64 exec, exec, s[10:11]
	v_add_u32_e32 v7, 48, v2
	v_mad_u64_u32 v[5:6], s[10:11], s36, v7, v[3:4]
	v_lshl_add_u32 v8, v7, 6, v0
	v_cmp_le_u32_e32 vcc, v7, v0
	v_mad_u64_u32 v[12:13], s[10:11], s37, v7, v[6:7]
	v_add_u32_e32 v6, v7, v9
	v_cndmask_b32_e64 v11, v8, v6, s[6:7]
	v_mov_b32_e32 v6, v12
	s_and_saveexec_b64 s[10:11], vcc
	s_xor_b64 s[10:11], exec, s[10:11]
	s_cbranch_execz .LBB149_73
; %bb.62:
	v_cmp_ne_u32_e32 vcc, v0, v7
	s_and_saveexec_b64 s[12:13], vcc
	s_xor_b64 s[12:13], exec, s[12:13]
	s_cbranch_execz .LBB149_66
; %bb.63:
	v_or_b32_e32 v5, v7, v0
	v_cmp_gt_u32_e32 vcc, 64, v5
	s_and_saveexec_b64 s[14:15], vcc
; %bb.64:
	v_mov_b32_e32 v5, 0
	v_lshlrev_b32_e32 v7, 3, v11
	v_mov_b32_e32 v6, v5
	ds_write_b64 v7, v[5:6]
; %bb.65:
	s_or_b64 exec, exec, s[14:15]
                                        ; implicit-def: $vgpr11
                                        ; implicit-def: $vgpr5_vgpr6
.LBB149_66:
	s_andn2_saveexec_b64 s[12:13], s[12:13]
	s_cbranch_execz .LBB149_72
; %bb.67:
	v_lshlrev_b64 v[5:6], 3, v[5:6]
	v_mov_b32_e32 v7, s94
	v_add_co_u32_e32 v5, vcc, s93, v5
	v_addc_co_u32_e32 v6, vcc, v7, v6, vcc
	flat_load_dwordx2 v[5:6], v[5:6]
                                        ; implicit-def: $vgpr7
	s_waitcnt vmcnt(0) lgkmcnt(0)
	v_cmp_ngt_f32_e64 s[14:15], |v5|, |v6|
	s_and_saveexec_b64 s[16:17], s[14:15]
	s_xor_b64 s[14:15], exec, s[16:17]
	s_cbranch_execz .LBB149_69
; %bb.68:
	v_div_scale_f32 v7, s[16:17], v6, v6, v5
	v_div_scale_f32 v8, vcc, v5, v6, v5
	v_rcp_f32_e32 v12, v7
	v_fma_f32 v13, -v7, v12, 1.0
	v_fmac_f32_e32 v12, v13, v12
	v_mul_f32_e32 v13, v8, v12
	v_fma_f32 v14, -v7, v13, v8
	v_fmac_f32_e32 v13, v14, v12
	v_fma_f32 v7, -v7, v13, v8
	v_div_fmas_f32 v7, v7, v12, v13
	v_div_fixup_f32 v7, v7, v6, v5
	v_fmac_f32_e32 v6, v5, v7
	v_div_scale_f32 v5, s[16:17], v6, v6, 1.0
	v_div_scale_f32 v8, vcc, 1.0, v6, 1.0
	v_rcp_f32_e32 v12, v5
	v_fma_f32 v13, -v5, v12, 1.0
	v_fmac_f32_e32 v12, v13, v12
	v_mul_f32_e32 v13, v8, v12
	v_fma_f32 v14, -v5, v13, v8
	v_fmac_f32_e32 v13, v14, v12
	v_fma_f32 v5, -v5, v13, v8
	v_div_fmas_f32 v5, v5, v12, v13
	v_div_fixup_f32 v5, v5, v6, 1.0
	v_mul_f32_e32 v7, v7, v5
	v_xor_b32_e32 v8, 0x80000000, v5
                                        ; implicit-def: $vgpr5_vgpr6
.LBB149_69:
	s_andn2_saveexec_b64 s[14:15], s[14:15]
	s_cbranch_execz .LBB149_71
; %bb.70:
	v_div_scale_f32 v7, s[16:17], v5, v5, v6
	v_div_scale_f32 v8, vcc, v6, v5, v6
	v_rcp_f32_e32 v12, v7
	v_fma_f32 v13, -v7, v12, 1.0
	v_fmac_f32_e32 v12, v13, v12
	v_mul_f32_e32 v13, v8, v12
	v_fma_f32 v14, -v7, v13, v8
	v_fmac_f32_e32 v13, v14, v12
	v_fma_f32 v7, -v7, v13, v8
	v_div_fmas_f32 v7, v7, v12, v13
	v_div_fixup_f32 v8, v7, v5, v6
	v_fmac_f32_e32 v5, v6, v8
	v_div_scale_f32 v6, s[16:17], v5, v5, 1.0
	v_div_scale_f32 v7, vcc, 1.0, v5, 1.0
	v_rcp_f32_e32 v12, v6
	v_fma_f32 v13, -v6, v12, 1.0
	v_fmac_f32_e32 v12, v13, v12
	v_mul_f32_e32 v13, v7, v12
	v_fma_f32 v14, -v6, v13, v7
	v_fmac_f32_e32 v13, v14, v12
	v_fma_f32 v6, -v6, v13, v7
	v_div_fmas_f32 v6, v6, v12, v13
	v_div_fixup_f32 v7, v6, v5, 1.0
	v_mul_f32_e64 v8, v8, -v7
.LBB149_71:
	s_or_b64 exec, exec, s[14:15]
	v_lshlrev_b32_e32 v5, 3, v11
	ds_write_b64 v5, v[7:8]
.LBB149_72:
	s_or_b64 exec, exec, s[12:13]
                                        ; implicit-def: $vgpr5_vgpr6
                                        ; implicit-def: $vgpr11
.LBB149_73:
	s_andn2_saveexec_b64 s[10:11], s[10:11]
	s_cbranch_execz .LBB149_75
; %bb.74:
	v_lshlrev_b64 v[5:6], 3, v[5:6]
	v_mov_b32_e32 v7, s94
	v_add_co_u32_e32 v5, vcc, s93, v5
	v_addc_co_u32_e32 v6, vcc, v7, v6, vcc
	flat_load_dwordx2 v[5:6], v[5:6]
	v_lshlrev_b32_e32 v7, 3, v11
	s_waitcnt vmcnt(0) lgkmcnt(0)
	v_xor_b32_e32 v5, 0x80000000, v5
	v_xor_b32_e32 v6, 0x80000000, v6
	ds_write_b64 v7, v[5:6]
.LBB149_75:
	s_or_b64 exec, exec, s[10:11]
	s_mov_b64 s[16:17], 0
.LBB149_76:
	s_xor_b64 s[14:15], s[6:7], -1
	s_and_b64 vcc, exec, s[16:17]
	s_cbranch_vccz .LBB149_134
; %bb.77:
	v_mad_u64_u32 v[5:6], s[10:11], s36, v2, v[3:4]
	v_cmp_le_u32_e32 vcc, v2, v0
	v_cmp_gt_i32_e64 s[10:11], s92, v0
	v_mad_u64_u32 v[6:7], s[12:13], s37, v2, v[6:7]
	v_max_i32_e32 v7, v2, v0
	v_cmp_le_i32_e64 s[12:13], s92, v7
	s_or_b64 s[12:13], s[12:13], vcc
	s_and_saveexec_b64 s[16:17], s[12:13]
	s_xor_b64 s[12:13], exec, s[16:17]
	s_cbranch_execz .LBB149_89
; %bb.78:
	v_cmp_ne_u32_e32 vcc, v0, v2
	s_xor_b64 s[16:17], s[10:11], -1
	s_or_b64 s[16:17], s[16:17], vcc
	s_and_saveexec_b64 s[18:19], s[16:17]
	s_xor_b64 s[16:17], exec, s[18:19]
	s_cbranch_execz .LBB149_82
; %bb.79:
	v_or_b32_e32 v5, v2, v0
	v_cmp_gt_u32_e32 vcc, 64, v5
	s_and_saveexec_b64 s[18:19], vcc
; %bb.80:
	v_mov_b32_e32 v5, 0
	v_lshlrev_b32_e32 v7, 3, v10
	v_mov_b32_e32 v6, v5
	ds_write_b64 v7, v[5:6]
; %bb.81:
	s_or_b64 exec, exec, s[18:19]
                                        ; implicit-def: $vgpr10
                                        ; implicit-def: $vgpr5_vgpr6
.LBB149_82:
	s_andn2_saveexec_b64 s[16:17], s[16:17]
	s_cbranch_execz .LBB149_88
; %bb.83:
	v_lshlrev_b64 v[5:6], 3, v[5:6]
	v_mov_b32_e32 v7, s94
	v_add_co_u32_e32 v5, vcc, s93, v5
	v_addc_co_u32_e32 v6, vcc, v7, v6, vcc
	flat_load_dwordx2 v[5:6], v[5:6]
                                        ; implicit-def: $vgpr7
	s_waitcnt vmcnt(0) lgkmcnt(0)
	v_cmp_ngt_f32_e64 s[18:19], |v5|, |v6|
	s_and_saveexec_b64 s[20:21], s[18:19]
	s_xor_b64 s[18:19], exec, s[20:21]
	s_cbranch_execz .LBB149_85
; %bb.84:
	v_div_scale_f32 v7, s[20:21], v6, v6, v5
	v_div_scale_f32 v8, vcc, v5, v6, v5
	v_rcp_f32_e32 v11, v7
	v_fma_f32 v12, -v7, v11, 1.0
	v_fmac_f32_e32 v11, v12, v11
	v_mul_f32_e32 v12, v8, v11
	v_fma_f32 v13, -v7, v12, v8
	v_fmac_f32_e32 v12, v13, v11
	v_fma_f32 v7, -v7, v12, v8
	v_div_fmas_f32 v7, v7, v11, v12
	v_div_fixup_f32 v7, v7, v6, v5
	v_fmac_f32_e32 v6, v5, v7
	v_div_scale_f32 v5, s[20:21], v6, v6, 1.0
	v_div_scale_f32 v8, vcc, 1.0, v6, 1.0
	v_rcp_f32_e32 v11, v5
	v_fma_f32 v12, -v5, v11, 1.0
	v_fmac_f32_e32 v11, v12, v11
	v_mul_f32_e32 v12, v8, v11
	v_fma_f32 v13, -v5, v12, v8
	v_fmac_f32_e32 v12, v13, v11
	v_fma_f32 v5, -v5, v12, v8
	v_div_fmas_f32 v5, v5, v11, v12
	v_div_fixup_f32 v5, v5, v6, 1.0
	v_mul_f32_e32 v7, v7, v5
	v_xor_b32_e32 v8, 0x80000000, v5
                                        ; implicit-def: $vgpr5_vgpr6
.LBB149_85:
	s_andn2_saveexec_b64 s[18:19], s[18:19]
	s_cbranch_execz .LBB149_87
; %bb.86:
	v_div_scale_f32 v7, s[20:21], v5, v5, v6
	v_div_scale_f32 v8, vcc, v6, v5, v6
	v_rcp_f32_e32 v11, v7
	v_fma_f32 v12, -v7, v11, 1.0
	v_fmac_f32_e32 v11, v12, v11
	v_mul_f32_e32 v12, v8, v11
	v_fma_f32 v13, -v7, v12, v8
	v_fmac_f32_e32 v12, v13, v11
	v_fma_f32 v7, -v7, v12, v8
	v_div_fmas_f32 v7, v7, v11, v12
	v_div_fixup_f32 v8, v7, v5, v6
	v_fmac_f32_e32 v5, v6, v8
	v_div_scale_f32 v6, s[20:21], v5, v5, 1.0
	v_div_scale_f32 v7, vcc, 1.0, v5, 1.0
	v_rcp_f32_e32 v11, v6
	v_fma_f32 v12, -v6, v11, 1.0
	v_fmac_f32_e32 v11, v12, v11
	v_mul_f32_e32 v12, v7, v11
	v_fma_f32 v13, -v6, v12, v7
	v_fmac_f32_e32 v12, v13, v11
	v_fma_f32 v6, -v6, v12, v7
	v_div_fmas_f32 v6, v6, v11, v12
	v_div_fixup_f32 v7, v6, v5, 1.0
	v_mul_f32_e64 v8, v8, -v7
.LBB149_87:
	s_or_b64 exec, exec, s[18:19]
	v_lshlrev_b32_e32 v5, 3, v10
	ds_write_b64 v5, v[7:8]
.LBB149_88:
	s_or_b64 exec, exec, s[16:17]
                                        ; implicit-def: $vgpr5_vgpr6
                                        ; implicit-def: $vgpr10
.LBB149_89:
	s_andn2_saveexec_b64 s[12:13], s[12:13]
	s_cbranch_execz .LBB149_91
; %bb.90:
	v_lshlrev_b64 v[5:6], 3, v[5:6]
	v_mov_b32_e32 v7, s94
	v_add_co_u32_e32 v5, vcc, s93, v5
	v_addc_co_u32_e32 v6, vcc, v7, v6, vcc
	flat_load_dwordx2 v[5:6], v[5:6]
	v_lshlrev_b32_e32 v7, 3, v10
	s_waitcnt vmcnt(0) lgkmcnt(0)
	v_xor_b32_e32 v5, 0x80000000, v5
	v_xor_b32_e32 v6, 0x80000000, v6
	ds_write_b64 v7, v[5:6]
.LBB149_91:
	s_or_b64 exec, exec, s[12:13]
	v_add_u32_e32 v7, 16, v2
	v_mad_u64_u32 v[5:6], s[12:13], s36, v7, v[3:4]
	v_cmp_gt_u32_e32 vcc, v7, v0
	v_add_u32_e32 v8, v7, v9
	v_mad_u64_u32 v[11:12], s[12:13], s37, v7, v[6:7]
	v_cmp_gt_i32_e64 s[12:13], s92, v7
	s_and_b64 s[12:13], vcc, s[12:13]
	v_lshl_add_u32 v6, v7, 6, v0
	s_and_b64 s[12:13], s[10:11], s[12:13]
	v_cndmask_b32_e64 v10, v6, v8, s[6:7]
	v_mov_b32_e32 v6, v11
	s_xor_b64 s[12:13], s[12:13], -1
	s_and_saveexec_b64 s[16:17], s[12:13]
	s_xor_b64 s[12:13], exec, s[16:17]
	s_cbranch_execz .LBB149_103
; %bb.92:
	v_cmp_ne_u32_e32 vcc, v0, v7
	s_xor_b64 s[16:17], s[10:11], -1
	s_or_b64 s[16:17], s[16:17], vcc
	s_and_saveexec_b64 s[18:19], s[16:17]
	s_xor_b64 s[16:17], exec, s[18:19]
	s_cbranch_execz .LBB149_96
; %bb.93:
	v_or_b32_e32 v5, v7, v0
	v_cmp_gt_u32_e32 vcc, 64, v5
	s_and_saveexec_b64 s[18:19], vcc
; %bb.94:
	v_mov_b32_e32 v5, 0
	v_lshlrev_b32_e32 v7, 3, v10
	v_mov_b32_e32 v6, v5
	ds_write_b64 v7, v[5:6]
; %bb.95:
	s_or_b64 exec, exec, s[18:19]
                                        ; implicit-def: $vgpr10
                                        ; implicit-def: $vgpr5_vgpr6
.LBB149_96:
	s_andn2_saveexec_b64 s[16:17], s[16:17]
	s_cbranch_execz .LBB149_102
; %bb.97:
	v_lshlrev_b64 v[5:6], 3, v[5:6]
	v_mov_b32_e32 v7, s94
	v_add_co_u32_e32 v5, vcc, s93, v5
	v_addc_co_u32_e32 v6, vcc, v7, v6, vcc
	flat_load_dwordx2 v[5:6], v[5:6]
                                        ; implicit-def: $vgpr7
	s_waitcnt vmcnt(0) lgkmcnt(0)
	v_cmp_ngt_f32_e64 s[18:19], |v5|, |v6|
	s_and_saveexec_b64 s[20:21], s[18:19]
	s_xor_b64 s[18:19], exec, s[20:21]
	s_cbranch_execz .LBB149_99
; %bb.98:
	v_div_scale_f32 v7, s[20:21], v6, v6, v5
	v_div_scale_f32 v8, vcc, v5, v6, v5
	v_rcp_f32_e32 v11, v7
	v_fma_f32 v12, -v7, v11, 1.0
	v_fmac_f32_e32 v11, v12, v11
	v_mul_f32_e32 v12, v8, v11
	v_fma_f32 v13, -v7, v12, v8
	v_fmac_f32_e32 v12, v13, v11
	v_fma_f32 v7, -v7, v12, v8
	v_div_fmas_f32 v7, v7, v11, v12
	v_div_fixup_f32 v7, v7, v6, v5
	v_fmac_f32_e32 v6, v5, v7
	v_div_scale_f32 v5, s[20:21], v6, v6, 1.0
	v_div_scale_f32 v8, vcc, 1.0, v6, 1.0
	v_rcp_f32_e32 v11, v5
	v_fma_f32 v12, -v5, v11, 1.0
	v_fmac_f32_e32 v11, v12, v11
	v_mul_f32_e32 v12, v8, v11
	v_fma_f32 v13, -v5, v12, v8
	v_fmac_f32_e32 v12, v13, v11
	v_fma_f32 v5, -v5, v12, v8
	v_div_fmas_f32 v5, v5, v11, v12
	v_div_fixup_f32 v5, v5, v6, 1.0
	v_mul_f32_e32 v7, v7, v5
	v_xor_b32_e32 v8, 0x80000000, v5
                                        ; implicit-def: $vgpr5_vgpr6
.LBB149_99:
	s_andn2_saveexec_b64 s[18:19], s[18:19]
	s_cbranch_execz .LBB149_101
; %bb.100:
	v_div_scale_f32 v7, s[20:21], v5, v5, v6
	v_div_scale_f32 v8, vcc, v6, v5, v6
	v_rcp_f32_e32 v11, v7
	v_fma_f32 v12, -v7, v11, 1.0
	v_fmac_f32_e32 v11, v12, v11
	v_mul_f32_e32 v12, v8, v11
	v_fma_f32 v13, -v7, v12, v8
	v_fmac_f32_e32 v12, v13, v11
	v_fma_f32 v7, -v7, v12, v8
	v_div_fmas_f32 v7, v7, v11, v12
	v_div_fixup_f32 v8, v7, v5, v6
	v_fmac_f32_e32 v5, v6, v8
	v_div_scale_f32 v6, s[20:21], v5, v5, 1.0
	v_div_scale_f32 v7, vcc, 1.0, v5, 1.0
	v_rcp_f32_e32 v11, v6
	v_fma_f32 v12, -v6, v11, 1.0
	v_fmac_f32_e32 v11, v12, v11
	v_mul_f32_e32 v12, v7, v11
	v_fma_f32 v13, -v6, v12, v7
	v_fmac_f32_e32 v12, v13, v11
	v_fma_f32 v6, -v6, v12, v7
	v_div_fmas_f32 v6, v6, v11, v12
	v_div_fixup_f32 v7, v6, v5, 1.0
	v_mul_f32_e64 v8, v8, -v7
.LBB149_101:
	s_or_b64 exec, exec, s[18:19]
	v_lshlrev_b32_e32 v5, 3, v10
	ds_write_b64 v5, v[7:8]
.LBB149_102:
	s_or_b64 exec, exec, s[16:17]
                                        ; implicit-def: $vgpr5_vgpr6
                                        ; implicit-def: $vgpr10
.LBB149_103:
	s_andn2_saveexec_b64 s[12:13], s[12:13]
	s_cbranch_execz .LBB149_105
; %bb.104:
	v_lshlrev_b64 v[5:6], 3, v[5:6]
	v_mov_b32_e32 v7, s94
	v_add_co_u32_e32 v5, vcc, s93, v5
	v_addc_co_u32_e32 v6, vcc, v7, v6, vcc
	flat_load_dwordx2 v[5:6], v[5:6]
	v_lshlrev_b32_e32 v7, 3, v10
	s_waitcnt vmcnt(0) lgkmcnt(0)
	v_xor_b32_e32 v5, 0x80000000, v5
	v_xor_b32_e32 v6, 0x80000000, v6
	ds_write_b64 v7, v[5:6]
.LBB149_105:
	s_or_b64 exec, exec, s[12:13]
	v_add_u32_e32 v7, 32, v2
	v_mad_u64_u32 v[5:6], s[12:13], s36, v7, v[3:4]
	v_cmp_gt_u32_e32 vcc, v7, v0
	v_add_u32_e32 v8, v7, v9
	v_mad_u64_u32 v[11:12], s[12:13], s37, v7, v[6:7]
	v_cmp_gt_i32_e64 s[12:13], s92, v7
	s_and_b64 s[12:13], vcc, s[12:13]
	v_lshl_add_u32 v6, v7, 6, v0
	s_and_b64 s[12:13], s[10:11], s[12:13]
	v_cndmask_b32_e64 v10, v6, v8, s[6:7]
	v_mov_b32_e32 v6, v11
	s_xor_b64 s[12:13], s[12:13], -1
	s_and_saveexec_b64 s[16:17], s[12:13]
	s_xor_b64 s[12:13], exec, s[16:17]
	s_cbranch_execz .LBB149_117
; %bb.106:
	v_cmp_ne_u32_e32 vcc, v0, v7
	s_xor_b64 s[16:17], s[10:11], -1
	s_or_b64 s[16:17], s[16:17], vcc
	s_and_saveexec_b64 s[18:19], s[16:17]
	s_xor_b64 s[16:17], exec, s[18:19]
	s_cbranch_execz .LBB149_110
; %bb.107:
	v_or_b32_e32 v5, v7, v0
	v_cmp_gt_u32_e32 vcc, 64, v5
	s_and_saveexec_b64 s[18:19], vcc
; %bb.108:
	v_mov_b32_e32 v5, 0
	v_lshlrev_b32_e32 v7, 3, v10
	v_mov_b32_e32 v6, v5
	ds_write_b64 v7, v[5:6]
; %bb.109:
	s_or_b64 exec, exec, s[18:19]
                                        ; implicit-def: $vgpr10
                                        ; implicit-def: $vgpr5_vgpr6
.LBB149_110:
	s_andn2_saveexec_b64 s[16:17], s[16:17]
	s_cbranch_execz .LBB149_116
; %bb.111:
	v_lshlrev_b64 v[5:6], 3, v[5:6]
	v_mov_b32_e32 v7, s94
	v_add_co_u32_e32 v5, vcc, s93, v5
	v_addc_co_u32_e32 v6, vcc, v7, v6, vcc
	flat_load_dwordx2 v[5:6], v[5:6]
                                        ; implicit-def: $vgpr7
	s_waitcnt vmcnt(0) lgkmcnt(0)
	v_cmp_ngt_f32_e64 s[18:19], |v5|, |v6|
	s_and_saveexec_b64 s[20:21], s[18:19]
	s_xor_b64 s[18:19], exec, s[20:21]
	s_cbranch_execz .LBB149_113
; %bb.112:
	v_div_scale_f32 v7, s[20:21], v6, v6, v5
	v_div_scale_f32 v8, vcc, v5, v6, v5
	v_rcp_f32_e32 v11, v7
	v_fma_f32 v12, -v7, v11, 1.0
	v_fmac_f32_e32 v11, v12, v11
	v_mul_f32_e32 v12, v8, v11
	v_fma_f32 v13, -v7, v12, v8
	v_fmac_f32_e32 v12, v13, v11
	v_fma_f32 v7, -v7, v12, v8
	v_div_fmas_f32 v7, v7, v11, v12
	v_div_fixup_f32 v7, v7, v6, v5
	v_fmac_f32_e32 v6, v5, v7
	v_div_scale_f32 v5, s[20:21], v6, v6, 1.0
	v_div_scale_f32 v8, vcc, 1.0, v6, 1.0
	v_rcp_f32_e32 v11, v5
	v_fma_f32 v12, -v5, v11, 1.0
	v_fmac_f32_e32 v11, v12, v11
	v_mul_f32_e32 v12, v8, v11
	v_fma_f32 v13, -v5, v12, v8
	v_fmac_f32_e32 v12, v13, v11
	v_fma_f32 v5, -v5, v12, v8
	v_div_fmas_f32 v5, v5, v11, v12
	v_div_fixup_f32 v5, v5, v6, 1.0
	v_mul_f32_e32 v7, v7, v5
	v_xor_b32_e32 v8, 0x80000000, v5
                                        ; implicit-def: $vgpr5_vgpr6
.LBB149_113:
	s_andn2_saveexec_b64 s[18:19], s[18:19]
	s_cbranch_execz .LBB149_115
; %bb.114:
	v_div_scale_f32 v7, s[20:21], v5, v5, v6
	v_div_scale_f32 v8, vcc, v6, v5, v6
	v_rcp_f32_e32 v11, v7
	v_fma_f32 v12, -v7, v11, 1.0
	v_fmac_f32_e32 v11, v12, v11
	v_mul_f32_e32 v12, v8, v11
	v_fma_f32 v13, -v7, v12, v8
	v_fmac_f32_e32 v12, v13, v11
	v_fma_f32 v7, -v7, v12, v8
	v_div_fmas_f32 v7, v7, v11, v12
	v_div_fixup_f32 v8, v7, v5, v6
	v_fmac_f32_e32 v5, v6, v8
	v_div_scale_f32 v6, s[20:21], v5, v5, 1.0
	v_div_scale_f32 v7, vcc, 1.0, v5, 1.0
	v_rcp_f32_e32 v11, v6
	v_fma_f32 v12, -v6, v11, 1.0
	v_fmac_f32_e32 v11, v12, v11
	v_mul_f32_e32 v12, v7, v11
	v_fma_f32 v13, -v6, v12, v7
	v_fmac_f32_e32 v12, v13, v11
	v_fma_f32 v6, -v6, v12, v7
	v_div_fmas_f32 v6, v6, v11, v12
	v_div_fixup_f32 v7, v6, v5, 1.0
	v_mul_f32_e64 v8, v8, -v7
.LBB149_115:
	s_or_b64 exec, exec, s[18:19]
	v_lshlrev_b32_e32 v5, 3, v10
	ds_write_b64 v5, v[7:8]
.LBB149_116:
	s_or_b64 exec, exec, s[16:17]
                                        ; implicit-def: $vgpr5_vgpr6
                                        ; implicit-def: $vgpr10
.LBB149_117:
	s_andn2_saveexec_b64 s[12:13], s[12:13]
	s_cbranch_execz .LBB149_119
; %bb.118:
	v_lshlrev_b64 v[5:6], 3, v[5:6]
	v_mov_b32_e32 v7, s94
	v_add_co_u32_e32 v5, vcc, s93, v5
	v_addc_co_u32_e32 v6, vcc, v7, v6, vcc
	flat_load_dwordx2 v[5:6], v[5:6]
	v_lshlrev_b32_e32 v7, 3, v10
	s_waitcnt vmcnt(0) lgkmcnt(0)
	v_xor_b32_e32 v5, 0x80000000, v5
	v_xor_b32_e32 v6, 0x80000000, v6
	ds_write_b64 v7, v[5:6]
.LBB149_119:
	s_or_b64 exec, exec, s[12:13]
	v_add_u32_e32 v5, 48, v2
	v_mad_u64_u32 v[3:4], s[12:13], s36, v5, v[3:4]
	v_add_u32_e32 v8, v5, v9
	v_cmp_gt_u32_e32 vcc, v5, v0
	v_mad_u64_u32 v[6:7], s[12:13], s37, v5, v[4:5]
	v_lshl_add_u32 v4, v5, 6, v0
	v_cndmask_b32_e64 v7, v4, v8, s[6:7]
	v_cmp_gt_i32_e64 s[6:7], s92, v5
	s_and_b64 s[6:7], vcc, s[6:7]
	s_and_b64 s[6:7], s[10:11], s[6:7]
	v_mov_b32_e32 v4, v6
	s_xor_b64 s[6:7], s[6:7], -1
	s_and_saveexec_b64 s[12:13], s[6:7]
	s_xor_b64 s[6:7], exec, s[12:13]
	s_cbranch_execz .LBB149_131
; %bb.120:
	v_cmp_ne_u32_e32 vcc, v0, v5
	s_xor_b64 s[10:11], s[10:11], -1
	s_or_b64 s[10:11], s[10:11], vcc
	s_and_saveexec_b64 s[12:13], s[10:11]
	s_xor_b64 s[10:11], exec, s[12:13]
	s_cbranch_execz .LBB149_124
; %bb.121:
	v_or_b32_e32 v3, v5, v0
	v_cmp_gt_u32_e32 vcc, 64, v3
	s_and_saveexec_b64 s[12:13], vcc
; %bb.122:
	v_mov_b32_e32 v3, 0
	v_lshlrev_b32_e32 v5, 3, v7
	v_mov_b32_e32 v4, v3
	ds_write_b64 v5, v[3:4]
; %bb.123:
	s_or_b64 exec, exec, s[12:13]
                                        ; implicit-def: $vgpr7
                                        ; implicit-def: $vgpr3_vgpr4
.LBB149_124:
	s_andn2_saveexec_b64 s[10:11], s[10:11]
	s_cbranch_execz .LBB149_130
; %bb.125:
	v_lshlrev_b64 v[3:4], 3, v[3:4]
	v_mov_b32_e32 v5, s94
	v_add_co_u32_e32 v3, vcc, s93, v3
	v_addc_co_u32_e32 v4, vcc, v5, v4, vcc
	flat_load_dwordx2 v[3:4], v[3:4]
                                        ; implicit-def: $vgpr5
	s_waitcnt vmcnt(0) lgkmcnt(0)
	v_cmp_ngt_f32_e64 s[12:13], |v3|, |v4|
	s_and_saveexec_b64 s[16:17], s[12:13]
	s_xor_b64 s[12:13], exec, s[16:17]
	s_cbranch_execz .LBB149_127
; %bb.126:
	v_div_scale_f32 v5, s[16:17], v4, v4, v3
	v_div_scale_f32 v6, vcc, v3, v4, v3
	v_rcp_f32_e32 v8, v5
	v_fma_f32 v9, -v5, v8, 1.0
	v_fmac_f32_e32 v8, v9, v8
	v_mul_f32_e32 v9, v6, v8
	v_fma_f32 v10, -v5, v9, v6
	v_fmac_f32_e32 v9, v10, v8
	v_fma_f32 v5, -v5, v9, v6
	v_div_fmas_f32 v5, v5, v8, v9
	v_div_fixup_f32 v5, v5, v4, v3
	v_fmac_f32_e32 v4, v3, v5
	v_div_scale_f32 v3, s[16:17], v4, v4, 1.0
	v_div_scale_f32 v6, vcc, 1.0, v4, 1.0
	v_rcp_f32_e32 v8, v3
	v_fma_f32 v9, -v3, v8, 1.0
	v_fmac_f32_e32 v8, v9, v8
	v_mul_f32_e32 v9, v6, v8
	v_fma_f32 v10, -v3, v9, v6
	v_fmac_f32_e32 v9, v10, v8
	v_fma_f32 v3, -v3, v9, v6
	v_div_fmas_f32 v3, v3, v8, v9
	v_div_fixup_f32 v3, v3, v4, 1.0
	v_mul_f32_e32 v5, v5, v3
	v_xor_b32_e32 v6, 0x80000000, v3
                                        ; implicit-def: $vgpr3_vgpr4
.LBB149_127:
	s_andn2_saveexec_b64 s[12:13], s[12:13]
	s_cbranch_execz .LBB149_129
; %bb.128:
	v_div_scale_f32 v5, s[16:17], v3, v3, v4
	v_div_scale_f32 v6, vcc, v4, v3, v4
	v_rcp_f32_e32 v8, v5
	v_fma_f32 v9, -v5, v8, 1.0
	v_fmac_f32_e32 v8, v9, v8
	v_mul_f32_e32 v9, v6, v8
	v_fma_f32 v10, -v5, v9, v6
	v_fmac_f32_e32 v9, v10, v8
	v_fma_f32 v5, -v5, v9, v6
	v_div_fmas_f32 v5, v5, v8, v9
	v_div_fixup_f32 v6, v5, v3, v4
	v_fmac_f32_e32 v3, v4, v6
	v_div_scale_f32 v4, s[16:17], v3, v3, 1.0
	v_div_scale_f32 v5, vcc, 1.0, v3, 1.0
	v_rcp_f32_e32 v8, v4
	v_fma_f32 v9, -v4, v8, 1.0
	v_fmac_f32_e32 v8, v9, v8
	v_mul_f32_e32 v9, v5, v8
	v_fma_f32 v10, -v4, v9, v5
	v_fmac_f32_e32 v9, v10, v8
	v_fma_f32 v4, -v4, v9, v5
	v_div_fmas_f32 v4, v4, v8, v9
	v_div_fixup_f32 v5, v4, v3, 1.0
	v_mul_f32_e64 v6, v6, -v5
.LBB149_129:
	s_or_b64 exec, exec, s[12:13]
	v_lshlrev_b32_e32 v3, 3, v7
	ds_write_b64 v3, v[5:6]
.LBB149_130:
	s_or_b64 exec, exec, s[10:11]
                                        ; implicit-def: $vgpr3_vgpr4
                                        ; implicit-def: $vgpr7
.LBB149_131:
	s_andn2_saveexec_b64 s[6:7], s[6:7]
	s_cbranch_execz .LBB149_133
; %bb.132:
	v_lshlrev_b64 v[3:4], 3, v[3:4]
	v_mov_b32_e32 v5, s94
	v_add_co_u32_e32 v3, vcc, s93, v3
	v_addc_co_u32_e32 v4, vcc, v5, v4, vcc
	flat_load_dwordx2 v[3:4], v[3:4]
	v_lshlrev_b32_e32 v5, 3, v7
	s_waitcnt vmcnt(0) lgkmcnt(0)
	v_xor_b32_e32 v3, 0x80000000, v3
	v_xor_b32_e32 v4, 0x80000000, v4
	ds_write_b64 v5, v[3:4]
.LBB149_133:
	s_or_b64 exec, exec, s[6:7]
.LBB149_134:
	v_cndmask_b32_e64 v3, 0, 1, s[14:15]
	v_cmp_ne_u32_e64 s[64:65], 1, v3
	s_andn2_b64 vcc, exec, s[14:15]
	s_waitcnt vmcnt(0) lgkmcnt(0)
	s_barrier
	s_cbranch_vccnz .LBB149_1056
; %bb.135:
	v_or_b32_e32 v3, v0, v2
	v_cmp_eq_u32_e32 vcc, 0, v3
	s_and_saveexec_b64 s[6:7], vcc
	s_cbranch_execz .LBB149_137
; %bb.136:
	s_movk_i32 s10, 0x1f0
	v_mov_b32_e32 v3, 0
	v_add_u32_e64 v4, s10, 0
	ds_read_b64 v[7:8], v3 offset:32760
	ds_read2st64_b64 v[3:6], v4 offset0:62 offset1:63
	s_movk_i32 s10, 0x7800
	s_waitcnt lgkmcnt(0)
	v_mul_f32_e32 v10, v7, v4
	v_mul_f32_e32 v9, v8, v4
	v_fmac_f32_e32 v10, v8, v3
	v_fma_f32 v4, v7, v3, -v9
	v_mul_f32_e32 v3, v10, v6
	v_fma_f32 v3, v4, v5, -v3
	v_mul_f32_e32 v4, v4, v6
	v_fmac_f32_e32 v4, v10, v5
	v_add_u32_e64 v5, s10, 0
	ds_write2_b64 v5, v[3:4], v[3:4] offset0:191 offset1:254
.LBB149_137:
	s_or_b64 exec, exec, s[6:7]
	v_lshlrev_b32_e32 v3, 6, v2
	v_add_u32_e32 v8, v3, v0
	v_and_b32_e32 v4, v3, v0
	v_xor_b32_e32 v3, v3, v0
	v_lshrrev_b16_e32 v3, 1, v3
	v_add_u16_e32 v7, v4, v3
	v_and_b32_e32 v5, 1, v0
	v_sub_u32_e32 v6, 1, v7
	v_cmp_lt_u32_e64 s[10:11], 3, v8
	v_cmp_gt_u32_e64 s[22:23], 4, v8
	v_mov_b32_e32 v3, 0
	v_mov_b32_e32 v4, 0
	s_waitcnt lgkmcnt(0)
	s_barrier
	buffer_wbinvl1_vol
	s_and_saveexec_b64 s[6:7], s[22:23]
	s_cbranch_execz .LBB149_141
; %bb.138:
	v_lshlrev_b32_e32 v3, 3, v5
	v_lshlrev_b32_e32 v9, 9, v6
	ds_read_b64 v[3:4], v3 offset:32224
	ds_read_b64 v[9:10], v9 offset:32240
	v_cmp_gt_u32_e64 s[12:13], 2, v8
	s_waitcnt lgkmcnt(0)
	v_mul_f32_e32 v11, v10, v4
	v_mul_f32_e32 v4, v9, v4
	v_fma_f32 v9, v9, v3, -v11
	v_fmac_f32_e32 v4, v10, v3
	v_add_f32_e32 v3, 0, v9
	v_add_f32_e32 v4, 0, v4
	s_and_saveexec_b64 s[14:15], s[12:13]
	s_cbranch_execz .LBB149_140
; %bb.139:
	v_lshlrev_b32_e32 v9, 3, v0
	v_mov_b32_e32 v11, 0
	ds_read_b64 v[9:10], v9 offset:32736
	ds_read_b64 v[11:12], v11 offset:32760
	s_waitcnt lgkmcnt(0)
	v_mul_f32_e32 v13, v12, v10
	v_mul_f32_e32 v10, v11, v10
	v_fma_f32 v11, v11, v9, -v13
	v_fmac_f32_e32 v10, v12, v9
	v_add_f32_e32 v3, v3, v11
	v_add_f32_e32 v4, v4, v10
.LBB149_140:
	s_or_b64 exec, exec, s[14:15]
.LBB149_141:
	s_or_b64 exec, exec, s[6:7]
	v_mov_b32_e32 v9, 0x8000
	v_cmp_ne_u32_e64 s[12:13], 0, v5
	s_xor_b64 s[6:7], s[10:11], -1
	v_lshl_add_u32 v7, v7, 3, v9
	s_and_b64 s[44:45], s[12:13], s[6:7]
	s_and_saveexec_b64 s[10:11], s[44:45]
	s_cbranch_execz .LBB149_143
; %bb.142:
	v_mov_b32_e32 v9, 0
	ds_read_b64 v[9:10], v9 offset:31720
	s_waitcnt lgkmcnt(0)
	v_mul_f32_e32 v11, v4, v10
	v_mul_f32_e32 v12, v3, v10
	v_fma_f32 v3, v3, v9, -v11
	v_fmac_f32_e32 v12, v4, v9
	v_xor_b32_e32 v9, 0x80000000, v3
	v_xor_b32_e32 v10, 0x80000000, v12
	v_mov_b32_e32 v4, v12
	ds_write_b64 v7, v[9:10]
.LBB149_143:
	s_or_b64 exec, exec, s[10:11]
	v_cmp_eq_u32_e64 s[10:11], 0, v5
	s_and_b64 s[42:43], s[10:11], s[6:7]
	s_waitcnt lgkmcnt(0)
	s_barrier
	s_and_saveexec_b64 s[6:7], s[42:43]
	s_cbranch_execz .LBB149_145
; %bb.144:
	v_mov_b32_e32 v9, 0
	ds_read_b64 v[9:10], v9 offset:31712
	ds_read_b64 v[11:12], v7
	s_waitcnt lgkmcnt(0)
	v_mul_f32_e32 v13, v12, v10
	v_mul_f32_e32 v10, v11, v10
	v_fma_f32 v11, v11, v9, -v13
	v_fmac_f32_e32 v10, v12, v9
	v_sub_f32_e32 v3, v3, v11
	v_sub_f32_e32 v4, v4, v10
.LBB149_145:
	s_or_b64 exec, exec, s[6:7]
	s_barrier
	s_and_saveexec_b64 s[6:7], s[42:43]
	s_cbranch_execz .LBB149_147
; %bb.146:
	v_mov_b32_e32 v9, 0
	ds_read_b64 v[9:10], v9 offset:31200
	s_waitcnt lgkmcnt(0)
	v_mul_f32_e32 v11, v4, v10
	v_mul_f32_e32 v12, v3, v10
	v_fma_f32 v3, v3, v9, -v11
	v_fmac_f32_e32 v12, v4, v9
	v_xor_b32_e32 v9, 0x80000000, v3
	v_xor_b32_e32 v10, 0x80000000, v12
	v_mov_b32_e32 v4, v12
	ds_write_b64 v7, v[9:10]
.LBB149_147:
	s_or_b64 exec, exec, s[6:7]
	s_waitcnt lgkmcnt(0)
	s_barrier
	s_barrier
	s_and_saveexec_b64 s[6:7], s[22:23]
; %bb.148:
	v_lshlrev_b32_e32 v9, 3, v5
	v_lshl_or_b32 v9, v6, 9, v9
	ds_write_b64 v9, v[3:4] offset:32224
; %bb.149:
	s_or_b64 exec, exec, s[6:7]
	v_cmp_eq_u32_e64 s[16:17], 0, v2
	v_cmp_gt_u32_e64 s[10:11], 2, v0
	s_and_b64 s[46:47], s[16:17], s[10:11]
	s_waitcnt lgkmcnt(0)
	s_barrier
	s_barrier
	s_and_saveexec_b64 s[6:7], s[46:47]
	s_cbranch_execz .LBB149_151
; %bb.150:
	v_lshlrev_b32_e32 v9, 3, v0
	s_movk_i32 s10, 0x1f8
	v_mad_u32_u24 v10, v0, s10, v9
	ds_read_b64 v[3:4], v10 offset:32224
	s_waitcnt lgkmcnt(0)
	ds_write_b64 v9, v[3:4] offset:31216
	ds_read_b64 v[3:4], v10 offset:32232
	s_waitcnt lgkmcnt(0)
	ds_write_b64 v9, v[3:4] offset:31728
.LBB149_151:
	s_or_b64 exec, exec, s[6:7]
	s_waitcnt lgkmcnt(0)
	s_barrier
	s_and_saveexec_b64 s[6:7], vcc
	s_cbranch_execz .LBB149_153
; %bb.152:
	s_movk_i32 s10, 0x1e0
	v_mov_b32_e32 v3, 0
	v_add_u32_e64 v9, s10, 0
	ds_read_b64 v[3:4], v3 offset:31720
	ds_read2st64_b64 v[9:12], v9 offset0:60 offset1:61
	s_movk_i32 s10, 0x7800
	s_waitcnt lgkmcnt(0)
	v_mul_f32_e32 v13, v4, v10
	v_mul_f32_e32 v10, v3, v10
	v_fma_f32 v13, v3, v9, -v13
	v_fmac_f32_e32 v10, v4, v9
	v_mul_f32_e32 v3, v10, v12
	v_mul_f32_e32 v4, v13, v12
	v_fma_f32 v3, v13, v11, -v3
	v_fmac_f32_e32 v4, v10, v11
	v_add_u32_e64 v9, s10, 0
	ds_write2_b64 v9, v[3:4], v[3:4] offset0:61 offset1:124
.LBB149_153:
	s_or_b64 exec, exec, s[6:7]
	v_lshrrev_b32_e32 v11, 2, v8
	v_and_b32_e32 v9, 3, v0
	v_sub_u32_e32 v10, 3, v11
	v_cmp_lt_u32_e64 s[12:13], 15, v8
	v_cmp_gt_u32_e64 s[10:11], 16, v8
	v_mov_b32_e32 v4, 0
	v_mov_b32_e32 v3, 0
	s_waitcnt lgkmcnt(0)
	s_barrier
	buffer_wbinvl1_vol
	s_and_saveexec_b64 s[6:7], s[10:11]
	s_cbranch_execz .LBB149_159
; %bb.154:
	v_lshlrev_b32_e32 v12, 3, v9
	v_lshlrev_b32_e32 v13, 9, v10
	ds_read_b64 v[3:4], v12 offset:31168
	ds_read_b64 v[14:15], v13 offset:31200
	v_cmp_gt_u32_e64 s[14:15], 12, v8
	s_waitcnt lgkmcnt(0)
	v_mul_f32_e32 v16, v15, v4
	v_mul_f32_e32 v4, v14, v4
	v_fma_f32 v14, v14, v3, -v16
	v_fmac_f32_e32 v4, v15, v3
	v_add_f32_e32 v3, 0, v14
	v_add_f32_e32 v4, 0, v4
	s_and_saveexec_b64 s[18:19], s[14:15]
	s_cbranch_execnz .LBB149_1116
; %bb.155:
	s_or_b64 exec, exec, s[18:19]
	v_cmp_gt_u32_e64 s[14:15], 8, v8
	s_and_saveexec_b64 s[18:19], s[14:15]
	s_cbranch_execnz .LBB149_1117
.LBB149_156:
	s_or_b64 exec, exec, s[18:19]
	v_cmp_gt_u32_e64 s[14:15], 4, v8
	s_and_saveexec_b64 s[18:19], s[14:15]
	s_cbranch_execz .LBB149_158
.LBB149_157:
	v_lshlrev_b32_e32 v12, 3, v0
	v_mov_b32_e32 v14, 0
	ds_read_b64 v[12:13], v12 offset:32704
	ds_read_b64 v[14:15], v14 offset:32760
	s_waitcnt lgkmcnt(0)
	v_mul_f32_e32 v16, v15, v13
	v_mul_f32_e32 v13, v14, v13
	v_fma_f32 v14, v14, v12, -v16
	v_fmac_f32_e32 v13, v15, v12
	v_add_f32_e32 v3, v3, v14
	v_add_f32_e32 v4, v4, v13
.LBB149_158:
	s_or_b64 exec, exec, s[18:19]
.LBB149_159:
                                        ; implicit-def: $vgpr30 : SGPR spill to VGPR lane
	v_writelane_b32 v30, s50, 0
	v_writelane_b32 v30, s51, 1
	;; [unrolled: 1-line block ×5, first 2 shown]
	s_or_b64 exec, exec, s[6:7]
	v_mov_b32_e32 v12, 0x8000
	v_cmp_eq_u32_e64 s[14:15], 3, v9
	s_xor_b64 s[6:7], s[12:13], -1
	v_lshl_add_u32 v11, v11, 3, v12
	s_and_b64 s[50:51], s[14:15], s[6:7]
	s_and_saveexec_b64 s[12:13], s[50:51]
	s_cbranch_execz .LBB149_161
; %bb.160:
	v_mov_b32_e32 v12, 0
	ds_read_b64 v[12:13], v12 offset:30680
	s_waitcnt lgkmcnt(0)
	v_mul_f32_e32 v14, v4, v13
	v_mul_f32_e32 v15, v3, v13
	v_fma_f32 v3, v3, v12, -v14
	v_fmac_f32_e32 v15, v4, v12
	v_xor_b32_e32 v12, 0x80000000, v3
	v_xor_b32_e32 v13, 0x80000000, v15
	v_mov_b32_e32 v4, v15
	ds_write_b64 v11, v[12:13]
.LBB149_161:
	s_or_b64 exec, exec, s[12:13]
	v_cmp_ne_u32_e64 s[12:13], 3, v9
	s_and_b64 s[52:53], s[12:13], s[6:7]
	s_waitcnt lgkmcnt(0)
	s_barrier
	s_and_saveexec_b64 s[12:13], s[52:53]
	s_cbranch_execz .LBB149_163
; %bb.162:
	v_lshlrev_b32_e32 v12, 3, v9
	ds_read_b64 v[12:13], v12 offset:30656
	ds_read_b64 v[14:15], v11
	s_waitcnt lgkmcnt(0)
	v_mul_f32_e32 v16, v15, v13
	v_mul_f32_e32 v13, v14, v13
	v_fma_f32 v14, v14, v12, -v16
	v_fmac_f32_e32 v13, v15, v12
	v_sub_f32_e32 v3, v3, v14
	v_sub_f32_e32 v4, v4, v13
.LBB149_163:
	s_or_b64 exec, exec, s[12:13]
	v_cmp_eq_u32_e64 s[12:13], 2, v9
	s_and_b64 s[54:55], s[12:13], s[6:7]
	s_barrier
	s_and_saveexec_b64 s[12:13], s[54:55]
	s_cbranch_execz .LBB149_165
; %bb.164:
	v_mov_b32_e32 v12, 0
	ds_read_b64 v[12:13], v12 offset:30160
	s_waitcnt lgkmcnt(0)
	v_mul_f32_e32 v14, v4, v13
	v_mul_f32_e32 v15, v3, v13
	v_fma_f32 v3, v3, v12, -v14
	v_fmac_f32_e32 v15, v4, v12
	v_xor_b32_e32 v12, 0x80000000, v3
	v_xor_b32_e32 v13, 0x80000000, v15
	v_mov_b32_e32 v4, v15
	ds_write_b64 v11, v[12:13]
.LBB149_165:
	s_or_b64 exec, exec, s[12:13]
	v_cmp_gt_u32_e64 s[12:13], 2, v9
	s_and_b64 s[56:57], s[12:13], s[6:7]
	s_waitcnt lgkmcnt(0)
	s_barrier
	s_and_saveexec_b64 s[12:13], s[56:57]
	s_cbranch_execz .LBB149_167
; %bb.166:
	v_lshlrev_b32_e32 v12, 3, v9
	ds_read_b64 v[12:13], v12 offset:30144
	ds_read_b64 v[14:15], v11
	s_waitcnt lgkmcnt(0)
	v_mul_f32_e32 v16, v15, v13
	v_mul_f32_e32 v13, v14, v13
	v_fma_f32 v14, v14, v12, -v16
	v_fmac_f32_e32 v13, v15, v12
	v_sub_f32_e32 v3, v3, v14
	v_sub_f32_e32 v4, v4, v13
.LBB149_167:
	s_or_b64 exec, exec, s[12:13]
	v_cmp_eq_u32_e64 s[12:13], 1, v9
	s_and_b64 s[58:59], s[12:13], s[6:7]
	s_barrier
	s_and_saveexec_b64 s[12:13], s[58:59]
	s_cbranch_execz .LBB149_169
; %bb.168:
	v_mov_b32_e32 v12, 0
	ds_read_b64 v[12:13], v12 offset:29640
	s_waitcnt lgkmcnt(0)
	v_mul_f32_e32 v14, v4, v13
	v_mul_f32_e32 v15, v3, v13
	v_fma_f32 v3, v3, v12, -v14
	v_fmac_f32_e32 v15, v4, v12
	v_xor_b32_e32 v12, 0x80000000, v3
	v_xor_b32_e32 v13, 0x80000000, v15
	v_mov_b32_e32 v4, v15
	ds_write_b64 v11, v[12:13]
.LBB149_169:
	s_or_b64 exec, exec, s[12:13]
	v_cmp_eq_u32_e64 s[12:13], 0, v9
	s_and_b64 s[48:49], s[12:13], s[6:7]
	s_waitcnt lgkmcnt(0)
	s_barrier
	s_and_saveexec_b64 s[6:7], s[48:49]
	s_cbranch_execz .LBB149_171
; %bb.170:
	v_mov_b32_e32 v12, 0
	ds_read_b64 v[12:13], v12 offset:29632
	ds_read_b64 v[14:15], v11
	s_waitcnt lgkmcnt(0)
	v_mul_f32_e32 v16, v15, v13
	v_mul_f32_e32 v13, v14, v13
	v_fma_f32 v14, v14, v12, -v16
	v_fmac_f32_e32 v13, v15, v12
	v_sub_f32_e32 v3, v3, v14
	v_sub_f32_e32 v4, v4, v13
.LBB149_171:
	s_or_b64 exec, exec, s[6:7]
	s_barrier
	s_and_saveexec_b64 s[6:7], s[48:49]
	s_cbranch_execz .LBB149_173
; %bb.172:
	v_mov_b32_e32 v12, 0
	ds_read_b64 v[12:13], v12 offset:29120
	s_waitcnt lgkmcnt(0)
	v_mul_f32_e32 v14, v4, v13
	v_mul_f32_e32 v15, v3, v13
	v_fma_f32 v3, v3, v12, -v14
	v_fmac_f32_e32 v15, v4, v12
	v_xor_b32_e32 v12, 0x80000000, v3
	v_xor_b32_e32 v13, 0x80000000, v15
	v_mov_b32_e32 v4, v15
	ds_write_b64 v11, v[12:13]
.LBB149_173:
	s_or_b64 exec, exec, s[6:7]
	s_waitcnt lgkmcnt(0)
	s_barrier
	s_barrier
	s_and_saveexec_b64 s[6:7], s[10:11]
; %bb.174:
	v_lshlrev_b32_e32 v12, 3, v9
	v_lshl_or_b32 v12, v10, 9, v12
	ds_write_b64 v12, v[3:4] offset:31168
; %bb.175:
	s_or_b64 exec, exec, s[6:7]
	v_cmp_gt_u32_e64 s[12:13], 4, v0
	s_and_b64 s[60:61], s[16:17], s[12:13]
	s_waitcnt lgkmcnt(0)
	s_barrier
	s_barrier
	s_and_saveexec_b64 s[6:7], s[60:61]
	s_cbranch_execz .LBB149_177
; %bb.176:
	v_lshlrev_b32_e32 v12, 9, v0
	ds_read_b64 v[3:4], v12 offset:31168
	s_movk_i32 s12, 0xfe08
	v_mad_i32_i24 v13, v0, s12, v12
	s_waitcnt lgkmcnt(0)
	ds_write_b64 v13, v[3:4] offset:29152
	ds_read_b64 v[3:4], v12 offset:31176
	s_waitcnt lgkmcnt(0)
	ds_write_b64 v13, v[3:4] offset:29664
	ds_read_b64 v[3:4], v12 offset:31184
	;; [unrolled: 3-line block ×3, first 2 shown]
	s_waitcnt lgkmcnt(0)
	ds_write_b64 v13, v[3:4] offset:30688
.LBB149_177:
	s_or_b64 exec, exec, s[6:7]
	s_waitcnt lgkmcnt(0)
	s_barrier
	s_and_saveexec_b64 s[6:7], vcc
	s_cbranch_execz .LBB149_179
; %bb.178:
	s_movk_i32 s12, 0x1d0
	v_mov_b32_e32 v3, 0
	v_add_u32_e64 v12, s12, 0
	ds_read_b64 v[3:4], v3 offset:30680
	ds_read2st64_b64 v[12:15], v12 offset0:58 offset1:59
	s_movk_i32 s12, 0x7000
	s_waitcnt lgkmcnt(0)
	v_mul_f32_e32 v16, v4, v13
	v_mul_f32_e32 v13, v3, v13
	v_fma_f32 v16, v3, v12, -v16
	v_fmac_f32_e32 v13, v4, v12
	v_mul_f32_e32 v3, v13, v15
	v_mul_f32_e32 v4, v16, v15
	v_fma_f32 v3, v16, v14, -v3
	v_fmac_f32_e32 v4, v13, v14
	v_add_u32_e64 v12, s12, 0
	ds_write2_b64 v12, v[3:4], v[3:4] offset0:187 offset1:250
.LBB149_179:
	s_or_b64 exec, exec, s[6:7]
	v_mov_b32_e32 v3, 0
	v_mov_b32_e32 v4, 0
	s_waitcnt lgkmcnt(0)
	s_barrier
	buffer_wbinvl1_vol
	s_and_saveexec_b64 s[6:7], s[22:23]
	s_cbranch_execz .LBB149_183
; %bb.180:
	v_lshlrev_b32_e32 v3, 3, v5
	v_lshlrev_b32_e32 v12, 9, v6
	ds_read_b64 v[3:4], v3 offset:30144
	ds_read_b64 v[12:13], v12 offset:30160
	v_cmp_gt_u32_e64 s[12:13], 2, v8
	s_waitcnt lgkmcnt(0)
	v_mul_f32_e32 v14, v13, v4
	v_mul_f32_e32 v4, v12, v4
	v_fma_f32 v12, v12, v3, -v14
	v_fmac_f32_e32 v4, v13, v3
	v_add_f32_e32 v3, 0, v12
	v_add_f32_e32 v4, 0, v4
	s_and_saveexec_b64 s[14:15], s[12:13]
	s_cbranch_execz .LBB149_182
; %bb.181:
	v_lshlrev_b32_e32 v12, 3, v0
	v_mov_b32_e32 v14, 0
	ds_read_b64 v[12:13], v12 offset:30656
	ds_read_b64 v[14:15], v14 offset:30680
	s_waitcnt lgkmcnt(0)
	v_mul_f32_e32 v16, v15, v13
	v_mul_f32_e32 v13, v14, v13
	v_fma_f32 v14, v14, v12, -v16
	v_fmac_f32_e32 v13, v15, v12
	v_add_f32_e32 v3, v3, v14
	v_add_f32_e32 v4, v4, v13
.LBB149_182:
	s_or_b64 exec, exec, s[14:15]
.LBB149_183:
	s_or_b64 exec, exec, s[6:7]
	s_and_saveexec_b64 s[6:7], s[44:45]
	s_cbranch_execz .LBB149_185
; %bb.184:
	v_mov_b32_e32 v12, 0
	ds_read_b64 v[12:13], v12 offset:29640
	s_waitcnt lgkmcnt(0)
	v_mul_f32_e32 v14, v4, v13
	v_mul_f32_e32 v15, v3, v13
	v_fma_f32 v3, v3, v12, -v14
	v_fmac_f32_e32 v15, v4, v12
	v_xor_b32_e32 v12, 0x80000000, v3
	v_xor_b32_e32 v13, 0x80000000, v15
	v_mov_b32_e32 v4, v15
	ds_write_b64 v7, v[12:13]
.LBB149_185:
	s_or_b64 exec, exec, s[6:7]
	s_waitcnt lgkmcnt(0)
	s_barrier
	s_and_saveexec_b64 s[6:7], s[42:43]
	s_cbranch_execz .LBB149_187
; %bb.186:
	v_mov_b32_e32 v12, 0
	ds_read_b64 v[12:13], v12 offset:29632
	ds_read_b64 v[14:15], v7
	s_waitcnt lgkmcnt(0)
	v_mul_f32_e32 v16, v15, v13
	v_mul_f32_e32 v13, v14, v13
	v_fma_f32 v14, v14, v12, -v16
	v_fmac_f32_e32 v13, v15, v12
	v_sub_f32_e32 v3, v3, v14
	v_sub_f32_e32 v4, v4, v13
.LBB149_187:
	s_or_b64 exec, exec, s[6:7]
	s_barrier
	s_and_saveexec_b64 s[6:7], s[42:43]
	s_cbranch_execz .LBB149_189
; %bb.188:
	v_mov_b32_e32 v12, 0
	ds_read_b64 v[12:13], v12 offset:29120
	s_waitcnt lgkmcnt(0)
	v_mul_f32_e32 v14, v4, v13
	v_mul_f32_e32 v15, v3, v13
	v_fma_f32 v3, v3, v12, -v14
	v_fmac_f32_e32 v15, v4, v12
	v_xor_b32_e32 v12, 0x80000000, v3
	v_xor_b32_e32 v13, 0x80000000, v15
	v_mov_b32_e32 v4, v15
	ds_write_b64 v7, v[12:13]
.LBB149_189:
	s_or_b64 exec, exec, s[6:7]
	s_waitcnt lgkmcnt(0)
	s_barrier
	s_barrier
	s_and_saveexec_b64 s[6:7], s[22:23]
; %bb.190:
	v_lshlrev_b32_e32 v12, 3, v5
	v_lshl_or_b32 v12, v6, 9, v12
	ds_write_b64 v12, v[3:4] offset:30144
; %bb.191:
	s_or_b64 exec, exec, s[6:7]
	s_waitcnt lgkmcnt(0)
	s_barrier
	s_barrier
	s_and_saveexec_b64 s[6:7], s[46:47]
	s_cbranch_execz .LBB149_193
; %bb.192:
	v_lshlrev_b32_e32 v12, 3, v0
	s_movk_i32 s12, 0x1f8
	v_mad_u32_u24 v13, v0, s12, v12
	ds_read_b64 v[3:4], v13 offset:30144
	s_waitcnt lgkmcnt(0)
	ds_write_b64 v12, v[3:4] offset:29136
	ds_read_b64 v[3:4], v13 offset:30152
	s_waitcnt lgkmcnt(0)
	ds_write_b64 v12, v[3:4] offset:29648
.LBB149_193:
	s_or_b64 exec, exec, s[6:7]
	s_waitcnt lgkmcnt(0)
	s_barrier
	s_and_saveexec_b64 s[6:7], vcc
	s_cbranch_execz .LBB149_195
; %bb.194:
	s_movk_i32 s12, 0x1c0
	v_mov_b32_e32 v3, 0
	v_add_u32_e64 v12, s12, 0
	ds_read_b64 v[3:4], v3 offset:29640
	ds_read2st64_b64 v[12:15], v12 offset0:56 offset1:57
	s_movk_i32 s12, 0x7000
	s_waitcnt lgkmcnt(0)
	v_mul_f32_e32 v16, v4, v13
	v_mul_f32_e32 v13, v3, v13
	v_fma_f32 v16, v3, v12, -v16
	v_fmac_f32_e32 v13, v4, v12
	v_mul_f32_e32 v3, v13, v15
	v_mul_f32_e32 v4, v16, v15
	v_fma_f32 v3, v16, v14, -v3
	v_fmac_f32_e32 v4, v13, v14
	v_add_u32_e64 v12, s12, 0
	ds_write2_b64 v12, v[3:4], v[3:4] offset0:57 offset1:120
.LBB149_195:
	s_or_b64 exec, exec, s[6:7]
	v_lshrrev_b32_e32 v14, 3, v8
	v_and_b32_e32 v12, 7, v0
	v_sub_u32_e32 v13, 7, v14
	v_cmp_lt_u32_e64 s[14:15], 63, v8
	v_cmp_gt_u32_e64 s[12:13], 64, v8
	v_mov_b32_e32 v4, 0
	v_mov_b32_e32 v3, 0
	s_waitcnt lgkmcnt(0)
	s_barrier
	buffer_wbinvl1_vol
	s_and_saveexec_b64 s[6:7], s[12:13]
	s_cbranch_execz .LBB149_205
; %bb.196:
	v_lshlrev_b32_e32 v15, 3, v12
	v_lshlrev_b32_e32 v16, 9, v13
	ds_read_b64 v[3:4], v15 offset:29056
	ds_read_b64 v[17:18], v16 offset:29120
	v_cmp_gt_u32_e64 s[18:19], 56, v8
	s_waitcnt lgkmcnt(0)
	v_mul_f32_e32 v19, v18, v4
	v_mul_f32_e32 v4, v17, v4
	v_fma_f32 v17, v17, v3, -v19
	v_fmac_f32_e32 v4, v18, v3
	v_add_f32_e32 v3, 0, v17
	v_add_f32_e32 v4, 0, v4
	s_and_saveexec_b64 s[20:21], s[18:19]
	s_cbranch_execnz .LBB149_1118
; %bb.197:
	s_or_b64 exec, exec, s[20:21]
	v_cmp_gt_u32_e64 s[18:19], 48, v8
	s_and_saveexec_b64 s[20:21], s[18:19]
	s_cbranch_execnz .LBB149_1119
.LBB149_198:
	s_or_b64 exec, exec, s[20:21]
	v_cmp_gt_u32_e64 s[18:19], 40, v8
	s_and_saveexec_b64 s[20:21], s[18:19]
	s_cbranch_execnz .LBB149_1120
.LBB149_199:
	s_or_b64 exec, exec, s[20:21]
	v_cmp_gt_u32_e64 s[18:19], 32, v8
	s_and_saveexec_b64 s[20:21], s[18:19]
	s_cbranch_execnz .LBB149_1121
.LBB149_200:
	s_or_b64 exec, exec, s[20:21]
	v_cmp_gt_u32_e64 s[18:19], 24, v8
	s_and_saveexec_b64 s[20:21], s[18:19]
	s_cbranch_execnz .LBB149_1122
.LBB149_201:
	s_or_b64 exec, exec, s[20:21]
	s_and_saveexec_b64 s[18:19], s[10:11]
	s_cbranch_execnz .LBB149_1123
.LBB149_202:
	s_or_b64 exec, exec, s[18:19]
	v_cmp_gt_u32_e64 s[18:19], 8, v8
	s_and_saveexec_b64 s[20:21], s[18:19]
	s_cbranch_execz .LBB149_204
.LBB149_203:
	v_lshlrev_b32_e32 v15, 3, v0
	v_mov_b32_e32 v17, 0
	ds_read_b64 v[15:16], v15 offset:32640
	ds_read_b64 v[17:18], v17 offset:32760
	s_waitcnt lgkmcnt(0)
	v_mul_f32_e32 v19, v18, v16
	v_mul_f32_e32 v16, v17, v16
	v_fma_f32 v17, v17, v15, -v19
	v_fmac_f32_e32 v16, v18, v15
	v_add_f32_e32 v3, v3, v17
	v_add_f32_e32 v4, v4, v16
.LBB149_204:
	s_or_b64 exec, exec, s[20:21]
.LBB149_205:
	v_writelane_b32 v30, s64, 5
	v_writelane_b32 v30, s65, 6
	s_or_b64 exec, exec, s[6:7]
	v_mov_b32_e32 v15, 0x8000
	v_cmp_eq_u32_e64 s[18:19], 7, v12
	s_xor_b64 s[6:7], s[14:15], -1
	v_lshl_add_u32 v14, v14, 3, v15
	s_and_b64 s[64:65], s[18:19], s[6:7]
	s_and_saveexec_b64 s[14:15], s[64:65]
	s_cbranch_execz .LBB149_207
; %bb.206:
	v_mov_b32_e32 v15, 0
	ds_read_b64 v[15:16], v15 offset:28600
	s_waitcnt lgkmcnt(0)
	v_mul_f32_e32 v17, v4, v16
	v_mul_f32_e32 v18, v3, v16
	v_fma_f32 v3, v3, v15, -v17
	v_fmac_f32_e32 v18, v4, v15
	v_xor_b32_e32 v15, 0x80000000, v3
	v_xor_b32_e32 v16, 0x80000000, v18
	v_mov_b32_e32 v4, v18
	ds_write_b64 v14, v[15:16]
.LBB149_207:
	s_or_b64 exec, exec, s[14:15]
	v_cmp_ne_u32_e64 s[14:15], 7, v12
	s_and_b64 s[66:67], s[14:15], s[6:7]
	s_waitcnt lgkmcnt(0)
	s_barrier
	s_and_saveexec_b64 s[14:15], s[66:67]
	s_cbranch_execz .LBB149_209
; %bb.208:
	v_lshlrev_b32_e32 v15, 3, v12
	ds_read_b64 v[15:16], v15 offset:28544
	ds_read_b64 v[17:18], v14
	s_waitcnt lgkmcnt(0)
	v_mul_f32_e32 v19, v18, v16
	v_mul_f32_e32 v16, v17, v16
	v_fma_f32 v17, v17, v15, -v19
	v_fmac_f32_e32 v16, v18, v15
	v_sub_f32_e32 v3, v3, v17
	v_sub_f32_e32 v4, v4, v16
.LBB149_209:
	s_or_b64 exec, exec, s[14:15]
	v_cmp_eq_u32_e64 s[14:15], 6, v12
	s_and_b64 s[68:69], s[14:15], s[6:7]
	s_barrier
	s_and_saveexec_b64 s[14:15], s[68:69]
	s_cbranch_execz .LBB149_211
; %bb.210:
	v_mov_b32_e32 v15, 0
	ds_read_b64 v[15:16], v15 offset:28080
	s_waitcnt lgkmcnt(0)
	v_mul_f32_e32 v17, v4, v16
	v_mul_f32_e32 v18, v3, v16
	v_fma_f32 v3, v3, v15, -v17
	v_fmac_f32_e32 v18, v4, v15
	v_xor_b32_e32 v15, 0x80000000, v3
	v_xor_b32_e32 v16, 0x80000000, v18
	v_mov_b32_e32 v4, v18
	ds_write_b64 v14, v[15:16]
.LBB149_211:
	s_or_b64 exec, exec, s[14:15]
	v_cmp_gt_u32_e64 s[14:15], 6, v12
	s_and_b64 s[70:71], s[14:15], s[6:7]
	s_waitcnt lgkmcnt(0)
	s_barrier
	s_and_saveexec_b64 s[14:15], s[70:71]
	s_cbranch_execz .LBB149_213
; %bb.212:
	v_lshlrev_b32_e32 v15, 3, v12
	ds_read_b64 v[15:16], v15 offset:28032
	ds_read_b64 v[17:18], v14
	s_waitcnt lgkmcnt(0)
	v_mul_f32_e32 v19, v18, v16
	v_mul_f32_e32 v16, v17, v16
	v_fma_f32 v17, v17, v15, -v19
	v_fmac_f32_e32 v16, v18, v15
	v_sub_f32_e32 v3, v3, v17
	v_sub_f32_e32 v4, v4, v16
.LBB149_213:
	s_or_b64 exec, exec, s[14:15]
	v_cmp_eq_u32_e64 s[14:15], 5, v12
	s_and_b64 s[72:73], s[14:15], s[6:7]
	s_barrier
	s_and_saveexec_b64 s[14:15], s[72:73]
	s_cbranch_execz .LBB149_215
; %bb.214:
	v_mov_b32_e32 v15, 0
	ds_read_b64 v[15:16], v15 offset:27560
	s_waitcnt lgkmcnt(0)
	v_mul_f32_e32 v17, v4, v16
	v_mul_f32_e32 v18, v3, v16
	v_fma_f32 v3, v3, v15, -v17
	v_fmac_f32_e32 v18, v4, v15
	v_xor_b32_e32 v15, 0x80000000, v3
	v_xor_b32_e32 v16, 0x80000000, v18
	v_mov_b32_e32 v4, v18
	ds_write_b64 v14, v[15:16]
.LBB149_215:
	s_or_b64 exec, exec, s[14:15]
	v_cmp_gt_u32_e64 s[14:15], 5, v12
	;; [unrolled: 38-line block ×5, first 2 shown]
	s_and_b64 s[86:87], s[14:15], s[6:7]
	s_waitcnt lgkmcnt(0)
	s_barrier
	s_and_saveexec_b64 s[14:15], s[86:87]
	s_cbranch_execz .LBB149_229
; %bb.228:
	v_lshlrev_b32_e32 v15, 3, v12
	ds_read_b64 v[15:16], v15 offset:25984
	ds_read_b64 v[17:18], v14
	s_waitcnt lgkmcnt(0)
	v_mul_f32_e32 v19, v18, v16
	v_mul_f32_e32 v16, v17, v16
	v_fma_f32 v17, v17, v15, -v19
	v_fmac_f32_e32 v16, v18, v15
	v_sub_f32_e32 v3, v3, v17
	v_sub_f32_e32 v4, v4, v16
.LBB149_229:
	s_or_b64 exec, exec, s[14:15]
	v_cmp_eq_u32_e64 s[14:15], 1, v12
	s_and_b64 s[88:89], s[14:15], s[6:7]
	s_barrier
	s_and_saveexec_b64 s[14:15], s[88:89]
	s_cbranch_execz .LBB149_231
; %bb.230:
	v_mov_b32_e32 v15, 0
	ds_read_b64 v[15:16], v15 offset:25480
	s_waitcnt lgkmcnt(0)
	v_mul_f32_e32 v17, v4, v16
	v_mul_f32_e32 v18, v3, v16
	v_fma_f32 v3, v3, v15, -v17
	v_fmac_f32_e32 v18, v4, v15
	v_xor_b32_e32 v15, 0x80000000, v3
	v_xor_b32_e32 v16, 0x80000000, v18
	v_mov_b32_e32 v4, v18
	ds_write_b64 v14, v[15:16]
.LBB149_231:
	s_or_b64 exec, exec, s[14:15]
	v_cmp_eq_u32_e64 s[14:15], 0, v12
	s_and_b64 s[62:63], s[14:15], s[6:7]
	s_waitcnt lgkmcnt(0)
	s_barrier
	s_and_saveexec_b64 s[6:7], s[62:63]
	s_cbranch_execz .LBB149_233
; %bb.232:
	v_mov_b32_e32 v15, 0
	ds_read_b64 v[15:16], v15 offset:25472
	ds_read_b64 v[17:18], v14
	s_waitcnt lgkmcnt(0)
	v_mul_f32_e32 v19, v18, v16
	v_mul_f32_e32 v16, v17, v16
	v_fma_f32 v17, v17, v15, -v19
	v_fmac_f32_e32 v16, v18, v15
	v_sub_f32_e32 v3, v3, v17
	v_sub_f32_e32 v4, v4, v16
.LBB149_233:
	s_or_b64 exec, exec, s[6:7]
	s_barrier
	s_and_saveexec_b64 s[6:7], s[62:63]
	s_cbranch_execz .LBB149_235
; %bb.234:
	v_mov_b32_e32 v15, 0
	ds_read_b64 v[15:16], v15 offset:24960
	s_waitcnt lgkmcnt(0)
	v_mul_f32_e32 v17, v4, v16
	v_mul_f32_e32 v18, v3, v16
	v_fma_f32 v3, v3, v15, -v17
	v_fmac_f32_e32 v18, v4, v15
	v_xor_b32_e32 v15, 0x80000000, v3
	v_xor_b32_e32 v16, 0x80000000, v18
	v_mov_b32_e32 v4, v18
	ds_write_b64 v14, v[15:16]
.LBB149_235:
	s_or_b64 exec, exec, s[6:7]
	s_waitcnt lgkmcnt(0)
	s_barrier
	s_barrier
	s_and_saveexec_b64 s[6:7], s[12:13]
; %bb.236:
	v_lshlrev_b32_e32 v15, 3, v12
	v_lshl_or_b32 v15, v13, 9, v15
	ds_write_b64 v15, v[3:4] offset:29056
; %bb.237:
	s_or_b64 exec, exec, s[6:7]
	v_cmp_gt_u32_e64 s[14:15], 8, v0
	s_and_b64 s[90:91], s[16:17], s[14:15]
	s_waitcnt lgkmcnt(0)
	s_barrier
	s_barrier
	s_and_saveexec_b64 s[6:7], s[90:91]
	s_cbranch_execz .LBB149_239
; %bb.238:
	v_lshlrev_b32_e32 v15, 9, v0
	ds_read_b64 v[3:4], v15 offset:29056
	s_movk_i32 s14, 0xfe08
	v_mad_i32_i24 v16, v0, s14, v15
	s_waitcnt lgkmcnt(0)
	ds_write_b64 v16, v[3:4] offset:25024
	ds_read_b64 v[3:4], v15 offset:29064
	s_waitcnt lgkmcnt(0)
	ds_write_b64 v16, v[3:4] offset:25536
	ds_read_b64 v[3:4], v15 offset:29072
	;; [unrolled: 3-line block ×7, first 2 shown]
	s_waitcnt lgkmcnt(0)
	ds_write_b64 v16, v[3:4] offset:28608
.LBB149_239:
	s_or_b64 exec, exec, s[6:7]
	s_waitcnt lgkmcnt(0)
	s_barrier
	s_and_saveexec_b64 s[6:7], vcc
	s_cbranch_execz .LBB149_241
; %bb.240:
	s_movk_i32 s14, 0x1b0
	v_mov_b32_e32 v3, 0
	v_add_u32_e64 v15, s14, 0
	ds_read_b64 v[3:4], v3 offset:28600
	ds_read2st64_b64 v[15:18], v15 offset0:54 offset1:55
	s_movk_i32 s14, 0x6800
	s_waitcnt lgkmcnt(0)
	v_mul_f32_e32 v19, v4, v16
	v_mul_f32_e32 v16, v3, v16
	v_fma_f32 v19, v3, v15, -v19
	v_fmac_f32_e32 v16, v4, v15
	v_mul_f32_e32 v3, v16, v18
	v_mul_f32_e32 v4, v19, v18
	v_fma_f32 v3, v19, v17, -v3
	v_fmac_f32_e32 v4, v16, v17
	v_add_u32_e64 v15, s14, 0
	ds_write2_b64 v15, v[3:4], v[3:4] offset0:183 offset1:246
.LBB149_241:
	s_or_b64 exec, exec, s[6:7]
	v_mov_b32_e32 v3, 0
	v_mov_b32_e32 v4, 0
	s_waitcnt lgkmcnt(0)
	s_barrier
	buffer_wbinvl1_vol
	s_and_saveexec_b64 s[6:7], s[22:23]
	s_cbranch_execz .LBB149_245
; %bb.242:
	v_lshlrev_b32_e32 v3, 3, v5
	v_lshlrev_b32_e32 v15, 9, v6
	ds_read_b64 v[3:4], v3 offset:28064
	ds_read_b64 v[15:16], v15 offset:28080
	v_cmp_gt_u32_e64 s[14:15], 2, v8
	s_waitcnt lgkmcnt(0)
	v_mul_f32_e32 v17, v16, v4
	v_mul_f32_e32 v4, v15, v4
	v_fma_f32 v15, v15, v3, -v17
	v_fmac_f32_e32 v4, v16, v3
	v_add_f32_e32 v3, 0, v15
	v_add_f32_e32 v4, 0, v4
	s_and_saveexec_b64 s[18:19], s[14:15]
	s_cbranch_execz .LBB149_244
; %bb.243:
	v_lshlrev_b32_e32 v15, 3, v0
	v_mov_b32_e32 v17, 0
	ds_read_b64 v[15:16], v15 offset:28576
	ds_read_b64 v[17:18], v17 offset:28600
	s_waitcnt lgkmcnt(0)
	v_mul_f32_e32 v19, v18, v16
	v_mul_f32_e32 v16, v17, v16
	v_fma_f32 v17, v17, v15, -v19
	v_fmac_f32_e32 v16, v18, v15
	v_add_f32_e32 v3, v3, v17
	v_add_f32_e32 v4, v4, v16
.LBB149_244:
	s_or_b64 exec, exec, s[18:19]
.LBB149_245:
	s_or_b64 exec, exec, s[6:7]
	s_and_saveexec_b64 s[6:7], s[44:45]
	s_cbranch_execz .LBB149_247
; %bb.246:
	v_mov_b32_e32 v15, 0
	ds_read_b64 v[15:16], v15 offset:27560
	s_waitcnt lgkmcnt(0)
	v_mul_f32_e32 v17, v4, v16
	v_mul_f32_e32 v18, v3, v16
	v_fma_f32 v3, v3, v15, -v17
	v_fmac_f32_e32 v18, v4, v15
	v_xor_b32_e32 v15, 0x80000000, v3
	v_xor_b32_e32 v16, 0x80000000, v18
	v_mov_b32_e32 v4, v18
	ds_write_b64 v7, v[15:16]
.LBB149_247:
	s_or_b64 exec, exec, s[6:7]
	s_waitcnt lgkmcnt(0)
	s_barrier
	s_and_saveexec_b64 s[6:7], s[42:43]
	s_cbranch_execz .LBB149_249
; %bb.248:
	v_mov_b32_e32 v15, 0
	ds_read_b64 v[15:16], v15 offset:27552
	ds_read_b64 v[17:18], v7
	s_waitcnt lgkmcnt(0)
	v_mul_f32_e32 v19, v18, v16
	v_mul_f32_e32 v16, v17, v16
	v_fma_f32 v17, v17, v15, -v19
	v_fmac_f32_e32 v16, v18, v15
	v_sub_f32_e32 v3, v3, v17
	v_sub_f32_e32 v4, v4, v16
.LBB149_249:
	s_or_b64 exec, exec, s[6:7]
	s_barrier
	s_and_saveexec_b64 s[6:7], s[42:43]
	s_cbranch_execz .LBB149_251
; %bb.250:
	v_mov_b32_e32 v15, 0
	ds_read_b64 v[15:16], v15 offset:27040
	s_waitcnt lgkmcnt(0)
	v_mul_f32_e32 v17, v4, v16
	v_mul_f32_e32 v18, v3, v16
	v_fma_f32 v3, v3, v15, -v17
	v_fmac_f32_e32 v18, v4, v15
	v_xor_b32_e32 v15, 0x80000000, v3
	v_xor_b32_e32 v16, 0x80000000, v18
	v_mov_b32_e32 v4, v18
	ds_write_b64 v7, v[15:16]
.LBB149_251:
	s_or_b64 exec, exec, s[6:7]
	s_waitcnt lgkmcnt(0)
	s_barrier
	s_barrier
	s_and_saveexec_b64 s[6:7], s[22:23]
; %bb.252:
	v_lshlrev_b32_e32 v15, 3, v5
	v_lshl_or_b32 v15, v6, 9, v15
	ds_write_b64 v15, v[3:4] offset:28064
; %bb.253:
	s_or_b64 exec, exec, s[6:7]
	s_waitcnt lgkmcnt(0)
	s_barrier
	s_barrier
	s_and_saveexec_b64 s[6:7], s[46:47]
	s_cbranch_execz .LBB149_255
; %bb.254:
	v_lshlrev_b32_e32 v15, 3, v0
	s_movk_i32 s14, 0x1f8
	v_mad_u32_u24 v16, v0, s14, v15
	ds_read_b64 v[3:4], v16 offset:28064
	s_waitcnt lgkmcnt(0)
	ds_write_b64 v15, v[3:4] offset:27056
	ds_read_b64 v[3:4], v16 offset:28072
	s_waitcnt lgkmcnt(0)
	ds_write_b64 v15, v[3:4] offset:27568
.LBB149_255:
	s_or_b64 exec, exec, s[6:7]
	s_waitcnt lgkmcnt(0)
	s_barrier
	s_and_saveexec_b64 s[6:7], vcc
	s_cbranch_execz .LBB149_257
; %bb.256:
	s_movk_i32 s14, 0x1a0
	v_mov_b32_e32 v3, 0
	v_add_u32_e64 v15, s14, 0
	ds_read_b64 v[3:4], v3 offset:27560
	ds_read2st64_b64 v[15:18], v15 offset0:52 offset1:53
	s_movk_i32 s14, 0x6800
	s_waitcnt lgkmcnt(0)
	v_mul_f32_e32 v19, v4, v16
	v_mul_f32_e32 v16, v3, v16
	v_fma_f32 v19, v3, v15, -v19
	v_fmac_f32_e32 v16, v4, v15
	v_mul_f32_e32 v3, v16, v18
	v_mul_f32_e32 v4, v19, v18
	v_fma_f32 v3, v19, v17, -v3
	v_fmac_f32_e32 v4, v16, v17
	v_add_u32_e64 v15, s14, 0
	ds_write2_b64 v15, v[3:4], v[3:4] offset0:53 offset1:116
.LBB149_257:
	s_or_b64 exec, exec, s[6:7]
	v_mov_b32_e32 v4, 0
	v_mov_b32_e32 v3, 0
	s_waitcnt lgkmcnt(0)
	s_barrier
	buffer_wbinvl1_vol
	s_and_saveexec_b64 s[6:7], s[10:11]
	s_cbranch_execz .LBB149_263
; %bb.258:
	v_lshlrev_b32_e32 v15, 3, v9
	v_lshlrev_b32_e32 v16, 9, v10
	ds_read_b64 v[3:4], v15 offset:27008
	ds_read_b64 v[17:18], v16 offset:27040
	v_cmp_gt_u32_e64 s[14:15], 12, v8
	s_waitcnt lgkmcnt(0)
	v_mul_f32_e32 v19, v18, v4
	v_mul_f32_e32 v4, v17, v4
	v_fma_f32 v17, v17, v3, -v19
	v_fmac_f32_e32 v4, v18, v3
	v_add_f32_e32 v3, 0, v17
	v_add_f32_e32 v4, 0, v4
	s_and_saveexec_b64 s[18:19], s[14:15]
	s_cbranch_execnz .LBB149_1124
; %bb.259:
	s_or_b64 exec, exec, s[18:19]
	v_cmp_gt_u32_e64 s[14:15], 8, v8
	s_and_saveexec_b64 s[18:19], s[14:15]
	s_cbranch_execnz .LBB149_1125
.LBB149_260:
	s_or_b64 exec, exec, s[18:19]
	v_cmp_gt_u32_e64 s[14:15], 4, v8
	s_and_saveexec_b64 s[18:19], s[14:15]
	s_cbranch_execz .LBB149_262
.LBB149_261:
	v_lshlrev_b32_e32 v15, 3, v0
	v_mov_b32_e32 v17, 0
	ds_read_b64 v[15:16], v15 offset:28544
	ds_read_b64 v[17:18], v17 offset:28600
	s_waitcnt lgkmcnt(0)
	v_mul_f32_e32 v19, v18, v16
	v_mul_f32_e32 v16, v17, v16
	v_fma_f32 v17, v17, v15, -v19
	v_fmac_f32_e32 v16, v18, v15
	v_add_f32_e32 v3, v3, v17
	v_add_f32_e32 v4, v4, v16
.LBB149_262:
	s_or_b64 exec, exec, s[18:19]
.LBB149_263:
	s_or_b64 exec, exec, s[6:7]
	s_and_saveexec_b64 s[6:7], s[50:51]
	s_cbranch_execz .LBB149_265
; %bb.264:
	v_mov_b32_e32 v15, 0
	ds_read_b64 v[15:16], v15 offset:26520
	s_waitcnt lgkmcnt(0)
	v_mul_f32_e32 v17, v4, v16
	v_mul_f32_e32 v18, v3, v16
	v_fma_f32 v3, v3, v15, -v17
	v_fmac_f32_e32 v18, v4, v15
	v_xor_b32_e32 v15, 0x80000000, v3
	v_xor_b32_e32 v16, 0x80000000, v18
	v_mov_b32_e32 v4, v18
	ds_write_b64 v11, v[15:16]
.LBB149_265:
	s_or_b64 exec, exec, s[6:7]
	s_waitcnt lgkmcnt(0)
	s_barrier
	s_and_saveexec_b64 s[6:7], s[52:53]
	s_cbranch_execz .LBB149_267
; %bb.266:
	v_lshlrev_b32_e32 v15, 3, v9
	ds_read_b64 v[15:16], v15 offset:26496
	ds_read_b64 v[17:18], v11
	s_waitcnt lgkmcnt(0)
	v_mul_f32_e32 v19, v18, v16
	v_mul_f32_e32 v16, v17, v16
	v_fma_f32 v17, v17, v15, -v19
	v_fmac_f32_e32 v16, v18, v15
	v_sub_f32_e32 v3, v3, v17
	v_sub_f32_e32 v4, v4, v16
.LBB149_267:
	s_or_b64 exec, exec, s[6:7]
	s_barrier
	s_and_saveexec_b64 s[6:7], s[54:55]
	s_cbranch_execz .LBB149_269
; %bb.268:
	v_mov_b32_e32 v15, 0
	ds_read_b64 v[15:16], v15 offset:26000
	s_waitcnt lgkmcnt(0)
	v_mul_f32_e32 v17, v4, v16
	v_mul_f32_e32 v18, v3, v16
	v_fma_f32 v3, v3, v15, -v17
	v_fmac_f32_e32 v18, v4, v15
	v_xor_b32_e32 v15, 0x80000000, v3
	v_xor_b32_e32 v16, 0x80000000, v18
	v_mov_b32_e32 v4, v18
	ds_write_b64 v11, v[15:16]
.LBB149_269:
	s_or_b64 exec, exec, s[6:7]
	s_waitcnt lgkmcnt(0)
	s_barrier
	s_and_saveexec_b64 s[6:7], s[56:57]
	s_cbranch_execz .LBB149_271
; %bb.270:
	v_lshlrev_b32_e32 v15, 3, v9
	ds_read_b64 v[15:16], v15 offset:25984
	ds_read_b64 v[17:18], v11
	s_waitcnt lgkmcnt(0)
	v_mul_f32_e32 v19, v18, v16
	v_mul_f32_e32 v16, v17, v16
	v_fma_f32 v17, v17, v15, -v19
	v_fmac_f32_e32 v16, v18, v15
	v_sub_f32_e32 v3, v3, v17
	v_sub_f32_e32 v4, v4, v16
.LBB149_271:
	s_or_b64 exec, exec, s[6:7]
	s_barrier
	s_and_saveexec_b64 s[6:7], s[58:59]
	s_cbranch_execz .LBB149_273
; %bb.272:
	v_mov_b32_e32 v15, 0
	ds_read_b64 v[15:16], v15 offset:25480
	s_waitcnt lgkmcnt(0)
	v_mul_f32_e32 v17, v4, v16
	v_mul_f32_e32 v18, v3, v16
	v_fma_f32 v3, v3, v15, -v17
	v_fmac_f32_e32 v18, v4, v15
	v_xor_b32_e32 v15, 0x80000000, v3
	v_xor_b32_e32 v16, 0x80000000, v18
	v_mov_b32_e32 v4, v18
	ds_write_b64 v11, v[15:16]
.LBB149_273:
	s_or_b64 exec, exec, s[6:7]
	s_waitcnt lgkmcnt(0)
	s_barrier
	s_and_saveexec_b64 s[6:7], s[48:49]
	s_cbranch_execz .LBB149_275
; %bb.274:
	v_mov_b32_e32 v15, 0
	ds_read_b64 v[15:16], v15 offset:25472
	ds_read_b64 v[17:18], v11
	s_waitcnt lgkmcnt(0)
	v_mul_f32_e32 v19, v18, v16
	v_mul_f32_e32 v16, v17, v16
	v_fma_f32 v17, v17, v15, -v19
	v_fmac_f32_e32 v16, v18, v15
	v_sub_f32_e32 v3, v3, v17
	v_sub_f32_e32 v4, v4, v16
.LBB149_275:
	s_or_b64 exec, exec, s[6:7]
	s_barrier
	s_and_saveexec_b64 s[6:7], s[48:49]
	s_cbranch_execz .LBB149_277
; %bb.276:
	v_mov_b32_e32 v15, 0
	ds_read_b64 v[15:16], v15 offset:24960
	s_waitcnt lgkmcnt(0)
	v_mul_f32_e32 v17, v4, v16
	v_mul_f32_e32 v18, v3, v16
	v_fma_f32 v3, v3, v15, -v17
	v_fmac_f32_e32 v18, v4, v15
	v_xor_b32_e32 v15, 0x80000000, v3
	v_xor_b32_e32 v16, 0x80000000, v18
	v_mov_b32_e32 v4, v18
	ds_write_b64 v11, v[15:16]
.LBB149_277:
	s_or_b64 exec, exec, s[6:7]
	s_waitcnt lgkmcnt(0)
	s_barrier
	s_barrier
	s_and_saveexec_b64 s[6:7], s[10:11]
; %bb.278:
	v_lshlrev_b32_e32 v15, 3, v9
	v_lshl_or_b32 v15, v10, 9, v15
	ds_write_b64 v15, v[3:4] offset:27008
; %bb.279:
	s_or_b64 exec, exec, s[6:7]
	s_waitcnt lgkmcnt(0)
	s_barrier
	s_barrier
	s_and_saveexec_b64 s[6:7], s[60:61]
	s_cbranch_execz .LBB149_281
; %bb.280:
	v_lshlrev_b32_e32 v15, 9, v0
	ds_read_b64 v[3:4], v15 offset:27008
	s_movk_i32 s14, 0xfe08
	v_mad_i32_i24 v16, v0, s14, v15
	s_waitcnt lgkmcnt(0)
	ds_write_b64 v16, v[3:4] offset:24992
	ds_read_b64 v[3:4], v15 offset:27016
	s_waitcnt lgkmcnt(0)
	ds_write_b64 v16, v[3:4] offset:25504
	ds_read_b64 v[3:4], v15 offset:27024
	;; [unrolled: 3-line block ×3, first 2 shown]
	s_waitcnt lgkmcnt(0)
	ds_write_b64 v16, v[3:4] offset:26528
.LBB149_281:
	s_or_b64 exec, exec, s[6:7]
	s_waitcnt lgkmcnt(0)
	s_barrier
	s_and_saveexec_b64 s[6:7], vcc
	s_cbranch_execz .LBB149_283
; %bb.282:
	s_movk_i32 s14, 0x190
	v_mov_b32_e32 v3, 0
	v_add_u32_e64 v15, s14, 0
	ds_read_b64 v[3:4], v3 offset:26520
	ds_read2st64_b64 v[15:18], v15 offset0:50 offset1:51
	s_movk_i32 s14, 0x6000
	s_waitcnt lgkmcnt(0)
	v_mul_f32_e32 v19, v4, v16
	v_mul_f32_e32 v16, v3, v16
	v_fma_f32 v19, v3, v15, -v19
	v_fmac_f32_e32 v16, v4, v15
	v_mul_f32_e32 v3, v16, v18
	v_mul_f32_e32 v4, v19, v18
	v_fma_f32 v3, v19, v17, -v3
	v_fmac_f32_e32 v4, v16, v17
	v_add_u32_e64 v15, s14, 0
	ds_write2_b64 v15, v[3:4], v[3:4] offset0:179 offset1:242
.LBB149_283:
	s_or_b64 exec, exec, s[6:7]
	v_mov_b32_e32 v3, 0
	v_mov_b32_e32 v4, 0
	s_waitcnt lgkmcnt(0)
	s_barrier
	buffer_wbinvl1_vol
	s_and_saveexec_b64 s[6:7], s[22:23]
	s_cbranch_execz .LBB149_287
; %bb.284:
	v_lshlrev_b32_e32 v3, 3, v5
	v_lshlrev_b32_e32 v15, 9, v6
	ds_read_b64 v[3:4], v3 offset:25984
	ds_read_b64 v[15:16], v15 offset:26000
	v_cmp_gt_u32_e64 s[14:15], 2, v8
	s_waitcnt lgkmcnt(0)
	v_mul_f32_e32 v17, v16, v4
	v_mul_f32_e32 v4, v15, v4
	v_fma_f32 v15, v15, v3, -v17
	v_fmac_f32_e32 v4, v16, v3
	v_add_f32_e32 v3, 0, v15
	v_add_f32_e32 v4, 0, v4
	s_and_saveexec_b64 s[18:19], s[14:15]
	s_cbranch_execz .LBB149_286
; %bb.285:
	v_lshlrev_b32_e32 v15, 3, v0
	v_mov_b32_e32 v17, 0
	ds_read_b64 v[15:16], v15 offset:26496
	ds_read_b64 v[17:18], v17 offset:26520
	s_waitcnt lgkmcnt(0)
	v_mul_f32_e32 v19, v18, v16
	v_mul_f32_e32 v16, v17, v16
	v_fma_f32 v17, v17, v15, -v19
	v_fmac_f32_e32 v16, v18, v15
	v_add_f32_e32 v3, v3, v17
	v_add_f32_e32 v4, v4, v16
.LBB149_286:
	s_or_b64 exec, exec, s[18:19]
.LBB149_287:
	s_or_b64 exec, exec, s[6:7]
	s_and_saveexec_b64 s[6:7], s[44:45]
	s_cbranch_execz .LBB149_289
; %bb.288:
	v_mov_b32_e32 v15, 0
	ds_read_b64 v[15:16], v15 offset:25480
	s_waitcnt lgkmcnt(0)
	v_mul_f32_e32 v17, v4, v16
	v_mul_f32_e32 v18, v3, v16
	v_fma_f32 v3, v3, v15, -v17
	v_fmac_f32_e32 v18, v4, v15
	v_xor_b32_e32 v15, 0x80000000, v3
	v_xor_b32_e32 v16, 0x80000000, v18
	v_mov_b32_e32 v4, v18
	ds_write_b64 v7, v[15:16]
.LBB149_289:
	s_or_b64 exec, exec, s[6:7]
	s_waitcnt lgkmcnt(0)
	s_barrier
	s_and_saveexec_b64 s[6:7], s[42:43]
	s_cbranch_execz .LBB149_291
; %bb.290:
	v_mov_b32_e32 v15, 0
	ds_read_b64 v[15:16], v15 offset:25472
	ds_read_b64 v[17:18], v7
	s_waitcnt lgkmcnt(0)
	v_mul_f32_e32 v19, v18, v16
	v_mul_f32_e32 v16, v17, v16
	v_fma_f32 v17, v17, v15, -v19
	v_fmac_f32_e32 v16, v18, v15
	v_sub_f32_e32 v3, v3, v17
	v_sub_f32_e32 v4, v4, v16
.LBB149_291:
	s_or_b64 exec, exec, s[6:7]
	s_barrier
	s_and_saveexec_b64 s[6:7], s[42:43]
	s_cbranch_execz .LBB149_293
; %bb.292:
	v_mov_b32_e32 v15, 0
	ds_read_b64 v[15:16], v15 offset:24960
	s_waitcnt lgkmcnt(0)
	v_mul_f32_e32 v17, v4, v16
	v_mul_f32_e32 v18, v3, v16
	v_fma_f32 v3, v3, v15, -v17
	v_fmac_f32_e32 v18, v4, v15
	v_xor_b32_e32 v15, 0x80000000, v3
	v_xor_b32_e32 v16, 0x80000000, v18
	v_mov_b32_e32 v4, v18
	ds_write_b64 v7, v[15:16]
.LBB149_293:
	s_or_b64 exec, exec, s[6:7]
	s_waitcnt lgkmcnt(0)
	s_barrier
	s_barrier
	s_and_saveexec_b64 s[6:7], s[22:23]
; %bb.294:
	v_lshlrev_b32_e32 v15, 3, v5
	v_lshl_or_b32 v15, v6, 9, v15
	ds_write_b64 v15, v[3:4] offset:25984
; %bb.295:
	s_or_b64 exec, exec, s[6:7]
	s_waitcnt lgkmcnt(0)
	s_barrier
	s_barrier
	s_and_saveexec_b64 s[6:7], s[46:47]
	s_cbranch_execz .LBB149_297
; %bb.296:
	v_lshlrev_b32_e32 v15, 3, v0
	s_movk_i32 s14, 0x1f8
	v_mad_u32_u24 v16, v0, s14, v15
	ds_read_b64 v[3:4], v16 offset:25984
	s_waitcnt lgkmcnt(0)
	ds_write_b64 v15, v[3:4] offset:24976
	ds_read_b64 v[3:4], v16 offset:25992
	s_waitcnt lgkmcnt(0)
	ds_write_b64 v15, v[3:4] offset:25488
.LBB149_297:
	s_or_b64 exec, exec, s[6:7]
	s_waitcnt lgkmcnt(0)
	s_barrier
	s_and_saveexec_b64 s[6:7], vcc
	s_cbranch_execz .LBB149_299
; %bb.298:
	s_movk_i32 s14, 0x180
	v_mov_b32_e32 v3, 0
	v_add_u32_e64 v15, s14, 0
	ds_read_b64 v[3:4], v3 offset:25480
	ds_read2st64_b64 v[15:18], v15 offset0:48 offset1:49
	s_movk_i32 s14, 0x6000
	s_waitcnt lgkmcnt(0)
	v_mul_f32_e32 v19, v4, v16
	v_mul_f32_e32 v16, v3, v16
	v_fma_f32 v19, v3, v15, -v19
	v_fmac_f32_e32 v16, v4, v15
	v_mul_f32_e32 v3, v16, v18
	v_mul_f32_e32 v4, v19, v18
	v_fma_f32 v3, v19, v17, -v3
	v_fmac_f32_e32 v4, v16, v17
	v_add_u32_e64 v15, s14, 0
	ds_write2_b64 v15, v[3:4], v[3:4] offset0:49 offset1:112
.LBB149_299:
	s_or_b64 exec, exec, s[6:7]
	s_movk_i32 s6, 0xff
	v_lshrrev_b32_e32 v17, 4, v8
	v_cmp_lt_u32_e64 s[18:19], s6, v8
	s_movk_i32 s6, 0x100
	v_and_b32_e32 v15, 15, v0
	v_sub_u32_e32 v16, 15, v17
	v_cmp_gt_u32_e64 s[14:15], s6, v8
	v_mov_b32_e32 v4, 0
	v_mov_b32_e32 v3, 0
	s_waitcnt lgkmcnt(0)
	s_barrier
	buffer_wbinvl1_vol
	s_and_saveexec_b64 s[6:7], s[14:15]
	s_cbranch_execz .LBB149_327
; %bb.300:
	v_lshlrev_b32_e32 v18, 3, v15
	v_lshlrev_b32_e32 v19, 9, v16
	ds_read_b64 v[3:4], v18 offset:24832
	ds_read_b64 v[20:21], v19 offset:24960
	s_movk_i32 s20, 0xf0
	v_cmp_gt_u32_e64 s[20:21], s20, v8
	s_waitcnt lgkmcnt(0)
	v_mul_f32_e32 v22, v21, v4
	v_mul_f32_e32 v4, v20, v4
	v_fma_f32 v20, v20, v3, -v22
	v_fmac_f32_e32 v4, v21, v3
	v_add_f32_e32 v3, 0, v20
	v_add_f32_e32 v4, 0, v4
	s_and_saveexec_b64 s[24:25], s[20:21]
	s_cbranch_execz .LBB149_302
; %bb.301:
	ds_read_b64 v[20:21], v18 offset:25344
	ds_read_b64 v[22:23], v19 offset:24968
	s_waitcnt lgkmcnt(0)
	v_mul_f32_e32 v24, v23, v21
	v_mul_f32_e32 v21, v22, v21
	v_fma_f32 v22, v22, v20, -v24
	v_fmac_f32_e32 v21, v23, v20
	v_add_f32_e32 v3, v3, v22
	v_add_f32_e32 v4, v4, v21
.LBB149_302:
	s_or_b64 exec, exec, s[24:25]
	s_movk_i32 s20, 0xe0
	v_cmp_gt_u32_e64 s[20:21], s20, v8
	s_and_saveexec_b64 s[24:25], s[20:21]
	s_cbranch_execz .LBB149_304
; %bb.303:
	ds_read_b64 v[20:21], v18 offset:25856
	ds_read_b64 v[22:23], v19 offset:24976
	s_waitcnt lgkmcnt(0)
	v_mul_f32_e32 v24, v23, v21
	v_mul_f32_e32 v21, v22, v21
	v_fma_f32 v22, v22, v20, -v24
	v_fmac_f32_e32 v21, v23, v20
	v_add_f32_e32 v3, v3, v22
	v_add_f32_e32 v4, v4, v21
.LBB149_304:
	s_or_b64 exec, exec, s[24:25]
	s_movk_i32 s20, 0xd0
	v_cmp_gt_u32_e64 s[20:21], s20, v8
	;; [unrolled: 16-line block ×10, first 2 shown]
	s_and_saveexec_b64 s[24:25], s[20:21]
	s_cbranch_execnz .LBB149_1126
; %bb.321:
	s_or_b64 exec, exec, s[24:25]
	s_and_saveexec_b64 s[20:21], s[12:13]
	s_cbranch_execnz .LBB149_1127
.LBB149_322:
	s_or_b64 exec, exec, s[20:21]
	v_cmp_gt_u32_e64 s[20:21], 48, v8
	s_and_saveexec_b64 s[24:25], s[20:21]
	s_cbranch_execnz .LBB149_1128
.LBB149_323:
	s_or_b64 exec, exec, s[24:25]
	v_cmp_gt_u32_e64 s[20:21], 32, v8
	s_and_saveexec_b64 s[24:25], s[20:21]
	s_cbranch_execnz .LBB149_1129
.LBB149_324:
	s_or_b64 exec, exec, s[24:25]
	v_cmp_gt_u32_e64 s[20:21], 16, v8
	s_and_saveexec_b64 s[24:25], s[20:21]
	s_cbranch_execz .LBB149_326
.LBB149_325:
	v_lshlrev_b32_e32 v18, 3, v0
	v_mov_b32_e32 v20, 0
	ds_read_b64 v[18:19], v18 offset:32512
	ds_read_b64 v[20:21], v20 offset:32760
	s_waitcnt lgkmcnt(0)
	v_mul_f32_e32 v22, v21, v19
	v_mul_f32_e32 v19, v20, v19
	v_fma_f32 v20, v20, v18, -v22
	v_fmac_f32_e32 v19, v21, v18
	v_add_f32_e32 v3, v3, v20
	v_add_f32_e32 v4, v4, v19
.LBB149_326:
	s_or_b64 exec, exec, s[24:25]
.LBB149_327:
	s_or_b64 exec, exec, s[6:7]
	v_mov_b32_e32 v18, 0x8000
	v_lshl_add_u32 v17, v17, 3, v18
	v_cmp_eq_u32_e64 s[20:21], 15, v15
	s_xor_b64 s[6:7], s[18:19], -1
	s_and_b64 s[20:21], s[20:21], s[6:7]
	s_mov_b64 s[18:19], exec
	v_writelane_b32 v30, s20, 7
	v_writelane_b32 v30, s21, 8
	s_and_b64 s[20:21], s[18:19], s[20:21]
	s_mov_b64 exec, s[20:21]
	s_cbranch_execz .LBB149_329
; %bb.328:
	v_mov_b32_e32 v18, 0
	ds_read_b64 v[18:19], v18 offset:24440
	s_waitcnt lgkmcnt(0)
	v_mul_f32_e32 v20, v4, v19
	v_mul_f32_e32 v21, v3, v19
	v_fma_f32 v3, v3, v18, -v20
	v_fmac_f32_e32 v21, v4, v18
	v_xor_b32_e32 v18, 0x80000000, v3
	v_xor_b32_e32 v19, 0x80000000, v21
	v_mov_b32_e32 v4, v21
	ds_write_b64 v17, v[18:19]
.LBB149_329:
	s_or_b64 exec, exec, s[18:19]
	v_cmp_ne_u32_e64 s[18:19], 15, v15
	s_waitcnt lgkmcnt(0)
	s_barrier
	s_and_b64 s[20:21], s[18:19], s[6:7]
	s_mov_b64 s[18:19], exec
	v_writelane_b32 v30, s20, 9
	v_writelane_b32 v30, s21, 10
	s_and_b64 s[20:21], s[18:19], s[20:21]
	s_mov_b64 exec, s[20:21]
	s_cbranch_execz .LBB149_331
; %bb.330:
	v_lshlrev_b32_e32 v18, 3, v15
	ds_read_b64 v[18:19], v18 offset:24320
	ds_read_b64 v[20:21], v17
	s_waitcnt lgkmcnt(0)
	v_mul_f32_e32 v22, v21, v19
	v_mul_f32_e32 v19, v20, v19
	v_fma_f32 v20, v20, v18, -v22
	v_fmac_f32_e32 v19, v21, v18
	v_sub_f32_e32 v3, v3, v20
	v_sub_f32_e32 v4, v4, v19
.LBB149_331:
	s_or_b64 exec, exec, s[18:19]
	v_cmp_eq_u32_e64 s[18:19], 14, v15
	s_barrier
	s_and_b64 s[20:21], s[18:19], s[6:7]
	s_mov_b64 s[18:19], exec
	v_writelane_b32 v30, s20, 11
	v_writelane_b32 v30, s21, 12
	s_and_b64 s[20:21], s[18:19], s[20:21]
	s_mov_b64 exec, s[20:21]
	s_cbranch_execz .LBB149_333
; %bb.332:
	v_mov_b32_e32 v18, 0
	ds_read_b64 v[18:19], v18 offset:23920
	s_waitcnt lgkmcnt(0)
	v_mul_f32_e32 v20, v4, v19
	v_mul_f32_e32 v21, v3, v19
	v_fma_f32 v3, v3, v18, -v20
	v_fmac_f32_e32 v21, v4, v18
	v_xor_b32_e32 v18, 0x80000000, v3
	v_xor_b32_e32 v19, 0x80000000, v21
	v_mov_b32_e32 v4, v21
	ds_write_b64 v17, v[18:19]
.LBB149_333:
	s_or_b64 exec, exec, s[18:19]
	v_cmp_gt_u32_e64 s[18:19], 14, v15
	s_waitcnt lgkmcnt(0)
	s_barrier
	s_and_b64 s[20:21], s[18:19], s[6:7]
	s_mov_b64 s[18:19], exec
	v_writelane_b32 v30, s20, 13
	v_writelane_b32 v30, s21, 14
	s_and_b64 s[20:21], s[18:19], s[20:21]
	s_mov_b64 exec, s[20:21]
	s_cbranch_execz .LBB149_335
; %bb.334:
	v_lshlrev_b32_e32 v18, 3, v15
	ds_read_b64 v[18:19], v18 offset:23808
	ds_read_b64 v[20:21], v17
	s_waitcnt lgkmcnt(0)
	v_mul_f32_e32 v22, v21, v19
	v_mul_f32_e32 v19, v20, v19
	v_fma_f32 v20, v20, v18, -v22
	v_fmac_f32_e32 v19, v21, v18
	v_sub_f32_e32 v3, v3, v20
	v_sub_f32_e32 v4, v4, v19
.LBB149_335:
	s_or_b64 exec, exec, s[18:19]
	v_cmp_eq_u32_e64 s[18:19], 13, v15
	s_barrier
	s_and_b64 s[20:21], s[18:19], s[6:7]
	s_mov_b64 s[18:19], exec
	v_writelane_b32 v30, s20, 15
	v_writelane_b32 v30, s21, 16
	s_and_b64 s[20:21], s[18:19], s[20:21]
	s_mov_b64 exec, s[20:21]
	s_cbranch_execz .LBB149_337
; %bb.336:
	v_mov_b32_e32 v18, 0
	ds_read_b64 v[18:19], v18 offset:23400
	s_waitcnt lgkmcnt(0)
	v_mul_f32_e32 v20, v4, v19
	v_mul_f32_e32 v21, v3, v19
	v_fma_f32 v3, v3, v18, -v20
	v_fmac_f32_e32 v21, v4, v18
	v_xor_b32_e32 v18, 0x80000000, v3
	v_xor_b32_e32 v19, 0x80000000, v21
	v_mov_b32_e32 v4, v21
	ds_write_b64 v17, v[18:19]
.LBB149_337:
	s_or_b64 exec, exec, s[18:19]
	v_cmp_gt_u32_e64 s[18:19], 13, v15
	;; [unrolled: 46-line block ×13, first 2 shown]
	s_waitcnt lgkmcnt(0)
	s_barrier
	s_and_b64 s[20:21], s[18:19], s[6:7]
	s_mov_b64 s[18:19], exec
	v_writelane_b32 v30, s20, 61
	v_writelane_b32 v30, s21, 62
	s_and_b64 s[20:21], s[18:19], s[20:21]
	s_mov_b64 exec, s[20:21]
	s_cbranch_execz .LBB149_383
; %bb.382:
	v_lshlrev_b32_e32 v18, 3, v15
	ds_read_b64 v[18:19], v18 offset:17664
	ds_read_b64 v[20:21], v17
	s_waitcnt lgkmcnt(0)
	v_mul_f32_e32 v22, v21, v19
	v_mul_f32_e32 v19, v20, v19
	v_fma_f32 v20, v20, v18, -v22
	v_fmac_f32_e32 v19, v21, v18
	v_sub_f32_e32 v3, v3, v20
	v_sub_f32_e32 v4, v4, v19
.LBB149_383:
	s_or_b64 exec, exec, s[18:19]
	v_cmp_eq_u32_e64 s[18:19], 1, v15
	s_and_b64 s[96:97], s[18:19], s[6:7]
	s_barrier
	s_and_saveexec_b64 s[18:19], s[96:97]
	s_cbranch_execz .LBB149_385
; %bb.384:
	v_mov_b32_e32 v18, 0
	ds_read_b64 v[18:19], v18 offset:17160
	s_waitcnt lgkmcnt(0)
	v_mul_f32_e32 v20, v4, v19
	v_mul_f32_e32 v21, v3, v19
	v_fma_f32 v3, v3, v18, -v20
	v_fmac_f32_e32 v21, v4, v18
	v_xor_b32_e32 v18, 0x80000000, v3
	v_xor_b32_e32 v19, 0x80000000, v21
	v_mov_b32_e32 v4, v21
	ds_write_b64 v17, v[18:19]
.LBB149_385:
	s_or_b64 exec, exec, s[18:19]
	v_cmp_eq_u32_e64 s[18:19], 0, v15
	s_and_b64 s[38:39], s[18:19], s[6:7]
	s_waitcnt lgkmcnt(0)
	s_barrier
	s_and_saveexec_b64 s[6:7], s[38:39]
	s_cbranch_execz .LBB149_387
; %bb.386:
	v_mov_b32_e32 v18, 0
	ds_read_b64 v[18:19], v18 offset:17152
	ds_read_b64 v[20:21], v17
	s_waitcnt lgkmcnt(0)
	v_mul_f32_e32 v22, v21, v19
	v_mul_f32_e32 v19, v20, v19
	v_fma_f32 v20, v20, v18, -v22
	v_fmac_f32_e32 v19, v21, v18
	v_sub_f32_e32 v3, v3, v20
	v_sub_f32_e32 v4, v4, v19
.LBB149_387:
	s_or_b64 exec, exec, s[6:7]
	s_barrier
	s_and_saveexec_b64 s[6:7], s[38:39]
	s_cbranch_execz .LBB149_389
; %bb.388:
	v_mov_b32_e32 v18, 0
	ds_read_b64 v[18:19], v18 offset:16640
	s_waitcnt lgkmcnt(0)
	v_mul_f32_e32 v20, v4, v19
	v_mul_f32_e32 v21, v3, v19
	v_fma_f32 v3, v3, v18, -v20
	v_fmac_f32_e32 v21, v4, v18
	v_xor_b32_e32 v18, 0x80000000, v3
	v_xor_b32_e32 v19, 0x80000000, v21
	v_mov_b32_e32 v4, v21
	ds_write_b64 v17, v[18:19]
.LBB149_389:
	s_or_b64 exec, exec, s[6:7]
	s_waitcnt lgkmcnt(0)
	s_barrier
	s_barrier
	s_and_saveexec_b64 s[6:7], s[14:15]
; %bb.390:
	v_lshlrev_b32_e32 v18, 3, v15
	v_lshl_or_b32 v18, v16, 9, v18
	ds_write_b64 v18, v[3:4] offset:24832
; %bb.391:
	s_or_b64 exec, exec, s[6:7]
	v_cmp_gt_u32_e64 s[18:19], 16, v0
	s_and_b64 s[6:7], s[16:17], s[18:19]
	s_waitcnt lgkmcnt(0)
	s_barrier
	s_barrier
	s_and_saveexec_b64 s[18:19], s[6:7]
	s_cbranch_execz .LBB149_393
; %bb.392:
	v_lshlrev_b32_e32 v18, 9, v0
	ds_read_b64 v[3:4], v18 offset:24832
	s_movk_i32 s20, 0xfe08
	v_mad_i32_i24 v19, v0, s20, v18
	s_waitcnt lgkmcnt(0)
	ds_write_b64 v19, v[3:4] offset:16768
	ds_read_b64 v[3:4], v18 offset:24840
	s_waitcnt lgkmcnt(0)
	ds_write_b64 v19, v[3:4] offset:17280
	ds_read_b64 v[3:4], v18 offset:24848
	;; [unrolled: 3-line block ×15, first 2 shown]
	s_waitcnt lgkmcnt(0)
	ds_write_b64 v19, v[3:4] offset:24448
.LBB149_393:
	s_or_b64 exec, exec, s[18:19]
	s_waitcnt lgkmcnt(0)
	s_barrier
	s_and_saveexec_b64 s[18:19], vcc
	s_cbranch_execz .LBB149_395
; %bb.394:
	s_movk_i32 s20, 0x170
	v_mov_b32_e32 v3, 0
	v_add_u32_e64 v18, s20, 0
	ds_read_b64 v[3:4], v3 offset:24440
	ds_read2st64_b64 v[18:21], v18 offset0:46 offset1:47
	s_movk_i32 s20, 0x5800
	s_waitcnt lgkmcnt(0)
	v_mul_f32_e32 v22, v4, v19
	v_mul_f32_e32 v19, v3, v19
	v_fma_f32 v22, v3, v18, -v22
	v_fmac_f32_e32 v19, v4, v18
	v_mul_f32_e32 v3, v19, v21
	v_mul_f32_e32 v4, v22, v21
	v_fma_f32 v3, v22, v20, -v3
	v_fmac_f32_e32 v4, v19, v20
	v_add_u32_e64 v18, s20, 0
	ds_write2_b64 v18, v[3:4], v[3:4] offset0:175 offset1:238
.LBB149_395:
	s_or_b64 exec, exec, s[18:19]
	v_mov_b32_e32 v3, 0
	v_mov_b32_e32 v4, 0
	s_waitcnt lgkmcnt(0)
	s_barrier
	buffer_wbinvl1_vol
	s_and_saveexec_b64 s[20:21], s[22:23]
	s_cbranch_execz .LBB149_399
; %bb.396:
	v_lshlrev_b32_e32 v3, 3, v5
	v_lshlrev_b32_e32 v18, 9, v6
	ds_read_b64 v[3:4], v3 offset:23904
	ds_read_b64 v[18:19], v18 offset:23920
	v_cmp_gt_u32_e64 s[18:19], 2, v8
	s_waitcnt lgkmcnt(0)
	v_mul_f32_e32 v20, v19, v4
	v_mul_f32_e32 v4, v18, v4
	v_fma_f32 v18, v18, v3, -v20
	v_fmac_f32_e32 v4, v19, v3
	v_add_f32_e32 v3, 0, v18
	v_add_f32_e32 v4, 0, v4
	s_and_saveexec_b64 s[24:25], s[18:19]
	s_cbranch_execz .LBB149_398
; %bb.397:
	v_lshlrev_b32_e32 v18, 3, v0
	v_mov_b32_e32 v20, 0
	ds_read_b64 v[18:19], v18 offset:24416
	ds_read_b64 v[20:21], v20 offset:24440
	s_waitcnt lgkmcnt(0)
	v_mul_f32_e32 v22, v21, v19
	v_mul_f32_e32 v19, v20, v19
	v_fma_f32 v20, v20, v18, -v22
	v_fmac_f32_e32 v19, v21, v18
	v_add_f32_e32 v3, v3, v20
	v_add_f32_e32 v4, v4, v19
.LBB149_398:
	s_or_b64 exec, exec, s[24:25]
.LBB149_399:
	s_or_b64 exec, exec, s[20:21]
	s_and_saveexec_b64 s[18:19], s[44:45]
	s_cbranch_execz .LBB149_401
; %bb.400:
	v_mov_b32_e32 v18, 0
	ds_read_b64 v[18:19], v18 offset:23400
	s_waitcnt lgkmcnt(0)
	v_mul_f32_e32 v20, v4, v19
	v_mul_f32_e32 v21, v3, v19
	v_fma_f32 v3, v3, v18, -v20
	v_fmac_f32_e32 v21, v4, v18
	v_xor_b32_e32 v18, 0x80000000, v3
	v_xor_b32_e32 v19, 0x80000000, v21
	v_mov_b32_e32 v4, v21
	ds_write_b64 v7, v[18:19]
.LBB149_401:
	s_or_b64 exec, exec, s[18:19]
	s_waitcnt lgkmcnt(0)
	s_barrier
	s_and_saveexec_b64 s[18:19], s[42:43]
	s_cbranch_execz .LBB149_403
; %bb.402:
	v_mov_b32_e32 v18, 0
	ds_read_b64 v[18:19], v18 offset:23392
	ds_read_b64 v[20:21], v7
	s_waitcnt lgkmcnt(0)
	v_mul_f32_e32 v22, v21, v19
	v_mul_f32_e32 v19, v20, v19
	v_fma_f32 v20, v20, v18, -v22
	v_fmac_f32_e32 v19, v21, v18
	v_sub_f32_e32 v3, v3, v20
	v_sub_f32_e32 v4, v4, v19
.LBB149_403:
	s_or_b64 exec, exec, s[18:19]
	s_barrier
	s_and_saveexec_b64 s[18:19], s[42:43]
	s_cbranch_execz .LBB149_405
; %bb.404:
	v_mov_b32_e32 v18, 0
	ds_read_b64 v[18:19], v18 offset:22880
	s_waitcnt lgkmcnt(0)
	v_mul_f32_e32 v20, v4, v19
	v_mul_f32_e32 v21, v3, v19
	v_fma_f32 v3, v3, v18, -v20
	v_fmac_f32_e32 v21, v4, v18
	v_xor_b32_e32 v18, 0x80000000, v3
	v_xor_b32_e32 v19, 0x80000000, v21
	v_mov_b32_e32 v4, v21
	ds_write_b64 v7, v[18:19]
.LBB149_405:
	s_or_b64 exec, exec, s[18:19]
	s_waitcnt lgkmcnt(0)
	s_barrier
	s_barrier
	s_and_saveexec_b64 s[18:19], s[22:23]
; %bb.406:
	v_lshlrev_b32_e32 v18, 3, v5
	v_lshl_or_b32 v18, v6, 9, v18
	ds_write_b64 v18, v[3:4] offset:23904
; %bb.407:
	s_or_b64 exec, exec, s[18:19]
	s_waitcnt lgkmcnt(0)
	s_barrier
	s_barrier
	s_and_saveexec_b64 s[18:19], s[46:47]
	s_cbranch_execz .LBB149_409
; %bb.408:
	v_lshlrev_b32_e32 v18, 3, v0
	s_movk_i32 s20, 0x1f8
	v_mad_u32_u24 v19, v0, s20, v18
	ds_read_b64 v[3:4], v19 offset:23904
	s_waitcnt lgkmcnt(0)
	ds_write_b64 v18, v[3:4] offset:22896
	ds_read_b64 v[3:4], v19 offset:23912
	s_waitcnt lgkmcnt(0)
	ds_write_b64 v18, v[3:4] offset:23408
.LBB149_409:
	s_or_b64 exec, exec, s[18:19]
	s_waitcnt lgkmcnt(0)
	s_barrier
	s_and_saveexec_b64 s[18:19], vcc
	s_cbranch_execz .LBB149_411
; %bb.410:
	s_movk_i32 s20, 0x160
	v_mov_b32_e32 v3, 0
	v_add_u32_e64 v18, s20, 0
	ds_read_b64 v[3:4], v3 offset:23400
	ds_read2st64_b64 v[18:21], v18 offset0:44 offset1:45
	s_movk_i32 s20, 0x5800
	s_waitcnt lgkmcnt(0)
	v_mul_f32_e32 v22, v4, v19
	v_mul_f32_e32 v19, v3, v19
	v_fma_f32 v22, v3, v18, -v22
	v_fmac_f32_e32 v19, v4, v18
	v_mul_f32_e32 v3, v19, v21
	v_mul_f32_e32 v4, v22, v21
	v_fma_f32 v3, v22, v20, -v3
	v_fmac_f32_e32 v4, v19, v20
	v_add_u32_e64 v18, s20, 0
	ds_write2_b64 v18, v[3:4], v[3:4] offset0:45 offset1:108
.LBB149_411:
	s_or_b64 exec, exec, s[18:19]
	v_mov_b32_e32 v4, 0
	v_mov_b32_e32 v3, 0
	s_waitcnt lgkmcnt(0)
	s_barrier
	buffer_wbinvl1_vol
	s_and_saveexec_b64 s[20:21], s[10:11]
	s_cbranch_execz .LBB149_417
; %bb.412:
	v_lshlrev_b32_e32 v18, 3, v9
	v_lshlrev_b32_e32 v19, 9, v10
	ds_read_b64 v[3:4], v18 offset:22848
	ds_read_b64 v[20:21], v19 offset:22880
	v_cmp_gt_u32_e64 s[18:19], 12, v8
	s_waitcnt lgkmcnt(0)
	v_mul_f32_e32 v22, v21, v4
	v_mul_f32_e32 v4, v20, v4
	v_fma_f32 v20, v20, v3, -v22
	v_fmac_f32_e32 v4, v21, v3
	v_add_f32_e32 v3, 0, v20
	v_add_f32_e32 v4, 0, v4
	s_and_saveexec_b64 s[24:25], s[18:19]
	s_cbranch_execnz .LBB149_1130
; %bb.413:
	s_or_b64 exec, exec, s[24:25]
	v_cmp_gt_u32_e64 s[18:19], 8, v8
	s_and_saveexec_b64 s[24:25], s[18:19]
	s_cbranch_execnz .LBB149_1131
.LBB149_414:
	s_or_b64 exec, exec, s[24:25]
	v_cmp_gt_u32_e64 s[18:19], 4, v8
	s_and_saveexec_b64 s[24:25], s[18:19]
	s_cbranch_execz .LBB149_416
.LBB149_415:
	v_lshlrev_b32_e32 v18, 3, v0
	v_mov_b32_e32 v20, 0
	ds_read_b64 v[18:19], v18 offset:24384
	ds_read_b64 v[20:21], v20 offset:24440
	s_waitcnt lgkmcnt(0)
	v_mul_f32_e32 v22, v21, v19
	v_mul_f32_e32 v19, v20, v19
	v_fma_f32 v20, v20, v18, -v22
	v_fmac_f32_e32 v19, v21, v18
	v_add_f32_e32 v3, v3, v20
	v_add_f32_e32 v4, v4, v19
.LBB149_416:
	s_or_b64 exec, exec, s[24:25]
.LBB149_417:
	s_or_b64 exec, exec, s[20:21]
	s_and_saveexec_b64 s[18:19], s[50:51]
	s_cbranch_execz .LBB149_419
; %bb.418:
	v_mov_b32_e32 v18, 0
	ds_read_b64 v[18:19], v18 offset:22360
	s_waitcnt lgkmcnt(0)
	v_mul_f32_e32 v20, v4, v19
	v_mul_f32_e32 v21, v3, v19
	v_fma_f32 v3, v3, v18, -v20
	v_fmac_f32_e32 v21, v4, v18
	v_xor_b32_e32 v18, 0x80000000, v3
	v_xor_b32_e32 v19, 0x80000000, v21
	v_mov_b32_e32 v4, v21
	ds_write_b64 v11, v[18:19]
.LBB149_419:
	s_or_b64 exec, exec, s[18:19]
	s_waitcnt lgkmcnt(0)
	s_barrier
	s_and_saveexec_b64 s[18:19], s[52:53]
	s_cbranch_execz .LBB149_421
; %bb.420:
	v_lshlrev_b32_e32 v18, 3, v9
	ds_read_b64 v[18:19], v18 offset:22336
	ds_read_b64 v[20:21], v11
	s_waitcnt lgkmcnt(0)
	v_mul_f32_e32 v22, v21, v19
	v_mul_f32_e32 v19, v20, v19
	v_fma_f32 v20, v20, v18, -v22
	v_fmac_f32_e32 v19, v21, v18
	v_sub_f32_e32 v3, v3, v20
	v_sub_f32_e32 v4, v4, v19
.LBB149_421:
	s_or_b64 exec, exec, s[18:19]
	s_barrier
	s_and_saveexec_b64 s[18:19], s[54:55]
	s_cbranch_execz .LBB149_423
; %bb.422:
	v_mov_b32_e32 v18, 0
	ds_read_b64 v[18:19], v18 offset:21840
	s_waitcnt lgkmcnt(0)
	v_mul_f32_e32 v20, v4, v19
	v_mul_f32_e32 v21, v3, v19
	v_fma_f32 v3, v3, v18, -v20
	v_fmac_f32_e32 v21, v4, v18
	v_xor_b32_e32 v18, 0x80000000, v3
	v_xor_b32_e32 v19, 0x80000000, v21
	v_mov_b32_e32 v4, v21
	ds_write_b64 v11, v[18:19]
.LBB149_423:
	s_or_b64 exec, exec, s[18:19]
	s_waitcnt lgkmcnt(0)
	s_barrier
	s_and_saveexec_b64 s[18:19], s[56:57]
	s_cbranch_execz .LBB149_425
; %bb.424:
	v_lshlrev_b32_e32 v18, 3, v9
	ds_read_b64 v[18:19], v18 offset:21824
	ds_read_b64 v[20:21], v11
	s_waitcnt lgkmcnt(0)
	v_mul_f32_e32 v22, v21, v19
	v_mul_f32_e32 v19, v20, v19
	v_fma_f32 v20, v20, v18, -v22
	v_fmac_f32_e32 v19, v21, v18
	v_sub_f32_e32 v3, v3, v20
	v_sub_f32_e32 v4, v4, v19
.LBB149_425:
	s_or_b64 exec, exec, s[18:19]
	s_barrier
	s_and_saveexec_b64 s[18:19], s[58:59]
	s_cbranch_execz .LBB149_427
; %bb.426:
	v_mov_b32_e32 v18, 0
	ds_read_b64 v[18:19], v18 offset:21320
	s_waitcnt lgkmcnt(0)
	v_mul_f32_e32 v20, v4, v19
	v_mul_f32_e32 v21, v3, v19
	v_fma_f32 v3, v3, v18, -v20
	v_fmac_f32_e32 v21, v4, v18
	v_xor_b32_e32 v18, 0x80000000, v3
	v_xor_b32_e32 v19, 0x80000000, v21
	v_mov_b32_e32 v4, v21
	ds_write_b64 v11, v[18:19]
.LBB149_427:
	s_or_b64 exec, exec, s[18:19]
	s_waitcnt lgkmcnt(0)
	s_barrier
	s_and_saveexec_b64 s[18:19], s[48:49]
	s_cbranch_execz .LBB149_429
; %bb.428:
	v_mov_b32_e32 v18, 0
	ds_read_b64 v[18:19], v18 offset:21312
	ds_read_b64 v[20:21], v11
	s_waitcnt lgkmcnt(0)
	v_mul_f32_e32 v22, v21, v19
	v_mul_f32_e32 v19, v20, v19
	v_fma_f32 v20, v20, v18, -v22
	v_fmac_f32_e32 v19, v21, v18
	v_sub_f32_e32 v3, v3, v20
	v_sub_f32_e32 v4, v4, v19
.LBB149_429:
	s_or_b64 exec, exec, s[18:19]
	s_barrier
	s_and_saveexec_b64 s[18:19], s[48:49]
	s_cbranch_execz .LBB149_431
; %bb.430:
	v_mov_b32_e32 v18, 0
	ds_read_b64 v[18:19], v18 offset:20800
	s_waitcnt lgkmcnt(0)
	v_mul_f32_e32 v20, v4, v19
	v_mul_f32_e32 v21, v3, v19
	v_fma_f32 v3, v3, v18, -v20
	v_fmac_f32_e32 v21, v4, v18
	v_xor_b32_e32 v18, 0x80000000, v3
	v_xor_b32_e32 v19, 0x80000000, v21
	v_mov_b32_e32 v4, v21
	ds_write_b64 v11, v[18:19]
.LBB149_431:
	s_or_b64 exec, exec, s[18:19]
	s_waitcnt lgkmcnt(0)
	s_barrier
	s_barrier
	s_and_saveexec_b64 s[18:19], s[10:11]
; %bb.432:
	v_lshlrev_b32_e32 v18, 3, v9
	v_lshl_or_b32 v18, v10, 9, v18
	ds_write_b64 v18, v[3:4] offset:22848
; %bb.433:
	s_or_b64 exec, exec, s[18:19]
	s_waitcnt lgkmcnt(0)
	s_barrier
	s_barrier
	s_and_saveexec_b64 s[18:19], s[60:61]
	s_cbranch_execz .LBB149_435
; %bb.434:
	v_lshlrev_b32_e32 v18, 9, v0
	ds_read_b64 v[3:4], v18 offset:22848
	s_movk_i32 s20, 0xfe08
	v_mad_i32_i24 v19, v0, s20, v18
	s_waitcnt lgkmcnt(0)
	ds_write_b64 v19, v[3:4] offset:20832
	ds_read_b64 v[3:4], v18 offset:22856
	s_waitcnt lgkmcnt(0)
	ds_write_b64 v19, v[3:4] offset:21344
	ds_read_b64 v[3:4], v18 offset:22864
	;; [unrolled: 3-line block ×3, first 2 shown]
	s_waitcnt lgkmcnt(0)
	ds_write_b64 v19, v[3:4] offset:22368
.LBB149_435:
	s_or_b64 exec, exec, s[18:19]
	s_waitcnt lgkmcnt(0)
	s_barrier
	s_and_saveexec_b64 s[18:19], vcc
	s_cbranch_execz .LBB149_437
; %bb.436:
	s_movk_i32 s20, 0x150
	v_mov_b32_e32 v3, 0
	v_add_u32_e64 v18, s20, 0
	ds_read_b64 v[3:4], v3 offset:22360
	ds_read2st64_b64 v[18:21], v18 offset0:42 offset1:43
	s_movk_i32 s20, 0x5000
	s_waitcnt lgkmcnt(0)
	v_mul_f32_e32 v22, v4, v19
	v_mul_f32_e32 v19, v3, v19
	v_fma_f32 v22, v3, v18, -v22
	v_fmac_f32_e32 v19, v4, v18
	v_mul_f32_e32 v3, v19, v21
	v_mul_f32_e32 v4, v22, v21
	v_fma_f32 v3, v22, v20, -v3
	v_fmac_f32_e32 v4, v19, v20
	v_add_u32_e64 v18, s20, 0
	ds_write2_b64 v18, v[3:4], v[3:4] offset0:171 offset1:234
.LBB149_437:
	s_or_b64 exec, exec, s[18:19]
	v_mov_b32_e32 v3, 0
	v_mov_b32_e32 v4, 0
	s_waitcnt lgkmcnt(0)
	s_barrier
	buffer_wbinvl1_vol
	s_and_saveexec_b64 s[20:21], s[22:23]
	s_cbranch_execz .LBB149_441
; %bb.438:
	v_lshlrev_b32_e32 v3, 3, v5
	v_lshlrev_b32_e32 v18, 9, v6
	ds_read_b64 v[3:4], v3 offset:21824
	ds_read_b64 v[18:19], v18 offset:21840
	v_cmp_gt_u32_e64 s[18:19], 2, v8
	s_waitcnt lgkmcnt(0)
	v_mul_f32_e32 v20, v19, v4
	v_mul_f32_e32 v4, v18, v4
	v_fma_f32 v18, v18, v3, -v20
	v_fmac_f32_e32 v4, v19, v3
	v_add_f32_e32 v3, 0, v18
	v_add_f32_e32 v4, 0, v4
	s_and_saveexec_b64 s[24:25], s[18:19]
	s_cbranch_execz .LBB149_440
; %bb.439:
	v_lshlrev_b32_e32 v18, 3, v0
	v_mov_b32_e32 v20, 0
	ds_read_b64 v[18:19], v18 offset:22336
	ds_read_b64 v[20:21], v20 offset:22360
	s_waitcnt lgkmcnt(0)
	v_mul_f32_e32 v22, v21, v19
	v_mul_f32_e32 v19, v20, v19
	v_fma_f32 v20, v20, v18, -v22
	v_fmac_f32_e32 v19, v21, v18
	v_add_f32_e32 v3, v3, v20
	v_add_f32_e32 v4, v4, v19
.LBB149_440:
	s_or_b64 exec, exec, s[24:25]
.LBB149_441:
	s_or_b64 exec, exec, s[20:21]
	s_and_saveexec_b64 s[18:19], s[44:45]
	s_cbranch_execz .LBB149_443
; %bb.442:
	v_mov_b32_e32 v18, 0
	ds_read_b64 v[18:19], v18 offset:21320
	s_waitcnt lgkmcnt(0)
	v_mul_f32_e32 v20, v4, v19
	v_mul_f32_e32 v21, v3, v19
	v_fma_f32 v3, v3, v18, -v20
	v_fmac_f32_e32 v21, v4, v18
	v_xor_b32_e32 v18, 0x80000000, v3
	v_xor_b32_e32 v19, 0x80000000, v21
	v_mov_b32_e32 v4, v21
	ds_write_b64 v7, v[18:19]
.LBB149_443:
	s_or_b64 exec, exec, s[18:19]
	s_waitcnt lgkmcnt(0)
	s_barrier
	s_and_saveexec_b64 s[18:19], s[42:43]
	s_cbranch_execz .LBB149_445
; %bb.444:
	v_mov_b32_e32 v18, 0
	ds_read_b64 v[18:19], v18 offset:21312
	ds_read_b64 v[20:21], v7
	s_waitcnt lgkmcnt(0)
	v_mul_f32_e32 v22, v21, v19
	v_mul_f32_e32 v19, v20, v19
	v_fma_f32 v20, v20, v18, -v22
	v_fmac_f32_e32 v19, v21, v18
	v_sub_f32_e32 v3, v3, v20
	v_sub_f32_e32 v4, v4, v19
.LBB149_445:
	s_or_b64 exec, exec, s[18:19]
	s_barrier
	s_and_saveexec_b64 s[18:19], s[42:43]
	s_cbranch_execz .LBB149_447
; %bb.446:
	v_mov_b32_e32 v18, 0
	ds_read_b64 v[18:19], v18 offset:20800
	s_waitcnt lgkmcnt(0)
	v_mul_f32_e32 v20, v4, v19
	v_mul_f32_e32 v21, v3, v19
	v_fma_f32 v3, v3, v18, -v20
	v_fmac_f32_e32 v21, v4, v18
	v_xor_b32_e32 v18, 0x80000000, v3
	v_xor_b32_e32 v19, 0x80000000, v21
	v_mov_b32_e32 v4, v21
	ds_write_b64 v7, v[18:19]
.LBB149_447:
	s_or_b64 exec, exec, s[18:19]
	s_waitcnt lgkmcnt(0)
	s_barrier
	s_barrier
	s_and_saveexec_b64 s[18:19], s[22:23]
; %bb.448:
	v_lshlrev_b32_e32 v18, 3, v5
	v_lshl_or_b32 v18, v6, 9, v18
	ds_write_b64 v18, v[3:4] offset:21824
; %bb.449:
	s_or_b64 exec, exec, s[18:19]
	s_waitcnt lgkmcnt(0)
	s_barrier
	s_barrier
	s_and_saveexec_b64 s[18:19], s[46:47]
	s_cbranch_execz .LBB149_451
; %bb.450:
	v_lshlrev_b32_e32 v18, 3, v0
	s_movk_i32 s20, 0x1f8
	v_mad_u32_u24 v19, v0, s20, v18
	ds_read_b64 v[3:4], v19 offset:21824
	s_waitcnt lgkmcnt(0)
	ds_write_b64 v18, v[3:4] offset:20816
	ds_read_b64 v[3:4], v19 offset:21832
	s_waitcnt lgkmcnt(0)
	ds_write_b64 v18, v[3:4] offset:21328
.LBB149_451:
	s_or_b64 exec, exec, s[18:19]
	s_waitcnt lgkmcnt(0)
	s_barrier
	s_and_saveexec_b64 s[18:19], vcc
	s_cbranch_execz .LBB149_453
; %bb.452:
	s_movk_i32 s20, 0x140
	v_mov_b32_e32 v3, 0
	v_add_u32_e64 v18, s20, 0
	ds_read_b64 v[3:4], v3 offset:21320
	ds_read2st64_b64 v[18:21], v18 offset0:40 offset1:41
	s_movk_i32 s20, 0x5000
	s_waitcnt lgkmcnt(0)
	v_mul_f32_e32 v22, v4, v19
	v_mul_f32_e32 v19, v3, v19
	v_fma_f32 v22, v3, v18, -v22
	v_fmac_f32_e32 v19, v4, v18
	v_mul_f32_e32 v3, v19, v21
	v_mul_f32_e32 v4, v22, v21
	v_fma_f32 v3, v22, v20, -v3
	v_fmac_f32_e32 v4, v19, v20
	v_add_u32_e64 v18, s20, 0
	ds_write2_b64 v18, v[3:4], v[3:4] offset0:41 offset1:104
.LBB149_453:
	s_or_b64 exec, exec, s[18:19]
	v_mov_b32_e32 v4, 0
	v_mov_b32_e32 v3, 0
	s_waitcnt lgkmcnt(0)
	s_barrier
	buffer_wbinvl1_vol
	s_and_saveexec_b64 s[20:21], s[12:13]
	s_cbranch_execz .LBB149_463
; %bb.454:
	v_lshlrev_b32_e32 v18, 3, v12
	v_lshlrev_b32_e32 v19, 9, v13
	ds_read_b64 v[3:4], v18 offset:20736
	ds_read_b64 v[20:21], v19 offset:20800
	v_cmp_gt_u32_e64 s[18:19], 56, v8
	s_waitcnt lgkmcnt(0)
	v_mul_f32_e32 v22, v21, v4
	v_mul_f32_e32 v4, v20, v4
	v_fma_f32 v20, v20, v3, -v22
	v_fmac_f32_e32 v4, v21, v3
	v_add_f32_e32 v3, 0, v20
	v_add_f32_e32 v4, 0, v4
	s_and_saveexec_b64 s[24:25], s[18:19]
	s_cbranch_execnz .LBB149_1132
; %bb.455:
	s_or_b64 exec, exec, s[24:25]
	v_cmp_gt_u32_e64 s[18:19], 48, v8
	s_and_saveexec_b64 s[24:25], s[18:19]
	s_cbranch_execnz .LBB149_1133
.LBB149_456:
	s_or_b64 exec, exec, s[24:25]
	v_cmp_gt_u32_e64 s[18:19], 40, v8
	s_and_saveexec_b64 s[24:25], s[18:19]
	s_cbranch_execnz .LBB149_1134
.LBB149_457:
	s_or_b64 exec, exec, s[24:25]
	v_cmp_gt_u32_e64 s[18:19], 32, v8
	s_and_saveexec_b64 s[24:25], s[18:19]
	s_cbranch_execnz .LBB149_1135
.LBB149_458:
	s_or_b64 exec, exec, s[24:25]
	v_cmp_gt_u32_e64 s[18:19], 24, v8
	s_and_saveexec_b64 s[24:25], s[18:19]
	s_cbranch_execnz .LBB149_1136
.LBB149_459:
	s_or_b64 exec, exec, s[24:25]
	s_and_saveexec_b64 s[18:19], s[10:11]
	s_cbranch_execnz .LBB149_1137
.LBB149_460:
	s_or_b64 exec, exec, s[18:19]
	v_cmp_gt_u32_e64 s[18:19], 8, v8
	s_and_saveexec_b64 s[24:25], s[18:19]
	s_cbranch_execz .LBB149_462
.LBB149_461:
	v_lshlrev_b32_e32 v18, 3, v0
	v_mov_b32_e32 v20, 0
	ds_read_b64 v[18:19], v18 offset:24320
	ds_read_b64 v[20:21], v20 offset:24440
	s_waitcnt lgkmcnt(0)
	v_mul_f32_e32 v22, v21, v19
	v_mul_f32_e32 v19, v20, v19
	v_fma_f32 v20, v20, v18, -v22
	v_fmac_f32_e32 v19, v21, v18
	v_add_f32_e32 v3, v3, v20
	v_add_f32_e32 v4, v4, v19
.LBB149_462:
	s_or_b64 exec, exec, s[24:25]
.LBB149_463:
	s_or_b64 exec, exec, s[20:21]
	s_and_saveexec_b64 s[18:19], s[64:65]
	s_cbranch_execz .LBB149_465
; %bb.464:
	v_mov_b32_e32 v18, 0
	ds_read_b64 v[18:19], v18 offset:20280
	s_waitcnt lgkmcnt(0)
	v_mul_f32_e32 v20, v4, v19
	v_mul_f32_e32 v21, v3, v19
	v_fma_f32 v3, v3, v18, -v20
	v_fmac_f32_e32 v21, v4, v18
	v_xor_b32_e32 v18, 0x80000000, v3
	v_xor_b32_e32 v19, 0x80000000, v21
	v_mov_b32_e32 v4, v21
	ds_write_b64 v14, v[18:19]
.LBB149_465:
	s_or_b64 exec, exec, s[18:19]
	s_waitcnt lgkmcnt(0)
	s_barrier
	s_and_saveexec_b64 s[18:19], s[66:67]
	s_cbranch_execz .LBB149_467
; %bb.466:
	v_lshlrev_b32_e32 v18, 3, v12
	ds_read_b64 v[18:19], v18 offset:20224
	ds_read_b64 v[20:21], v14
	s_waitcnt lgkmcnt(0)
	v_mul_f32_e32 v22, v21, v19
	v_mul_f32_e32 v19, v20, v19
	v_fma_f32 v20, v20, v18, -v22
	v_fmac_f32_e32 v19, v21, v18
	v_sub_f32_e32 v3, v3, v20
	v_sub_f32_e32 v4, v4, v19
.LBB149_467:
	s_or_b64 exec, exec, s[18:19]
	s_barrier
	s_and_saveexec_b64 s[18:19], s[68:69]
	s_cbranch_execz .LBB149_469
; %bb.468:
	v_mov_b32_e32 v18, 0
	ds_read_b64 v[18:19], v18 offset:19760
	s_waitcnt lgkmcnt(0)
	v_mul_f32_e32 v20, v4, v19
	v_mul_f32_e32 v21, v3, v19
	v_fma_f32 v3, v3, v18, -v20
	v_fmac_f32_e32 v21, v4, v18
	v_xor_b32_e32 v18, 0x80000000, v3
	v_xor_b32_e32 v19, 0x80000000, v21
	v_mov_b32_e32 v4, v21
	ds_write_b64 v14, v[18:19]
.LBB149_469:
	s_or_b64 exec, exec, s[18:19]
	s_waitcnt lgkmcnt(0)
	s_barrier
	s_and_saveexec_b64 s[18:19], s[70:71]
	s_cbranch_execz .LBB149_471
; %bb.470:
	v_lshlrev_b32_e32 v18, 3, v12
	ds_read_b64 v[18:19], v18 offset:19712
	ds_read_b64 v[20:21], v14
	s_waitcnt lgkmcnt(0)
	v_mul_f32_e32 v22, v21, v19
	v_mul_f32_e32 v19, v20, v19
	v_fma_f32 v20, v20, v18, -v22
	v_fmac_f32_e32 v19, v21, v18
	v_sub_f32_e32 v3, v3, v20
	v_sub_f32_e32 v4, v4, v19
.LBB149_471:
	s_or_b64 exec, exec, s[18:19]
	s_barrier
	;; [unrolled: 34-line block ×6, first 2 shown]
	s_and_saveexec_b64 s[18:19], s[88:89]
	s_cbranch_execz .LBB149_489
; %bb.488:
	v_mov_b32_e32 v18, 0
	ds_read_b64 v[18:19], v18 offset:17160
	s_waitcnt lgkmcnt(0)
	v_mul_f32_e32 v20, v4, v19
	v_mul_f32_e32 v21, v3, v19
	v_fma_f32 v3, v3, v18, -v20
	v_fmac_f32_e32 v21, v4, v18
	v_xor_b32_e32 v18, 0x80000000, v3
	v_xor_b32_e32 v19, 0x80000000, v21
	v_mov_b32_e32 v4, v21
	ds_write_b64 v14, v[18:19]
.LBB149_489:
	s_or_b64 exec, exec, s[18:19]
	s_waitcnt lgkmcnt(0)
	s_barrier
	s_and_saveexec_b64 s[18:19], s[62:63]
	s_cbranch_execz .LBB149_491
; %bb.490:
	v_mov_b32_e32 v18, 0
	ds_read_b64 v[18:19], v18 offset:17152
	ds_read_b64 v[20:21], v14
	s_waitcnt lgkmcnt(0)
	v_mul_f32_e32 v22, v21, v19
	v_mul_f32_e32 v19, v20, v19
	v_fma_f32 v20, v20, v18, -v22
	v_fmac_f32_e32 v19, v21, v18
	v_sub_f32_e32 v3, v3, v20
	v_sub_f32_e32 v4, v4, v19
.LBB149_491:
	s_or_b64 exec, exec, s[18:19]
	s_barrier
	s_and_saveexec_b64 s[18:19], s[62:63]
	s_cbranch_execz .LBB149_493
; %bb.492:
	v_mov_b32_e32 v18, 0
	ds_read_b64 v[18:19], v18 offset:16640
	s_waitcnt lgkmcnt(0)
	v_mul_f32_e32 v20, v4, v19
	v_mul_f32_e32 v21, v3, v19
	v_fma_f32 v3, v3, v18, -v20
	v_fmac_f32_e32 v21, v4, v18
	v_xor_b32_e32 v18, 0x80000000, v3
	v_xor_b32_e32 v19, 0x80000000, v21
	v_mov_b32_e32 v4, v21
	ds_write_b64 v14, v[18:19]
.LBB149_493:
	s_or_b64 exec, exec, s[18:19]
	s_waitcnt lgkmcnt(0)
	s_barrier
	s_barrier
	s_and_saveexec_b64 s[18:19], s[12:13]
; %bb.494:
	v_lshlrev_b32_e32 v18, 3, v12
	v_lshl_or_b32 v18, v13, 9, v18
	ds_write_b64 v18, v[3:4] offset:20736
; %bb.495:
	s_or_b64 exec, exec, s[18:19]
	s_waitcnt lgkmcnt(0)
	s_barrier
	s_barrier
	s_and_saveexec_b64 s[18:19], s[90:91]
	s_cbranch_execz .LBB149_497
; %bb.496:
	v_lshlrev_b32_e32 v18, 9, v0
	ds_read_b64 v[3:4], v18 offset:20736
	s_movk_i32 s20, 0xfe08
	v_mad_i32_i24 v19, v0, s20, v18
	s_waitcnt lgkmcnt(0)
	ds_write_b64 v19, v[3:4] offset:16704
	ds_read_b64 v[3:4], v18 offset:20744
	s_waitcnt lgkmcnt(0)
	ds_write_b64 v19, v[3:4] offset:17216
	ds_read_b64 v[3:4], v18 offset:20752
	;; [unrolled: 3-line block ×7, first 2 shown]
	s_waitcnt lgkmcnt(0)
	ds_write_b64 v19, v[3:4] offset:20288
.LBB149_497:
	s_or_b64 exec, exec, s[18:19]
	s_waitcnt lgkmcnt(0)
	s_barrier
	s_and_saveexec_b64 s[18:19], vcc
	s_cbranch_execz .LBB149_499
; %bb.498:
	s_movk_i32 s20, 0x130
	v_mov_b32_e32 v3, 0
	v_add_u32_e64 v18, s20, 0
	ds_read_b64 v[3:4], v3 offset:20280
	ds_read2st64_b64 v[18:21], v18 offset0:38 offset1:39
	s_movk_i32 s20, 0x4800
	s_waitcnt lgkmcnt(0)
	v_mul_f32_e32 v22, v4, v19
	v_mul_f32_e32 v19, v3, v19
	v_fma_f32 v22, v3, v18, -v22
	v_fmac_f32_e32 v19, v4, v18
	v_mul_f32_e32 v3, v19, v21
	v_mul_f32_e32 v4, v22, v21
	v_fma_f32 v3, v22, v20, -v3
	v_fmac_f32_e32 v4, v19, v20
	v_add_u32_e64 v18, s20, 0
	ds_write2_b64 v18, v[3:4], v[3:4] offset0:167 offset1:230
.LBB149_499:
	s_or_b64 exec, exec, s[18:19]
	v_mov_b32_e32 v3, 0
	v_mov_b32_e32 v4, 0
	s_waitcnt lgkmcnt(0)
	s_barrier
	buffer_wbinvl1_vol
	s_and_saveexec_b64 s[20:21], s[22:23]
	s_cbranch_execz .LBB149_503
; %bb.500:
	v_lshlrev_b32_e32 v3, 3, v5
	v_lshlrev_b32_e32 v18, 9, v6
	ds_read_b64 v[3:4], v3 offset:19744
	ds_read_b64 v[18:19], v18 offset:19760
	v_cmp_gt_u32_e64 s[18:19], 2, v8
	s_waitcnt lgkmcnt(0)
	v_mul_f32_e32 v20, v19, v4
	v_mul_f32_e32 v4, v18, v4
	v_fma_f32 v18, v18, v3, -v20
	v_fmac_f32_e32 v4, v19, v3
	v_add_f32_e32 v3, 0, v18
	v_add_f32_e32 v4, 0, v4
	s_and_saveexec_b64 s[24:25], s[18:19]
	s_cbranch_execz .LBB149_502
; %bb.501:
	v_lshlrev_b32_e32 v18, 3, v0
	v_mov_b32_e32 v20, 0
	ds_read_b64 v[18:19], v18 offset:20256
	ds_read_b64 v[20:21], v20 offset:20280
	s_waitcnt lgkmcnt(0)
	v_mul_f32_e32 v22, v21, v19
	v_mul_f32_e32 v19, v20, v19
	v_fma_f32 v20, v20, v18, -v22
	v_fmac_f32_e32 v19, v21, v18
	v_add_f32_e32 v3, v3, v20
	v_add_f32_e32 v4, v4, v19
.LBB149_502:
	s_or_b64 exec, exec, s[24:25]
.LBB149_503:
	s_or_b64 exec, exec, s[20:21]
	s_and_saveexec_b64 s[18:19], s[44:45]
	s_cbranch_execz .LBB149_505
; %bb.504:
	v_mov_b32_e32 v18, 0
	ds_read_b64 v[18:19], v18 offset:19240
	s_waitcnt lgkmcnt(0)
	v_mul_f32_e32 v20, v4, v19
	v_mul_f32_e32 v21, v3, v19
	v_fma_f32 v3, v3, v18, -v20
	v_fmac_f32_e32 v21, v4, v18
	v_xor_b32_e32 v18, 0x80000000, v3
	v_xor_b32_e32 v19, 0x80000000, v21
	v_mov_b32_e32 v4, v21
	ds_write_b64 v7, v[18:19]
.LBB149_505:
	s_or_b64 exec, exec, s[18:19]
	s_waitcnt lgkmcnt(0)
	s_barrier
	s_and_saveexec_b64 s[18:19], s[42:43]
	s_cbranch_execz .LBB149_507
; %bb.506:
	v_mov_b32_e32 v18, 0
	ds_read_b64 v[18:19], v18 offset:19232
	ds_read_b64 v[20:21], v7
	s_waitcnt lgkmcnt(0)
	v_mul_f32_e32 v22, v21, v19
	v_mul_f32_e32 v19, v20, v19
	v_fma_f32 v20, v20, v18, -v22
	v_fmac_f32_e32 v19, v21, v18
	v_sub_f32_e32 v3, v3, v20
	v_sub_f32_e32 v4, v4, v19
.LBB149_507:
	s_or_b64 exec, exec, s[18:19]
	s_barrier
	s_and_saveexec_b64 s[18:19], s[42:43]
	s_cbranch_execz .LBB149_509
; %bb.508:
	v_mov_b32_e32 v18, 0
	ds_read_b64 v[18:19], v18 offset:18720
	s_waitcnt lgkmcnt(0)
	v_mul_f32_e32 v20, v4, v19
	v_mul_f32_e32 v21, v3, v19
	v_fma_f32 v3, v3, v18, -v20
	v_fmac_f32_e32 v21, v4, v18
	v_xor_b32_e32 v18, 0x80000000, v3
	v_xor_b32_e32 v19, 0x80000000, v21
	v_mov_b32_e32 v4, v21
	ds_write_b64 v7, v[18:19]
.LBB149_509:
	s_or_b64 exec, exec, s[18:19]
	s_waitcnt lgkmcnt(0)
	s_barrier
	s_barrier
	s_and_saveexec_b64 s[18:19], s[22:23]
; %bb.510:
	v_lshlrev_b32_e32 v18, 3, v5
	v_lshl_or_b32 v18, v6, 9, v18
	ds_write_b64 v18, v[3:4] offset:19744
; %bb.511:
	s_or_b64 exec, exec, s[18:19]
	s_waitcnt lgkmcnt(0)
	s_barrier
	s_barrier
	s_and_saveexec_b64 s[18:19], s[46:47]
	s_cbranch_execz .LBB149_513
; %bb.512:
	v_lshlrev_b32_e32 v18, 3, v0
	s_movk_i32 s20, 0x1f8
	v_mad_u32_u24 v19, v0, s20, v18
	ds_read_b64 v[3:4], v19 offset:19744
	s_waitcnt lgkmcnt(0)
	ds_write_b64 v18, v[3:4] offset:18736
	ds_read_b64 v[3:4], v19 offset:19752
	s_waitcnt lgkmcnt(0)
	ds_write_b64 v18, v[3:4] offset:19248
.LBB149_513:
	s_or_b64 exec, exec, s[18:19]
	s_waitcnt lgkmcnt(0)
	s_barrier
	s_and_saveexec_b64 s[18:19], vcc
	s_cbranch_execz .LBB149_515
; %bb.514:
	s_movk_i32 s20, 0x120
	v_mov_b32_e32 v3, 0
	v_add_u32_e64 v18, s20, 0
	ds_read_b64 v[3:4], v3 offset:19240
	ds_read2st64_b64 v[18:21], v18 offset0:36 offset1:37
	s_movk_i32 s20, 0x4800
	s_waitcnt lgkmcnt(0)
	v_mul_f32_e32 v22, v4, v19
	v_mul_f32_e32 v19, v3, v19
	v_fma_f32 v22, v3, v18, -v22
	v_fmac_f32_e32 v19, v4, v18
	v_mul_f32_e32 v3, v19, v21
	v_mul_f32_e32 v4, v22, v21
	v_fma_f32 v3, v22, v20, -v3
	v_fmac_f32_e32 v4, v19, v20
	v_add_u32_e64 v18, s20, 0
	ds_write2_b64 v18, v[3:4], v[3:4] offset0:37 offset1:100
.LBB149_515:
	s_or_b64 exec, exec, s[18:19]
	v_mov_b32_e32 v4, 0
	v_mov_b32_e32 v3, 0
	s_waitcnt lgkmcnt(0)
	s_barrier
	buffer_wbinvl1_vol
	s_and_saveexec_b64 s[20:21], s[10:11]
	s_cbranch_execz .LBB149_521
; %bb.516:
	v_lshlrev_b32_e32 v18, 3, v9
	v_lshlrev_b32_e32 v19, 9, v10
	ds_read_b64 v[3:4], v18 offset:18688
	ds_read_b64 v[20:21], v19 offset:18720
	v_cmp_gt_u32_e64 s[18:19], 12, v8
	s_waitcnt lgkmcnt(0)
	v_mul_f32_e32 v22, v21, v4
	v_mul_f32_e32 v4, v20, v4
	v_fma_f32 v20, v20, v3, -v22
	v_fmac_f32_e32 v4, v21, v3
	v_add_f32_e32 v3, 0, v20
	v_add_f32_e32 v4, 0, v4
	s_and_saveexec_b64 s[24:25], s[18:19]
	s_cbranch_execnz .LBB149_1138
; %bb.517:
	s_or_b64 exec, exec, s[24:25]
	v_cmp_gt_u32_e64 s[18:19], 8, v8
	s_and_saveexec_b64 s[24:25], s[18:19]
	s_cbranch_execnz .LBB149_1139
.LBB149_518:
	s_or_b64 exec, exec, s[24:25]
	v_cmp_gt_u32_e64 s[18:19], 4, v8
	s_and_saveexec_b64 s[24:25], s[18:19]
	s_cbranch_execz .LBB149_520
.LBB149_519:
	v_lshlrev_b32_e32 v18, 3, v0
	v_mov_b32_e32 v20, 0
	ds_read_b64 v[18:19], v18 offset:20224
	ds_read_b64 v[20:21], v20 offset:20280
	s_waitcnt lgkmcnt(0)
	v_mul_f32_e32 v22, v21, v19
	v_mul_f32_e32 v19, v20, v19
	v_fma_f32 v20, v20, v18, -v22
	v_fmac_f32_e32 v19, v21, v18
	v_add_f32_e32 v3, v3, v20
	v_add_f32_e32 v4, v4, v19
.LBB149_520:
	s_or_b64 exec, exec, s[24:25]
.LBB149_521:
	s_or_b64 exec, exec, s[20:21]
	s_and_saveexec_b64 s[18:19], s[50:51]
	s_cbranch_execz .LBB149_523
; %bb.522:
	v_mov_b32_e32 v18, 0
	ds_read_b64 v[18:19], v18 offset:18200
	s_waitcnt lgkmcnt(0)
	v_mul_f32_e32 v20, v4, v19
	v_mul_f32_e32 v21, v3, v19
	v_fma_f32 v3, v3, v18, -v20
	v_fmac_f32_e32 v21, v4, v18
	v_xor_b32_e32 v18, 0x80000000, v3
	v_xor_b32_e32 v19, 0x80000000, v21
	v_mov_b32_e32 v4, v21
	ds_write_b64 v11, v[18:19]
.LBB149_523:
	s_or_b64 exec, exec, s[18:19]
	s_waitcnt lgkmcnt(0)
	s_barrier
	s_and_saveexec_b64 s[18:19], s[52:53]
	s_cbranch_execz .LBB149_525
; %bb.524:
	v_lshlrev_b32_e32 v18, 3, v9
	ds_read_b64 v[18:19], v18 offset:18176
	ds_read_b64 v[20:21], v11
	s_waitcnt lgkmcnt(0)
	v_mul_f32_e32 v22, v21, v19
	v_mul_f32_e32 v19, v20, v19
	v_fma_f32 v20, v20, v18, -v22
	v_fmac_f32_e32 v19, v21, v18
	v_sub_f32_e32 v3, v3, v20
	v_sub_f32_e32 v4, v4, v19
.LBB149_525:
	s_or_b64 exec, exec, s[18:19]
	s_barrier
	s_and_saveexec_b64 s[18:19], s[54:55]
	s_cbranch_execz .LBB149_527
; %bb.526:
	v_mov_b32_e32 v18, 0
	ds_read_b64 v[18:19], v18 offset:17680
	s_waitcnt lgkmcnt(0)
	v_mul_f32_e32 v20, v4, v19
	v_mul_f32_e32 v21, v3, v19
	v_fma_f32 v3, v3, v18, -v20
	v_fmac_f32_e32 v21, v4, v18
	v_xor_b32_e32 v18, 0x80000000, v3
	v_xor_b32_e32 v19, 0x80000000, v21
	v_mov_b32_e32 v4, v21
	ds_write_b64 v11, v[18:19]
.LBB149_527:
	s_or_b64 exec, exec, s[18:19]
	s_waitcnt lgkmcnt(0)
	s_barrier
	s_and_saveexec_b64 s[18:19], s[56:57]
	s_cbranch_execz .LBB149_529
; %bb.528:
	v_lshlrev_b32_e32 v18, 3, v9
	ds_read_b64 v[18:19], v18 offset:17664
	ds_read_b64 v[20:21], v11
	s_waitcnt lgkmcnt(0)
	v_mul_f32_e32 v22, v21, v19
	v_mul_f32_e32 v19, v20, v19
	v_fma_f32 v20, v20, v18, -v22
	v_fmac_f32_e32 v19, v21, v18
	v_sub_f32_e32 v3, v3, v20
	v_sub_f32_e32 v4, v4, v19
.LBB149_529:
	s_or_b64 exec, exec, s[18:19]
	s_barrier
	s_and_saveexec_b64 s[18:19], s[58:59]
	s_cbranch_execz .LBB149_531
; %bb.530:
	v_mov_b32_e32 v18, 0
	ds_read_b64 v[18:19], v18 offset:17160
	s_waitcnt lgkmcnt(0)
	v_mul_f32_e32 v20, v4, v19
	v_mul_f32_e32 v21, v3, v19
	v_fma_f32 v3, v3, v18, -v20
	v_fmac_f32_e32 v21, v4, v18
	v_xor_b32_e32 v18, 0x80000000, v3
	v_xor_b32_e32 v19, 0x80000000, v21
	v_mov_b32_e32 v4, v21
	ds_write_b64 v11, v[18:19]
.LBB149_531:
	s_or_b64 exec, exec, s[18:19]
	s_waitcnt lgkmcnt(0)
	s_barrier
	s_and_saveexec_b64 s[18:19], s[48:49]
	s_cbranch_execz .LBB149_533
; %bb.532:
	v_mov_b32_e32 v18, 0
	ds_read_b64 v[18:19], v18 offset:17152
	ds_read_b64 v[20:21], v11
	s_waitcnt lgkmcnt(0)
	v_mul_f32_e32 v22, v21, v19
	v_mul_f32_e32 v19, v20, v19
	v_fma_f32 v20, v20, v18, -v22
	v_fmac_f32_e32 v19, v21, v18
	v_sub_f32_e32 v3, v3, v20
	v_sub_f32_e32 v4, v4, v19
.LBB149_533:
	s_or_b64 exec, exec, s[18:19]
	s_barrier
	s_and_saveexec_b64 s[18:19], s[48:49]
	s_cbranch_execz .LBB149_535
; %bb.534:
	v_mov_b32_e32 v18, 0
	ds_read_b64 v[18:19], v18 offset:16640
	s_waitcnt lgkmcnt(0)
	v_mul_f32_e32 v20, v4, v19
	v_mul_f32_e32 v21, v3, v19
	v_fma_f32 v3, v3, v18, -v20
	v_fmac_f32_e32 v21, v4, v18
	v_xor_b32_e32 v18, 0x80000000, v3
	v_xor_b32_e32 v19, 0x80000000, v21
	v_mov_b32_e32 v4, v21
	ds_write_b64 v11, v[18:19]
.LBB149_535:
	s_or_b64 exec, exec, s[18:19]
	s_waitcnt lgkmcnt(0)
	s_barrier
	s_barrier
	s_and_saveexec_b64 s[18:19], s[10:11]
; %bb.536:
	v_lshlrev_b32_e32 v18, 3, v9
	v_lshl_or_b32 v18, v10, 9, v18
	ds_write_b64 v18, v[3:4] offset:18688
; %bb.537:
	s_or_b64 exec, exec, s[18:19]
	s_waitcnt lgkmcnt(0)
	s_barrier
	s_barrier
	s_and_saveexec_b64 s[18:19], s[60:61]
	s_cbranch_execz .LBB149_539
; %bb.538:
	v_lshlrev_b32_e32 v18, 9, v0
	ds_read_b64 v[3:4], v18 offset:18688
	s_movk_i32 s20, 0xfe08
	v_mad_i32_i24 v19, v0, s20, v18
	s_waitcnt lgkmcnt(0)
	ds_write_b64 v19, v[3:4] offset:16672
	ds_read_b64 v[3:4], v18 offset:18696
	s_waitcnt lgkmcnt(0)
	ds_write_b64 v19, v[3:4] offset:17184
	ds_read_b64 v[3:4], v18 offset:18704
	;; [unrolled: 3-line block ×3, first 2 shown]
	s_waitcnt lgkmcnt(0)
	ds_write_b64 v19, v[3:4] offset:18208
.LBB149_539:
	s_or_b64 exec, exec, s[18:19]
	s_waitcnt lgkmcnt(0)
	s_barrier
	s_and_saveexec_b64 s[18:19], vcc
	s_cbranch_execz .LBB149_541
; %bb.540:
	s_movk_i32 s20, 0x110
	v_mov_b32_e32 v3, 0
	v_add_u32_e64 v18, s20, 0
	ds_read_b64 v[3:4], v3 offset:18200
	ds_read2st64_b64 v[18:21], v18 offset0:34 offset1:35
	s_movk_i32 s20, 0x4000
	s_waitcnt lgkmcnt(0)
	v_mul_f32_e32 v22, v4, v19
	v_mul_f32_e32 v19, v3, v19
	v_fma_f32 v22, v3, v18, -v22
	v_fmac_f32_e32 v19, v4, v18
	v_mul_f32_e32 v3, v19, v21
	v_mul_f32_e32 v4, v22, v21
	v_fma_f32 v3, v22, v20, -v3
	v_fmac_f32_e32 v4, v19, v20
	v_add_u32_e64 v18, s20, 0
	ds_write2_b64 v18, v[3:4], v[3:4] offset0:163 offset1:226
.LBB149_541:
	s_or_b64 exec, exec, s[18:19]
	v_mov_b32_e32 v3, 0
	v_mov_b32_e32 v4, 0
	s_waitcnt lgkmcnt(0)
	s_barrier
	buffer_wbinvl1_vol
	s_and_saveexec_b64 s[20:21], s[22:23]
	s_cbranch_execz .LBB149_545
; %bb.542:
	v_lshlrev_b32_e32 v3, 3, v5
	v_lshlrev_b32_e32 v18, 9, v6
	ds_read_b64 v[3:4], v3 offset:17664
	ds_read_b64 v[18:19], v18 offset:17680
	v_cmp_gt_u32_e64 s[18:19], 2, v8
	s_waitcnt lgkmcnt(0)
	v_mul_f32_e32 v20, v19, v4
	v_mul_f32_e32 v4, v18, v4
	v_fma_f32 v18, v18, v3, -v20
	v_fmac_f32_e32 v4, v19, v3
	v_add_f32_e32 v3, 0, v18
	v_add_f32_e32 v4, 0, v4
	s_and_saveexec_b64 s[24:25], s[18:19]
	s_cbranch_execz .LBB149_544
; %bb.543:
	v_lshlrev_b32_e32 v18, 3, v0
	v_mov_b32_e32 v20, 0
	ds_read_b64 v[18:19], v18 offset:18176
	ds_read_b64 v[20:21], v20 offset:18200
	s_waitcnt lgkmcnt(0)
	v_mul_f32_e32 v22, v21, v19
	v_mul_f32_e32 v19, v20, v19
	v_fma_f32 v20, v20, v18, -v22
	v_fmac_f32_e32 v19, v21, v18
	v_add_f32_e32 v3, v3, v20
	v_add_f32_e32 v4, v4, v19
.LBB149_544:
	s_or_b64 exec, exec, s[24:25]
.LBB149_545:
	s_or_b64 exec, exec, s[20:21]
	s_and_saveexec_b64 s[18:19], s[44:45]
	s_cbranch_execz .LBB149_547
; %bb.546:
	v_mov_b32_e32 v18, 0
	ds_read_b64 v[18:19], v18 offset:17160
	s_waitcnt lgkmcnt(0)
	v_mul_f32_e32 v20, v4, v19
	v_mul_f32_e32 v21, v3, v19
	v_fma_f32 v3, v3, v18, -v20
	v_fmac_f32_e32 v21, v4, v18
	v_xor_b32_e32 v18, 0x80000000, v3
	v_xor_b32_e32 v19, 0x80000000, v21
	v_mov_b32_e32 v4, v21
	ds_write_b64 v7, v[18:19]
.LBB149_547:
	s_or_b64 exec, exec, s[18:19]
	s_waitcnt lgkmcnt(0)
	s_barrier
	s_and_saveexec_b64 s[18:19], s[42:43]
	s_cbranch_execz .LBB149_549
; %bb.548:
	v_mov_b32_e32 v18, 0
	ds_read_b64 v[18:19], v18 offset:17152
	ds_read_b64 v[20:21], v7
	s_waitcnt lgkmcnt(0)
	v_mul_f32_e32 v22, v21, v19
	v_mul_f32_e32 v19, v20, v19
	v_fma_f32 v20, v20, v18, -v22
	v_fmac_f32_e32 v19, v21, v18
	v_sub_f32_e32 v3, v3, v20
	v_sub_f32_e32 v4, v4, v19
.LBB149_549:
	s_or_b64 exec, exec, s[18:19]
	s_barrier
	s_and_saveexec_b64 s[18:19], s[42:43]
	s_cbranch_execz .LBB149_551
; %bb.550:
	v_mov_b32_e32 v18, 0
	ds_read_b64 v[18:19], v18 offset:16640
	s_waitcnt lgkmcnt(0)
	v_mul_f32_e32 v20, v4, v19
	v_mul_f32_e32 v21, v3, v19
	v_fma_f32 v3, v3, v18, -v20
	v_fmac_f32_e32 v21, v4, v18
	v_xor_b32_e32 v18, 0x80000000, v3
	v_xor_b32_e32 v19, 0x80000000, v21
	v_mov_b32_e32 v4, v21
	ds_write_b64 v7, v[18:19]
.LBB149_551:
	s_or_b64 exec, exec, s[18:19]
	s_waitcnt lgkmcnt(0)
	s_barrier
	s_barrier
	s_and_saveexec_b64 s[18:19], s[22:23]
; %bb.552:
	v_lshlrev_b32_e32 v18, 3, v5
	v_lshl_or_b32 v18, v6, 9, v18
	ds_write_b64 v18, v[3:4] offset:17664
; %bb.553:
	s_or_b64 exec, exec, s[18:19]
	s_waitcnt lgkmcnt(0)
	s_barrier
	s_barrier
	s_and_saveexec_b64 s[18:19], s[46:47]
	s_cbranch_execz .LBB149_555
; %bb.554:
	v_lshlrev_b32_e32 v18, 3, v0
	s_movk_i32 s20, 0x1f8
	v_mad_u32_u24 v19, v0, s20, v18
	ds_read_b64 v[3:4], v19 offset:17664
	s_waitcnt lgkmcnt(0)
	ds_write_b64 v18, v[3:4] offset:16656
	ds_read_b64 v[3:4], v19 offset:17672
	s_waitcnt lgkmcnt(0)
	ds_write_b64 v18, v[3:4] offset:17168
.LBB149_555:
	s_or_b64 exec, exec, s[18:19]
	s_waitcnt lgkmcnt(0)
	s_barrier
	s_and_saveexec_b64 s[18:19], vcc
	s_cbranch_execz .LBB149_557
; %bb.556:
	s_movk_i32 s20, 0x100
	v_mov_b32_e32 v3, 0
	v_add_u32_e64 v18, s20, 0
	ds_read_b64 v[3:4], v3 offset:17160
	ds_read2st64_b64 v[18:21], v18 offset0:32 offset1:33
	s_movk_i32 s20, 0x4000
	s_waitcnt lgkmcnt(0)
	v_mul_f32_e32 v22, v4, v19
	v_mul_f32_e32 v19, v3, v19
	v_fma_f32 v22, v3, v18, -v22
	v_fmac_f32_e32 v19, v4, v18
	v_mul_f32_e32 v3, v19, v21
	v_mul_f32_e32 v4, v22, v21
	v_fma_f32 v3, v22, v20, -v3
	v_fmac_f32_e32 v4, v19, v20
	v_add_u32_e64 v18, s20, 0
	ds_write2_b64 v18, v[3:4], v[3:4] offset0:33 offset1:96
.LBB149_557:
	s_or_b64 exec, exec, s[18:19]
	s_movk_i32 s18, 0x3ff
	v_lshrrev_b32_e32 v20, 5, v8
	v_cmp_lt_u32_e64 s[20:21], s18, v8
	s_movk_i32 s18, 0x400
	v_and_b32_e32 v18, 31, v0
	v_sub_u32_e32 v19, 31, v20
	v_cmp_gt_u32_e64 s[18:19], s18, v8
	v_mov_b32_e32 v4, 0
	v_mov_b32_e32 v3, 0
	s_waitcnt lgkmcnt(0)
	s_barrier
	buffer_wbinvl1_vol
	s_and_saveexec_b64 s[98:99], s[18:19]
	s_cbranch_execz .LBB149_619
; %bb.558:
	v_lshlrev_b32_e32 v21, 3, v18
	v_lshlrev_b32_e32 v22, 9, v19
	ds_read_b64 v[3:4], v21 offset:16384
	ds_read_b64 v[23:24], v22 offset:16640
	s_movk_i32 s24, 0x3e0
	v_cmp_gt_u32_e64 s[24:25], s24, v8
	s_waitcnt lgkmcnt(0)
	v_mul_f32_e32 v25, v24, v4
	v_mul_f32_e32 v4, v23, v4
	v_fma_f32 v23, v23, v3, -v25
	v_fmac_f32_e32 v4, v24, v3
	v_add_f32_e32 v3, 0, v23
	v_add_f32_e32 v4, 0, v4
	s_and_saveexec_b64 s[40:41], s[24:25]
	s_cbranch_execz .LBB149_560
; %bb.559:
	ds_read_b64 v[23:24], v21 offset:16896
	ds_read_b64 v[25:26], v22 offset:16648
	s_waitcnt lgkmcnt(0)
	v_mul_f32_e32 v27, v26, v24
	v_mul_f32_e32 v24, v25, v24
	v_fma_f32 v25, v25, v23, -v27
	v_fmac_f32_e32 v24, v26, v23
	v_add_f32_e32 v3, v3, v25
	v_add_f32_e32 v4, v4, v24
.LBB149_560:
	s_or_b64 exec, exec, s[40:41]
	s_movk_i32 s24, 0x3c0
	v_cmp_gt_u32_e64 s[24:25], s24, v8
	s_and_saveexec_b64 s[40:41], s[24:25]
	s_cbranch_execz .LBB149_562
; %bb.561:
	ds_read_b64 v[23:24], v21 offset:17408
	ds_read_b64 v[25:26], v22 offset:16656
	s_waitcnt lgkmcnt(0)
	v_mul_f32_e32 v27, v26, v24
	v_mul_f32_e32 v24, v25, v24
	v_fma_f32 v25, v25, v23, -v27
	v_fmac_f32_e32 v24, v26, v23
	v_add_f32_e32 v3, v3, v25
	v_add_f32_e32 v4, v4, v24
.LBB149_562:
	s_or_b64 exec, exec, s[40:41]
	s_movk_i32 s24, 0x3a0
	v_cmp_gt_u32_e64 s[24:25], s24, v8
	;; [unrolled: 16-line block ×22, first 2 shown]
	s_and_saveexec_b64 s[40:41], s[24:25]
	s_cbranch_execz .LBB149_604
; %bb.603:
	ds_read_b64 v[23:24], v21 offset:28160
	ds_read_b64 v[25:26], v22 offset:16824
	s_waitcnt lgkmcnt(0)
	v_mul_f32_e32 v27, v26, v24
	v_mul_f32_e32 v24, v25, v24
	v_fma_f32 v25, v25, v23, -v27
	v_fmac_f32_e32 v24, v26, v23
	v_add_f32_e32 v3, v3, v25
	v_add_f32_e32 v4, v4, v24
.LBB149_604:
	s_or_b64 exec, exec, s[40:41]
	s_and_saveexec_b64 s[24:25], s[14:15]
	s_cbranch_execz .LBB149_606
; %bb.605:
	ds_read_b64 v[23:24], v21 offset:28672
	ds_read_b64 v[25:26], v22 offset:16832
	s_waitcnt lgkmcnt(0)
	v_mul_f32_e32 v27, v26, v24
	v_mul_f32_e32 v24, v25, v24
	v_fma_f32 v25, v25, v23, -v27
	v_fmac_f32_e32 v24, v26, v23
	v_add_f32_e32 v3, v3, v25
	v_add_f32_e32 v4, v4, v24
.LBB149_606:
	s_or_b64 exec, exec, s[24:25]
	s_movk_i32 s24, 0xe0
	v_cmp_gt_u32_e64 s[24:25], s24, v8
	s_and_saveexec_b64 s[40:41], s[24:25]
	s_cbranch_execz .LBB149_608
; %bb.607:
	ds_read_b64 v[23:24], v21 offset:29184
	ds_read_b64 v[25:26], v22 offset:16840
	s_waitcnt lgkmcnt(0)
	v_mul_f32_e32 v27, v26, v24
	v_mul_f32_e32 v24, v25, v24
	v_fma_f32 v25, v25, v23, -v27
	v_fmac_f32_e32 v24, v26, v23
	v_add_f32_e32 v3, v3, v25
	v_add_f32_e32 v4, v4, v24
.LBB149_608:
	s_or_b64 exec, exec, s[40:41]
	s_movk_i32 s24, 0xc0
	v_cmp_gt_u32_e64 s[24:25], s24, v8
	;; [unrolled: 16-line block ×5, first 2 shown]
	s_and_saveexec_b64 s[40:41], s[24:25]
	s_cbranch_execnz .LBB149_1140
; %bb.615:
	s_or_b64 exec, exec, s[40:41]
	s_and_saveexec_b64 s[24:25], s[12:13]
	s_cbranch_execnz .LBB149_1141
.LBB149_616:
	s_or_b64 exec, exec, s[24:25]
	v_cmp_gt_u32_e64 s[24:25], 32, v8
	s_and_saveexec_b64 s[40:41], s[24:25]
	s_cbranch_execz .LBB149_618
.LBB149_617:
	ds_read_b64 v[23:24], v21 offset:32256
	ds_read_b64 v[21:22], v22 offset:16888
	s_waitcnt lgkmcnt(0)
	v_mul_f32_e32 v25, v22, v24
	v_mul_f32_e32 v24, v21, v24
	v_fma_f32 v21, v21, v23, -v25
	v_fmac_f32_e32 v24, v22, v23
	v_add_f32_e32 v3, v3, v21
	v_add_f32_e32 v4, v4, v24
.LBB149_618:
	s_or_b64 exec, exec, s[40:41]
.LBB149_619:
	s_or_b64 exec, exec, s[98:99]
	v_mov_b32_e32 v21, 0x8000
	s_movk_i32 s24, 0x208
	v_lshlrev_b32_e32 v22, 9, v18
	v_mov_b32_e32 v23, 0x3c00
	v_lshl_add_u32 v20, v20, 3, v21
	v_mul_u32_u24_e32 v21, 0x208, v18
	v_sub_u32_e32 v22, 0, v22
	v_mad_u32_u24 v23, v18, s24, v23
	s_mov_b32 s40, 31
	s_xor_b64 s[24:25], s[20:21], -1
	s_branch .LBB149_621
.LBB149_620:                            ;   in Loop: Header=BB149_621 Depth=1
	s_or_b64 exec, exec, s[20:21]
	s_add_i32 s40, s40, -2
	s_cmp_eq_u32 s41, 0
	v_add_u32_e32 v22, 0xfffffc00, v22
	s_barrier
	s_cbranch_scc1 .LBB149_629
.LBB149_621:                            ; =>This Inner Loop Header: Depth=1
	s_movk_i32 s20, 0xc200
	v_cmp_eq_u32_e64 s[20:21], s20, v22
	s_and_b64 s[98:99], s[24:25], s[20:21]
	s_and_saveexec_b64 s[20:21], s[98:99]
	s_cbranch_execz .LBB149_623
; %bb.622:                              ;   in Loop: Header=BB149_621 Depth=1
	ds_read_b64 v[24:25], v21
	s_waitcnt lgkmcnt(0)
	v_mul_f32_e32 v26, v4, v25
	v_mul_f32_e32 v27, v3, v25
	v_fma_f32 v3, v3, v24, -v26
	v_fmac_f32_e32 v27, v4, v24
	v_xor_b32_e32 v24, 0x80000000, v3
	v_xor_b32_e32 v25, 0x80000000, v27
	v_mov_b32_e32 v4, v27
	ds_write_b64 v20, v[24:25]
.LBB149_623:                            ;   in Loop: Header=BB149_621 Depth=1
	s_or_b64 exec, exec, s[20:21]
	v_cmp_gt_u32_e64 s[20:21], s40, v18
	s_and_b64 s[98:99], s[24:25], s[20:21]
	v_add_u32_e32 v24, v23, v22
	s_waitcnt lgkmcnt(0)
	s_barrier
	s_and_saveexec_b64 s[20:21], s[98:99]
	s_cbranch_execz .LBB149_625
; %bb.624:                              ;   in Loop: Header=BB149_621 Depth=1
	ds_read_b64 v[25:26], v24 offset:512
	ds_read_b64 v[27:28], v20
	s_waitcnt lgkmcnt(0)
	v_mul_f32_e32 v29, v28, v26
	v_mul_f32_e32 v26, v27, v26
	v_fma_f32 v27, v27, v25, -v29
	v_fmac_f32_e32 v26, v28, v25
	v_sub_f32_e32 v3, v3, v27
	v_sub_f32_e32 v4, v4, v26
.LBB149_625:                            ;   in Loop: Header=BB149_621 Depth=1
	s_or_b64 exec, exec, s[20:21]
	s_add_i32 s41, s40, -1
	v_cmp_eq_u32_e64 s[20:21], s41, v18
	s_and_b64 s[98:99], s[24:25], s[20:21]
	s_barrier
	s_and_saveexec_b64 s[20:21], s[98:99]
	s_cbranch_execz .LBB149_627
; %bb.626:                              ;   in Loop: Header=BB149_621 Depth=1
	ds_read_b64 v[25:26], v21
	s_waitcnt lgkmcnt(0)
	v_mul_f32_e32 v27, v4, v26
	v_mul_f32_e32 v28, v3, v26
	v_fma_f32 v3, v3, v25, -v27
	v_fmac_f32_e32 v28, v4, v25
	v_xor_b32_e32 v25, 0x80000000, v3
	v_xor_b32_e32 v26, 0x80000000, v28
	v_mov_b32_e32 v4, v28
	ds_write_b64 v20, v[25:26]
.LBB149_627:                            ;   in Loop: Header=BB149_621 Depth=1
	s_or_b64 exec, exec, s[20:21]
	v_cmp_gt_u32_e64 s[20:21], s41, v18
	s_and_b64 s[98:99], s[24:25], s[20:21]
	s_waitcnt lgkmcnt(0)
	s_barrier
	s_and_saveexec_b64 s[20:21], s[98:99]
	s_cbranch_execz .LBB149_620
; %bb.628:                              ;   in Loop: Header=BB149_621 Depth=1
	ds_read_b64 v[24:25], v24
	ds_read_b64 v[26:27], v20
	s_waitcnt lgkmcnt(0)
	v_mul_f32_e32 v28, v27, v25
	v_mul_f32_e32 v25, v26, v25
	v_fma_f32 v26, v26, v24, -v28
	v_fmac_f32_e32 v25, v27, v24
	v_sub_f32_e32 v3, v3, v26
	v_sub_f32_e32 v4, v4, v25
	s_branch .LBB149_620
.LBB149_629:
	s_and_saveexec_b64 s[20:21], s[18:19]
; %bb.630:
	v_lshlrev_b32_e32 v18, 3, v18
	v_lshl_or_b32 v18, v19, 9, v18
	ds_write_b64 v18, v[3:4] offset:16384
; %bb.631:
	s_or_b64 exec, exec, s[20:21]
	v_cmp_gt_u32_e64 s[18:19], 32, v0
	s_and_b64 s[18:19], s[16:17], s[18:19]
	s_waitcnt lgkmcnt(0)
	s_barrier
	s_barrier
	s_and_saveexec_b64 s[16:17], s[18:19]
	s_cbranch_execz .LBB149_633
; %bb.632:
	v_lshlrev_b32_e32 v18, 9, v0
	ds_read_b64 v[3:4], v18 offset:16384
	s_movk_i32 s18, 0xfe08
	v_mad_i32_i24 v19, v0, s18, v18
	s_waitcnt lgkmcnt(0)
	ds_write_b64 v19, v[3:4] offset:256
	ds_read_b64 v[3:4], v18 offset:16392
	s_waitcnt lgkmcnt(0)
	ds_write_b64 v19, v[3:4] offset:768
	ds_read_b64 v[3:4], v18 offset:16400
	;; [unrolled: 3-line block ×31, first 2 shown]
	s_waitcnt lgkmcnt(0)
	ds_write_b64 v19, v[3:4] offset:16128
.LBB149_633:
	s_or_b64 exec, exec, s[16:17]
	s_waitcnt lgkmcnt(0)
	s_barrier
	s_and_saveexec_b64 s[16:17], vcc
	s_cbranch_execz .LBB149_635
; %bb.634:
	s_movk_i32 s18, 0xf0
	v_mov_b32_e32 v3, 0
	v_add_u32_e64 v18, s18, 0
	ds_read_b64 v[3:4], v3 offset:16120
	ds_read2st64_b64 v[18:21], v18 offset0:30 offset1:31
	s_movk_i32 s18, 0x3800
	s_waitcnt lgkmcnt(0)
	v_mul_f32_e32 v22, v4, v19
	v_mul_f32_e32 v19, v3, v19
	v_fma_f32 v22, v3, v18, -v22
	v_fmac_f32_e32 v19, v4, v18
	v_mul_f32_e32 v3, v19, v21
	v_mul_f32_e32 v4, v22, v21
	v_fma_f32 v3, v22, v20, -v3
	v_fmac_f32_e32 v4, v19, v20
	v_add_u32_e64 v18, s18, 0
	ds_write2_b64 v18, v[3:4], v[3:4] offset0:159 offset1:222
.LBB149_635:
	s_or_b64 exec, exec, s[16:17]
	v_mov_b32_e32 v3, 0
	v_mov_b32_e32 v4, 0
	s_waitcnt lgkmcnt(0)
	s_barrier
	buffer_wbinvl1_vol
	s_and_saveexec_b64 s[18:19], s[22:23]
	s_cbranch_execz .LBB149_639
; %bb.636:
	v_lshlrev_b32_e32 v3, 3, v5
	v_lshlrev_b32_e32 v18, 9, v6
	ds_read_b64 v[3:4], v3 offset:15584
	ds_read_b64 v[18:19], v18 offset:15600
	v_cmp_gt_u32_e64 s[16:17], 2, v8
	s_waitcnt lgkmcnt(0)
	v_mul_f32_e32 v20, v19, v4
	v_mul_f32_e32 v4, v18, v4
	v_fma_f32 v18, v18, v3, -v20
	v_fmac_f32_e32 v4, v19, v3
	v_add_f32_e32 v3, 0, v18
	v_add_f32_e32 v4, 0, v4
	s_and_saveexec_b64 s[20:21], s[16:17]
	s_cbranch_execz .LBB149_638
; %bb.637:
	v_lshlrev_b32_e32 v18, 3, v0
	v_mov_b32_e32 v20, 0
	ds_read_b64 v[18:19], v18 offset:16096
	ds_read_b64 v[20:21], v20 offset:16120
	s_waitcnt lgkmcnt(0)
	v_mul_f32_e32 v22, v21, v19
	v_mul_f32_e32 v19, v20, v19
	v_fma_f32 v20, v20, v18, -v22
	v_fmac_f32_e32 v19, v21, v18
	v_add_f32_e32 v3, v3, v20
	v_add_f32_e32 v4, v4, v19
.LBB149_638:
	s_or_b64 exec, exec, s[20:21]
.LBB149_639:
	s_or_b64 exec, exec, s[18:19]
	s_and_saveexec_b64 s[16:17], s[44:45]
	s_cbranch_execz .LBB149_641
; %bb.640:
	v_mov_b32_e32 v18, 0
	ds_read_b64 v[18:19], v18 offset:15080
	s_waitcnt lgkmcnt(0)
	v_mul_f32_e32 v20, v4, v19
	v_mul_f32_e32 v21, v3, v19
	v_fma_f32 v3, v3, v18, -v20
	v_fmac_f32_e32 v21, v4, v18
	v_xor_b32_e32 v18, 0x80000000, v3
	v_xor_b32_e32 v19, 0x80000000, v21
	v_mov_b32_e32 v4, v21
	ds_write_b64 v7, v[18:19]
.LBB149_641:
	s_or_b64 exec, exec, s[16:17]
	s_waitcnt lgkmcnt(0)
	s_barrier
	s_and_saveexec_b64 s[16:17], s[42:43]
	s_cbranch_execz .LBB149_643
; %bb.642:
	v_mov_b32_e32 v18, 0
	ds_read_b64 v[18:19], v18 offset:15072
	ds_read_b64 v[20:21], v7
	s_waitcnt lgkmcnt(0)
	v_mul_f32_e32 v22, v21, v19
	v_mul_f32_e32 v19, v20, v19
	v_fma_f32 v20, v20, v18, -v22
	v_fmac_f32_e32 v19, v21, v18
	v_sub_f32_e32 v3, v3, v20
	v_sub_f32_e32 v4, v4, v19
.LBB149_643:
	s_or_b64 exec, exec, s[16:17]
	s_barrier
	s_and_saveexec_b64 s[16:17], s[42:43]
	s_cbranch_execz .LBB149_645
; %bb.644:
	v_mov_b32_e32 v18, 0
	ds_read_b64 v[18:19], v18 offset:14560
	s_waitcnt lgkmcnt(0)
	v_mul_f32_e32 v20, v4, v19
	v_mul_f32_e32 v21, v3, v19
	v_fma_f32 v3, v3, v18, -v20
	v_fmac_f32_e32 v21, v4, v18
	v_xor_b32_e32 v18, 0x80000000, v3
	v_xor_b32_e32 v19, 0x80000000, v21
	v_mov_b32_e32 v4, v21
	ds_write_b64 v7, v[18:19]
.LBB149_645:
	s_or_b64 exec, exec, s[16:17]
	s_waitcnt lgkmcnt(0)
	s_barrier
	s_barrier
	s_and_saveexec_b64 s[16:17], s[22:23]
; %bb.646:
	v_lshlrev_b32_e32 v18, 3, v5
	v_lshl_or_b32 v18, v6, 9, v18
	ds_write_b64 v18, v[3:4] offset:15584
; %bb.647:
	s_or_b64 exec, exec, s[16:17]
	s_waitcnt lgkmcnt(0)
	s_barrier
	s_barrier
	s_and_saveexec_b64 s[16:17], s[46:47]
	s_cbranch_execz .LBB149_649
; %bb.648:
	v_lshlrev_b32_e32 v18, 3, v0
	s_movk_i32 s18, 0x1f8
	v_mad_u32_u24 v19, v0, s18, v18
	ds_read_b64 v[3:4], v19 offset:15584
	s_waitcnt lgkmcnt(0)
	ds_write_b64 v18, v[3:4] offset:14576
	ds_read_b64 v[3:4], v19 offset:15592
	s_waitcnt lgkmcnt(0)
	ds_write_b64 v18, v[3:4] offset:15088
.LBB149_649:
	s_or_b64 exec, exec, s[16:17]
	s_waitcnt lgkmcnt(0)
	s_barrier
	s_and_saveexec_b64 s[16:17], vcc
	s_cbranch_execz .LBB149_651
; %bb.650:
	s_movk_i32 s18, 0xe0
	v_mov_b32_e32 v3, 0
	v_add_u32_e64 v18, s18, 0
	ds_read_b64 v[3:4], v3 offset:15080
	ds_read2st64_b64 v[18:21], v18 offset0:28 offset1:29
	s_movk_i32 s18, 0x3800
	s_waitcnt lgkmcnt(0)
	v_mul_f32_e32 v22, v4, v19
	v_mul_f32_e32 v19, v3, v19
	v_fma_f32 v22, v3, v18, -v22
	v_fmac_f32_e32 v19, v4, v18
	v_mul_f32_e32 v3, v19, v21
	v_mul_f32_e32 v4, v22, v21
	v_fma_f32 v3, v22, v20, -v3
	v_fmac_f32_e32 v4, v19, v20
	v_add_u32_e64 v18, s18, 0
	ds_write2_b64 v18, v[3:4], v[3:4] offset0:29 offset1:92
.LBB149_651:
	s_or_b64 exec, exec, s[16:17]
	v_mov_b32_e32 v4, 0
	v_mov_b32_e32 v3, 0
	s_waitcnt lgkmcnt(0)
	s_barrier
	buffer_wbinvl1_vol
	s_and_saveexec_b64 s[18:19], s[10:11]
	s_cbranch_execz .LBB149_657
; %bb.652:
	v_lshlrev_b32_e32 v18, 3, v9
	v_lshlrev_b32_e32 v19, 9, v10
	ds_read_b64 v[3:4], v18 offset:14528
	ds_read_b64 v[20:21], v19 offset:14560
	v_cmp_gt_u32_e64 s[16:17], 12, v8
	s_waitcnt lgkmcnt(0)
	v_mul_f32_e32 v22, v21, v4
	v_mul_f32_e32 v4, v20, v4
	v_fma_f32 v20, v20, v3, -v22
	v_fmac_f32_e32 v4, v21, v3
	v_add_f32_e32 v3, 0, v20
	v_add_f32_e32 v4, 0, v4
	s_and_saveexec_b64 s[20:21], s[16:17]
	s_cbranch_execnz .LBB149_1142
; %bb.653:
	s_or_b64 exec, exec, s[20:21]
	v_cmp_gt_u32_e64 s[16:17], 8, v8
	s_and_saveexec_b64 s[20:21], s[16:17]
	s_cbranch_execnz .LBB149_1143
.LBB149_654:
	s_or_b64 exec, exec, s[20:21]
	v_cmp_gt_u32_e64 s[16:17], 4, v8
	s_and_saveexec_b64 s[20:21], s[16:17]
	s_cbranch_execz .LBB149_656
.LBB149_655:
	v_lshlrev_b32_e32 v18, 3, v0
	v_mov_b32_e32 v20, 0
	ds_read_b64 v[18:19], v18 offset:16064
	ds_read_b64 v[20:21], v20 offset:16120
	s_waitcnt lgkmcnt(0)
	v_mul_f32_e32 v22, v21, v19
	v_mul_f32_e32 v19, v20, v19
	v_fma_f32 v20, v20, v18, -v22
	v_fmac_f32_e32 v19, v21, v18
	v_add_f32_e32 v3, v3, v20
	v_add_f32_e32 v4, v4, v19
.LBB149_656:
	s_or_b64 exec, exec, s[20:21]
.LBB149_657:
	s_or_b64 exec, exec, s[18:19]
	s_and_saveexec_b64 s[16:17], s[50:51]
	s_cbranch_execz .LBB149_659
; %bb.658:
	v_mov_b32_e32 v18, 0
	ds_read_b64 v[18:19], v18 offset:14040
	s_waitcnt lgkmcnt(0)
	v_mul_f32_e32 v20, v4, v19
	v_mul_f32_e32 v21, v3, v19
	v_fma_f32 v3, v3, v18, -v20
	v_fmac_f32_e32 v21, v4, v18
	v_xor_b32_e32 v18, 0x80000000, v3
	v_xor_b32_e32 v19, 0x80000000, v21
	v_mov_b32_e32 v4, v21
	ds_write_b64 v11, v[18:19]
.LBB149_659:
	s_or_b64 exec, exec, s[16:17]
	s_waitcnt lgkmcnt(0)
	s_barrier
	s_and_saveexec_b64 s[16:17], s[52:53]
	s_cbranch_execz .LBB149_661
; %bb.660:
	v_lshlrev_b32_e32 v18, 3, v9
	ds_read_b64 v[18:19], v18 offset:14016
	ds_read_b64 v[20:21], v11
	s_waitcnt lgkmcnt(0)
	v_mul_f32_e32 v22, v21, v19
	v_mul_f32_e32 v19, v20, v19
	v_fma_f32 v20, v20, v18, -v22
	v_fmac_f32_e32 v19, v21, v18
	v_sub_f32_e32 v3, v3, v20
	v_sub_f32_e32 v4, v4, v19
.LBB149_661:
	s_or_b64 exec, exec, s[16:17]
	s_barrier
	s_and_saveexec_b64 s[16:17], s[54:55]
	s_cbranch_execz .LBB149_663
; %bb.662:
	v_mov_b32_e32 v18, 0
	ds_read_b64 v[18:19], v18 offset:13520
	s_waitcnt lgkmcnt(0)
	v_mul_f32_e32 v20, v4, v19
	v_mul_f32_e32 v21, v3, v19
	v_fma_f32 v3, v3, v18, -v20
	v_fmac_f32_e32 v21, v4, v18
	v_xor_b32_e32 v18, 0x80000000, v3
	v_xor_b32_e32 v19, 0x80000000, v21
	v_mov_b32_e32 v4, v21
	ds_write_b64 v11, v[18:19]
.LBB149_663:
	s_or_b64 exec, exec, s[16:17]
	s_waitcnt lgkmcnt(0)
	s_barrier
	s_and_saveexec_b64 s[16:17], s[56:57]
	s_cbranch_execz .LBB149_665
; %bb.664:
	v_lshlrev_b32_e32 v18, 3, v9
	ds_read_b64 v[18:19], v18 offset:13504
	ds_read_b64 v[20:21], v11
	s_waitcnt lgkmcnt(0)
	v_mul_f32_e32 v22, v21, v19
	v_mul_f32_e32 v19, v20, v19
	v_fma_f32 v20, v20, v18, -v22
	v_fmac_f32_e32 v19, v21, v18
	v_sub_f32_e32 v3, v3, v20
	v_sub_f32_e32 v4, v4, v19
.LBB149_665:
	s_or_b64 exec, exec, s[16:17]
	s_barrier
	s_and_saveexec_b64 s[16:17], s[58:59]
	s_cbranch_execz .LBB149_667
; %bb.666:
	v_mov_b32_e32 v18, 0
	ds_read_b64 v[18:19], v18 offset:13000
	s_waitcnt lgkmcnt(0)
	v_mul_f32_e32 v20, v4, v19
	v_mul_f32_e32 v21, v3, v19
	v_fma_f32 v3, v3, v18, -v20
	v_fmac_f32_e32 v21, v4, v18
	v_xor_b32_e32 v18, 0x80000000, v3
	v_xor_b32_e32 v19, 0x80000000, v21
	v_mov_b32_e32 v4, v21
	ds_write_b64 v11, v[18:19]
.LBB149_667:
	s_or_b64 exec, exec, s[16:17]
	s_waitcnt lgkmcnt(0)
	s_barrier
	s_and_saveexec_b64 s[16:17], s[48:49]
	s_cbranch_execz .LBB149_669
; %bb.668:
	v_mov_b32_e32 v18, 0
	ds_read_b64 v[18:19], v18 offset:12992
	ds_read_b64 v[20:21], v11
	s_waitcnt lgkmcnt(0)
	v_mul_f32_e32 v22, v21, v19
	v_mul_f32_e32 v19, v20, v19
	v_fma_f32 v20, v20, v18, -v22
	v_fmac_f32_e32 v19, v21, v18
	v_sub_f32_e32 v3, v3, v20
	v_sub_f32_e32 v4, v4, v19
.LBB149_669:
	s_or_b64 exec, exec, s[16:17]
	s_barrier
	s_and_saveexec_b64 s[16:17], s[48:49]
	s_cbranch_execz .LBB149_671
; %bb.670:
	v_mov_b32_e32 v18, 0
	ds_read_b64 v[18:19], v18 offset:12480
	s_waitcnt lgkmcnt(0)
	v_mul_f32_e32 v20, v4, v19
	v_mul_f32_e32 v21, v3, v19
	v_fma_f32 v3, v3, v18, -v20
	v_fmac_f32_e32 v21, v4, v18
	v_xor_b32_e32 v18, 0x80000000, v3
	v_xor_b32_e32 v19, 0x80000000, v21
	v_mov_b32_e32 v4, v21
	ds_write_b64 v11, v[18:19]
.LBB149_671:
	s_or_b64 exec, exec, s[16:17]
	s_waitcnt lgkmcnt(0)
	s_barrier
	s_barrier
	s_and_saveexec_b64 s[16:17], s[10:11]
; %bb.672:
	v_lshlrev_b32_e32 v18, 3, v9
	v_lshl_or_b32 v18, v10, 9, v18
	ds_write_b64 v18, v[3:4] offset:14528
; %bb.673:
	s_or_b64 exec, exec, s[16:17]
	s_waitcnt lgkmcnt(0)
	s_barrier
	s_barrier
	s_and_saveexec_b64 s[16:17], s[60:61]
	s_cbranch_execz .LBB149_675
; %bb.674:
	v_lshlrev_b32_e32 v18, 9, v0
	ds_read_b64 v[3:4], v18 offset:14528
	s_movk_i32 s18, 0xfe08
	v_mad_i32_i24 v19, v0, s18, v18
	s_waitcnt lgkmcnt(0)
	ds_write_b64 v19, v[3:4] offset:12512
	ds_read_b64 v[3:4], v18 offset:14536
	s_waitcnt lgkmcnt(0)
	ds_write_b64 v19, v[3:4] offset:13024
	ds_read_b64 v[3:4], v18 offset:14544
	;; [unrolled: 3-line block ×3, first 2 shown]
	s_waitcnt lgkmcnt(0)
	ds_write_b64 v19, v[3:4] offset:14048
.LBB149_675:
	s_or_b64 exec, exec, s[16:17]
	s_waitcnt lgkmcnt(0)
	s_barrier
	s_and_saveexec_b64 s[16:17], vcc
	s_cbranch_execz .LBB149_677
; %bb.676:
	s_movk_i32 s18, 0xd0
	v_mov_b32_e32 v3, 0
	v_add_u32_e64 v18, s18, 0
	ds_read_b64 v[3:4], v3 offset:14040
	ds_read2st64_b64 v[18:21], v18 offset0:26 offset1:27
	s_movk_i32 s18, 0x3000
	s_waitcnt lgkmcnt(0)
	v_mul_f32_e32 v22, v4, v19
	v_mul_f32_e32 v19, v3, v19
	v_fma_f32 v22, v3, v18, -v22
	v_fmac_f32_e32 v19, v4, v18
	v_mul_f32_e32 v3, v19, v21
	v_mul_f32_e32 v4, v22, v21
	v_fma_f32 v3, v22, v20, -v3
	v_fmac_f32_e32 v4, v19, v20
	v_add_u32_e64 v18, s18, 0
	ds_write2_b64 v18, v[3:4], v[3:4] offset0:155 offset1:218
.LBB149_677:
	s_or_b64 exec, exec, s[16:17]
	v_mov_b32_e32 v3, 0
	v_mov_b32_e32 v4, 0
	s_waitcnt lgkmcnt(0)
	s_barrier
	buffer_wbinvl1_vol
	s_and_saveexec_b64 s[18:19], s[22:23]
	s_cbranch_execz .LBB149_681
; %bb.678:
	v_lshlrev_b32_e32 v3, 3, v5
	v_lshlrev_b32_e32 v18, 9, v6
	ds_read_b64 v[3:4], v3 offset:13504
	ds_read_b64 v[18:19], v18 offset:13520
	v_cmp_gt_u32_e64 s[16:17], 2, v8
	s_waitcnt lgkmcnt(0)
	v_mul_f32_e32 v20, v19, v4
	v_mul_f32_e32 v4, v18, v4
	v_fma_f32 v18, v18, v3, -v20
	v_fmac_f32_e32 v4, v19, v3
	v_add_f32_e32 v3, 0, v18
	v_add_f32_e32 v4, 0, v4
	s_and_saveexec_b64 s[20:21], s[16:17]
	s_cbranch_execz .LBB149_680
; %bb.679:
	v_lshlrev_b32_e32 v18, 3, v0
	v_mov_b32_e32 v20, 0
	ds_read_b64 v[18:19], v18 offset:14016
	ds_read_b64 v[20:21], v20 offset:14040
	s_waitcnt lgkmcnt(0)
	v_mul_f32_e32 v22, v21, v19
	v_mul_f32_e32 v19, v20, v19
	v_fma_f32 v20, v20, v18, -v22
	v_fmac_f32_e32 v19, v21, v18
	v_add_f32_e32 v3, v3, v20
	v_add_f32_e32 v4, v4, v19
.LBB149_680:
	s_or_b64 exec, exec, s[20:21]
.LBB149_681:
	s_or_b64 exec, exec, s[18:19]
	s_and_saveexec_b64 s[16:17], s[44:45]
	s_cbranch_execz .LBB149_683
; %bb.682:
	v_mov_b32_e32 v18, 0
	ds_read_b64 v[18:19], v18 offset:13000
	s_waitcnt lgkmcnt(0)
	v_mul_f32_e32 v20, v4, v19
	v_mul_f32_e32 v21, v3, v19
	v_fma_f32 v3, v3, v18, -v20
	v_fmac_f32_e32 v21, v4, v18
	v_xor_b32_e32 v18, 0x80000000, v3
	v_xor_b32_e32 v19, 0x80000000, v21
	v_mov_b32_e32 v4, v21
	ds_write_b64 v7, v[18:19]
.LBB149_683:
	s_or_b64 exec, exec, s[16:17]
	s_waitcnt lgkmcnt(0)
	s_barrier
	s_and_saveexec_b64 s[16:17], s[42:43]
	s_cbranch_execz .LBB149_685
; %bb.684:
	v_mov_b32_e32 v18, 0
	ds_read_b64 v[18:19], v18 offset:12992
	ds_read_b64 v[20:21], v7
	s_waitcnt lgkmcnt(0)
	v_mul_f32_e32 v22, v21, v19
	v_mul_f32_e32 v19, v20, v19
	v_fma_f32 v20, v20, v18, -v22
	v_fmac_f32_e32 v19, v21, v18
	v_sub_f32_e32 v3, v3, v20
	v_sub_f32_e32 v4, v4, v19
.LBB149_685:
	s_or_b64 exec, exec, s[16:17]
	s_barrier
	s_and_saveexec_b64 s[16:17], s[42:43]
	s_cbranch_execz .LBB149_687
; %bb.686:
	v_mov_b32_e32 v18, 0
	ds_read_b64 v[18:19], v18 offset:12480
	s_waitcnt lgkmcnt(0)
	v_mul_f32_e32 v20, v4, v19
	v_mul_f32_e32 v21, v3, v19
	v_fma_f32 v3, v3, v18, -v20
	v_fmac_f32_e32 v21, v4, v18
	v_xor_b32_e32 v18, 0x80000000, v3
	v_xor_b32_e32 v19, 0x80000000, v21
	v_mov_b32_e32 v4, v21
	ds_write_b64 v7, v[18:19]
.LBB149_687:
	s_or_b64 exec, exec, s[16:17]
	s_waitcnt lgkmcnt(0)
	s_barrier
	s_barrier
	s_and_saveexec_b64 s[16:17], s[22:23]
; %bb.688:
	v_lshlrev_b32_e32 v18, 3, v5
	v_lshl_or_b32 v18, v6, 9, v18
	ds_write_b64 v18, v[3:4] offset:13504
; %bb.689:
	s_or_b64 exec, exec, s[16:17]
	s_waitcnt lgkmcnt(0)
	s_barrier
	s_barrier
	s_and_saveexec_b64 s[16:17], s[46:47]
	s_cbranch_execz .LBB149_691
; %bb.690:
	v_lshlrev_b32_e32 v18, 3, v0
	s_movk_i32 s18, 0x1f8
	v_mad_u32_u24 v19, v0, s18, v18
	ds_read_b64 v[3:4], v19 offset:13504
	s_waitcnt lgkmcnt(0)
	ds_write_b64 v18, v[3:4] offset:12496
	ds_read_b64 v[3:4], v19 offset:13512
	s_waitcnt lgkmcnt(0)
	ds_write_b64 v18, v[3:4] offset:13008
.LBB149_691:
	s_or_b64 exec, exec, s[16:17]
	s_waitcnt lgkmcnt(0)
	s_barrier
	s_and_saveexec_b64 s[16:17], vcc
	s_cbranch_execz .LBB149_693
; %bb.692:
	s_movk_i32 s18, 0xc0
	v_mov_b32_e32 v3, 0
	v_add_u32_e64 v18, s18, 0
	ds_read_b64 v[3:4], v3 offset:13000
	ds_read2st64_b64 v[18:21], v18 offset0:24 offset1:25
	s_movk_i32 s18, 0x3000
	s_waitcnt lgkmcnt(0)
	v_mul_f32_e32 v22, v4, v19
	v_mul_f32_e32 v19, v3, v19
	v_fma_f32 v22, v3, v18, -v22
	v_fmac_f32_e32 v19, v4, v18
	v_mul_f32_e32 v3, v19, v21
	v_mul_f32_e32 v4, v22, v21
	v_fma_f32 v3, v22, v20, -v3
	v_fmac_f32_e32 v4, v19, v20
	v_add_u32_e64 v18, s18, 0
	ds_write2_b64 v18, v[3:4], v[3:4] offset0:25 offset1:88
.LBB149_693:
	s_or_b64 exec, exec, s[16:17]
	v_mov_b32_e32 v4, 0
	v_mov_b32_e32 v3, 0
	s_waitcnt lgkmcnt(0)
	s_barrier
	buffer_wbinvl1_vol
	s_and_saveexec_b64 s[18:19], s[12:13]
	s_cbranch_execz .LBB149_703
; %bb.694:
	v_lshlrev_b32_e32 v18, 3, v12
	v_lshlrev_b32_e32 v19, 9, v13
	ds_read_b64 v[3:4], v18 offset:12416
	ds_read_b64 v[20:21], v19 offset:12480
	v_cmp_gt_u32_e64 s[16:17], 56, v8
	s_waitcnt lgkmcnt(0)
	v_mul_f32_e32 v22, v21, v4
	v_mul_f32_e32 v4, v20, v4
	v_fma_f32 v20, v20, v3, -v22
	v_fmac_f32_e32 v4, v21, v3
	v_add_f32_e32 v3, 0, v20
	v_add_f32_e32 v4, 0, v4
	s_and_saveexec_b64 s[20:21], s[16:17]
	s_cbranch_execnz .LBB149_1144
; %bb.695:
	s_or_b64 exec, exec, s[20:21]
	v_cmp_gt_u32_e64 s[16:17], 48, v8
	s_and_saveexec_b64 s[20:21], s[16:17]
	s_cbranch_execnz .LBB149_1145
.LBB149_696:
	s_or_b64 exec, exec, s[20:21]
	v_cmp_gt_u32_e64 s[16:17], 40, v8
	s_and_saveexec_b64 s[20:21], s[16:17]
	s_cbranch_execnz .LBB149_1146
.LBB149_697:
	s_or_b64 exec, exec, s[20:21]
	v_cmp_gt_u32_e64 s[16:17], 32, v8
	s_and_saveexec_b64 s[20:21], s[16:17]
	s_cbranch_execnz .LBB149_1147
.LBB149_698:
	s_or_b64 exec, exec, s[20:21]
	v_cmp_gt_u32_e64 s[16:17], 24, v8
	s_and_saveexec_b64 s[20:21], s[16:17]
	s_cbranch_execnz .LBB149_1148
.LBB149_699:
	s_or_b64 exec, exec, s[20:21]
	s_and_saveexec_b64 s[16:17], s[10:11]
	s_cbranch_execnz .LBB149_1149
.LBB149_700:
	s_or_b64 exec, exec, s[16:17]
	v_cmp_gt_u32_e64 s[16:17], 8, v8
	s_and_saveexec_b64 s[20:21], s[16:17]
	s_cbranch_execz .LBB149_702
.LBB149_701:
	v_lshlrev_b32_e32 v18, 3, v0
	v_mov_b32_e32 v20, 0
	ds_read_b64 v[18:19], v18 offset:16000
	ds_read_b64 v[20:21], v20 offset:16120
	s_waitcnt lgkmcnt(0)
	v_mul_f32_e32 v22, v21, v19
	v_mul_f32_e32 v19, v20, v19
	v_fma_f32 v20, v20, v18, -v22
	v_fmac_f32_e32 v19, v21, v18
	v_add_f32_e32 v3, v3, v20
	v_add_f32_e32 v4, v4, v19
.LBB149_702:
	s_or_b64 exec, exec, s[20:21]
.LBB149_703:
	s_or_b64 exec, exec, s[18:19]
	s_and_saveexec_b64 s[16:17], s[64:65]
	s_cbranch_execz .LBB149_705
; %bb.704:
	v_mov_b32_e32 v18, 0
	ds_read_b64 v[18:19], v18 offset:11960
	s_waitcnt lgkmcnt(0)
	v_mul_f32_e32 v20, v4, v19
	v_mul_f32_e32 v21, v3, v19
	v_fma_f32 v3, v3, v18, -v20
	v_fmac_f32_e32 v21, v4, v18
	v_xor_b32_e32 v18, 0x80000000, v3
	v_xor_b32_e32 v19, 0x80000000, v21
	v_mov_b32_e32 v4, v21
	ds_write_b64 v14, v[18:19]
.LBB149_705:
	s_or_b64 exec, exec, s[16:17]
	s_waitcnt lgkmcnt(0)
	s_barrier
	s_and_saveexec_b64 s[16:17], s[66:67]
	s_cbranch_execz .LBB149_707
; %bb.706:
	v_lshlrev_b32_e32 v18, 3, v12
	ds_read_b64 v[18:19], v18 offset:11904
	ds_read_b64 v[20:21], v14
	s_waitcnt lgkmcnt(0)
	v_mul_f32_e32 v22, v21, v19
	v_mul_f32_e32 v19, v20, v19
	v_fma_f32 v20, v20, v18, -v22
	v_fmac_f32_e32 v19, v21, v18
	v_sub_f32_e32 v3, v3, v20
	v_sub_f32_e32 v4, v4, v19
.LBB149_707:
	s_or_b64 exec, exec, s[16:17]
	s_barrier
	s_and_saveexec_b64 s[16:17], s[68:69]
	s_cbranch_execz .LBB149_709
; %bb.708:
	v_mov_b32_e32 v18, 0
	ds_read_b64 v[18:19], v18 offset:11440
	s_waitcnt lgkmcnt(0)
	v_mul_f32_e32 v20, v4, v19
	v_mul_f32_e32 v21, v3, v19
	v_fma_f32 v3, v3, v18, -v20
	v_fmac_f32_e32 v21, v4, v18
	v_xor_b32_e32 v18, 0x80000000, v3
	v_xor_b32_e32 v19, 0x80000000, v21
	v_mov_b32_e32 v4, v21
	ds_write_b64 v14, v[18:19]
.LBB149_709:
	s_or_b64 exec, exec, s[16:17]
	s_waitcnt lgkmcnt(0)
	s_barrier
	s_and_saveexec_b64 s[16:17], s[70:71]
	s_cbranch_execz .LBB149_711
; %bb.710:
	v_lshlrev_b32_e32 v18, 3, v12
	ds_read_b64 v[18:19], v18 offset:11392
	ds_read_b64 v[20:21], v14
	s_waitcnt lgkmcnt(0)
	v_mul_f32_e32 v22, v21, v19
	v_mul_f32_e32 v19, v20, v19
	v_fma_f32 v20, v20, v18, -v22
	v_fmac_f32_e32 v19, v21, v18
	v_sub_f32_e32 v3, v3, v20
	v_sub_f32_e32 v4, v4, v19
.LBB149_711:
	s_or_b64 exec, exec, s[16:17]
	s_barrier
	;; [unrolled: 34-line block ×6, first 2 shown]
	s_and_saveexec_b64 s[16:17], s[88:89]
	s_cbranch_execz .LBB149_729
; %bb.728:
	v_mov_b32_e32 v18, 0
	ds_read_b64 v[18:19], v18 offset:8840
	s_waitcnt lgkmcnt(0)
	v_mul_f32_e32 v20, v4, v19
	v_mul_f32_e32 v21, v3, v19
	v_fma_f32 v3, v3, v18, -v20
	v_fmac_f32_e32 v21, v4, v18
	v_xor_b32_e32 v18, 0x80000000, v3
	v_xor_b32_e32 v19, 0x80000000, v21
	v_mov_b32_e32 v4, v21
	ds_write_b64 v14, v[18:19]
.LBB149_729:
	s_or_b64 exec, exec, s[16:17]
	s_waitcnt lgkmcnt(0)
	s_barrier
	s_and_saveexec_b64 s[16:17], s[62:63]
	s_cbranch_execz .LBB149_731
; %bb.730:
	v_mov_b32_e32 v18, 0
	ds_read_b64 v[18:19], v18 offset:8832
	ds_read_b64 v[20:21], v14
	s_waitcnt lgkmcnt(0)
	v_mul_f32_e32 v22, v21, v19
	v_mul_f32_e32 v19, v20, v19
	v_fma_f32 v20, v20, v18, -v22
	v_fmac_f32_e32 v19, v21, v18
	v_sub_f32_e32 v3, v3, v20
	v_sub_f32_e32 v4, v4, v19
.LBB149_731:
	s_or_b64 exec, exec, s[16:17]
	s_barrier
	s_and_saveexec_b64 s[16:17], s[62:63]
	s_cbranch_execz .LBB149_733
; %bb.732:
	v_mov_b32_e32 v18, 0
	ds_read_b64 v[18:19], v18 offset:8320
	s_waitcnt lgkmcnt(0)
	v_mul_f32_e32 v20, v4, v19
	v_mul_f32_e32 v21, v3, v19
	v_fma_f32 v3, v3, v18, -v20
	v_fmac_f32_e32 v21, v4, v18
	v_xor_b32_e32 v18, 0x80000000, v3
	v_xor_b32_e32 v19, 0x80000000, v21
	v_mov_b32_e32 v4, v21
	ds_write_b64 v14, v[18:19]
.LBB149_733:
	s_or_b64 exec, exec, s[16:17]
	s_waitcnt lgkmcnt(0)
	s_barrier
	s_barrier
	s_and_saveexec_b64 s[16:17], s[12:13]
; %bb.734:
	v_lshlrev_b32_e32 v18, 3, v12
	v_lshl_or_b32 v18, v13, 9, v18
	ds_write_b64 v18, v[3:4] offset:12416
; %bb.735:
	s_or_b64 exec, exec, s[16:17]
	s_waitcnt lgkmcnt(0)
	s_barrier
	s_barrier
	s_and_saveexec_b64 s[16:17], s[90:91]
	s_cbranch_execz .LBB149_737
; %bb.736:
	v_lshlrev_b32_e32 v18, 9, v0
	ds_read_b64 v[3:4], v18 offset:12416
	s_movk_i32 s18, 0xfe08
	v_mad_i32_i24 v19, v0, s18, v18
	s_waitcnt lgkmcnt(0)
	ds_write_b64 v19, v[3:4] offset:8384
	ds_read_b64 v[3:4], v18 offset:12424
	s_waitcnt lgkmcnt(0)
	ds_write_b64 v19, v[3:4] offset:8896
	ds_read_b64 v[3:4], v18 offset:12432
	;; [unrolled: 3-line block ×7, first 2 shown]
	s_waitcnt lgkmcnt(0)
	ds_write_b64 v19, v[3:4] offset:11968
.LBB149_737:
	s_or_b64 exec, exec, s[16:17]
	s_waitcnt lgkmcnt(0)
	s_barrier
	s_and_saveexec_b64 s[16:17], vcc
	s_cbranch_execz .LBB149_739
; %bb.738:
	s_movk_i32 s18, 0xb0
	v_mov_b32_e32 v3, 0
	v_add_u32_e64 v18, s18, 0
	ds_read_b64 v[3:4], v3 offset:11960
	ds_read2st64_b64 v[18:21], v18 offset0:22 offset1:23
	s_movk_i32 s18, 0x2800
	s_waitcnt lgkmcnt(0)
	v_mul_f32_e32 v22, v4, v19
	v_mul_f32_e32 v19, v3, v19
	v_fma_f32 v22, v3, v18, -v22
	v_fmac_f32_e32 v19, v4, v18
	v_mul_f32_e32 v3, v19, v21
	v_mul_f32_e32 v4, v22, v21
	v_fma_f32 v3, v22, v20, -v3
	v_fmac_f32_e32 v4, v19, v20
	v_add_u32_e64 v18, s18, 0
	ds_write2_b64 v18, v[3:4], v[3:4] offset0:151 offset1:214
.LBB149_739:
	s_or_b64 exec, exec, s[16:17]
	v_mov_b32_e32 v3, 0
	v_mov_b32_e32 v4, 0
	s_waitcnt lgkmcnt(0)
	s_barrier
	buffer_wbinvl1_vol
	s_and_saveexec_b64 s[18:19], s[22:23]
	s_cbranch_execz .LBB149_743
; %bb.740:
	v_lshlrev_b32_e32 v3, 3, v5
	v_lshlrev_b32_e32 v18, 9, v6
	ds_read_b64 v[3:4], v3 offset:11424
	ds_read_b64 v[18:19], v18 offset:11440
	v_cmp_gt_u32_e64 s[16:17], 2, v8
	s_waitcnt lgkmcnt(0)
	v_mul_f32_e32 v20, v19, v4
	v_mul_f32_e32 v4, v18, v4
	v_fma_f32 v18, v18, v3, -v20
	v_fmac_f32_e32 v4, v19, v3
	v_add_f32_e32 v3, 0, v18
	v_add_f32_e32 v4, 0, v4
	s_and_saveexec_b64 s[20:21], s[16:17]
	s_cbranch_execz .LBB149_742
; %bb.741:
	v_lshlrev_b32_e32 v18, 3, v0
	v_mov_b32_e32 v20, 0
	ds_read_b64 v[18:19], v18 offset:11936
	ds_read_b64 v[20:21], v20 offset:11960
	s_waitcnt lgkmcnt(0)
	v_mul_f32_e32 v22, v21, v19
	v_mul_f32_e32 v19, v20, v19
	v_fma_f32 v20, v20, v18, -v22
	v_fmac_f32_e32 v19, v21, v18
	v_add_f32_e32 v3, v3, v20
	v_add_f32_e32 v4, v4, v19
.LBB149_742:
	s_or_b64 exec, exec, s[20:21]
.LBB149_743:
	s_or_b64 exec, exec, s[18:19]
	s_and_saveexec_b64 s[16:17], s[44:45]
	s_cbranch_execz .LBB149_745
; %bb.744:
	v_mov_b32_e32 v18, 0
	ds_read_b64 v[18:19], v18 offset:10920
	s_waitcnt lgkmcnt(0)
	v_mul_f32_e32 v20, v4, v19
	v_mul_f32_e32 v21, v3, v19
	v_fma_f32 v3, v3, v18, -v20
	v_fmac_f32_e32 v21, v4, v18
	v_xor_b32_e32 v18, 0x80000000, v3
	v_xor_b32_e32 v19, 0x80000000, v21
	v_mov_b32_e32 v4, v21
	ds_write_b64 v7, v[18:19]
.LBB149_745:
	s_or_b64 exec, exec, s[16:17]
	s_waitcnt lgkmcnt(0)
	s_barrier
	s_and_saveexec_b64 s[16:17], s[42:43]
	s_cbranch_execz .LBB149_747
; %bb.746:
	v_mov_b32_e32 v18, 0
	ds_read_b64 v[18:19], v18 offset:10912
	ds_read_b64 v[20:21], v7
	s_waitcnt lgkmcnt(0)
	v_mul_f32_e32 v22, v21, v19
	v_mul_f32_e32 v19, v20, v19
	v_fma_f32 v20, v20, v18, -v22
	v_fmac_f32_e32 v19, v21, v18
	v_sub_f32_e32 v3, v3, v20
	v_sub_f32_e32 v4, v4, v19
.LBB149_747:
	s_or_b64 exec, exec, s[16:17]
	s_barrier
	s_and_saveexec_b64 s[16:17], s[42:43]
	s_cbranch_execz .LBB149_749
; %bb.748:
	v_mov_b32_e32 v18, 0
	ds_read_b64 v[18:19], v18 offset:10400
	s_waitcnt lgkmcnt(0)
	v_mul_f32_e32 v20, v4, v19
	v_mul_f32_e32 v21, v3, v19
	v_fma_f32 v3, v3, v18, -v20
	v_fmac_f32_e32 v21, v4, v18
	v_xor_b32_e32 v18, 0x80000000, v3
	v_xor_b32_e32 v19, 0x80000000, v21
	v_mov_b32_e32 v4, v21
	ds_write_b64 v7, v[18:19]
.LBB149_749:
	s_or_b64 exec, exec, s[16:17]
	s_waitcnt lgkmcnt(0)
	s_barrier
	s_barrier
	s_and_saveexec_b64 s[16:17], s[22:23]
; %bb.750:
	v_lshlrev_b32_e32 v18, 3, v5
	v_lshl_or_b32 v18, v6, 9, v18
	ds_write_b64 v18, v[3:4] offset:11424
; %bb.751:
	s_or_b64 exec, exec, s[16:17]
	s_waitcnt lgkmcnt(0)
	s_barrier
	s_barrier
	s_and_saveexec_b64 s[16:17], s[46:47]
	s_cbranch_execz .LBB149_753
; %bb.752:
	v_lshlrev_b32_e32 v18, 3, v0
	s_movk_i32 s18, 0x1f8
	v_mad_u32_u24 v19, v0, s18, v18
	ds_read_b64 v[3:4], v19 offset:11424
	s_waitcnt lgkmcnt(0)
	ds_write_b64 v18, v[3:4] offset:10416
	ds_read_b64 v[3:4], v19 offset:11432
	s_waitcnt lgkmcnt(0)
	ds_write_b64 v18, v[3:4] offset:10928
.LBB149_753:
	s_or_b64 exec, exec, s[16:17]
	s_waitcnt lgkmcnt(0)
	s_barrier
	s_and_saveexec_b64 s[16:17], vcc
	s_cbranch_execz .LBB149_755
; %bb.754:
	s_movk_i32 s18, 0xa0
	v_mov_b32_e32 v3, 0
	v_add_u32_e64 v18, s18, 0
	ds_read_b64 v[3:4], v3 offset:10920
	ds_read2st64_b64 v[18:21], v18 offset0:20 offset1:21
	s_movk_i32 s18, 0x2800
	s_waitcnt lgkmcnt(0)
	v_mul_f32_e32 v22, v4, v19
	v_mul_f32_e32 v19, v3, v19
	v_fma_f32 v22, v3, v18, -v22
	v_fmac_f32_e32 v19, v4, v18
	v_mul_f32_e32 v3, v19, v21
	v_mul_f32_e32 v4, v22, v21
	v_fma_f32 v3, v22, v20, -v3
	v_fmac_f32_e32 v4, v19, v20
	v_add_u32_e64 v18, s18, 0
	ds_write2_b64 v18, v[3:4], v[3:4] offset0:21 offset1:84
.LBB149_755:
	s_or_b64 exec, exec, s[16:17]
	v_mov_b32_e32 v4, 0
	v_mov_b32_e32 v3, 0
	s_waitcnt lgkmcnt(0)
	s_barrier
	buffer_wbinvl1_vol
	s_and_saveexec_b64 s[18:19], s[10:11]
	s_cbranch_execz .LBB149_761
; %bb.756:
	v_lshlrev_b32_e32 v18, 3, v9
	v_lshlrev_b32_e32 v19, 9, v10
	ds_read_b64 v[3:4], v18 offset:10368
	ds_read_b64 v[20:21], v19 offset:10400
	v_cmp_gt_u32_e64 s[16:17], 12, v8
	s_waitcnt lgkmcnt(0)
	v_mul_f32_e32 v22, v21, v4
	v_mul_f32_e32 v4, v20, v4
	v_fma_f32 v20, v20, v3, -v22
	v_fmac_f32_e32 v4, v21, v3
	v_add_f32_e32 v3, 0, v20
	v_add_f32_e32 v4, 0, v4
	s_and_saveexec_b64 s[20:21], s[16:17]
	s_cbranch_execnz .LBB149_1150
; %bb.757:
	s_or_b64 exec, exec, s[20:21]
	v_cmp_gt_u32_e64 s[16:17], 8, v8
	s_and_saveexec_b64 s[20:21], s[16:17]
	s_cbranch_execnz .LBB149_1151
.LBB149_758:
	s_or_b64 exec, exec, s[20:21]
	v_cmp_gt_u32_e64 s[16:17], 4, v8
	s_and_saveexec_b64 s[20:21], s[16:17]
	s_cbranch_execz .LBB149_760
.LBB149_759:
	v_lshlrev_b32_e32 v18, 3, v0
	v_mov_b32_e32 v20, 0
	ds_read_b64 v[18:19], v18 offset:11904
	ds_read_b64 v[20:21], v20 offset:11960
	s_waitcnt lgkmcnt(0)
	v_mul_f32_e32 v22, v21, v19
	v_mul_f32_e32 v19, v20, v19
	v_fma_f32 v20, v20, v18, -v22
	v_fmac_f32_e32 v19, v21, v18
	v_add_f32_e32 v3, v3, v20
	v_add_f32_e32 v4, v4, v19
.LBB149_760:
	s_or_b64 exec, exec, s[20:21]
.LBB149_761:
	s_or_b64 exec, exec, s[18:19]
	s_and_saveexec_b64 s[16:17], s[50:51]
	s_cbranch_execz .LBB149_763
; %bb.762:
	v_mov_b32_e32 v18, 0
	ds_read_b64 v[18:19], v18 offset:9880
	s_waitcnt lgkmcnt(0)
	v_mul_f32_e32 v20, v4, v19
	v_mul_f32_e32 v21, v3, v19
	v_fma_f32 v3, v3, v18, -v20
	v_fmac_f32_e32 v21, v4, v18
	v_xor_b32_e32 v18, 0x80000000, v3
	v_xor_b32_e32 v19, 0x80000000, v21
	v_mov_b32_e32 v4, v21
	ds_write_b64 v11, v[18:19]
.LBB149_763:
	s_or_b64 exec, exec, s[16:17]
	s_waitcnt lgkmcnt(0)
	s_barrier
	s_and_saveexec_b64 s[16:17], s[52:53]
	s_cbranch_execz .LBB149_765
; %bb.764:
	v_lshlrev_b32_e32 v18, 3, v9
	ds_read_b64 v[18:19], v18 offset:9856
	ds_read_b64 v[20:21], v11
	s_waitcnt lgkmcnt(0)
	v_mul_f32_e32 v22, v21, v19
	v_mul_f32_e32 v19, v20, v19
	v_fma_f32 v20, v20, v18, -v22
	v_fmac_f32_e32 v19, v21, v18
	v_sub_f32_e32 v3, v3, v20
	v_sub_f32_e32 v4, v4, v19
.LBB149_765:
	s_or_b64 exec, exec, s[16:17]
	s_barrier
	s_and_saveexec_b64 s[16:17], s[54:55]
	s_cbranch_execz .LBB149_767
; %bb.766:
	v_mov_b32_e32 v18, 0
	ds_read_b64 v[18:19], v18 offset:9360
	s_waitcnt lgkmcnt(0)
	v_mul_f32_e32 v20, v4, v19
	v_mul_f32_e32 v21, v3, v19
	v_fma_f32 v3, v3, v18, -v20
	v_fmac_f32_e32 v21, v4, v18
	v_xor_b32_e32 v18, 0x80000000, v3
	v_xor_b32_e32 v19, 0x80000000, v21
	v_mov_b32_e32 v4, v21
	ds_write_b64 v11, v[18:19]
.LBB149_767:
	s_or_b64 exec, exec, s[16:17]
	s_waitcnt lgkmcnt(0)
	s_barrier
	s_and_saveexec_b64 s[16:17], s[56:57]
	s_cbranch_execz .LBB149_769
; %bb.768:
	v_lshlrev_b32_e32 v18, 3, v9
	ds_read_b64 v[18:19], v18 offset:9344
	ds_read_b64 v[20:21], v11
	s_waitcnt lgkmcnt(0)
	v_mul_f32_e32 v22, v21, v19
	v_mul_f32_e32 v19, v20, v19
	v_fma_f32 v20, v20, v18, -v22
	v_fmac_f32_e32 v19, v21, v18
	v_sub_f32_e32 v3, v3, v20
	v_sub_f32_e32 v4, v4, v19
.LBB149_769:
	s_or_b64 exec, exec, s[16:17]
	s_barrier
	s_and_saveexec_b64 s[16:17], s[58:59]
	s_cbranch_execz .LBB149_771
; %bb.770:
	v_mov_b32_e32 v18, 0
	ds_read_b64 v[18:19], v18 offset:8840
	s_waitcnt lgkmcnt(0)
	v_mul_f32_e32 v20, v4, v19
	v_mul_f32_e32 v21, v3, v19
	v_fma_f32 v3, v3, v18, -v20
	v_fmac_f32_e32 v21, v4, v18
	v_xor_b32_e32 v18, 0x80000000, v3
	v_xor_b32_e32 v19, 0x80000000, v21
	v_mov_b32_e32 v4, v21
	ds_write_b64 v11, v[18:19]
.LBB149_771:
	s_or_b64 exec, exec, s[16:17]
	s_waitcnt lgkmcnt(0)
	s_barrier
	s_and_saveexec_b64 s[16:17], s[48:49]
	s_cbranch_execz .LBB149_773
; %bb.772:
	v_mov_b32_e32 v18, 0
	ds_read_b64 v[18:19], v18 offset:8832
	ds_read_b64 v[20:21], v11
	s_waitcnt lgkmcnt(0)
	v_mul_f32_e32 v22, v21, v19
	v_mul_f32_e32 v19, v20, v19
	v_fma_f32 v20, v20, v18, -v22
	v_fmac_f32_e32 v19, v21, v18
	v_sub_f32_e32 v3, v3, v20
	v_sub_f32_e32 v4, v4, v19
.LBB149_773:
	s_or_b64 exec, exec, s[16:17]
	s_barrier
	s_and_saveexec_b64 s[16:17], s[48:49]
	s_cbranch_execz .LBB149_775
; %bb.774:
	v_mov_b32_e32 v18, 0
	ds_read_b64 v[18:19], v18 offset:8320
	s_waitcnt lgkmcnt(0)
	v_mul_f32_e32 v20, v4, v19
	v_mul_f32_e32 v21, v3, v19
	v_fma_f32 v3, v3, v18, -v20
	v_fmac_f32_e32 v21, v4, v18
	v_xor_b32_e32 v18, 0x80000000, v3
	v_xor_b32_e32 v19, 0x80000000, v21
	v_mov_b32_e32 v4, v21
	ds_write_b64 v11, v[18:19]
.LBB149_775:
	s_or_b64 exec, exec, s[16:17]
	s_waitcnt lgkmcnt(0)
	s_barrier
	s_barrier
	s_and_saveexec_b64 s[16:17], s[10:11]
; %bb.776:
	v_lshlrev_b32_e32 v18, 3, v9
	v_lshl_or_b32 v18, v10, 9, v18
	ds_write_b64 v18, v[3:4] offset:10368
; %bb.777:
	s_or_b64 exec, exec, s[16:17]
	s_waitcnt lgkmcnt(0)
	s_barrier
	s_barrier
	s_and_saveexec_b64 s[16:17], s[60:61]
	s_cbranch_execz .LBB149_779
; %bb.778:
	v_lshlrev_b32_e32 v18, 9, v0
	ds_read_b64 v[3:4], v18 offset:10368
	s_movk_i32 s18, 0xfe08
	v_mad_i32_i24 v19, v0, s18, v18
	s_waitcnt lgkmcnt(0)
	ds_write_b64 v19, v[3:4] offset:8352
	ds_read_b64 v[3:4], v18 offset:10376
	s_waitcnt lgkmcnt(0)
	ds_write_b64 v19, v[3:4] offset:8864
	ds_read_b64 v[3:4], v18 offset:10384
	;; [unrolled: 3-line block ×3, first 2 shown]
	s_waitcnt lgkmcnt(0)
	ds_write_b64 v19, v[3:4] offset:9888
.LBB149_779:
	s_or_b64 exec, exec, s[16:17]
	s_waitcnt lgkmcnt(0)
	s_barrier
	s_and_saveexec_b64 s[16:17], vcc
	s_cbranch_execz .LBB149_781
; %bb.780:
	s_movk_i32 s18, 0x90
	v_mov_b32_e32 v3, 0
	v_add_u32_e64 v18, s18, 0
	ds_read_b64 v[3:4], v3 offset:9880
	ds_read2st64_b64 v[18:21], v18 offset0:18 offset1:19
	s_movk_i32 s18, 0x2000
	s_waitcnt lgkmcnt(0)
	v_mul_f32_e32 v22, v4, v19
	v_mul_f32_e32 v19, v3, v19
	v_fma_f32 v22, v3, v18, -v22
	v_fmac_f32_e32 v19, v4, v18
	v_mul_f32_e32 v3, v19, v21
	v_mul_f32_e32 v4, v22, v21
	v_fma_f32 v3, v22, v20, -v3
	v_fmac_f32_e32 v4, v19, v20
	v_add_u32_e64 v18, s18, 0
	ds_write2_b64 v18, v[3:4], v[3:4] offset0:147 offset1:210
.LBB149_781:
	s_or_b64 exec, exec, s[16:17]
	v_mov_b32_e32 v3, 0
	v_mov_b32_e32 v4, 0
	s_waitcnt lgkmcnt(0)
	s_barrier
	buffer_wbinvl1_vol
	s_and_saveexec_b64 s[18:19], s[22:23]
	s_cbranch_execz .LBB149_785
; %bb.782:
	v_lshlrev_b32_e32 v3, 3, v5
	v_lshlrev_b32_e32 v18, 9, v6
	ds_read_b64 v[3:4], v3 offset:9344
	ds_read_b64 v[18:19], v18 offset:9360
	v_cmp_gt_u32_e64 s[16:17], 2, v8
	s_waitcnt lgkmcnt(0)
	v_mul_f32_e32 v20, v19, v4
	v_mul_f32_e32 v4, v18, v4
	v_fma_f32 v18, v18, v3, -v20
	v_fmac_f32_e32 v4, v19, v3
	v_add_f32_e32 v3, 0, v18
	v_add_f32_e32 v4, 0, v4
	s_and_saveexec_b64 s[20:21], s[16:17]
	s_cbranch_execz .LBB149_784
; %bb.783:
	v_lshlrev_b32_e32 v18, 3, v0
	v_mov_b32_e32 v20, 0
	ds_read_b64 v[18:19], v18 offset:9856
	ds_read_b64 v[20:21], v20 offset:9880
	s_waitcnt lgkmcnt(0)
	v_mul_f32_e32 v22, v21, v19
	v_mul_f32_e32 v19, v20, v19
	v_fma_f32 v20, v20, v18, -v22
	v_fmac_f32_e32 v19, v21, v18
	v_add_f32_e32 v3, v3, v20
	v_add_f32_e32 v4, v4, v19
.LBB149_784:
	s_or_b64 exec, exec, s[20:21]
.LBB149_785:
	s_or_b64 exec, exec, s[18:19]
	s_and_saveexec_b64 s[16:17], s[44:45]
	s_cbranch_execz .LBB149_787
; %bb.786:
	v_mov_b32_e32 v18, 0
	ds_read_b64 v[18:19], v18 offset:8840
	s_waitcnt lgkmcnt(0)
	v_mul_f32_e32 v20, v4, v19
	v_mul_f32_e32 v21, v3, v19
	v_fma_f32 v3, v3, v18, -v20
	v_fmac_f32_e32 v21, v4, v18
	v_xor_b32_e32 v18, 0x80000000, v3
	v_xor_b32_e32 v19, 0x80000000, v21
	v_mov_b32_e32 v4, v21
	ds_write_b64 v7, v[18:19]
.LBB149_787:
	s_or_b64 exec, exec, s[16:17]
	s_waitcnt lgkmcnt(0)
	s_barrier
	s_and_saveexec_b64 s[16:17], s[42:43]
	s_cbranch_execz .LBB149_789
; %bb.788:
	v_mov_b32_e32 v18, 0
	ds_read_b64 v[18:19], v18 offset:8832
	ds_read_b64 v[20:21], v7
	s_waitcnt lgkmcnt(0)
	v_mul_f32_e32 v22, v21, v19
	v_mul_f32_e32 v19, v20, v19
	v_fma_f32 v20, v20, v18, -v22
	v_fmac_f32_e32 v19, v21, v18
	v_sub_f32_e32 v3, v3, v20
	v_sub_f32_e32 v4, v4, v19
.LBB149_789:
	s_or_b64 exec, exec, s[16:17]
	s_barrier
	s_and_saveexec_b64 s[16:17], s[42:43]
	s_cbranch_execz .LBB149_791
; %bb.790:
	v_mov_b32_e32 v18, 0
	ds_read_b64 v[18:19], v18 offset:8320
	s_waitcnt lgkmcnt(0)
	v_mul_f32_e32 v20, v4, v19
	v_mul_f32_e32 v21, v3, v19
	v_fma_f32 v3, v3, v18, -v20
	v_fmac_f32_e32 v21, v4, v18
	v_xor_b32_e32 v18, 0x80000000, v3
	v_xor_b32_e32 v19, 0x80000000, v21
	v_mov_b32_e32 v4, v21
	ds_write_b64 v7, v[18:19]
.LBB149_791:
	s_or_b64 exec, exec, s[16:17]
	s_waitcnt lgkmcnt(0)
	s_barrier
	s_barrier
	s_and_saveexec_b64 s[16:17], s[22:23]
; %bb.792:
	v_lshlrev_b32_e32 v18, 3, v5
	v_lshl_or_b32 v18, v6, 9, v18
	ds_write_b64 v18, v[3:4] offset:9344
; %bb.793:
	s_or_b64 exec, exec, s[16:17]
	s_waitcnt lgkmcnt(0)
	s_barrier
	s_barrier
	s_and_saveexec_b64 s[16:17], s[46:47]
	s_cbranch_execz .LBB149_795
; %bb.794:
	v_lshlrev_b32_e32 v18, 3, v0
	s_movk_i32 s18, 0x1f8
	v_mad_u32_u24 v19, v0, s18, v18
	ds_read_b64 v[3:4], v19 offset:9344
	s_waitcnt lgkmcnt(0)
	ds_write_b64 v18, v[3:4] offset:8336
	ds_read_b64 v[3:4], v19 offset:9352
	s_waitcnt lgkmcnt(0)
	ds_write_b64 v18, v[3:4] offset:8848
.LBB149_795:
	s_or_b64 exec, exec, s[16:17]
	s_waitcnt lgkmcnt(0)
	s_barrier
	s_and_saveexec_b64 s[16:17], vcc
	s_cbranch_execz .LBB149_797
; %bb.796:
	s_movk_i32 s18, 0x80
	v_mov_b32_e32 v3, 0
	v_add_u32_e64 v18, s18, 0
	ds_read_b64 v[3:4], v3 offset:8840
	ds_read2st64_b64 v[18:21], v18 offset0:16 offset1:17
	s_movk_i32 s18, 0x2000
	s_waitcnt lgkmcnt(0)
	v_mul_f32_e32 v22, v4, v19
	v_mul_f32_e32 v19, v3, v19
	v_fma_f32 v22, v3, v18, -v22
	v_fmac_f32_e32 v19, v4, v18
	v_mul_f32_e32 v3, v19, v21
	v_mul_f32_e32 v4, v22, v21
	v_fma_f32 v3, v22, v20, -v3
	v_fmac_f32_e32 v4, v19, v20
	v_add_u32_e64 v18, s18, 0
	ds_write2_b64 v18, v[3:4], v[3:4] offset0:17 offset1:80
.LBB149_797:
	s_or_b64 exec, exec, s[16:17]
	v_mov_b32_e32 v4, 0
	v_mov_b32_e32 v3, 0
	s_waitcnt lgkmcnt(0)
	s_barrier
	buffer_wbinvl1_vol
	s_and_saveexec_b64 s[18:19], s[14:15]
	s_cbranch_execz .LBB149_825
; %bb.798:
	v_lshlrev_b32_e32 v18, 3, v15
	v_lshlrev_b32_e32 v19, 9, v16
	ds_read_b64 v[3:4], v18 offset:8192
	ds_read_b64 v[20:21], v19 offset:8320
	s_movk_i32 s16, 0xf0
	v_cmp_gt_u32_e64 s[16:17], s16, v8
	s_waitcnt lgkmcnt(0)
	v_mul_f32_e32 v22, v21, v4
	v_mul_f32_e32 v4, v20, v4
	v_fma_f32 v20, v20, v3, -v22
	v_fmac_f32_e32 v4, v21, v3
	v_add_f32_e32 v3, 0, v20
	v_add_f32_e32 v4, 0, v4
	s_and_saveexec_b64 s[20:21], s[16:17]
	s_cbranch_execz .LBB149_800
; %bb.799:
	ds_read_b64 v[20:21], v18 offset:8704
	ds_read_b64 v[22:23], v19 offset:8328
	s_waitcnt lgkmcnt(0)
	v_mul_f32_e32 v24, v23, v21
	v_mul_f32_e32 v21, v22, v21
	v_fma_f32 v22, v22, v20, -v24
	v_fmac_f32_e32 v21, v23, v20
	v_add_f32_e32 v3, v3, v22
	v_add_f32_e32 v4, v4, v21
.LBB149_800:
	s_or_b64 exec, exec, s[20:21]
	s_movk_i32 s16, 0xe0
	v_cmp_gt_u32_e64 s[16:17], s16, v8
	s_and_saveexec_b64 s[20:21], s[16:17]
	s_cbranch_execz .LBB149_802
; %bb.801:
	ds_read_b64 v[20:21], v18 offset:9216
	ds_read_b64 v[22:23], v19 offset:8336
	s_waitcnt lgkmcnt(0)
	v_mul_f32_e32 v24, v23, v21
	v_mul_f32_e32 v21, v22, v21
	v_fma_f32 v22, v22, v20, -v24
	v_fmac_f32_e32 v21, v23, v20
	v_add_f32_e32 v3, v3, v22
	v_add_f32_e32 v4, v4, v21
.LBB149_802:
	s_or_b64 exec, exec, s[20:21]
	s_movk_i32 s16, 0xd0
	v_cmp_gt_u32_e64 s[16:17], s16, v8
	s_and_saveexec_b64 s[20:21], s[16:17]
	s_cbranch_execz .LBB149_804
; %bb.803:
	ds_read_b64 v[20:21], v18 offset:9728
	ds_read_b64 v[22:23], v19 offset:8344
	s_waitcnt lgkmcnt(0)
	v_mul_f32_e32 v24, v23, v21
	v_mul_f32_e32 v21, v22, v21
	v_fma_f32 v22, v22, v20, -v24
	v_fmac_f32_e32 v21, v23, v20
	v_add_f32_e32 v3, v3, v22
	v_add_f32_e32 v4, v4, v21
.LBB149_804:
	s_or_b64 exec, exec, s[20:21]
	s_movk_i32 s16, 0xc0
	v_cmp_gt_u32_e64 s[16:17], s16, v8
	s_and_saveexec_b64 s[20:21], s[16:17]
	s_cbranch_execz .LBB149_806
; %bb.805:
	ds_read_b64 v[20:21], v18 offset:10240
	ds_read_b64 v[22:23], v19 offset:8352
	s_waitcnt lgkmcnt(0)
	v_mul_f32_e32 v24, v23, v21
	v_mul_f32_e32 v21, v22, v21
	v_fma_f32 v22, v22, v20, -v24
	v_fmac_f32_e32 v21, v23, v20
	v_add_f32_e32 v3, v3, v22
	v_add_f32_e32 v4, v4, v21
.LBB149_806:
	s_or_b64 exec, exec, s[20:21]
	s_movk_i32 s16, 0xb0
	v_cmp_gt_u32_e64 s[16:17], s16, v8
	s_and_saveexec_b64 s[20:21], s[16:17]
	s_cbranch_execz .LBB149_808
; %bb.807:
	ds_read_b64 v[20:21], v18 offset:10752
	ds_read_b64 v[22:23], v19 offset:8360
	s_waitcnt lgkmcnt(0)
	v_mul_f32_e32 v24, v23, v21
	v_mul_f32_e32 v21, v22, v21
	v_fma_f32 v22, v22, v20, -v24
	v_fmac_f32_e32 v21, v23, v20
	v_add_f32_e32 v3, v3, v22
	v_add_f32_e32 v4, v4, v21
.LBB149_808:
	s_or_b64 exec, exec, s[20:21]
	s_movk_i32 s16, 0xa0
	v_cmp_gt_u32_e64 s[16:17], s16, v8
	s_and_saveexec_b64 s[20:21], s[16:17]
	s_cbranch_execz .LBB149_810
; %bb.809:
	ds_read_b64 v[20:21], v18 offset:11264
	ds_read_b64 v[22:23], v19 offset:8368
	s_waitcnt lgkmcnt(0)
	v_mul_f32_e32 v24, v23, v21
	v_mul_f32_e32 v21, v22, v21
	v_fma_f32 v22, v22, v20, -v24
	v_fmac_f32_e32 v21, v23, v20
	v_add_f32_e32 v3, v3, v22
	v_add_f32_e32 v4, v4, v21
.LBB149_810:
	s_or_b64 exec, exec, s[20:21]
	s_movk_i32 s16, 0x90
	v_cmp_gt_u32_e64 s[16:17], s16, v8
	s_and_saveexec_b64 s[20:21], s[16:17]
	s_cbranch_execz .LBB149_812
; %bb.811:
	ds_read_b64 v[20:21], v18 offset:11776
	ds_read_b64 v[22:23], v19 offset:8376
	s_waitcnt lgkmcnt(0)
	v_mul_f32_e32 v24, v23, v21
	v_mul_f32_e32 v21, v22, v21
	v_fma_f32 v22, v22, v20, -v24
	v_fmac_f32_e32 v21, v23, v20
	v_add_f32_e32 v3, v3, v22
	v_add_f32_e32 v4, v4, v21
.LBB149_812:
	s_or_b64 exec, exec, s[20:21]
	s_movk_i32 s16, 0x80
	v_cmp_gt_u32_e64 s[16:17], s16, v8
	s_and_saveexec_b64 s[20:21], s[16:17]
	s_cbranch_execz .LBB149_814
; %bb.813:
	ds_read_b64 v[20:21], v18 offset:12288
	ds_read_b64 v[22:23], v19 offset:8384
	s_waitcnt lgkmcnt(0)
	v_mul_f32_e32 v24, v23, v21
	v_mul_f32_e32 v21, v22, v21
	v_fma_f32 v22, v22, v20, -v24
	v_fmac_f32_e32 v21, v23, v20
	v_add_f32_e32 v3, v3, v22
	v_add_f32_e32 v4, v4, v21
.LBB149_814:
	s_or_b64 exec, exec, s[20:21]
	s_movk_i32 s16, 0x70
	v_cmp_gt_u32_e64 s[16:17], s16, v8
	s_and_saveexec_b64 s[20:21], s[16:17]
	s_cbranch_execz .LBB149_816
; %bb.815:
	ds_read_b64 v[20:21], v18 offset:12800
	ds_read_b64 v[22:23], v19 offset:8392
	s_waitcnt lgkmcnt(0)
	v_mul_f32_e32 v24, v23, v21
	v_mul_f32_e32 v21, v22, v21
	v_fma_f32 v22, v22, v20, -v24
	v_fmac_f32_e32 v21, v23, v20
	v_add_f32_e32 v3, v3, v22
	v_add_f32_e32 v4, v4, v21
.LBB149_816:
	s_or_b64 exec, exec, s[20:21]
	s_movk_i32 s16, 0x60
	v_cmp_gt_u32_e64 s[16:17], s16, v8
	s_and_saveexec_b64 s[20:21], s[16:17]
	s_cbranch_execz .LBB149_818
; %bb.817:
	ds_read_b64 v[20:21], v18 offset:13312
	ds_read_b64 v[22:23], v19 offset:8400
	s_waitcnt lgkmcnt(0)
	v_mul_f32_e32 v24, v23, v21
	v_mul_f32_e32 v21, v22, v21
	v_fma_f32 v22, v22, v20, -v24
	v_fmac_f32_e32 v21, v23, v20
	v_add_f32_e32 v3, v3, v22
	v_add_f32_e32 v4, v4, v21
.LBB149_818:
	s_or_b64 exec, exec, s[20:21]
	s_movk_i32 s16, 0x50
	v_cmp_gt_u32_e64 s[16:17], s16, v8
	s_and_saveexec_b64 s[20:21], s[16:17]
	s_cbranch_execnz .LBB149_1152
; %bb.819:
	s_or_b64 exec, exec, s[20:21]
	s_and_saveexec_b64 s[16:17], s[12:13]
	s_cbranch_execnz .LBB149_1153
.LBB149_820:
	s_or_b64 exec, exec, s[16:17]
	v_cmp_gt_u32_e64 s[16:17], 48, v8
	s_and_saveexec_b64 s[20:21], s[16:17]
	s_cbranch_execnz .LBB149_1154
.LBB149_821:
	s_or_b64 exec, exec, s[20:21]
	v_cmp_gt_u32_e64 s[16:17], 32, v8
	s_and_saveexec_b64 s[20:21], s[16:17]
	s_cbranch_execnz .LBB149_1155
.LBB149_822:
	s_or_b64 exec, exec, s[20:21]
	v_cmp_gt_u32_e64 s[16:17], 16, v8
	s_and_saveexec_b64 s[20:21], s[16:17]
	s_cbranch_execz .LBB149_824
.LBB149_823:
	v_lshlrev_b32_e32 v18, 3, v0
	v_mov_b32_e32 v20, 0
	ds_read_b64 v[18:19], v18 offset:15872
	ds_read_b64 v[20:21], v20 offset:16120
	s_waitcnt lgkmcnt(0)
	v_mul_f32_e32 v22, v21, v19
	v_mul_f32_e32 v19, v20, v19
	v_fma_f32 v20, v20, v18, -v22
	v_fmac_f32_e32 v19, v21, v18
	v_add_f32_e32 v3, v3, v20
	v_add_f32_e32 v4, v4, v19
.LBB149_824:
	s_or_b64 exec, exec, s[20:21]
.LBB149_825:
	s_or_b64 exec, exec, s[18:19]
	s_mov_b64 s[16:17], exec
	v_readlane_b32 s18, v30, 7
	v_readlane_b32 s19, v30, 8
	s_and_b64 s[18:19], s[16:17], s[18:19]
	s_mov_b64 exec, s[18:19]
	s_cbranch_execz .LBB149_827
; %bb.826:
	v_mov_b32_e32 v18, 0
	ds_read_b64 v[18:19], v18 offset:7800
	s_waitcnt lgkmcnt(0)
	v_mul_f32_e32 v20, v4, v19
	v_mul_f32_e32 v21, v3, v19
	v_fma_f32 v3, v3, v18, -v20
	v_fmac_f32_e32 v21, v4, v18
	v_xor_b32_e32 v18, 0x80000000, v3
	v_xor_b32_e32 v19, 0x80000000, v21
	v_mov_b32_e32 v4, v21
	ds_write_b64 v17, v[18:19]
.LBB149_827:
	s_or_b64 exec, exec, s[16:17]
	s_waitcnt lgkmcnt(0)
	s_barrier
	s_mov_b64 s[16:17], exec
	v_readlane_b32 s18, v30, 9
	v_readlane_b32 s19, v30, 10
	s_and_b64 s[18:19], s[16:17], s[18:19]
	s_mov_b64 exec, s[18:19]
	s_cbranch_execz .LBB149_829
; %bb.828:
	v_lshlrev_b32_e32 v18, 3, v15
	ds_read_b64 v[18:19], v18 offset:7680
	ds_read_b64 v[20:21], v17
	s_waitcnt lgkmcnt(0)
	v_mul_f32_e32 v22, v21, v19
	v_mul_f32_e32 v19, v20, v19
	v_fma_f32 v20, v20, v18, -v22
	v_fmac_f32_e32 v19, v21, v18
	v_sub_f32_e32 v3, v3, v20
	v_sub_f32_e32 v4, v4, v19
.LBB149_829:
	s_or_b64 exec, exec, s[16:17]
	s_barrier
	s_mov_b64 s[16:17], exec
	v_readlane_b32 s18, v30, 11
	v_readlane_b32 s19, v30, 12
	s_and_b64 s[18:19], s[16:17], s[18:19]
	s_mov_b64 exec, s[18:19]
	s_cbranch_execz .LBB149_831
; %bb.830:
	v_mov_b32_e32 v18, 0
	ds_read_b64 v[18:19], v18 offset:7280
	s_waitcnt lgkmcnt(0)
	v_mul_f32_e32 v20, v4, v19
	v_mul_f32_e32 v21, v3, v19
	v_fma_f32 v3, v3, v18, -v20
	v_fmac_f32_e32 v21, v4, v18
	v_xor_b32_e32 v18, 0x80000000, v3
	v_xor_b32_e32 v19, 0x80000000, v21
	v_mov_b32_e32 v4, v21
	ds_write_b64 v17, v[18:19]
.LBB149_831:
	s_or_b64 exec, exec, s[16:17]
	s_waitcnt lgkmcnt(0)
	s_barrier
	s_mov_b64 s[16:17], exec
	v_readlane_b32 s18, v30, 13
	v_readlane_b32 s19, v30, 14
	s_and_b64 s[18:19], s[16:17], s[18:19]
	s_mov_b64 exec, s[18:19]
	s_cbranch_execz .LBB149_833
; %bb.832:
	v_lshlrev_b32_e32 v18, 3, v15
	ds_read_b64 v[18:19], v18 offset:7168
	ds_read_b64 v[20:21], v17
	s_waitcnt lgkmcnt(0)
	v_mul_f32_e32 v22, v21, v19
	v_mul_f32_e32 v19, v20, v19
	v_fma_f32 v20, v20, v18, -v22
	v_fmac_f32_e32 v19, v21, v18
	v_sub_f32_e32 v3, v3, v20
	v_sub_f32_e32 v4, v4, v19
.LBB149_833:
	s_or_b64 exec, exec, s[16:17]
	s_barrier
	;; [unrolled: 42-line block ×14, first 2 shown]
	s_and_saveexec_b64 s[16:17], s[96:97]
	s_cbranch_execz .LBB149_883
; %bb.882:
	v_mov_b32_e32 v18, 0
	ds_read_b64 v[18:19], v18 offset:520
	s_waitcnt lgkmcnt(0)
	v_mul_f32_e32 v20, v4, v19
	v_mul_f32_e32 v21, v3, v19
	v_fma_f32 v3, v3, v18, -v20
	v_fmac_f32_e32 v21, v4, v18
	v_xor_b32_e32 v18, 0x80000000, v3
	v_xor_b32_e32 v19, 0x80000000, v21
	v_mov_b32_e32 v4, v21
	ds_write_b64 v17, v[18:19]
.LBB149_883:
	s_or_b64 exec, exec, s[16:17]
	s_waitcnt lgkmcnt(0)
	s_barrier
	s_and_saveexec_b64 s[16:17], s[38:39]
	s_cbranch_execz .LBB149_885
; %bb.884:
	v_mov_b32_e32 v18, 0
	ds_read_b64 v[18:19], v18 offset:512
	ds_read_b64 v[20:21], v17
	s_waitcnt lgkmcnt(0)
	v_mul_f32_e32 v22, v21, v19
	v_mul_f32_e32 v19, v20, v19
	v_fma_f32 v20, v20, v18, -v22
	v_fmac_f32_e32 v19, v21, v18
	v_sub_f32_e32 v3, v3, v20
	v_sub_f32_e32 v4, v4, v19
.LBB149_885:
	s_or_b64 exec, exec, s[16:17]
	s_barrier
	s_and_saveexec_b64 s[16:17], s[38:39]
	s_cbranch_execz .LBB149_887
; %bb.886:
	v_mov_b32_e32 v18, 0
	ds_read_b64 v[18:19], v18
	s_waitcnt lgkmcnt(0)
	v_mul_f32_e32 v20, v4, v19
	v_mul_f32_e32 v21, v3, v19
	v_fma_f32 v3, v3, v18, -v20
	v_fmac_f32_e32 v21, v4, v18
	v_xor_b32_e32 v18, 0x80000000, v3
	v_xor_b32_e32 v19, 0x80000000, v21
	v_mov_b32_e32 v4, v21
	ds_write_b64 v17, v[18:19]
.LBB149_887:
	s_or_b64 exec, exec, s[16:17]
	s_waitcnt lgkmcnt(0)
	s_barrier
	s_barrier
	s_and_saveexec_b64 s[16:17], s[14:15]
; %bb.888:
	v_lshlrev_b32_e32 v15, 3, v15
	v_lshl_or_b32 v15, v16, 9, v15
	ds_write_b64 v15, v[3:4] offset:8192
; %bb.889:
	s_or_b64 exec, exec, s[16:17]
	s_waitcnt lgkmcnt(0)
	s_barrier
	s_barrier
	s_and_saveexec_b64 s[14:15], s[6:7]
	s_cbranch_execz .LBB149_891
; %bb.890:
	v_lshlrev_b32_e32 v15, 9, v0
	ds_read_b64 v[3:4], v15 offset:8192
	s_movk_i32 s6, 0xfe08
	v_mad_i32_i24 v16, v0, s6, v15
	s_waitcnt lgkmcnt(0)
	ds_write_b64 v16, v[3:4] offset:128
	ds_read_b64 v[3:4], v15 offset:8200
	s_waitcnt lgkmcnt(0)
	ds_write_b64 v16, v[3:4] offset:640
	ds_read_b64 v[3:4], v15 offset:8208
	;; [unrolled: 3-line block ×15, first 2 shown]
	s_waitcnt lgkmcnt(0)
	ds_write_b64 v16, v[3:4] offset:7808
.LBB149_891:
	s_or_b64 exec, exec, s[14:15]
	s_waitcnt lgkmcnt(0)
	s_barrier
	s_and_saveexec_b64 s[6:7], vcc
	s_cbranch_execz .LBB149_893
; %bb.892:
	s_movk_i32 s14, 0x70
	v_mov_b32_e32 v3, 0
	v_add_u32_e64 v15, s14, 0
	ds_read_b64 v[3:4], v3 offset:7800
	ds_read2st64_b64 v[15:18], v15 offset0:14 offset1:15
	s_movk_i32 s14, 0x1800
	s_waitcnt lgkmcnt(0)
	v_mul_f32_e32 v19, v4, v16
	v_mul_f32_e32 v16, v3, v16
	v_fma_f32 v19, v3, v15, -v19
	v_fmac_f32_e32 v16, v4, v15
	v_mul_f32_e32 v3, v16, v18
	v_mul_f32_e32 v4, v19, v18
	v_fma_f32 v3, v19, v17, -v3
	v_fmac_f32_e32 v4, v16, v17
	v_add_u32_e64 v15, s14, 0
	ds_write2_b64 v15, v[3:4], v[3:4] offset0:143 offset1:206
.LBB149_893:
	s_or_b64 exec, exec, s[6:7]
	v_mov_b32_e32 v3, 0
	v_mov_b32_e32 v4, 0
	s_waitcnt lgkmcnt(0)
	s_barrier
	buffer_wbinvl1_vol
	s_and_saveexec_b64 s[6:7], s[22:23]
	s_cbranch_execz .LBB149_897
; %bb.894:
	v_lshlrev_b32_e32 v3, 3, v5
	v_lshlrev_b32_e32 v15, 9, v6
	ds_read_b64 v[3:4], v3 offset:7264
	ds_read_b64 v[15:16], v15 offset:7280
	v_cmp_gt_u32_e64 s[14:15], 2, v8
	s_waitcnt lgkmcnt(0)
	v_mul_f32_e32 v17, v16, v4
	v_mul_f32_e32 v4, v15, v4
	v_fma_f32 v15, v15, v3, -v17
	v_fmac_f32_e32 v4, v16, v3
	v_add_f32_e32 v3, 0, v15
	v_add_f32_e32 v4, 0, v4
	s_and_saveexec_b64 s[16:17], s[14:15]
	s_cbranch_execz .LBB149_896
; %bb.895:
	v_lshlrev_b32_e32 v15, 3, v0
	v_mov_b32_e32 v17, 0
	ds_read_b64 v[15:16], v15 offset:7776
	ds_read_b64 v[17:18], v17 offset:7800
	s_waitcnt lgkmcnt(0)
	v_mul_f32_e32 v19, v18, v16
	v_mul_f32_e32 v16, v17, v16
	v_fma_f32 v17, v17, v15, -v19
	v_fmac_f32_e32 v16, v18, v15
	v_add_f32_e32 v3, v3, v17
	v_add_f32_e32 v4, v4, v16
.LBB149_896:
	s_or_b64 exec, exec, s[16:17]
.LBB149_897:
	s_or_b64 exec, exec, s[6:7]
	s_and_saveexec_b64 s[6:7], s[44:45]
	s_cbranch_execz .LBB149_899
; %bb.898:
	v_mov_b32_e32 v15, 0
	ds_read_b64 v[15:16], v15 offset:6760
	s_waitcnt lgkmcnt(0)
	v_mul_f32_e32 v17, v4, v16
	v_mul_f32_e32 v18, v3, v16
	v_fma_f32 v3, v3, v15, -v17
	v_fmac_f32_e32 v18, v4, v15
	v_xor_b32_e32 v15, 0x80000000, v3
	v_xor_b32_e32 v16, 0x80000000, v18
	v_mov_b32_e32 v4, v18
	ds_write_b64 v7, v[15:16]
.LBB149_899:
	s_or_b64 exec, exec, s[6:7]
	s_waitcnt lgkmcnt(0)
	s_barrier
	s_and_saveexec_b64 s[6:7], s[42:43]
	s_cbranch_execz .LBB149_901
; %bb.900:
	v_mov_b32_e32 v15, 0
	ds_read_b64 v[15:16], v15 offset:6752
	ds_read_b64 v[17:18], v7
	s_waitcnt lgkmcnt(0)
	v_mul_f32_e32 v19, v18, v16
	v_mul_f32_e32 v16, v17, v16
	v_fma_f32 v17, v17, v15, -v19
	v_fmac_f32_e32 v16, v18, v15
	v_sub_f32_e32 v3, v3, v17
	v_sub_f32_e32 v4, v4, v16
.LBB149_901:
	s_or_b64 exec, exec, s[6:7]
	s_barrier
	s_and_saveexec_b64 s[6:7], s[42:43]
	s_cbranch_execz .LBB149_903
; %bb.902:
	v_mov_b32_e32 v15, 0
	ds_read_b64 v[15:16], v15 offset:6240
	s_waitcnt lgkmcnt(0)
	v_mul_f32_e32 v17, v4, v16
	v_mul_f32_e32 v18, v3, v16
	v_fma_f32 v3, v3, v15, -v17
	v_fmac_f32_e32 v18, v4, v15
	v_xor_b32_e32 v15, 0x80000000, v3
	v_xor_b32_e32 v16, 0x80000000, v18
	v_mov_b32_e32 v4, v18
	ds_write_b64 v7, v[15:16]
.LBB149_903:
	s_or_b64 exec, exec, s[6:7]
	s_waitcnt lgkmcnt(0)
	s_barrier
	s_barrier
	s_and_saveexec_b64 s[6:7], s[22:23]
; %bb.904:
	v_lshlrev_b32_e32 v15, 3, v5
	v_lshl_or_b32 v15, v6, 9, v15
	ds_write_b64 v15, v[3:4] offset:7264
; %bb.905:
	s_or_b64 exec, exec, s[6:7]
	s_waitcnt lgkmcnt(0)
	s_barrier
	s_barrier
	s_and_saveexec_b64 s[6:7], s[46:47]
	s_cbranch_execz .LBB149_907
; %bb.906:
	v_lshlrev_b32_e32 v15, 3, v0
	s_movk_i32 s14, 0x1f8
	v_mad_u32_u24 v16, v0, s14, v15
	ds_read_b64 v[3:4], v16 offset:7264
	s_waitcnt lgkmcnt(0)
	ds_write_b64 v15, v[3:4] offset:6256
	ds_read_b64 v[3:4], v16 offset:7272
	s_waitcnt lgkmcnt(0)
	ds_write_b64 v15, v[3:4] offset:6768
.LBB149_907:
	s_or_b64 exec, exec, s[6:7]
	s_waitcnt lgkmcnt(0)
	s_barrier
	s_and_saveexec_b64 s[6:7], vcc
	s_cbranch_execz .LBB149_909
; %bb.908:
	s_movk_i32 s14, 0x60
	v_mov_b32_e32 v3, 0
	v_add_u32_e64 v15, s14, 0
	ds_read_b64 v[3:4], v3 offset:6760
	ds_read2st64_b64 v[15:18], v15 offset0:12 offset1:13
	s_movk_i32 s14, 0x1800
	s_waitcnt lgkmcnt(0)
	v_mul_f32_e32 v19, v4, v16
	v_mul_f32_e32 v16, v3, v16
	v_fma_f32 v19, v3, v15, -v19
	v_fmac_f32_e32 v16, v4, v15
	v_mul_f32_e32 v3, v16, v18
	v_mul_f32_e32 v4, v19, v18
	v_fma_f32 v3, v19, v17, -v3
	v_fmac_f32_e32 v4, v16, v17
	v_add_u32_e64 v15, s14, 0
	ds_write2_b64 v15, v[3:4], v[3:4] offset0:13 offset1:76
.LBB149_909:
	s_or_b64 exec, exec, s[6:7]
	v_mov_b32_e32 v4, 0
	v_mov_b32_e32 v3, 0
	s_waitcnt lgkmcnt(0)
	s_barrier
	buffer_wbinvl1_vol
	s_and_saveexec_b64 s[6:7], s[10:11]
	s_cbranch_execz .LBB149_915
; %bb.910:
	v_lshlrev_b32_e32 v15, 3, v9
	v_lshlrev_b32_e32 v16, 9, v10
	ds_read_b64 v[3:4], v15 offset:6208
	ds_read_b64 v[17:18], v16 offset:6240
	v_cmp_gt_u32_e64 s[14:15], 12, v8
	s_waitcnt lgkmcnt(0)
	v_mul_f32_e32 v19, v18, v4
	v_mul_f32_e32 v4, v17, v4
	v_fma_f32 v17, v17, v3, -v19
	v_fmac_f32_e32 v4, v18, v3
	v_add_f32_e32 v3, 0, v17
	v_add_f32_e32 v4, 0, v4
	s_and_saveexec_b64 s[16:17], s[14:15]
	s_cbranch_execnz .LBB149_1156
; %bb.911:
	s_or_b64 exec, exec, s[16:17]
	v_cmp_gt_u32_e64 s[14:15], 8, v8
	s_and_saveexec_b64 s[16:17], s[14:15]
	s_cbranch_execnz .LBB149_1157
.LBB149_912:
	s_or_b64 exec, exec, s[16:17]
	v_cmp_gt_u32_e64 s[14:15], 4, v8
	s_and_saveexec_b64 s[16:17], s[14:15]
	s_cbranch_execz .LBB149_914
.LBB149_913:
	v_lshlrev_b32_e32 v15, 3, v0
	v_mov_b32_e32 v17, 0
	ds_read_b64 v[15:16], v15 offset:7744
	ds_read_b64 v[17:18], v17 offset:7800
	s_waitcnt lgkmcnt(0)
	v_mul_f32_e32 v19, v18, v16
	v_mul_f32_e32 v16, v17, v16
	v_fma_f32 v17, v17, v15, -v19
	v_fmac_f32_e32 v16, v18, v15
	v_add_f32_e32 v3, v3, v17
	v_add_f32_e32 v4, v4, v16
.LBB149_914:
	s_or_b64 exec, exec, s[16:17]
.LBB149_915:
	s_or_b64 exec, exec, s[6:7]
	s_and_saveexec_b64 s[6:7], s[50:51]
	s_cbranch_execz .LBB149_917
; %bb.916:
	v_mov_b32_e32 v15, 0
	ds_read_b64 v[15:16], v15 offset:5720
	s_waitcnt lgkmcnt(0)
	v_mul_f32_e32 v17, v4, v16
	v_mul_f32_e32 v18, v3, v16
	v_fma_f32 v3, v3, v15, -v17
	v_fmac_f32_e32 v18, v4, v15
	v_xor_b32_e32 v15, 0x80000000, v3
	v_xor_b32_e32 v16, 0x80000000, v18
	v_mov_b32_e32 v4, v18
	ds_write_b64 v11, v[15:16]
.LBB149_917:
	s_or_b64 exec, exec, s[6:7]
	s_waitcnt lgkmcnt(0)
	s_barrier
	s_and_saveexec_b64 s[6:7], s[52:53]
	s_cbranch_execz .LBB149_919
; %bb.918:
	v_lshlrev_b32_e32 v15, 3, v9
	ds_read_b64 v[15:16], v15 offset:5696
	ds_read_b64 v[17:18], v11
	s_waitcnt lgkmcnt(0)
	v_mul_f32_e32 v19, v18, v16
	v_mul_f32_e32 v16, v17, v16
	v_fma_f32 v17, v17, v15, -v19
	v_fmac_f32_e32 v16, v18, v15
	v_sub_f32_e32 v3, v3, v17
	v_sub_f32_e32 v4, v4, v16
.LBB149_919:
	s_or_b64 exec, exec, s[6:7]
	s_barrier
	s_and_saveexec_b64 s[6:7], s[54:55]
	s_cbranch_execz .LBB149_921
; %bb.920:
	v_mov_b32_e32 v15, 0
	ds_read_b64 v[15:16], v15 offset:5200
	s_waitcnt lgkmcnt(0)
	v_mul_f32_e32 v17, v4, v16
	v_mul_f32_e32 v18, v3, v16
	v_fma_f32 v3, v3, v15, -v17
	v_fmac_f32_e32 v18, v4, v15
	v_xor_b32_e32 v15, 0x80000000, v3
	v_xor_b32_e32 v16, 0x80000000, v18
	v_mov_b32_e32 v4, v18
	ds_write_b64 v11, v[15:16]
.LBB149_921:
	s_or_b64 exec, exec, s[6:7]
	s_waitcnt lgkmcnt(0)
	s_barrier
	s_and_saveexec_b64 s[6:7], s[56:57]
	s_cbranch_execz .LBB149_923
; %bb.922:
	v_lshlrev_b32_e32 v15, 3, v9
	ds_read_b64 v[15:16], v15 offset:5184
	ds_read_b64 v[17:18], v11
	s_waitcnt lgkmcnt(0)
	v_mul_f32_e32 v19, v18, v16
	v_mul_f32_e32 v16, v17, v16
	v_fma_f32 v17, v17, v15, -v19
	v_fmac_f32_e32 v16, v18, v15
	v_sub_f32_e32 v3, v3, v17
	v_sub_f32_e32 v4, v4, v16
.LBB149_923:
	s_or_b64 exec, exec, s[6:7]
	s_barrier
	s_and_saveexec_b64 s[6:7], s[58:59]
	s_cbranch_execz .LBB149_925
; %bb.924:
	v_mov_b32_e32 v15, 0
	ds_read_b64 v[15:16], v15 offset:4680
	s_waitcnt lgkmcnt(0)
	v_mul_f32_e32 v17, v4, v16
	v_mul_f32_e32 v18, v3, v16
	v_fma_f32 v3, v3, v15, -v17
	v_fmac_f32_e32 v18, v4, v15
	v_xor_b32_e32 v15, 0x80000000, v3
	v_xor_b32_e32 v16, 0x80000000, v18
	v_mov_b32_e32 v4, v18
	ds_write_b64 v11, v[15:16]
.LBB149_925:
	s_or_b64 exec, exec, s[6:7]
	s_waitcnt lgkmcnt(0)
	s_barrier
	s_and_saveexec_b64 s[6:7], s[48:49]
	s_cbranch_execz .LBB149_927
; %bb.926:
	v_mov_b32_e32 v15, 0
	ds_read_b64 v[15:16], v15 offset:4672
	ds_read_b64 v[17:18], v11
	s_waitcnt lgkmcnt(0)
	v_mul_f32_e32 v19, v18, v16
	v_mul_f32_e32 v16, v17, v16
	v_fma_f32 v17, v17, v15, -v19
	v_fmac_f32_e32 v16, v18, v15
	v_sub_f32_e32 v3, v3, v17
	v_sub_f32_e32 v4, v4, v16
.LBB149_927:
	s_or_b64 exec, exec, s[6:7]
	s_barrier
	s_and_saveexec_b64 s[6:7], s[48:49]
	s_cbranch_execz .LBB149_929
; %bb.928:
	v_mov_b32_e32 v15, 0
	ds_read_b64 v[15:16], v15 offset:4160
	s_waitcnt lgkmcnt(0)
	v_mul_f32_e32 v17, v4, v16
	v_mul_f32_e32 v18, v3, v16
	v_fma_f32 v3, v3, v15, -v17
	v_fmac_f32_e32 v18, v4, v15
	v_xor_b32_e32 v15, 0x80000000, v3
	v_xor_b32_e32 v16, 0x80000000, v18
	v_mov_b32_e32 v4, v18
	ds_write_b64 v11, v[15:16]
.LBB149_929:
	s_or_b64 exec, exec, s[6:7]
	s_waitcnt lgkmcnt(0)
	s_barrier
	s_barrier
	s_and_saveexec_b64 s[6:7], s[10:11]
; %bb.930:
	v_lshlrev_b32_e32 v15, 3, v9
	v_lshl_or_b32 v15, v10, 9, v15
	ds_write_b64 v15, v[3:4] offset:6208
; %bb.931:
	s_or_b64 exec, exec, s[6:7]
	s_waitcnt lgkmcnt(0)
	s_barrier
	s_barrier
	s_and_saveexec_b64 s[6:7], s[60:61]
	s_cbranch_execz .LBB149_933
; %bb.932:
	v_lshlrev_b32_e32 v15, 9, v0
	ds_read_b64 v[3:4], v15 offset:6208
	s_movk_i32 s14, 0xfe08
	v_mad_i32_i24 v16, v0, s14, v15
	s_waitcnt lgkmcnt(0)
	ds_write_b64 v16, v[3:4] offset:4192
	ds_read_b64 v[3:4], v15 offset:6216
	s_waitcnt lgkmcnt(0)
	ds_write_b64 v16, v[3:4] offset:4704
	ds_read_b64 v[3:4], v15 offset:6224
	;; [unrolled: 3-line block ×3, first 2 shown]
	s_waitcnt lgkmcnt(0)
	ds_write_b64 v16, v[3:4] offset:5728
.LBB149_933:
	s_or_b64 exec, exec, s[6:7]
	s_waitcnt lgkmcnt(0)
	s_barrier
	s_and_saveexec_b64 s[6:7], vcc
	s_cbranch_execz .LBB149_935
; %bb.934:
	s_movk_i32 s14, 0x50
	v_mov_b32_e32 v3, 0
	v_add_u32_e64 v15, s14, 0
	ds_read_b64 v[3:4], v3 offset:5720
	ds_read2st64_b64 v[15:18], v15 offset0:10 offset1:11
	s_movk_i32 s14, 0x1000
	s_waitcnt lgkmcnt(0)
	v_mul_f32_e32 v19, v4, v16
	v_mul_f32_e32 v16, v3, v16
	v_fma_f32 v19, v3, v15, -v19
	v_fmac_f32_e32 v16, v4, v15
	v_mul_f32_e32 v3, v16, v18
	v_mul_f32_e32 v4, v19, v18
	v_fma_f32 v3, v19, v17, -v3
	v_fmac_f32_e32 v4, v16, v17
	v_add_u32_e64 v15, s14, 0
	ds_write2_b64 v15, v[3:4], v[3:4] offset0:139 offset1:202
.LBB149_935:
	s_or_b64 exec, exec, s[6:7]
	v_mov_b32_e32 v3, 0
	v_mov_b32_e32 v4, 0
	s_waitcnt lgkmcnt(0)
	s_barrier
	buffer_wbinvl1_vol
	s_and_saveexec_b64 s[6:7], s[22:23]
	s_cbranch_execz .LBB149_939
; %bb.936:
	v_lshlrev_b32_e32 v3, 3, v5
	v_lshlrev_b32_e32 v15, 9, v6
	ds_read_b64 v[3:4], v3 offset:5184
	ds_read_b64 v[15:16], v15 offset:5200
	v_cmp_gt_u32_e64 s[14:15], 2, v8
	s_waitcnt lgkmcnt(0)
	v_mul_f32_e32 v17, v16, v4
	v_mul_f32_e32 v4, v15, v4
	v_fma_f32 v15, v15, v3, -v17
	v_fmac_f32_e32 v4, v16, v3
	v_add_f32_e32 v3, 0, v15
	v_add_f32_e32 v4, 0, v4
	s_and_saveexec_b64 s[16:17], s[14:15]
	s_cbranch_execz .LBB149_938
; %bb.937:
	v_lshlrev_b32_e32 v15, 3, v0
	v_mov_b32_e32 v17, 0
	ds_read_b64 v[15:16], v15 offset:5696
	ds_read_b64 v[17:18], v17 offset:5720
	s_waitcnt lgkmcnt(0)
	v_mul_f32_e32 v19, v18, v16
	v_mul_f32_e32 v16, v17, v16
	v_fma_f32 v17, v17, v15, -v19
	v_fmac_f32_e32 v16, v18, v15
	v_add_f32_e32 v3, v3, v17
	v_add_f32_e32 v4, v4, v16
.LBB149_938:
	s_or_b64 exec, exec, s[16:17]
.LBB149_939:
	s_or_b64 exec, exec, s[6:7]
	s_and_saveexec_b64 s[6:7], s[44:45]
	s_cbranch_execz .LBB149_941
; %bb.940:
	v_mov_b32_e32 v15, 0
	ds_read_b64 v[15:16], v15 offset:4680
	s_waitcnt lgkmcnt(0)
	v_mul_f32_e32 v17, v4, v16
	v_mul_f32_e32 v18, v3, v16
	v_fma_f32 v3, v3, v15, -v17
	v_fmac_f32_e32 v18, v4, v15
	v_xor_b32_e32 v15, 0x80000000, v3
	v_xor_b32_e32 v16, 0x80000000, v18
	v_mov_b32_e32 v4, v18
	ds_write_b64 v7, v[15:16]
.LBB149_941:
	s_or_b64 exec, exec, s[6:7]
	s_waitcnt lgkmcnt(0)
	s_barrier
	s_and_saveexec_b64 s[6:7], s[42:43]
	s_cbranch_execz .LBB149_943
; %bb.942:
	v_mov_b32_e32 v15, 0
	ds_read_b64 v[15:16], v15 offset:4672
	ds_read_b64 v[17:18], v7
	s_waitcnt lgkmcnt(0)
	v_mul_f32_e32 v19, v18, v16
	v_mul_f32_e32 v16, v17, v16
	v_fma_f32 v17, v17, v15, -v19
	v_fmac_f32_e32 v16, v18, v15
	v_sub_f32_e32 v3, v3, v17
	v_sub_f32_e32 v4, v4, v16
.LBB149_943:
	s_or_b64 exec, exec, s[6:7]
	s_barrier
	s_and_saveexec_b64 s[6:7], s[42:43]
	s_cbranch_execz .LBB149_945
; %bb.944:
	v_mov_b32_e32 v15, 0
	ds_read_b64 v[15:16], v15 offset:4160
	s_waitcnt lgkmcnt(0)
	v_mul_f32_e32 v17, v4, v16
	v_mul_f32_e32 v18, v3, v16
	v_fma_f32 v3, v3, v15, -v17
	v_fmac_f32_e32 v18, v4, v15
	v_xor_b32_e32 v15, 0x80000000, v3
	v_xor_b32_e32 v16, 0x80000000, v18
	v_mov_b32_e32 v4, v18
	ds_write_b64 v7, v[15:16]
.LBB149_945:
	s_or_b64 exec, exec, s[6:7]
	s_waitcnt lgkmcnt(0)
	s_barrier
	s_barrier
	s_and_saveexec_b64 s[6:7], s[22:23]
; %bb.946:
	v_lshlrev_b32_e32 v15, 3, v5
	v_lshl_or_b32 v15, v6, 9, v15
	ds_write_b64 v15, v[3:4] offset:5184
; %bb.947:
	s_or_b64 exec, exec, s[6:7]
	s_waitcnt lgkmcnt(0)
	s_barrier
	s_barrier
	s_and_saveexec_b64 s[6:7], s[46:47]
	s_cbranch_execz .LBB149_949
; %bb.948:
	v_lshlrev_b32_e32 v15, 3, v0
	s_movk_i32 s14, 0x1f8
	v_mad_u32_u24 v16, v0, s14, v15
	ds_read_b64 v[3:4], v16 offset:5184
	s_waitcnt lgkmcnt(0)
	ds_write_b64 v15, v[3:4] offset:4176
	ds_read_b64 v[3:4], v16 offset:5192
	s_waitcnt lgkmcnt(0)
	ds_write_b64 v15, v[3:4] offset:4688
.LBB149_949:
	s_or_b64 exec, exec, s[6:7]
	s_waitcnt lgkmcnt(0)
	s_barrier
	s_and_saveexec_b64 s[6:7], vcc
	s_cbranch_execz .LBB149_951
; %bb.950:
	v_mov_b32_e32 v3, 0
	v_add_u32_e64 v4, 64, 0
	ds_read2st64_b64 v[15:18], v4 offset0:8 offset1:9
	ds_read_b64 v[3:4], v3 offset:4680
	s_movk_i32 s14, 0x1000
	s_waitcnt lgkmcnt(0)
	v_mul_f32_e32 v19, v4, v16
	v_mul_f32_e32 v16, v3, v16
	v_fma_f32 v19, v3, v15, -v19
	v_fmac_f32_e32 v16, v4, v15
	v_mul_f32_e32 v3, v16, v18
	v_mul_f32_e32 v4, v19, v18
	v_fma_f32 v3, v19, v17, -v3
	v_fmac_f32_e32 v4, v16, v17
	v_add_u32_e64 v15, s14, 0
	ds_write2_b64 v15, v[3:4], v[3:4] offset0:9 offset1:72
.LBB149_951:
	s_or_b64 exec, exec, s[6:7]
	v_mov_b32_e32 v4, 0
	v_mov_b32_e32 v3, 0
	s_waitcnt lgkmcnt(0)
	s_barrier
	buffer_wbinvl1_vol
	s_and_saveexec_b64 s[6:7], s[12:13]
	s_cbranch_execz .LBB149_961
; %bb.952:
	v_lshlrev_b32_e32 v15, 3, v12
	v_lshlrev_b32_e32 v16, 9, v13
	ds_read_b64 v[3:4], v15 offset:4096
	ds_read_b64 v[17:18], v16 offset:4160
	v_cmp_gt_u32_e64 s[14:15], 56, v8
	s_waitcnt lgkmcnt(0)
	v_mul_f32_e32 v19, v18, v4
	v_mul_f32_e32 v4, v17, v4
	v_fma_f32 v17, v17, v3, -v19
	v_fmac_f32_e32 v4, v18, v3
	v_add_f32_e32 v3, 0, v17
	v_add_f32_e32 v4, 0, v4
	s_and_saveexec_b64 s[16:17], s[14:15]
	s_cbranch_execnz .LBB149_1158
; %bb.953:
	s_or_b64 exec, exec, s[16:17]
	v_cmp_gt_u32_e64 s[14:15], 48, v8
	s_and_saveexec_b64 s[16:17], s[14:15]
	s_cbranch_execnz .LBB149_1159
.LBB149_954:
	s_or_b64 exec, exec, s[16:17]
	v_cmp_gt_u32_e64 s[14:15], 40, v8
	s_and_saveexec_b64 s[16:17], s[14:15]
	s_cbranch_execnz .LBB149_1160
.LBB149_955:
	s_or_b64 exec, exec, s[16:17]
	v_cmp_gt_u32_e64 s[14:15], 32, v8
	s_and_saveexec_b64 s[16:17], s[14:15]
	s_cbranch_execnz .LBB149_1161
.LBB149_956:
	s_or_b64 exec, exec, s[16:17]
	v_cmp_gt_u32_e64 s[14:15], 24, v8
	s_and_saveexec_b64 s[16:17], s[14:15]
	s_cbranch_execnz .LBB149_1162
.LBB149_957:
	s_or_b64 exec, exec, s[16:17]
	s_and_saveexec_b64 s[14:15], s[10:11]
	s_cbranch_execnz .LBB149_1163
.LBB149_958:
	s_or_b64 exec, exec, s[14:15]
	v_cmp_gt_u32_e64 s[14:15], 8, v8
	s_and_saveexec_b64 s[16:17], s[14:15]
	s_cbranch_execz .LBB149_960
.LBB149_959:
	v_lshlrev_b32_e32 v15, 3, v0
	v_mov_b32_e32 v17, 0
	ds_read_b64 v[15:16], v15 offset:7680
	ds_read_b64 v[17:18], v17 offset:7800
	s_waitcnt lgkmcnt(0)
	v_mul_f32_e32 v19, v18, v16
	v_mul_f32_e32 v16, v17, v16
	v_fma_f32 v17, v17, v15, -v19
	v_fmac_f32_e32 v16, v18, v15
	v_add_f32_e32 v3, v3, v17
	v_add_f32_e32 v4, v4, v16
.LBB149_960:
	s_or_b64 exec, exec, s[16:17]
.LBB149_961:
	s_or_b64 exec, exec, s[6:7]
	s_and_saveexec_b64 s[6:7], s[64:65]
	s_cbranch_execz .LBB149_963
; %bb.962:
	v_mov_b32_e32 v15, 0
	ds_read_b64 v[15:16], v15 offset:3640
	s_waitcnt lgkmcnt(0)
	v_mul_f32_e32 v17, v4, v16
	v_mul_f32_e32 v18, v3, v16
	v_fma_f32 v3, v3, v15, -v17
	v_fmac_f32_e32 v18, v4, v15
	v_xor_b32_e32 v15, 0x80000000, v3
	v_xor_b32_e32 v16, 0x80000000, v18
	v_mov_b32_e32 v4, v18
	ds_write_b64 v14, v[15:16]
.LBB149_963:
	s_or_b64 exec, exec, s[6:7]
	s_waitcnt lgkmcnt(0)
	s_barrier
	s_and_saveexec_b64 s[6:7], s[66:67]
	v_readlane_b32 s64, v30, 5
	v_readlane_b32 s65, v30, 6
	s_cbranch_execz .LBB149_965
; %bb.964:
	v_lshlrev_b32_e32 v15, 3, v12
	ds_read_b64 v[15:16], v15 offset:3584
	ds_read_b64 v[17:18], v14
	s_waitcnt lgkmcnt(0)
	v_mul_f32_e32 v19, v18, v16
	v_mul_f32_e32 v16, v17, v16
	v_fma_f32 v17, v17, v15, -v19
	v_fmac_f32_e32 v16, v18, v15
	v_sub_f32_e32 v3, v3, v17
	v_sub_f32_e32 v4, v4, v16
.LBB149_965:
	s_or_b64 exec, exec, s[6:7]
	s_barrier
	s_and_saveexec_b64 s[6:7], s[68:69]
	s_cbranch_execz .LBB149_967
; %bb.966:
	v_mov_b32_e32 v15, 0
	ds_read_b64 v[15:16], v15 offset:3120
	s_waitcnt lgkmcnt(0)
	v_mul_f32_e32 v17, v4, v16
	v_mul_f32_e32 v18, v3, v16
	v_fma_f32 v3, v3, v15, -v17
	v_fmac_f32_e32 v18, v4, v15
	v_xor_b32_e32 v15, 0x80000000, v3
	v_xor_b32_e32 v16, 0x80000000, v18
	v_mov_b32_e32 v4, v18
	ds_write_b64 v14, v[15:16]
.LBB149_967:
	s_or_b64 exec, exec, s[6:7]
	s_waitcnt lgkmcnt(0)
	s_barrier
	s_and_saveexec_b64 s[6:7], s[70:71]
	s_cbranch_execz .LBB149_969
; %bb.968:
	v_lshlrev_b32_e32 v15, 3, v12
	ds_read_b64 v[15:16], v15 offset:3072
	ds_read_b64 v[17:18], v14
	s_waitcnt lgkmcnt(0)
	v_mul_f32_e32 v19, v18, v16
	v_mul_f32_e32 v16, v17, v16
	v_fma_f32 v17, v17, v15, -v19
	v_fmac_f32_e32 v16, v18, v15
	v_sub_f32_e32 v3, v3, v17
	v_sub_f32_e32 v4, v4, v16
.LBB149_969:
	s_or_b64 exec, exec, s[6:7]
	s_barrier
	s_and_saveexec_b64 s[6:7], s[72:73]
	s_cbranch_execz .LBB149_971
; %bb.970:
	v_mov_b32_e32 v15, 0
	ds_read_b64 v[15:16], v15 offset:2600
	s_waitcnt lgkmcnt(0)
	v_mul_f32_e32 v17, v4, v16
	v_mul_f32_e32 v18, v3, v16
	v_fma_f32 v3, v3, v15, -v17
	v_fmac_f32_e32 v18, v4, v15
	v_xor_b32_e32 v15, 0x80000000, v3
	v_xor_b32_e32 v16, 0x80000000, v18
	v_mov_b32_e32 v4, v18
	ds_write_b64 v14, v[15:16]
.LBB149_971:
	s_or_b64 exec, exec, s[6:7]
	s_waitcnt lgkmcnt(0)
	s_barrier
	s_and_saveexec_b64 s[6:7], s[74:75]
	;; [unrolled: 34-line block ×6, first 2 shown]
	s_cbranch_execz .LBB149_989
; %bb.988:
	v_mov_b32_e32 v15, 0
	ds_read_b64 v[15:16], v15 offset:512
	ds_read_b64 v[17:18], v14
	s_waitcnt lgkmcnt(0)
	v_mul_f32_e32 v19, v18, v16
	v_mul_f32_e32 v16, v17, v16
	v_fma_f32 v17, v17, v15, -v19
	v_fmac_f32_e32 v16, v18, v15
	v_sub_f32_e32 v3, v3, v17
	v_sub_f32_e32 v4, v4, v16
.LBB149_989:
	s_or_b64 exec, exec, s[6:7]
	s_barrier
	s_and_saveexec_b64 s[6:7], s[62:63]
	s_cbranch_execz .LBB149_991
; %bb.990:
	v_mov_b32_e32 v15, 0
	ds_read_b64 v[15:16], v15
	s_waitcnt lgkmcnt(0)
	v_mul_f32_e32 v17, v4, v16
	v_mul_f32_e32 v18, v3, v16
	v_fma_f32 v3, v3, v15, -v17
	v_fmac_f32_e32 v18, v4, v15
	v_xor_b32_e32 v15, 0x80000000, v3
	v_xor_b32_e32 v16, 0x80000000, v18
	v_mov_b32_e32 v4, v18
	ds_write_b64 v14, v[15:16]
.LBB149_991:
	s_or_b64 exec, exec, s[6:7]
	s_waitcnt lgkmcnt(0)
	s_barrier
	s_barrier
	s_and_saveexec_b64 s[6:7], s[12:13]
; %bb.992:
	v_lshlrev_b32_e32 v12, 3, v12
	v_lshl_or_b32 v12, v13, 9, v12
	ds_write_b64 v12, v[3:4] offset:4096
; %bb.993:
	s_or_b64 exec, exec, s[6:7]
	s_waitcnt lgkmcnt(0)
	s_barrier
	s_barrier
	s_and_saveexec_b64 s[6:7], s[90:91]
	s_cbranch_execz .LBB149_995
; %bb.994:
	v_lshlrev_b32_e32 v12, 9, v0
	ds_read_b64 v[3:4], v12 offset:4096
	s_movk_i32 s12, 0xfe08
	v_mad_i32_i24 v13, v0, s12, v12
	s_waitcnt lgkmcnt(0)
	ds_write_b64 v13, v[3:4] offset:64
	ds_read_b64 v[3:4], v12 offset:4104
	s_waitcnt lgkmcnt(0)
	ds_write_b64 v13, v[3:4] offset:576
	ds_read_b64 v[3:4], v12 offset:4112
	s_waitcnt lgkmcnt(0)
	ds_write_b64 v13, v[3:4] offset:1088
	ds_read_b64 v[3:4], v12 offset:4120
	s_waitcnt lgkmcnt(0)
	ds_write_b64 v13, v[3:4] offset:1600
	ds_read_b64 v[3:4], v12 offset:4128
	s_waitcnt lgkmcnt(0)
	ds_write_b64 v13, v[3:4] offset:2112
	ds_read_b64 v[3:4], v12 offset:4136
	s_waitcnt lgkmcnt(0)
	ds_write_b64 v13, v[3:4] offset:2624
	ds_read_b64 v[3:4], v12 offset:4144
	s_waitcnt lgkmcnt(0)
	ds_write_b64 v13, v[3:4] offset:3136
	ds_read_b64 v[3:4], v12 offset:4152
	s_waitcnt lgkmcnt(0)
	ds_write_b64 v13, v[3:4] offset:3648
.LBB149_995:
	s_or_b64 exec, exec, s[6:7]
	s_waitcnt lgkmcnt(0)
	s_barrier
	s_and_saveexec_b64 s[6:7], vcc
	s_cbranch_execz .LBB149_997
; %bb.996:
	v_mov_b32_e32 v3, 0
	v_add_u32_e64 v4, 48, 0
	ds_read2st64_b64 v[12:15], v4 offset0:6 offset1:7
	ds_read_b64 v[3:4], v3 offset:3640
	s_movk_i32 s12, 0x800
	s_waitcnt lgkmcnt(0)
	v_mul_f32_e32 v16, v4, v13
	v_mul_f32_e32 v13, v3, v13
	v_fma_f32 v16, v3, v12, -v16
	v_fmac_f32_e32 v13, v4, v12
	v_mul_f32_e32 v3, v13, v15
	v_mul_f32_e32 v4, v16, v15
	v_fma_f32 v3, v16, v14, -v3
	v_fmac_f32_e32 v4, v13, v14
	v_add_u32_e64 v12, s12, 0
	ds_write2_b64 v12, v[3:4], v[3:4] offset0:135 offset1:198
.LBB149_997:
	s_or_b64 exec, exec, s[6:7]
	v_mov_b32_e32 v3, 0
	v_mov_b32_e32 v4, 0
	s_waitcnt lgkmcnt(0)
	s_barrier
	buffer_wbinvl1_vol
	s_and_saveexec_b64 s[6:7], s[22:23]
	s_cbranch_execz .LBB149_1001
; %bb.998:
	v_lshlrev_b32_e32 v3, 3, v5
	v_lshlrev_b32_e32 v12, 9, v6
	ds_read_b64 v[3:4], v3 offset:3104
	ds_read_b64 v[12:13], v12 offset:3120
	v_cmp_gt_u32_e64 s[12:13], 2, v8
	s_waitcnt lgkmcnt(0)
	v_mul_f32_e32 v14, v13, v4
	v_mul_f32_e32 v4, v12, v4
	v_fma_f32 v12, v12, v3, -v14
	v_fmac_f32_e32 v4, v13, v3
	v_add_f32_e32 v3, 0, v12
	v_add_f32_e32 v4, 0, v4
	s_and_saveexec_b64 s[14:15], s[12:13]
	s_cbranch_execz .LBB149_1000
; %bb.999:
	v_lshlrev_b32_e32 v12, 3, v0
	v_mov_b32_e32 v14, 0
	ds_read_b64 v[12:13], v12 offset:3616
	ds_read_b64 v[14:15], v14 offset:3640
	s_waitcnt lgkmcnt(0)
	v_mul_f32_e32 v16, v15, v13
	v_mul_f32_e32 v13, v14, v13
	v_fma_f32 v14, v14, v12, -v16
	v_fmac_f32_e32 v13, v15, v12
	v_add_f32_e32 v3, v3, v14
	v_add_f32_e32 v4, v4, v13
.LBB149_1000:
	s_or_b64 exec, exec, s[14:15]
.LBB149_1001:
	s_or_b64 exec, exec, s[6:7]
	s_and_saveexec_b64 s[6:7], s[44:45]
	s_cbranch_execz .LBB149_1003
; %bb.1002:
	v_mov_b32_e32 v12, 0
	ds_read_b64 v[12:13], v12 offset:2600
	s_waitcnt lgkmcnt(0)
	v_mul_f32_e32 v14, v4, v13
	v_mul_f32_e32 v15, v3, v13
	v_fma_f32 v3, v3, v12, -v14
	v_fmac_f32_e32 v15, v4, v12
	v_xor_b32_e32 v12, 0x80000000, v3
	v_xor_b32_e32 v13, 0x80000000, v15
	v_mov_b32_e32 v4, v15
	ds_write_b64 v7, v[12:13]
.LBB149_1003:
	s_or_b64 exec, exec, s[6:7]
	s_waitcnt lgkmcnt(0)
	s_barrier
	s_and_saveexec_b64 s[6:7], s[42:43]
	s_cbranch_execz .LBB149_1005
; %bb.1004:
	v_mov_b32_e32 v12, 0
	ds_read_b64 v[12:13], v12 offset:2592
	ds_read_b64 v[14:15], v7
	s_waitcnt lgkmcnt(0)
	v_mul_f32_e32 v16, v15, v13
	v_mul_f32_e32 v13, v14, v13
	v_fma_f32 v14, v14, v12, -v16
	v_fmac_f32_e32 v13, v15, v12
	v_sub_f32_e32 v3, v3, v14
	v_sub_f32_e32 v4, v4, v13
.LBB149_1005:
	s_or_b64 exec, exec, s[6:7]
	s_barrier
	s_and_saveexec_b64 s[6:7], s[42:43]
	s_cbranch_execz .LBB149_1007
; %bb.1006:
	v_mov_b32_e32 v12, 0
	ds_read_b64 v[12:13], v12 offset:2080
	s_waitcnt lgkmcnt(0)
	v_mul_f32_e32 v14, v4, v13
	v_mul_f32_e32 v15, v3, v13
	v_fma_f32 v3, v3, v12, -v14
	v_fmac_f32_e32 v15, v4, v12
	v_xor_b32_e32 v12, 0x80000000, v3
	v_xor_b32_e32 v13, 0x80000000, v15
	v_mov_b32_e32 v4, v15
	ds_write_b64 v7, v[12:13]
.LBB149_1007:
	s_or_b64 exec, exec, s[6:7]
	s_waitcnt lgkmcnt(0)
	s_barrier
	s_barrier
	s_and_saveexec_b64 s[6:7], s[22:23]
; %bb.1008:
	v_lshlrev_b32_e32 v12, 3, v5
	v_lshl_or_b32 v12, v6, 9, v12
	ds_write_b64 v12, v[3:4] offset:3104
; %bb.1009:
	s_or_b64 exec, exec, s[6:7]
	s_waitcnt lgkmcnt(0)
	s_barrier
	s_barrier
	s_and_saveexec_b64 s[6:7], s[46:47]
	s_cbranch_execz .LBB149_1011
; %bb.1010:
	v_lshlrev_b32_e32 v12, 3, v0
	s_movk_i32 s12, 0x1f8
	v_mad_u32_u24 v13, v0, s12, v12
	ds_read_b64 v[3:4], v13 offset:3104
	s_waitcnt lgkmcnt(0)
	ds_write_b64 v12, v[3:4] offset:2096
	ds_read_b64 v[3:4], v13 offset:3112
	s_waitcnt lgkmcnt(0)
	ds_write_b64 v12, v[3:4] offset:2608
.LBB149_1011:
	s_or_b64 exec, exec, s[6:7]
	s_waitcnt lgkmcnt(0)
	s_barrier
	s_and_saveexec_b64 s[6:7], vcc
	s_cbranch_execz .LBB149_1013
; %bb.1012:
	v_mov_b32_e32 v3, 0
	v_add_u32_e64 v4, 32, 0
	ds_read2st64_b64 v[12:15], v4 offset0:4 offset1:5
	ds_read_b64 v[3:4], v3 offset:2600
	s_movk_i32 s12, 0x800
	s_waitcnt lgkmcnt(0)
	v_mul_f32_e32 v16, v4, v13
	v_mul_f32_e32 v13, v3, v13
	v_fma_f32 v16, v3, v12, -v16
	v_fmac_f32_e32 v13, v4, v12
	v_mul_f32_e32 v3, v13, v15
	v_mul_f32_e32 v4, v16, v15
	v_fma_f32 v3, v16, v14, -v3
	v_fmac_f32_e32 v4, v13, v14
	v_add_u32_e64 v12, s12, 0
	ds_write2_b64 v12, v[3:4], v[3:4] offset0:5 offset1:68
.LBB149_1013:
	s_or_b64 exec, exec, s[6:7]
	v_mov_b32_e32 v4, 0
	v_mov_b32_e32 v3, 0
	s_waitcnt lgkmcnt(0)
	s_barrier
	buffer_wbinvl1_vol
	s_and_saveexec_b64 s[6:7], s[10:11]
	s_cbranch_execz .LBB149_1019
; %bb.1014:
	v_lshlrev_b32_e32 v12, 3, v9
	v_lshlrev_b32_e32 v13, 9, v10
	ds_read_b64 v[3:4], v12 offset:2048
	ds_read_b64 v[14:15], v13 offset:2080
	v_cmp_gt_u32_e64 s[12:13], 12, v8
	s_waitcnt lgkmcnt(0)
	v_mul_f32_e32 v16, v15, v4
	v_mul_f32_e32 v4, v14, v4
	v_fma_f32 v14, v14, v3, -v16
	v_fmac_f32_e32 v4, v15, v3
	v_add_f32_e32 v3, 0, v14
	v_add_f32_e32 v4, 0, v4
	s_and_saveexec_b64 s[14:15], s[12:13]
	s_cbranch_execnz .LBB149_1164
; %bb.1015:
	s_or_b64 exec, exec, s[14:15]
	v_cmp_gt_u32_e64 s[12:13], 8, v8
	s_and_saveexec_b64 s[14:15], s[12:13]
	s_cbranch_execnz .LBB149_1165
.LBB149_1016:
	s_or_b64 exec, exec, s[14:15]
	v_cmp_gt_u32_e64 s[12:13], 4, v8
	s_and_saveexec_b64 s[14:15], s[12:13]
	s_cbranch_execz .LBB149_1018
.LBB149_1017:
	v_lshlrev_b32_e32 v12, 3, v0
	v_mov_b32_e32 v14, 0
	ds_read_b64 v[12:13], v12 offset:3584
	ds_read_b64 v[14:15], v14 offset:3640
	s_waitcnt lgkmcnt(0)
	v_mul_f32_e32 v16, v15, v13
	v_mul_f32_e32 v13, v14, v13
	v_fma_f32 v14, v14, v12, -v16
	v_fmac_f32_e32 v13, v15, v12
	v_add_f32_e32 v3, v3, v14
	v_add_f32_e32 v4, v4, v13
.LBB149_1018:
	s_or_b64 exec, exec, s[14:15]
.LBB149_1019:
	s_or_b64 exec, exec, s[6:7]
	s_and_saveexec_b64 s[6:7], s[50:51]
	s_cbranch_execz .LBB149_1021
; %bb.1020:
	v_mov_b32_e32 v12, 0
	ds_read_b64 v[12:13], v12 offset:1560
	s_waitcnt lgkmcnt(0)
	v_mul_f32_e32 v14, v4, v13
	v_mul_f32_e32 v15, v3, v13
	v_fma_f32 v3, v3, v12, -v14
	v_fmac_f32_e32 v15, v4, v12
	v_xor_b32_e32 v12, 0x80000000, v3
	v_xor_b32_e32 v13, 0x80000000, v15
	v_mov_b32_e32 v4, v15
	ds_write_b64 v11, v[12:13]
.LBB149_1021:
	s_or_b64 exec, exec, s[6:7]
	s_waitcnt lgkmcnt(0)
	s_barrier
	s_and_saveexec_b64 s[6:7], s[52:53]
	v_readlane_b32 s38, v30, 2
	v_readlane_b32 s50, v30, 0
	;; [unrolled: 1-line block ×5, first 2 shown]
	s_cbranch_execz .LBB149_1023
; %bb.1022:
	v_lshlrev_b32_e32 v12, 3, v9
	ds_read_b64 v[12:13], v12 offset:1536
	ds_read_b64 v[14:15], v11
	s_waitcnt lgkmcnt(0)
	v_mul_f32_e32 v16, v15, v13
	v_mul_f32_e32 v13, v14, v13
	v_fma_f32 v14, v14, v12, -v16
	v_fmac_f32_e32 v13, v15, v12
	v_sub_f32_e32 v3, v3, v14
	v_sub_f32_e32 v4, v4, v13
.LBB149_1023:
	s_or_b64 exec, exec, s[6:7]
	s_barrier
	s_and_saveexec_b64 s[6:7], s[54:55]
	s_cbranch_execz .LBB149_1025
; %bb.1024:
	v_mov_b32_e32 v12, 0
	ds_read_b64 v[12:13], v12 offset:1040
	s_waitcnt lgkmcnt(0)
	v_mul_f32_e32 v14, v4, v13
	v_mul_f32_e32 v15, v3, v13
	v_fma_f32 v3, v3, v12, -v14
	v_fmac_f32_e32 v15, v4, v12
	v_xor_b32_e32 v12, 0x80000000, v3
	v_xor_b32_e32 v13, 0x80000000, v15
	v_mov_b32_e32 v4, v15
	ds_write_b64 v11, v[12:13]
.LBB149_1025:
	s_or_b64 exec, exec, s[6:7]
	s_waitcnt lgkmcnt(0)
	s_barrier
	s_and_saveexec_b64 s[6:7], s[56:57]
	s_cbranch_execz .LBB149_1027
; %bb.1026:
	v_lshlrev_b32_e32 v12, 3, v9
	ds_read_b64 v[12:13], v12 offset:1024
	ds_read_b64 v[14:15], v11
	s_waitcnt lgkmcnt(0)
	v_mul_f32_e32 v16, v15, v13
	v_mul_f32_e32 v13, v14, v13
	v_fma_f32 v14, v14, v12, -v16
	v_fmac_f32_e32 v13, v15, v12
	v_sub_f32_e32 v3, v3, v14
	v_sub_f32_e32 v4, v4, v13
.LBB149_1027:
	s_or_b64 exec, exec, s[6:7]
	s_barrier
	s_and_saveexec_b64 s[6:7], s[58:59]
	s_cbranch_execz .LBB149_1029
; %bb.1028:
	v_mov_b32_e32 v12, 0
	ds_read_b64 v[12:13], v12 offset:520
	s_waitcnt lgkmcnt(0)
	v_mul_f32_e32 v14, v4, v13
	v_mul_f32_e32 v15, v3, v13
	v_fma_f32 v3, v3, v12, -v14
	v_fmac_f32_e32 v15, v4, v12
	v_xor_b32_e32 v12, 0x80000000, v3
	v_xor_b32_e32 v13, 0x80000000, v15
	v_mov_b32_e32 v4, v15
	ds_write_b64 v11, v[12:13]
.LBB149_1029:
	s_or_b64 exec, exec, s[6:7]
	s_waitcnt lgkmcnt(0)
	s_barrier
	s_and_saveexec_b64 s[6:7], s[48:49]
	s_cbranch_execz .LBB149_1031
; %bb.1030:
	v_mov_b32_e32 v12, 0
	ds_read_b64 v[12:13], v12 offset:512
	ds_read_b64 v[14:15], v11
	s_waitcnt lgkmcnt(0)
	v_mul_f32_e32 v16, v15, v13
	v_mul_f32_e32 v13, v14, v13
	v_fma_f32 v14, v14, v12, -v16
	v_fmac_f32_e32 v13, v15, v12
	v_sub_f32_e32 v3, v3, v14
	v_sub_f32_e32 v4, v4, v13
.LBB149_1031:
	s_or_b64 exec, exec, s[6:7]
	s_barrier
	s_and_saveexec_b64 s[6:7], s[48:49]
	s_cbranch_execz .LBB149_1033
; %bb.1032:
	v_mov_b32_e32 v12, 0
	ds_read_b64 v[12:13], v12
	s_waitcnt lgkmcnt(0)
	v_mul_f32_e32 v14, v4, v13
	v_mul_f32_e32 v15, v3, v13
	v_fma_f32 v3, v3, v12, -v14
	v_fmac_f32_e32 v15, v4, v12
	v_xor_b32_e32 v12, 0x80000000, v3
	v_xor_b32_e32 v13, 0x80000000, v15
	v_mov_b32_e32 v4, v15
	ds_write_b64 v11, v[12:13]
.LBB149_1033:
	s_or_b64 exec, exec, s[6:7]
	s_waitcnt lgkmcnt(0)
	s_barrier
	s_barrier
	s_and_saveexec_b64 s[6:7], s[10:11]
; %bb.1034:
	v_lshlrev_b32_e32 v9, 3, v9
	v_lshl_or_b32 v9, v10, 9, v9
	ds_write_b64 v9, v[3:4] offset:2048
; %bb.1035:
	s_or_b64 exec, exec, s[6:7]
	s_waitcnt lgkmcnt(0)
	s_barrier
	s_barrier
	s_and_saveexec_b64 s[6:7], s[60:61]
	s_cbranch_execz .LBB149_1037
; %bb.1036:
	v_lshlrev_b32_e32 v9, 9, v0
	ds_read_b64 v[3:4], v9 offset:2048
	s_movk_i32 s10, 0xfe08
	v_mad_i32_i24 v10, v0, s10, v9
	s_waitcnt lgkmcnt(0)
	ds_write_b64 v10, v[3:4] offset:32
	ds_read_b64 v[3:4], v9 offset:2056
	s_waitcnt lgkmcnt(0)
	ds_write_b64 v10, v[3:4] offset:544
	ds_read_b64 v[3:4], v9 offset:2064
	;; [unrolled: 3-line block ×3, first 2 shown]
	s_waitcnt lgkmcnt(0)
	ds_write_b64 v10, v[3:4] offset:1568
.LBB149_1037:
	s_or_b64 exec, exec, s[6:7]
	s_waitcnt lgkmcnt(0)
	s_barrier
	s_and_saveexec_b64 s[6:7], vcc
	s_cbranch_execz .LBB149_1039
; %bb.1038:
	v_mov_b32_e32 v13, 0
	ds_read2_b64 v[9:12], v13 offset0:130 offset1:194
	ds_read_b64 v[3:4], v13 offset:1560
	s_waitcnt lgkmcnt(0)
	v_mul_f32_e32 v14, v4, v10
	v_mul_f32_e32 v10, v3, v10
	v_fma_f32 v3, v3, v9, -v14
	v_fmac_f32_e32 v10, v4, v9
	v_mul_f32_e32 v9, v10, v12
	v_mul_f32_e32 v4, v3, v12
	v_fma_f32 v3, v3, v11, -v9
	v_fmac_f32_e32 v4, v10, v11
	ds_write2_b64 v13, v[3:4], v[3:4] offset0:131 offset1:194
.LBB149_1039:
	s_or_b64 exec, exec, s[6:7]
	v_mov_b32_e32 v3, 0
	v_mov_b32_e32 v4, 0
	s_waitcnt lgkmcnt(0)
	s_barrier
	buffer_wbinvl1_vol
	s_and_saveexec_b64 s[6:7], s[22:23]
	s_cbranch_execz .LBB149_1043
; %bb.1040:
	v_lshlrev_b32_e32 v3, 3, v5
	v_lshlrev_b32_e32 v9, 9, v6
	ds_read_b64 v[3:4], v3 offset:1024
	ds_read_b64 v[9:10], v9 offset:1040
	v_cmp_gt_u32_e64 s[10:11], 2, v8
	s_waitcnt lgkmcnt(0)
	v_mul_f32_e32 v11, v10, v4
	v_mul_f32_e32 v4, v9, v4
	v_fma_f32 v9, v9, v3, -v11
	v_fmac_f32_e32 v4, v10, v3
	v_add_f32_e32 v3, 0, v9
	v_add_f32_e32 v4, 0, v4
	s_and_saveexec_b64 s[12:13], s[10:11]
	s_cbranch_execz .LBB149_1042
; %bb.1041:
	v_lshlrev_b32_e32 v8, 3, v0
	v_mov_b32_e32 v10, 0
	ds_read_b64 v[8:9], v8 offset:1536
	ds_read_b64 v[10:11], v10 offset:1560
	s_waitcnt lgkmcnt(0)
	v_mul_f32_e32 v12, v11, v9
	v_mul_f32_e32 v9, v10, v9
	v_fma_f32 v10, v10, v8, -v12
	v_fmac_f32_e32 v9, v11, v8
	v_add_f32_e32 v3, v3, v10
	v_add_f32_e32 v4, v4, v9
.LBB149_1042:
	s_or_b64 exec, exec, s[12:13]
.LBB149_1043:
	s_or_b64 exec, exec, s[6:7]
	s_and_saveexec_b64 s[6:7], s[44:45]
	s_cbranch_execz .LBB149_1045
; %bb.1044:
	v_mov_b32_e32 v8, 0
	ds_read_b64 v[8:9], v8 offset:520
	s_waitcnt lgkmcnt(0)
	v_mul_f32_e32 v10, v4, v9
	v_mul_f32_e32 v11, v3, v9
	v_fma_f32 v3, v3, v8, -v10
	v_fmac_f32_e32 v11, v4, v8
	v_xor_b32_e32 v8, 0x80000000, v3
	v_xor_b32_e32 v9, 0x80000000, v11
	v_mov_b32_e32 v4, v11
	ds_write_b64 v7, v[8:9]
.LBB149_1045:
	s_or_b64 exec, exec, s[6:7]
	s_waitcnt lgkmcnt(0)
	s_barrier
	s_and_saveexec_b64 s[6:7], s[42:43]
	s_cbranch_execz .LBB149_1047
; %bb.1046:
	v_mov_b32_e32 v8, 0
	ds_read_b64 v[8:9], v8 offset:512
	ds_read_b64 v[10:11], v7
	s_waitcnt lgkmcnt(0)
	v_mul_f32_e32 v12, v11, v9
	v_mul_f32_e32 v9, v10, v9
	v_fma_f32 v10, v10, v8, -v12
	v_fmac_f32_e32 v9, v11, v8
	v_sub_f32_e32 v3, v3, v10
	v_sub_f32_e32 v4, v4, v9
.LBB149_1047:
	s_or_b64 exec, exec, s[6:7]
	s_barrier
	s_and_saveexec_b64 s[6:7], s[42:43]
	s_cbranch_execz .LBB149_1049
; %bb.1048:
	v_mov_b32_e32 v8, 0
	ds_read_b64 v[8:9], v8
	s_waitcnt lgkmcnt(0)
	v_mul_f32_e32 v10, v4, v9
	v_mul_f32_e32 v11, v3, v9
	v_fma_f32 v3, v3, v8, -v10
	v_fmac_f32_e32 v11, v4, v8
	v_xor_b32_e32 v8, 0x80000000, v3
	v_xor_b32_e32 v9, 0x80000000, v11
	v_mov_b32_e32 v4, v11
	ds_write_b64 v7, v[8:9]
.LBB149_1049:
	s_or_b64 exec, exec, s[6:7]
	s_waitcnt lgkmcnt(0)
	s_barrier
	s_barrier
	s_and_saveexec_b64 s[6:7], s[22:23]
; %bb.1050:
	v_lshlrev_b32_e32 v5, 3, v5
	v_lshl_or_b32 v5, v6, 9, v5
	ds_write_b64 v5, v[3:4] offset:1024
; %bb.1051:
	s_or_b64 exec, exec, s[6:7]
	s_waitcnt lgkmcnt(0)
	s_barrier
	s_barrier
	s_and_saveexec_b64 s[6:7], s[46:47]
	s_cbranch_execz .LBB149_1053
; %bb.1052:
	v_lshlrev_b32_e32 v5, 3, v0
	s_movk_i32 s10, 0x1f8
	v_mad_u32_u24 v6, v0, s10, v5
	ds_read_b64 v[3:4], v6 offset:1024
	s_waitcnt lgkmcnt(0)
	ds_write_b64 v5, v[3:4] offset:16
	ds_read_b64 v[3:4], v6 offset:1032
	s_waitcnt lgkmcnt(0)
	ds_write_b64 v5, v[3:4] offset:528
.LBB149_1053:
	s_or_b64 exec, exec, s[6:7]
	s_waitcnt lgkmcnt(0)
	s_barrier
	s_and_saveexec_b64 s[6:7], vcc
	s_cbranch_execz .LBB149_1055
; %bb.1054:
	v_mov_b32_e32 v9, 0
	ds_read2st64_b64 v[3:6], v9 offset1:1
	ds_read_b64 v[7:8], v9 offset:520
	s_waitcnt lgkmcnt(0)
	v_mul_f32_e32 v10, v8, v4
	v_mul_f32_e32 v11, v7, v4
	v_fma_f32 v7, v7, v3, -v10
	v_fmac_f32_e32 v11, v8, v3
	v_mul_f32_e32 v3, v11, v6
	v_mul_f32_e32 v4, v7, v6
	v_fma_f32 v3, v7, v5, -v3
	v_fmac_f32_e32 v4, v11, v5
	ds_write2_b64 v9, v[3:4], v[3:4] offset0:1 offset1:64
.LBB149_1055:
	s_or_b64 exec, exec, s[6:7]
.LBB149_1056:
	s_lshl_b64 s[6:7], s[28:29], 3
	s_add_u32 s28, s50, s6
	v_cmp_le_i32_e32 vcc, s92, v0
	s_addc_u32 s29, s51, s7
	s_and_b64 s[18:19], vcc, s[26:27]
	v_cmp_eq_u32_e64 s[16:17], 0, v2
	s_xor_b64 s[6:7], s[18:19], -1
	s_and_b64 s[10:11], s[16:17], s[6:7]
	v_mov_b32_e32 v3, 0
	v_add_u32_e32 v5, s33, v0
	v_mov_b32_e32 v4, 0
	s_waitcnt lgkmcnt(0)
	s_barrier
	s_and_saveexec_b64 s[6:7], s[10:11]
	s_cbranch_execz .LBB149_1058
; %bb.1057:
	v_ashrrev_i32_e32 v6, 31, v5
	v_mul_lo_u32 v7, s31, v5
	v_mad_u64_u32 v[3:4], s[10:11], s30, v5, 0
	v_mul_lo_u32 v6, s30, v6
	v_add3_u32 v4, v4, v6, v7
	v_lshlrev_b64 v[3:4], 3, v[3:4]
	v_mov_b32_e32 v6, s29
	v_add_co_u32_e32 v3, vcc, s28, v3
	v_addc_co_u32_e32 v4, vcc, v6, v4, vcc
	flat_load_dwordx2 v[6:7], v[3:4]
	s_waitcnt vmcnt(0) lgkmcnt(0)
	v_mul_f32_e32 v3, s38, v6
	v_mul_f32_e32 v4, s38, v7
	v_fma_f32 v3, s39, v7, -v3
	v_fma_f32 v4, v6, -s39, -v4
.LBB149_1058:
	s_or_b64 exec, exec, s[6:7]
	s_load_dwordx2 s[6:7], s[4:5], 0x50
	s_and_b32 s4, 0xffff, s95
	v_mad_u32_u24 v7, v2, s4, v0
	s_cmp_lt_i32 s8, 1
	v_cmp_eq_u32_e64 s[4:5], 0, v7
	s_cbranch_scc1 .LBB149_1077
; %bb.1059:
	v_mad_u64_u32 v[10:11], s[10:11], s36, v5, 0
	v_cmp_gt_i32_e64 s[12:13], s9, v5
	s_mov_b64 s[20:21], src_private_base
	v_mov_b32_e32 v6, v11
	v_mad_u64_u32 v[8:9], s[10:11], s37, v5, v[6:7]
	v_mov_b32_e32 v6, 0xa000
	v_lshl_or_b32 v9, v2, 3, v6
	v_mov_b32_e32 v11, v8
	v_lshl_add_u32 v8, v7, 3, v6
	v_lshlrev_b64 v[5:6], 3, v[10:11]
	s_lshl_b64 s[10:11], s[34:35], 2
	s_waitcnt lgkmcnt(0)
	s_add_u32 s22, s6, s10
	v_mov_b32_e32 v11, s94
	v_add_co_u32_e32 v10, vcc, s93, v5
	s_mov_b32 s20, 0
	s_addc_u32 s23, s7, s11
	v_cmp_gt_u32_e64 s[10:11], 64, v7
	s_add_i32 s36, s8, -1
	v_addc_co_u32_e32 v11, vcc, v11, v6, vcc
	v_mov_b32_e32 v14, -1
	v_mov_b32_e32 v6, 0
	v_mov_b32_e32 v12, 0
	;; [unrolled: 1-line block ×5, first 2 shown]
	s_branch .LBB149_1061
.LBB149_1060:                           ;   in Loop: Header=BB149_1061 Depth=1
	s_or_b64 exec, exec, s[24:25]
	s_add_i32 s20, s20, 1
	s_cmp_eq_u32 s20, s8
	s_cbranch_scc1 .LBB149_1077
.LBB149_1061:                           ; =>This Loop Header: Depth=1
                                        ;     Child Loop BB149_1063 Depth 2
	v_cmp_gt_i32_e32 vcc, s20, v14
	s_and_b64 s[24:25], s[4:5], vcc
	s_and_saveexec_b64 s[14:15], s[24:25]
	s_cbranch_execz .LBB149_1064
; %bb.1062:                             ;   in Loop: Header=BB149_1061 Depth=1
	global_load_dword v14, v6, s[22:23]
	s_waitcnt vmcnt(0)
	v_cmp_le_i32_e32 vcc, s20, v14
	s_cbranch_vccnz .LBB149_1064
.LBB149_1063:                           ;   Parent Loop BB149_1061 Depth=1
                                        ; =>  This Inner Loop Header: Depth=2
	buffer_wbinvl1_vol
	global_load_dword v14, v6, s[22:23]
	s_waitcnt vmcnt(0)
	v_cmp_gt_i32_e32 vcc, s20, v14
	s_cbranch_vccnz .LBB149_1063
.LBB149_1064:                           ;   in Loop: Header=BB149_1061 Depth=1
	s_or_b64 exec, exec, s[14:15]
	s_lshl_b32 s37, s20, 6
	buffer_wbinvl1_vol
	s_barrier
	s_and_saveexec_b64 s[14:15], s[10:11]
	s_cbranch_execz .LBB149_1069
; %bb.1065:                             ;   in Loop: Header=BB149_1061 Depth=1
	v_or_b32_e32 v5, s37, v7
	v_cmp_le_i32_e32 vcc, s9, v5
	s_and_saveexec_b64 s[24:25], vcc
	s_xor_b64 s[24:25], exec, s[24:25]
; %bb.1066:                             ;   in Loop: Header=BB149_1061 Depth=1
	v_mov_b32_e32 v5, v6
	ds_write_b64 v8, v[5:6]
                                        ; implicit-def: $vgpr5
; %bb.1067:                             ;   in Loop: Header=BB149_1061 Depth=1
	s_andn2_saveexec_b64 s[24:25], s[24:25]
	s_cbranch_execz .LBB149_1069
; %bb.1068:                             ;   in Loop: Header=BB149_1061 Depth=1
	v_mad_u64_u32 v[17:18], s[24:25], s30, v5, 0
	v_mad_u64_u32 v[18:19], s[24:25], s31, v5, v[18:19]
	v_mov_b32_e32 v5, s29
	v_lshlrev_b64 v[17:18], 3, v[17:18]
	v_add_co_u32_e32 v17, vcc, s28, v17
	v_addc_co_u32_e32 v18, vcc, v5, v18, vcc
	flat_load_dwordx2 v[17:18], v[17:18]
	s_waitcnt vmcnt(0) lgkmcnt(0)
	ds_write_b64 v8, v[17:18]
.LBB149_1069:                           ;   in Loop: Header=BB149_1061 Depth=1
	s_or_b64 exec, exec, s[14:15]
	v_add_u32_e32 v5, s37, v2
	v_lshlrev_b64 v[18:19], 3, v[5:6]
	s_cmp_eq_u32 s20, s36
	v_add_co_u32_e32 v18, vcc, v10, v18
	v_addc_co_u32_e32 v17, vcc, v11, v19, vcc
	v_cmp_gt_i32_e32 vcc, s9, v5
	s_cselect_b64 s[14:15], -1, 0
	s_and_b64 s[38:39], vcc, s[12:13]
	s_waitcnt lgkmcnt(0)
	s_barrier
	s_and_saveexec_b64 s[24:25], s[38:39]
	s_cbranch_execz .LBB149_1071
; %bb.1070:                             ;   in Loop: Header=BB149_1061 Depth=1
	v_mov_b32_e32 v19, s21
	v_cndmask_b32_e64 v20, v17, v19, s[14:15]
	v_cndmask_b32_e64 v19, v18, v12, s[14:15]
	flat_load_dwordx2 v[19:20], v[19:20]
	ds_read_b64 v[21:22], v9
	s_waitcnt vmcnt(0) lgkmcnt(0)
	v_mul_f32_e32 v23, v22, v20
	v_mul_f32_e32 v20, v21, v20
	v_fma_f32 v21, v21, v19, -v23
	v_fmac_f32_e32 v20, v22, v19
	v_add_f32_e32 v3, v3, v21
	v_add_f32_e32 v4, v4, v20
.LBB149_1071:                           ;   in Loop: Header=BB149_1061 Depth=1
	s_or_b64 exec, exec, s[24:25]
	v_add_u32_e32 v19, 16, v5
	v_cmp_gt_i32_e32 vcc, s9, v19
	s_and_b64 s[38:39], vcc, s[12:13]
	s_and_saveexec_b64 s[24:25], s[38:39]
	s_cbranch_execz .LBB149_1073
; %bb.1072:                             ;   in Loop: Header=BB149_1061 Depth=1
	v_add_co_u32_e32 v19, vcc, 0x80, v18
	v_addc_co_u32_e32 v20, vcc, 0, v17, vcc
	v_mov_b32_e32 v21, s21
	v_cndmask_b32_e64 v20, v20, v21, s[14:15]
	v_cndmask_b32_e64 v19, v19, v13, s[14:15]
	flat_load_dwordx2 v[19:20], v[19:20]
	ds_read_b64 v[21:22], v9 offset:128
	s_waitcnt vmcnt(0) lgkmcnt(0)
	v_mul_f32_e32 v23, v22, v20
	v_mul_f32_e32 v20, v21, v20
	v_fma_f32 v21, v21, v19, -v23
	v_fmac_f32_e32 v20, v22, v19
	v_add_f32_e32 v3, v3, v21
	v_add_f32_e32 v4, v4, v20
.LBB149_1073:                           ;   in Loop: Header=BB149_1061 Depth=1
	s_or_b64 exec, exec, s[24:25]
	v_add_u32_e32 v19, 32, v5
	v_cmp_gt_i32_e32 vcc, s9, v19
	s_and_b64 s[38:39], vcc, s[12:13]
	s_and_saveexec_b64 s[24:25], s[38:39]
	s_cbranch_execz .LBB149_1075
; %bb.1074:                             ;   in Loop: Header=BB149_1061 Depth=1
	v_add_co_u32_e32 v19, vcc, 0x100, v18
	v_addc_co_u32_e32 v20, vcc, 0, v17, vcc
	v_mov_b32_e32 v21, s21
	v_cndmask_b32_e64 v20, v20, v21, s[14:15]
	v_cndmask_b32_e64 v19, v19, v15, s[14:15]
	flat_load_dwordx2 v[19:20], v[19:20]
	ds_read_b64 v[21:22], v9 offset:256
	s_waitcnt vmcnt(0) lgkmcnt(0)
	v_mul_f32_e32 v23, v22, v20
	v_mul_f32_e32 v20, v21, v20
	v_fma_f32 v21, v21, v19, -v23
	v_fmac_f32_e32 v20, v22, v19
	v_add_f32_e32 v3, v3, v21
	v_add_f32_e32 v4, v4, v20
.LBB149_1075:                           ;   in Loop: Header=BB149_1061 Depth=1
	s_or_b64 exec, exec, s[24:25]
	v_add_u32_e32 v5, 48, v5
	v_cmp_gt_i32_e32 vcc, s9, v5
	s_and_b64 s[38:39], vcc, s[12:13]
	s_and_saveexec_b64 s[24:25], s[38:39]
	s_cbranch_execz .LBB149_1060
; %bb.1076:                             ;   in Loop: Header=BB149_1061 Depth=1
	v_add_co_u32_e32 v5, vcc, 0x180, v18
	v_addc_co_u32_e32 v17, vcc, 0, v17, vcc
	v_mov_b32_e32 v18, s21
	v_cndmask_b32_e64 v18, v17, v18, s[14:15]
	v_cndmask_b32_e64 v17, v5, v16, s[14:15]
	flat_load_dwordx2 v[17:18], v[17:18]
	ds_read_b64 v[19:20], v9 offset:384
	s_waitcnt vmcnt(0) lgkmcnt(0)
	v_mul_f32_e32 v5, v20, v18
	v_mul_f32_e32 v18, v19, v18
	v_fma_f32 v5, v19, v17, -v5
	v_fmac_f32_e32 v18, v20, v17
	v_add_f32_e32 v3, v3, v5
	v_add_f32_e32 v4, v4, v18
	s_branch .LBB149_1060
.LBB149_1077:
	s_xor_b64 s[4:5], s[26:27], -1
	v_lshlrev_b32_e32 v1, 3, v1
	ds_write_b64 v1, v[3:4] offset:32768
	s_waitcnt lgkmcnt(0)
	s_barrier
	s_and_saveexec_b64 s[8:9], s[16:17]
	s_cbranch_execz .LBB149_1079
; %bb.1078:
	v_lshlrev_b32_e32 v18, 3, v0
	ds_read2st64_b64 v[8:11], v18 offset0:65 offset1:66
	ds_read2st64_b64 v[12:15], v18 offset0:67 offset1:68
	ds_read_b64 v[16:17], v18 offset:40448
	s_waitcnt lgkmcnt(2)
	v_add_f32_e32 v3, v3, v8
	v_add_f32_e32 v4, v4, v9
	;; [unrolled: 1-line block ×4, first 2 shown]
	ds_read2st64_b64 v[3:6], v18 offset0:69 offset1:70
	s_waitcnt lgkmcnt(2)
	v_add_f32_e32 v8, v8, v12
	v_add_f32_e32 v9, v9, v13
	;; [unrolled: 1-line block ×4, first 2 shown]
	s_waitcnt lgkmcnt(0)
	v_add_f32_e32 v3, v8, v3
	ds_read2st64_b64 v[8:11], v18 offset0:71 offset1:72
	v_add_f32_e32 v4, v12, v4
	v_add_f32_e32 v12, v3, v5
	;; [unrolled: 1-line block ×3, first 2 shown]
	ds_read2st64_b64 v[3:6], v18 offset0:73 offset1:74
	s_waitcnt lgkmcnt(1)
	v_add_f32_e32 v8, v12, v8
	v_add_f32_e32 v9, v13, v9
	;; [unrolled: 1-line block ×4, first 2 shown]
	s_waitcnt lgkmcnt(0)
	v_add_f32_e32 v3, v8, v3
	ds_read2st64_b64 v[8:11], v18 offset0:75 offset1:76
	v_add_f32_e32 v4, v12, v4
	v_add_f32_e32 v12, v3, v5
	;; [unrolled: 1-line block ×3, first 2 shown]
	ds_read2st64_b64 v[3:6], v18 offset0:77 offset1:78
	s_waitcnt lgkmcnt(1)
	v_add_f32_e32 v8, v12, v8
	v_add_f32_e32 v9, v13, v9
	;; [unrolled: 1-line block ×4, first 2 shown]
	s_waitcnt lgkmcnt(0)
	v_add_f32_e32 v3, v8, v3
	v_add_f32_e32 v4, v9, v4
	v_add_f32_e32 v3, v3, v5
	v_add_f32_e32 v4, v4, v6
	v_add_f32_e32 v3, v3, v16
	v_add_f32_e32 v4, v4, v17
	v_cndmask_b32_e64 v3, -v3, 0, s[18:19]
	v_cndmask_b32_e64 v4, -v4, 0, s[18:19]
.LBB149_1079:
	s_or_b64 exec, exec, s[8:9]
	s_and_b64 vcc, exec, s[64:65]
	s_cbranch_vccnz .LBB149_1092
; %bb.1080:
	v_mov_b32_e32 v5, 0xa000
	v_lshl_or_b32 v8, v2, 3, v5
	s_and_saveexec_b64 s[8:9], s[16:17]
; %bb.1081:
	v_lshl_add_u32 v5, v0, 3, v8
	ds_write_b64 v5, v[3:4]
; %bb.1082:
	s_or_b64 exec, exec, s[8:9]
	v_cmp_le_u32_e32 vcc, v2, v0
	v_mov_b32_e32 v5, 0
	v_mov_b32_e32 v6, 0
	s_waitcnt lgkmcnt(0)
	s_barrier
	s_and_saveexec_b64 s[8:9], vcc
	s_cbranch_execz .LBB149_1084
; %bb.1083:
	ds_read_b64 v[5:6], v1
	ds_read_b64 v[9:10], v8
	s_waitcnt lgkmcnt(0)
	v_mul_f32_e32 v11, v10, v6
	v_mul_f32_e32 v6, v9, v6
	v_fma_f32 v9, v9, v5, -v11
	v_fmac_f32_e32 v6, v10, v5
	v_add_f32_e32 v5, 0, v9
	v_add_f32_e32 v6, 0, v6
.LBB149_1084:
	s_or_b64 exec, exec, s[8:9]
	v_add_u32_e32 v9, 16, v2
	v_cmp_ge_u32_e32 vcc, v0, v9
	s_and_saveexec_b64 s[8:9], vcc
	s_cbranch_execz .LBB149_1086
; %bb.1085:
	ds_read_b64 v[9:10], v1 offset:8192
	ds_read_b64 v[11:12], v8 offset:128
	s_waitcnt lgkmcnt(0)
	v_mul_f32_e32 v13, v12, v10
	v_mul_f32_e32 v10, v11, v10
	v_fma_f32 v11, v11, v9, -v13
	v_fmac_f32_e32 v10, v12, v9
	v_add_f32_e32 v5, v5, v11
	v_add_f32_e32 v6, v6, v10
.LBB149_1086:
	s_or_b64 exec, exec, s[8:9]
	v_add_u32_e32 v9, 32, v2
	v_cmp_ge_u32_e32 vcc, v0, v9
	s_and_saveexec_b64 s[8:9], vcc
	s_cbranch_execz .LBB149_1088
; %bb.1087:
	ds_read_b64 v[9:10], v1 offset:16384
	ds_read_b64 v[11:12], v8 offset:256
	s_waitcnt lgkmcnt(0)
	v_mul_f32_e32 v13, v12, v10
	v_mul_f32_e32 v10, v11, v10
	v_fma_f32 v11, v11, v9, -v13
	v_fmac_f32_e32 v10, v12, v9
	v_add_f32_e32 v5, v5, v11
	v_add_f32_e32 v6, v6, v10
.LBB149_1088:
	s_or_b64 exec, exec, s[8:9]
	v_add_u32_e32 v2, 48, v2
	v_add_u32_e32 v9, 0x8000, v1
	v_cmp_ge_u32_e32 vcc, v0, v2
	s_and_saveexec_b64 s[8:9], vcc
	s_cbranch_execz .LBB149_1090
; %bb.1089:
	ds_read_b64 v[1:2], v1 offset:24576
	ds_read_b64 v[10:11], v8 offset:384
	s_waitcnt lgkmcnt(0)
	v_mul_f32_e32 v8, v11, v2
	v_mul_f32_e32 v2, v10, v2
	v_fma_f32 v8, v10, v1, -v8
	v_fmac_f32_e32 v2, v11, v1
	v_add_f32_e32 v5, v5, v8
	v_add_f32_e32 v6, v6, v2
.LBB149_1090:
	s_or_b64 exec, exec, s[8:9]
	s_mov_b64 s[10:11], 0
	s_mov_b64 s[8:9], 0
	ds_write_b64 v9, v[5:6]
	s_waitcnt lgkmcnt(0)
	s_barrier
                                        ; implicit-def: $vgpr8
                                        ; implicit-def: $vgpr9
                                        ; implicit-def: $vgpr1_vgpr2
	s_and_saveexec_b64 s[12:13], s[16:17]
	s_cbranch_execz .LBB149_1105
; %bb.1091:
	v_lshlrev_b32_e32 v1, 3, v0
	ds_read2st64_b64 v[8:11], v1 offset0:65 offset1:66
	ds_read2st64_b64 v[12:15], v1 offset0:67 offset1:68
	ds_read_b64 v[16:17], v1 offset:40448
	s_mov_b64 s[8:9], exec
	s_waitcnt lgkmcnt(2)
	v_add_f32_e32 v2, v5, v8
	v_add_f32_e32 v5, v6, v9
	v_add_f32_e32 v2, v2, v10
	v_add_f32_e32 v5, v5, v11
	ds_read2st64_b64 v[8:11], v1 offset0:69 offset1:70
	s_waitcnt lgkmcnt(2)
	v_add_f32_e32 v2, v2, v12
	v_add_f32_e32 v5, v5, v13
	v_add_f32_e32 v2, v2, v14
	v_add_f32_e32 v5, v5, v15
	ds_read2st64_b64 v[12:15], v1 offset0:71 offset1:72
	;; [unrolled: 6-line block ×5, first 2 shown]
	s_waitcnt lgkmcnt(1)
	v_add_f32_e32 v1, v2, v12
	v_add_f32_e32 v2, v5, v13
	v_add_u32_e32 v12, s33, v7
	v_add_f32_e32 v5, v1, v14
	v_add_f32_e32 v6, v2, v15
	v_mad_u64_u32 v[1:2], s[14:15], s30, v12, 0
	s_waitcnt lgkmcnt(0)
	v_add_f32_e32 v5, v5, v8
	v_add_f32_e32 v8, v6, v9
	;; [unrolled: 1-line block ×3, first 2 shown]
	v_mad_u64_u32 v[5:6], s[14:15], s31, v12, v[2:3]
	v_add_f32_e32 v2, v8, v11
	v_add_f32_e32 v9, v9, v16
	;; [unrolled: 1-line block ×3, first 2 shown]
	v_mov_b32_e32 v2, v5
	s_or_b64 exec, exec, s[12:13]
	s_and_b64 vcc, exec, s[10:11]
	s_cbranch_vccnz .LBB149_1093
	s_branch .LBB149_1106
.LBB149_1092:
	s_mov_b64 s[8:9], 0
                                        ; implicit-def: $vgpr8
                                        ; implicit-def: $vgpr9
                                        ; implicit-def: $vgpr1_vgpr2
	s_cbranch_execz .LBB149_1106
.LBB149_1093:
	v_mul_u32_u24_e32 v1, 0x208, v0
	v_lshlrev_b32_e32 v2, 9, v0
	v_sub_u32_e32 v2, v1, v2
	s_mov_b32 s12, 0
	v_mov_b32_e32 v5, 0
	v_mov_b32_e32 v6, v0
	s_branch .LBB149_1095
.LBB149_1094:                           ;   in Loop: Header=BB149_1095 Depth=1
	s_or_b64 exec, exec, s[10:11]
	s_add_i32 s12, s12, 2
	v_add_u32_e32 v2, 0x400, v2
	s_cmp_lg_u32 s12, 64
	v_add_u32_e32 v6, -2, v6
	s_barrier
	s_cbranch_scc0 .LBB149_1103
.LBB149_1095:                           ; =>This Inner Loop Header: Depth=1
	v_cmp_eq_u32_e32 vcc, 0, v6
	s_and_b64 s[14:15], s[16:17], vcc
	s_and_saveexec_b64 s[10:11], s[14:15]
	s_cbranch_execz .LBB149_1097
; %bb.1096:                             ;   in Loop: Header=BB149_1095 Depth=1
	ds_read_b64 v[8:9], v1
	s_waitcnt lgkmcnt(0)
	v_mul_f32_e32 v11, v4, v9
	v_mul_f32_e32 v10, v3, v9
	v_fma_f32 v9, v3, v8, -v11
	v_fmac_f32_e32 v10, v4, v8
	v_mov_b32_e32 v3, v9
	v_mov_b32_e32 v4, v10
	ds_write_b64 v5, v[9:10] offset:41472
.LBB149_1097:                           ;   in Loop: Header=BB149_1095 Depth=1
	s_or_b64 exec, exec, s[10:11]
	v_cmp_lt_u32_e32 vcc, s12, v0
	s_and_b64 s[14:15], s[16:17], vcc
	s_waitcnt lgkmcnt(0)
	s_barrier
	s_and_saveexec_b64 s[10:11], s[14:15]
	s_cbranch_execz .LBB149_1099
; %bb.1098:                             ;   in Loop: Header=BB149_1095 Depth=1
	ds_read_b64 v[8:9], v2
	ds_read_b64 v[10:11], v5 offset:41472
	s_waitcnt lgkmcnt(0)
	v_mul_f32_e32 v12, v11, v9
	v_mul_f32_e32 v9, v10, v9
	v_fma_f32 v10, v10, v8, -v12
	v_fmac_f32_e32 v9, v11, v8
	v_add_f32_e32 v3, v3, v10
	v_add_f32_e32 v4, v4, v9
.LBB149_1099:                           ;   in Loop: Header=BB149_1095 Depth=1
	s_or_b64 exec, exec, s[10:11]
	s_or_b32 s13, s12, 1
	v_cmp_eq_u32_e32 vcc, s13, v0
	s_and_b64 s[14:15], s[16:17], vcc
	s_barrier
	s_and_saveexec_b64 s[10:11], s[14:15]
	s_cbranch_execz .LBB149_1101
; %bb.1100:                             ;   in Loop: Header=BB149_1095 Depth=1
	ds_read_b64 v[8:9], v1
	s_waitcnt lgkmcnt(0)
	v_mul_f32_e32 v11, v4, v9
	v_mul_f32_e32 v10, v3, v9
	v_fma_f32 v9, v3, v8, -v11
	v_fmac_f32_e32 v10, v4, v8
	v_mov_b32_e32 v3, v9
	v_mov_b32_e32 v4, v10
	ds_write_b64 v5, v[9:10] offset:41472
.LBB149_1101:                           ;   in Loop: Header=BB149_1095 Depth=1
	s_or_b64 exec, exec, s[10:11]
	v_cmp_lt_u32_e32 vcc, s13, v0
	s_and_b64 s[14:15], s[16:17], vcc
	s_waitcnt lgkmcnt(0)
	s_barrier
	s_and_saveexec_b64 s[10:11], s[14:15]
	s_cbranch_execz .LBB149_1094
; %bb.1102:                             ;   in Loop: Header=BB149_1095 Depth=1
	ds_read_b64 v[8:9], v2 offset:512
	ds_read_b64 v[10:11], v5 offset:41472
	s_waitcnt lgkmcnt(0)
	v_mul_f32_e32 v12, v11, v9
	v_mul_f32_e32 v9, v10, v9
	v_fma_f32 v10, v10, v8, -v12
	v_fmac_f32_e32 v9, v11, v8
	v_add_f32_e32 v3, v3, v10
	v_add_f32_e32 v4, v4, v9
	s_branch .LBB149_1094
.LBB149_1103:
	s_and_b64 vcc, exec, s[4:5]
	s_cbranch_vccz .LBB149_1107
; %bb.1104:
	s_and_b64 s[4:5], s[16:17], exec
	s_cbranch_execz .LBB149_1108
	s_branch .LBB149_1109
.LBB149_1105:
	s_or_b64 exec, exec, s[12:13]
	s_and_b64 vcc, exec, s[10:11]
	s_cbranch_vccnz .LBB149_1093
.LBB149_1106:
	v_mov_b32_e32 v4, v8
	v_mov_b32_e32 v3, v9
	s_and_saveexec_b64 s[4:5], s[8:9]
	s_cbranch_execnz .LBB149_1112
	s_branch .LBB149_1113
.LBB149_1107:
	s_mov_b64 s[4:5], 0
.LBB149_1108:
	v_cmp_gt_i32_e32 vcc, s92, v0
	s_and_b64 s[10:11], s[16:17], vcc
	s_andn2_b64 s[4:5], s[4:5], exec
	s_and_b64 s[10:11], s[10:11], exec
	s_or_b64 s[4:5], s[4:5], s[10:11]
.LBB149_1109:
                                        ; implicit-def: $vgpr1_vgpr2
	s_and_saveexec_b64 s[10:11], s[4:5]
	s_cbranch_execz .LBB149_1111
; %bb.1110:
	v_mov_b32_e32 v0, s40
	v_add_co_u32_e32 v1, vcc, s33, v7
	v_addc_co_u32_e32 v0, vcc, 0, v0, vcc
	v_mul_lo_u32 v0, v0, s30
	v_mul_lo_u32 v5, v1, s31
	v_mad_u64_u32 v[1:2], s[4:5], v1, s30, 0
	s_or_b64 s[8:9], s[8:9], exec
	v_add3_u32 v2, v2, v5, v0
.LBB149_1111:
	s_or_b64 exec, exec, s[10:11]
	s_and_saveexec_b64 s[4:5], s[8:9]
	s_cbranch_execz .LBB149_1113
.LBB149_1112:
	v_lshlrev_b64 v[0:1], 3, v[1:2]
	v_mov_b32_e32 v2, s29
	v_add_co_u32_e32 v0, vcc, s28, v0
	v_addc_co_u32_e32 v1, vcc, v2, v1, vcc
	flat_store_dwordx2 v[0:1], v[3:4]
.LBB149_1113:
	s_or_b64 exec, exec, s[4:5]
	v_cmp_eq_u32_e32 vcc, 0, v7
	s_waitcnt vmcnt(0) lgkmcnt(0)
	buffer_wbinvl1_vol
	s_barrier
	s_and_saveexec_b64 s[4:5], vcc
	s_cbranch_execz .LBB149_1115
; %bb.1114:
	s_lshl_b64 s[8:9], s[34:35], 2
	s_add_u32 s6, s6, s8
	s_addc_u32 s7, s7, s9
	v_mov_b32_e32 v0, 0
	global_load_dword v1, v0, s[6:7]
	s_waitcnt vmcnt(0)
	v_add_u32_e32 v1, 1, v1
	global_store_dword v0, v1, s[6:7]
.LBB149_1115:
	s_or_b64 exec, exec, s[4:5]
	s_waitcnt vmcnt(0)
	buffer_wbinvl1_vol
	s_endpgm
.LBB149_1116:
	ds_read_b64 v[14:15], v12 offset:31680
	ds_read_b64 v[16:17], v13 offset:31208
	s_waitcnt lgkmcnt(0)
	v_mul_f32_e32 v18, v17, v15
	v_mul_f32_e32 v15, v16, v15
	v_fma_f32 v16, v16, v14, -v18
	v_fmac_f32_e32 v15, v17, v14
	v_add_f32_e32 v3, v3, v16
	v_add_f32_e32 v4, v4, v15
	s_or_b64 exec, exec, s[18:19]
	v_cmp_gt_u32_e64 s[14:15], 8, v8
	s_and_saveexec_b64 s[18:19], s[14:15]
	s_cbranch_execz .LBB149_156
.LBB149_1117:
	ds_read_b64 v[14:15], v12 offset:32192
	ds_read_b64 v[12:13], v13 offset:31216
	s_waitcnt lgkmcnt(0)
	v_mul_f32_e32 v16, v13, v15
	v_mul_f32_e32 v15, v12, v15
	v_fma_f32 v12, v12, v14, -v16
	v_fmac_f32_e32 v15, v13, v14
	v_add_f32_e32 v3, v3, v12
	v_add_f32_e32 v4, v4, v15
	s_or_b64 exec, exec, s[18:19]
	v_cmp_gt_u32_e64 s[14:15], 4, v8
	s_and_saveexec_b64 s[18:19], s[14:15]
	s_cbranch_execnz .LBB149_157
	s_branch .LBB149_158
.LBB149_1118:
	ds_read_b64 v[17:18], v15 offset:29568
	ds_read_b64 v[19:20], v16 offset:29128
	s_waitcnt lgkmcnt(0)
	v_mul_f32_e32 v21, v20, v18
	v_mul_f32_e32 v18, v19, v18
	v_fma_f32 v19, v19, v17, -v21
	v_fmac_f32_e32 v18, v20, v17
	v_add_f32_e32 v3, v3, v19
	v_add_f32_e32 v4, v4, v18
	s_or_b64 exec, exec, s[20:21]
	v_cmp_gt_u32_e64 s[18:19], 48, v8
	s_and_saveexec_b64 s[20:21], s[18:19]
	s_cbranch_execz .LBB149_198
.LBB149_1119:
	ds_read_b64 v[17:18], v15 offset:30080
	ds_read_b64 v[19:20], v16 offset:29136
	s_waitcnt lgkmcnt(0)
	v_mul_f32_e32 v21, v20, v18
	v_mul_f32_e32 v18, v19, v18
	v_fma_f32 v19, v19, v17, -v21
	v_fmac_f32_e32 v18, v20, v17
	v_add_f32_e32 v3, v3, v19
	v_add_f32_e32 v4, v4, v18
	s_or_b64 exec, exec, s[20:21]
	v_cmp_gt_u32_e64 s[18:19], 40, v8
	s_and_saveexec_b64 s[20:21], s[18:19]
	s_cbranch_execz .LBB149_199
.LBB149_1120:
	ds_read_b64 v[17:18], v15 offset:30592
	ds_read_b64 v[19:20], v16 offset:29144
	s_waitcnt lgkmcnt(0)
	v_mul_f32_e32 v21, v20, v18
	v_mul_f32_e32 v18, v19, v18
	v_fma_f32 v19, v19, v17, -v21
	v_fmac_f32_e32 v18, v20, v17
	v_add_f32_e32 v3, v3, v19
	v_add_f32_e32 v4, v4, v18
	s_or_b64 exec, exec, s[20:21]
	v_cmp_gt_u32_e64 s[18:19], 32, v8
	s_and_saveexec_b64 s[20:21], s[18:19]
	s_cbranch_execz .LBB149_200
.LBB149_1121:
	ds_read_b64 v[17:18], v15 offset:31104
	ds_read_b64 v[19:20], v16 offset:29152
	s_waitcnt lgkmcnt(0)
	v_mul_f32_e32 v21, v20, v18
	v_mul_f32_e32 v18, v19, v18
	v_fma_f32 v19, v19, v17, -v21
	v_fmac_f32_e32 v18, v20, v17
	v_add_f32_e32 v3, v3, v19
	v_add_f32_e32 v4, v4, v18
	s_or_b64 exec, exec, s[20:21]
	v_cmp_gt_u32_e64 s[18:19], 24, v8
	s_and_saveexec_b64 s[20:21], s[18:19]
	s_cbranch_execz .LBB149_201
.LBB149_1122:
	ds_read_b64 v[17:18], v15 offset:31616
	ds_read_b64 v[19:20], v16 offset:29160
	s_waitcnt lgkmcnt(0)
	v_mul_f32_e32 v21, v20, v18
	v_mul_f32_e32 v18, v19, v18
	v_fma_f32 v19, v19, v17, -v21
	v_fmac_f32_e32 v18, v20, v17
	v_add_f32_e32 v3, v3, v19
	v_add_f32_e32 v4, v4, v18
	s_or_b64 exec, exec, s[20:21]
	s_and_saveexec_b64 s[18:19], s[10:11]
	s_cbranch_execz .LBB149_202
.LBB149_1123:
	ds_read_b64 v[17:18], v15 offset:32128
	ds_read_b64 v[15:16], v16 offset:29168
	s_waitcnt lgkmcnt(0)
	v_mul_f32_e32 v19, v16, v18
	v_mul_f32_e32 v18, v15, v18
	v_fma_f32 v15, v15, v17, -v19
	v_fmac_f32_e32 v18, v16, v17
	v_add_f32_e32 v3, v3, v15
	v_add_f32_e32 v4, v4, v18
	s_or_b64 exec, exec, s[18:19]
	v_cmp_gt_u32_e64 s[18:19], 8, v8
	s_and_saveexec_b64 s[20:21], s[18:19]
	s_cbranch_execnz .LBB149_203
	s_branch .LBB149_204
.LBB149_1124:
	ds_read_b64 v[17:18], v15 offset:27520
	ds_read_b64 v[19:20], v16 offset:27048
	s_waitcnt lgkmcnt(0)
	v_mul_f32_e32 v21, v20, v18
	v_mul_f32_e32 v18, v19, v18
	v_fma_f32 v19, v19, v17, -v21
	v_fmac_f32_e32 v18, v20, v17
	v_add_f32_e32 v3, v3, v19
	v_add_f32_e32 v4, v4, v18
	s_or_b64 exec, exec, s[18:19]
	v_cmp_gt_u32_e64 s[14:15], 8, v8
	s_and_saveexec_b64 s[18:19], s[14:15]
	s_cbranch_execz .LBB149_260
.LBB149_1125:
	ds_read_b64 v[17:18], v15 offset:28032
	ds_read_b64 v[15:16], v16 offset:27056
	s_waitcnt lgkmcnt(0)
	v_mul_f32_e32 v19, v16, v18
	v_mul_f32_e32 v18, v15, v18
	v_fma_f32 v15, v15, v17, -v19
	v_fmac_f32_e32 v18, v16, v17
	v_add_f32_e32 v3, v3, v15
	v_add_f32_e32 v4, v4, v18
	s_or_b64 exec, exec, s[18:19]
	v_cmp_gt_u32_e64 s[14:15], 4, v8
	s_and_saveexec_b64 s[18:19], s[14:15]
	s_cbranch_execnz .LBB149_261
	s_branch .LBB149_262
.LBB149_1126:
	ds_read_b64 v[20:21], v18 offset:30464
	ds_read_b64 v[22:23], v19 offset:25048
	s_waitcnt lgkmcnt(0)
	v_mul_f32_e32 v24, v23, v21
	v_mul_f32_e32 v21, v22, v21
	v_fma_f32 v22, v22, v20, -v24
	v_fmac_f32_e32 v21, v23, v20
	v_add_f32_e32 v3, v3, v22
	v_add_f32_e32 v4, v4, v21
	s_or_b64 exec, exec, s[24:25]
	s_and_saveexec_b64 s[20:21], s[12:13]
	s_cbranch_execz .LBB149_322
.LBB149_1127:
	ds_read_b64 v[20:21], v18 offset:30976
	ds_read_b64 v[22:23], v19 offset:25056
	s_waitcnt lgkmcnt(0)
	v_mul_f32_e32 v24, v23, v21
	v_mul_f32_e32 v21, v22, v21
	v_fma_f32 v22, v22, v20, -v24
	v_fmac_f32_e32 v21, v23, v20
	v_add_f32_e32 v3, v3, v22
	v_add_f32_e32 v4, v4, v21
	s_or_b64 exec, exec, s[20:21]
	v_cmp_gt_u32_e64 s[20:21], 48, v8
	s_and_saveexec_b64 s[24:25], s[20:21]
	s_cbranch_execz .LBB149_323
.LBB149_1128:
	ds_read_b64 v[20:21], v18 offset:31488
	ds_read_b64 v[22:23], v19 offset:25064
	s_waitcnt lgkmcnt(0)
	v_mul_f32_e32 v24, v23, v21
	v_mul_f32_e32 v21, v22, v21
	v_fma_f32 v22, v22, v20, -v24
	v_fmac_f32_e32 v21, v23, v20
	v_add_f32_e32 v3, v3, v22
	v_add_f32_e32 v4, v4, v21
	s_or_b64 exec, exec, s[24:25]
	v_cmp_gt_u32_e64 s[20:21], 32, v8
	s_and_saveexec_b64 s[24:25], s[20:21]
	s_cbranch_execz .LBB149_324
.LBB149_1129:
	ds_read_b64 v[20:21], v18 offset:32000
	ds_read_b64 v[18:19], v19 offset:25072
	s_waitcnt lgkmcnt(0)
	v_mul_f32_e32 v22, v19, v21
	v_mul_f32_e32 v21, v18, v21
	v_fma_f32 v18, v18, v20, -v22
	v_fmac_f32_e32 v21, v19, v20
	v_add_f32_e32 v3, v3, v18
	v_add_f32_e32 v4, v4, v21
	s_or_b64 exec, exec, s[24:25]
	v_cmp_gt_u32_e64 s[20:21], 16, v8
	s_and_saveexec_b64 s[24:25], s[20:21]
	s_cbranch_execnz .LBB149_325
	s_branch .LBB149_326
.LBB149_1130:
	ds_read_b64 v[20:21], v18 offset:23360
	ds_read_b64 v[22:23], v19 offset:22888
	s_waitcnt lgkmcnt(0)
	v_mul_f32_e32 v24, v23, v21
	v_mul_f32_e32 v21, v22, v21
	v_fma_f32 v22, v22, v20, -v24
	v_fmac_f32_e32 v21, v23, v20
	v_add_f32_e32 v3, v3, v22
	v_add_f32_e32 v4, v4, v21
	s_or_b64 exec, exec, s[24:25]
	v_cmp_gt_u32_e64 s[18:19], 8, v8
	s_and_saveexec_b64 s[24:25], s[18:19]
	s_cbranch_execz .LBB149_414
.LBB149_1131:
	ds_read_b64 v[20:21], v18 offset:23872
	ds_read_b64 v[18:19], v19 offset:22896
	s_waitcnt lgkmcnt(0)
	v_mul_f32_e32 v22, v19, v21
	v_mul_f32_e32 v21, v18, v21
	v_fma_f32 v18, v18, v20, -v22
	v_fmac_f32_e32 v21, v19, v20
	v_add_f32_e32 v3, v3, v18
	v_add_f32_e32 v4, v4, v21
	s_or_b64 exec, exec, s[24:25]
	v_cmp_gt_u32_e64 s[18:19], 4, v8
	s_and_saveexec_b64 s[24:25], s[18:19]
	s_cbranch_execnz .LBB149_415
	s_branch .LBB149_416
.LBB149_1132:
	ds_read_b64 v[20:21], v18 offset:21248
	ds_read_b64 v[22:23], v19 offset:20808
	s_waitcnt lgkmcnt(0)
	v_mul_f32_e32 v24, v23, v21
	v_mul_f32_e32 v21, v22, v21
	v_fma_f32 v22, v22, v20, -v24
	v_fmac_f32_e32 v21, v23, v20
	v_add_f32_e32 v3, v3, v22
	v_add_f32_e32 v4, v4, v21
	s_or_b64 exec, exec, s[24:25]
	v_cmp_gt_u32_e64 s[18:19], 48, v8
	s_and_saveexec_b64 s[24:25], s[18:19]
	s_cbranch_execz .LBB149_456
.LBB149_1133:
	ds_read_b64 v[20:21], v18 offset:21760
	ds_read_b64 v[22:23], v19 offset:20816
	s_waitcnt lgkmcnt(0)
	v_mul_f32_e32 v24, v23, v21
	v_mul_f32_e32 v21, v22, v21
	v_fma_f32 v22, v22, v20, -v24
	v_fmac_f32_e32 v21, v23, v20
	v_add_f32_e32 v3, v3, v22
	v_add_f32_e32 v4, v4, v21
	s_or_b64 exec, exec, s[24:25]
	v_cmp_gt_u32_e64 s[18:19], 40, v8
	s_and_saveexec_b64 s[24:25], s[18:19]
	s_cbranch_execz .LBB149_457
.LBB149_1134:
	ds_read_b64 v[20:21], v18 offset:22272
	ds_read_b64 v[22:23], v19 offset:20824
	s_waitcnt lgkmcnt(0)
	v_mul_f32_e32 v24, v23, v21
	v_mul_f32_e32 v21, v22, v21
	v_fma_f32 v22, v22, v20, -v24
	v_fmac_f32_e32 v21, v23, v20
	v_add_f32_e32 v3, v3, v22
	v_add_f32_e32 v4, v4, v21
	s_or_b64 exec, exec, s[24:25]
	v_cmp_gt_u32_e64 s[18:19], 32, v8
	s_and_saveexec_b64 s[24:25], s[18:19]
	s_cbranch_execz .LBB149_458
.LBB149_1135:
	ds_read_b64 v[20:21], v18 offset:22784
	ds_read_b64 v[22:23], v19 offset:20832
	s_waitcnt lgkmcnt(0)
	v_mul_f32_e32 v24, v23, v21
	v_mul_f32_e32 v21, v22, v21
	v_fma_f32 v22, v22, v20, -v24
	v_fmac_f32_e32 v21, v23, v20
	v_add_f32_e32 v3, v3, v22
	v_add_f32_e32 v4, v4, v21
	s_or_b64 exec, exec, s[24:25]
	v_cmp_gt_u32_e64 s[18:19], 24, v8
	s_and_saveexec_b64 s[24:25], s[18:19]
	s_cbranch_execz .LBB149_459
.LBB149_1136:
	ds_read_b64 v[20:21], v18 offset:23296
	ds_read_b64 v[22:23], v19 offset:20840
	s_waitcnt lgkmcnt(0)
	v_mul_f32_e32 v24, v23, v21
	v_mul_f32_e32 v21, v22, v21
	v_fma_f32 v22, v22, v20, -v24
	v_fmac_f32_e32 v21, v23, v20
	v_add_f32_e32 v3, v3, v22
	v_add_f32_e32 v4, v4, v21
	s_or_b64 exec, exec, s[24:25]
	s_and_saveexec_b64 s[18:19], s[10:11]
	s_cbranch_execz .LBB149_460
.LBB149_1137:
	ds_read_b64 v[20:21], v18 offset:23808
	ds_read_b64 v[18:19], v19 offset:20848
	s_waitcnt lgkmcnt(0)
	v_mul_f32_e32 v22, v19, v21
	v_mul_f32_e32 v21, v18, v21
	v_fma_f32 v18, v18, v20, -v22
	v_fmac_f32_e32 v21, v19, v20
	v_add_f32_e32 v3, v3, v18
	v_add_f32_e32 v4, v4, v21
	s_or_b64 exec, exec, s[18:19]
	v_cmp_gt_u32_e64 s[18:19], 8, v8
	s_and_saveexec_b64 s[24:25], s[18:19]
	s_cbranch_execnz .LBB149_461
	s_branch .LBB149_462
.LBB149_1138:
	ds_read_b64 v[20:21], v18 offset:19200
	ds_read_b64 v[22:23], v19 offset:18728
	s_waitcnt lgkmcnt(0)
	v_mul_f32_e32 v24, v23, v21
	v_mul_f32_e32 v21, v22, v21
	v_fma_f32 v22, v22, v20, -v24
	v_fmac_f32_e32 v21, v23, v20
	v_add_f32_e32 v3, v3, v22
	v_add_f32_e32 v4, v4, v21
	s_or_b64 exec, exec, s[24:25]
	v_cmp_gt_u32_e64 s[18:19], 8, v8
	s_and_saveexec_b64 s[24:25], s[18:19]
	s_cbranch_execz .LBB149_518
.LBB149_1139:
	ds_read_b64 v[20:21], v18 offset:19712
	ds_read_b64 v[18:19], v19 offset:18736
	s_waitcnt lgkmcnt(0)
	v_mul_f32_e32 v22, v19, v21
	v_mul_f32_e32 v21, v18, v21
	v_fma_f32 v18, v18, v20, -v22
	v_fmac_f32_e32 v21, v19, v20
	v_add_f32_e32 v3, v3, v18
	v_add_f32_e32 v4, v4, v21
	s_or_b64 exec, exec, s[24:25]
	v_cmp_gt_u32_e64 s[18:19], 4, v8
	s_and_saveexec_b64 s[24:25], s[18:19]
	s_cbranch_execnz .LBB149_519
	s_branch .LBB149_520
.LBB149_1140:
	ds_read_b64 v[23:24], v21 offset:31232
	ds_read_b64 v[25:26], v22 offset:16872
	s_waitcnt lgkmcnt(0)
	v_mul_f32_e32 v27, v26, v24
	v_mul_f32_e32 v24, v25, v24
	v_fma_f32 v25, v25, v23, -v27
	v_fmac_f32_e32 v24, v26, v23
	v_add_f32_e32 v3, v3, v25
	v_add_f32_e32 v4, v4, v24
	s_or_b64 exec, exec, s[40:41]
	s_and_saveexec_b64 s[24:25], s[12:13]
	s_cbranch_execz .LBB149_616
.LBB149_1141:
	ds_read_b64 v[23:24], v21 offset:31744
	ds_read_b64 v[25:26], v22 offset:16880
	s_waitcnt lgkmcnt(0)
	v_mul_f32_e32 v27, v26, v24
	v_mul_f32_e32 v24, v25, v24
	v_fma_f32 v25, v25, v23, -v27
	v_fmac_f32_e32 v24, v26, v23
	v_add_f32_e32 v3, v3, v25
	v_add_f32_e32 v4, v4, v24
	s_or_b64 exec, exec, s[24:25]
	v_cmp_gt_u32_e64 s[24:25], 32, v8
	s_and_saveexec_b64 s[40:41], s[24:25]
	s_cbranch_execnz .LBB149_617
	s_branch .LBB149_618
.LBB149_1142:
	ds_read_b64 v[20:21], v18 offset:15040
	ds_read_b64 v[22:23], v19 offset:14568
	s_waitcnt lgkmcnt(0)
	v_mul_f32_e32 v24, v23, v21
	v_mul_f32_e32 v21, v22, v21
	v_fma_f32 v22, v22, v20, -v24
	v_fmac_f32_e32 v21, v23, v20
	v_add_f32_e32 v3, v3, v22
	v_add_f32_e32 v4, v4, v21
	s_or_b64 exec, exec, s[20:21]
	v_cmp_gt_u32_e64 s[16:17], 8, v8
	s_and_saveexec_b64 s[20:21], s[16:17]
	s_cbranch_execz .LBB149_654
.LBB149_1143:
	ds_read_b64 v[20:21], v18 offset:15552
	ds_read_b64 v[18:19], v19 offset:14576
	s_waitcnt lgkmcnt(0)
	v_mul_f32_e32 v22, v19, v21
	v_mul_f32_e32 v21, v18, v21
	v_fma_f32 v18, v18, v20, -v22
	v_fmac_f32_e32 v21, v19, v20
	v_add_f32_e32 v3, v3, v18
	v_add_f32_e32 v4, v4, v21
	s_or_b64 exec, exec, s[20:21]
	v_cmp_gt_u32_e64 s[16:17], 4, v8
	s_and_saveexec_b64 s[20:21], s[16:17]
	s_cbranch_execnz .LBB149_655
	s_branch .LBB149_656
.LBB149_1144:
	ds_read_b64 v[20:21], v18 offset:12928
	ds_read_b64 v[22:23], v19 offset:12488
	s_waitcnt lgkmcnt(0)
	v_mul_f32_e32 v24, v23, v21
	v_mul_f32_e32 v21, v22, v21
	v_fma_f32 v22, v22, v20, -v24
	v_fmac_f32_e32 v21, v23, v20
	v_add_f32_e32 v3, v3, v22
	v_add_f32_e32 v4, v4, v21
	s_or_b64 exec, exec, s[20:21]
	v_cmp_gt_u32_e64 s[16:17], 48, v8
	s_and_saveexec_b64 s[20:21], s[16:17]
	s_cbranch_execz .LBB149_696
.LBB149_1145:
	ds_read_b64 v[20:21], v18 offset:13440
	ds_read_b64 v[22:23], v19 offset:12496
	s_waitcnt lgkmcnt(0)
	v_mul_f32_e32 v24, v23, v21
	v_mul_f32_e32 v21, v22, v21
	v_fma_f32 v22, v22, v20, -v24
	v_fmac_f32_e32 v21, v23, v20
	v_add_f32_e32 v3, v3, v22
	v_add_f32_e32 v4, v4, v21
	s_or_b64 exec, exec, s[20:21]
	v_cmp_gt_u32_e64 s[16:17], 40, v8
	s_and_saveexec_b64 s[20:21], s[16:17]
	s_cbranch_execz .LBB149_697
.LBB149_1146:
	ds_read_b64 v[20:21], v18 offset:13952
	ds_read_b64 v[22:23], v19 offset:12504
	s_waitcnt lgkmcnt(0)
	v_mul_f32_e32 v24, v23, v21
	v_mul_f32_e32 v21, v22, v21
	v_fma_f32 v22, v22, v20, -v24
	v_fmac_f32_e32 v21, v23, v20
	v_add_f32_e32 v3, v3, v22
	v_add_f32_e32 v4, v4, v21
	s_or_b64 exec, exec, s[20:21]
	v_cmp_gt_u32_e64 s[16:17], 32, v8
	s_and_saveexec_b64 s[20:21], s[16:17]
	s_cbranch_execz .LBB149_698
.LBB149_1147:
	ds_read_b64 v[20:21], v18 offset:14464
	ds_read_b64 v[22:23], v19 offset:12512
	s_waitcnt lgkmcnt(0)
	v_mul_f32_e32 v24, v23, v21
	v_mul_f32_e32 v21, v22, v21
	v_fma_f32 v22, v22, v20, -v24
	v_fmac_f32_e32 v21, v23, v20
	v_add_f32_e32 v3, v3, v22
	v_add_f32_e32 v4, v4, v21
	s_or_b64 exec, exec, s[20:21]
	v_cmp_gt_u32_e64 s[16:17], 24, v8
	s_and_saveexec_b64 s[20:21], s[16:17]
	s_cbranch_execz .LBB149_699
.LBB149_1148:
	ds_read_b64 v[20:21], v18 offset:14976
	ds_read_b64 v[22:23], v19 offset:12520
	s_waitcnt lgkmcnt(0)
	v_mul_f32_e32 v24, v23, v21
	v_mul_f32_e32 v21, v22, v21
	v_fma_f32 v22, v22, v20, -v24
	v_fmac_f32_e32 v21, v23, v20
	v_add_f32_e32 v3, v3, v22
	v_add_f32_e32 v4, v4, v21
	s_or_b64 exec, exec, s[20:21]
	s_and_saveexec_b64 s[16:17], s[10:11]
	s_cbranch_execz .LBB149_700
.LBB149_1149:
	ds_read_b64 v[20:21], v18 offset:15488
	ds_read_b64 v[18:19], v19 offset:12528
	s_waitcnt lgkmcnt(0)
	v_mul_f32_e32 v22, v19, v21
	v_mul_f32_e32 v21, v18, v21
	v_fma_f32 v18, v18, v20, -v22
	v_fmac_f32_e32 v21, v19, v20
	v_add_f32_e32 v3, v3, v18
	v_add_f32_e32 v4, v4, v21
	s_or_b64 exec, exec, s[16:17]
	v_cmp_gt_u32_e64 s[16:17], 8, v8
	s_and_saveexec_b64 s[20:21], s[16:17]
	s_cbranch_execnz .LBB149_701
	s_branch .LBB149_702
.LBB149_1150:
	ds_read_b64 v[20:21], v18 offset:10880
	ds_read_b64 v[22:23], v19 offset:10408
	s_waitcnt lgkmcnt(0)
	v_mul_f32_e32 v24, v23, v21
	v_mul_f32_e32 v21, v22, v21
	v_fma_f32 v22, v22, v20, -v24
	v_fmac_f32_e32 v21, v23, v20
	v_add_f32_e32 v3, v3, v22
	v_add_f32_e32 v4, v4, v21
	s_or_b64 exec, exec, s[20:21]
	v_cmp_gt_u32_e64 s[16:17], 8, v8
	s_and_saveexec_b64 s[20:21], s[16:17]
	s_cbranch_execz .LBB149_758
.LBB149_1151:
	ds_read_b64 v[20:21], v18 offset:11392
	ds_read_b64 v[18:19], v19 offset:10416
	s_waitcnt lgkmcnt(0)
	v_mul_f32_e32 v22, v19, v21
	v_mul_f32_e32 v21, v18, v21
	v_fma_f32 v18, v18, v20, -v22
	v_fmac_f32_e32 v21, v19, v20
	v_add_f32_e32 v3, v3, v18
	v_add_f32_e32 v4, v4, v21
	s_or_b64 exec, exec, s[20:21]
	v_cmp_gt_u32_e64 s[16:17], 4, v8
	s_and_saveexec_b64 s[20:21], s[16:17]
	s_cbranch_execnz .LBB149_759
	s_branch .LBB149_760
.LBB149_1152:
	ds_read_b64 v[20:21], v18 offset:13824
	ds_read_b64 v[22:23], v19 offset:8408
	s_waitcnt lgkmcnt(0)
	v_mul_f32_e32 v24, v23, v21
	v_mul_f32_e32 v21, v22, v21
	v_fma_f32 v22, v22, v20, -v24
	v_fmac_f32_e32 v21, v23, v20
	v_add_f32_e32 v3, v3, v22
	v_add_f32_e32 v4, v4, v21
	s_or_b64 exec, exec, s[20:21]
	s_and_saveexec_b64 s[16:17], s[12:13]
	s_cbranch_execz .LBB149_820
.LBB149_1153:
	ds_read_b64 v[20:21], v18 offset:14336
	ds_read_b64 v[22:23], v19 offset:8416
	s_waitcnt lgkmcnt(0)
	v_mul_f32_e32 v24, v23, v21
	v_mul_f32_e32 v21, v22, v21
	v_fma_f32 v22, v22, v20, -v24
	v_fmac_f32_e32 v21, v23, v20
	v_add_f32_e32 v3, v3, v22
	v_add_f32_e32 v4, v4, v21
	s_or_b64 exec, exec, s[16:17]
	v_cmp_gt_u32_e64 s[16:17], 48, v8
	s_and_saveexec_b64 s[20:21], s[16:17]
	s_cbranch_execz .LBB149_821
.LBB149_1154:
	ds_read_b64 v[20:21], v18 offset:14848
	ds_read_b64 v[22:23], v19 offset:8424
	s_waitcnt lgkmcnt(0)
	v_mul_f32_e32 v24, v23, v21
	v_mul_f32_e32 v21, v22, v21
	v_fma_f32 v22, v22, v20, -v24
	v_fmac_f32_e32 v21, v23, v20
	v_add_f32_e32 v3, v3, v22
	v_add_f32_e32 v4, v4, v21
	s_or_b64 exec, exec, s[20:21]
	v_cmp_gt_u32_e64 s[16:17], 32, v8
	s_and_saveexec_b64 s[20:21], s[16:17]
	s_cbranch_execz .LBB149_822
.LBB149_1155:
	ds_read_b64 v[20:21], v18 offset:15360
	ds_read_b64 v[18:19], v19 offset:8432
	s_waitcnt lgkmcnt(0)
	v_mul_f32_e32 v22, v19, v21
	v_mul_f32_e32 v21, v18, v21
	v_fma_f32 v18, v18, v20, -v22
	v_fmac_f32_e32 v21, v19, v20
	v_add_f32_e32 v3, v3, v18
	v_add_f32_e32 v4, v4, v21
	s_or_b64 exec, exec, s[20:21]
	v_cmp_gt_u32_e64 s[16:17], 16, v8
	s_and_saveexec_b64 s[20:21], s[16:17]
	s_cbranch_execnz .LBB149_823
	s_branch .LBB149_824
.LBB149_1156:
	ds_read_b64 v[17:18], v15 offset:6720
	ds_read_b64 v[19:20], v16 offset:6248
	s_waitcnt lgkmcnt(0)
	v_mul_f32_e32 v21, v20, v18
	v_mul_f32_e32 v18, v19, v18
	v_fma_f32 v19, v19, v17, -v21
	v_fmac_f32_e32 v18, v20, v17
	v_add_f32_e32 v3, v3, v19
	v_add_f32_e32 v4, v4, v18
	s_or_b64 exec, exec, s[16:17]
	v_cmp_gt_u32_e64 s[14:15], 8, v8
	s_and_saveexec_b64 s[16:17], s[14:15]
	s_cbranch_execz .LBB149_912
.LBB149_1157:
	ds_read_b64 v[17:18], v15 offset:7232
	ds_read_b64 v[15:16], v16 offset:6256
	s_waitcnt lgkmcnt(0)
	v_mul_f32_e32 v19, v16, v18
	v_mul_f32_e32 v18, v15, v18
	v_fma_f32 v15, v15, v17, -v19
	v_fmac_f32_e32 v18, v16, v17
	v_add_f32_e32 v3, v3, v15
	v_add_f32_e32 v4, v4, v18
	s_or_b64 exec, exec, s[16:17]
	v_cmp_gt_u32_e64 s[14:15], 4, v8
	s_and_saveexec_b64 s[16:17], s[14:15]
	s_cbranch_execnz .LBB149_913
	s_branch .LBB149_914
.LBB149_1158:
	ds_read_b64 v[17:18], v15 offset:4608
	ds_read_b64 v[19:20], v16 offset:4168
	s_waitcnt lgkmcnt(0)
	v_mul_f32_e32 v21, v20, v18
	v_mul_f32_e32 v18, v19, v18
	v_fma_f32 v19, v19, v17, -v21
	v_fmac_f32_e32 v18, v20, v17
	v_add_f32_e32 v3, v3, v19
	v_add_f32_e32 v4, v4, v18
	s_or_b64 exec, exec, s[16:17]
	v_cmp_gt_u32_e64 s[14:15], 48, v8
	s_and_saveexec_b64 s[16:17], s[14:15]
	s_cbranch_execz .LBB149_954
.LBB149_1159:
	ds_read_b64 v[17:18], v15 offset:5120
	ds_read_b64 v[19:20], v16 offset:4176
	s_waitcnt lgkmcnt(0)
	v_mul_f32_e32 v21, v20, v18
	v_mul_f32_e32 v18, v19, v18
	v_fma_f32 v19, v19, v17, -v21
	v_fmac_f32_e32 v18, v20, v17
	v_add_f32_e32 v3, v3, v19
	v_add_f32_e32 v4, v4, v18
	s_or_b64 exec, exec, s[16:17]
	v_cmp_gt_u32_e64 s[14:15], 40, v8
	s_and_saveexec_b64 s[16:17], s[14:15]
	s_cbranch_execz .LBB149_955
.LBB149_1160:
	ds_read_b64 v[17:18], v15 offset:5632
	ds_read_b64 v[19:20], v16 offset:4184
	s_waitcnt lgkmcnt(0)
	v_mul_f32_e32 v21, v20, v18
	v_mul_f32_e32 v18, v19, v18
	v_fma_f32 v19, v19, v17, -v21
	v_fmac_f32_e32 v18, v20, v17
	v_add_f32_e32 v3, v3, v19
	v_add_f32_e32 v4, v4, v18
	s_or_b64 exec, exec, s[16:17]
	v_cmp_gt_u32_e64 s[14:15], 32, v8
	s_and_saveexec_b64 s[16:17], s[14:15]
	s_cbranch_execz .LBB149_956
.LBB149_1161:
	ds_read_b64 v[17:18], v15 offset:6144
	ds_read_b64 v[19:20], v16 offset:4192
	s_waitcnt lgkmcnt(0)
	v_mul_f32_e32 v21, v20, v18
	v_mul_f32_e32 v18, v19, v18
	v_fma_f32 v19, v19, v17, -v21
	v_fmac_f32_e32 v18, v20, v17
	v_add_f32_e32 v3, v3, v19
	v_add_f32_e32 v4, v4, v18
	s_or_b64 exec, exec, s[16:17]
	v_cmp_gt_u32_e64 s[14:15], 24, v8
	s_and_saveexec_b64 s[16:17], s[14:15]
	s_cbranch_execz .LBB149_957
.LBB149_1162:
	ds_read_b64 v[17:18], v15 offset:6656
	ds_read_b64 v[19:20], v16 offset:4200
	s_waitcnt lgkmcnt(0)
	v_mul_f32_e32 v21, v20, v18
	v_mul_f32_e32 v18, v19, v18
	v_fma_f32 v19, v19, v17, -v21
	v_fmac_f32_e32 v18, v20, v17
	v_add_f32_e32 v3, v3, v19
	v_add_f32_e32 v4, v4, v18
	s_or_b64 exec, exec, s[16:17]
	s_and_saveexec_b64 s[14:15], s[10:11]
	s_cbranch_execz .LBB149_958
.LBB149_1163:
	ds_read_b64 v[17:18], v15 offset:7168
	ds_read_b64 v[15:16], v16 offset:4208
	s_waitcnt lgkmcnt(0)
	v_mul_f32_e32 v19, v16, v18
	v_mul_f32_e32 v18, v15, v18
	v_fma_f32 v15, v15, v17, -v19
	v_fmac_f32_e32 v18, v16, v17
	v_add_f32_e32 v3, v3, v15
	v_add_f32_e32 v4, v4, v18
	s_or_b64 exec, exec, s[14:15]
	v_cmp_gt_u32_e64 s[14:15], 8, v8
	s_and_saveexec_b64 s[16:17], s[14:15]
	s_cbranch_execnz .LBB149_959
	s_branch .LBB149_960
.LBB149_1164:
	ds_read_b64 v[14:15], v12 offset:2560
	ds_read_b64 v[16:17], v13 offset:2088
	s_waitcnt lgkmcnt(0)
	v_mul_f32_e32 v18, v17, v15
	v_mul_f32_e32 v15, v16, v15
	v_fma_f32 v16, v16, v14, -v18
	v_fmac_f32_e32 v15, v17, v14
	v_add_f32_e32 v3, v3, v16
	v_add_f32_e32 v4, v4, v15
	s_or_b64 exec, exec, s[14:15]
	v_cmp_gt_u32_e64 s[12:13], 8, v8
	s_and_saveexec_b64 s[14:15], s[12:13]
	s_cbranch_execz .LBB149_1016
.LBB149_1165:
	ds_read_b64 v[14:15], v12 offset:3072
	ds_read_b64 v[12:13], v13 offset:2096
	s_waitcnt lgkmcnt(0)
	v_mul_f32_e32 v16, v13, v15
	v_mul_f32_e32 v15, v12, v15
	v_fma_f32 v12, v12, v14, -v16
	v_fmac_f32_e32 v15, v13, v14
	v_add_f32_e32 v3, v3, v12
	v_add_f32_e32 v4, v4, v15
	s_or_b64 exec, exec, s[14:15]
	v_cmp_gt_u32_e64 s[12:13], 4, v8
	s_and_saveexec_b64 s[14:15], s[12:13]
	s_cbranch_execnz .LBB149_1017
	s_branch .LBB149_1018
	.section	.rodata,"a",@progbits
	.p2align	6, 0x0
	.amdhsa_kernel _ZL19rocblas_trsv_deviceILi64ELi16ELb0ELb1ELb0ELb0E19rocblas_complex_numIfEPKS1_PKS3_PKPS1_EviT7_lllT6_T8_lllPii
		.amdhsa_group_segment_fixed_size 41480
		.amdhsa_private_segment_fixed_size 48
		.amdhsa_kernarg_size 352
		.amdhsa_user_sgpr_count 8
		.amdhsa_user_sgpr_private_segment_buffer 1
		.amdhsa_user_sgpr_dispatch_ptr 0
		.amdhsa_user_sgpr_queue_ptr 0
		.amdhsa_user_sgpr_kernarg_segment_ptr 1
		.amdhsa_user_sgpr_dispatch_id 0
		.amdhsa_user_sgpr_flat_scratch_init 1
		.amdhsa_user_sgpr_private_segment_size 0
		.amdhsa_uses_dynamic_stack 0
		.amdhsa_system_sgpr_private_segment_wavefront_offset 1
		.amdhsa_system_sgpr_workgroup_id_x 1
		.amdhsa_system_sgpr_workgroup_id_y 0
		.amdhsa_system_sgpr_workgroup_id_z 1
		.amdhsa_system_sgpr_workgroup_info 0
		.amdhsa_system_vgpr_workitem_id 1
		.amdhsa_next_free_vgpr 49
		.amdhsa_next_free_sgpr 100
		.amdhsa_reserve_vcc 1
		.amdhsa_reserve_flat_scratch 1
		.amdhsa_float_round_mode_32 0
		.amdhsa_float_round_mode_16_64 0
		.amdhsa_float_denorm_mode_32 3
		.amdhsa_float_denorm_mode_16_64 3
		.amdhsa_dx10_clamp 1
		.amdhsa_ieee_mode 1
		.amdhsa_fp16_overflow 0
		.amdhsa_exception_fp_ieee_invalid_op 0
		.amdhsa_exception_fp_denorm_src 0
		.amdhsa_exception_fp_ieee_div_zero 0
		.amdhsa_exception_fp_ieee_overflow 0
		.amdhsa_exception_fp_ieee_underflow 0
		.amdhsa_exception_fp_ieee_inexact 0
		.amdhsa_exception_int_div_zero 0
	.end_amdhsa_kernel
	.section	.text._ZL19rocblas_trsv_deviceILi64ELi16ELb0ELb1ELb0ELb0E19rocblas_complex_numIfEPKS1_PKS3_PKPS1_EviT7_lllT6_T8_lllPii,"axG",@progbits,_ZL19rocblas_trsv_deviceILi64ELi16ELb0ELb1ELb0ELb0E19rocblas_complex_numIfEPKS1_PKS3_PKPS1_EviT7_lllT6_T8_lllPii,comdat
.Lfunc_end149:
	.size	_ZL19rocblas_trsv_deviceILi64ELi16ELb0ELb1ELb0ELb0E19rocblas_complex_numIfEPKS1_PKS3_PKPS1_EviT7_lllT6_T8_lllPii, .Lfunc_end149-_ZL19rocblas_trsv_deviceILi64ELi16ELb0ELb1ELb0ELb0E19rocblas_complex_numIfEPKS1_PKS3_PKPS1_EviT7_lllT6_T8_lllPii
                                        ; -- End function
	.set _ZL19rocblas_trsv_deviceILi64ELi16ELb0ELb1ELb0ELb0E19rocblas_complex_numIfEPKS1_PKS3_PKPS1_EviT7_lllT6_T8_lllPii.num_vgpr, 31
	.set _ZL19rocblas_trsv_deviceILi64ELi16ELb0ELb1ELb0ELb0E19rocblas_complex_numIfEPKS1_PKS3_PKPS1_EviT7_lllT6_T8_lllPii.num_agpr, 0
	.set _ZL19rocblas_trsv_deviceILi64ELi16ELb0ELb1ELb0ELb0E19rocblas_complex_numIfEPKS1_PKS3_PKPS1_EviT7_lllT6_T8_lllPii.numbered_sgpr, 100
	.set _ZL19rocblas_trsv_deviceILi64ELi16ELb0ELb1ELb0ELb0E19rocblas_complex_numIfEPKS1_PKS3_PKPS1_EviT7_lllT6_T8_lllPii.num_named_barrier, 0
	.set _ZL19rocblas_trsv_deviceILi64ELi16ELb0ELb1ELb0ELb0E19rocblas_complex_numIfEPKS1_PKS3_PKPS1_EviT7_lllT6_T8_lllPii.private_seg_size, 48
	.set _ZL19rocblas_trsv_deviceILi64ELi16ELb0ELb1ELb0ELb0E19rocblas_complex_numIfEPKS1_PKS3_PKPS1_EviT7_lllT6_T8_lllPii.uses_vcc, 1
	.set _ZL19rocblas_trsv_deviceILi64ELi16ELb0ELb1ELb0ELb0E19rocblas_complex_numIfEPKS1_PKS3_PKPS1_EviT7_lllT6_T8_lllPii.uses_flat_scratch, 1
	.set _ZL19rocblas_trsv_deviceILi64ELi16ELb0ELb1ELb0ELb0E19rocblas_complex_numIfEPKS1_PKS3_PKPS1_EviT7_lllT6_T8_lllPii.has_dyn_sized_stack, 0
	.set _ZL19rocblas_trsv_deviceILi64ELi16ELb0ELb1ELb0ELb0E19rocblas_complex_numIfEPKS1_PKS3_PKPS1_EviT7_lllT6_T8_lllPii.has_recursion, 0
	.set _ZL19rocblas_trsv_deviceILi64ELi16ELb0ELb1ELb0ELb0E19rocblas_complex_numIfEPKS1_PKS3_PKPS1_EviT7_lllT6_T8_lllPii.has_indirect_call, 0
	.section	.AMDGPU.csdata,"",@progbits
; Kernel info:
; codeLenInByte = 50452
; TotalNumSgprs: 106
; NumVgprs: 31
; ScratchSize: 48
; MemoryBound: 1
; FloatMode: 240
; IeeeMode: 1
; LDSByteSize: 41480 bytes/workgroup (compile time only)
; SGPRBlocks: 13
; VGPRBlocks: 12
; NumSGPRsForWavesPerEU: 106
; NumVGPRsForWavesPerEU: 49
; Occupancy: 4
; WaveLimiterHint : 1
; COMPUTE_PGM_RSRC2:SCRATCH_EN: 1
; COMPUTE_PGM_RSRC2:USER_SGPR: 8
; COMPUTE_PGM_RSRC2:TRAP_HANDLER: 0
; COMPUTE_PGM_RSRC2:TGID_X_EN: 1
; COMPUTE_PGM_RSRC2:TGID_Y_EN: 0
; COMPUTE_PGM_RSRC2:TGID_Z_EN: 1
; COMPUTE_PGM_RSRC2:TIDIG_COMP_CNT: 1
	.section	.text._ZL19rocblas_trsv_deviceILi64ELi16ELb0ELb1ELb1ELb0E19rocblas_complex_numIfEPKS1_PKS3_PKPS1_EviT7_lllT6_T8_lllPii,"axG",@progbits,_ZL19rocblas_trsv_deviceILi64ELi16ELb0ELb1ELb1ELb0E19rocblas_complex_numIfEPKS1_PKS3_PKPS1_EviT7_lllT6_T8_lllPii,comdat
	.globl	_ZL19rocblas_trsv_deviceILi64ELi16ELb0ELb1ELb1ELb0E19rocblas_complex_numIfEPKS1_PKS3_PKPS1_EviT7_lllT6_T8_lllPii ; -- Begin function _ZL19rocblas_trsv_deviceILi64ELi16ELb0ELb1ELb1ELb0E19rocblas_complex_numIfEPKS1_PKS3_PKPS1_EviT7_lllT6_T8_lllPii
	.p2align	8
	.type	_ZL19rocblas_trsv_deviceILi64ELi16ELb0ELb1ELb1ELb0E19rocblas_complex_numIfEPKS1_PKS3_PKPS1_EviT7_lllT6_T8_lllPii,@function
_ZL19rocblas_trsv_deviceILi64ELi16ELb0ELb1ELb1ELb0E19rocblas_complex_numIfEPKS1_PKS3_PKPS1_EviT7_lllT6_T8_lllPii: ; @_ZL19rocblas_trsv_deviceILi64ELi16ELb0ELb1ELb1ELb0E19rocblas_complex_numIfEPKS1_PKS3_PKPS1_EviT7_lllT6_T8_lllPii
; %bb.0:
	s_load_dwordx4 s[0:3], s[4:5], 0x8
	s_mov_b32 s28, s7
	s_mov_b32 s29, 0
	s_lshl_b64 s[8:9], s[28:29], 3
	v_mov_b32_e32 v2, v1
	s_waitcnt lgkmcnt(0)
	s_add_u32 s0, s0, s8
	s_addc_u32 s1, s1, s9
	s_load_dwordx2 s[10:11], s[0:1], 0x0
	s_load_dword s7, s[4:5], 0x0
	s_load_dwordx8 s[20:27], s[4:5], 0x28
	s_load_dwordx2 s[30:31], s[4:5], 0x18
	s_lshl_b64 s[0:1], s[2:3], 3
	s_waitcnt lgkmcnt(0)
	s_add_u32 s89, s10, s0
	s_addc_u32 s90, s11, s1
	s_add_u32 s0, s22, s8
	s_addc_u32 s1, s23, s9
	s_load_dwordx2 s[46:47], s[0:1], 0x0
	s_load_dwordx2 s[34:35], s[20:21], 0x0
	s_load_dword s91, s[4:5], 0x6c
	s_cmp_eq_u32 s6, 0
	s_cbranch_scc1 .LBB150_10
; %bb.1:
	s_lshl_b32 s33, s6, 6
	v_add_u32_e32 v1, s33, v0
	v_ashrrev_i32_e32 v3, 31, v1
	v_mul_lo_u32 v5, s30, v3
	v_mul_lo_u32 v6, s31, v1
	v_mad_u64_u32 v[3:4], s[0:1], s30, v1, 0
	v_add_u32_e32 v7, s33, v2
	v_subrev_u32_e32 v7, 64, v7
	v_add3_u32 v4, v4, v5, v6
	v_lshlrev_b64 v[3:4], 3, v[3:4]
	v_ashrrev_i32_e32 v8, 31, v7
	v_cmp_gt_i32_e32 vcc, s7, v1
	v_mov_b32_e32 v1, s90
	v_add_co_u32_e64 v5, s[0:1], s89, v3
	v_addc_co_u32_e64 v1, s[0:1], v1, v4, s[0:1]
	v_lshlrev_b64 v[3:4], 3, v[7:8]
	v_mov_b32_e32 v6, 0
	v_add_co_u32_e64 v11, s[0:1], v5, v3
	v_addc_co_u32_e64 v12, s[0:1], v1, v4, s[0:1]
	v_cmp_gt_i32_e64 s[0:1], s7, v7
	s_and_b64 s[2:3], s[0:1], vcc
	v_mov_b32_e32 v3, 0
	v_mov_b32_e32 v5, 0
	s_waitcnt lgkmcnt(0)
	s_barrier
	s_and_saveexec_b64 s[0:1], s[2:3]
	s_cbranch_execz .LBB150_3
; %bb.2:
	flat_load_dwordx2 v[5:6], v[11:12]
.LBB150_3:
	s_or_b64 exec, exec, s[0:1]
	v_add_u32_e32 v1, 16, v7
	v_cmp_gt_i32_e64 s[0:1], s7, v1
	s_and_b64 s[2:3], s[0:1], vcc
	v_mov_b32_e32 v4, 0
	s_waitcnt vmcnt(0) lgkmcnt(0)
	s_barrier
	s_and_saveexec_b64 s[0:1], s[2:3]
	s_cbranch_execz .LBB150_5
; %bb.4:
	flat_load_dwordx2 v[3:4], v[11:12] offset:128
.LBB150_5:
	s_or_b64 exec, exec, s[0:1]
	v_add_u32_e32 v1, 32, v7
	v_cmp_gt_i32_e64 s[0:1], s7, v1
	s_and_b64 s[2:3], s[0:1], vcc
	v_mov_b32_e32 v8, 0
	v_mov_b32_e32 v9, 0
	v_mov_b32_e32 v10, 0
	s_waitcnt vmcnt(0) lgkmcnt(0)
	s_barrier
	s_and_saveexec_b64 s[0:1], s[2:3]
	s_cbranch_execz .LBB150_7
; %bb.6:
	flat_load_dwordx2 v[9:10], v[11:12] offset:256
.LBB150_7:
	s_or_b64 exec, exec, s[0:1]
	v_add_u32_e32 v1, 48, v7
	v_cmp_gt_i32_e64 s[0:1], s7, v1
	s_and_b64 s[2:3], s[0:1], vcc
	v_mov_b32_e32 v7, 0
	s_waitcnt vmcnt(0) lgkmcnt(0)
	s_barrier
	s_and_saveexec_b64 s[0:1], s[2:3]
	s_cbranch_execz .LBB150_9
; %bb.8:
	flat_load_dwordx2 v[7:8], v[11:12] offset:384
.LBB150_9:
	s_or_b64 exec, exec, s[0:1]
	s_branch .LBB150_11
.LBB150_10:
                                        ; implicit-def: $vgpr8
                                        ; implicit-def: $vgpr10
                                        ; implicit-def: $vgpr4
                                        ; implicit-def: $vgpr6
	s_mov_b32 s33, s29
.LBB150_11:
	s_ashr_i32 s0, s7, 31
	s_lshr_b32 s0, s0, 26
	s_add_i32 s0, s7, s0
	s_andn2_b32 s0, s0, 63
	s_sub_i32 s88, s7, s0
	s_add_i32 s0, s7, -1
	s_ashr_i32 s1, s0, 31
	s_lshr_b32 s1, s1, 26
	s_add_i32 s0, s0, s1
	s_ashr_i32 s0, s0, 6
	s_cmp_eq_u32 s0, s6
	s_cselect_b64 s[0:1], -1, 0
	s_cmp_lg_u32 s88, 0
	s_cselect_b64 s[2:3], -1, 0
	s_and_b64 s[22:23], s[2:3], s[0:1]
	s_cmp_lt_i32 s6, 5
	s_cselect_b64 s[2:3], -1, 0
	s_or_b64 s[0:1], s[2:3], s[22:23]
	s_ashr_i32 s36, s33, 31
	s_add_u32 s10, s30, 1
	v_mov_b32_e32 v1, 0
	v_mov_b32_e32 v11, s33
	v_mad_u64_u32 v[11:12], s[8:9], s10, v11, v[0:1]
	s_addc_u32 s11, s31, 0
	s_mul_i32 s8, s10, s36
	s_mul_i32 s11, s11, s33
	v_lshlrev_b32_e32 v17, 6, v0
	s_add_i32 s8, s8, s11
	s_mov_b64 s[12:13], -1
	v_add_u32_e32 v12, s8, v12
	s_and_b64 vcc, exec, s[22:23]
	v_add_u32_e32 v18, v2, v17
	v_cmp_le_u32_e64 s[8:9], v2, v0
	v_lshl_add_u32 v1, v2, 6, v0
	s_cbranch_vccnz .LBB150_69
; %bb.12:
	v_mad_u64_u32 v[13:14], s[10:11], s30, v2, v[11:12]
	v_cndmask_b32_e64 v19, v1, v18, s[2:3]
	v_mad_u64_u32 v[14:15], s[10:11], s31, v2, v[14:15]
	s_and_saveexec_b64 s[2:3], s[8:9]
	s_xor_b64 s[2:3], exec, s[2:3]
	s_cbranch_execz .LBB150_24
; %bb.13:
	v_cmp_ne_u32_e32 vcc, v0, v2
	s_and_saveexec_b64 s[8:9], vcc
	s_xor_b64 s[8:9], exec, s[8:9]
	s_cbranch_execz .LBB150_17
; %bb.14:
	v_or_b32_e32 v13, v2, v0
	v_cmp_gt_u32_e32 vcc, 64, v13
	s_and_saveexec_b64 s[10:11], vcc
; %bb.15:
	v_mov_b32_e32 v13, 0
	v_lshlrev_b32_e32 v15, 3, v19
	v_mov_b32_e32 v14, v13
	ds_write_b64 v15, v[13:14]
; %bb.16:
	s_or_b64 exec, exec, s[10:11]
                                        ; implicit-def: $vgpr19
                                        ; implicit-def: $vgpr13_vgpr14
.LBB150_17:
	s_andn2_saveexec_b64 s[8:9], s[8:9]
	s_cbranch_execz .LBB150_23
; %bb.18:
	v_lshlrev_b64 v[13:14], 3, v[13:14]
	v_mov_b32_e32 v15, s90
	v_add_co_u32_e32 v13, vcc, s89, v13
	v_addc_co_u32_e32 v14, vcc, v15, v14, vcc
	flat_load_dwordx2 v[13:14], v[13:14]
                                        ; implicit-def: $vgpr15
	s_waitcnt vmcnt(0) lgkmcnt(0)
	v_cmp_ngt_f32_e64 s[10:11], |v13|, |v14|
	s_and_saveexec_b64 s[12:13], s[10:11]
	s_xor_b64 s[10:11], exec, s[12:13]
	s_cbranch_execz .LBB150_20
; %bb.19:
	v_div_scale_f32 v15, s[12:13], -v14, -v14, v13
	v_div_scale_f32 v16, vcc, v13, -v14, v13
	v_rcp_f32_e32 v20, v15
	v_fma_f32 v21, -v15, v20, 1.0
	v_fmac_f32_e32 v20, v21, v20
	v_mul_f32_e32 v21, v16, v20
	v_fma_f32 v22, -v15, v21, v16
	v_fmac_f32_e32 v21, v22, v20
	v_fma_f32 v15, -v15, v21, v16
	v_div_fmas_f32 v15, v15, v20, v21
	v_div_fixup_f32 v15, v15, -v14, v13
	v_fma_f32 v13, v13, v15, -v14
	v_div_scale_f32 v14, s[12:13], v13, v13, 1.0
	v_div_scale_f32 v16, vcc, 1.0, v13, 1.0
	v_rcp_f32_e32 v20, v14
	v_fma_f32 v21, -v14, v20, 1.0
	v_fmac_f32_e32 v20, v21, v20
	v_mul_f32_e32 v21, v16, v20
	v_fma_f32 v22, -v14, v21, v16
	v_fmac_f32_e32 v21, v22, v20
	v_fma_f32 v14, -v14, v21, v16
	v_div_fmas_f32 v14, v14, v20, v21
	v_div_fixup_f32 v13, v14, v13, 1.0
	v_mul_f32_e32 v15, v15, v13
	v_xor_b32_e32 v16, 0x80000000, v13
                                        ; implicit-def: $vgpr13_vgpr14
.LBB150_20:
	s_andn2_saveexec_b64 s[10:11], s[10:11]
	s_cbranch_execz .LBB150_22
; %bb.21:
	v_div_scale_f32 v15, s[12:13], v13, v13, -v14
	v_div_scale_f32 v16, vcc, -v14, v13, -v14
	v_rcp_f32_e32 v20, v15
	v_fma_f32 v21, -v15, v20, 1.0
	v_fmac_f32_e32 v20, v21, v20
	v_mul_f32_e32 v21, v16, v20
	v_fma_f32 v22, -v15, v21, v16
	v_fmac_f32_e32 v21, v22, v20
	v_fma_f32 v15, -v15, v21, v16
	v_div_fmas_f32 v15, v15, v20, v21
	v_div_fixup_f32 v16, v15, v13, -v14
	v_fma_f32 v13, -v14, v16, v13
	v_div_scale_f32 v14, s[12:13], v13, v13, 1.0
	v_div_scale_f32 v15, vcc, 1.0, v13, 1.0
	v_rcp_f32_e32 v20, v14
	v_fma_f32 v21, -v14, v20, 1.0
	v_fmac_f32_e32 v20, v21, v20
	v_mul_f32_e32 v21, v15, v20
	v_fma_f32 v22, -v14, v21, v15
	v_fmac_f32_e32 v21, v22, v20
	v_fma_f32 v14, -v14, v21, v15
	v_div_fmas_f32 v14, v14, v20, v21
	v_div_fixup_f32 v15, v14, v13, 1.0
	v_mul_f32_e64 v16, v16, -v15
.LBB150_22:
	s_or_b64 exec, exec, s[10:11]
	v_lshlrev_b32_e32 v13, 3, v19
	ds_write_b64 v13, v[15:16]
.LBB150_23:
	s_or_b64 exec, exec, s[8:9]
                                        ; implicit-def: $vgpr13_vgpr14
                                        ; implicit-def: $vgpr19
.LBB150_24:
	s_andn2_saveexec_b64 s[2:3], s[2:3]
	s_cbranch_execz .LBB150_26
; %bb.25:
	v_lshlrev_b64 v[13:14], 3, v[13:14]
	v_mov_b32_e32 v15, s90
	v_add_co_u32_e32 v13, vcc, s89, v13
	v_addc_co_u32_e32 v14, vcc, v15, v14, vcc
	flat_load_dwordx2 v[13:14], v[13:14]
	v_lshlrev_b32_e32 v15, 3, v19
	s_waitcnt vmcnt(0) lgkmcnt(0)
	v_xor_b32_e32 v13, 0x80000000, v13
	ds_write_b64 v15, v[13:14]
.LBB150_26:
	s_or_b64 exec, exec, s[2:3]
	v_add_u32_e32 v15, 16, v2
	v_mad_u64_u32 v[13:14], s[2:3], s30, v15, v[11:12]
	v_lshl_add_u32 v16, v15, 6, v0
	v_cmp_le_u32_e32 vcc, v15, v0
	v_mad_u64_u32 v[20:21], s[2:3], s31, v15, v[14:15]
	v_add_u32_e32 v14, v15, v17
	v_cndmask_b32_e64 v19, v16, v14, s[0:1]
	v_mov_b32_e32 v14, v20
	s_and_saveexec_b64 s[2:3], vcc
	s_xor_b64 s[2:3], exec, s[2:3]
	s_cbranch_execz .LBB150_38
; %bb.27:
	v_cmp_ne_u32_e32 vcc, v0, v15
	s_and_saveexec_b64 s[8:9], vcc
	s_xor_b64 s[8:9], exec, s[8:9]
	s_cbranch_execz .LBB150_31
; %bb.28:
	v_or_b32_e32 v13, v15, v0
	v_cmp_gt_u32_e32 vcc, 64, v13
	s_and_saveexec_b64 s[10:11], vcc
; %bb.29:
	v_mov_b32_e32 v13, 0
	v_lshlrev_b32_e32 v15, 3, v19
	v_mov_b32_e32 v14, v13
	ds_write_b64 v15, v[13:14]
; %bb.30:
	s_or_b64 exec, exec, s[10:11]
                                        ; implicit-def: $vgpr19
                                        ; implicit-def: $vgpr13_vgpr14
.LBB150_31:
	s_andn2_saveexec_b64 s[8:9], s[8:9]
	s_cbranch_execz .LBB150_37
; %bb.32:
	v_lshlrev_b64 v[13:14], 3, v[13:14]
	v_mov_b32_e32 v15, s90
	v_add_co_u32_e32 v13, vcc, s89, v13
	v_addc_co_u32_e32 v14, vcc, v15, v14, vcc
	flat_load_dwordx2 v[13:14], v[13:14]
                                        ; implicit-def: $vgpr15
	s_waitcnt vmcnt(0) lgkmcnt(0)
	v_cmp_ngt_f32_e64 s[10:11], |v13|, |v14|
	s_and_saveexec_b64 s[12:13], s[10:11]
	s_xor_b64 s[10:11], exec, s[12:13]
	s_cbranch_execz .LBB150_34
; %bb.33:
	v_div_scale_f32 v15, s[12:13], -v14, -v14, v13
	v_div_scale_f32 v16, vcc, v13, -v14, v13
	v_rcp_f32_e32 v20, v15
	v_fma_f32 v21, -v15, v20, 1.0
	v_fmac_f32_e32 v20, v21, v20
	v_mul_f32_e32 v21, v16, v20
	v_fma_f32 v22, -v15, v21, v16
	v_fmac_f32_e32 v21, v22, v20
	v_fma_f32 v15, -v15, v21, v16
	v_div_fmas_f32 v15, v15, v20, v21
	v_div_fixup_f32 v15, v15, -v14, v13
	v_fma_f32 v13, v13, v15, -v14
	v_div_scale_f32 v14, s[12:13], v13, v13, 1.0
	v_div_scale_f32 v16, vcc, 1.0, v13, 1.0
	v_rcp_f32_e32 v20, v14
	v_fma_f32 v21, -v14, v20, 1.0
	v_fmac_f32_e32 v20, v21, v20
	v_mul_f32_e32 v21, v16, v20
	v_fma_f32 v22, -v14, v21, v16
	v_fmac_f32_e32 v21, v22, v20
	v_fma_f32 v14, -v14, v21, v16
	v_div_fmas_f32 v14, v14, v20, v21
	v_div_fixup_f32 v13, v14, v13, 1.0
	v_mul_f32_e32 v15, v15, v13
	v_xor_b32_e32 v16, 0x80000000, v13
                                        ; implicit-def: $vgpr13_vgpr14
.LBB150_34:
	s_andn2_saveexec_b64 s[10:11], s[10:11]
	s_cbranch_execz .LBB150_36
; %bb.35:
	v_div_scale_f32 v15, s[12:13], v13, v13, -v14
	v_div_scale_f32 v16, vcc, -v14, v13, -v14
	v_rcp_f32_e32 v20, v15
	v_fma_f32 v21, -v15, v20, 1.0
	v_fmac_f32_e32 v20, v21, v20
	v_mul_f32_e32 v21, v16, v20
	v_fma_f32 v22, -v15, v21, v16
	v_fmac_f32_e32 v21, v22, v20
	v_fma_f32 v15, -v15, v21, v16
	v_div_fmas_f32 v15, v15, v20, v21
	v_div_fixup_f32 v16, v15, v13, -v14
	v_fma_f32 v13, -v14, v16, v13
	v_div_scale_f32 v14, s[12:13], v13, v13, 1.0
	v_div_scale_f32 v15, vcc, 1.0, v13, 1.0
	v_rcp_f32_e32 v20, v14
	v_fma_f32 v21, -v14, v20, 1.0
	v_fmac_f32_e32 v20, v21, v20
	v_mul_f32_e32 v21, v15, v20
	v_fma_f32 v22, -v14, v21, v15
	v_fmac_f32_e32 v21, v22, v20
	v_fma_f32 v14, -v14, v21, v15
	v_div_fmas_f32 v14, v14, v20, v21
	v_div_fixup_f32 v15, v14, v13, 1.0
	v_mul_f32_e64 v16, v16, -v15
.LBB150_36:
	s_or_b64 exec, exec, s[10:11]
	v_lshlrev_b32_e32 v13, 3, v19
	ds_write_b64 v13, v[15:16]
.LBB150_37:
	s_or_b64 exec, exec, s[8:9]
                                        ; implicit-def: $vgpr13_vgpr14
                                        ; implicit-def: $vgpr19
.LBB150_38:
	s_andn2_saveexec_b64 s[2:3], s[2:3]
	s_cbranch_execz .LBB150_40
; %bb.39:
	v_lshlrev_b64 v[13:14], 3, v[13:14]
	v_mov_b32_e32 v15, s90
	v_add_co_u32_e32 v13, vcc, s89, v13
	v_addc_co_u32_e32 v14, vcc, v15, v14, vcc
	flat_load_dwordx2 v[13:14], v[13:14]
	v_lshlrev_b32_e32 v15, 3, v19
	s_waitcnt vmcnt(0) lgkmcnt(0)
	v_xor_b32_e32 v13, 0x80000000, v13
	ds_write_b64 v15, v[13:14]
.LBB150_40:
	s_or_b64 exec, exec, s[2:3]
	v_add_u32_e32 v15, 32, v2
	v_mad_u64_u32 v[13:14], s[2:3], s30, v15, v[11:12]
	v_lshl_add_u32 v16, v15, 6, v0
	v_cmp_le_u32_e32 vcc, v15, v0
	v_mad_u64_u32 v[20:21], s[2:3], s31, v15, v[14:15]
	v_add_u32_e32 v14, v15, v17
	v_cndmask_b32_e64 v19, v16, v14, s[0:1]
	v_mov_b32_e32 v14, v20
	s_and_saveexec_b64 s[2:3], vcc
	s_xor_b64 s[2:3], exec, s[2:3]
	s_cbranch_execz .LBB150_52
; %bb.41:
	v_cmp_ne_u32_e32 vcc, v0, v15
	s_and_saveexec_b64 s[8:9], vcc
	s_xor_b64 s[8:9], exec, s[8:9]
	s_cbranch_execz .LBB150_45
; %bb.42:
	v_or_b32_e32 v13, v15, v0
	v_cmp_gt_u32_e32 vcc, 64, v13
	s_and_saveexec_b64 s[10:11], vcc
; %bb.43:
	v_mov_b32_e32 v13, 0
	v_lshlrev_b32_e32 v15, 3, v19
	v_mov_b32_e32 v14, v13
	ds_write_b64 v15, v[13:14]
; %bb.44:
	s_or_b64 exec, exec, s[10:11]
                                        ; implicit-def: $vgpr19
                                        ; implicit-def: $vgpr13_vgpr14
.LBB150_45:
	s_andn2_saveexec_b64 s[8:9], s[8:9]
	s_cbranch_execz .LBB150_51
; %bb.46:
	v_lshlrev_b64 v[13:14], 3, v[13:14]
	v_mov_b32_e32 v15, s90
	v_add_co_u32_e32 v13, vcc, s89, v13
	v_addc_co_u32_e32 v14, vcc, v15, v14, vcc
	flat_load_dwordx2 v[13:14], v[13:14]
                                        ; implicit-def: $vgpr15
	s_waitcnt vmcnt(0) lgkmcnt(0)
	v_cmp_ngt_f32_e64 s[10:11], |v13|, |v14|
	s_and_saveexec_b64 s[12:13], s[10:11]
	s_xor_b64 s[10:11], exec, s[12:13]
	s_cbranch_execz .LBB150_48
; %bb.47:
	v_div_scale_f32 v15, s[12:13], -v14, -v14, v13
	v_div_scale_f32 v16, vcc, v13, -v14, v13
	v_rcp_f32_e32 v20, v15
	v_fma_f32 v21, -v15, v20, 1.0
	v_fmac_f32_e32 v20, v21, v20
	v_mul_f32_e32 v21, v16, v20
	v_fma_f32 v22, -v15, v21, v16
	v_fmac_f32_e32 v21, v22, v20
	v_fma_f32 v15, -v15, v21, v16
	v_div_fmas_f32 v15, v15, v20, v21
	v_div_fixup_f32 v15, v15, -v14, v13
	v_fma_f32 v13, v13, v15, -v14
	v_div_scale_f32 v14, s[12:13], v13, v13, 1.0
	v_div_scale_f32 v16, vcc, 1.0, v13, 1.0
	v_rcp_f32_e32 v20, v14
	v_fma_f32 v21, -v14, v20, 1.0
	v_fmac_f32_e32 v20, v21, v20
	v_mul_f32_e32 v21, v16, v20
	v_fma_f32 v22, -v14, v21, v16
	v_fmac_f32_e32 v21, v22, v20
	v_fma_f32 v14, -v14, v21, v16
	v_div_fmas_f32 v14, v14, v20, v21
	v_div_fixup_f32 v13, v14, v13, 1.0
	v_mul_f32_e32 v15, v15, v13
	v_xor_b32_e32 v16, 0x80000000, v13
                                        ; implicit-def: $vgpr13_vgpr14
.LBB150_48:
	s_andn2_saveexec_b64 s[10:11], s[10:11]
	s_cbranch_execz .LBB150_50
; %bb.49:
	v_div_scale_f32 v15, s[12:13], v13, v13, -v14
	v_div_scale_f32 v16, vcc, -v14, v13, -v14
	v_rcp_f32_e32 v20, v15
	v_fma_f32 v21, -v15, v20, 1.0
	v_fmac_f32_e32 v20, v21, v20
	v_mul_f32_e32 v21, v16, v20
	v_fma_f32 v22, -v15, v21, v16
	v_fmac_f32_e32 v21, v22, v20
	v_fma_f32 v15, -v15, v21, v16
	v_div_fmas_f32 v15, v15, v20, v21
	v_div_fixup_f32 v16, v15, v13, -v14
	v_fma_f32 v13, -v14, v16, v13
	v_div_scale_f32 v14, s[12:13], v13, v13, 1.0
	v_div_scale_f32 v15, vcc, 1.0, v13, 1.0
	v_rcp_f32_e32 v20, v14
	v_fma_f32 v21, -v14, v20, 1.0
	v_fmac_f32_e32 v20, v21, v20
	v_mul_f32_e32 v21, v15, v20
	v_fma_f32 v22, -v14, v21, v15
	v_fmac_f32_e32 v21, v22, v20
	v_fma_f32 v14, -v14, v21, v15
	v_div_fmas_f32 v14, v14, v20, v21
	v_div_fixup_f32 v15, v14, v13, 1.0
	v_mul_f32_e64 v16, v16, -v15
.LBB150_50:
	s_or_b64 exec, exec, s[10:11]
	v_lshlrev_b32_e32 v13, 3, v19
	ds_write_b64 v13, v[15:16]
.LBB150_51:
	s_or_b64 exec, exec, s[8:9]
                                        ; implicit-def: $vgpr13_vgpr14
                                        ; implicit-def: $vgpr19
.LBB150_52:
	s_andn2_saveexec_b64 s[2:3], s[2:3]
	s_cbranch_execz .LBB150_54
; %bb.53:
	v_lshlrev_b64 v[13:14], 3, v[13:14]
	v_mov_b32_e32 v15, s90
	v_add_co_u32_e32 v13, vcc, s89, v13
	v_addc_co_u32_e32 v14, vcc, v15, v14, vcc
	flat_load_dwordx2 v[13:14], v[13:14]
	v_lshlrev_b32_e32 v15, 3, v19
	s_waitcnt vmcnt(0) lgkmcnt(0)
	v_xor_b32_e32 v13, 0x80000000, v13
	ds_write_b64 v15, v[13:14]
.LBB150_54:
	s_or_b64 exec, exec, s[2:3]
	v_add_u32_e32 v15, 48, v2
	v_mad_u64_u32 v[13:14], s[2:3], s30, v15, v[11:12]
	v_lshl_add_u32 v16, v15, 6, v0
	v_cmp_le_u32_e32 vcc, v15, v0
	v_mad_u64_u32 v[20:21], s[2:3], s31, v15, v[14:15]
	v_add_u32_e32 v14, v15, v17
	v_cndmask_b32_e64 v19, v16, v14, s[0:1]
	v_mov_b32_e32 v14, v20
	s_and_saveexec_b64 s[2:3], vcc
	s_xor_b64 s[2:3], exec, s[2:3]
	s_cbranch_execz .LBB150_66
; %bb.55:
	v_cmp_ne_u32_e32 vcc, v0, v15
	s_and_saveexec_b64 s[8:9], vcc
	s_xor_b64 s[8:9], exec, s[8:9]
	s_cbranch_execz .LBB150_59
; %bb.56:
	v_or_b32_e32 v13, v15, v0
	v_cmp_gt_u32_e32 vcc, 64, v13
	s_and_saveexec_b64 s[10:11], vcc
; %bb.57:
	v_mov_b32_e32 v13, 0
	v_lshlrev_b32_e32 v15, 3, v19
	v_mov_b32_e32 v14, v13
	ds_write_b64 v15, v[13:14]
; %bb.58:
	s_or_b64 exec, exec, s[10:11]
                                        ; implicit-def: $vgpr19
                                        ; implicit-def: $vgpr13_vgpr14
.LBB150_59:
	s_andn2_saveexec_b64 s[8:9], s[8:9]
	s_cbranch_execz .LBB150_65
; %bb.60:
	v_lshlrev_b64 v[13:14], 3, v[13:14]
	v_mov_b32_e32 v15, s90
	v_add_co_u32_e32 v13, vcc, s89, v13
	v_addc_co_u32_e32 v14, vcc, v15, v14, vcc
	flat_load_dwordx2 v[13:14], v[13:14]
                                        ; implicit-def: $vgpr15
	s_waitcnt vmcnt(0) lgkmcnt(0)
	v_cmp_ngt_f32_e64 s[10:11], |v13|, |v14|
	s_and_saveexec_b64 s[12:13], s[10:11]
	s_xor_b64 s[10:11], exec, s[12:13]
	s_cbranch_execz .LBB150_62
; %bb.61:
	v_div_scale_f32 v15, s[12:13], -v14, -v14, v13
	v_div_scale_f32 v16, vcc, v13, -v14, v13
	v_rcp_f32_e32 v20, v15
	v_fma_f32 v21, -v15, v20, 1.0
	v_fmac_f32_e32 v20, v21, v20
	v_mul_f32_e32 v21, v16, v20
	v_fma_f32 v22, -v15, v21, v16
	v_fmac_f32_e32 v21, v22, v20
	v_fma_f32 v15, -v15, v21, v16
	v_div_fmas_f32 v15, v15, v20, v21
	v_div_fixup_f32 v15, v15, -v14, v13
	v_fma_f32 v13, v13, v15, -v14
	v_div_scale_f32 v14, s[12:13], v13, v13, 1.0
	v_div_scale_f32 v16, vcc, 1.0, v13, 1.0
	v_rcp_f32_e32 v20, v14
	v_fma_f32 v21, -v14, v20, 1.0
	v_fmac_f32_e32 v20, v21, v20
	v_mul_f32_e32 v21, v16, v20
	v_fma_f32 v22, -v14, v21, v16
	v_fmac_f32_e32 v21, v22, v20
	v_fma_f32 v14, -v14, v21, v16
	v_div_fmas_f32 v14, v14, v20, v21
	v_div_fixup_f32 v13, v14, v13, 1.0
	v_mul_f32_e32 v15, v15, v13
	v_xor_b32_e32 v16, 0x80000000, v13
                                        ; implicit-def: $vgpr13_vgpr14
.LBB150_62:
	s_andn2_saveexec_b64 s[10:11], s[10:11]
	s_cbranch_execz .LBB150_64
; %bb.63:
	v_div_scale_f32 v15, s[12:13], v13, v13, -v14
	v_div_scale_f32 v16, vcc, -v14, v13, -v14
	v_rcp_f32_e32 v20, v15
	v_fma_f32 v21, -v15, v20, 1.0
	v_fmac_f32_e32 v20, v21, v20
	v_mul_f32_e32 v21, v16, v20
	v_fma_f32 v22, -v15, v21, v16
	v_fmac_f32_e32 v21, v22, v20
	v_fma_f32 v15, -v15, v21, v16
	v_div_fmas_f32 v15, v15, v20, v21
	v_div_fixup_f32 v16, v15, v13, -v14
	v_fma_f32 v13, -v14, v16, v13
	v_div_scale_f32 v14, s[12:13], v13, v13, 1.0
	v_div_scale_f32 v15, vcc, 1.0, v13, 1.0
	v_rcp_f32_e32 v20, v14
	v_fma_f32 v21, -v14, v20, 1.0
	v_fmac_f32_e32 v20, v21, v20
	v_mul_f32_e32 v21, v15, v20
	v_fma_f32 v22, -v14, v21, v15
	v_fmac_f32_e32 v21, v22, v20
	v_fma_f32 v14, -v14, v21, v15
	v_div_fmas_f32 v14, v14, v20, v21
	v_div_fixup_f32 v15, v14, v13, 1.0
	v_mul_f32_e64 v16, v16, -v15
.LBB150_64:
	s_or_b64 exec, exec, s[10:11]
	v_lshlrev_b32_e32 v13, 3, v19
	ds_write_b64 v13, v[15:16]
.LBB150_65:
	s_or_b64 exec, exec, s[8:9]
                                        ; implicit-def: $vgpr13_vgpr14
                                        ; implicit-def: $vgpr19
.LBB150_66:
	s_andn2_saveexec_b64 s[2:3], s[2:3]
	s_cbranch_execz .LBB150_68
; %bb.67:
	v_lshlrev_b64 v[13:14], 3, v[13:14]
	v_mov_b32_e32 v15, s90
	v_add_co_u32_e32 v13, vcc, s89, v13
	v_addc_co_u32_e32 v14, vcc, v15, v14, vcc
	flat_load_dwordx2 v[13:14], v[13:14]
	v_lshlrev_b32_e32 v15, 3, v19
	s_waitcnt vmcnt(0) lgkmcnt(0)
	v_xor_b32_e32 v13, 0x80000000, v13
	ds_write_b64 v15, v[13:14]
.LBB150_68:
	s_or_b64 exec, exec, s[2:3]
	s_mov_b64 s[12:13], 0
.LBB150_69:
	s_xor_b64 s[10:11], s[0:1], -1
	s_and_b64 vcc, exec, s[12:13]
	s_cbranch_vccz .LBB150_127
; %bb.70:
	v_mad_u64_u32 v[13:14], s[2:3], s30, v2, v[11:12]
	v_cmp_le_u32_e32 vcc, v2, v0
	v_cmp_gt_i32_e64 s[2:3], s88, v0
	v_mad_u64_u32 v[14:15], s[8:9], s31, v2, v[14:15]
	v_max_i32_e32 v15, v2, v0
	v_cmp_le_i32_e64 s[8:9], s88, v15
	s_or_b64 s[8:9], s[8:9], vcc
	s_and_saveexec_b64 s[12:13], s[8:9]
	s_xor_b64 s[8:9], exec, s[12:13]
	s_cbranch_execz .LBB150_82
; %bb.71:
	v_cmp_ne_u32_e32 vcc, v0, v2
	s_xor_b64 s[12:13], s[2:3], -1
	s_or_b64 s[12:13], s[12:13], vcc
	s_and_saveexec_b64 s[14:15], s[12:13]
	s_xor_b64 s[12:13], exec, s[14:15]
	s_cbranch_execz .LBB150_75
; %bb.72:
	v_or_b32_e32 v13, v2, v0
	v_cmp_gt_u32_e32 vcc, 64, v13
	s_and_saveexec_b64 s[14:15], vcc
; %bb.73:
	v_mov_b32_e32 v13, 0
	v_lshlrev_b32_e32 v15, 3, v18
	v_mov_b32_e32 v14, v13
	ds_write_b64 v15, v[13:14]
; %bb.74:
	s_or_b64 exec, exec, s[14:15]
                                        ; implicit-def: $vgpr18
                                        ; implicit-def: $vgpr13_vgpr14
.LBB150_75:
	s_andn2_saveexec_b64 s[12:13], s[12:13]
	s_cbranch_execz .LBB150_81
; %bb.76:
	v_lshlrev_b64 v[13:14], 3, v[13:14]
	v_mov_b32_e32 v15, s90
	v_add_co_u32_e32 v13, vcc, s89, v13
	v_addc_co_u32_e32 v14, vcc, v15, v14, vcc
	flat_load_dwordx2 v[13:14], v[13:14]
                                        ; implicit-def: $vgpr15
	s_waitcnt vmcnt(0) lgkmcnt(0)
	v_cmp_ngt_f32_e64 s[14:15], |v13|, |v14|
	s_and_saveexec_b64 s[16:17], s[14:15]
	s_xor_b64 s[14:15], exec, s[16:17]
	s_cbranch_execz .LBB150_78
; %bb.77:
	v_div_scale_f32 v15, s[16:17], -v14, -v14, v13
	v_div_scale_f32 v16, vcc, v13, -v14, v13
	v_rcp_f32_e32 v19, v15
	v_fma_f32 v20, -v15, v19, 1.0
	v_fmac_f32_e32 v19, v20, v19
	v_mul_f32_e32 v20, v16, v19
	v_fma_f32 v21, -v15, v20, v16
	v_fmac_f32_e32 v20, v21, v19
	v_fma_f32 v15, -v15, v20, v16
	v_div_fmas_f32 v15, v15, v19, v20
	v_div_fixup_f32 v15, v15, -v14, v13
	v_fma_f32 v13, v13, v15, -v14
	v_div_scale_f32 v14, s[16:17], v13, v13, 1.0
	v_div_scale_f32 v16, vcc, 1.0, v13, 1.0
	v_rcp_f32_e32 v19, v14
	v_fma_f32 v20, -v14, v19, 1.0
	v_fmac_f32_e32 v19, v20, v19
	v_mul_f32_e32 v20, v16, v19
	v_fma_f32 v21, -v14, v20, v16
	v_fmac_f32_e32 v20, v21, v19
	v_fma_f32 v14, -v14, v20, v16
	v_div_fmas_f32 v14, v14, v19, v20
	v_div_fixup_f32 v13, v14, v13, 1.0
	v_mul_f32_e32 v15, v15, v13
	v_xor_b32_e32 v16, 0x80000000, v13
                                        ; implicit-def: $vgpr13_vgpr14
.LBB150_78:
	s_andn2_saveexec_b64 s[14:15], s[14:15]
	s_cbranch_execz .LBB150_80
; %bb.79:
	v_div_scale_f32 v15, s[16:17], v13, v13, -v14
	v_div_scale_f32 v16, vcc, -v14, v13, -v14
	v_rcp_f32_e32 v19, v15
	v_fma_f32 v20, -v15, v19, 1.0
	v_fmac_f32_e32 v19, v20, v19
	v_mul_f32_e32 v20, v16, v19
	v_fma_f32 v21, -v15, v20, v16
	v_fmac_f32_e32 v20, v21, v19
	v_fma_f32 v15, -v15, v20, v16
	v_div_fmas_f32 v15, v15, v19, v20
	v_div_fixup_f32 v16, v15, v13, -v14
	v_fma_f32 v13, -v14, v16, v13
	v_div_scale_f32 v14, s[16:17], v13, v13, 1.0
	v_div_scale_f32 v15, vcc, 1.0, v13, 1.0
	v_rcp_f32_e32 v19, v14
	v_fma_f32 v20, -v14, v19, 1.0
	v_fmac_f32_e32 v19, v20, v19
	v_mul_f32_e32 v20, v15, v19
	v_fma_f32 v21, -v14, v20, v15
	v_fmac_f32_e32 v20, v21, v19
	v_fma_f32 v14, -v14, v20, v15
	v_div_fmas_f32 v14, v14, v19, v20
	v_div_fixup_f32 v15, v14, v13, 1.0
	v_mul_f32_e64 v16, v16, -v15
.LBB150_80:
	s_or_b64 exec, exec, s[14:15]
	v_lshlrev_b32_e32 v13, 3, v18
	ds_write_b64 v13, v[15:16]
.LBB150_81:
	s_or_b64 exec, exec, s[12:13]
                                        ; implicit-def: $vgpr13_vgpr14
                                        ; implicit-def: $vgpr18
.LBB150_82:
	s_andn2_saveexec_b64 s[8:9], s[8:9]
	s_cbranch_execz .LBB150_84
; %bb.83:
	v_lshlrev_b64 v[13:14], 3, v[13:14]
	v_mov_b32_e32 v15, s90
	v_add_co_u32_e32 v13, vcc, s89, v13
	v_addc_co_u32_e32 v14, vcc, v15, v14, vcc
	flat_load_dwordx2 v[13:14], v[13:14]
	v_lshlrev_b32_e32 v15, 3, v18
	s_waitcnt vmcnt(0) lgkmcnt(0)
	v_xor_b32_e32 v13, 0x80000000, v13
	ds_write_b64 v15, v[13:14]
.LBB150_84:
	s_or_b64 exec, exec, s[8:9]
	v_add_u32_e32 v15, 16, v2
	v_mad_u64_u32 v[13:14], s[8:9], s30, v15, v[11:12]
	v_cmp_gt_u32_e32 vcc, v15, v0
	v_add_u32_e32 v16, v15, v17
	v_mad_u64_u32 v[19:20], s[8:9], s31, v15, v[14:15]
	v_cmp_gt_i32_e64 s[8:9], s88, v15
	s_and_b64 s[8:9], vcc, s[8:9]
	v_lshl_add_u32 v14, v15, 6, v0
	s_and_b64 s[8:9], s[2:3], s[8:9]
	v_cndmask_b32_e64 v18, v14, v16, s[0:1]
	v_mov_b32_e32 v14, v19
	s_xor_b64 s[8:9], s[8:9], -1
	s_and_saveexec_b64 s[12:13], s[8:9]
	s_xor_b64 s[8:9], exec, s[12:13]
	s_cbranch_execz .LBB150_96
; %bb.85:
	v_cmp_ne_u32_e32 vcc, v0, v15
	s_xor_b64 s[12:13], s[2:3], -1
	s_or_b64 s[12:13], s[12:13], vcc
	s_and_saveexec_b64 s[14:15], s[12:13]
	s_xor_b64 s[12:13], exec, s[14:15]
	s_cbranch_execz .LBB150_89
; %bb.86:
	v_or_b32_e32 v13, v15, v0
	v_cmp_gt_u32_e32 vcc, 64, v13
	s_and_saveexec_b64 s[14:15], vcc
; %bb.87:
	v_mov_b32_e32 v13, 0
	v_lshlrev_b32_e32 v15, 3, v18
	v_mov_b32_e32 v14, v13
	ds_write_b64 v15, v[13:14]
; %bb.88:
	s_or_b64 exec, exec, s[14:15]
                                        ; implicit-def: $vgpr18
                                        ; implicit-def: $vgpr13_vgpr14
.LBB150_89:
	s_andn2_saveexec_b64 s[12:13], s[12:13]
	s_cbranch_execz .LBB150_95
; %bb.90:
	v_lshlrev_b64 v[13:14], 3, v[13:14]
	v_mov_b32_e32 v15, s90
	v_add_co_u32_e32 v13, vcc, s89, v13
	v_addc_co_u32_e32 v14, vcc, v15, v14, vcc
	flat_load_dwordx2 v[13:14], v[13:14]
                                        ; implicit-def: $vgpr15
	s_waitcnt vmcnt(0) lgkmcnt(0)
	v_cmp_ngt_f32_e64 s[14:15], |v13|, |v14|
	s_and_saveexec_b64 s[16:17], s[14:15]
	s_xor_b64 s[14:15], exec, s[16:17]
	s_cbranch_execz .LBB150_92
; %bb.91:
	v_div_scale_f32 v15, s[16:17], -v14, -v14, v13
	v_div_scale_f32 v16, vcc, v13, -v14, v13
	v_rcp_f32_e32 v19, v15
	v_fma_f32 v20, -v15, v19, 1.0
	v_fmac_f32_e32 v19, v20, v19
	v_mul_f32_e32 v20, v16, v19
	v_fma_f32 v21, -v15, v20, v16
	v_fmac_f32_e32 v20, v21, v19
	v_fma_f32 v15, -v15, v20, v16
	v_div_fmas_f32 v15, v15, v19, v20
	v_div_fixup_f32 v15, v15, -v14, v13
	v_fma_f32 v13, v13, v15, -v14
	v_div_scale_f32 v14, s[16:17], v13, v13, 1.0
	v_div_scale_f32 v16, vcc, 1.0, v13, 1.0
	v_rcp_f32_e32 v19, v14
	v_fma_f32 v20, -v14, v19, 1.0
	v_fmac_f32_e32 v19, v20, v19
	v_mul_f32_e32 v20, v16, v19
	v_fma_f32 v21, -v14, v20, v16
	v_fmac_f32_e32 v20, v21, v19
	v_fma_f32 v14, -v14, v20, v16
	v_div_fmas_f32 v14, v14, v19, v20
	v_div_fixup_f32 v13, v14, v13, 1.0
	v_mul_f32_e32 v15, v15, v13
	v_xor_b32_e32 v16, 0x80000000, v13
                                        ; implicit-def: $vgpr13_vgpr14
.LBB150_92:
	s_andn2_saveexec_b64 s[14:15], s[14:15]
	s_cbranch_execz .LBB150_94
; %bb.93:
	v_div_scale_f32 v15, s[16:17], v13, v13, -v14
	v_div_scale_f32 v16, vcc, -v14, v13, -v14
	v_rcp_f32_e32 v19, v15
	v_fma_f32 v20, -v15, v19, 1.0
	v_fmac_f32_e32 v19, v20, v19
	v_mul_f32_e32 v20, v16, v19
	v_fma_f32 v21, -v15, v20, v16
	v_fmac_f32_e32 v20, v21, v19
	v_fma_f32 v15, -v15, v20, v16
	v_div_fmas_f32 v15, v15, v19, v20
	v_div_fixup_f32 v16, v15, v13, -v14
	v_fma_f32 v13, -v14, v16, v13
	v_div_scale_f32 v14, s[16:17], v13, v13, 1.0
	v_div_scale_f32 v15, vcc, 1.0, v13, 1.0
	v_rcp_f32_e32 v19, v14
	v_fma_f32 v20, -v14, v19, 1.0
	v_fmac_f32_e32 v19, v20, v19
	v_mul_f32_e32 v20, v15, v19
	v_fma_f32 v21, -v14, v20, v15
	v_fmac_f32_e32 v20, v21, v19
	v_fma_f32 v14, -v14, v20, v15
	v_div_fmas_f32 v14, v14, v19, v20
	v_div_fixup_f32 v15, v14, v13, 1.0
	v_mul_f32_e64 v16, v16, -v15
.LBB150_94:
	s_or_b64 exec, exec, s[14:15]
	v_lshlrev_b32_e32 v13, 3, v18
	ds_write_b64 v13, v[15:16]
.LBB150_95:
	s_or_b64 exec, exec, s[12:13]
                                        ; implicit-def: $vgpr13_vgpr14
                                        ; implicit-def: $vgpr18
.LBB150_96:
	s_andn2_saveexec_b64 s[8:9], s[8:9]
	s_cbranch_execz .LBB150_98
; %bb.97:
	v_lshlrev_b64 v[13:14], 3, v[13:14]
	v_mov_b32_e32 v15, s90
	v_add_co_u32_e32 v13, vcc, s89, v13
	v_addc_co_u32_e32 v14, vcc, v15, v14, vcc
	flat_load_dwordx2 v[13:14], v[13:14]
	v_lshlrev_b32_e32 v15, 3, v18
	s_waitcnt vmcnt(0) lgkmcnt(0)
	v_xor_b32_e32 v13, 0x80000000, v13
	ds_write_b64 v15, v[13:14]
.LBB150_98:
	s_or_b64 exec, exec, s[8:9]
	v_add_u32_e32 v15, 32, v2
	v_mad_u64_u32 v[13:14], s[8:9], s30, v15, v[11:12]
	v_cmp_gt_u32_e32 vcc, v15, v0
	v_add_u32_e32 v16, v15, v17
	v_mad_u64_u32 v[19:20], s[8:9], s31, v15, v[14:15]
	v_cmp_gt_i32_e64 s[8:9], s88, v15
	s_and_b64 s[8:9], vcc, s[8:9]
	v_lshl_add_u32 v14, v15, 6, v0
	s_and_b64 s[8:9], s[2:3], s[8:9]
	v_cndmask_b32_e64 v18, v14, v16, s[0:1]
	v_mov_b32_e32 v14, v19
	s_xor_b64 s[8:9], s[8:9], -1
	s_and_saveexec_b64 s[12:13], s[8:9]
	s_xor_b64 s[8:9], exec, s[12:13]
	s_cbranch_execz .LBB150_110
; %bb.99:
	v_cmp_ne_u32_e32 vcc, v0, v15
	s_xor_b64 s[12:13], s[2:3], -1
	s_or_b64 s[12:13], s[12:13], vcc
	s_and_saveexec_b64 s[14:15], s[12:13]
	s_xor_b64 s[12:13], exec, s[14:15]
	s_cbranch_execz .LBB150_103
; %bb.100:
	v_or_b32_e32 v13, v15, v0
	v_cmp_gt_u32_e32 vcc, 64, v13
	s_and_saveexec_b64 s[14:15], vcc
; %bb.101:
	v_mov_b32_e32 v13, 0
	v_lshlrev_b32_e32 v15, 3, v18
	v_mov_b32_e32 v14, v13
	ds_write_b64 v15, v[13:14]
; %bb.102:
	s_or_b64 exec, exec, s[14:15]
                                        ; implicit-def: $vgpr18
                                        ; implicit-def: $vgpr13_vgpr14
.LBB150_103:
	s_andn2_saveexec_b64 s[12:13], s[12:13]
	s_cbranch_execz .LBB150_109
; %bb.104:
	v_lshlrev_b64 v[13:14], 3, v[13:14]
	v_mov_b32_e32 v15, s90
	v_add_co_u32_e32 v13, vcc, s89, v13
	v_addc_co_u32_e32 v14, vcc, v15, v14, vcc
	flat_load_dwordx2 v[13:14], v[13:14]
                                        ; implicit-def: $vgpr15
	s_waitcnt vmcnt(0) lgkmcnt(0)
	v_cmp_ngt_f32_e64 s[14:15], |v13|, |v14|
	s_and_saveexec_b64 s[16:17], s[14:15]
	s_xor_b64 s[14:15], exec, s[16:17]
	s_cbranch_execz .LBB150_106
; %bb.105:
	v_div_scale_f32 v15, s[16:17], -v14, -v14, v13
	v_div_scale_f32 v16, vcc, v13, -v14, v13
	v_rcp_f32_e32 v19, v15
	v_fma_f32 v20, -v15, v19, 1.0
	v_fmac_f32_e32 v19, v20, v19
	v_mul_f32_e32 v20, v16, v19
	v_fma_f32 v21, -v15, v20, v16
	v_fmac_f32_e32 v20, v21, v19
	v_fma_f32 v15, -v15, v20, v16
	v_div_fmas_f32 v15, v15, v19, v20
	v_div_fixup_f32 v15, v15, -v14, v13
	v_fma_f32 v13, v13, v15, -v14
	v_div_scale_f32 v14, s[16:17], v13, v13, 1.0
	v_div_scale_f32 v16, vcc, 1.0, v13, 1.0
	v_rcp_f32_e32 v19, v14
	v_fma_f32 v20, -v14, v19, 1.0
	v_fmac_f32_e32 v19, v20, v19
	v_mul_f32_e32 v20, v16, v19
	v_fma_f32 v21, -v14, v20, v16
	v_fmac_f32_e32 v20, v21, v19
	v_fma_f32 v14, -v14, v20, v16
	v_div_fmas_f32 v14, v14, v19, v20
	v_div_fixup_f32 v13, v14, v13, 1.0
	v_mul_f32_e32 v15, v15, v13
	v_xor_b32_e32 v16, 0x80000000, v13
                                        ; implicit-def: $vgpr13_vgpr14
.LBB150_106:
	s_andn2_saveexec_b64 s[14:15], s[14:15]
	s_cbranch_execz .LBB150_108
; %bb.107:
	v_div_scale_f32 v15, s[16:17], v13, v13, -v14
	v_div_scale_f32 v16, vcc, -v14, v13, -v14
	v_rcp_f32_e32 v19, v15
	v_fma_f32 v20, -v15, v19, 1.0
	v_fmac_f32_e32 v19, v20, v19
	v_mul_f32_e32 v20, v16, v19
	v_fma_f32 v21, -v15, v20, v16
	v_fmac_f32_e32 v20, v21, v19
	v_fma_f32 v15, -v15, v20, v16
	v_div_fmas_f32 v15, v15, v19, v20
	v_div_fixup_f32 v16, v15, v13, -v14
	v_fma_f32 v13, -v14, v16, v13
	v_div_scale_f32 v14, s[16:17], v13, v13, 1.0
	v_div_scale_f32 v15, vcc, 1.0, v13, 1.0
	v_rcp_f32_e32 v19, v14
	v_fma_f32 v20, -v14, v19, 1.0
	v_fmac_f32_e32 v19, v20, v19
	v_mul_f32_e32 v20, v15, v19
	v_fma_f32 v21, -v14, v20, v15
	v_fmac_f32_e32 v20, v21, v19
	v_fma_f32 v14, -v14, v20, v15
	v_div_fmas_f32 v14, v14, v19, v20
	v_div_fixup_f32 v15, v14, v13, 1.0
	v_mul_f32_e64 v16, v16, -v15
.LBB150_108:
	s_or_b64 exec, exec, s[14:15]
	v_lshlrev_b32_e32 v13, 3, v18
	ds_write_b64 v13, v[15:16]
.LBB150_109:
	s_or_b64 exec, exec, s[12:13]
                                        ; implicit-def: $vgpr13_vgpr14
                                        ; implicit-def: $vgpr18
.LBB150_110:
	s_andn2_saveexec_b64 s[8:9], s[8:9]
	s_cbranch_execz .LBB150_112
; %bb.111:
	v_lshlrev_b64 v[13:14], 3, v[13:14]
	v_mov_b32_e32 v15, s90
	v_add_co_u32_e32 v13, vcc, s89, v13
	v_addc_co_u32_e32 v14, vcc, v15, v14, vcc
	flat_load_dwordx2 v[13:14], v[13:14]
	v_lshlrev_b32_e32 v15, 3, v18
	s_waitcnt vmcnt(0) lgkmcnt(0)
	v_xor_b32_e32 v13, 0x80000000, v13
	ds_write_b64 v15, v[13:14]
.LBB150_112:
	s_or_b64 exec, exec, s[8:9]
	v_add_u32_e32 v13, 48, v2
	v_mad_u64_u32 v[11:12], s[8:9], s30, v13, v[11:12]
	v_add_u32_e32 v16, v13, v17
	v_cmp_gt_u32_e32 vcc, v13, v0
	v_mad_u64_u32 v[14:15], s[8:9], s31, v13, v[12:13]
	v_lshl_add_u32 v12, v13, 6, v0
	v_cndmask_b32_e64 v15, v12, v16, s[0:1]
	v_cmp_gt_i32_e64 s[0:1], s88, v13
	s_and_b64 s[0:1], vcc, s[0:1]
	s_and_b64 s[0:1], s[2:3], s[0:1]
	v_mov_b32_e32 v12, v14
	s_xor_b64 s[0:1], s[0:1], -1
	s_and_saveexec_b64 s[8:9], s[0:1]
	s_xor_b64 s[0:1], exec, s[8:9]
	s_cbranch_execz .LBB150_124
; %bb.113:
	v_cmp_ne_u32_e32 vcc, v0, v13
	s_xor_b64 s[2:3], s[2:3], -1
	s_or_b64 s[2:3], s[2:3], vcc
	s_and_saveexec_b64 s[8:9], s[2:3]
	s_xor_b64 s[2:3], exec, s[8:9]
	s_cbranch_execz .LBB150_117
; %bb.114:
	v_or_b32_e32 v11, v13, v0
	v_cmp_gt_u32_e32 vcc, 64, v11
	s_and_saveexec_b64 s[8:9], vcc
; %bb.115:
	v_mov_b32_e32 v11, 0
	v_lshlrev_b32_e32 v13, 3, v15
	v_mov_b32_e32 v12, v11
	ds_write_b64 v13, v[11:12]
; %bb.116:
	s_or_b64 exec, exec, s[8:9]
                                        ; implicit-def: $vgpr15
                                        ; implicit-def: $vgpr11_vgpr12
.LBB150_117:
	s_andn2_saveexec_b64 s[2:3], s[2:3]
	s_cbranch_execz .LBB150_123
; %bb.118:
	v_lshlrev_b64 v[11:12], 3, v[11:12]
	v_mov_b32_e32 v13, s90
	v_add_co_u32_e32 v11, vcc, s89, v11
	v_addc_co_u32_e32 v12, vcc, v13, v12, vcc
	flat_load_dwordx2 v[11:12], v[11:12]
                                        ; implicit-def: $vgpr13
	s_waitcnt vmcnt(0) lgkmcnt(0)
	v_cmp_ngt_f32_e64 s[8:9], |v11|, |v12|
	s_and_saveexec_b64 s[12:13], s[8:9]
	s_xor_b64 s[8:9], exec, s[12:13]
	s_cbranch_execz .LBB150_120
; %bb.119:
	v_div_scale_f32 v13, s[12:13], -v12, -v12, v11
	v_div_scale_f32 v14, vcc, v11, -v12, v11
	v_rcp_f32_e32 v16, v13
	v_fma_f32 v17, -v13, v16, 1.0
	v_fmac_f32_e32 v16, v17, v16
	v_mul_f32_e32 v17, v14, v16
	v_fma_f32 v18, -v13, v17, v14
	v_fmac_f32_e32 v17, v18, v16
	v_fma_f32 v13, -v13, v17, v14
	v_div_fmas_f32 v13, v13, v16, v17
	v_div_fixup_f32 v13, v13, -v12, v11
	v_fma_f32 v11, v11, v13, -v12
	v_div_scale_f32 v12, s[12:13], v11, v11, 1.0
	v_div_scale_f32 v14, vcc, 1.0, v11, 1.0
	v_rcp_f32_e32 v16, v12
	v_fma_f32 v17, -v12, v16, 1.0
	v_fmac_f32_e32 v16, v17, v16
	v_mul_f32_e32 v17, v14, v16
	v_fma_f32 v18, -v12, v17, v14
	v_fmac_f32_e32 v17, v18, v16
	v_fma_f32 v12, -v12, v17, v14
	v_div_fmas_f32 v12, v12, v16, v17
	v_div_fixup_f32 v11, v12, v11, 1.0
	v_mul_f32_e32 v13, v13, v11
	v_xor_b32_e32 v14, 0x80000000, v11
                                        ; implicit-def: $vgpr11_vgpr12
.LBB150_120:
	s_andn2_saveexec_b64 s[8:9], s[8:9]
	s_cbranch_execz .LBB150_122
; %bb.121:
	v_div_scale_f32 v13, s[12:13], v11, v11, -v12
	v_div_scale_f32 v14, vcc, -v12, v11, -v12
	v_rcp_f32_e32 v16, v13
	v_fma_f32 v17, -v13, v16, 1.0
	v_fmac_f32_e32 v16, v17, v16
	v_mul_f32_e32 v17, v14, v16
	v_fma_f32 v18, -v13, v17, v14
	v_fmac_f32_e32 v17, v18, v16
	v_fma_f32 v13, -v13, v17, v14
	v_div_fmas_f32 v13, v13, v16, v17
	v_div_fixup_f32 v14, v13, v11, -v12
	v_fma_f32 v11, -v12, v14, v11
	v_div_scale_f32 v12, s[12:13], v11, v11, 1.0
	v_div_scale_f32 v13, vcc, 1.0, v11, 1.0
	v_rcp_f32_e32 v16, v12
	v_fma_f32 v17, -v12, v16, 1.0
	v_fmac_f32_e32 v16, v17, v16
	v_mul_f32_e32 v17, v13, v16
	v_fma_f32 v18, -v12, v17, v13
	v_fmac_f32_e32 v17, v18, v16
	v_fma_f32 v12, -v12, v17, v13
	v_div_fmas_f32 v12, v12, v16, v17
	v_div_fixup_f32 v13, v12, v11, 1.0
	v_mul_f32_e64 v14, v14, -v13
.LBB150_122:
	s_or_b64 exec, exec, s[8:9]
	v_lshlrev_b32_e32 v11, 3, v15
	ds_write_b64 v11, v[13:14]
.LBB150_123:
	s_or_b64 exec, exec, s[2:3]
                                        ; implicit-def: $vgpr11_vgpr12
                                        ; implicit-def: $vgpr15
.LBB150_124:
	s_andn2_saveexec_b64 s[0:1], s[0:1]
	s_cbranch_execz .LBB150_126
; %bb.125:
	v_lshlrev_b64 v[11:12], 3, v[11:12]
	v_mov_b32_e32 v13, s90
	v_add_co_u32_e32 v11, vcc, s89, v11
	v_addc_co_u32_e32 v12, vcc, v13, v12, vcc
	flat_load_dwordx2 v[11:12], v[11:12]
	v_lshlrev_b32_e32 v13, 3, v15
	s_waitcnt vmcnt(0) lgkmcnt(0)
	v_xor_b32_e32 v11, 0x80000000, v11
	ds_write_b64 v13, v[11:12]
.LBB150_126:
	s_or_b64 exec, exec, s[0:1]
.LBB150_127:
	v_cndmask_b32_e64 v11, 0, 1, s[10:11]
	v_cmp_ne_u32_e64 s[60:61], 1, v11
	s_andn2_b64 vcc, exec, s[10:11]
	s_waitcnt vmcnt(0) lgkmcnt(0)
	s_barrier
	s_cbranch_vccnz .LBB150_1049
; %bb.128:
	v_or_b32_e32 v11, v0, v2
	v_cmp_eq_u32_e32 vcc, 0, v11
	s_and_saveexec_b64 s[0:1], vcc
	s_cbranch_execz .LBB150_130
; %bb.129:
	s_movk_i32 s2, 0x1f0
	v_mov_b32_e32 v11, 0
	v_add_u32_e64 v12, s2, 0
	ds_read_b64 v[15:16], v11 offset:32760
	ds_read2st64_b64 v[11:14], v12 offset0:62 offset1:63
	s_movk_i32 s2, 0x7800
	s_waitcnt lgkmcnt(0)
	v_mul_f32_e32 v18, v15, v12
	v_mul_f32_e32 v17, v16, v12
	v_fmac_f32_e32 v18, v16, v11
	v_fma_f32 v12, v15, v11, -v17
	v_mul_f32_e32 v11, v18, v14
	v_fma_f32 v11, v12, v13, -v11
	v_mul_f32_e32 v12, v12, v14
	v_fmac_f32_e32 v12, v18, v13
	v_add_u32_e64 v13, s2, 0
	ds_write2_b64 v13, v[11:12], v[11:12] offset0:191 offset1:254
.LBB150_130:
	s_or_b64 exec, exec, s[0:1]
	v_lshlrev_b32_e32 v11, 6, v2
	v_add_u32_e32 v16, v11, v0
	v_and_b32_e32 v12, v11, v0
	v_xor_b32_e32 v11, v11, v0
	v_lshrrev_b16_e32 v11, 1, v11
	v_add_u16_e32 v15, v12, v11
	v_and_b32_e32 v13, 1, v0
	v_sub_u32_e32 v14, 1, v15
	v_cmp_lt_u32_e64 s[8:9], 3, v16
	v_cmp_gt_u32_e64 s[2:3], 4, v16
	v_mov_b32_e32 v11, 0
	v_mov_b32_e32 v12, 0
	s_waitcnt lgkmcnt(0)
	s_barrier
	buffer_wbinvl1_vol
	s_and_saveexec_b64 s[0:1], s[2:3]
	s_cbranch_execz .LBB150_134
; %bb.131:
	v_lshlrev_b32_e32 v11, 3, v13
	v_lshlrev_b32_e32 v17, 9, v14
	ds_read_b64 v[11:12], v11 offset:32224
	ds_read_b64 v[17:18], v17 offset:32240
	v_cmp_gt_u32_e64 s[10:11], 2, v16
	s_waitcnt lgkmcnt(0)
	v_mul_f32_e32 v19, v18, v12
	v_mul_f32_e32 v12, v17, v12
	v_fma_f32 v17, v17, v11, -v19
	v_fmac_f32_e32 v12, v18, v11
	v_add_f32_e32 v11, 0, v17
	v_add_f32_e32 v12, 0, v12
	s_and_saveexec_b64 s[12:13], s[10:11]
	s_cbranch_execz .LBB150_133
; %bb.132:
	v_lshlrev_b32_e32 v17, 3, v0
	v_mov_b32_e32 v19, 0
	ds_read_b64 v[17:18], v17 offset:32736
	ds_read_b64 v[19:20], v19 offset:32760
	s_waitcnt lgkmcnt(0)
	v_mul_f32_e32 v21, v20, v18
	v_mul_f32_e32 v18, v19, v18
	v_fma_f32 v19, v19, v17, -v21
	v_fmac_f32_e32 v18, v20, v17
	v_add_f32_e32 v11, v11, v19
	v_add_f32_e32 v12, v12, v18
.LBB150_133:
	s_or_b64 exec, exec, s[12:13]
.LBB150_134:
	s_or_b64 exec, exec, s[0:1]
	v_mov_b32_e32 v17, 0x8000
	v_cmp_ne_u32_e64 s[10:11], 0, v13
	s_xor_b64 s[0:1], s[8:9], -1
	v_lshl_add_u32 v15, v15, 3, v17
	s_and_b64 s[40:41], s[10:11], s[0:1]
	s_and_saveexec_b64 s[8:9], s[40:41]
	s_cbranch_execz .LBB150_136
; %bb.135:
	v_mov_b32_e32 v17, 0
	ds_read_b64 v[17:18], v17 offset:31720
	s_waitcnt lgkmcnt(0)
	v_mul_f32_e32 v19, v12, v18
	v_mul_f32_e32 v20, v11, v18
	v_fma_f32 v11, v11, v17, -v19
	v_fmac_f32_e32 v20, v12, v17
	v_xor_b32_e32 v17, 0x80000000, v11
	v_xor_b32_e32 v18, 0x80000000, v20
	v_mov_b32_e32 v12, v20
	ds_write_b64 v15, v[17:18]
.LBB150_136:
	s_or_b64 exec, exec, s[8:9]
	v_cmp_eq_u32_e64 s[8:9], 0, v13
	s_and_b64 s[38:39], s[8:9], s[0:1]
	s_waitcnt lgkmcnt(0)
	s_barrier
	s_and_saveexec_b64 s[0:1], s[38:39]
	s_cbranch_execz .LBB150_138
; %bb.137:
	v_mov_b32_e32 v17, 0
	ds_read_b64 v[17:18], v17 offset:31712
	ds_read_b64 v[19:20], v15
	s_waitcnt lgkmcnt(0)
	v_mul_f32_e32 v21, v20, v18
	v_mul_f32_e32 v18, v19, v18
	v_fma_f32 v19, v19, v17, -v21
	v_fmac_f32_e32 v18, v20, v17
	v_sub_f32_e32 v11, v11, v19
	v_sub_f32_e32 v12, v12, v18
.LBB150_138:
	s_or_b64 exec, exec, s[0:1]
	s_barrier
	s_and_saveexec_b64 s[0:1], s[38:39]
	s_cbranch_execz .LBB150_140
; %bb.139:
	v_mov_b32_e32 v17, 0
	ds_read_b64 v[17:18], v17 offset:31200
	s_waitcnt lgkmcnt(0)
	v_mul_f32_e32 v19, v12, v18
	v_mul_f32_e32 v20, v11, v18
	v_fma_f32 v11, v11, v17, -v19
	v_fmac_f32_e32 v20, v12, v17
	v_xor_b32_e32 v17, 0x80000000, v11
	v_xor_b32_e32 v18, 0x80000000, v20
	v_mov_b32_e32 v12, v20
	ds_write_b64 v15, v[17:18]
.LBB150_140:
	s_or_b64 exec, exec, s[0:1]
	s_waitcnt lgkmcnt(0)
	s_barrier
	s_barrier
	s_and_saveexec_b64 s[0:1], s[2:3]
; %bb.141:
	v_lshlrev_b32_e32 v17, 3, v13
	v_lshl_or_b32 v17, v14, 9, v17
	ds_write_b64 v17, v[11:12] offset:32224
; %bb.142:
	s_or_b64 exec, exec, s[0:1]
	v_cmp_eq_u32_e64 s[12:13], 0, v2
	v_cmp_gt_u32_e64 s[8:9], 2, v0
	s_and_b64 s[42:43], s[12:13], s[8:9]
	s_waitcnt lgkmcnt(0)
	s_barrier
	s_barrier
	s_and_saveexec_b64 s[0:1], s[42:43]
	s_cbranch_execz .LBB150_144
; %bb.143:
	v_lshlrev_b32_e32 v17, 3, v0
	s_movk_i32 s8, 0x1f8
	v_mad_u32_u24 v18, v0, s8, v17
	ds_read_b64 v[11:12], v18 offset:32224
	s_waitcnt lgkmcnt(0)
	ds_write_b64 v17, v[11:12] offset:31216
	ds_read_b64 v[11:12], v18 offset:32232
	s_waitcnt lgkmcnt(0)
	ds_write_b64 v17, v[11:12] offset:31728
.LBB150_144:
	s_or_b64 exec, exec, s[0:1]
	s_waitcnt lgkmcnt(0)
	s_barrier
	s_and_saveexec_b64 s[0:1], vcc
	s_cbranch_execz .LBB150_146
; %bb.145:
	s_movk_i32 s8, 0x1e0
	v_mov_b32_e32 v11, 0
	v_add_u32_e64 v17, s8, 0
	ds_read_b64 v[11:12], v11 offset:31720
	ds_read2st64_b64 v[17:20], v17 offset0:60 offset1:61
	s_movk_i32 s8, 0x7800
	s_waitcnt lgkmcnt(0)
	v_mul_f32_e32 v21, v12, v18
	v_mul_f32_e32 v18, v11, v18
	v_fma_f32 v21, v11, v17, -v21
	v_fmac_f32_e32 v18, v12, v17
	v_mul_f32_e32 v11, v18, v20
	v_mul_f32_e32 v12, v21, v20
	v_fma_f32 v11, v21, v19, -v11
	v_fmac_f32_e32 v12, v18, v19
	v_add_u32_e64 v17, s8, 0
	ds_write2_b64 v17, v[11:12], v[11:12] offset0:61 offset1:124
.LBB150_146:
	s_or_b64 exec, exec, s[0:1]
	v_lshrrev_b32_e32 v19, 2, v16
	v_and_b32_e32 v17, 3, v0
	v_sub_u32_e32 v18, 3, v19
	v_cmp_lt_u32_e64 s[8:9], 15, v16
	v_cmp_gt_u32_e64 s[18:19], 16, v16
	v_mov_b32_e32 v12, 0
	v_mov_b32_e32 v11, 0
	s_waitcnt lgkmcnt(0)
	s_barrier
	buffer_wbinvl1_vol
	s_and_saveexec_b64 s[0:1], s[18:19]
	s_cbranch_execz .LBB150_152
; %bb.147:
	v_lshlrev_b32_e32 v20, 3, v17
	v_lshlrev_b32_e32 v21, 9, v18
	ds_read_b64 v[11:12], v20 offset:31168
	ds_read_b64 v[22:23], v21 offset:31200
	v_cmp_gt_u32_e64 s[10:11], 12, v16
	s_waitcnt lgkmcnt(0)
	v_mul_f32_e32 v24, v23, v12
	v_mul_f32_e32 v12, v22, v12
	v_fma_f32 v22, v22, v11, -v24
	v_fmac_f32_e32 v12, v23, v11
	v_add_f32_e32 v11, 0, v22
	v_add_f32_e32 v12, 0, v12
	s_and_saveexec_b64 s[14:15], s[10:11]
	s_cbranch_execnz .LBB150_1125
; %bb.148:
	s_or_b64 exec, exec, s[14:15]
	v_cmp_gt_u32_e64 s[10:11], 8, v16
	s_and_saveexec_b64 s[14:15], s[10:11]
	s_cbranch_execnz .LBB150_1126
.LBB150_149:
	s_or_b64 exec, exec, s[14:15]
	v_cmp_gt_u32_e64 s[10:11], 4, v16
	s_and_saveexec_b64 s[14:15], s[10:11]
	s_cbranch_execz .LBB150_151
.LBB150_150:
	v_lshlrev_b32_e32 v20, 3, v0
	v_mov_b32_e32 v22, 0
	ds_read_b64 v[20:21], v20 offset:32704
	ds_read_b64 v[22:23], v22 offset:32760
	s_waitcnt lgkmcnt(0)
	v_mul_f32_e32 v24, v23, v21
	v_mul_f32_e32 v21, v22, v21
	v_fma_f32 v22, v22, v20, -v24
	v_fmac_f32_e32 v21, v23, v20
	v_add_f32_e32 v11, v11, v22
	v_add_f32_e32 v12, v12, v21
.LBB150_151:
	s_or_b64 exec, exec, s[14:15]
.LBB150_152:
                                        ; implicit-def: $vgpr38 : SGPR spill to VGPR lane
	v_writelane_b32 v38, s46, 0
	v_writelane_b32 v38, s47, 1
	;; [unrolled: 1-line block ×5, first 2 shown]
	s_or_b64 exec, exec, s[0:1]
	v_mov_b32_e32 v20, 0x8000
	v_cmp_eq_u32_e64 s[10:11], 3, v17
	s_xor_b64 s[0:1], s[8:9], -1
	v_lshl_add_u32 v19, v19, 3, v20
	s_and_b64 s[46:47], s[10:11], s[0:1]
	s_and_saveexec_b64 s[8:9], s[46:47]
	s_cbranch_execz .LBB150_154
; %bb.153:
	v_mov_b32_e32 v20, 0
	ds_read_b64 v[20:21], v20 offset:30680
	s_waitcnt lgkmcnt(0)
	v_mul_f32_e32 v22, v12, v21
	v_mul_f32_e32 v23, v11, v21
	v_fma_f32 v11, v11, v20, -v22
	v_fmac_f32_e32 v23, v12, v20
	v_xor_b32_e32 v20, 0x80000000, v11
	v_xor_b32_e32 v21, 0x80000000, v23
	v_mov_b32_e32 v12, v23
	ds_write_b64 v19, v[20:21]
.LBB150_154:
	s_or_b64 exec, exec, s[8:9]
	v_cmp_ne_u32_e64 s[8:9], 3, v17
	s_and_b64 s[48:49], s[8:9], s[0:1]
	s_waitcnt lgkmcnt(0)
	s_barrier
	s_and_saveexec_b64 s[8:9], s[48:49]
	s_cbranch_execz .LBB150_156
; %bb.155:
	v_lshlrev_b32_e32 v20, 3, v17
	ds_read_b64 v[20:21], v20 offset:30656
	ds_read_b64 v[22:23], v19
	s_waitcnt lgkmcnt(0)
	v_mul_f32_e32 v24, v23, v21
	v_mul_f32_e32 v21, v22, v21
	v_fma_f32 v22, v22, v20, -v24
	v_fmac_f32_e32 v21, v23, v20
	v_sub_f32_e32 v11, v11, v22
	v_sub_f32_e32 v12, v12, v21
.LBB150_156:
	s_or_b64 exec, exec, s[8:9]
	v_cmp_eq_u32_e64 s[8:9], 2, v17
	s_and_b64 s[50:51], s[8:9], s[0:1]
	s_barrier
	s_and_saveexec_b64 s[8:9], s[50:51]
	s_cbranch_execz .LBB150_158
; %bb.157:
	v_mov_b32_e32 v20, 0
	ds_read_b64 v[20:21], v20 offset:30160
	s_waitcnt lgkmcnt(0)
	v_mul_f32_e32 v22, v12, v21
	v_mul_f32_e32 v23, v11, v21
	v_fma_f32 v11, v11, v20, -v22
	v_fmac_f32_e32 v23, v12, v20
	v_xor_b32_e32 v20, 0x80000000, v11
	v_xor_b32_e32 v21, 0x80000000, v23
	v_mov_b32_e32 v12, v23
	ds_write_b64 v19, v[20:21]
.LBB150_158:
	s_or_b64 exec, exec, s[8:9]
	v_cmp_gt_u32_e64 s[8:9], 2, v17
	s_and_b64 s[52:53], s[8:9], s[0:1]
	s_waitcnt lgkmcnt(0)
	s_barrier
	s_and_saveexec_b64 s[8:9], s[52:53]
	s_cbranch_execz .LBB150_160
; %bb.159:
	v_lshlrev_b32_e32 v20, 3, v17
	ds_read_b64 v[20:21], v20 offset:30144
	ds_read_b64 v[22:23], v19
	s_waitcnt lgkmcnt(0)
	v_mul_f32_e32 v24, v23, v21
	v_mul_f32_e32 v21, v22, v21
	v_fma_f32 v22, v22, v20, -v24
	v_fmac_f32_e32 v21, v23, v20
	v_sub_f32_e32 v11, v11, v22
	v_sub_f32_e32 v12, v12, v21
.LBB150_160:
	s_or_b64 exec, exec, s[8:9]
	v_cmp_eq_u32_e64 s[8:9], 1, v17
	s_and_b64 s[54:55], s[8:9], s[0:1]
	s_barrier
	s_and_saveexec_b64 s[8:9], s[54:55]
	s_cbranch_execz .LBB150_162
; %bb.161:
	v_mov_b32_e32 v20, 0
	ds_read_b64 v[20:21], v20 offset:29640
	s_waitcnt lgkmcnt(0)
	v_mul_f32_e32 v22, v12, v21
	v_mul_f32_e32 v23, v11, v21
	v_fma_f32 v11, v11, v20, -v22
	v_fmac_f32_e32 v23, v12, v20
	v_xor_b32_e32 v20, 0x80000000, v11
	v_xor_b32_e32 v21, 0x80000000, v23
	v_mov_b32_e32 v12, v23
	ds_write_b64 v19, v[20:21]
.LBB150_162:
	s_or_b64 exec, exec, s[8:9]
	v_cmp_eq_u32_e64 s[8:9], 0, v17
	s_and_b64 s[44:45], s[8:9], s[0:1]
	s_waitcnt lgkmcnt(0)
	s_barrier
	s_and_saveexec_b64 s[0:1], s[44:45]
	s_cbranch_execz .LBB150_164
; %bb.163:
	v_mov_b32_e32 v20, 0
	ds_read_b64 v[20:21], v20 offset:29632
	ds_read_b64 v[22:23], v19
	s_waitcnt lgkmcnt(0)
	v_mul_f32_e32 v24, v23, v21
	v_mul_f32_e32 v21, v22, v21
	v_fma_f32 v22, v22, v20, -v24
	v_fmac_f32_e32 v21, v23, v20
	v_sub_f32_e32 v11, v11, v22
	v_sub_f32_e32 v12, v12, v21
.LBB150_164:
	s_or_b64 exec, exec, s[0:1]
	s_barrier
	s_and_saveexec_b64 s[0:1], s[44:45]
	s_cbranch_execz .LBB150_166
; %bb.165:
	v_mov_b32_e32 v20, 0
	ds_read_b64 v[20:21], v20 offset:29120
	s_waitcnt lgkmcnt(0)
	v_mul_f32_e32 v22, v12, v21
	v_mul_f32_e32 v23, v11, v21
	v_fma_f32 v11, v11, v20, -v22
	v_fmac_f32_e32 v23, v12, v20
	v_xor_b32_e32 v20, 0x80000000, v11
	v_xor_b32_e32 v21, 0x80000000, v23
	v_mov_b32_e32 v12, v23
	ds_write_b64 v19, v[20:21]
.LBB150_166:
	s_or_b64 exec, exec, s[0:1]
	s_waitcnt lgkmcnt(0)
	s_barrier
	s_barrier
	s_and_saveexec_b64 s[0:1], s[18:19]
; %bb.167:
	v_lshlrev_b32_e32 v20, 3, v17
	v_lshl_or_b32 v20, v18, 9, v20
	ds_write_b64 v20, v[11:12] offset:31168
; %bb.168:
	s_or_b64 exec, exec, s[0:1]
	v_cmp_gt_u32_e64 s[8:9], 4, v0
	s_and_b64 s[56:57], s[12:13], s[8:9]
	s_waitcnt lgkmcnt(0)
	s_barrier
	s_barrier
	s_and_saveexec_b64 s[0:1], s[56:57]
	s_cbranch_execz .LBB150_170
; %bb.169:
	v_lshlrev_b32_e32 v20, 9, v0
	ds_read_b64 v[11:12], v20 offset:31168
	s_movk_i32 s8, 0xfe08
	v_mad_i32_i24 v21, v0, s8, v20
	s_waitcnt lgkmcnt(0)
	ds_write_b64 v21, v[11:12] offset:29152
	ds_read_b64 v[11:12], v20 offset:31176
	s_waitcnt lgkmcnt(0)
	ds_write_b64 v21, v[11:12] offset:29664
	ds_read_b64 v[11:12], v20 offset:31184
	;; [unrolled: 3-line block ×3, first 2 shown]
	s_waitcnt lgkmcnt(0)
	ds_write_b64 v21, v[11:12] offset:30688
.LBB150_170:
	s_or_b64 exec, exec, s[0:1]
	s_waitcnt lgkmcnt(0)
	s_barrier
	s_and_saveexec_b64 s[0:1], vcc
	s_cbranch_execz .LBB150_172
; %bb.171:
	s_movk_i32 s8, 0x1d0
	v_mov_b32_e32 v11, 0
	v_add_u32_e64 v20, s8, 0
	ds_read_b64 v[11:12], v11 offset:30680
	ds_read2st64_b64 v[20:23], v20 offset0:58 offset1:59
	s_movk_i32 s8, 0x7000
	s_waitcnt lgkmcnt(0)
	v_mul_f32_e32 v24, v12, v21
	v_mul_f32_e32 v21, v11, v21
	v_fma_f32 v24, v11, v20, -v24
	v_fmac_f32_e32 v21, v12, v20
	v_mul_f32_e32 v11, v21, v23
	v_mul_f32_e32 v12, v24, v23
	v_fma_f32 v11, v24, v22, -v11
	v_fmac_f32_e32 v12, v21, v22
	v_add_u32_e64 v20, s8, 0
	ds_write2_b64 v20, v[11:12], v[11:12] offset0:187 offset1:250
.LBB150_172:
	s_or_b64 exec, exec, s[0:1]
	v_mov_b32_e32 v11, 0
	v_mov_b32_e32 v12, 0
	s_waitcnt lgkmcnt(0)
	s_barrier
	buffer_wbinvl1_vol
	s_and_saveexec_b64 s[0:1], s[2:3]
	s_cbranch_execz .LBB150_176
; %bb.173:
	v_lshlrev_b32_e32 v11, 3, v13
	v_lshlrev_b32_e32 v20, 9, v14
	ds_read_b64 v[11:12], v11 offset:30144
	ds_read_b64 v[20:21], v20 offset:30160
	v_cmp_gt_u32_e64 s[8:9], 2, v16
	s_waitcnt lgkmcnt(0)
	v_mul_f32_e32 v22, v21, v12
	v_mul_f32_e32 v12, v20, v12
	v_fma_f32 v20, v20, v11, -v22
	v_fmac_f32_e32 v12, v21, v11
	v_add_f32_e32 v11, 0, v20
	v_add_f32_e32 v12, 0, v12
	s_and_saveexec_b64 s[10:11], s[8:9]
	s_cbranch_execz .LBB150_175
; %bb.174:
	v_lshlrev_b32_e32 v20, 3, v0
	v_mov_b32_e32 v22, 0
	ds_read_b64 v[20:21], v20 offset:30656
	ds_read_b64 v[22:23], v22 offset:30680
	s_waitcnt lgkmcnt(0)
	v_mul_f32_e32 v24, v23, v21
	v_mul_f32_e32 v21, v22, v21
	v_fma_f32 v22, v22, v20, -v24
	v_fmac_f32_e32 v21, v23, v20
	v_add_f32_e32 v11, v11, v22
	v_add_f32_e32 v12, v12, v21
.LBB150_175:
	s_or_b64 exec, exec, s[10:11]
.LBB150_176:
	s_or_b64 exec, exec, s[0:1]
	s_and_saveexec_b64 s[0:1], s[40:41]
	s_cbranch_execz .LBB150_178
; %bb.177:
	v_mov_b32_e32 v20, 0
	ds_read_b64 v[20:21], v20 offset:29640
	s_waitcnt lgkmcnt(0)
	v_mul_f32_e32 v22, v12, v21
	v_mul_f32_e32 v23, v11, v21
	v_fma_f32 v11, v11, v20, -v22
	v_fmac_f32_e32 v23, v12, v20
	v_xor_b32_e32 v20, 0x80000000, v11
	v_xor_b32_e32 v21, 0x80000000, v23
	v_mov_b32_e32 v12, v23
	ds_write_b64 v15, v[20:21]
.LBB150_178:
	s_or_b64 exec, exec, s[0:1]
	s_waitcnt lgkmcnt(0)
	s_barrier
	s_and_saveexec_b64 s[0:1], s[38:39]
	s_cbranch_execz .LBB150_180
; %bb.179:
	v_mov_b32_e32 v20, 0
	ds_read_b64 v[20:21], v20 offset:29632
	ds_read_b64 v[22:23], v15
	s_waitcnt lgkmcnt(0)
	v_mul_f32_e32 v24, v23, v21
	v_mul_f32_e32 v21, v22, v21
	v_fma_f32 v22, v22, v20, -v24
	v_fmac_f32_e32 v21, v23, v20
	v_sub_f32_e32 v11, v11, v22
	v_sub_f32_e32 v12, v12, v21
.LBB150_180:
	s_or_b64 exec, exec, s[0:1]
	s_barrier
	s_and_saveexec_b64 s[0:1], s[38:39]
	s_cbranch_execz .LBB150_182
; %bb.181:
	v_mov_b32_e32 v20, 0
	ds_read_b64 v[20:21], v20 offset:29120
	s_waitcnt lgkmcnt(0)
	v_mul_f32_e32 v22, v12, v21
	v_mul_f32_e32 v23, v11, v21
	v_fma_f32 v11, v11, v20, -v22
	v_fmac_f32_e32 v23, v12, v20
	v_xor_b32_e32 v20, 0x80000000, v11
	v_xor_b32_e32 v21, 0x80000000, v23
	v_mov_b32_e32 v12, v23
	ds_write_b64 v15, v[20:21]
.LBB150_182:
	s_or_b64 exec, exec, s[0:1]
	s_waitcnt lgkmcnt(0)
	s_barrier
	s_barrier
	s_and_saveexec_b64 s[0:1], s[2:3]
; %bb.183:
	v_lshlrev_b32_e32 v20, 3, v13
	v_lshl_or_b32 v20, v14, 9, v20
	ds_write_b64 v20, v[11:12] offset:30144
; %bb.184:
	s_or_b64 exec, exec, s[0:1]
	s_waitcnt lgkmcnt(0)
	s_barrier
	s_barrier
	s_and_saveexec_b64 s[0:1], s[42:43]
	s_cbranch_execz .LBB150_186
; %bb.185:
	v_lshlrev_b32_e32 v20, 3, v0
	s_movk_i32 s8, 0x1f8
	v_mad_u32_u24 v21, v0, s8, v20
	ds_read_b64 v[11:12], v21 offset:30144
	s_waitcnt lgkmcnt(0)
	ds_write_b64 v20, v[11:12] offset:29136
	ds_read_b64 v[11:12], v21 offset:30152
	s_waitcnt lgkmcnt(0)
	ds_write_b64 v20, v[11:12] offset:29648
.LBB150_186:
	s_or_b64 exec, exec, s[0:1]
	s_waitcnt lgkmcnt(0)
	s_barrier
	s_and_saveexec_b64 s[0:1], vcc
	s_cbranch_execz .LBB150_188
; %bb.187:
	s_movk_i32 s8, 0x1c0
	v_mov_b32_e32 v11, 0
	v_add_u32_e64 v20, s8, 0
	ds_read_b64 v[11:12], v11 offset:29640
	ds_read2st64_b64 v[20:23], v20 offset0:56 offset1:57
	s_movk_i32 s8, 0x7000
	s_waitcnt lgkmcnt(0)
	v_mul_f32_e32 v24, v12, v21
	v_mul_f32_e32 v21, v11, v21
	v_fma_f32 v24, v11, v20, -v24
	v_fmac_f32_e32 v21, v12, v20
	v_mul_f32_e32 v11, v21, v23
	v_mul_f32_e32 v12, v24, v23
	v_fma_f32 v11, v24, v22, -v11
	v_fmac_f32_e32 v12, v21, v22
	v_add_u32_e64 v20, s8, 0
	ds_write2_b64 v20, v[11:12], v[11:12] offset0:57 offset1:120
.LBB150_188:
	s_or_b64 exec, exec, s[0:1]
	v_lshrrev_b32_e32 v22, 3, v16
	v_and_b32_e32 v20, 7, v0
	v_sub_u32_e32 v21, 7, v22
	v_cmp_lt_u32_e64 s[10:11], 63, v16
	v_cmp_gt_u32_e64 s[8:9], 64, v16
	v_mov_b32_e32 v12, 0
	v_mov_b32_e32 v11, 0
	s_waitcnt lgkmcnt(0)
	s_barrier
	buffer_wbinvl1_vol
	s_and_saveexec_b64 s[0:1], s[8:9]
	s_cbranch_execz .LBB150_198
; %bb.189:
	v_lshlrev_b32_e32 v23, 3, v20
	v_lshlrev_b32_e32 v24, 9, v21
	ds_read_b64 v[11:12], v23 offset:29056
	ds_read_b64 v[25:26], v24 offset:29120
	v_cmp_gt_u32_e64 s[14:15], 56, v16
	s_waitcnt lgkmcnt(0)
	v_mul_f32_e32 v27, v26, v12
	v_mul_f32_e32 v12, v25, v12
	v_fma_f32 v25, v25, v11, -v27
	v_fmac_f32_e32 v12, v26, v11
	v_add_f32_e32 v11, 0, v25
	v_add_f32_e32 v12, 0, v12
	s_and_saveexec_b64 s[16:17], s[14:15]
	s_cbranch_execnz .LBB150_1127
; %bb.190:
	s_or_b64 exec, exec, s[16:17]
	v_cmp_gt_u32_e64 s[14:15], 48, v16
	s_and_saveexec_b64 s[16:17], s[14:15]
	s_cbranch_execnz .LBB150_1128
.LBB150_191:
	s_or_b64 exec, exec, s[16:17]
	v_cmp_gt_u32_e64 s[14:15], 40, v16
	s_and_saveexec_b64 s[16:17], s[14:15]
	s_cbranch_execnz .LBB150_1129
.LBB150_192:
	s_or_b64 exec, exec, s[16:17]
	v_cmp_gt_u32_e64 s[14:15], 32, v16
	s_and_saveexec_b64 s[16:17], s[14:15]
	s_cbranch_execnz .LBB150_1130
.LBB150_193:
	s_or_b64 exec, exec, s[16:17]
	v_cmp_gt_u32_e64 s[14:15], 24, v16
	s_and_saveexec_b64 s[16:17], s[14:15]
	s_cbranch_execnz .LBB150_1131
.LBB150_194:
	s_or_b64 exec, exec, s[16:17]
	s_and_saveexec_b64 s[14:15], s[18:19]
	s_cbranch_execnz .LBB150_1132
.LBB150_195:
	s_or_b64 exec, exec, s[14:15]
	v_cmp_gt_u32_e64 s[14:15], 8, v16
	s_and_saveexec_b64 s[16:17], s[14:15]
	s_cbranch_execz .LBB150_197
.LBB150_196:
	v_lshlrev_b32_e32 v23, 3, v0
	v_mov_b32_e32 v25, 0
	ds_read_b64 v[23:24], v23 offset:32640
	ds_read_b64 v[25:26], v25 offset:32760
	s_waitcnt lgkmcnt(0)
	v_mul_f32_e32 v27, v26, v24
	v_mul_f32_e32 v24, v25, v24
	v_fma_f32 v25, v25, v23, -v27
	v_fmac_f32_e32 v24, v26, v23
	v_add_f32_e32 v11, v11, v25
	v_add_f32_e32 v12, v12, v24
.LBB150_197:
	s_or_b64 exec, exec, s[16:17]
.LBB150_198:
	v_writelane_b32 v38, s60, 5
	v_writelane_b32 v38, s61, 6
	s_or_b64 exec, exec, s[0:1]
	v_mov_b32_e32 v23, 0x8000
	v_cmp_eq_u32_e64 s[14:15], 7, v20
	s_xor_b64 s[0:1], s[10:11], -1
	v_lshl_add_u32 v22, v22, 3, v23
	s_and_b64 s[60:61], s[14:15], s[0:1]
	s_and_saveexec_b64 s[10:11], s[60:61]
	s_cbranch_execz .LBB150_200
; %bb.199:
	v_mov_b32_e32 v23, 0
	ds_read_b64 v[23:24], v23 offset:28600
	s_waitcnt lgkmcnt(0)
	v_mul_f32_e32 v25, v12, v24
	v_mul_f32_e32 v26, v11, v24
	v_fma_f32 v11, v11, v23, -v25
	v_fmac_f32_e32 v26, v12, v23
	v_xor_b32_e32 v23, 0x80000000, v11
	v_xor_b32_e32 v24, 0x80000000, v26
	v_mov_b32_e32 v12, v26
	ds_write_b64 v22, v[23:24]
.LBB150_200:
	s_or_b64 exec, exec, s[10:11]
	v_cmp_ne_u32_e64 s[10:11], 7, v20
	s_and_b64 s[62:63], s[10:11], s[0:1]
	s_waitcnt lgkmcnt(0)
	s_barrier
	s_and_saveexec_b64 s[10:11], s[62:63]
	s_cbranch_execz .LBB150_202
; %bb.201:
	v_lshlrev_b32_e32 v23, 3, v20
	ds_read_b64 v[23:24], v23 offset:28544
	ds_read_b64 v[25:26], v22
	s_waitcnt lgkmcnt(0)
	v_mul_f32_e32 v27, v26, v24
	v_mul_f32_e32 v24, v25, v24
	v_fma_f32 v25, v25, v23, -v27
	v_fmac_f32_e32 v24, v26, v23
	v_sub_f32_e32 v11, v11, v25
	v_sub_f32_e32 v12, v12, v24
.LBB150_202:
	s_or_b64 exec, exec, s[10:11]
	v_cmp_eq_u32_e64 s[10:11], 6, v20
	s_and_b64 s[64:65], s[10:11], s[0:1]
	s_barrier
	s_and_saveexec_b64 s[10:11], s[64:65]
	s_cbranch_execz .LBB150_204
; %bb.203:
	v_mov_b32_e32 v23, 0
	ds_read_b64 v[23:24], v23 offset:28080
	s_waitcnt lgkmcnt(0)
	v_mul_f32_e32 v25, v12, v24
	v_mul_f32_e32 v26, v11, v24
	v_fma_f32 v11, v11, v23, -v25
	v_fmac_f32_e32 v26, v12, v23
	v_xor_b32_e32 v23, 0x80000000, v11
	v_xor_b32_e32 v24, 0x80000000, v26
	v_mov_b32_e32 v12, v26
	ds_write_b64 v22, v[23:24]
.LBB150_204:
	s_or_b64 exec, exec, s[10:11]
	v_cmp_gt_u32_e64 s[10:11], 6, v20
	s_and_b64 s[66:67], s[10:11], s[0:1]
	s_waitcnt lgkmcnt(0)
	s_barrier
	s_and_saveexec_b64 s[10:11], s[66:67]
	s_cbranch_execz .LBB150_206
; %bb.205:
	v_lshlrev_b32_e32 v23, 3, v20
	ds_read_b64 v[23:24], v23 offset:28032
	ds_read_b64 v[25:26], v22
	s_waitcnt lgkmcnt(0)
	v_mul_f32_e32 v27, v26, v24
	v_mul_f32_e32 v24, v25, v24
	v_fma_f32 v25, v25, v23, -v27
	v_fmac_f32_e32 v24, v26, v23
	v_sub_f32_e32 v11, v11, v25
	v_sub_f32_e32 v12, v12, v24
.LBB150_206:
	s_or_b64 exec, exec, s[10:11]
	v_cmp_eq_u32_e64 s[10:11], 5, v20
	s_and_b64 s[68:69], s[10:11], s[0:1]
	s_barrier
	s_and_saveexec_b64 s[10:11], s[68:69]
	s_cbranch_execz .LBB150_208
; %bb.207:
	v_mov_b32_e32 v23, 0
	ds_read_b64 v[23:24], v23 offset:27560
	s_waitcnt lgkmcnt(0)
	v_mul_f32_e32 v25, v12, v24
	v_mul_f32_e32 v26, v11, v24
	v_fma_f32 v11, v11, v23, -v25
	v_fmac_f32_e32 v26, v12, v23
	v_xor_b32_e32 v23, 0x80000000, v11
	v_xor_b32_e32 v24, 0x80000000, v26
	v_mov_b32_e32 v12, v26
	ds_write_b64 v22, v[23:24]
.LBB150_208:
	s_or_b64 exec, exec, s[10:11]
	v_cmp_gt_u32_e64 s[10:11], 5, v20
	;; [unrolled: 38-line block ×5, first 2 shown]
	s_and_b64 s[82:83], s[10:11], s[0:1]
	s_waitcnt lgkmcnt(0)
	s_barrier
	s_and_saveexec_b64 s[10:11], s[82:83]
	s_cbranch_execz .LBB150_222
; %bb.221:
	v_lshlrev_b32_e32 v23, 3, v20
	ds_read_b64 v[23:24], v23 offset:25984
	ds_read_b64 v[25:26], v22
	s_waitcnt lgkmcnt(0)
	v_mul_f32_e32 v27, v26, v24
	v_mul_f32_e32 v24, v25, v24
	v_fma_f32 v25, v25, v23, -v27
	v_fmac_f32_e32 v24, v26, v23
	v_sub_f32_e32 v11, v11, v25
	v_sub_f32_e32 v12, v12, v24
.LBB150_222:
	s_or_b64 exec, exec, s[10:11]
	v_cmp_eq_u32_e64 s[10:11], 1, v20
	s_and_b64 s[84:85], s[10:11], s[0:1]
	s_barrier
	s_and_saveexec_b64 s[10:11], s[84:85]
	s_cbranch_execz .LBB150_224
; %bb.223:
	v_mov_b32_e32 v23, 0
	ds_read_b64 v[23:24], v23 offset:25480
	s_waitcnt lgkmcnt(0)
	v_mul_f32_e32 v25, v12, v24
	v_mul_f32_e32 v26, v11, v24
	v_fma_f32 v11, v11, v23, -v25
	v_fmac_f32_e32 v26, v12, v23
	v_xor_b32_e32 v23, 0x80000000, v11
	v_xor_b32_e32 v24, 0x80000000, v26
	v_mov_b32_e32 v12, v26
	ds_write_b64 v22, v[23:24]
.LBB150_224:
	s_or_b64 exec, exec, s[10:11]
	v_cmp_eq_u32_e64 s[10:11], 0, v20
	s_and_b64 s[58:59], s[10:11], s[0:1]
	s_waitcnt lgkmcnt(0)
	s_barrier
	s_and_saveexec_b64 s[0:1], s[58:59]
	s_cbranch_execz .LBB150_226
; %bb.225:
	v_mov_b32_e32 v23, 0
	ds_read_b64 v[23:24], v23 offset:25472
	ds_read_b64 v[25:26], v22
	s_waitcnt lgkmcnt(0)
	v_mul_f32_e32 v27, v26, v24
	v_mul_f32_e32 v24, v25, v24
	v_fma_f32 v25, v25, v23, -v27
	v_fmac_f32_e32 v24, v26, v23
	v_sub_f32_e32 v11, v11, v25
	v_sub_f32_e32 v12, v12, v24
.LBB150_226:
	s_or_b64 exec, exec, s[0:1]
	s_barrier
	s_and_saveexec_b64 s[0:1], s[58:59]
	s_cbranch_execz .LBB150_228
; %bb.227:
	v_mov_b32_e32 v23, 0
	ds_read_b64 v[23:24], v23 offset:24960
	s_waitcnt lgkmcnt(0)
	v_mul_f32_e32 v25, v12, v24
	v_mul_f32_e32 v26, v11, v24
	v_fma_f32 v11, v11, v23, -v25
	v_fmac_f32_e32 v26, v12, v23
	v_xor_b32_e32 v23, 0x80000000, v11
	v_xor_b32_e32 v24, 0x80000000, v26
	v_mov_b32_e32 v12, v26
	ds_write_b64 v22, v[23:24]
.LBB150_228:
	s_or_b64 exec, exec, s[0:1]
	s_waitcnt lgkmcnt(0)
	s_barrier
	s_barrier
	s_and_saveexec_b64 s[0:1], s[8:9]
; %bb.229:
	v_lshlrev_b32_e32 v23, 3, v20
	v_lshl_or_b32 v23, v21, 9, v23
	ds_write_b64 v23, v[11:12] offset:29056
; %bb.230:
	s_or_b64 exec, exec, s[0:1]
	v_cmp_gt_u32_e64 s[10:11], 8, v0
	s_and_b64 s[86:87], s[12:13], s[10:11]
	s_waitcnt lgkmcnt(0)
	s_barrier
	s_barrier
	s_and_saveexec_b64 s[0:1], s[86:87]
	s_cbranch_execz .LBB150_232
; %bb.231:
	v_lshlrev_b32_e32 v23, 9, v0
	ds_read_b64 v[11:12], v23 offset:29056
	s_movk_i32 s10, 0xfe08
	v_mad_i32_i24 v24, v0, s10, v23
	s_waitcnt lgkmcnt(0)
	ds_write_b64 v24, v[11:12] offset:25024
	ds_read_b64 v[11:12], v23 offset:29064
	s_waitcnt lgkmcnt(0)
	ds_write_b64 v24, v[11:12] offset:25536
	ds_read_b64 v[11:12], v23 offset:29072
	;; [unrolled: 3-line block ×7, first 2 shown]
	s_waitcnt lgkmcnt(0)
	ds_write_b64 v24, v[11:12] offset:28608
.LBB150_232:
	s_or_b64 exec, exec, s[0:1]
	s_waitcnt lgkmcnt(0)
	s_barrier
	s_and_saveexec_b64 s[0:1], vcc
	s_cbranch_execz .LBB150_234
; %bb.233:
	s_movk_i32 s10, 0x1b0
	v_mov_b32_e32 v11, 0
	v_add_u32_e64 v23, s10, 0
	ds_read_b64 v[11:12], v11 offset:28600
	ds_read2st64_b64 v[23:26], v23 offset0:54 offset1:55
	s_movk_i32 s10, 0x6800
	s_waitcnt lgkmcnt(0)
	v_mul_f32_e32 v27, v12, v24
	v_mul_f32_e32 v24, v11, v24
	v_fma_f32 v27, v11, v23, -v27
	v_fmac_f32_e32 v24, v12, v23
	v_mul_f32_e32 v11, v24, v26
	v_mul_f32_e32 v12, v27, v26
	v_fma_f32 v11, v27, v25, -v11
	v_fmac_f32_e32 v12, v24, v25
	v_add_u32_e64 v23, s10, 0
	ds_write2_b64 v23, v[11:12], v[11:12] offset0:183 offset1:246
.LBB150_234:
	s_or_b64 exec, exec, s[0:1]
	v_mov_b32_e32 v11, 0
	v_mov_b32_e32 v12, 0
	s_waitcnt lgkmcnt(0)
	s_barrier
	buffer_wbinvl1_vol
	s_and_saveexec_b64 s[0:1], s[2:3]
	s_cbranch_execz .LBB150_238
; %bb.235:
	v_lshlrev_b32_e32 v11, 3, v13
	v_lshlrev_b32_e32 v23, 9, v14
	ds_read_b64 v[11:12], v11 offset:28064
	ds_read_b64 v[23:24], v23 offset:28080
	v_cmp_gt_u32_e64 s[10:11], 2, v16
	s_waitcnt lgkmcnt(0)
	v_mul_f32_e32 v25, v24, v12
	v_mul_f32_e32 v12, v23, v12
	v_fma_f32 v23, v23, v11, -v25
	v_fmac_f32_e32 v12, v24, v11
	v_add_f32_e32 v11, 0, v23
	v_add_f32_e32 v12, 0, v12
	s_and_saveexec_b64 s[14:15], s[10:11]
	s_cbranch_execz .LBB150_237
; %bb.236:
	v_lshlrev_b32_e32 v23, 3, v0
	v_mov_b32_e32 v25, 0
	ds_read_b64 v[23:24], v23 offset:28576
	ds_read_b64 v[25:26], v25 offset:28600
	s_waitcnt lgkmcnt(0)
	v_mul_f32_e32 v27, v26, v24
	v_mul_f32_e32 v24, v25, v24
	v_fma_f32 v25, v25, v23, -v27
	v_fmac_f32_e32 v24, v26, v23
	v_add_f32_e32 v11, v11, v25
	v_add_f32_e32 v12, v12, v24
.LBB150_237:
	s_or_b64 exec, exec, s[14:15]
.LBB150_238:
	s_or_b64 exec, exec, s[0:1]
	s_and_saveexec_b64 s[0:1], s[40:41]
	s_cbranch_execz .LBB150_240
; %bb.239:
	v_mov_b32_e32 v23, 0
	ds_read_b64 v[23:24], v23 offset:27560
	s_waitcnt lgkmcnt(0)
	v_mul_f32_e32 v25, v12, v24
	v_mul_f32_e32 v26, v11, v24
	v_fma_f32 v11, v11, v23, -v25
	v_fmac_f32_e32 v26, v12, v23
	v_xor_b32_e32 v23, 0x80000000, v11
	v_xor_b32_e32 v24, 0x80000000, v26
	v_mov_b32_e32 v12, v26
	ds_write_b64 v15, v[23:24]
.LBB150_240:
	s_or_b64 exec, exec, s[0:1]
	s_waitcnt lgkmcnt(0)
	s_barrier
	s_and_saveexec_b64 s[0:1], s[38:39]
	s_cbranch_execz .LBB150_242
; %bb.241:
	v_mov_b32_e32 v23, 0
	ds_read_b64 v[23:24], v23 offset:27552
	ds_read_b64 v[25:26], v15
	s_waitcnt lgkmcnt(0)
	v_mul_f32_e32 v27, v26, v24
	v_mul_f32_e32 v24, v25, v24
	v_fma_f32 v25, v25, v23, -v27
	v_fmac_f32_e32 v24, v26, v23
	v_sub_f32_e32 v11, v11, v25
	v_sub_f32_e32 v12, v12, v24
.LBB150_242:
	s_or_b64 exec, exec, s[0:1]
	s_barrier
	s_and_saveexec_b64 s[0:1], s[38:39]
	s_cbranch_execz .LBB150_244
; %bb.243:
	v_mov_b32_e32 v23, 0
	ds_read_b64 v[23:24], v23 offset:27040
	s_waitcnt lgkmcnt(0)
	v_mul_f32_e32 v25, v12, v24
	v_mul_f32_e32 v26, v11, v24
	v_fma_f32 v11, v11, v23, -v25
	v_fmac_f32_e32 v26, v12, v23
	v_xor_b32_e32 v23, 0x80000000, v11
	v_xor_b32_e32 v24, 0x80000000, v26
	v_mov_b32_e32 v12, v26
	ds_write_b64 v15, v[23:24]
.LBB150_244:
	s_or_b64 exec, exec, s[0:1]
	s_waitcnt lgkmcnt(0)
	s_barrier
	s_barrier
	s_and_saveexec_b64 s[0:1], s[2:3]
; %bb.245:
	v_lshlrev_b32_e32 v23, 3, v13
	v_lshl_or_b32 v23, v14, 9, v23
	ds_write_b64 v23, v[11:12] offset:28064
; %bb.246:
	s_or_b64 exec, exec, s[0:1]
	s_waitcnt lgkmcnt(0)
	s_barrier
	s_barrier
	s_and_saveexec_b64 s[0:1], s[42:43]
	s_cbranch_execz .LBB150_248
; %bb.247:
	v_lshlrev_b32_e32 v23, 3, v0
	s_movk_i32 s10, 0x1f8
	v_mad_u32_u24 v24, v0, s10, v23
	ds_read_b64 v[11:12], v24 offset:28064
	s_waitcnt lgkmcnt(0)
	ds_write_b64 v23, v[11:12] offset:27056
	ds_read_b64 v[11:12], v24 offset:28072
	s_waitcnt lgkmcnt(0)
	ds_write_b64 v23, v[11:12] offset:27568
.LBB150_248:
	s_or_b64 exec, exec, s[0:1]
	s_waitcnt lgkmcnt(0)
	s_barrier
	s_and_saveexec_b64 s[0:1], vcc
	s_cbranch_execz .LBB150_250
; %bb.249:
	s_movk_i32 s10, 0x1a0
	v_mov_b32_e32 v11, 0
	v_add_u32_e64 v23, s10, 0
	ds_read_b64 v[11:12], v11 offset:27560
	ds_read2st64_b64 v[23:26], v23 offset0:52 offset1:53
	s_movk_i32 s10, 0x6800
	s_waitcnt lgkmcnt(0)
	v_mul_f32_e32 v27, v12, v24
	v_mul_f32_e32 v24, v11, v24
	v_fma_f32 v27, v11, v23, -v27
	v_fmac_f32_e32 v24, v12, v23
	v_mul_f32_e32 v11, v24, v26
	v_mul_f32_e32 v12, v27, v26
	v_fma_f32 v11, v27, v25, -v11
	v_fmac_f32_e32 v12, v24, v25
	v_add_u32_e64 v23, s10, 0
	ds_write2_b64 v23, v[11:12], v[11:12] offset0:53 offset1:116
.LBB150_250:
	s_or_b64 exec, exec, s[0:1]
	v_mov_b32_e32 v12, 0
	v_mov_b32_e32 v11, 0
	s_waitcnt lgkmcnt(0)
	s_barrier
	buffer_wbinvl1_vol
	s_and_saveexec_b64 s[0:1], s[18:19]
	s_cbranch_execz .LBB150_256
; %bb.251:
	v_lshlrev_b32_e32 v23, 3, v17
	v_lshlrev_b32_e32 v24, 9, v18
	ds_read_b64 v[11:12], v23 offset:27008
	ds_read_b64 v[25:26], v24 offset:27040
	v_cmp_gt_u32_e64 s[10:11], 12, v16
	s_waitcnt lgkmcnt(0)
	v_mul_f32_e32 v27, v26, v12
	v_mul_f32_e32 v12, v25, v12
	v_fma_f32 v25, v25, v11, -v27
	v_fmac_f32_e32 v12, v26, v11
	v_add_f32_e32 v11, 0, v25
	v_add_f32_e32 v12, 0, v12
	s_and_saveexec_b64 s[14:15], s[10:11]
	s_cbranch_execnz .LBB150_1133
; %bb.252:
	s_or_b64 exec, exec, s[14:15]
	v_cmp_gt_u32_e64 s[10:11], 8, v16
	s_and_saveexec_b64 s[14:15], s[10:11]
	s_cbranch_execnz .LBB150_1134
.LBB150_253:
	s_or_b64 exec, exec, s[14:15]
	v_cmp_gt_u32_e64 s[10:11], 4, v16
	s_and_saveexec_b64 s[14:15], s[10:11]
	s_cbranch_execz .LBB150_255
.LBB150_254:
	v_lshlrev_b32_e32 v23, 3, v0
	v_mov_b32_e32 v25, 0
	ds_read_b64 v[23:24], v23 offset:28544
	ds_read_b64 v[25:26], v25 offset:28600
	s_waitcnt lgkmcnt(0)
	v_mul_f32_e32 v27, v26, v24
	v_mul_f32_e32 v24, v25, v24
	v_fma_f32 v25, v25, v23, -v27
	v_fmac_f32_e32 v24, v26, v23
	v_add_f32_e32 v11, v11, v25
	v_add_f32_e32 v12, v12, v24
.LBB150_255:
	s_or_b64 exec, exec, s[14:15]
.LBB150_256:
	s_or_b64 exec, exec, s[0:1]
	s_and_saveexec_b64 s[0:1], s[46:47]
	s_cbranch_execz .LBB150_258
; %bb.257:
	v_mov_b32_e32 v23, 0
	ds_read_b64 v[23:24], v23 offset:26520
	s_waitcnt lgkmcnt(0)
	v_mul_f32_e32 v25, v12, v24
	v_mul_f32_e32 v26, v11, v24
	v_fma_f32 v11, v11, v23, -v25
	v_fmac_f32_e32 v26, v12, v23
	v_xor_b32_e32 v23, 0x80000000, v11
	v_xor_b32_e32 v24, 0x80000000, v26
	v_mov_b32_e32 v12, v26
	ds_write_b64 v19, v[23:24]
.LBB150_258:
	s_or_b64 exec, exec, s[0:1]
	s_waitcnt lgkmcnt(0)
	s_barrier
	s_and_saveexec_b64 s[0:1], s[48:49]
	s_cbranch_execz .LBB150_260
; %bb.259:
	v_lshlrev_b32_e32 v23, 3, v17
	ds_read_b64 v[23:24], v23 offset:26496
	ds_read_b64 v[25:26], v19
	s_waitcnt lgkmcnt(0)
	v_mul_f32_e32 v27, v26, v24
	v_mul_f32_e32 v24, v25, v24
	v_fma_f32 v25, v25, v23, -v27
	v_fmac_f32_e32 v24, v26, v23
	v_sub_f32_e32 v11, v11, v25
	v_sub_f32_e32 v12, v12, v24
.LBB150_260:
	s_or_b64 exec, exec, s[0:1]
	s_barrier
	s_and_saveexec_b64 s[0:1], s[50:51]
	s_cbranch_execz .LBB150_262
; %bb.261:
	v_mov_b32_e32 v23, 0
	ds_read_b64 v[23:24], v23 offset:26000
	s_waitcnt lgkmcnt(0)
	v_mul_f32_e32 v25, v12, v24
	v_mul_f32_e32 v26, v11, v24
	v_fma_f32 v11, v11, v23, -v25
	v_fmac_f32_e32 v26, v12, v23
	v_xor_b32_e32 v23, 0x80000000, v11
	v_xor_b32_e32 v24, 0x80000000, v26
	v_mov_b32_e32 v12, v26
	ds_write_b64 v19, v[23:24]
.LBB150_262:
	s_or_b64 exec, exec, s[0:1]
	s_waitcnt lgkmcnt(0)
	s_barrier
	s_and_saveexec_b64 s[0:1], s[52:53]
	s_cbranch_execz .LBB150_264
; %bb.263:
	v_lshlrev_b32_e32 v23, 3, v17
	ds_read_b64 v[23:24], v23 offset:25984
	ds_read_b64 v[25:26], v19
	s_waitcnt lgkmcnt(0)
	v_mul_f32_e32 v27, v26, v24
	v_mul_f32_e32 v24, v25, v24
	v_fma_f32 v25, v25, v23, -v27
	v_fmac_f32_e32 v24, v26, v23
	v_sub_f32_e32 v11, v11, v25
	v_sub_f32_e32 v12, v12, v24
.LBB150_264:
	s_or_b64 exec, exec, s[0:1]
	s_barrier
	s_and_saveexec_b64 s[0:1], s[54:55]
	s_cbranch_execz .LBB150_266
; %bb.265:
	v_mov_b32_e32 v23, 0
	ds_read_b64 v[23:24], v23 offset:25480
	s_waitcnt lgkmcnt(0)
	v_mul_f32_e32 v25, v12, v24
	v_mul_f32_e32 v26, v11, v24
	v_fma_f32 v11, v11, v23, -v25
	v_fmac_f32_e32 v26, v12, v23
	v_xor_b32_e32 v23, 0x80000000, v11
	v_xor_b32_e32 v24, 0x80000000, v26
	v_mov_b32_e32 v12, v26
	ds_write_b64 v19, v[23:24]
.LBB150_266:
	s_or_b64 exec, exec, s[0:1]
	s_waitcnt lgkmcnt(0)
	s_barrier
	s_and_saveexec_b64 s[0:1], s[44:45]
	s_cbranch_execz .LBB150_268
; %bb.267:
	v_mov_b32_e32 v23, 0
	ds_read_b64 v[23:24], v23 offset:25472
	ds_read_b64 v[25:26], v19
	s_waitcnt lgkmcnt(0)
	v_mul_f32_e32 v27, v26, v24
	v_mul_f32_e32 v24, v25, v24
	v_fma_f32 v25, v25, v23, -v27
	v_fmac_f32_e32 v24, v26, v23
	v_sub_f32_e32 v11, v11, v25
	v_sub_f32_e32 v12, v12, v24
.LBB150_268:
	s_or_b64 exec, exec, s[0:1]
	s_barrier
	s_and_saveexec_b64 s[0:1], s[44:45]
	s_cbranch_execz .LBB150_270
; %bb.269:
	v_mov_b32_e32 v23, 0
	ds_read_b64 v[23:24], v23 offset:24960
	s_waitcnt lgkmcnt(0)
	v_mul_f32_e32 v25, v12, v24
	v_mul_f32_e32 v26, v11, v24
	v_fma_f32 v11, v11, v23, -v25
	v_fmac_f32_e32 v26, v12, v23
	v_xor_b32_e32 v23, 0x80000000, v11
	v_xor_b32_e32 v24, 0x80000000, v26
	v_mov_b32_e32 v12, v26
	ds_write_b64 v19, v[23:24]
.LBB150_270:
	s_or_b64 exec, exec, s[0:1]
	s_waitcnt lgkmcnt(0)
	s_barrier
	s_barrier
	s_and_saveexec_b64 s[0:1], s[18:19]
; %bb.271:
	v_lshlrev_b32_e32 v23, 3, v17
	v_lshl_or_b32 v23, v18, 9, v23
	ds_write_b64 v23, v[11:12] offset:27008
; %bb.272:
	s_or_b64 exec, exec, s[0:1]
	s_waitcnt lgkmcnt(0)
	s_barrier
	s_barrier
	s_and_saveexec_b64 s[0:1], s[56:57]
	s_cbranch_execz .LBB150_274
; %bb.273:
	v_lshlrev_b32_e32 v23, 9, v0
	ds_read_b64 v[11:12], v23 offset:27008
	s_movk_i32 s10, 0xfe08
	v_mad_i32_i24 v24, v0, s10, v23
	s_waitcnt lgkmcnt(0)
	ds_write_b64 v24, v[11:12] offset:24992
	ds_read_b64 v[11:12], v23 offset:27016
	s_waitcnt lgkmcnt(0)
	ds_write_b64 v24, v[11:12] offset:25504
	ds_read_b64 v[11:12], v23 offset:27024
	;; [unrolled: 3-line block ×3, first 2 shown]
	s_waitcnt lgkmcnt(0)
	ds_write_b64 v24, v[11:12] offset:26528
.LBB150_274:
	s_or_b64 exec, exec, s[0:1]
	s_waitcnt lgkmcnt(0)
	s_barrier
	s_and_saveexec_b64 s[0:1], vcc
	s_cbranch_execz .LBB150_276
; %bb.275:
	s_movk_i32 s10, 0x190
	v_mov_b32_e32 v11, 0
	v_add_u32_e64 v23, s10, 0
	ds_read_b64 v[11:12], v11 offset:26520
	ds_read2st64_b64 v[23:26], v23 offset0:50 offset1:51
	s_movk_i32 s10, 0x6000
	s_waitcnt lgkmcnt(0)
	v_mul_f32_e32 v27, v12, v24
	v_mul_f32_e32 v24, v11, v24
	v_fma_f32 v27, v11, v23, -v27
	v_fmac_f32_e32 v24, v12, v23
	v_mul_f32_e32 v11, v24, v26
	v_mul_f32_e32 v12, v27, v26
	v_fma_f32 v11, v27, v25, -v11
	v_fmac_f32_e32 v12, v24, v25
	v_add_u32_e64 v23, s10, 0
	ds_write2_b64 v23, v[11:12], v[11:12] offset0:179 offset1:242
.LBB150_276:
	s_or_b64 exec, exec, s[0:1]
	v_mov_b32_e32 v11, 0
	v_mov_b32_e32 v12, 0
	s_waitcnt lgkmcnt(0)
	s_barrier
	buffer_wbinvl1_vol
	s_and_saveexec_b64 s[0:1], s[2:3]
	s_cbranch_execz .LBB150_280
; %bb.277:
	v_lshlrev_b32_e32 v11, 3, v13
	v_lshlrev_b32_e32 v23, 9, v14
	ds_read_b64 v[11:12], v11 offset:25984
	ds_read_b64 v[23:24], v23 offset:26000
	v_cmp_gt_u32_e64 s[10:11], 2, v16
	s_waitcnt lgkmcnt(0)
	v_mul_f32_e32 v25, v24, v12
	v_mul_f32_e32 v12, v23, v12
	v_fma_f32 v23, v23, v11, -v25
	v_fmac_f32_e32 v12, v24, v11
	v_add_f32_e32 v11, 0, v23
	v_add_f32_e32 v12, 0, v12
	s_and_saveexec_b64 s[14:15], s[10:11]
	s_cbranch_execz .LBB150_279
; %bb.278:
	v_lshlrev_b32_e32 v23, 3, v0
	v_mov_b32_e32 v25, 0
	ds_read_b64 v[23:24], v23 offset:26496
	ds_read_b64 v[25:26], v25 offset:26520
	s_waitcnt lgkmcnt(0)
	v_mul_f32_e32 v27, v26, v24
	v_mul_f32_e32 v24, v25, v24
	v_fma_f32 v25, v25, v23, -v27
	v_fmac_f32_e32 v24, v26, v23
	v_add_f32_e32 v11, v11, v25
	v_add_f32_e32 v12, v12, v24
.LBB150_279:
	s_or_b64 exec, exec, s[14:15]
.LBB150_280:
	s_or_b64 exec, exec, s[0:1]
	s_and_saveexec_b64 s[0:1], s[40:41]
	s_cbranch_execz .LBB150_282
; %bb.281:
	v_mov_b32_e32 v23, 0
	ds_read_b64 v[23:24], v23 offset:25480
	s_waitcnt lgkmcnt(0)
	v_mul_f32_e32 v25, v12, v24
	v_mul_f32_e32 v26, v11, v24
	v_fma_f32 v11, v11, v23, -v25
	v_fmac_f32_e32 v26, v12, v23
	v_xor_b32_e32 v23, 0x80000000, v11
	v_xor_b32_e32 v24, 0x80000000, v26
	v_mov_b32_e32 v12, v26
	ds_write_b64 v15, v[23:24]
.LBB150_282:
	s_or_b64 exec, exec, s[0:1]
	s_waitcnt lgkmcnt(0)
	s_barrier
	s_and_saveexec_b64 s[0:1], s[38:39]
	s_cbranch_execz .LBB150_284
; %bb.283:
	v_mov_b32_e32 v23, 0
	ds_read_b64 v[23:24], v23 offset:25472
	ds_read_b64 v[25:26], v15
	s_waitcnt lgkmcnt(0)
	v_mul_f32_e32 v27, v26, v24
	v_mul_f32_e32 v24, v25, v24
	v_fma_f32 v25, v25, v23, -v27
	v_fmac_f32_e32 v24, v26, v23
	v_sub_f32_e32 v11, v11, v25
	v_sub_f32_e32 v12, v12, v24
.LBB150_284:
	s_or_b64 exec, exec, s[0:1]
	s_barrier
	s_and_saveexec_b64 s[0:1], s[38:39]
	s_cbranch_execz .LBB150_286
; %bb.285:
	v_mov_b32_e32 v23, 0
	ds_read_b64 v[23:24], v23 offset:24960
	s_waitcnt lgkmcnt(0)
	v_mul_f32_e32 v25, v12, v24
	v_mul_f32_e32 v26, v11, v24
	v_fma_f32 v11, v11, v23, -v25
	v_fmac_f32_e32 v26, v12, v23
	v_xor_b32_e32 v23, 0x80000000, v11
	v_xor_b32_e32 v24, 0x80000000, v26
	v_mov_b32_e32 v12, v26
	ds_write_b64 v15, v[23:24]
.LBB150_286:
	s_or_b64 exec, exec, s[0:1]
	s_waitcnt lgkmcnt(0)
	s_barrier
	s_barrier
	s_and_saveexec_b64 s[0:1], s[2:3]
; %bb.287:
	v_lshlrev_b32_e32 v23, 3, v13
	v_lshl_or_b32 v23, v14, 9, v23
	ds_write_b64 v23, v[11:12] offset:25984
; %bb.288:
	s_or_b64 exec, exec, s[0:1]
	s_waitcnt lgkmcnt(0)
	s_barrier
	s_barrier
	s_and_saveexec_b64 s[0:1], s[42:43]
	s_cbranch_execz .LBB150_290
; %bb.289:
	v_lshlrev_b32_e32 v23, 3, v0
	s_movk_i32 s10, 0x1f8
	v_mad_u32_u24 v24, v0, s10, v23
	ds_read_b64 v[11:12], v24 offset:25984
	s_waitcnt lgkmcnt(0)
	ds_write_b64 v23, v[11:12] offset:24976
	ds_read_b64 v[11:12], v24 offset:25992
	s_waitcnt lgkmcnt(0)
	ds_write_b64 v23, v[11:12] offset:25488
.LBB150_290:
	s_or_b64 exec, exec, s[0:1]
	s_waitcnt lgkmcnt(0)
	s_barrier
	s_and_saveexec_b64 s[0:1], vcc
	s_cbranch_execz .LBB150_292
; %bb.291:
	s_movk_i32 s10, 0x180
	v_mov_b32_e32 v11, 0
	v_add_u32_e64 v23, s10, 0
	ds_read_b64 v[11:12], v11 offset:25480
	ds_read2st64_b64 v[23:26], v23 offset0:48 offset1:49
	s_movk_i32 s10, 0x6000
	s_waitcnt lgkmcnt(0)
	v_mul_f32_e32 v27, v12, v24
	v_mul_f32_e32 v24, v11, v24
	v_fma_f32 v27, v11, v23, -v27
	v_fmac_f32_e32 v24, v12, v23
	v_mul_f32_e32 v11, v24, v26
	v_mul_f32_e32 v12, v27, v26
	v_fma_f32 v11, v27, v25, -v11
	v_fmac_f32_e32 v12, v24, v25
	v_add_u32_e64 v23, s10, 0
	ds_write2_b64 v23, v[11:12], v[11:12] offset0:49 offset1:112
.LBB150_292:
	s_or_b64 exec, exec, s[0:1]
	s_movk_i32 s0, 0xff
	v_lshrrev_b32_e32 v25, 4, v16
	v_cmp_lt_u32_e64 s[14:15], s0, v16
	s_movk_i32 s0, 0x100
	v_and_b32_e32 v23, 15, v0
	v_sub_u32_e32 v24, 15, v25
	v_cmp_gt_u32_e64 s[10:11], s0, v16
	v_mov_b32_e32 v12, 0
	v_mov_b32_e32 v11, 0
	s_waitcnt lgkmcnt(0)
	s_barrier
	buffer_wbinvl1_vol
	s_and_saveexec_b64 s[0:1], s[10:11]
	s_cbranch_execz .LBB150_320
; %bb.293:
	v_lshlrev_b32_e32 v26, 3, v23
	v_lshlrev_b32_e32 v27, 9, v24
	ds_read_b64 v[11:12], v26 offset:24832
	ds_read_b64 v[28:29], v27 offset:24960
	s_movk_i32 s16, 0xf0
	v_cmp_gt_u32_e64 s[16:17], s16, v16
	s_waitcnt lgkmcnt(0)
	v_mul_f32_e32 v30, v29, v12
	v_mul_f32_e32 v12, v28, v12
	v_fma_f32 v28, v28, v11, -v30
	v_fmac_f32_e32 v12, v29, v11
	v_add_f32_e32 v11, 0, v28
	v_add_f32_e32 v12, 0, v12
	s_and_saveexec_b64 s[20:21], s[16:17]
	s_cbranch_execz .LBB150_295
; %bb.294:
	ds_read_b64 v[28:29], v26 offset:25344
	ds_read_b64 v[30:31], v27 offset:24968
	s_waitcnt lgkmcnt(0)
	v_mul_f32_e32 v32, v31, v29
	v_mul_f32_e32 v29, v30, v29
	v_fma_f32 v30, v30, v28, -v32
	v_fmac_f32_e32 v29, v31, v28
	v_add_f32_e32 v11, v11, v30
	v_add_f32_e32 v12, v12, v29
.LBB150_295:
	s_or_b64 exec, exec, s[20:21]
	s_movk_i32 s16, 0xe0
	v_cmp_gt_u32_e64 s[16:17], s16, v16
	s_and_saveexec_b64 s[20:21], s[16:17]
	s_cbranch_execz .LBB150_297
; %bb.296:
	ds_read_b64 v[28:29], v26 offset:25856
	ds_read_b64 v[30:31], v27 offset:24976
	s_waitcnt lgkmcnt(0)
	v_mul_f32_e32 v32, v31, v29
	v_mul_f32_e32 v29, v30, v29
	v_fma_f32 v30, v30, v28, -v32
	v_fmac_f32_e32 v29, v31, v28
	v_add_f32_e32 v11, v11, v30
	v_add_f32_e32 v12, v12, v29
.LBB150_297:
	s_or_b64 exec, exec, s[20:21]
	s_movk_i32 s16, 0xd0
	v_cmp_gt_u32_e64 s[16:17], s16, v16
	;; [unrolled: 16-line block ×10, first 2 shown]
	s_and_saveexec_b64 s[20:21], s[16:17]
	s_cbranch_execnz .LBB150_1135
; %bb.314:
	s_or_b64 exec, exec, s[20:21]
	s_and_saveexec_b64 s[16:17], s[8:9]
	s_cbranch_execnz .LBB150_1136
.LBB150_315:
	s_or_b64 exec, exec, s[16:17]
	v_cmp_gt_u32_e64 s[16:17], 48, v16
	s_and_saveexec_b64 s[20:21], s[16:17]
	s_cbranch_execnz .LBB150_1137
.LBB150_316:
	s_or_b64 exec, exec, s[20:21]
	v_cmp_gt_u32_e64 s[16:17], 32, v16
	s_and_saveexec_b64 s[20:21], s[16:17]
	s_cbranch_execnz .LBB150_1138
.LBB150_317:
	s_or_b64 exec, exec, s[20:21]
	v_cmp_gt_u32_e64 s[16:17], 16, v16
	s_and_saveexec_b64 s[20:21], s[16:17]
	s_cbranch_execz .LBB150_319
.LBB150_318:
	v_lshlrev_b32_e32 v26, 3, v0
	v_mov_b32_e32 v28, 0
	ds_read_b64 v[26:27], v26 offset:32512
	ds_read_b64 v[28:29], v28 offset:32760
	s_waitcnt lgkmcnt(0)
	v_mul_f32_e32 v30, v29, v27
	v_mul_f32_e32 v27, v28, v27
	v_fma_f32 v28, v28, v26, -v30
	v_fmac_f32_e32 v27, v29, v26
	v_add_f32_e32 v11, v11, v28
	v_add_f32_e32 v12, v12, v27
.LBB150_319:
	s_or_b64 exec, exec, s[20:21]
.LBB150_320:
	s_or_b64 exec, exec, s[0:1]
	v_mov_b32_e32 v26, 0x8000
	v_lshl_add_u32 v25, v25, 3, v26
	v_cmp_eq_u32_e64 s[16:17], 15, v23
	s_xor_b64 s[0:1], s[14:15], -1
	s_and_b64 s[16:17], s[16:17], s[0:1]
	s_mov_b64 s[14:15], exec
	v_writelane_b32 v38, s16, 7
	v_writelane_b32 v38, s17, 8
	s_and_b64 s[16:17], s[14:15], s[16:17]
	s_mov_b64 exec, s[16:17]
	s_cbranch_execz .LBB150_322
; %bb.321:
	v_mov_b32_e32 v26, 0
	ds_read_b64 v[26:27], v26 offset:24440
	s_waitcnt lgkmcnt(0)
	v_mul_f32_e32 v28, v12, v27
	v_mul_f32_e32 v29, v11, v27
	v_fma_f32 v11, v11, v26, -v28
	v_fmac_f32_e32 v29, v12, v26
	v_xor_b32_e32 v26, 0x80000000, v11
	v_xor_b32_e32 v27, 0x80000000, v29
	v_mov_b32_e32 v12, v29
	ds_write_b64 v25, v[26:27]
.LBB150_322:
	s_or_b64 exec, exec, s[14:15]
	v_cmp_ne_u32_e64 s[14:15], 15, v23
	s_waitcnt lgkmcnt(0)
	s_barrier
	s_and_b64 s[16:17], s[14:15], s[0:1]
	s_mov_b64 s[14:15], exec
	v_writelane_b32 v38, s16, 9
	v_writelane_b32 v38, s17, 10
	s_and_b64 s[16:17], s[14:15], s[16:17]
	s_mov_b64 exec, s[16:17]
	s_cbranch_execz .LBB150_324
; %bb.323:
	v_lshlrev_b32_e32 v26, 3, v23
	ds_read_b64 v[26:27], v26 offset:24320
	ds_read_b64 v[28:29], v25
	s_waitcnt lgkmcnt(0)
	v_mul_f32_e32 v30, v29, v27
	v_mul_f32_e32 v27, v28, v27
	v_fma_f32 v28, v28, v26, -v30
	v_fmac_f32_e32 v27, v29, v26
	v_sub_f32_e32 v11, v11, v28
	v_sub_f32_e32 v12, v12, v27
.LBB150_324:
	s_or_b64 exec, exec, s[14:15]
	v_cmp_eq_u32_e64 s[14:15], 14, v23
	s_barrier
	s_and_b64 s[16:17], s[14:15], s[0:1]
	s_mov_b64 s[14:15], exec
	v_writelane_b32 v38, s16, 11
	v_writelane_b32 v38, s17, 12
	s_and_b64 s[16:17], s[14:15], s[16:17]
	s_mov_b64 exec, s[16:17]
	s_cbranch_execz .LBB150_326
; %bb.325:
	v_mov_b32_e32 v26, 0
	ds_read_b64 v[26:27], v26 offset:23920
	s_waitcnt lgkmcnt(0)
	v_mul_f32_e32 v28, v12, v27
	v_mul_f32_e32 v29, v11, v27
	v_fma_f32 v11, v11, v26, -v28
	v_fmac_f32_e32 v29, v12, v26
	v_xor_b32_e32 v26, 0x80000000, v11
	v_xor_b32_e32 v27, 0x80000000, v29
	v_mov_b32_e32 v12, v29
	ds_write_b64 v25, v[26:27]
.LBB150_326:
	s_or_b64 exec, exec, s[14:15]
	v_cmp_gt_u32_e64 s[14:15], 14, v23
	s_waitcnt lgkmcnt(0)
	s_barrier
	s_and_b64 s[16:17], s[14:15], s[0:1]
	s_mov_b64 s[14:15], exec
	v_writelane_b32 v38, s16, 13
	v_writelane_b32 v38, s17, 14
	s_and_b64 s[16:17], s[14:15], s[16:17]
	s_mov_b64 exec, s[16:17]
	s_cbranch_execz .LBB150_328
; %bb.327:
	v_lshlrev_b32_e32 v26, 3, v23
	ds_read_b64 v[26:27], v26 offset:23808
	ds_read_b64 v[28:29], v25
	s_waitcnt lgkmcnt(0)
	v_mul_f32_e32 v30, v29, v27
	v_mul_f32_e32 v27, v28, v27
	v_fma_f32 v28, v28, v26, -v30
	v_fmac_f32_e32 v27, v29, v26
	v_sub_f32_e32 v11, v11, v28
	v_sub_f32_e32 v12, v12, v27
.LBB150_328:
	s_or_b64 exec, exec, s[14:15]
	v_cmp_eq_u32_e64 s[14:15], 13, v23
	s_barrier
	s_and_b64 s[16:17], s[14:15], s[0:1]
	s_mov_b64 s[14:15], exec
	v_writelane_b32 v38, s16, 15
	v_writelane_b32 v38, s17, 16
	s_and_b64 s[16:17], s[14:15], s[16:17]
	s_mov_b64 exec, s[16:17]
	s_cbranch_execz .LBB150_330
; %bb.329:
	v_mov_b32_e32 v26, 0
	ds_read_b64 v[26:27], v26 offset:23400
	s_waitcnt lgkmcnt(0)
	v_mul_f32_e32 v28, v12, v27
	v_mul_f32_e32 v29, v11, v27
	v_fma_f32 v11, v11, v26, -v28
	v_fmac_f32_e32 v29, v12, v26
	v_xor_b32_e32 v26, 0x80000000, v11
	v_xor_b32_e32 v27, 0x80000000, v29
	v_mov_b32_e32 v12, v29
	ds_write_b64 v25, v[26:27]
.LBB150_330:
	s_or_b64 exec, exec, s[14:15]
	v_cmp_gt_u32_e64 s[14:15], 13, v23
	;; [unrolled: 46-line block ×13, first 2 shown]
	s_waitcnt lgkmcnt(0)
	s_barrier
	s_and_b64 s[16:17], s[14:15], s[0:1]
	s_mov_b64 s[14:15], exec
	v_writelane_b32 v38, s16, 61
	v_writelane_b32 v38, s17, 62
	s_and_b64 s[16:17], s[14:15], s[16:17]
	s_mov_b64 exec, s[16:17]
	s_cbranch_execz .LBB150_376
; %bb.375:
	v_lshlrev_b32_e32 v26, 3, v23
	ds_read_b64 v[26:27], v26 offset:17664
	ds_read_b64 v[28:29], v25
	s_waitcnt lgkmcnt(0)
	v_mul_f32_e32 v30, v29, v27
	v_mul_f32_e32 v27, v28, v27
	v_fma_f32 v28, v28, v26, -v30
	v_fmac_f32_e32 v27, v29, v26
	v_sub_f32_e32 v11, v11, v28
	v_sub_f32_e32 v12, v12, v27
.LBB150_376:
	s_or_b64 exec, exec, s[14:15]
	v_cmp_eq_u32_e64 s[14:15], 1, v23
	s_and_b64 s[92:93], s[14:15], s[0:1]
	s_barrier
	s_and_saveexec_b64 s[14:15], s[92:93]
	s_cbranch_execz .LBB150_378
; %bb.377:
	v_mov_b32_e32 v26, 0
	ds_read_b64 v[26:27], v26 offset:17160
	s_waitcnt lgkmcnt(0)
	v_mul_f32_e32 v28, v12, v27
	v_mul_f32_e32 v29, v11, v27
	v_fma_f32 v11, v11, v26, -v28
	v_fmac_f32_e32 v29, v12, v26
	v_xor_b32_e32 v26, 0x80000000, v11
	v_xor_b32_e32 v27, 0x80000000, v29
	v_mov_b32_e32 v12, v29
	ds_write_b64 v25, v[26:27]
.LBB150_378:
	s_or_b64 exec, exec, s[14:15]
	v_cmp_eq_u32_e64 s[14:15], 0, v23
	s_and_b64 s[34:35], s[14:15], s[0:1]
	s_waitcnt lgkmcnt(0)
	s_barrier
	s_and_saveexec_b64 s[0:1], s[34:35]
	s_cbranch_execz .LBB150_380
; %bb.379:
	v_mov_b32_e32 v26, 0
	ds_read_b64 v[26:27], v26 offset:17152
	ds_read_b64 v[28:29], v25
	s_waitcnt lgkmcnt(0)
	v_mul_f32_e32 v30, v29, v27
	v_mul_f32_e32 v27, v28, v27
	v_fma_f32 v28, v28, v26, -v30
	v_fmac_f32_e32 v27, v29, v26
	v_sub_f32_e32 v11, v11, v28
	v_sub_f32_e32 v12, v12, v27
.LBB150_380:
	s_or_b64 exec, exec, s[0:1]
	s_barrier
	s_and_saveexec_b64 s[0:1], s[34:35]
	s_cbranch_execz .LBB150_382
; %bb.381:
	v_mov_b32_e32 v26, 0
	ds_read_b64 v[26:27], v26 offset:16640
	s_waitcnt lgkmcnt(0)
	v_mul_f32_e32 v28, v12, v27
	v_mul_f32_e32 v29, v11, v27
	v_fma_f32 v11, v11, v26, -v28
	v_fmac_f32_e32 v29, v12, v26
	v_xor_b32_e32 v26, 0x80000000, v11
	v_xor_b32_e32 v27, 0x80000000, v29
	v_mov_b32_e32 v12, v29
	ds_write_b64 v25, v[26:27]
.LBB150_382:
	s_or_b64 exec, exec, s[0:1]
	s_waitcnt lgkmcnt(0)
	s_barrier
	s_barrier
	s_and_saveexec_b64 s[0:1], s[10:11]
; %bb.383:
	v_lshlrev_b32_e32 v26, 3, v23
	v_lshl_or_b32 v26, v24, 9, v26
	ds_write_b64 v26, v[11:12] offset:24832
; %bb.384:
	s_or_b64 exec, exec, s[0:1]
	v_cmp_gt_u32_e64 s[14:15], 16, v0
	s_and_b64 s[0:1], s[12:13], s[14:15]
	s_waitcnt lgkmcnt(0)
	s_barrier
	s_barrier
	s_and_saveexec_b64 s[14:15], s[0:1]
	s_cbranch_execz .LBB150_386
; %bb.385:
	v_lshlrev_b32_e32 v26, 9, v0
	ds_read_b64 v[11:12], v26 offset:24832
	s_movk_i32 s16, 0xfe08
	v_mad_i32_i24 v27, v0, s16, v26
	s_waitcnt lgkmcnt(0)
	ds_write_b64 v27, v[11:12] offset:16768
	ds_read_b64 v[11:12], v26 offset:24840
	s_waitcnt lgkmcnt(0)
	ds_write_b64 v27, v[11:12] offset:17280
	ds_read_b64 v[11:12], v26 offset:24848
	;; [unrolled: 3-line block ×15, first 2 shown]
	s_waitcnt lgkmcnt(0)
	ds_write_b64 v27, v[11:12] offset:24448
.LBB150_386:
	s_or_b64 exec, exec, s[14:15]
	s_waitcnt lgkmcnt(0)
	s_barrier
	s_and_saveexec_b64 s[14:15], vcc
	s_cbranch_execz .LBB150_388
; %bb.387:
	s_movk_i32 s16, 0x170
	v_mov_b32_e32 v11, 0
	v_add_u32_e64 v26, s16, 0
	ds_read_b64 v[11:12], v11 offset:24440
	ds_read2st64_b64 v[26:29], v26 offset0:46 offset1:47
	s_movk_i32 s16, 0x5800
	s_waitcnt lgkmcnt(0)
	v_mul_f32_e32 v30, v12, v27
	v_mul_f32_e32 v27, v11, v27
	v_fma_f32 v30, v11, v26, -v30
	v_fmac_f32_e32 v27, v12, v26
	v_mul_f32_e32 v11, v27, v29
	v_mul_f32_e32 v12, v30, v29
	v_fma_f32 v11, v30, v28, -v11
	v_fmac_f32_e32 v12, v27, v28
	v_add_u32_e64 v26, s16, 0
	ds_write2_b64 v26, v[11:12], v[11:12] offset0:175 offset1:238
.LBB150_388:
	s_or_b64 exec, exec, s[14:15]
	v_mov_b32_e32 v11, 0
	v_mov_b32_e32 v12, 0
	s_waitcnt lgkmcnt(0)
	s_barrier
	buffer_wbinvl1_vol
	s_and_saveexec_b64 s[16:17], s[2:3]
	s_cbranch_execz .LBB150_392
; %bb.389:
	v_lshlrev_b32_e32 v11, 3, v13
	v_lshlrev_b32_e32 v26, 9, v14
	ds_read_b64 v[11:12], v11 offset:23904
	ds_read_b64 v[26:27], v26 offset:23920
	v_cmp_gt_u32_e64 s[14:15], 2, v16
	s_waitcnt lgkmcnt(0)
	v_mul_f32_e32 v28, v27, v12
	v_mul_f32_e32 v12, v26, v12
	v_fma_f32 v26, v26, v11, -v28
	v_fmac_f32_e32 v12, v27, v11
	v_add_f32_e32 v11, 0, v26
	v_add_f32_e32 v12, 0, v12
	s_and_saveexec_b64 s[20:21], s[14:15]
	s_cbranch_execz .LBB150_391
; %bb.390:
	v_lshlrev_b32_e32 v26, 3, v0
	v_mov_b32_e32 v28, 0
	ds_read_b64 v[26:27], v26 offset:24416
	ds_read_b64 v[28:29], v28 offset:24440
	s_waitcnt lgkmcnt(0)
	v_mul_f32_e32 v30, v29, v27
	v_mul_f32_e32 v27, v28, v27
	v_fma_f32 v28, v28, v26, -v30
	v_fmac_f32_e32 v27, v29, v26
	v_add_f32_e32 v11, v11, v28
	v_add_f32_e32 v12, v12, v27
.LBB150_391:
	s_or_b64 exec, exec, s[20:21]
.LBB150_392:
	s_or_b64 exec, exec, s[16:17]
	s_and_saveexec_b64 s[14:15], s[40:41]
	s_cbranch_execz .LBB150_394
; %bb.393:
	v_mov_b32_e32 v26, 0
	ds_read_b64 v[26:27], v26 offset:23400
	s_waitcnt lgkmcnt(0)
	v_mul_f32_e32 v28, v12, v27
	v_mul_f32_e32 v29, v11, v27
	v_fma_f32 v11, v11, v26, -v28
	v_fmac_f32_e32 v29, v12, v26
	v_xor_b32_e32 v26, 0x80000000, v11
	v_xor_b32_e32 v27, 0x80000000, v29
	v_mov_b32_e32 v12, v29
	ds_write_b64 v15, v[26:27]
.LBB150_394:
	s_or_b64 exec, exec, s[14:15]
	s_waitcnt lgkmcnt(0)
	s_barrier
	s_and_saveexec_b64 s[14:15], s[38:39]
	s_cbranch_execz .LBB150_396
; %bb.395:
	v_mov_b32_e32 v26, 0
	ds_read_b64 v[26:27], v26 offset:23392
	ds_read_b64 v[28:29], v15
	s_waitcnt lgkmcnt(0)
	v_mul_f32_e32 v30, v29, v27
	v_mul_f32_e32 v27, v28, v27
	v_fma_f32 v28, v28, v26, -v30
	v_fmac_f32_e32 v27, v29, v26
	v_sub_f32_e32 v11, v11, v28
	v_sub_f32_e32 v12, v12, v27
.LBB150_396:
	s_or_b64 exec, exec, s[14:15]
	s_barrier
	s_and_saveexec_b64 s[14:15], s[38:39]
	s_cbranch_execz .LBB150_398
; %bb.397:
	v_mov_b32_e32 v26, 0
	ds_read_b64 v[26:27], v26 offset:22880
	s_waitcnt lgkmcnt(0)
	v_mul_f32_e32 v28, v12, v27
	v_mul_f32_e32 v29, v11, v27
	v_fma_f32 v11, v11, v26, -v28
	v_fmac_f32_e32 v29, v12, v26
	v_xor_b32_e32 v26, 0x80000000, v11
	v_xor_b32_e32 v27, 0x80000000, v29
	v_mov_b32_e32 v12, v29
	ds_write_b64 v15, v[26:27]
.LBB150_398:
	s_or_b64 exec, exec, s[14:15]
	s_waitcnt lgkmcnt(0)
	s_barrier
	s_barrier
	s_and_saveexec_b64 s[14:15], s[2:3]
; %bb.399:
	v_lshlrev_b32_e32 v26, 3, v13
	v_lshl_or_b32 v26, v14, 9, v26
	ds_write_b64 v26, v[11:12] offset:23904
; %bb.400:
	s_or_b64 exec, exec, s[14:15]
	s_waitcnt lgkmcnt(0)
	s_barrier
	s_barrier
	s_and_saveexec_b64 s[14:15], s[42:43]
	s_cbranch_execz .LBB150_402
; %bb.401:
	v_lshlrev_b32_e32 v26, 3, v0
	s_movk_i32 s16, 0x1f8
	v_mad_u32_u24 v27, v0, s16, v26
	ds_read_b64 v[11:12], v27 offset:23904
	s_waitcnt lgkmcnt(0)
	ds_write_b64 v26, v[11:12] offset:22896
	ds_read_b64 v[11:12], v27 offset:23912
	s_waitcnt lgkmcnt(0)
	ds_write_b64 v26, v[11:12] offset:23408
.LBB150_402:
	s_or_b64 exec, exec, s[14:15]
	s_waitcnt lgkmcnt(0)
	s_barrier
	s_and_saveexec_b64 s[14:15], vcc
	s_cbranch_execz .LBB150_404
; %bb.403:
	s_movk_i32 s16, 0x160
	v_mov_b32_e32 v11, 0
	v_add_u32_e64 v26, s16, 0
	ds_read_b64 v[11:12], v11 offset:23400
	ds_read2st64_b64 v[26:29], v26 offset0:44 offset1:45
	s_movk_i32 s16, 0x5800
	s_waitcnt lgkmcnt(0)
	v_mul_f32_e32 v30, v12, v27
	v_mul_f32_e32 v27, v11, v27
	v_fma_f32 v30, v11, v26, -v30
	v_fmac_f32_e32 v27, v12, v26
	v_mul_f32_e32 v11, v27, v29
	v_mul_f32_e32 v12, v30, v29
	v_fma_f32 v11, v30, v28, -v11
	v_fmac_f32_e32 v12, v27, v28
	v_add_u32_e64 v26, s16, 0
	ds_write2_b64 v26, v[11:12], v[11:12] offset0:45 offset1:108
.LBB150_404:
	s_or_b64 exec, exec, s[14:15]
	v_mov_b32_e32 v12, 0
	v_mov_b32_e32 v11, 0
	s_waitcnt lgkmcnt(0)
	s_barrier
	buffer_wbinvl1_vol
	s_and_saveexec_b64 s[16:17], s[18:19]
	s_cbranch_execz .LBB150_410
; %bb.405:
	v_lshlrev_b32_e32 v26, 3, v17
	v_lshlrev_b32_e32 v27, 9, v18
	ds_read_b64 v[11:12], v26 offset:22848
	ds_read_b64 v[28:29], v27 offset:22880
	v_cmp_gt_u32_e64 s[14:15], 12, v16
	s_waitcnt lgkmcnt(0)
	v_mul_f32_e32 v30, v29, v12
	v_mul_f32_e32 v12, v28, v12
	v_fma_f32 v28, v28, v11, -v30
	v_fmac_f32_e32 v12, v29, v11
	v_add_f32_e32 v11, 0, v28
	v_add_f32_e32 v12, 0, v12
	s_and_saveexec_b64 s[20:21], s[14:15]
	s_cbranch_execnz .LBB150_1139
; %bb.406:
	s_or_b64 exec, exec, s[20:21]
	v_cmp_gt_u32_e64 s[14:15], 8, v16
	s_and_saveexec_b64 s[20:21], s[14:15]
	s_cbranch_execnz .LBB150_1140
.LBB150_407:
	s_or_b64 exec, exec, s[20:21]
	v_cmp_gt_u32_e64 s[14:15], 4, v16
	s_and_saveexec_b64 s[20:21], s[14:15]
	s_cbranch_execz .LBB150_409
.LBB150_408:
	v_lshlrev_b32_e32 v26, 3, v0
	v_mov_b32_e32 v28, 0
	ds_read_b64 v[26:27], v26 offset:24384
	ds_read_b64 v[28:29], v28 offset:24440
	s_waitcnt lgkmcnt(0)
	v_mul_f32_e32 v30, v29, v27
	v_mul_f32_e32 v27, v28, v27
	v_fma_f32 v28, v28, v26, -v30
	v_fmac_f32_e32 v27, v29, v26
	v_add_f32_e32 v11, v11, v28
	v_add_f32_e32 v12, v12, v27
.LBB150_409:
	s_or_b64 exec, exec, s[20:21]
.LBB150_410:
	s_or_b64 exec, exec, s[16:17]
	s_and_saveexec_b64 s[14:15], s[46:47]
	s_cbranch_execz .LBB150_412
; %bb.411:
	v_mov_b32_e32 v26, 0
	ds_read_b64 v[26:27], v26 offset:22360
	s_waitcnt lgkmcnt(0)
	v_mul_f32_e32 v28, v12, v27
	v_mul_f32_e32 v29, v11, v27
	v_fma_f32 v11, v11, v26, -v28
	v_fmac_f32_e32 v29, v12, v26
	v_xor_b32_e32 v26, 0x80000000, v11
	v_xor_b32_e32 v27, 0x80000000, v29
	v_mov_b32_e32 v12, v29
	ds_write_b64 v19, v[26:27]
.LBB150_412:
	s_or_b64 exec, exec, s[14:15]
	s_waitcnt lgkmcnt(0)
	s_barrier
	s_and_saveexec_b64 s[14:15], s[48:49]
	s_cbranch_execz .LBB150_414
; %bb.413:
	v_lshlrev_b32_e32 v26, 3, v17
	ds_read_b64 v[26:27], v26 offset:22336
	ds_read_b64 v[28:29], v19
	s_waitcnt lgkmcnt(0)
	v_mul_f32_e32 v30, v29, v27
	v_mul_f32_e32 v27, v28, v27
	v_fma_f32 v28, v28, v26, -v30
	v_fmac_f32_e32 v27, v29, v26
	v_sub_f32_e32 v11, v11, v28
	v_sub_f32_e32 v12, v12, v27
.LBB150_414:
	s_or_b64 exec, exec, s[14:15]
	s_barrier
	s_and_saveexec_b64 s[14:15], s[50:51]
	s_cbranch_execz .LBB150_416
; %bb.415:
	v_mov_b32_e32 v26, 0
	ds_read_b64 v[26:27], v26 offset:21840
	s_waitcnt lgkmcnt(0)
	v_mul_f32_e32 v28, v12, v27
	v_mul_f32_e32 v29, v11, v27
	v_fma_f32 v11, v11, v26, -v28
	v_fmac_f32_e32 v29, v12, v26
	v_xor_b32_e32 v26, 0x80000000, v11
	v_xor_b32_e32 v27, 0x80000000, v29
	v_mov_b32_e32 v12, v29
	ds_write_b64 v19, v[26:27]
.LBB150_416:
	s_or_b64 exec, exec, s[14:15]
	s_waitcnt lgkmcnt(0)
	s_barrier
	s_and_saveexec_b64 s[14:15], s[52:53]
	s_cbranch_execz .LBB150_418
; %bb.417:
	v_lshlrev_b32_e32 v26, 3, v17
	ds_read_b64 v[26:27], v26 offset:21824
	ds_read_b64 v[28:29], v19
	s_waitcnt lgkmcnt(0)
	v_mul_f32_e32 v30, v29, v27
	v_mul_f32_e32 v27, v28, v27
	v_fma_f32 v28, v28, v26, -v30
	v_fmac_f32_e32 v27, v29, v26
	v_sub_f32_e32 v11, v11, v28
	v_sub_f32_e32 v12, v12, v27
.LBB150_418:
	s_or_b64 exec, exec, s[14:15]
	s_barrier
	s_and_saveexec_b64 s[14:15], s[54:55]
	s_cbranch_execz .LBB150_420
; %bb.419:
	v_mov_b32_e32 v26, 0
	ds_read_b64 v[26:27], v26 offset:21320
	s_waitcnt lgkmcnt(0)
	v_mul_f32_e32 v28, v12, v27
	v_mul_f32_e32 v29, v11, v27
	v_fma_f32 v11, v11, v26, -v28
	v_fmac_f32_e32 v29, v12, v26
	v_xor_b32_e32 v26, 0x80000000, v11
	v_xor_b32_e32 v27, 0x80000000, v29
	v_mov_b32_e32 v12, v29
	ds_write_b64 v19, v[26:27]
.LBB150_420:
	s_or_b64 exec, exec, s[14:15]
	s_waitcnt lgkmcnt(0)
	s_barrier
	s_and_saveexec_b64 s[14:15], s[44:45]
	s_cbranch_execz .LBB150_422
; %bb.421:
	v_mov_b32_e32 v26, 0
	ds_read_b64 v[26:27], v26 offset:21312
	ds_read_b64 v[28:29], v19
	s_waitcnt lgkmcnt(0)
	v_mul_f32_e32 v30, v29, v27
	v_mul_f32_e32 v27, v28, v27
	v_fma_f32 v28, v28, v26, -v30
	v_fmac_f32_e32 v27, v29, v26
	v_sub_f32_e32 v11, v11, v28
	v_sub_f32_e32 v12, v12, v27
.LBB150_422:
	s_or_b64 exec, exec, s[14:15]
	s_barrier
	s_and_saveexec_b64 s[14:15], s[44:45]
	s_cbranch_execz .LBB150_424
; %bb.423:
	v_mov_b32_e32 v26, 0
	ds_read_b64 v[26:27], v26 offset:20800
	s_waitcnt lgkmcnt(0)
	v_mul_f32_e32 v28, v12, v27
	v_mul_f32_e32 v29, v11, v27
	v_fma_f32 v11, v11, v26, -v28
	v_fmac_f32_e32 v29, v12, v26
	v_xor_b32_e32 v26, 0x80000000, v11
	v_xor_b32_e32 v27, 0x80000000, v29
	v_mov_b32_e32 v12, v29
	ds_write_b64 v19, v[26:27]
.LBB150_424:
	s_or_b64 exec, exec, s[14:15]
	s_waitcnt lgkmcnt(0)
	s_barrier
	s_barrier
	s_and_saveexec_b64 s[14:15], s[18:19]
; %bb.425:
	v_lshlrev_b32_e32 v26, 3, v17
	v_lshl_or_b32 v26, v18, 9, v26
	ds_write_b64 v26, v[11:12] offset:22848
; %bb.426:
	s_or_b64 exec, exec, s[14:15]
	s_waitcnt lgkmcnt(0)
	s_barrier
	s_barrier
	s_and_saveexec_b64 s[14:15], s[56:57]
	s_cbranch_execz .LBB150_428
; %bb.427:
	v_lshlrev_b32_e32 v26, 9, v0
	ds_read_b64 v[11:12], v26 offset:22848
	s_movk_i32 s16, 0xfe08
	v_mad_i32_i24 v27, v0, s16, v26
	s_waitcnt lgkmcnt(0)
	ds_write_b64 v27, v[11:12] offset:20832
	ds_read_b64 v[11:12], v26 offset:22856
	s_waitcnt lgkmcnt(0)
	ds_write_b64 v27, v[11:12] offset:21344
	ds_read_b64 v[11:12], v26 offset:22864
	;; [unrolled: 3-line block ×3, first 2 shown]
	s_waitcnt lgkmcnt(0)
	ds_write_b64 v27, v[11:12] offset:22368
.LBB150_428:
	s_or_b64 exec, exec, s[14:15]
	s_waitcnt lgkmcnt(0)
	s_barrier
	s_and_saveexec_b64 s[14:15], vcc
	s_cbranch_execz .LBB150_430
; %bb.429:
	s_movk_i32 s16, 0x150
	v_mov_b32_e32 v11, 0
	v_add_u32_e64 v26, s16, 0
	ds_read_b64 v[11:12], v11 offset:22360
	ds_read2st64_b64 v[26:29], v26 offset0:42 offset1:43
	s_movk_i32 s16, 0x5000
	s_waitcnt lgkmcnt(0)
	v_mul_f32_e32 v30, v12, v27
	v_mul_f32_e32 v27, v11, v27
	v_fma_f32 v30, v11, v26, -v30
	v_fmac_f32_e32 v27, v12, v26
	v_mul_f32_e32 v11, v27, v29
	v_mul_f32_e32 v12, v30, v29
	v_fma_f32 v11, v30, v28, -v11
	v_fmac_f32_e32 v12, v27, v28
	v_add_u32_e64 v26, s16, 0
	ds_write2_b64 v26, v[11:12], v[11:12] offset0:171 offset1:234
.LBB150_430:
	s_or_b64 exec, exec, s[14:15]
	v_mov_b32_e32 v11, 0
	v_mov_b32_e32 v12, 0
	s_waitcnt lgkmcnt(0)
	s_barrier
	buffer_wbinvl1_vol
	s_and_saveexec_b64 s[16:17], s[2:3]
	s_cbranch_execz .LBB150_434
; %bb.431:
	v_lshlrev_b32_e32 v11, 3, v13
	v_lshlrev_b32_e32 v26, 9, v14
	ds_read_b64 v[11:12], v11 offset:21824
	ds_read_b64 v[26:27], v26 offset:21840
	v_cmp_gt_u32_e64 s[14:15], 2, v16
	s_waitcnt lgkmcnt(0)
	v_mul_f32_e32 v28, v27, v12
	v_mul_f32_e32 v12, v26, v12
	v_fma_f32 v26, v26, v11, -v28
	v_fmac_f32_e32 v12, v27, v11
	v_add_f32_e32 v11, 0, v26
	v_add_f32_e32 v12, 0, v12
	s_and_saveexec_b64 s[20:21], s[14:15]
	s_cbranch_execz .LBB150_433
; %bb.432:
	v_lshlrev_b32_e32 v26, 3, v0
	v_mov_b32_e32 v28, 0
	ds_read_b64 v[26:27], v26 offset:22336
	ds_read_b64 v[28:29], v28 offset:22360
	s_waitcnt lgkmcnt(0)
	v_mul_f32_e32 v30, v29, v27
	v_mul_f32_e32 v27, v28, v27
	v_fma_f32 v28, v28, v26, -v30
	v_fmac_f32_e32 v27, v29, v26
	v_add_f32_e32 v11, v11, v28
	v_add_f32_e32 v12, v12, v27
.LBB150_433:
	s_or_b64 exec, exec, s[20:21]
.LBB150_434:
	s_or_b64 exec, exec, s[16:17]
	s_and_saveexec_b64 s[14:15], s[40:41]
	s_cbranch_execz .LBB150_436
; %bb.435:
	v_mov_b32_e32 v26, 0
	ds_read_b64 v[26:27], v26 offset:21320
	s_waitcnt lgkmcnt(0)
	v_mul_f32_e32 v28, v12, v27
	v_mul_f32_e32 v29, v11, v27
	v_fma_f32 v11, v11, v26, -v28
	v_fmac_f32_e32 v29, v12, v26
	v_xor_b32_e32 v26, 0x80000000, v11
	v_xor_b32_e32 v27, 0x80000000, v29
	v_mov_b32_e32 v12, v29
	ds_write_b64 v15, v[26:27]
.LBB150_436:
	s_or_b64 exec, exec, s[14:15]
	s_waitcnt lgkmcnt(0)
	s_barrier
	s_and_saveexec_b64 s[14:15], s[38:39]
	s_cbranch_execz .LBB150_438
; %bb.437:
	v_mov_b32_e32 v26, 0
	ds_read_b64 v[26:27], v26 offset:21312
	ds_read_b64 v[28:29], v15
	s_waitcnt lgkmcnt(0)
	v_mul_f32_e32 v30, v29, v27
	v_mul_f32_e32 v27, v28, v27
	v_fma_f32 v28, v28, v26, -v30
	v_fmac_f32_e32 v27, v29, v26
	v_sub_f32_e32 v11, v11, v28
	v_sub_f32_e32 v12, v12, v27
.LBB150_438:
	s_or_b64 exec, exec, s[14:15]
	s_barrier
	s_and_saveexec_b64 s[14:15], s[38:39]
	s_cbranch_execz .LBB150_440
; %bb.439:
	v_mov_b32_e32 v26, 0
	ds_read_b64 v[26:27], v26 offset:20800
	s_waitcnt lgkmcnt(0)
	v_mul_f32_e32 v28, v12, v27
	v_mul_f32_e32 v29, v11, v27
	v_fma_f32 v11, v11, v26, -v28
	v_fmac_f32_e32 v29, v12, v26
	v_xor_b32_e32 v26, 0x80000000, v11
	v_xor_b32_e32 v27, 0x80000000, v29
	v_mov_b32_e32 v12, v29
	ds_write_b64 v15, v[26:27]
.LBB150_440:
	s_or_b64 exec, exec, s[14:15]
	s_waitcnt lgkmcnt(0)
	s_barrier
	s_barrier
	s_and_saveexec_b64 s[14:15], s[2:3]
; %bb.441:
	v_lshlrev_b32_e32 v26, 3, v13
	v_lshl_or_b32 v26, v14, 9, v26
	ds_write_b64 v26, v[11:12] offset:21824
; %bb.442:
	s_or_b64 exec, exec, s[14:15]
	s_waitcnt lgkmcnt(0)
	s_barrier
	s_barrier
	s_and_saveexec_b64 s[14:15], s[42:43]
	s_cbranch_execz .LBB150_444
; %bb.443:
	v_lshlrev_b32_e32 v26, 3, v0
	s_movk_i32 s16, 0x1f8
	v_mad_u32_u24 v27, v0, s16, v26
	ds_read_b64 v[11:12], v27 offset:21824
	s_waitcnt lgkmcnt(0)
	ds_write_b64 v26, v[11:12] offset:20816
	ds_read_b64 v[11:12], v27 offset:21832
	s_waitcnt lgkmcnt(0)
	ds_write_b64 v26, v[11:12] offset:21328
.LBB150_444:
	s_or_b64 exec, exec, s[14:15]
	s_waitcnt lgkmcnt(0)
	s_barrier
	s_and_saveexec_b64 s[14:15], vcc
	s_cbranch_execz .LBB150_446
; %bb.445:
	s_movk_i32 s16, 0x140
	v_mov_b32_e32 v11, 0
	v_add_u32_e64 v26, s16, 0
	ds_read_b64 v[11:12], v11 offset:21320
	ds_read2st64_b64 v[26:29], v26 offset0:40 offset1:41
	s_movk_i32 s16, 0x5000
	s_waitcnt lgkmcnt(0)
	v_mul_f32_e32 v30, v12, v27
	v_mul_f32_e32 v27, v11, v27
	v_fma_f32 v30, v11, v26, -v30
	v_fmac_f32_e32 v27, v12, v26
	v_mul_f32_e32 v11, v27, v29
	v_mul_f32_e32 v12, v30, v29
	v_fma_f32 v11, v30, v28, -v11
	v_fmac_f32_e32 v12, v27, v28
	v_add_u32_e64 v26, s16, 0
	ds_write2_b64 v26, v[11:12], v[11:12] offset0:41 offset1:104
.LBB150_446:
	s_or_b64 exec, exec, s[14:15]
	v_mov_b32_e32 v12, 0
	v_mov_b32_e32 v11, 0
	s_waitcnt lgkmcnt(0)
	s_barrier
	buffer_wbinvl1_vol
	s_and_saveexec_b64 s[16:17], s[8:9]
	s_cbranch_execz .LBB150_456
; %bb.447:
	v_lshlrev_b32_e32 v26, 3, v20
	v_lshlrev_b32_e32 v27, 9, v21
	ds_read_b64 v[11:12], v26 offset:20736
	ds_read_b64 v[28:29], v27 offset:20800
	v_cmp_gt_u32_e64 s[14:15], 56, v16
	s_waitcnt lgkmcnt(0)
	v_mul_f32_e32 v30, v29, v12
	v_mul_f32_e32 v12, v28, v12
	v_fma_f32 v28, v28, v11, -v30
	v_fmac_f32_e32 v12, v29, v11
	v_add_f32_e32 v11, 0, v28
	v_add_f32_e32 v12, 0, v12
	s_and_saveexec_b64 s[20:21], s[14:15]
	s_cbranch_execnz .LBB150_1141
; %bb.448:
	s_or_b64 exec, exec, s[20:21]
	v_cmp_gt_u32_e64 s[14:15], 48, v16
	s_and_saveexec_b64 s[20:21], s[14:15]
	s_cbranch_execnz .LBB150_1142
.LBB150_449:
	s_or_b64 exec, exec, s[20:21]
	v_cmp_gt_u32_e64 s[14:15], 40, v16
	s_and_saveexec_b64 s[20:21], s[14:15]
	s_cbranch_execnz .LBB150_1143
.LBB150_450:
	s_or_b64 exec, exec, s[20:21]
	v_cmp_gt_u32_e64 s[14:15], 32, v16
	s_and_saveexec_b64 s[20:21], s[14:15]
	s_cbranch_execnz .LBB150_1144
.LBB150_451:
	s_or_b64 exec, exec, s[20:21]
	v_cmp_gt_u32_e64 s[14:15], 24, v16
	s_and_saveexec_b64 s[20:21], s[14:15]
	s_cbranch_execnz .LBB150_1145
.LBB150_452:
	s_or_b64 exec, exec, s[20:21]
	s_and_saveexec_b64 s[14:15], s[18:19]
	s_cbranch_execnz .LBB150_1146
.LBB150_453:
	s_or_b64 exec, exec, s[14:15]
	v_cmp_gt_u32_e64 s[14:15], 8, v16
	s_and_saveexec_b64 s[20:21], s[14:15]
	s_cbranch_execz .LBB150_455
.LBB150_454:
	v_lshlrev_b32_e32 v26, 3, v0
	v_mov_b32_e32 v28, 0
	ds_read_b64 v[26:27], v26 offset:24320
	ds_read_b64 v[28:29], v28 offset:24440
	s_waitcnt lgkmcnt(0)
	v_mul_f32_e32 v30, v29, v27
	v_mul_f32_e32 v27, v28, v27
	v_fma_f32 v28, v28, v26, -v30
	v_fmac_f32_e32 v27, v29, v26
	v_add_f32_e32 v11, v11, v28
	v_add_f32_e32 v12, v12, v27
.LBB150_455:
	s_or_b64 exec, exec, s[20:21]
.LBB150_456:
	s_or_b64 exec, exec, s[16:17]
	s_and_saveexec_b64 s[14:15], s[60:61]
	s_cbranch_execz .LBB150_458
; %bb.457:
	v_mov_b32_e32 v26, 0
	ds_read_b64 v[26:27], v26 offset:20280
	s_waitcnt lgkmcnt(0)
	v_mul_f32_e32 v28, v12, v27
	v_mul_f32_e32 v29, v11, v27
	v_fma_f32 v11, v11, v26, -v28
	v_fmac_f32_e32 v29, v12, v26
	v_xor_b32_e32 v26, 0x80000000, v11
	v_xor_b32_e32 v27, 0x80000000, v29
	v_mov_b32_e32 v12, v29
	ds_write_b64 v22, v[26:27]
.LBB150_458:
	s_or_b64 exec, exec, s[14:15]
	s_waitcnt lgkmcnt(0)
	s_barrier
	s_and_saveexec_b64 s[14:15], s[62:63]
	s_cbranch_execz .LBB150_460
; %bb.459:
	v_lshlrev_b32_e32 v26, 3, v20
	ds_read_b64 v[26:27], v26 offset:20224
	ds_read_b64 v[28:29], v22
	s_waitcnt lgkmcnt(0)
	v_mul_f32_e32 v30, v29, v27
	v_mul_f32_e32 v27, v28, v27
	v_fma_f32 v28, v28, v26, -v30
	v_fmac_f32_e32 v27, v29, v26
	v_sub_f32_e32 v11, v11, v28
	v_sub_f32_e32 v12, v12, v27
.LBB150_460:
	s_or_b64 exec, exec, s[14:15]
	s_barrier
	s_and_saveexec_b64 s[14:15], s[64:65]
	s_cbranch_execz .LBB150_462
; %bb.461:
	v_mov_b32_e32 v26, 0
	ds_read_b64 v[26:27], v26 offset:19760
	s_waitcnt lgkmcnt(0)
	v_mul_f32_e32 v28, v12, v27
	v_mul_f32_e32 v29, v11, v27
	v_fma_f32 v11, v11, v26, -v28
	v_fmac_f32_e32 v29, v12, v26
	v_xor_b32_e32 v26, 0x80000000, v11
	v_xor_b32_e32 v27, 0x80000000, v29
	v_mov_b32_e32 v12, v29
	ds_write_b64 v22, v[26:27]
.LBB150_462:
	s_or_b64 exec, exec, s[14:15]
	s_waitcnt lgkmcnt(0)
	s_barrier
	s_and_saveexec_b64 s[14:15], s[66:67]
	s_cbranch_execz .LBB150_464
; %bb.463:
	v_lshlrev_b32_e32 v26, 3, v20
	ds_read_b64 v[26:27], v26 offset:19712
	ds_read_b64 v[28:29], v22
	s_waitcnt lgkmcnt(0)
	v_mul_f32_e32 v30, v29, v27
	v_mul_f32_e32 v27, v28, v27
	v_fma_f32 v28, v28, v26, -v30
	v_fmac_f32_e32 v27, v29, v26
	v_sub_f32_e32 v11, v11, v28
	v_sub_f32_e32 v12, v12, v27
.LBB150_464:
	s_or_b64 exec, exec, s[14:15]
	s_barrier
	s_and_saveexec_b64 s[14:15], s[68:69]
	s_cbranch_execz .LBB150_466
; %bb.465:
	v_mov_b32_e32 v26, 0
	ds_read_b64 v[26:27], v26 offset:19240
	s_waitcnt lgkmcnt(0)
	v_mul_f32_e32 v28, v12, v27
	v_mul_f32_e32 v29, v11, v27
	v_fma_f32 v11, v11, v26, -v28
	v_fmac_f32_e32 v29, v12, v26
	v_xor_b32_e32 v26, 0x80000000, v11
	v_xor_b32_e32 v27, 0x80000000, v29
	v_mov_b32_e32 v12, v29
	ds_write_b64 v22, v[26:27]
.LBB150_466:
	s_or_b64 exec, exec, s[14:15]
	s_waitcnt lgkmcnt(0)
	s_barrier
	s_and_saveexec_b64 s[14:15], s[70:71]
	s_cbranch_execz .LBB150_468
; %bb.467:
	v_lshlrev_b32_e32 v26, 3, v20
	ds_read_b64 v[26:27], v26 offset:19200
	ds_read_b64 v[28:29], v22
	s_waitcnt lgkmcnt(0)
	v_mul_f32_e32 v30, v29, v27
	v_mul_f32_e32 v27, v28, v27
	v_fma_f32 v28, v28, v26, -v30
	v_fmac_f32_e32 v27, v29, v26
	v_sub_f32_e32 v11, v11, v28
	v_sub_f32_e32 v12, v12, v27
.LBB150_468:
	s_or_b64 exec, exec, s[14:15]
	s_barrier
	s_and_saveexec_b64 s[14:15], s[72:73]
	s_cbranch_execz .LBB150_470
; %bb.469:
	v_mov_b32_e32 v26, 0
	ds_read_b64 v[26:27], v26 offset:18720
	s_waitcnt lgkmcnt(0)
	v_mul_f32_e32 v28, v12, v27
	v_mul_f32_e32 v29, v11, v27
	v_fma_f32 v11, v11, v26, -v28
	v_fmac_f32_e32 v29, v12, v26
	v_xor_b32_e32 v26, 0x80000000, v11
	v_xor_b32_e32 v27, 0x80000000, v29
	v_mov_b32_e32 v12, v29
	ds_write_b64 v22, v[26:27]
.LBB150_470:
	s_or_b64 exec, exec, s[14:15]
	s_waitcnt lgkmcnt(0)
	s_barrier
	s_and_saveexec_b64 s[14:15], s[74:75]
	s_cbranch_execz .LBB150_472
; %bb.471:
	v_lshlrev_b32_e32 v26, 3, v20
	ds_read_b64 v[26:27], v26 offset:18688
	ds_read_b64 v[28:29], v22
	s_waitcnt lgkmcnt(0)
	v_mul_f32_e32 v30, v29, v27
	v_mul_f32_e32 v27, v28, v27
	v_fma_f32 v28, v28, v26, -v30
	v_fmac_f32_e32 v27, v29, v26
	v_sub_f32_e32 v11, v11, v28
	v_sub_f32_e32 v12, v12, v27
.LBB150_472:
	s_or_b64 exec, exec, s[14:15]
	s_barrier
	s_and_saveexec_b64 s[14:15], s[76:77]
	s_cbranch_execz .LBB150_474
; %bb.473:
	v_mov_b32_e32 v26, 0
	ds_read_b64 v[26:27], v26 offset:18200
	s_waitcnt lgkmcnt(0)
	v_mul_f32_e32 v28, v12, v27
	v_mul_f32_e32 v29, v11, v27
	v_fma_f32 v11, v11, v26, -v28
	v_fmac_f32_e32 v29, v12, v26
	v_xor_b32_e32 v26, 0x80000000, v11
	v_xor_b32_e32 v27, 0x80000000, v29
	v_mov_b32_e32 v12, v29
	ds_write_b64 v22, v[26:27]
.LBB150_474:
	s_or_b64 exec, exec, s[14:15]
	s_waitcnt lgkmcnt(0)
	s_barrier
	s_and_saveexec_b64 s[14:15], s[78:79]
	s_cbranch_execz .LBB150_476
; %bb.475:
	v_lshlrev_b32_e32 v26, 3, v20
	ds_read_b64 v[26:27], v26 offset:18176
	ds_read_b64 v[28:29], v22
	s_waitcnt lgkmcnt(0)
	v_mul_f32_e32 v30, v29, v27
	v_mul_f32_e32 v27, v28, v27
	v_fma_f32 v28, v28, v26, -v30
	v_fmac_f32_e32 v27, v29, v26
	v_sub_f32_e32 v11, v11, v28
	v_sub_f32_e32 v12, v12, v27
.LBB150_476:
	s_or_b64 exec, exec, s[14:15]
	s_barrier
	s_and_saveexec_b64 s[14:15], s[80:81]
	s_cbranch_execz .LBB150_478
; %bb.477:
	v_mov_b32_e32 v26, 0
	ds_read_b64 v[26:27], v26 offset:17680
	s_waitcnt lgkmcnt(0)
	v_mul_f32_e32 v28, v12, v27
	v_mul_f32_e32 v29, v11, v27
	v_fma_f32 v11, v11, v26, -v28
	v_fmac_f32_e32 v29, v12, v26
	v_xor_b32_e32 v26, 0x80000000, v11
	v_xor_b32_e32 v27, 0x80000000, v29
	v_mov_b32_e32 v12, v29
	ds_write_b64 v22, v[26:27]
.LBB150_478:
	s_or_b64 exec, exec, s[14:15]
	s_waitcnt lgkmcnt(0)
	s_barrier
	s_and_saveexec_b64 s[14:15], s[82:83]
	s_cbranch_execz .LBB150_480
; %bb.479:
	v_lshlrev_b32_e32 v26, 3, v20
	ds_read_b64 v[26:27], v26 offset:17664
	ds_read_b64 v[28:29], v22
	s_waitcnt lgkmcnt(0)
	v_mul_f32_e32 v30, v29, v27
	v_mul_f32_e32 v27, v28, v27
	v_fma_f32 v28, v28, v26, -v30
	v_fmac_f32_e32 v27, v29, v26
	v_sub_f32_e32 v11, v11, v28
	v_sub_f32_e32 v12, v12, v27
.LBB150_480:
	s_or_b64 exec, exec, s[14:15]
	s_barrier
	s_and_saveexec_b64 s[14:15], s[84:85]
	s_cbranch_execz .LBB150_482
; %bb.481:
	v_mov_b32_e32 v26, 0
	ds_read_b64 v[26:27], v26 offset:17160
	s_waitcnt lgkmcnt(0)
	v_mul_f32_e32 v28, v12, v27
	v_mul_f32_e32 v29, v11, v27
	v_fma_f32 v11, v11, v26, -v28
	v_fmac_f32_e32 v29, v12, v26
	v_xor_b32_e32 v26, 0x80000000, v11
	v_xor_b32_e32 v27, 0x80000000, v29
	v_mov_b32_e32 v12, v29
	ds_write_b64 v22, v[26:27]
.LBB150_482:
	s_or_b64 exec, exec, s[14:15]
	s_waitcnt lgkmcnt(0)
	s_barrier
	s_and_saveexec_b64 s[14:15], s[58:59]
	s_cbranch_execz .LBB150_484
; %bb.483:
	v_mov_b32_e32 v26, 0
	ds_read_b64 v[26:27], v26 offset:17152
	ds_read_b64 v[28:29], v22
	s_waitcnt lgkmcnt(0)
	v_mul_f32_e32 v30, v29, v27
	v_mul_f32_e32 v27, v28, v27
	v_fma_f32 v28, v28, v26, -v30
	v_fmac_f32_e32 v27, v29, v26
	v_sub_f32_e32 v11, v11, v28
	v_sub_f32_e32 v12, v12, v27
.LBB150_484:
	s_or_b64 exec, exec, s[14:15]
	s_barrier
	s_and_saveexec_b64 s[14:15], s[58:59]
	s_cbranch_execz .LBB150_486
; %bb.485:
	v_mov_b32_e32 v26, 0
	ds_read_b64 v[26:27], v26 offset:16640
	s_waitcnt lgkmcnt(0)
	v_mul_f32_e32 v28, v12, v27
	v_mul_f32_e32 v29, v11, v27
	v_fma_f32 v11, v11, v26, -v28
	v_fmac_f32_e32 v29, v12, v26
	v_xor_b32_e32 v26, 0x80000000, v11
	v_xor_b32_e32 v27, 0x80000000, v29
	v_mov_b32_e32 v12, v29
	ds_write_b64 v22, v[26:27]
.LBB150_486:
	s_or_b64 exec, exec, s[14:15]
	s_waitcnt lgkmcnt(0)
	s_barrier
	s_barrier
	s_and_saveexec_b64 s[14:15], s[8:9]
; %bb.487:
	v_lshlrev_b32_e32 v26, 3, v20
	v_lshl_or_b32 v26, v21, 9, v26
	ds_write_b64 v26, v[11:12] offset:20736
; %bb.488:
	s_or_b64 exec, exec, s[14:15]
	s_waitcnt lgkmcnt(0)
	s_barrier
	s_barrier
	s_and_saveexec_b64 s[14:15], s[86:87]
	s_cbranch_execz .LBB150_490
; %bb.489:
	v_lshlrev_b32_e32 v26, 9, v0
	ds_read_b64 v[11:12], v26 offset:20736
	s_movk_i32 s16, 0xfe08
	v_mad_i32_i24 v27, v0, s16, v26
	s_waitcnt lgkmcnt(0)
	ds_write_b64 v27, v[11:12] offset:16704
	ds_read_b64 v[11:12], v26 offset:20744
	s_waitcnt lgkmcnt(0)
	ds_write_b64 v27, v[11:12] offset:17216
	ds_read_b64 v[11:12], v26 offset:20752
	;; [unrolled: 3-line block ×7, first 2 shown]
	s_waitcnt lgkmcnt(0)
	ds_write_b64 v27, v[11:12] offset:20288
.LBB150_490:
	s_or_b64 exec, exec, s[14:15]
	s_waitcnt lgkmcnt(0)
	s_barrier
	s_and_saveexec_b64 s[14:15], vcc
	s_cbranch_execz .LBB150_492
; %bb.491:
	s_movk_i32 s16, 0x130
	v_mov_b32_e32 v11, 0
	v_add_u32_e64 v26, s16, 0
	ds_read_b64 v[11:12], v11 offset:20280
	ds_read2st64_b64 v[26:29], v26 offset0:38 offset1:39
	s_movk_i32 s16, 0x4800
	s_waitcnt lgkmcnt(0)
	v_mul_f32_e32 v30, v12, v27
	v_mul_f32_e32 v27, v11, v27
	v_fma_f32 v30, v11, v26, -v30
	v_fmac_f32_e32 v27, v12, v26
	v_mul_f32_e32 v11, v27, v29
	v_mul_f32_e32 v12, v30, v29
	v_fma_f32 v11, v30, v28, -v11
	v_fmac_f32_e32 v12, v27, v28
	v_add_u32_e64 v26, s16, 0
	ds_write2_b64 v26, v[11:12], v[11:12] offset0:167 offset1:230
.LBB150_492:
	s_or_b64 exec, exec, s[14:15]
	v_mov_b32_e32 v11, 0
	v_mov_b32_e32 v12, 0
	s_waitcnt lgkmcnt(0)
	s_barrier
	buffer_wbinvl1_vol
	s_and_saveexec_b64 s[16:17], s[2:3]
	s_cbranch_execz .LBB150_496
; %bb.493:
	v_lshlrev_b32_e32 v11, 3, v13
	v_lshlrev_b32_e32 v26, 9, v14
	ds_read_b64 v[11:12], v11 offset:19744
	ds_read_b64 v[26:27], v26 offset:19760
	v_cmp_gt_u32_e64 s[14:15], 2, v16
	s_waitcnt lgkmcnt(0)
	v_mul_f32_e32 v28, v27, v12
	v_mul_f32_e32 v12, v26, v12
	v_fma_f32 v26, v26, v11, -v28
	v_fmac_f32_e32 v12, v27, v11
	v_add_f32_e32 v11, 0, v26
	v_add_f32_e32 v12, 0, v12
	s_and_saveexec_b64 s[20:21], s[14:15]
	s_cbranch_execz .LBB150_495
; %bb.494:
	v_lshlrev_b32_e32 v26, 3, v0
	v_mov_b32_e32 v28, 0
	ds_read_b64 v[26:27], v26 offset:20256
	ds_read_b64 v[28:29], v28 offset:20280
	s_waitcnt lgkmcnt(0)
	v_mul_f32_e32 v30, v29, v27
	v_mul_f32_e32 v27, v28, v27
	v_fma_f32 v28, v28, v26, -v30
	v_fmac_f32_e32 v27, v29, v26
	v_add_f32_e32 v11, v11, v28
	v_add_f32_e32 v12, v12, v27
.LBB150_495:
	s_or_b64 exec, exec, s[20:21]
.LBB150_496:
	s_or_b64 exec, exec, s[16:17]
	s_and_saveexec_b64 s[14:15], s[40:41]
	s_cbranch_execz .LBB150_498
; %bb.497:
	v_mov_b32_e32 v26, 0
	ds_read_b64 v[26:27], v26 offset:19240
	s_waitcnt lgkmcnt(0)
	v_mul_f32_e32 v28, v12, v27
	v_mul_f32_e32 v29, v11, v27
	v_fma_f32 v11, v11, v26, -v28
	v_fmac_f32_e32 v29, v12, v26
	v_xor_b32_e32 v26, 0x80000000, v11
	v_xor_b32_e32 v27, 0x80000000, v29
	v_mov_b32_e32 v12, v29
	ds_write_b64 v15, v[26:27]
.LBB150_498:
	s_or_b64 exec, exec, s[14:15]
	s_waitcnt lgkmcnt(0)
	s_barrier
	s_and_saveexec_b64 s[14:15], s[38:39]
	s_cbranch_execz .LBB150_500
; %bb.499:
	v_mov_b32_e32 v26, 0
	ds_read_b64 v[26:27], v26 offset:19232
	ds_read_b64 v[28:29], v15
	s_waitcnt lgkmcnt(0)
	v_mul_f32_e32 v30, v29, v27
	v_mul_f32_e32 v27, v28, v27
	v_fma_f32 v28, v28, v26, -v30
	v_fmac_f32_e32 v27, v29, v26
	v_sub_f32_e32 v11, v11, v28
	v_sub_f32_e32 v12, v12, v27
.LBB150_500:
	s_or_b64 exec, exec, s[14:15]
	s_barrier
	s_and_saveexec_b64 s[14:15], s[38:39]
	s_cbranch_execz .LBB150_502
; %bb.501:
	v_mov_b32_e32 v26, 0
	ds_read_b64 v[26:27], v26 offset:18720
	s_waitcnt lgkmcnt(0)
	v_mul_f32_e32 v28, v12, v27
	v_mul_f32_e32 v29, v11, v27
	v_fma_f32 v11, v11, v26, -v28
	v_fmac_f32_e32 v29, v12, v26
	v_xor_b32_e32 v26, 0x80000000, v11
	v_xor_b32_e32 v27, 0x80000000, v29
	v_mov_b32_e32 v12, v29
	ds_write_b64 v15, v[26:27]
.LBB150_502:
	s_or_b64 exec, exec, s[14:15]
	s_waitcnt lgkmcnt(0)
	s_barrier
	s_barrier
	s_and_saveexec_b64 s[14:15], s[2:3]
; %bb.503:
	v_lshlrev_b32_e32 v26, 3, v13
	v_lshl_or_b32 v26, v14, 9, v26
	ds_write_b64 v26, v[11:12] offset:19744
; %bb.504:
	s_or_b64 exec, exec, s[14:15]
	s_waitcnt lgkmcnt(0)
	s_barrier
	s_barrier
	s_and_saveexec_b64 s[14:15], s[42:43]
	s_cbranch_execz .LBB150_506
; %bb.505:
	v_lshlrev_b32_e32 v26, 3, v0
	s_movk_i32 s16, 0x1f8
	v_mad_u32_u24 v27, v0, s16, v26
	ds_read_b64 v[11:12], v27 offset:19744
	s_waitcnt lgkmcnt(0)
	ds_write_b64 v26, v[11:12] offset:18736
	ds_read_b64 v[11:12], v27 offset:19752
	s_waitcnt lgkmcnt(0)
	ds_write_b64 v26, v[11:12] offset:19248
.LBB150_506:
	s_or_b64 exec, exec, s[14:15]
	s_waitcnt lgkmcnt(0)
	s_barrier
	s_and_saveexec_b64 s[14:15], vcc
	s_cbranch_execz .LBB150_508
; %bb.507:
	s_movk_i32 s16, 0x120
	v_mov_b32_e32 v11, 0
	v_add_u32_e64 v26, s16, 0
	ds_read_b64 v[11:12], v11 offset:19240
	ds_read2st64_b64 v[26:29], v26 offset0:36 offset1:37
	s_movk_i32 s16, 0x4800
	s_waitcnt lgkmcnt(0)
	v_mul_f32_e32 v30, v12, v27
	v_mul_f32_e32 v27, v11, v27
	v_fma_f32 v30, v11, v26, -v30
	v_fmac_f32_e32 v27, v12, v26
	v_mul_f32_e32 v11, v27, v29
	v_mul_f32_e32 v12, v30, v29
	v_fma_f32 v11, v30, v28, -v11
	v_fmac_f32_e32 v12, v27, v28
	v_add_u32_e64 v26, s16, 0
	ds_write2_b64 v26, v[11:12], v[11:12] offset0:37 offset1:100
.LBB150_508:
	s_or_b64 exec, exec, s[14:15]
	v_mov_b32_e32 v12, 0
	v_mov_b32_e32 v11, 0
	s_waitcnt lgkmcnt(0)
	s_barrier
	buffer_wbinvl1_vol
	s_and_saveexec_b64 s[16:17], s[18:19]
	s_cbranch_execz .LBB150_514
; %bb.509:
	v_lshlrev_b32_e32 v26, 3, v17
	v_lshlrev_b32_e32 v27, 9, v18
	ds_read_b64 v[11:12], v26 offset:18688
	ds_read_b64 v[28:29], v27 offset:18720
	v_cmp_gt_u32_e64 s[14:15], 12, v16
	s_waitcnt lgkmcnt(0)
	v_mul_f32_e32 v30, v29, v12
	v_mul_f32_e32 v12, v28, v12
	v_fma_f32 v28, v28, v11, -v30
	v_fmac_f32_e32 v12, v29, v11
	v_add_f32_e32 v11, 0, v28
	v_add_f32_e32 v12, 0, v12
	s_and_saveexec_b64 s[20:21], s[14:15]
	s_cbranch_execnz .LBB150_1147
; %bb.510:
	s_or_b64 exec, exec, s[20:21]
	v_cmp_gt_u32_e64 s[14:15], 8, v16
	s_and_saveexec_b64 s[20:21], s[14:15]
	s_cbranch_execnz .LBB150_1148
.LBB150_511:
	s_or_b64 exec, exec, s[20:21]
	v_cmp_gt_u32_e64 s[14:15], 4, v16
	s_and_saveexec_b64 s[20:21], s[14:15]
	s_cbranch_execz .LBB150_513
.LBB150_512:
	v_lshlrev_b32_e32 v26, 3, v0
	v_mov_b32_e32 v28, 0
	ds_read_b64 v[26:27], v26 offset:20224
	ds_read_b64 v[28:29], v28 offset:20280
	s_waitcnt lgkmcnt(0)
	v_mul_f32_e32 v30, v29, v27
	v_mul_f32_e32 v27, v28, v27
	v_fma_f32 v28, v28, v26, -v30
	v_fmac_f32_e32 v27, v29, v26
	v_add_f32_e32 v11, v11, v28
	v_add_f32_e32 v12, v12, v27
.LBB150_513:
	s_or_b64 exec, exec, s[20:21]
.LBB150_514:
	s_or_b64 exec, exec, s[16:17]
	s_and_saveexec_b64 s[14:15], s[46:47]
	s_cbranch_execz .LBB150_516
; %bb.515:
	v_mov_b32_e32 v26, 0
	ds_read_b64 v[26:27], v26 offset:18200
	s_waitcnt lgkmcnt(0)
	v_mul_f32_e32 v28, v12, v27
	v_mul_f32_e32 v29, v11, v27
	v_fma_f32 v11, v11, v26, -v28
	v_fmac_f32_e32 v29, v12, v26
	v_xor_b32_e32 v26, 0x80000000, v11
	v_xor_b32_e32 v27, 0x80000000, v29
	v_mov_b32_e32 v12, v29
	ds_write_b64 v19, v[26:27]
.LBB150_516:
	s_or_b64 exec, exec, s[14:15]
	s_waitcnt lgkmcnt(0)
	s_barrier
	s_and_saveexec_b64 s[14:15], s[48:49]
	s_cbranch_execz .LBB150_518
; %bb.517:
	v_lshlrev_b32_e32 v26, 3, v17
	ds_read_b64 v[26:27], v26 offset:18176
	ds_read_b64 v[28:29], v19
	s_waitcnt lgkmcnt(0)
	v_mul_f32_e32 v30, v29, v27
	v_mul_f32_e32 v27, v28, v27
	v_fma_f32 v28, v28, v26, -v30
	v_fmac_f32_e32 v27, v29, v26
	v_sub_f32_e32 v11, v11, v28
	v_sub_f32_e32 v12, v12, v27
.LBB150_518:
	s_or_b64 exec, exec, s[14:15]
	s_barrier
	s_and_saveexec_b64 s[14:15], s[50:51]
	s_cbranch_execz .LBB150_520
; %bb.519:
	v_mov_b32_e32 v26, 0
	ds_read_b64 v[26:27], v26 offset:17680
	s_waitcnt lgkmcnt(0)
	v_mul_f32_e32 v28, v12, v27
	v_mul_f32_e32 v29, v11, v27
	v_fma_f32 v11, v11, v26, -v28
	v_fmac_f32_e32 v29, v12, v26
	v_xor_b32_e32 v26, 0x80000000, v11
	v_xor_b32_e32 v27, 0x80000000, v29
	v_mov_b32_e32 v12, v29
	ds_write_b64 v19, v[26:27]
.LBB150_520:
	s_or_b64 exec, exec, s[14:15]
	s_waitcnt lgkmcnt(0)
	s_barrier
	s_and_saveexec_b64 s[14:15], s[52:53]
	s_cbranch_execz .LBB150_522
; %bb.521:
	v_lshlrev_b32_e32 v26, 3, v17
	ds_read_b64 v[26:27], v26 offset:17664
	ds_read_b64 v[28:29], v19
	s_waitcnt lgkmcnt(0)
	v_mul_f32_e32 v30, v29, v27
	v_mul_f32_e32 v27, v28, v27
	v_fma_f32 v28, v28, v26, -v30
	v_fmac_f32_e32 v27, v29, v26
	v_sub_f32_e32 v11, v11, v28
	v_sub_f32_e32 v12, v12, v27
.LBB150_522:
	s_or_b64 exec, exec, s[14:15]
	s_barrier
	s_and_saveexec_b64 s[14:15], s[54:55]
	s_cbranch_execz .LBB150_524
; %bb.523:
	v_mov_b32_e32 v26, 0
	ds_read_b64 v[26:27], v26 offset:17160
	s_waitcnt lgkmcnt(0)
	v_mul_f32_e32 v28, v12, v27
	v_mul_f32_e32 v29, v11, v27
	v_fma_f32 v11, v11, v26, -v28
	v_fmac_f32_e32 v29, v12, v26
	v_xor_b32_e32 v26, 0x80000000, v11
	v_xor_b32_e32 v27, 0x80000000, v29
	v_mov_b32_e32 v12, v29
	ds_write_b64 v19, v[26:27]
.LBB150_524:
	s_or_b64 exec, exec, s[14:15]
	s_waitcnt lgkmcnt(0)
	s_barrier
	s_and_saveexec_b64 s[14:15], s[44:45]
	s_cbranch_execz .LBB150_526
; %bb.525:
	v_mov_b32_e32 v26, 0
	ds_read_b64 v[26:27], v26 offset:17152
	ds_read_b64 v[28:29], v19
	s_waitcnt lgkmcnt(0)
	v_mul_f32_e32 v30, v29, v27
	v_mul_f32_e32 v27, v28, v27
	v_fma_f32 v28, v28, v26, -v30
	v_fmac_f32_e32 v27, v29, v26
	v_sub_f32_e32 v11, v11, v28
	v_sub_f32_e32 v12, v12, v27
.LBB150_526:
	s_or_b64 exec, exec, s[14:15]
	s_barrier
	s_and_saveexec_b64 s[14:15], s[44:45]
	s_cbranch_execz .LBB150_528
; %bb.527:
	v_mov_b32_e32 v26, 0
	ds_read_b64 v[26:27], v26 offset:16640
	s_waitcnt lgkmcnt(0)
	v_mul_f32_e32 v28, v12, v27
	v_mul_f32_e32 v29, v11, v27
	v_fma_f32 v11, v11, v26, -v28
	v_fmac_f32_e32 v29, v12, v26
	v_xor_b32_e32 v26, 0x80000000, v11
	v_xor_b32_e32 v27, 0x80000000, v29
	v_mov_b32_e32 v12, v29
	ds_write_b64 v19, v[26:27]
.LBB150_528:
	s_or_b64 exec, exec, s[14:15]
	s_waitcnt lgkmcnt(0)
	s_barrier
	s_barrier
	s_and_saveexec_b64 s[14:15], s[18:19]
; %bb.529:
	v_lshlrev_b32_e32 v26, 3, v17
	v_lshl_or_b32 v26, v18, 9, v26
	ds_write_b64 v26, v[11:12] offset:18688
; %bb.530:
	s_or_b64 exec, exec, s[14:15]
	s_waitcnt lgkmcnt(0)
	s_barrier
	s_barrier
	s_and_saveexec_b64 s[14:15], s[56:57]
	s_cbranch_execz .LBB150_532
; %bb.531:
	v_lshlrev_b32_e32 v26, 9, v0
	ds_read_b64 v[11:12], v26 offset:18688
	s_movk_i32 s16, 0xfe08
	v_mad_i32_i24 v27, v0, s16, v26
	s_waitcnt lgkmcnt(0)
	ds_write_b64 v27, v[11:12] offset:16672
	ds_read_b64 v[11:12], v26 offset:18696
	s_waitcnt lgkmcnt(0)
	ds_write_b64 v27, v[11:12] offset:17184
	ds_read_b64 v[11:12], v26 offset:18704
	;; [unrolled: 3-line block ×3, first 2 shown]
	s_waitcnt lgkmcnt(0)
	ds_write_b64 v27, v[11:12] offset:18208
.LBB150_532:
	s_or_b64 exec, exec, s[14:15]
	s_waitcnt lgkmcnt(0)
	s_barrier
	s_and_saveexec_b64 s[14:15], vcc
	s_cbranch_execz .LBB150_534
; %bb.533:
	s_movk_i32 s16, 0x110
	v_mov_b32_e32 v11, 0
	v_add_u32_e64 v26, s16, 0
	ds_read_b64 v[11:12], v11 offset:18200
	ds_read2st64_b64 v[26:29], v26 offset0:34 offset1:35
	s_movk_i32 s16, 0x4000
	s_waitcnt lgkmcnt(0)
	v_mul_f32_e32 v30, v12, v27
	v_mul_f32_e32 v27, v11, v27
	v_fma_f32 v30, v11, v26, -v30
	v_fmac_f32_e32 v27, v12, v26
	v_mul_f32_e32 v11, v27, v29
	v_mul_f32_e32 v12, v30, v29
	v_fma_f32 v11, v30, v28, -v11
	v_fmac_f32_e32 v12, v27, v28
	v_add_u32_e64 v26, s16, 0
	ds_write2_b64 v26, v[11:12], v[11:12] offset0:163 offset1:226
.LBB150_534:
	s_or_b64 exec, exec, s[14:15]
	v_mov_b32_e32 v11, 0
	v_mov_b32_e32 v12, 0
	s_waitcnt lgkmcnt(0)
	s_barrier
	buffer_wbinvl1_vol
	s_and_saveexec_b64 s[16:17], s[2:3]
	s_cbranch_execz .LBB150_538
; %bb.535:
	v_lshlrev_b32_e32 v11, 3, v13
	v_lshlrev_b32_e32 v26, 9, v14
	ds_read_b64 v[11:12], v11 offset:17664
	ds_read_b64 v[26:27], v26 offset:17680
	v_cmp_gt_u32_e64 s[14:15], 2, v16
	s_waitcnt lgkmcnt(0)
	v_mul_f32_e32 v28, v27, v12
	v_mul_f32_e32 v12, v26, v12
	v_fma_f32 v26, v26, v11, -v28
	v_fmac_f32_e32 v12, v27, v11
	v_add_f32_e32 v11, 0, v26
	v_add_f32_e32 v12, 0, v12
	s_and_saveexec_b64 s[20:21], s[14:15]
	s_cbranch_execz .LBB150_537
; %bb.536:
	v_lshlrev_b32_e32 v26, 3, v0
	v_mov_b32_e32 v28, 0
	ds_read_b64 v[26:27], v26 offset:18176
	ds_read_b64 v[28:29], v28 offset:18200
	s_waitcnt lgkmcnt(0)
	v_mul_f32_e32 v30, v29, v27
	v_mul_f32_e32 v27, v28, v27
	v_fma_f32 v28, v28, v26, -v30
	v_fmac_f32_e32 v27, v29, v26
	v_add_f32_e32 v11, v11, v28
	v_add_f32_e32 v12, v12, v27
.LBB150_537:
	s_or_b64 exec, exec, s[20:21]
.LBB150_538:
	s_or_b64 exec, exec, s[16:17]
	s_and_saveexec_b64 s[14:15], s[40:41]
	s_cbranch_execz .LBB150_540
; %bb.539:
	v_mov_b32_e32 v26, 0
	ds_read_b64 v[26:27], v26 offset:17160
	s_waitcnt lgkmcnt(0)
	v_mul_f32_e32 v28, v12, v27
	v_mul_f32_e32 v29, v11, v27
	v_fma_f32 v11, v11, v26, -v28
	v_fmac_f32_e32 v29, v12, v26
	v_xor_b32_e32 v26, 0x80000000, v11
	v_xor_b32_e32 v27, 0x80000000, v29
	v_mov_b32_e32 v12, v29
	ds_write_b64 v15, v[26:27]
.LBB150_540:
	s_or_b64 exec, exec, s[14:15]
	s_waitcnt lgkmcnt(0)
	s_barrier
	s_and_saveexec_b64 s[14:15], s[38:39]
	s_cbranch_execz .LBB150_542
; %bb.541:
	v_mov_b32_e32 v26, 0
	ds_read_b64 v[26:27], v26 offset:17152
	ds_read_b64 v[28:29], v15
	s_waitcnt lgkmcnt(0)
	v_mul_f32_e32 v30, v29, v27
	v_mul_f32_e32 v27, v28, v27
	v_fma_f32 v28, v28, v26, -v30
	v_fmac_f32_e32 v27, v29, v26
	v_sub_f32_e32 v11, v11, v28
	v_sub_f32_e32 v12, v12, v27
.LBB150_542:
	s_or_b64 exec, exec, s[14:15]
	s_barrier
	s_and_saveexec_b64 s[14:15], s[38:39]
	s_cbranch_execz .LBB150_544
; %bb.543:
	v_mov_b32_e32 v26, 0
	ds_read_b64 v[26:27], v26 offset:16640
	s_waitcnt lgkmcnt(0)
	v_mul_f32_e32 v28, v12, v27
	v_mul_f32_e32 v29, v11, v27
	v_fma_f32 v11, v11, v26, -v28
	v_fmac_f32_e32 v29, v12, v26
	v_xor_b32_e32 v26, 0x80000000, v11
	v_xor_b32_e32 v27, 0x80000000, v29
	v_mov_b32_e32 v12, v29
	ds_write_b64 v15, v[26:27]
.LBB150_544:
	s_or_b64 exec, exec, s[14:15]
	s_waitcnt lgkmcnt(0)
	s_barrier
	s_barrier
	s_and_saveexec_b64 s[14:15], s[2:3]
; %bb.545:
	v_lshlrev_b32_e32 v26, 3, v13
	v_lshl_or_b32 v26, v14, 9, v26
	ds_write_b64 v26, v[11:12] offset:17664
; %bb.546:
	s_or_b64 exec, exec, s[14:15]
	s_waitcnt lgkmcnt(0)
	s_barrier
	s_barrier
	s_and_saveexec_b64 s[14:15], s[42:43]
	s_cbranch_execz .LBB150_548
; %bb.547:
	v_lshlrev_b32_e32 v26, 3, v0
	s_movk_i32 s16, 0x1f8
	v_mad_u32_u24 v27, v0, s16, v26
	ds_read_b64 v[11:12], v27 offset:17664
	s_waitcnt lgkmcnt(0)
	ds_write_b64 v26, v[11:12] offset:16656
	ds_read_b64 v[11:12], v27 offset:17672
	s_waitcnt lgkmcnt(0)
	ds_write_b64 v26, v[11:12] offset:17168
.LBB150_548:
	s_or_b64 exec, exec, s[14:15]
	s_waitcnt lgkmcnt(0)
	s_barrier
	s_and_saveexec_b64 s[14:15], vcc
	s_cbranch_execz .LBB150_550
; %bb.549:
	s_movk_i32 s16, 0x100
	v_mov_b32_e32 v11, 0
	v_add_u32_e64 v26, s16, 0
	ds_read_b64 v[11:12], v11 offset:17160
	ds_read2st64_b64 v[26:29], v26 offset0:32 offset1:33
	s_movk_i32 s16, 0x4000
	s_waitcnt lgkmcnt(0)
	v_mul_f32_e32 v30, v12, v27
	v_mul_f32_e32 v27, v11, v27
	v_fma_f32 v30, v11, v26, -v30
	v_fmac_f32_e32 v27, v12, v26
	v_mul_f32_e32 v11, v27, v29
	v_mul_f32_e32 v12, v30, v29
	v_fma_f32 v11, v30, v28, -v11
	v_fmac_f32_e32 v12, v27, v28
	v_add_u32_e64 v26, s16, 0
	ds_write2_b64 v26, v[11:12], v[11:12] offset0:33 offset1:96
.LBB150_550:
	s_or_b64 exec, exec, s[14:15]
	s_movk_i32 s14, 0x3ff
	v_lshrrev_b32_e32 v28, 5, v16
	v_cmp_lt_u32_e64 s[16:17], s14, v16
	s_movk_i32 s14, 0x400
	v_and_b32_e32 v26, 31, v0
	v_sub_u32_e32 v27, 31, v28
	v_cmp_gt_u32_e64 s[14:15], s14, v16
	v_mov_b32_e32 v12, 0
	v_mov_b32_e32 v11, 0
	s_waitcnt lgkmcnt(0)
	s_barrier
	buffer_wbinvl1_vol
	s_and_saveexec_b64 s[94:95], s[14:15]
	s_cbranch_execz .LBB150_612
; %bb.551:
	v_lshlrev_b32_e32 v29, 3, v26
	v_lshlrev_b32_e32 v30, 9, v27
	ds_read_b64 v[11:12], v29 offset:16384
	ds_read_b64 v[31:32], v30 offset:16640
	s_movk_i32 s20, 0x3e0
	v_cmp_gt_u32_e64 s[20:21], s20, v16
	s_waitcnt lgkmcnt(0)
	v_mul_f32_e32 v33, v32, v12
	v_mul_f32_e32 v12, v31, v12
	v_fma_f32 v31, v31, v11, -v33
	v_fmac_f32_e32 v12, v32, v11
	v_add_f32_e32 v11, 0, v31
	v_add_f32_e32 v12, 0, v12
	s_and_saveexec_b64 s[36:37], s[20:21]
	s_cbranch_execz .LBB150_553
; %bb.552:
	ds_read_b64 v[31:32], v29 offset:16896
	ds_read_b64 v[33:34], v30 offset:16648
	s_waitcnt lgkmcnt(0)
	v_mul_f32_e32 v35, v34, v32
	v_mul_f32_e32 v32, v33, v32
	v_fma_f32 v33, v33, v31, -v35
	v_fmac_f32_e32 v32, v34, v31
	v_add_f32_e32 v11, v11, v33
	v_add_f32_e32 v12, v12, v32
.LBB150_553:
	s_or_b64 exec, exec, s[36:37]
	s_movk_i32 s20, 0x3c0
	v_cmp_gt_u32_e64 s[20:21], s20, v16
	s_and_saveexec_b64 s[36:37], s[20:21]
	s_cbranch_execz .LBB150_555
; %bb.554:
	ds_read_b64 v[31:32], v29 offset:17408
	ds_read_b64 v[33:34], v30 offset:16656
	s_waitcnt lgkmcnt(0)
	v_mul_f32_e32 v35, v34, v32
	v_mul_f32_e32 v32, v33, v32
	v_fma_f32 v33, v33, v31, -v35
	v_fmac_f32_e32 v32, v34, v31
	v_add_f32_e32 v11, v11, v33
	v_add_f32_e32 v12, v12, v32
.LBB150_555:
	s_or_b64 exec, exec, s[36:37]
	s_movk_i32 s20, 0x3a0
	v_cmp_gt_u32_e64 s[20:21], s20, v16
	s_and_saveexec_b64 s[36:37], s[20:21]
	s_cbranch_execz .LBB150_557
; %bb.556:
	ds_read_b64 v[31:32], v29 offset:17920
	ds_read_b64 v[33:34], v30 offset:16664
	s_waitcnt lgkmcnt(0)
	v_mul_f32_e32 v35, v34, v32
	v_mul_f32_e32 v32, v33, v32
	v_fma_f32 v33, v33, v31, -v35
	v_fmac_f32_e32 v32, v34, v31
	v_add_f32_e32 v11, v11, v33
	v_add_f32_e32 v12, v12, v32
.LBB150_557:
	s_or_b64 exec, exec, s[36:37]
	s_movk_i32 s20, 0x380
	v_cmp_gt_u32_e64 s[20:21], s20, v16
	s_and_saveexec_b64 s[36:37], s[20:21]
	s_cbranch_execz .LBB150_559
; %bb.558:
	ds_read_b64 v[31:32], v29 offset:18432
	ds_read_b64 v[33:34], v30 offset:16672
	s_waitcnt lgkmcnt(0)
	v_mul_f32_e32 v35, v34, v32
	v_mul_f32_e32 v32, v33, v32
	v_fma_f32 v33, v33, v31, -v35
	v_fmac_f32_e32 v32, v34, v31
	v_add_f32_e32 v11, v11, v33
	v_add_f32_e32 v12, v12, v32
.LBB150_559:
	s_or_b64 exec, exec, s[36:37]
	s_movk_i32 s20, 0x360
	v_cmp_gt_u32_e64 s[20:21], s20, v16
	s_and_saveexec_b64 s[36:37], s[20:21]
	s_cbranch_execz .LBB150_561
; %bb.560:
	ds_read_b64 v[31:32], v29 offset:18944
	ds_read_b64 v[33:34], v30 offset:16680
	s_waitcnt lgkmcnt(0)
	v_mul_f32_e32 v35, v34, v32
	v_mul_f32_e32 v32, v33, v32
	v_fma_f32 v33, v33, v31, -v35
	v_fmac_f32_e32 v32, v34, v31
	v_add_f32_e32 v11, v11, v33
	v_add_f32_e32 v12, v12, v32
.LBB150_561:
	s_or_b64 exec, exec, s[36:37]
	s_movk_i32 s20, 0x340
	v_cmp_gt_u32_e64 s[20:21], s20, v16
	s_and_saveexec_b64 s[36:37], s[20:21]
	s_cbranch_execz .LBB150_563
; %bb.562:
	ds_read_b64 v[31:32], v29 offset:19456
	ds_read_b64 v[33:34], v30 offset:16688
	s_waitcnt lgkmcnt(0)
	v_mul_f32_e32 v35, v34, v32
	v_mul_f32_e32 v32, v33, v32
	v_fma_f32 v33, v33, v31, -v35
	v_fmac_f32_e32 v32, v34, v31
	v_add_f32_e32 v11, v11, v33
	v_add_f32_e32 v12, v12, v32
.LBB150_563:
	s_or_b64 exec, exec, s[36:37]
	s_movk_i32 s20, 0x320
	v_cmp_gt_u32_e64 s[20:21], s20, v16
	s_and_saveexec_b64 s[36:37], s[20:21]
	s_cbranch_execz .LBB150_565
; %bb.564:
	ds_read_b64 v[31:32], v29 offset:19968
	ds_read_b64 v[33:34], v30 offset:16696
	s_waitcnt lgkmcnt(0)
	v_mul_f32_e32 v35, v34, v32
	v_mul_f32_e32 v32, v33, v32
	v_fma_f32 v33, v33, v31, -v35
	v_fmac_f32_e32 v32, v34, v31
	v_add_f32_e32 v11, v11, v33
	v_add_f32_e32 v12, v12, v32
.LBB150_565:
	s_or_b64 exec, exec, s[36:37]
	s_movk_i32 s20, 0x300
	v_cmp_gt_u32_e64 s[20:21], s20, v16
	s_and_saveexec_b64 s[36:37], s[20:21]
	s_cbranch_execz .LBB150_567
; %bb.566:
	ds_read_b64 v[31:32], v29 offset:20480
	ds_read_b64 v[33:34], v30 offset:16704
	s_waitcnt lgkmcnt(0)
	v_mul_f32_e32 v35, v34, v32
	v_mul_f32_e32 v32, v33, v32
	v_fma_f32 v33, v33, v31, -v35
	v_fmac_f32_e32 v32, v34, v31
	v_add_f32_e32 v11, v11, v33
	v_add_f32_e32 v12, v12, v32
.LBB150_567:
	s_or_b64 exec, exec, s[36:37]
	s_movk_i32 s20, 0x2e0
	v_cmp_gt_u32_e64 s[20:21], s20, v16
	s_and_saveexec_b64 s[36:37], s[20:21]
	s_cbranch_execz .LBB150_569
; %bb.568:
	ds_read_b64 v[31:32], v29 offset:20992
	ds_read_b64 v[33:34], v30 offset:16712
	s_waitcnt lgkmcnt(0)
	v_mul_f32_e32 v35, v34, v32
	v_mul_f32_e32 v32, v33, v32
	v_fma_f32 v33, v33, v31, -v35
	v_fmac_f32_e32 v32, v34, v31
	v_add_f32_e32 v11, v11, v33
	v_add_f32_e32 v12, v12, v32
.LBB150_569:
	s_or_b64 exec, exec, s[36:37]
	s_movk_i32 s20, 0x2c0
	v_cmp_gt_u32_e64 s[20:21], s20, v16
	s_and_saveexec_b64 s[36:37], s[20:21]
	s_cbranch_execz .LBB150_571
; %bb.570:
	ds_read_b64 v[31:32], v29 offset:21504
	ds_read_b64 v[33:34], v30 offset:16720
	s_waitcnt lgkmcnt(0)
	v_mul_f32_e32 v35, v34, v32
	v_mul_f32_e32 v32, v33, v32
	v_fma_f32 v33, v33, v31, -v35
	v_fmac_f32_e32 v32, v34, v31
	v_add_f32_e32 v11, v11, v33
	v_add_f32_e32 v12, v12, v32
.LBB150_571:
	s_or_b64 exec, exec, s[36:37]
	s_movk_i32 s20, 0x2a0
	v_cmp_gt_u32_e64 s[20:21], s20, v16
	s_and_saveexec_b64 s[36:37], s[20:21]
	s_cbranch_execz .LBB150_573
; %bb.572:
	ds_read_b64 v[31:32], v29 offset:22016
	ds_read_b64 v[33:34], v30 offset:16728
	s_waitcnt lgkmcnt(0)
	v_mul_f32_e32 v35, v34, v32
	v_mul_f32_e32 v32, v33, v32
	v_fma_f32 v33, v33, v31, -v35
	v_fmac_f32_e32 v32, v34, v31
	v_add_f32_e32 v11, v11, v33
	v_add_f32_e32 v12, v12, v32
.LBB150_573:
	s_or_b64 exec, exec, s[36:37]
	s_movk_i32 s20, 0x280
	v_cmp_gt_u32_e64 s[20:21], s20, v16
	s_and_saveexec_b64 s[36:37], s[20:21]
	s_cbranch_execz .LBB150_575
; %bb.574:
	ds_read_b64 v[31:32], v29 offset:22528
	ds_read_b64 v[33:34], v30 offset:16736
	s_waitcnt lgkmcnt(0)
	v_mul_f32_e32 v35, v34, v32
	v_mul_f32_e32 v32, v33, v32
	v_fma_f32 v33, v33, v31, -v35
	v_fmac_f32_e32 v32, v34, v31
	v_add_f32_e32 v11, v11, v33
	v_add_f32_e32 v12, v12, v32
.LBB150_575:
	s_or_b64 exec, exec, s[36:37]
	s_movk_i32 s20, 0x260
	v_cmp_gt_u32_e64 s[20:21], s20, v16
	s_and_saveexec_b64 s[36:37], s[20:21]
	s_cbranch_execz .LBB150_577
; %bb.576:
	ds_read_b64 v[31:32], v29 offset:23040
	ds_read_b64 v[33:34], v30 offset:16744
	s_waitcnt lgkmcnt(0)
	v_mul_f32_e32 v35, v34, v32
	v_mul_f32_e32 v32, v33, v32
	v_fma_f32 v33, v33, v31, -v35
	v_fmac_f32_e32 v32, v34, v31
	v_add_f32_e32 v11, v11, v33
	v_add_f32_e32 v12, v12, v32
.LBB150_577:
	s_or_b64 exec, exec, s[36:37]
	s_movk_i32 s20, 0x240
	v_cmp_gt_u32_e64 s[20:21], s20, v16
	s_and_saveexec_b64 s[36:37], s[20:21]
	s_cbranch_execz .LBB150_579
; %bb.578:
	ds_read_b64 v[31:32], v29 offset:23552
	ds_read_b64 v[33:34], v30 offset:16752
	s_waitcnt lgkmcnt(0)
	v_mul_f32_e32 v35, v34, v32
	v_mul_f32_e32 v32, v33, v32
	v_fma_f32 v33, v33, v31, -v35
	v_fmac_f32_e32 v32, v34, v31
	v_add_f32_e32 v11, v11, v33
	v_add_f32_e32 v12, v12, v32
.LBB150_579:
	s_or_b64 exec, exec, s[36:37]
	s_movk_i32 s20, 0x220
	v_cmp_gt_u32_e64 s[20:21], s20, v16
	s_and_saveexec_b64 s[36:37], s[20:21]
	s_cbranch_execz .LBB150_581
; %bb.580:
	ds_read_b64 v[31:32], v29 offset:24064
	ds_read_b64 v[33:34], v30 offset:16760
	s_waitcnt lgkmcnt(0)
	v_mul_f32_e32 v35, v34, v32
	v_mul_f32_e32 v32, v33, v32
	v_fma_f32 v33, v33, v31, -v35
	v_fmac_f32_e32 v32, v34, v31
	v_add_f32_e32 v11, v11, v33
	v_add_f32_e32 v12, v12, v32
.LBB150_581:
	s_or_b64 exec, exec, s[36:37]
	s_movk_i32 s20, 0x200
	v_cmp_gt_u32_e64 s[20:21], s20, v16
	s_and_saveexec_b64 s[36:37], s[20:21]
	s_cbranch_execz .LBB150_583
; %bb.582:
	ds_read_b64 v[31:32], v29 offset:24576
	ds_read_b64 v[33:34], v30 offset:16768
	s_waitcnt lgkmcnt(0)
	v_mul_f32_e32 v35, v34, v32
	v_mul_f32_e32 v32, v33, v32
	v_fma_f32 v33, v33, v31, -v35
	v_fmac_f32_e32 v32, v34, v31
	v_add_f32_e32 v11, v11, v33
	v_add_f32_e32 v12, v12, v32
.LBB150_583:
	s_or_b64 exec, exec, s[36:37]
	s_movk_i32 s20, 0x1e0
	v_cmp_gt_u32_e64 s[20:21], s20, v16
	s_and_saveexec_b64 s[36:37], s[20:21]
	s_cbranch_execz .LBB150_585
; %bb.584:
	ds_read_b64 v[31:32], v29 offset:25088
	ds_read_b64 v[33:34], v30 offset:16776
	s_waitcnt lgkmcnt(0)
	v_mul_f32_e32 v35, v34, v32
	v_mul_f32_e32 v32, v33, v32
	v_fma_f32 v33, v33, v31, -v35
	v_fmac_f32_e32 v32, v34, v31
	v_add_f32_e32 v11, v11, v33
	v_add_f32_e32 v12, v12, v32
.LBB150_585:
	s_or_b64 exec, exec, s[36:37]
	s_movk_i32 s20, 0x1c0
	v_cmp_gt_u32_e64 s[20:21], s20, v16
	s_and_saveexec_b64 s[36:37], s[20:21]
	s_cbranch_execz .LBB150_587
; %bb.586:
	ds_read_b64 v[31:32], v29 offset:25600
	ds_read_b64 v[33:34], v30 offset:16784
	s_waitcnt lgkmcnt(0)
	v_mul_f32_e32 v35, v34, v32
	v_mul_f32_e32 v32, v33, v32
	v_fma_f32 v33, v33, v31, -v35
	v_fmac_f32_e32 v32, v34, v31
	v_add_f32_e32 v11, v11, v33
	v_add_f32_e32 v12, v12, v32
.LBB150_587:
	s_or_b64 exec, exec, s[36:37]
	s_movk_i32 s20, 0x1a0
	v_cmp_gt_u32_e64 s[20:21], s20, v16
	s_and_saveexec_b64 s[36:37], s[20:21]
	s_cbranch_execz .LBB150_589
; %bb.588:
	ds_read_b64 v[31:32], v29 offset:26112
	ds_read_b64 v[33:34], v30 offset:16792
	s_waitcnt lgkmcnt(0)
	v_mul_f32_e32 v35, v34, v32
	v_mul_f32_e32 v32, v33, v32
	v_fma_f32 v33, v33, v31, -v35
	v_fmac_f32_e32 v32, v34, v31
	v_add_f32_e32 v11, v11, v33
	v_add_f32_e32 v12, v12, v32
.LBB150_589:
	s_or_b64 exec, exec, s[36:37]
	s_movk_i32 s20, 0x180
	v_cmp_gt_u32_e64 s[20:21], s20, v16
	s_and_saveexec_b64 s[36:37], s[20:21]
	s_cbranch_execz .LBB150_591
; %bb.590:
	ds_read_b64 v[31:32], v29 offset:26624
	ds_read_b64 v[33:34], v30 offset:16800
	s_waitcnt lgkmcnt(0)
	v_mul_f32_e32 v35, v34, v32
	v_mul_f32_e32 v32, v33, v32
	v_fma_f32 v33, v33, v31, -v35
	v_fmac_f32_e32 v32, v34, v31
	v_add_f32_e32 v11, v11, v33
	v_add_f32_e32 v12, v12, v32
.LBB150_591:
	s_or_b64 exec, exec, s[36:37]
	s_movk_i32 s20, 0x160
	v_cmp_gt_u32_e64 s[20:21], s20, v16
	s_and_saveexec_b64 s[36:37], s[20:21]
	s_cbranch_execz .LBB150_593
; %bb.592:
	ds_read_b64 v[31:32], v29 offset:27136
	ds_read_b64 v[33:34], v30 offset:16808
	s_waitcnt lgkmcnt(0)
	v_mul_f32_e32 v35, v34, v32
	v_mul_f32_e32 v32, v33, v32
	v_fma_f32 v33, v33, v31, -v35
	v_fmac_f32_e32 v32, v34, v31
	v_add_f32_e32 v11, v11, v33
	v_add_f32_e32 v12, v12, v32
.LBB150_593:
	s_or_b64 exec, exec, s[36:37]
	s_movk_i32 s20, 0x140
	v_cmp_gt_u32_e64 s[20:21], s20, v16
	s_and_saveexec_b64 s[36:37], s[20:21]
	s_cbranch_execz .LBB150_595
; %bb.594:
	ds_read_b64 v[31:32], v29 offset:27648
	ds_read_b64 v[33:34], v30 offset:16816
	s_waitcnt lgkmcnt(0)
	v_mul_f32_e32 v35, v34, v32
	v_mul_f32_e32 v32, v33, v32
	v_fma_f32 v33, v33, v31, -v35
	v_fmac_f32_e32 v32, v34, v31
	v_add_f32_e32 v11, v11, v33
	v_add_f32_e32 v12, v12, v32
.LBB150_595:
	s_or_b64 exec, exec, s[36:37]
	s_movk_i32 s20, 0x120
	v_cmp_gt_u32_e64 s[20:21], s20, v16
	s_and_saveexec_b64 s[36:37], s[20:21]
	s_cbranch_execz .LBB150_597
; %bb.596:
	ds_read_b64 v[31:32], v29 offset:28160
	ds_read_b64 v[33:34], v30 offset:16824
	s_waitcnt lgkmcnt(0)
	v_mul_f32_e32 v35, v34, v32
	v_mul_f32_e32 v32, v33, v32
	v_fma_f32 v33, v33, v31, -v35
	v_fmac_f32_e32 v32, v34, v31
	v_add_f32_e32 v11, v11, v33
	v_add_f32_e32 v12, v12, v32
.LBB150_597:
	s_or_b64 exec, exec, s[36:37]
	s_and_saveexec_b64 s[20:21], s[10:11]
	s_cbranch_execz .LBB150_599
; %bb.598:
	ds_read_b64 v[31:32], v29 offset:28672
	ds_read_b64 v[33:34], v30 offset:16832
	s_waitcnt lgkmcnt(0)
	v_mul_f32_e32 v35, v34, v32
	v_mul_f32_e32 v32, v33, v32
	v_fma_f32 v33, v33, v31, -v35
	v_fmac_f32_e32 v32, v34, v31
	v_add_f32_e32 v11, v11, v33
	v_add_f32_e32 v12, v12, v32
.LBB150_599:
	s_or_b64 exec, exec, s[20:21]
	s_movk_i32 s20, 0xe0
	v_cmp_gt_u32_e64 s[20:21], s20, v16
	s_and_saveexec_b64 s[36:37], s[20:21]
	s_cbranch_execz .LBB150_601
; %bb.600:
	ds_read_b64 v[31:32], v29 offset:29184
	ds_read_b64 v[33:34], v30 offset:16840
	s_waitcnt lgkmcnt(0)
	v_mul_f32_e32 v35, v34, v32
	v_mul_f32_e32 v32, v33, v32
	v_fma_f32 v33, v33, v31, -v35
	v_fmac_f32_e32 v32, v34, v31
	v_add_f32_e32 v11, v11, v33
	v_add_f32_e32 v12, v12, v32
.LBB150_601:
	s_or_b64 exec, exec, s[36:37]
	s_movk_i32 s20, 0xc0
	v_cmp_gt_u32_e64 s[20:21], s20, v16
	;; [unrolled: 16-line block ×5, first 2 shown]
	s_and_saveexec_b64 s[36:37], s[20:21]
	s_cbranch_execnz .LBB150_1149
; %bb.608:
	s_or_b64 exec, exec, s[36:37]
	s_and_saveexec_b64 s[20:21], s[8:9]
	s_cbranch_execnz .LBB150_1150
.LBB150_609:
	s_or_b64 exec, exec, s[20:21]
	v_cmp_gt_u32_e64 s[20:21], 32, v16
	s_and_saveexec_b64 s[36:37], s[20:21]
	s_cbranch_execz .LBB150_611
.LBB150_610:
	ds_read_b64 v[31:32], v29 offset:32256
	ds_read_b64 v[29:30], v30 offset:16888
	s_waitcnt lgkmcnt(0)
	v_mul_f32_e32 v33, v30, v32
	v_mul_f32_e32 v32, v29, v32
	v_fma_f32 v29, v29, v31, -v33
	v_fmac_f32_e32 v32, v30, v31
	v_add_f32_e32 v11, v11, v29
	v_add_f32_e32 v12, v12, v32
.LBB150_611:
	s_or_b64 exec, exec, s[36:37]
.LBB150_612:
	s_or_b64 exec, exec, s[94:95]
	v_mov_b32_e32 v29, 0x8000
	s_movk_i32 s20, 0x208
	v_lshlrev_b32_e32 v30, 9, v26
	v_mov_b32_e32 v31, 0x3c00
	v_lshl_add_u32 v28, v28, 3, v29
	v_mul_u32_u24_e32 v29, 0x208, v26
	v_sub_u32_e32 v30, 0, v30
	v_mad_u32_u24 v31, v26, s20, v31
	s_mov_b32 s36, 31
	s_xor_b64 s[20:21], s[16:17], -1
	s_branch .LBB150_614
.LBB150_613:                            ;   in Loop: Header=BB150_614 Depth=1
	s_or_b64 exec, exec, s[16:17]
	s_add_i32 s36, s36, -2
	s_cmp_eq_u32 s37, 0
	v_add_u32_e32 v30, 0xfffffc00, v30
	s_barrier
	s_cbranch_scc1 .LBB150_622
.LBB150_614:                            ; =>This Inner Loop Header: Depth=1
	s_movk_i32 s16, 0xc200
	v_cmp_eq_u32_e64 s[16:17], s16, v30
	s_and_b64 s[94:95], s[20:21], s[16:17]
	s_and_saveexec_b64 s[16:17], s[94:95]
	s_cbranch_execz .LBB150_616
; %bb.615:                              ;   in Loop: Header=BB150_614 Depth=1
	ds_read_b64 v[32:33], v29
	s_waitcnt lgkmcnt(0)
	v_mul_f32_e32 v34, v12, v33
	v_mul_f32_e32 v35, v11, v33
	v_fma_f32 v11, v11, v32, -v34
	v_fmac_f32_e32 v35, v12, v32
	v_xor_b32_e32 v32, 0x80000000, v11
	v_xor_b32_e32 v33, 0x80000000, v35
	v_mov_b32_e32 v12, v35
	ds_write_b64 v28, v[32:33]
.LBB150_616:                            ;   in Loop: Header=BB150_614 Depth=1
	s_or_b64 exec, exec, s[16:17]
	v_cmp_gt_u32_e64 s[16:17], s36, v26
	s_and_b64 s[94:95], s[20:21], s[16:17]
	v_add_u32_e32 v32, v31, v30
	s_waitcnt lgkmcnt(0)
	s_barrier
	s_and_saveexec_b64 s[16:17], s[94:95]
	s_cbranch_execz .LBB150_618
; %bb.617:                              ;   in Loop: Header=BB150_614 Depth=1
	ds_read_b64 v[33:34], v32 offset:512
	ds_read_b64 v[35:36], v28
	s_waitcnt lgkmcnt(0)
	v_mul_f32_e32 v37, v36, v34
	v_mul_f32_e32 v34, v35, v34
	v_fma_f32 v35, v35, v33, -v37
	v_fmac_f32_e32 v34, v36, v33
	v_sub_f32_e32 v11, v11, v35
	v_sub_f32_e32 v12, v12, v34
.LBB150_618:                            ;   in Loop: Header=BB150_614 Depth=1
	s_or_b64 exec, exec, s[16:17]
	s_add_i32 s37, s36, -1
	v_cmp_eq_u32_e64 s[16:17], s37, v26
	s_and_b64 s[94:95], s[20:21], s[16:17]
	s_barrier
	s_and_saveexec_b64 s[16:17], s[94:95]
	s_cbranch_execz .LBB150_620
; %bb.619:                              ;   in Loop: Header=BB150_614 Depth=1
	ds_read_b64 v[33:34], v29
	s_waitcnt lgkmcnt(0)
	v_mul_f32_e32 v35, v12, v34
	v_mul_f32_e32 v36, v11, v34
	v_fma_f32 v11, v11, v33, -v35
	v_fmac_f32_e32 v36, v12, v33
	v_xor_b32_e32 v33, 0x80000000, v11
	v_xor_b32_e32 v34, 0x80000000, v36
	v_mov_b32_e32 v12, v36
	ds_write_b64 v28, v[33:34]
.LBB150_620:                            ;   in Loop: Header=BB150_614 Depth=1
	s_or_b64 exec, exec, s[16:17]
	v_cmp_gt_u32_e64 s[16:17], s37, v26
	s_and_b64 s[94:95], s[20:21], s[16:17]
	s_waitcnt lgkmcnt(0)
	s_barrier
	s_and_saveexec_b64 s[16:17], s[94:95]
	s_cbranch_execz .LBB150_613
; %bb.621:                              ;   in Loop: Header=BB150_614 Depth=1
	ds_read_b64 v[32:33], v32
	ds_read_b64 v[34:35], v28
	s_waitcnt lgkmcnt(0)
	v_mul_f32_e32 v36, v35, v33
	v_mul_f32_e32 v33, v34, v33
	v_fma_f32 v34, v34, v32, -v36
	v_fmac_f32_e32 v33, v35, v32
	v_sub_f32_e32 v11, v11, v34
	v_sub_f32_e32 v12, v12, v33
	s_branch .LBB150_613
.LBB150_622:
	s_and_saveexec_b64 s[16:17], s[14:15]
; %bb.623:
	v_lshlrev_b32_e32 v26, 3, v26
	v_lshl_or_b32 v26, v27, 9, v26
	ds_write_b64 v26, v[11:12] offset:16384
; %bb.624:
	s_or_b64 exec, exec, s[16:17]
	v_cmp_gt_u32_e64 s[14:15], 32, v0
	s_and_b64 s[14:15], s[12:13], s[14:15]
	s_waitcnt lgkmcnt(0)
	s_barrier
	s_barrier
	s_and_saveexec_b64 s[12:13], s[14:15]
	s_cbranch_execz .LBB150_626
; %bb.625:
	v_lshlrev_b32_e32 v26, 9, v0
	ds_read_b64 v[11:12], v26 offset:16384
	s_movk_i32 s14, 0xfe08
	v_mad_i32_i24 v27, v0, s14, v26
	s_waitcnt lgkmcnt(0)
	ds_write_b64 v27, v[11:12] offset:256
	ds_read_b64 v[11:12], v26 offset:16392
	s_waitcnt lgkmcnt(0)
	ds_write_b64 v27, v[11:12] offset:768
	ds_read_b64 v[11:12], v26 offset:16400
	;; [unrolled: 3-line block ×31, first 2 shown]
	s_waitcnt lgkmcnt(0)
	ds_write_b64 v27, v[11:12] offset:16128
.LBB150_626:
	s_or_b64 exec, exec, s[12:13]
	s_waitcnt lgkmcnt(0)
	s_barrier
	s_and_saveexec_b64 s[12:13], vcc
	s_cbranch_execz .LBB150_628
; %bb.627:
	s_movk_i32 s14, 0xf0
	v_mov_b32_e32 v11, 0
	v_add_u32_e64 v26, s14, 0
	ds_read_b64 v[11:12], v11 offset:16120
	ds_read2st64_b64 v[26:29], v26 offset0:30 offset1:31
	s_movk_i32 s14, 0x3800
	s_waitcnt lgkmcnt(0)
	v_mul_f32_e32 v30, v12, v27
	v_mul_f32_e32 v27, v11, v27
	v_fma_f32 v30, v11, v26, -v30
	v_fmac_f32_e32 v27, v12, v26
	v_mul_f32_e32 v11, v27, v29
	v_mul_f32_e32 v12, v30, v29
	v_fma_f32 v11, v30, v28, -v11
	v_fmac_f32_e32 v12, v27, v28
	v_add_u32_e64 v26, s14, 0
	ds_write2_b64 v26, v[11:12], v[11:12] offset0:159 offset1:222
.LBB150_628:
	s_or_b64 exec, exec, s[12:13]
	v_mov_b32_e32 v11, 0
	v_mov_b32_e32 v12, 0
	s_waitcnt lgkmcnt(0)
	s_barrier
	buffer_wbinvl1_vol
	s_and_saveexec_b64 s[14:15], s[2:3]
	s_cbranch_execz .LBB150_632
; %bb.629:
	v_lshlrev_b32_e32 v11, 3, v13
	v_lshlrev_b32_e32 v26, 9, v14
	ds_read_b64 v[11:12], v11 offset:15584
	ds_read_b64 v[26:27], v26 offset:15600
	v_cmp_gt_u32_e64 s[12:13], 2, v16
	s_waitcnt lgkmcnt(0)
	v_mul_f32_e32 v28, v27, v12
	v_mul_f32_e32 v12, v26, v12
	v_fma_f32 v26, v26, v11, -v28
	v_fmac_f32_e32 v12, v27, v11
	v_add_f32_e32 v11, 0, v26
	v_add_f32_e32 v12, 0, v12
	s_and_saveexec_b64 s[16:17], s[12:13]
	s_cbranch_execz .LBB150_631
; %bb.630:
	v_lshlrev_b32_e32 v26, 3, v0
	v_mov_b32_e32 v28, 0
	ds_read_b64 v[26:27], v26 offset:16096
	ds_read_b64 v[28:29], v28 offset:16120
	s_waitcnt lgkmcnt(0)
	v_mul_f32_e32 v30, v29, v27
	v_mul_f32_e32 v27, v28, v27
	v_fma_f32 v28, v28, v26, -v30
	v_fmac_f32_e32 v27, v29, v26
	v_add_f32_e32 v11, v11, v28
	v_add_f32_e32 v12, v12, v27
.LBB150_631:
	s_or_b64 exec, exec, s[16:17]
.LBB150_632:
	s_or_b64 exec, exec, s[14:15]
	s_and_saveexec_b64 s[12:13], s[40:41]
	s_cbranch_execz .LBB150_634
; %bb.633:
	v_mov_b32_e32 v26, 0
	ds_read_b64 v[26:27], v26 offset:15080
	s_waitcnt lgkmcnt(0)
	v_mul_f32_e32 v28, v12, v27
	v_mul_f32_e32 v29, v11, v27
	v_fma_f32 v11, v11, v26, -v28
	v_fmac_f32_e32 v29, v12, v26
	v_xor_b32_e32 v26, 0x80000000, v11
	v_xor_b32_e32 v27, 0x80000000, v29
	v_mov_b32_e32 v12, v29
	ds_write_b64 v15, v[26:27]
.LBB150_634:
	s_or_b64 exec, exec, s[12:13]
	s_waitcnt lgkmcnt(0)
	s_barrier
	s_and_saveexec_b64 s[12:13], s[38:39]
	s_cbranch_execz .LBB150_636
; %bb.635:
	v_mov_b32_e32 v26, 0
	ds_read_b64 v[26:27], v26 offset:15072
	ds_read_b64 v[28:29], v15
	s_waitcnt lgkmcnt(0)
	v_mul_f32_e32 v30, v29, v27
	v_mul_f32_e32 v27, v28, v27
	v_fma_f32 v28, v28, v26, -v30
	v_fmac_f32_e32 v27, v29, v26
	v_sub_f32_e32 v11, v11, v28
	v_sub_f32_e32 v12, v12, v27
.LBB150_636:
	s_or_b64 exec, exec, s[12:13]
	s_barrier
	s_and_saveexec_b64 s[12:13], s[38:39]
	s_cbranch_execz .LBB150_638
; %bb.637:
	v_mov_b32_e32 v26, 0
	ds_read_b64 v[26:27], v26 offset:14560
	s_waitcnt lgkmcnt(0)
	v_mul_f32_e32 v28, v12, v27
	v_mul_f32_e32 v29, v11, v27
	v_fma_f32 v11, v11, v26, -v28
	v_fmac_f32_e32 v29, v12, v26
	v_xor_b32_e32 v26, 0x80000000, v11
	v_xor_b32_e32 v27, 0x80000000, v29
	v_mov_b32_e32 v12, v29
	ds_write_b64 v15, v[26:27]
.LBB150_638:
	s_or_b64 exec, exec, s[12:13]
	s_waitcnt lgkmcnt(0)
	s_barrier
	s_barrier
	s_and_saveexec_b64 s[12:13], s[2:3]
; %bb.639:
	v_lshlrev_b32_e32 v26, 3, v13
	v_lshl_or_b32 v26, v14, 9, v26
	ds_write_b64 v26, v[11:12] offset:15584
; %bb.640:
	s_or_b64 exec, exec, s[12:13]
	s_waitcnt lgkmcnt(0)
	s_barrier
	s_barrier
	s_and_saveexec_b64 s[12:13], s[42:43]
	s_cbranch_execz .LBB150_642
; %bb.641:
	v_lshlrev_b32_e32 v26, 3, v0
	s_movk_i32 s14, 0x1f8
	v_mad_u32_u24 v27, v0, s14, v26
	ds_read_b64 v[11:12], v27 offset:15584
	s_waitcnt lgkmcnt(0)
	ds_write_b64 v26, v[11:12] offset:14576
	ds_read_b64 v[11:12], v27 offset:15592
	s_waitcnt lgkmcnt(0)
	ds_write_b64 v26, v[11:12] offset:15088
.LBB150_642:
	s_or_b64 exec, exec, s[12:13]
	s_waitcnt lgkmcnt(0)
	s_barrier
	s_and_saveexec_b64 s[12:13], vcc
	s_cbranch_execz .LBB150_644
; %bb.643:
	s_movk_i32 s14, 0xe0
	v_mov_b32_e32 v11, 0
	v_add_u32_e64 v26, s14, 0
	ds_read_b64 v[11:12], v11 offset:15080
	ds_read2st64_b64 v[26:29], v26 offset0:28 offset1:29
	s_movk_i32 s14, 0x3800
	s_waitcnt lgkmcnt(0)
	v_mul_f32_e32 v30, v12, v27
	v_mul_f32_e32 v27, v11, v27
	v_fma_f32 v30, v11, v26, -v30
	v_fmac_f32_e32 v27, v12, v26
	v_mul_f32_e32 v11, v27, v29
	v_mul_f32_e32 v12, v30, v29
	v_fma_f32 v11, v30, v28, -v11
	v_fmac_f32_e32 v12, v27, v28
	v_add_u32_e64 v26, s14, 0
	ds_write2_b64 v26, v[11:12], v[11:12] offset0:29 offset1:92
.LBB150_644:
	s_or_b64 exec, exec, s[12:13]
	v_mov_b32_e32 v12, 0
	v_mov_b32_e32 v11, 0
	s_waitcnt lgkmcnt(0)
	s_barrier
	buffer_wbinvl1_vol
	s_and_saveexec_b64 s[14:15], s[18:19]
	s_cbranch_execz .LBB150_650
; %bb.645:
	v_lshlrev_b32_e32 v26, 3, v17
	v_lshlrev_b32_e32 v27, 9, v18
	ds_read_b64 v[11:12], v26 offset:14528
	ds_read_b64 v[28:29], v27 offset:14560
	v_cmp_gt_u32_e64 s[12:13], 12, v16
	s_waitcnt lgkmcnt(0)
	v_mul_f32_e32 v30, v29, v12
	v_mul_f32_e32 v12, v28, v12
	v_fma_f32 v28, v28, v11, -v30
	v_fmac_f32_e32 v12, v29, v11
	v_add_f32_e32 v11, 0, v28
	v_add_f32_e32 v12, 0, v12
	s_and_saveexec_b64 s[16:17], s[12:13]
	s_cbranch_execnz .LBB150_1151
; %bb.646:
	s_or_b64 exec, exec, s[16:17]
	v_cmp_gt_u32_e64 s[12:13], 8, v16
	s_and_saveexec_b64 s[16:17], s[12:13]
	s_cbranch_execnz .LBB150_1152
.LBB150_647:
	s_or_b64 exec, exec, s[16:17]
	v_cmp_gt_u32_e64 s[12:13], 4, v16
	s_and_saveexec_b64 s[16:17], s[12:13]
	s_cbranch_execz .LBB150_649
.LBB150_648:
	v_lshlrev_b32_e32 v26, 3, v0
	v_mov_b32_e32 v28, 0
	ds_read_b64 v[26:27], v26 offset:16064
	ds_read_b64 v[28:29], v28 offset:16120
	s_waitcnt lgkmcnt(0)
	v_mul_f32_e32 v30, v29, v27
	v_mul_f32_e32 v27, v28, v27
	v_fma_f32 v28, v28, v26, -v30
	v_fmac_f32_e32 v27, v29, v26
	v_add_f32_e32 v11, v11, v28
	v_add_f32_e32 v12, v12, v27
.LBB150_649:
	s_or_b64 exec, exec, s[16:17]
.LBB150_650:
	s_or_b64 exec, exec, s[14:15]
	s_and_saveexec_b64 s[12:13], s[46:47]
	s_cbranch_execz .LBB150_652
; %bb.651:
	v_mov_b32_e32 v26, 0
	ds_read_b64 v[26:27], v26 offset:14040
	s_waitcnt lgkmcnt(0)
	v_mul_f32_e32 v28, v12, v27
	v_mul_f32_e32 v29, v11, v27
	v_fma_f32 v11, v11, v26, -v28
	v_fmac_f32_e32 v29, v12, v26
	v_xor_b32_e32 v26, 0x80000000, v11
	v_xor_b32_e32 v27, 0x80000000, v29
	v_mov_b32_e32 v12, v29
	ds_write_b64 v19, v[26:27]
.LBB150_652:
	s_or_b64 exec, exec, s[12:13]
	s_waitcnt lgkmcnt(0)
	s_barrier
	s_and_saveexec_b64 s[12:13], s[48:49]
	s_cbranch_execz .LBB150_654
; %bb.653:
	v_lshlrev_b32_e32 v26, 3, v17
	ds_read_b64 v[26:27], v26 offset:14016
	ds_read_b64 v[28:29], v19
	s_waitcnt lgkmcnt(0)
	v_mul_f32_e32 v30, v29, v27
	v_mul_f32_e32 v27, v28, v27
	v_fma_f32 v28, v28, v26, -v30
	v_fmac_f32_e32 v27, v29, v26
	v_sub_f32_e32 v11, v11, v28
	v_sub_f32_e32 v12, v12, v27
.LBB150_654:
	s_or_b64 exec, exec, s[12:13]
	s_barrier
	s_and_saveexec_b64 s[12:13], s[50:51]
	s_cbranch_execz .LBB150_656
; %bb.655:
	v_mov_b32_e32 v26, 0
	ds_read_b64 v[26:27], v26 offset:13520
	s_waitcnt lgkmcnt(0)
	v_mul_f32_e32 v28, v12, v27
	v_mul_f32_e32 v29, v11, v27
	v_fma_f32 v11, v11, v26, -v28
	v_fmac_f32_e32 v29, v12, v26
	v_xor_b32_e32 v26, 0x80000000, v11
	v_xor_b32_e32 v27, 0x80000000, v29
	v_mov_b32_e32 v12, v29
	ds_write_b64 v19, v[26:27]
.LBB150_656:
	s_or_b64 exec, exec, s[12:13]
	s_waitcnt lgkmcnt(0)
	s_barrier
	s_and_saveexec_b64 s[12:13], s[52:53]
	s_cbranch_execz .LBB150_658
; %bb.657:
	v_lshlrev_b32_e32 v26, 3, v17
	ds_read_b64 v[26:27], v26 offset:13504
	ds_read_b64 v[28:29], v19
	s_waitcnt lgkmcnt(0)
	v_mul_f32_e32 v30, v29, v27
	v_mul_f32_e32 v27, v28, v27
	v_fma_f32 v28, v28, v26, -v30
	v_fmac_f32_e32 v27, v29, v26
	v_sub_f32_e32 v11, v11, v28
	v_sub_f32_e32 v12, v12, v27
.LBB150_658:
	s_or_b64 exec, exec, s[12:13]
	s_barrier
	s_and_saveexec_b64 s[12:13], s[54:55]
	s_cbranch_execz .LBB150_660
; %bb.659:
	v_mov_b32_e32 v26, 0
	ds_read_b64 v[26:27], v26 offset:13000
	s_waitcnt lgkmcnt(0)
	v_mul_f32_e32 v28, v12, v27
	v_mul_f32_e32 v29, v11, v27
	v_fma_f32 v11, v11, v26, -v28
	v_fmac_f32_e32 v29, v12, v26
	v_xor_b32_e32 v26, 0x80000000, v11
	v_xor_b32_e32 v27, 0x80000000, v29
	v_mov_b32_e32 v12, v29
	ds_write_b64 v19, v[26:27]
.LBB150_660:
	s_or_b64 exec, exec, s[12:13]
	s_waitcnt lgkmcnt(0)
	s_barrier
	s_and_saveexec_b64 s[12:13], s[44:45]
	s_cbranch_execz .LBB150_662
; %bb.661:
	v_mov_b32_e32 v26, 0
	ds_read_b64 v[26:27], v26 offset:12992
	ds_read_b64 v[28:29], v19
	s_waitcnt lgkmcnt(0)
	v_mul_f32_e32 v30, v29, v27
	v_mul_f32_e32 v27, v28, v27
	v_fma_f32 v28, v28, v26, -v30
	v_fmac_f32_e32 v27, v29, v26
	v_sub_f32_e32 v11, v11, v28
	v_sub_f32_e32 v12, v12, v27
.LBB150_662:
	s_or_b64 exec, exec, s[12:13]
	s_barrier
	s_and_saveexec_b64 s[12:13], s[44:45]
	s_cbranch_execz .LBB150_664
; %bb.663:
	v_mov_b32_e32 v26, 0
	ds_read_b64 v[26:27], v26 offset:12480
	s_waitcnt lgkmcnt(0)
	v_mul_f32_e32 v28, v12, v27
	v_mul_f32_e32 v29, v11, v27
	v_fma_f32 v11, v11, v26, -v28
	v_fmac_f32_e32 v29, v12, v26
	v_xor_b32_e32 v26, 0x80000000, v11
	v_xor_b32_e32 v27, 0x80000000, v29
	v_mov_b32_e32 v12, v29
	ds_write_b64 v19, v[26:27]
.LBB150_664:
	s_or_b64 exec, exec, s[12:13]
	s_waitcnt lgkmcnt(0)
	s_barrier
	s_barrier
	s_and_saveexec_b64 s[12:13], s[18:19]
; %bb.665:
	v_lshlrev_b32_e32 v26, 3, v17
	v_lshl_or_b32 v26, v18, 9, v26
	ds_write_b64 v26, v[11:12] offset:14528
; %bb.666:
	s_or_b64 exec, exec, s[12:13]
	s_waitcnt lgkmcnt(0)
	s_barrier
	s_barrier
	s_and_saveexec_b64 s[12:13], s[56:57]
	s_cbranch_execz .LBB150_668
; %bb.667:
	v_lshlrev_b32_e32 v26, 9, v0
	ds_read_b64 v[11:12], v26 offset:14528
	s_movk_i32 s14, 0xfe08
	v_mad_i32_i24 v27, v0, s14, v26
	s_waitcnt lgkmcnt(0)
	ds_write_b64 v27, v[11:12] offset:12512
	ds_read_b64 v[11:12], v26 offset:14536
	s_waitcnt lgkmcnt(0)
	ds_write_b64 v27, v[11:12] offset:13024
	ds_read_b64 v[11:12], v26 offset:14544
	;; [unrolled: 3-line block ×3, first 2 shown]
	s_waitcnt lgkmcnt(0)
	ds_write_b64 v27, v[11:12] offset:14048
.LBB150_668:
	s_or_b64 exec, exec, s[12:13]
	s_waitcnt lgkmcnt(0)
	s_barrier
	s_and_saveexec_b64 s[12:13], vcc
	s_cbranch_execz .LBB150_670
; %bb.669:
	s_movk_i32 s14, 0xd0
	v_mov_b32_e32 v11, 0
	v_add_u32_e64 v26, s14, 0
	ds_read_b64 v[11:12], v11 offset:14040
	ds_read2st64_b64 v[26:29], v26 offset0:26 offset1:27
	s_movk_i32 s14, 0x3000
	s_waitcnt lgkmcnt(0)
	v_mul_f32_e32 v30, v12, v27
	v_mul_f32_e32 v27, v11, v27
	v_fma_f32 v30, v11, v26, -v30
	v_fmac_f32_e32 v27, v12, v26
	v_mul_f32_e32 v11, v27, v29
	v_mul_f32_e32 v12, v30, v29
	v_fma_f32 v11, v30, v28, -v11
	v_fmac_f32_e32 v12, v27, v28
	v_add_u32_e64 v26, s14, 0
	ds_write2_b64 v26, v[11:12], v[11:12] offset0:155 offset1:218
.LBB150_670:
	s_or_b64 exec, exec, s[12:13]
	v_mov_b32_e32 v11, 0
	v_mov_b32_e32 v12, 0
	s_waitcnt lgkmcnt(0)
	s_barrier
	buffer_wbinvl1_vol
	s_and_saveexec_b64 s[14:15], s[2:3]
	s_cbranch_execz .LBB150_674
; %bb.671:
	v_lshlrev_b32_e32 v11, 3, v13
	v_lshlrev_b32_e32 v26, 9, v14
	ds_read_b64 v[11:12], v11 offset:13504
	ds_read_b64 v[26:27], v26 offset:13520
	v_cmp_gt_u32_e64 s[12:13], 2, v16
	s_waitcnt lgkmcnt(0)
	v_mul_f32_e32 v28, v27, v12
	v_mul_f32_e32 v12, v26, v12
	v_fma_f32 v26, v26, v11, -v28
	v_fmac_f32_e32 v12, v27, v11
	v_add_f32_e32 v11, 0, v26
	v_add_f32_e32 v12, 0, v12
	s_and_saveexec_b64 s[16:17], s[12:13]
	s_cbranch_execz .LBB150_673
; %bb.672:
	v_lshlrev_b32_e32 v26, 3, v0
	v_mov_b32_e32 v28, 0
	ds_read_b64 v[26:27], v26 offset:14016
	ds_read_b64 v[28:29], v28 offset:14040
	s_waitcnt lgkmcnt(0)
	v_mul_f32_e32 v30, v29, v27
	v_mul_f32_e32 v27, v28, v27
	v_fma_f32 v28, v28, v26, -v30
	v_fmac_f32_e32 v27, v29, v26
	v_add_f32_e32 v11, v11, v28
	v_add_f32_e32 v12, v12, v27
.LBB150_673:
	s_or_b64 exec, exec, s[16:17]
.LBB150_674:
	s_or_b64 exec, exec, s[14:15]
	s_and_saveexec_b64 s[12:13], s[40:41]
	s_cbranch_execz .LBB150_676
; %bb.675:
	v_mov_b32_e32 v26, 0
	ds_read_b64 v[26:27], v26 offset:13000
	s_waitcnt lgkmcnt(0)
	v_mul_f32_e32 v28, v12, v27
	v_mul_f32_e32 v29, v11, v27
	v_fma_f32 v11, v11, v26, -v28
	v_fmac_f32_e32 v29, v12, v26
	v_xor_b32_e32 v26, 0x80000000, v11
	v_xor_b32_e32 v27, 0x80000000, v29
	v_mov_b32_e32 v12, v29
	ds_write_b64 v15, v[26:27]
.LBB150_676:
	s_or_b64 exec, exec, s[12:13]
	s_waitcnt lgkmcnt(0)
	s_barrier
	s_and_saveexec_b64 s[12:13], s[38:39]
	s_cbranch_execz .LBB150_678
; %bb.677:
	v_mov_b32_e32 v26, 0
	ds_read_b64 v[26:27], v26 offset:12992
	ds_read_b64 v[28:29], v15
	s_waitcnt lgkmcnt(0)
	v_mul_f32_e32 v30, v29, v27
	v_mul_f32_e32 v27, v28, v27
	v_fma_f32 v28, v28, v26, -v30
	v_fmac_f32_e32 v27, v29, v26
	v_sub_f32_e32 v11, v11, v28
	v_sub_f32_e32 v12, v12, v27
.LBB150_678:
	s_or_b64 exec, exec, s[12:13]
	s_barrier
	s_and_saveexec_b64 s[12:13], s[38:39]
	s_cbranch_execz .LBB150_680
; %bb.679:
	v_mov_b32_e32 v26, 0
	ds_read_b64 v[26:27], v26 offset:12480
	s_waitcnt lgkmcnt(0)
	v_mul_f32_e32 v28, v12, v27
	v_mul_f32_e32 v29, v11, v27
	v_fma_f32 v11, v11, v26, -v28
	v_fmac_f32_e32 v29, v12, v26
	v_xor_b32_e32 v26, 0x80000000, v11
	v_xor_b32_e32 v27, 0x80000000, v29
	v_mov_b32_e32 v12, v29
	ds_write_b64 v15, v[26:27]
.LBB150_680:
	s_or_b64 exec, exec, s[12:13]
	s_waitcnt lgkmcnt(0)
	s_barrier
	s_barrier
	s_and_saveexec_b64 s[12:13], s[2:3]
; %bb.681:
	v_lshlrev_b32_e32 v26, 3, v13
	v_lshl_or_b32 v26, v14, 9, v26
	ds_write_b64 v26, v[11:12] offset:13504
; %bb.682:
	s_or_b64 exec, exec, s[12:13]
	s_waitcnt lgkmcnt(0)
	s_barrier
	s_barrier
	s_and_saveexec_b64 s[12:13], s[42:43]
	s_cbranch_execz .LBB150_684
; %bb.683:
	v_lshlrev_b32_e32 v26, 3, v0
	s_movk_i32 s14, 0x1f8
	v_mad_u32_u24 v27, v0, s14, v26
	ds_read_b64 v[11:12], v27 offset:13504
	s_waitcnt lgkmcnt(0)
	ds_write_b64 v26, v[11:12] offset:12496
	ds_read_b64 v[11:12], v27 offset:13512
	s_waitcnt lgkmcnt(0)
	ds_write_b64 v26, v[11:12] offset:13008
.LBB150_684:
	s_or_b64 exec, exec, s[12:13]
	s_waitcnt lgkmcnt(0)
	s_barrier
	s_and_saveexec_b64 s[12:13], vcc
	s_cbranch_execz .LBB150_686
; %bb.685:
	s_movk_i32 s14, 0xc0
	v_mov_b32_e32 v11, 0
	v_add_u32_e64 v26, s14, 0
	ds_read_b64 v[11:12], v11 offset:13000
	ds_read2st64_b64 v[26:29], v26 offset0:24 offset1:25
	s_movk_i32 s14, 0x3000
	s_waitcnt lgkmcnt(0)
	v_mul_f32_e32 v30, v12, v27
	v_mul_f32_e32 v27, v11, v27
	v_fma_f32 v30, v11, v26, -v30
	v_fmac_f32_e32 v27, v12, v26
	v_mul_f32_e32 v11, v27, v29
	v_mul_f32_e32 v12, v30, v29
	v_fma_f32 v11, v30, v28, -v11
	v_fmac_f32_e32 v12, v27, v28
	v_add_u32_e64 v26, s14, 0
	ds_write2_b64 v26, v[11:12], v[11:12] offset0:25 offset1:88
.LBB150_686:
	s_or_b64 exec, exec, s[12:13]
	v_mov_b32_e32 v12, 0
	v_mov_b32_e32 v11, 0
	s_waitcnt lgkmcnt(0)
	s_barrier
	buffer_wbinvl1_vol
	s_and_saveexec_b64 s[14:15], s[8:9]
	s_cbranch_execz .LBB150_696
; %bb.687:
	v_lshlrev_b32_e32 v26, 3, v20
	v_lshlrev_b32_e32 v27, 9, v21
	ds_read_b64 v[11:12], v26 offset:12416
	ds_read_b64 v[28:29], v27 offset:12480
	v_cmp_gt_u32_e64 s[12:13], 56, v16
	s_waitcnt lgkmcnt(0)
	v_mul_f32_e32 v30, v29, v12
	v_mul_f32_e32 v12, v28, v12
	v_fma_f32 v28, v28, v11, -v30
	v_fmac_f32_e32 v12, v29, v11
	v_add_f32_e32 v11, 0, v28
	v_add_f32_e32 v12, 0, v12
	s_and_saveexec_b64 s[16:17], s[12:13]
	s_cbranch_execnz .LBB150_1153
; %bb.688:
	s_or_b64 exec, exec, s[16:17]
	v_cmp_gt_u32_e64 s[12:13], 48, v16
	s_and_saveexec_b64 s[16:17], s[12:13]
	s_cbranch_execnz .LBB150_1154
.LBB150_689:
	s_or_b64 exec, exec, s[16:17]
	v_cmp_gt_u32_e64 s[12:13], 40, v16
	s_and_saveexec_b64 s[16:17], s[12:13]
	s_cbranch_execnz .LBB150_1155
.LBB150_690:
	s_or_b64 exec, exec, s[16:17]
	v_cmp_gt_u32_e64 s[12:13], 32, v16
	s_and_saveexec_b64 s[16:17], s[12:13]
	s_cbranch_execnz .LBB150_1156
.LBB150_691:
	s_or_b64 exec, exec, s[16:17]
	v_cmp_gt_u32_e64 s[12:13], 24, v16
	s_and_saveexec_b64 s[16:17], s[12:13]
	s_cbranch_execnz .LBB150_1157
.LBB150_692:
	s_or_b64 exec, exec, s[16:17]
	s_and_saveexec_b64 s[12:13], s[18:19]
	s_cbranch_execnz .LBB150_1158
.LBB150_693:
	s_or_b64 exec, exec, s[12:13]
	v_cmp_gt_u32_e64 s[12:13], 8, v16
	s_and_saveexec_b64 s[16:17], s[12:13]
	s_cbranch_execz .LBB150_695
.LBB150_694:
	v_lshlrev_b32_e32 v26, 3, v0
	v_mov_b32_e32 v28, 0
	ds_read_b64 v[26:27], v26 offset:16000
	ds_read_b64 v[28:29], v28 offset:16120
	s_waitcnt lgkmcnt(0)
	v_mul_f32_e32 v30, v29, v27
	v_mul_f32_e32 v27, v28, v27
	v_fma_f32 v28, v28, v26, -v30
	v_fmac_f32_e32 v27, v29, v26
	v_add_f32_e32 v11, v11, v28
	v_add_f32_e32 v12, v12, v27
.LBB150_695:
	s_or_b64 exec, exec, s[16:17]
.LBB150_696:
	s_or_b64 exec, exec, s[14:15]
	s_and_saveexec_b64 s[12:13], s[60:61]
	s_cbranch_execz .LBB150_698
; %bb.697:
	v_mov_b32_e32 v26, 0
	ds_read_b64 v[26:27], v26 offset:11960
	s_waitcnt lgkmcnt(0)
	v_mul_f32_e32 v28, v12, v27
	v_mul_f32_e32 v29, v11, v27
	v_fma_f32 v11, v11, v26, -v28
	v_fmac_f32_e32 v29, v12, v26
	v_xor_b32_e32 v26, 0x80000000, v11
	v_xor_b32_e32 v27, 0x80000000, v29
	v_mov_b32_e32 v12, v29
	ds_write_b64 v22, v[26:27]
.LBB150_698:
	s_or_b64 exec, exec, s[12:13]
	s_waitcnt lgkmcnt(0)
	s_barrier
	s_and_saveexec_b64 s[12:13], s[62:63]
	s_cbranch_execz .LBB150_700
; %bb.699:
	v_lshlrev_b32_e32 v26, 3, v20
	ds_read_b64 v[26:27], v26 offset:11904
	ds_read_b64 v[28:29], v22
	s_waitcnt lgkmcnt(0)
	v_mul_f32_e32 v30, v29, v27
	v_mul_f32_e32 v27, v28, v27
	v_fma_f32 v28, v28, v26, -v30
	v_fmac_f32_e32 v27, v29, v26
	v_sub_f32_e32 v11, v11, v28
	v_sub_f32_e32 v12, v12, v27
.LBB150_700:
	s_or_b64 exec, exec, s[12:13]
	s_barrier
	s_and_saveexec_b64 s[12:13], s[64:65]
	s_cbranch_execz .LBB150_702
; %bb.701:
	v_mov_b32_e32 v26, 0
	ds_read_b64 v[26:27], v26 offset:11440
	s_waitcnt lgkmcnt(0)
	v_mul_f32_e32 v28, v12, v27
	v_mul_f32_e32 v29, v11, v27
	v_fma_f32 v11, v11, v26, -v28
	v_fmac_f32_e32 v29, v12, v26
	v_xor_b32_e32 v26, 0x80000000, v11
	v_xor_b32_e32 v27, 0x80000000, v29
	v_mov_b32_e32 v12, v29
	ds_write_b64 v22, v[26:27]
.LBB150_702:
	s_or_b64 exec, exec, s[12:13]
	s_waitcnt lgkmcnt(0)
	s_barrier
	s_and_saveexec_b64 s[12:13], s[66:67]
	s_cbranch_execz .LBB150_704
; %bb.703:
	v_lshlrev_b32_e32 v26, 3, v20
	ds_read_b64 v[26:27], v26 offset:11392
	ds_read_b64 v[28:29], v22
	s_waitcnt lgkmcnt(0)
	v_mul_f32_e32 v30, v29, v27
	v_mul_f32_e32 v27, v28, v27
	v_fma_f32 v28, v28, v26, -v30
	v_fmac_f32_e32 v27, v29, v26
	v_sub_f32_e32 v11, v11, v28
	v_sub_f32_e32 v12, v12, v27
.LBB150_704:
	s_or_b64 exec, exec, s[12:13]
	s_barrier
	;; [unrolled: 34-line block ×6, first 2 shown]
	s_and_saveexec_b64 s[12:13], s[84:85]
	s_cbranch_execz .LBB150_722
; %bb.721:
	v_mov_b32_e32 v26, 0
	ds_read_b64 v[26:27], v26 offset:8840
	s_waitcnt lgkmcnt(0)
	v_mul_f32_e32 v28, v12, v27
	v_mul_f32_e32 v29, v11, v27
	v_fma_f32 v11, v11, v26, -v28
	v_fmac_f32_e32 v29, v12, v26
	v_xor_b32_e32 v26, 0x80000000, v11
	v_xor_b32_e32 v27, 0x80000000, v29
	v_mov_b32_e32 v12, v29
	ds_write_b64 v22, v[26:27]
.LBB150_722:
	s_or_b64 exec, exec, s[12:13]
	s_waitcnt lgkmcnt(0)
	s_barrier
	s_and_saveexec_b64 s[12:13], s[58:59]
	s_cbranch_execz .LBB150_724
; %bb.723:
	v_mov_b32_e32 v26, 0
	ds_read_b64 v[26:27], v26 offset:8832
	ds_read_b64 v[28:29], v22
	s_waitcnt lgkmcnt(0)
	v_mul_f32_e32 v30, v29, v27
	v_mul_f32_e32 v27, v28, v27
	v_fma_f32 v28, v28, v26, -v30
	v_fmac_f32_e32 v27, v29, v26
	v_sub_f32_e32 v11, v11, v28
	v_sub_f32_e32 v12, v12, v27
.LBB150_724:
	s_or_b64 exec, exec, s[12:13]
	s_barrier
	s_and_saveexec_b64 s[12:13], s[58:59]
	s_cbranch_execz .LBB150_726
; %bb.725:
	v_mov_b32_e32 v26, 0
	ds_read_b64 v[26:27], v26 offset:8320
	s_waitcnt lgkmcnt(0)
	v_mul_f32_e32 v28, v12, v27
	v_mul_f32_e32 v29, v11, v27
	v_fma_f32 v11, v11, v26, -v28
	v_fmac_f32_e32 v29, v12, v26
	v_xor_b32_e32 v26, 0x80000000, v11
	v_xor_b32_e32 v27, 0x80000000, v29
	v_mov_b32_e32 v12, v29
	ds_write_b64 v22, v[26:27]
.LBB150_726:
	s_or_b64 exec, exec, s[12:13]
	s_waitcnt lgkmcnt(0)
	s_barrier
	s_barrier
	s_and_saveexec_b64 s[12:13], s[8:9]
; %bb.727:
	v_lshlrev_b32_e32 v26, 3, v20
	v_lshl_or_b32 v26, v21, 9, v26
	ds_write_b64 v26, v[11:12] offset:12416
; %bb.728:
	s_or_b64 exec, exec, s[12:13]
	s_waitcnt lgkmcnt(0)
	s_barrier
	s_barrier
	s_and_saveexec_b64 s[12:13], s[86:87]
	s_cbranch_execz .LBB150_730
; %bb.729:
	v_lshlrev_b32_e32 v26, 9, v0
	ds_read_b64 v[11:12], v26 offset:12416
	s_movk_i32 s14, 0xfe08
	v_mad_i32_i24 v27, v0, s14, v26
	s_waitcnt lgkmcnt(0)
	ds_write_b64 v27, v[11:12] offset:8384
	ds_read_b64 v[11:12], v26 offset:12424
	s_waitcnt lgkmcnt(0)
	ds_write_b64 v27, v[11:12] offset:8896
	ds_read_b64 v[11:12], v26 offset:12432
	;; [unrolled: 3-line block ×7, first 2 shown]
	s_waitcnt lgkmcnt(0)
	ds_write_b64 v27, v[11:12] offset:11968
.LBB150_730:
	s_or_b64 exec, exec, s[12:13]
	s_waitcnt lgkmcnt(0)
	s_barrier
	s_and_saveexec_b64 s[12:13], vcc
	s_cbranch_execz .LBB150_732
; %bb.731:
	s_movk_i32 s14, 0xb0
	v_mov_b32_e32 v11, 0
	v_add_u32_e64 v26, s14, 0
	ds_read_b64 v[11:12], v11 offset:11960
	ds_read2st64_b64 v[26:29], v26 offset0:22 offset1:23
	s_movk_i32 s14, 0x2800
	s_waitcnt lgkmcnt(0)
	v_mul_f32_e32 v30, v12, v27
	v_mul_f32_e32 v27, v11, v27
	v_fma_f32 v30, v11, v26, -v30
	v_fmac_f32_e32 v27, v12, v26
	v_mul_f32_e32 v11, v27, v29
	v_mul_f32_e32 v12, v30, v29
	v_fma_f32 v11, v30, v28, -v11
	v_fmac_f32_e32 v12, v27, v28
	v_add_u32_e64 v26, s14, 0
	ds_write2_b64 v26, v[11:12], v[11:12] offset0:151 offset1:214
.LBB150_732:
	s_or_b64 exec, exec, s[12:13]
	v_mov_b32_e32 v11, 0
	v_mov_b32_e32 v12, 0
	s_waitcnt lgkmcnt(0)
	s_barrier
	buffer_wbinvl1_vol
	s_and_saveexec_b64 s[14:15], s[2:3]
	s_cbranch_execz .LBB150_736
; %bb.733:
	v_lshlrev_b32_e32 v11, 3, v13
	v_lshlrev_b32_e32 v26, 9, v14
	ds_read_b64 v[11:12], v11 offset:11424
	ds_read_b64 v[26:27], v26 offset:11440
	v_cmp_gt_u32_e64 s[12:13], 2, v16
	s_waitcnt lgkmcnt(0)
	v_mul_f32_e32 v28, v27, v12
	v_mul_f32_e32 v12, v26, v12
	v_fma_f32 v26, v26, v11, -v28
	v_fmac_f32_e32 v12, v27, v11
	v_add_f32_e32 v11, 0, v26
	v_add_f32_e32 v12, 0, v12
	s_and_saveexec_b64 s[16:17], s[12:13]
	s_cbranch_execz .LBB150_735
; %bb.734:
	v_lshlrev_b32_e32 v26, 3, v0
	v_mov_b32_e32 v28, 0
	ds_read_b64 v[26:27], v26 offset:11936
	ds_read_b64 v[28:29], v28 offset:11960
	s_waitcnt lgkmcnt(0)
	v_mul_f32_e32 v30, v29, v27
	v_mul_f32_e32 v27, v28, v27
	v_fma_f32 v28, v28, v26, -v30
	v_fmac_f32_e32 v27, v29, v26
	v_add_f32_e32 v11, v11, v28
	v_add_f32_e32 v12, v12, v27
.LBB150_735:
	s_or_b64 exec, exec, s[16:17]
.LBB150_736:
	s_or_b64 exec, exec, s[14:15]
	s_and_saveexec_b64 s[12:13], s[40:41]
	s_cbranch_execz .LBB150_738
; %bb.737:
	v_mov_b32_e32 v26, 0
	ds_read_b64 v[26:27], v26 offset:10920
	s_waitcnt lgkmcnt(0)
	v_mul_f32_e32 v28, v12, v27
	v_mul_f32_e32 v29, v11, v27
	v_fma_f32 v11, v11, v26, -v28
	v_fmac_f32_e32 v29, v12, v26
	v_xor_b32_e32 v26, 0x80000000, v11
	v_xor_b32_e32 v27, 0x80000000, v29
	v_mov_b32_e32 v12, v29
	ds_write_b64 v15, v[26:27]
.LBB150_738:
	s_or_b64 exec, exec, s[12:13]
	s_waitcnt lgkmcnt(0)
	s_barrier
	s_and_saveexec_b64 s[12:13], s[38:39]
	s_cbranch_execz .LBB150_740
; %bb.739:
	v_mov_b32_e32 v26, 0
	ds_read_b64 v[26:27], v26 offset:10912
	ds_read_b64 v[28:29], v15
	s_waitcnt lgkmcnt(0)
	v_mul_f32_e32 v30, v29, v27
	v_mul_f32_e32 v27, v28, v27
	v_fma_f32 v28, v28, v26, -v30
	v_fmac_f32_e32 v27, v29, v26
	v_sub_f32_e32 v11, v11, v28
	v_sub_f32_e32 v12, v12, v27
.LBB150_740:
	s_or_b64 exec, exec, s[12:13]
	s_barrier
	s_and_saveexec_b64 s[12:13], s[38:39]
	s_cbranch_execz .LBB150_742
; %bb.741:
	v_mov_b32_e32 v26, 0
	ds_read_b64 v[26:27], v26 offset:10400
	s_waitcnt lgkmcnt(0)
	v_mul_f32_e32 v28, v12, v27
	v_mul_f32_e32 v29, v11, v27
	v_fma_f32 v11, v11, v26, -v28
	v_fmac_f32_e32 v29, v12, v26
	v_xor_b32_e32 v26, 0x80000000, v11
	v_xor_b32_e32 v27, 0x80000000, v29
	v_mov_b32_e32 v12, v29
	ds_write_b64 v15, v[26:27]
.LBB150_742:
	s_or_b64 exec, exec, s[12:13]
	s_waitcnt lgkmcnt(0)
	s_barrier
	s_barrier
	s_and_saveexec_b64 s[12:13], s[2:3]
; %bb.743:
	v_lshlrev_b32_e32 v26, 3, v13
	v_lshl_or_b32 v26, v14, 9, v26
	ds_write_b64 v26, v[11:12] offset:11424
; %bb.744:
	s_or_b64 exec, exec, s[12:13]
	s_waitcnt lgkmcnt(0)
	s_barrier
	s_barrier
	s_and_saveexec_b64 s[12:13], s[42:43]
	s_cbranch_execz .LBB150_746
; %bb.745:
	v_lshlrev_b32_e32 v26, 3, v0
	s_movk_i32 s14, 0x1f8
	v_mad_u32_u24 v27, v0, s14, v26
	ds_read_b64 v[11:12], v27 offset:11424
	s_waitcnt lgkmcnt(0)
	ds_write_b64 v26, v[11:12] offset:10416
	ds_read_b64 v[11:12], v27 offset:11432
	s_waitcnt lgkmcnt(0)
	ds_write_b64 v26, v[11:12] offset:10928
.LBB150_746:
	s_or_b64 exec, exec, s[12:13]
	s_waitcnt lgkmcnt(0)
	s_barrier
	s_and_saveexec_b64 s[12:13], vcc
	s_cbranch_execz .LBB150_748
; %bb.747:
	s_movk_i32 s14, 0xa0
	v_mov_b32_e32 v11, 0
	v_add_u32_e64 v26, s14, 0
	ds_read_b64 v[11:12], v11 offset:10920
	ds_read2st64_b64 v[26:29], v26 offset0:20 offset1:21
	s_movk_i32 s14, 0x2800
	s_waitcnt lgkmcnt(0)
	v_mul_f32_e32 v30, v12, v27
	v_mul_f32_e32 v27, v11, v27
	v_fma_f32 v30, v11, v26, -v30
	v_fmac_f32_e32 v27, v12, v26
	v_mul_f32_e32 v11, v27, v29
	v_mul_f32_e32 v12, v30, v29
	v_fma_f32 v11, v30, v28, -v11
	v_fmac_f32_e32 v12, v27, v28
	v_add_u32_e64 v26, s14, 0
	ds_write2_b64 v26, v[11:12], v[11:12] offset0:21 offset1:84
.LBB150_748:
	s_or_b64 exec, exec, s[12:13]
	v_mov_b32_e32 v12, 0
	v_mov_b32_e32 v11, 0
	s_waitcnt lgkmcnt(0)
	s_barrier
	buffer_wbinvl1_vol
	s_and_saveexec_b64 s[14:15], s[18:19]
	s_cbranch_execz .LBB150_754
; %bb.749:
	v_lshlrev_b32_e32 v26, 3, v17
	v_lshlrev_b32_e32 v27, 9, v18
	ds_read_b64 v[11:12], v26 offset:10368
	ds_read_b64 v[28:29], v27 offset:10400
	v_cmp_gt_u32_e64 s[12:13], 12, v16
	s_waitcnt lgkmcnt(0)
	v_mul_f32_e32 v30, v29, v12
	v_mul_f32_e32 v12, v28, v12
	v_fma_f32 v28, v28, v11, -v30
	v_fmac_f32_e32 v12, v29, v11
	v_add_f32_e32 v11, 0, v28
	v_add_f32_e32 v12, 0, v12
	s_and_saveexec_b64 s[16:17], s[12:13]
	s_cbranch_execnz .LBB150_1159
; %bb.750:
	s_or_b64 exec, exec, s[16:17]
	v_cmp_gt_u32_e64 s[12:13], 8, v16
	s_and_saveexec_b64 s[16:17], s[12:13]
	s_cbranch_execnz .LBB150_1160
.LBB150_751:
	s_or_b64 exec, exec, s[16:17]
	v_cmp_gt_u32_e64 s[12:13], 4, v16
	s_and_saveexec_b64 s[16:17], s[12:13]
	s_cbranch_execz .LBB150_753
.LBB150_752:
	v_lshlrev_b32_e32 v26, 3, v0
	v_mov_b32_e32 v28, 0
	ds_read_b64 v[26:27], v26 offset:11904
	ds_read_b64 v[28:29], v28 offset:11960
	s_waitcnt lgkmcnt(0)
	v_mul_f32_e32 v30, v29, v27
	v_mul_f32_e32 v27, v28, v27
	v_fma_f32 v28, v28, v26, -v30
	v_fmac_f32_e32 v27, v29, v26
	v_add_f32_e32 v11, v11, v28
	v_add_f32_e32 v12, v12, v27
.LBB150_753:
	s_or_b64 exec, exec, s[16:17]
.LBB150_754:
	s_or_b64 exec, exec, s[14:15]
	s_and_saveexec_b64 s[12:13], s[46:47]
	s_cbranch_execz .LBB150_756
; %bb.755:
	v_mov_b32_e32 v26, 0
	ds_read_b64 v[26:27], v26 offset:9880
	s_waitcnt lgkmcnt(0)
	v_mul_f32_e32 v28, v12, v27
	v_mul_f32_e32 v29, v11, v27
	v_fma_f32 v11, v11, v26, -v28
	v_fmac_f32_e32 v29, v12, v26
	v_xor_b32_e32 v26, 0x80000000, v11
	v_xor_b32_e32 v27, 0x80000000, v29
	v_mov_b32_e32 v12, v29
	ds_write_b64 v19, v[26:27]
.LBB150_756:
	s_or_b64 exec, exec, s[12:13]
	s_waitcnt lgkmcnt(0)
	s_barrier
	s_and_saveexec_b64 s[12:13], s[48:49]
	s_cbranch_execz .LBB150_758
; %bb.757:
	v_lshlrev_b32_e32 v26, 3, v17
	ds_read_b64 v[26:27], v26 offset:9856
	ds_read_b64 v[28:29], v19
	s_waitcnt lgkmcnt(0)
	v_mul_f32_e32 v30, v29, v27
	v_mul_f32_e32 v27, v28, v27
	v_fma_f32 v28, v28, v26, -v30
	v_fmac_f32_e32 v27, v29, v26
	v_sub_f32_e32 v11, v11, v28
	v_sub_f32_e32 v12, v12, v27
.LBB150_758:
	s_or_b64 exec, exec, s[12:13]
	s_barrier
	s_and_saveexec_b64 s[12:13], s[50:51]
	s_cbranch_execz .LBB150_760
; %bb.759:
	v_mov_b32_e32 v26, 0
	ds_read_b64 v[26:27], v26 offset:9360
	s_waitcnt lgkmcnt(0)
	v_mul_f32_e32 v28, v12, v27
	v_mul_f32_e32 v29, v11, v27
	v_fma_f32 v11, v11, v26, -v28
	v_fmac_f32_e32 v29, v12, v26
	v_xor_b32_e32 v26, 0x80000000, v11
	v_xor_b32_e32 v27, 0x80000000, v29
	v_mov_b32_e32 v12, v29
	ds_write_b64 v19, v[26:27]
.LBB150_760:
	s_or_b64 exec, exec, s[12:13]
	s_waitcnt lgkmcnt(0)
	s_barrier
	s_and_saveexec_b64 s[12:13], s[52:53]
	s_cbranch_execz .LBB150_762
; %bb.761:
	v_lshlrev_b32_e32 v26, 3, v17
	ds_read_b64 v[26:27], v26 offset:9344
	ds_read_b64 v[28:29], v19
	s_waitcnt lgkmcnt(0)
	v_mul_f32_e32 v30, v29, v27
	v_mul_f32_e32 v27, v28, v27
	v_fma_f32 v28, v28, v26, -v30
	v_fmac_f32_e32 v27, v29, v26
	v_sub_f32_e32 v11, v11, v28
	v_sub_f32_e32 v12, v12, v27
.LBB150_762:
	s_or_b64 exec, exec, s[12:13]
	s_barrier
	s_and_saveexec_b64 s[12:13], s[54:55]
	s_cbranch_execz .LBB150_764
; %bb.763:
	v_mov_b32_e32 v26, 0
	ds_read_b64 v[26:27], v26 offset:8840
	s_waitcnt lgkmcnt(0)
	v_mul_f32_e32 v28, v12, v27
	v_mul_f32_e32 v29, v11, v27
	v_fma_f32 v11, v11, v26, -v28
	v_fmac_f32_e32 v29, v12, v26
	v_xor_b32_e32 v26, 0x80000000, v11
	v_xor_b32_e32 v27, 0x80000000, v29
	v_mov_b32_e32 v12, v29
	ds_write_b64 v19, v[26:27]
.LBB150_764:
	s_or_b64 exec, exec, s[12:13]
	s_waitcnt lgkmcnt(0)
	s_barrier
	s_and_saveexec_b64 s[12:13], s[44:45]
	s_cbranch_execz .LBB150_766
; %bb.765:
	v_mov_b32_e32 v26, 0
	ds_read_b64 v[26:27], v26 offset:8832
	ds_read_b64 v[28:29], v19
	s_waitcnt lgkmcnt(0)
	v_mul_f32_e32 v30, v29, v27
	v_mul_f32_e32 v27, v28, v27
	v_fma_f32 v28, v28, v26, -v30
	v_fmac_f32_e32 v27, v29, v26
	v_sub_f32_e32 v11, v11, v28
	v_sub_f32_e32 v12, v12, v27
.LBB150_766:
	s_or_b64 exec, exec, s[12:13]
	s_barrier
	s_and_saveexec_b64 s[12:13], s[44:45]
	s_cbranch_execz .LBB150_768
; %bb.767:
	v_mov_b32_e32 v26, 0
	ds_read_b64 v[26:27], v26 offset:8320
	s_waitcnt lgkmcnt(0)
	v_mul_f32_e32 v28, v12, v27
	v_mul_f32_e32 v29, v11, v27
	v_fma_f32 v11, v11, v26, -v28
	v_fmac_f32_e32 v29, v12, v26
	v_xor_b32_e32 v26, 0x80000000, v11
	v_xor_b32_e32 v27, 0x80000000, v29
	v_mov_b32_e32 v12, v29
	ds_write_b64 v19, v[26:27]
.LBB150_768:
	s_or_b64 exec, exec, s[12:13]
	s_waitcnt lgkmcnt(0)
	s_barrier
	s_barrier
	s_and_saveexec_b64 s[12:13], s[18:19]
; %bb.769:
	v_lshlrev_b32_e32 v26, 3, v17
	v_lshl_or_b32 v26, v18, 9, v26
	ds_write_b64 v26, v[11:12] offset:10368
; %bb.770:
	s_or_b64 exec, exec, s[12:13]
	s_waitcnt lgkmcnt(0)
	s_barrier
	s_barrier
	s_and_saveexec_b64 s[12:13], s[56:57]
	s_cbranch_execz .LBB150_772
; %bb.771:
	v_lshlrev_b32_e32 v26, 9, v0
	ds_read_b64 v[11:12], v26 offset:10368
	s_movk_i32 s14, 0xfe08
	v_mad_i32_i24 v27, v0, s14, v26
	s_waitcnt lgkmcnt(0)
	ds_write_b64 v27, v[11:12] offset:8352
	ds_read_b64 v[11:12], v26 offset:10376
	s_waitcnt lgkmcnt(0)
	ds_write_b64 v27, v[11:12] offset:8864
	ds_read_b64 v[11:12], v26 offset:10384
	;; [unrolled: 3-line block ×3, first 2 shown]
	s_waitcnt lgkmcnt(0)
	ds_write_b64 v27, v[11:12] offset:9888
.LBB150_772:
	s_or_b64 exec, exec, s[12:13]
	s_waitcnt lgkmcnt(0)
	s_barrier
	s_and_saveexec_b64 s[12:13], vcc
	s_cbranch_execz .LBB150_774
; %bb.773:
	s_movk_i32 s14, 0x90
	v_mov_b32_e32 v11, 0
	v_add_u32_e64 v26, s14, 0
	ds_read_b64 v[11:12], v11 offset:9880
	ds_read2st64_b64 v[26:29], v26 offset0:18 offset1:19
	s_movk_i32 s14, 0x2000
	s_waitcnt lgkmcnt(0)
	v_mul_f32_e32 v30, v12, v27
	v_mul_f32_e32 v27, v11, v27
	v_fma_f32 v30, v11, v26, -v30
	v_fmac_f32_e32 v27, v12, v26
	v_mul_f32_e32 v11, v27, v29
	v_mul_f32_e32 v12, v30, v29
	v_fma_f32 v11, v30, v28, -v11
	v_fmac_f32_e32 v12, v27, v28
	v_add_u32_e64 v26, s14, 0
	ds_write2_b64 v26, v[11:12], v[11:12] offset0:147 offset1:210
.LBB150_774:
	s_or_b64 exec, exec, s[12:13]
	v_mov_b32_e32 v11, 0
	v_mov_b32_e32 v12, 0
	s_waitcnt lgkmcnt(0)
	s_barrier
	buffer_wbinvl1_vol
	s_and_saveexec_b64 s[14:15], s[2:3]
	s_cbranch_execz .LBB150_778
; %bb.775:
	v_lshlrev_b32_e32 v11, 3, v13
	v_lshlrev_b32_e32 v26, 9, v14
	ds_read_b64 v[11:12], v11 offset:9344
	ds_read_b64 v[26:27], v26 offset:9360
	v_cmp_gt_u32_e64 s[12:13], 2, v16
	s_waitcnt lgkmcnt(0)
	v_mul_f32_e32 v28, v27, v12
	v_mul_f32_e32 v12, v26, v12
	v_fma_f32 v26, v26, v11, -v28
	v_fmac_f32_e32 v12, v27, v11
	v_add_f32_e32 v11, 0, v26
	v_add_f32_e32 v12, 0, v12
	s_and_saveexec_b64 s[16:17], s[12:13]
	s_cbranch_execz .LBB150_777
; %bb.776:
	v_lshlrev_b32_e32 v26, 3, v0
	v_mov_b32_e32 v28, 0
	ds_read_b64 v[26:27], v26 offset:9856
	ds_read_b64 v[28:29], v28 offset:9880
	s_waitcnt lgkmcnt(0)
	v_mul_f32_e32 v30, v29, v27
	v_mul_f32_e32 v27, v28, v27
	v_fma_f32 v28, v28, v26, -v30
	v_fmac_f32_e32 v27, v29, v26
	v_add_f32_e32 v11, v11, v28
	v_add_f32_e32 v12, v12, v27
.LBB150_777:
	s_or_b64 exec, exec, s[16:17]
.LBB150_778:
	s_or_b64 exec, exec, s[14:15]
	s_and_saveexec_b64 s[12:13], s[40:41]
	s_cbranch_execz .LBB150_780
; %bb.779:
	v_mov_b32_e32 v26, 0
	ds_read_b64 v[26:27], v26 offset:8840
	s_waitcnt lgkmcnt(0)
	v_mul_f32_e32 v28, v12, v27
	v_mul_f32_e32 v29, v11, v27
	v_fma_f32 v11, v11, v26, -v28
	v_fmac_f32_e32 v29, v12, v26
	v_xor_b32_e32 v26, 0x80000000, v11
	v_xor_b32_e32 v27, 0x80000000, v29
	v_mov_b32_e32 v12, v29
	ds_write_b64 v15, v[26:27]
.LBB150_780:
	s_or_b64 exec, exec, s[12:13]
	s_waitcnt lgkmcnt(0)
	s_barrier
	s_and_saveexec_b64 s[12:13], s[38:39]
	s_cbranch_execz .LBB150_782
; %bb.781:
	v_mov_b32_e32 v26, 0
	ds_read_b64 v[26:27], v26 offset:8832
	ds_read_b64 v[28:29], v15
	s_waitcnt lgkmcnt(0)
	v_mul_f32_e32 v30, v29, v27
	v_mul_f32_e32 v27, v28, v27
	v_fma_f32 v28, v28, v26, -v30
	v_fmac_f32_e32 v27, v29, v26
	v_sub_f32_e32 v11, v11, v28
	v_sub_f32_e32 v12, v12, v27
.LBB150_782:
	s_or_b64 exec, exec, s[12:13]
	s_barrier
	s_and_saveexec_b64 s[12:13], s[38:39]
	s_cbranch_execz .LBB150_784
; %bb.783:
	v_mov_b32_e32 v26, 0
	ds_read_b64 v[26:27], v26 offset:8320
	s_waitcnt lgkmcnt(0)
	v_mul_f32_e32 v28, v12, v27
	v_mul_f32_e32 v29, v11, v27
	v_fma_f32 v11, v11, v26, -v28
	v_fmac_f32_e32 v29, v12, v26
	v_xor_b32_e32 v26, 0x80000000, v11
	v_xor_b32_e32 v27, 0x80000000, v29
	v_mov_b32_e32 v12, v29
	ds_write_b64 v15, v[26:27]
.LBB150_784:
	s_or_b64 exec, exec, s[12:13]
	s_waitcnt lgkmcnt(0)
	s_barrier
	s_barrier
	s_and_saveexec_b64 s[12:13], s[2:3]
; %bb.785:
	v_lshlrev_b32_e32 v26, 3, v13
	v_lshl_or_b32 v26, v14, 9, v26
	ds_write_b64 v26, v[11:12] offset:9344
; %bb.786:
	s_or_b64 exec, exec, s[12:13]
	s_waitcnt lgkmcnt(0)
	s_barrier
	s_barrier
	s_and_saveexec_b64 s[12:13], s[42:43]
	s_cbranch_execz .LBB150_788
; %bb.787:
	v_lshlrev_b32_e32 v26, 3, v0
	s_movk_i32 s14, 0x1f8
	v_mad_u32_u24 v27, v0, s14, v26
	ds_read_b64 v[11:12], v27 offset:9344
	s_waitcnt lgkmcnt(0)
	ds_write_b64 v26, v[11:12] offset:8336
	ds_read_b64 v[11:12], v27 offset:9352
	s_waitcnt lgkmcnt(0)
	ds_write_b64 v26, v[11:12] offset:8848
.LBB150_788:
	s_or_b64 exec, exec, s[12:13]
	s_waitcnt lgkmcnt(0)
	s_barrier
	s_and_saveexec_b64 s[12:13], vcc
	s_cbranch_execz .LBB150_790
; %bb.789:
	s_movk_i32 s14, 0x80
	v_mov_b32_e32 v11, 0
	v_add_u32_e64 v26, s14, 0
	ds_read_b64 v[11:12], v11 offset:8840
	ds_read2st64_b64 v[26:29], v26 offset0:16 offset1:17
	s_movk_i32 s14, 0x2000
	s_waitcnt lgkmcnt(0)
	v_mul_f32_e32 v30, v12, v27
	v_mul_f32_e32 v27, v11, v27
	v_fma_f32 v30, v11, v26, -v30
	v_fmac_f32_e32 v27, v12, v26
	v_mul_f32_e32 v11, v27, v29
	v_mul_f32_e32 v12, v30, v29
	v_fma_f32 v11, v30, v28, -v11
	v_fmac_f32_e32 v12, v27, v28
	v_add_u32_e64 v26, s14, 0
	ds_write2_b64 v26, v[11:12], v[11:12] offset0:17 offset1:80
.LBB150_790:
	s_or_b64 exec, exec, s[12:13]
	v_mov_b32_e32 v12, 0
	v_mov_b32_e32 v11, 0
	s_waitcnt lgkmcnt(0)
	s_barrier
	buffer_wbinvl1_vol
	s_and_saveexec_b64 s[14:15], s[10:11]
	s_cbranch_execz .LBB150_818
; %bb.791:
	v_lshlrev_b32_e32 v26, 3, v23
	v_lshlrev_b32_e32 v27, 9, v24
	ds_read_b64 v[11:12], v26 offset:8192
	ds_read_b64 v[28:29], v27 offset:8320
	s_movk_i32 s12, 0xf0
	v_cmp_gt_u32_e64 s[12:13], s12, v16
	s_waitcnt lgkmcnt(0)
	v_mul_f32_e32 v30, v29, v12
	v_mul_f32_e32 v12, v28, v12
	v_fma_f32 v28, v28, v11, -v30
	v_fmac_f32_e32 v12, v29, v11
	v_add_f32_e32 v11, 0, v28
	v_add_f32_e32 v12, 0, v12
	s_and_saveexec_b64 s[16:17], s[12:13]
	s_cbranch_execz .LBB150_793
; %bb.792:
	ds_read_b64 v[28:29], v26 offset:8704
	ds_read_b64 v[30:31], v27 offset:8328
	s_waitcnt lgkmcnt(0)
	v_mul_f32_e32 v32, v31, v29
	v_mul_f32_e32 v29, v30, v29
	v_fma_f32 v30, v30, v28, -v32
	v_fmac_f32_e32 v29, v31, v28
	v_add_f32_e32 v11, v11, v30
	v_add_f32_e32 v12, v12, v29
.LBB150_793:
	s_or_b64 exec, exec, s[16:17]
	s_movk_i32 s12, 0xe0
	v_cmp_gt_u32_e64 s[12:13], s12, v16
	s_and_saveexec_b64 s[16:17], s[12:13]
	s_cbranch_execz .LBB150_795
; %bb.794:
	ds_read_b64 v[28:29], v26 offset:9216
	ds_read_b64 v[30:31], v27 offset:8336
	s_waitcnt lgkmcnt(0)
	v_mul_f32_e32 v32, v31, v29
	v_mul_f32_e32 v29, v30, v29
	v_fma_f32 v30, v30, v28, -v32
	v_fmac_f32_e32 v29, v31, v28
	v_add_f32_e32 v11, v11, v30
	v_add_f32_e32 v12, v12, v29
.LBB150_795:
	s_or_b64 exec, exec, s[16:17]
	s_movk_i32 s12, 0xd0
	v_cmp_gt_u32_e64 s[12:13], s12, v16
	;; [unrolled: 16-line block ×10, first 2 shown]
	s_and_saveexec_b64 s[16:17], s[12:13]
	s_cbranch_execnz .LBB150_1161
; %bb.812:
	s_or_b64 exec, exec, s[16:17]
	s_and_saveexec_b64 s[12:13], s[8:9]
	s_cbranch_execnz .LBB150_1162
.LBB150_813:
	s_or_b64 exec, exec, s[12:13]
	v_cmp_gt_u32_e64 s[12:13], 48, v16
	s_and_saveexec_b64 s[16:17], s[12:13]
	s_cbranch_execnz .LBB150_1163
.LBB150_814:
	s_or_b64 exec, exec, s[16:17]
	v_cmp_gt_u32_e64 s[12:13], 32, v16
	s_and_saveexec_b64 s[16:17], s[12:13]
	s_cbranch_execnz .LBB150_1164
.LBB150_815:
	s_or_b64 exec, exec, s[16:17]
	v_cmp_gt_u32_e64 s[12:13], 16, v16
	s_and_saveexec_b64 s[16:17], s[12:13]
	s_cbranch_execz .LBB150_817
.LBB150_816:
	v_lshlrev_b32_e32 v26, 3, v0
	v_mov_b32_e32 v28, 0
	ds_read_b64 v[26:27], v26 offset:15872
	ds_read_b64 v[28:29], v28 offset:16120
	s_waitcnt lgkmcnt(0)
	v_mul_f32_e32 v30, v29, v27
	v_mul_f32_e32 v27, v28, v27
	v_fma_f32 v28, v28, v26, -v30
	v_fmac_f32_e32 v27, v29, v26
	v_add_f32_e32 v11, v11, v28
	v_add_f32_e32 v12, v12, v27
.LBB150_817:
	s_or_b64 exec, exec, s[16:17]
.LBB150_818:
	s_or_b64 exec, exec, s[14:15]
	s_mov_b64 s[12:13], exec
	v_readlane_b32 s14, v38, 7
	v_readlane_b32 s15, v38, 8
	s_and_b64 s[14:15], s[12:13], s[14:15]
	s_mov_b64 exec, s[14:15]
	s_cbranch_execz .LBB150_820
; %bb.819:
	v_mov_b32_e32 v26, 0
	ds_read_b64 v[26:27], v26 offset:7800
	s_waitcnt lgkmcnt(0)
	v_mul_f32_e32 v28, v12, v27
	v_mul_f32_e32 v29, v11, v27
	v_fma_f32 v11, v11, v26, -v28
	v_fmac_f32_e32 v29, v12, v26
	v_xor_b32_e32 v26, 0x80000000, v11
	v_xor_b32_e32 v27, 0x80000000, v29
	v_mov_b32_e32 v12, v29
	ds_write_b64 v25, v[26:27]
.LBB150_820:
	s_or_b64 exec, exec, s[12:13]
	s_waitcnt lgkmcnt(0)
	s_barrier
	s_mov_b64 s[12:13], exec
	v_readlane_b32 s14, v38, 9
	v_readlane_b32 s15, v38, 10
	s_and_b64 s[14:15], s[12:13], s[14:15]
	s_mov_b64 exec, s[14:15]
	s_cbranch_execz .LBB150_822
; %bb.821:
	v_lshlrev_b32_e32 v26, 3, v23
	ds_read_b64 v[26:27], v26 offset:7680
	ds_read_b64 v[28:29], v25
	s_waitcnt lgkmcnt(0)
	v_mul_f32_e32 v30, v29, v27
	v_mul_f32_e32 v27, v28, v27
	v_fma_f32 v28, v28, v26, -v30
	v_fmac_f32_e32 v27, v29, v26
	v_sub_f32_e32 v11, v11, v28
	v_sub_f32_e32 v12, v12, v27
.LBB150_822:
	s_or_b64 exec, exec, s[12:13]
	s_barrier
	s_mov_b64 s[12:13], exec
	v_readlane_b32 s14, v38, 11
	v_readlane_b32 s15, v38, 12
	s_and_b64 s[14:15], s[12:13], s[14:15]
	s_mov_b64 exec, s[14:15]
	s_cbranch_execz .LBB150_824
; %bb.823:
	v_mov_b32_e32 v26, 0
	ds_read_b64 v[26:27], v26 offset:7280
	s_waitcnt lgkmcnt(0)
	v_mul_f32_e32 v28, v12, v27
	v_mul_f32_e32 v29, v11, v27
	v_fma_f32 v11, v11, v26, -v28
	v_fmac_f32_e32 v29, v12, v26
	v_xor_b32_e32 v26, 0x80000000, v11
	v_xor_b32_e32 v27, 0x80000000, v29
	v_mov_b32_e32 v12, v29
	ds_write_b64 v25, v[26:27]
.LBB150_824:
	s_or_b64 exec, exec, s[12:13]
	s_waitcnt lgkmcnt(0)
	s_barrier
	s_mov_b64 s[12:13], exec
	v_readlane_b32 s14, v38, 13
	v_readlane_b32 s15, v38, 14
	s_and_b64 s[14:15], s[12:13], s[14:15]
	s_mov_b64 exec, s[14:15]
	s_cbranch_execz .LBB150_826
; %bb.825:
	v_lshlrev_b32_e32 v26, 3, v23
	ds_read_b64 v[26:27], v26 offset:7168
	ds_read_b64 v[28:29], v25
	s_waitcnt lgkmcnt(0)
	v_mul_f32_e32 v30, v29, v27
	v_mul_f32_e32 v27, v28, v27
	v_fma_f32 v28, v28, v26, -v30
	v_fmac_f32_e32 v27, v29, v26
	v_sub_f32_e32 v11, v11, v28
	v_sub_f32_e32 v12, v12, v27
.LBB150_826:
	s_or_b64 exec, exec, s[12:13]
	s_barrier
	;; [unrolled: 42-line block ×14, first 2 shown]
	s_and_saveexec_b64 s[12:13], s[92:93]
	s_cbranch_execz .LBB150_876
; %bb.875:
	v_mov_b32_e32 v26, 0
	ds_read_b64 v[26:27], v26 offset:520
	s_waitcnt lgkmcnt(0)
	v_mul_f32_e32 v28, v12, v27
	v_mul_f32_e32 v29, v11, v27
	v_fma_f32 v11, v11, v26, -v28
	v_fmac_f32_e32 v29, v12, v26
	v_xor_b32_e32 v26, 0x80000000, v11
	v_xor_b32_e32 v27, 0x80000000, v29
	v_mov_b32_e32 v12, v29
	ds_write_b64 v25, v[26:27]
.LBB150_876:
	s_or_b64 exec, exec, s[12:13]
	s_waitcnt lgkmcnt(0)
	s_barrier
	s_and_saveexec_b64 s[12:13], s[34:35]
	s_cbranch_execz .LBB150_878
; %bb.877:
	v_mov_b32_e32 v26, 0
	ds_read_b64 v[26:27], v26 offset:512
	ds_read_b64 v[28:29], v25
	s_waitcnt lgkmcnt(0)
	v_mul_f32_e32 v30, v29, v27
	v_mul_f32_e32 v27, v28, v27
	v_fma_f32 v28, v28, v26, -v30
	v_fmac_f32_e32 v27, v29, v26
	v_sub_f32_e32 v11, v11, v28
	v_sub_f32_e32 v12, v12, v27
.LBB150_878:
	s_or_b64 exec, exec, s[12:13]
	s_barrier
	s_and_saveexec_b64 s[12:13], s[34:35]
	s_cbranch_execz .LBB150_880
; %bb.879:
	v_mov_b32_e32 v26, 0
	ds_read_b64 v[26:27], v26
	s_waitcnt lgkmcnt(0)
	v_mul_f32_e32 v28, v12, v27
	v_mul_f32_e32 v29, v11, v27
	v_fma_f32 v11, v11, v26, -v28
	v_fmac_f32_e32 v29, v12, v26
	v_xor_b32_e32 v26, 0x80000000, v11
	v_xor_b32_e32 v27, 0x80000000, v29
	v_mov_b32_e32 v12, v29
	ds_write_b64 v25, v[26:27]
.LBB150_880:
	s_or_b64 exec, exec, s[12:13]
	s_waitcnt lgkmcnt(0)
	s_barrier
	s_barrier
	s_and_saveexec_b64 s[12:13], s[10:11]
; %bb.881:
	v_lshlrev_b32_e32 v23, 3, v23
	v_lshl_or_b32 v23, v24, 9, v23
	ds_write_b64 v23, v[11:12] offset:8192
; %bb.882:
	s_or_b64 exec, exec, s[12:13]
	s_waitcnt lgkmcnt(0)
	s_barrier
	s_barrier
	s_and_saveexec_b64 s[10:11], s[0:1]
	s_cbranch_execz .LBB150_884
; %bb.883:
	v_lshlrev_b32_e32 v23, 9, v0
	ds_read_b64 v[11:12], v23 offset:8192
	s_movk_i32 s0, 0xfe08
	v_mad_i32_i24 v24, v0, s0, v23
	s_waitcnt lgkmcnt(0)
	ds_write_b64 v24, v[11:12] offset:128
	ds_read_b64 v[11:12], v23 offset:8200
	s_waitcnt lgkmcnt(0)
	ds_write_b64 v24, v[11:12] offset:640
	ds_read_b64 v[11:12], v23 offset:8208
	;; [unrolled: 3-line block ×15, first 2 shown]
	s_waitcnt lgkmcnt(0)
	ds_write_b64 v24, v[11:12] offset:7808
.LBB150_884:
	s_or_b64 exec, exec, s[10:11]
	s_waitcnt lgkmcnt(0)
	s_barrier
	s_and_saveexec_b64 s[0:1], vcc
	s_cbranch_execz .LBB150_886
; %bb.885:
	s_movk_i32 s10, 0x70
	v_mov_b32_e32 v11, 0
	v_add_u32_e64 v23, s10, 0
	ds_read_b64 v[11:12], v11 offset:7800
	ds_read2st64_b64 v[23:26], v23 offset0:14 offset1:15
	s_movk_i32 s10, 0x1800
	s_waitcnt lgkmcnt(0)
	v_mul_f32_e32 v27, v12, v24
	v_mul_f32_e32 v24, v11, v24
	v_fma_f32 v27, v11, v23, -v27
	v_fmac_f32_e32 v24, v12, v23
	v_mul_f32_e32 v11, v24, v26
	v_mul_f32_e32 v12, v27, v26
	v_fma_f32 v11, v27, v25, -v11
	v_fmac_f32_e32 v12, v24, v25
	v_add_u32_e64 v23, s10, 0
	ds_write2_b64 v23, v[11:12], v[11:12] offset0:143 offset1:206
.LBB150_886:
	s_or_b64 exec, exec, s[0:1]
	v_mov_b32_e32 v11, 0
	v_mov_b32_e32 v12, 0
	s_waitcnt lgkmcnt(0)
	s_barrier
	buffer_wbinvl1_vol
	s_and_saveexec_b64 s[0:1], s[2:3]
	s_cbranch_execz .LBB150_890
; %bb.887:
	v_lshlrev_b32_e32 v11, 3, v13
	v_lshlrev_b32_e32 v23, 9, v14
	ds_read_b64 v[11:12], v11 offset:7264
	ds_read_b64 v[23:24], v23 offset:7280
	v_cmp_gt_u32_e64 s[10:11], 2, v16
	s_waitcnt lgkmcnt(0)
	v_mul_f32_e32 v25, v24, v12
	v_mul_f32_e32 v12, v23, v12
	v_fma_f32 v23, v23, v11, -v25
	v_fmac_f32_e32 v12, v24, v11
	v_add_f32_e32 v11, 0, v23
	v_add_f32_e32 v12, 0, v12
	s_and_saveexec_b64 s[12:13], s[10:11]
	s_cbranch_execz .LBB150_889
; %bb.888:
	v_lshlrev_b32_e32 v23, 3, v0
	v_mov_b32_e32 v25, 0
	ds_read_b64 v[23:24], v23 offset:7776
	ds_read_b64 v[25:26], v25 offset:7800
	s_waitcnt lgkmcnt(0)
	v_mul_f32_e32 v27, v26, v24
	v_mul_f32_e32 v24, v25, v24
	v_fma_f32 v25, v25, v23, -v27
	v_fmac_f32_e32 v24, v26, v23
	v_add_f32_e32 v11, v11, v25
	v_add_f32_e32 v12, v12, v24
.LBB150_889:
	s_or_b64 exec, exec, s[12:13]
.LBB150_890:
	s_or_b64 exec, exec, s[0:1]
	s_and_saveexec_b64 s[0:1], s[40:41]
	s_cbranch_execz .LBB150_892
; %bb.891:
	v_mov_b32_e32 v23, 0
	ds_read_b64 v[23:24], v23 offset:6760
	s_waitcnt lgkmcnt(0)
	v_mul_f32_e32 v25, v12, v24
	v_mul_f32_e32 v26, v11, v24
	v_fma_f32 v11, v11, v23, -v25
	v_fmac_f32_e32 v26, v12, v23
	v_xor_b32_e32 v23, 0x80000000, v11
	v_xor_b32_e32 v24, 0x80000000, v26
	v_mov_b32_e32 v12, v26
	ds_write_b64 v15, v[23:24]
.LBB150_892:
	s_or_b64 exec, exec, s[0:1]
	s_waitcnt lgkmcnt(0)
	s_barrier
	s_and_saveexec_b64 s[0:1], s[38:39]
	s_cbranch_execz .LBB150_894
; %bb.893:
	v_mov_b32_e32 v23, 0
	ds_read_b64 v[23:24], v23 offset:6752
	ds_read_b64 v[25:26], v15
	s_waitcnt lgkmcnt(0)
	v_mul_f32_e32 v27, v26, v24
	v_mul_f32_e32 v24, v25, v24
	v_fma_f32 v25, v25, v23, -v27
	v_fmac_f32_e32 v24, v26, v23
	v_sub_f32_e32 v11, v11, v25
	v_sub_f32_e32 v12, v12, v24
.LBB150_894:
	s_or_b64 exec, exec, s[0:1]
	s_barrier
	s_and_saveexec_b64 s[0:1], s[38:39]
	s_cbranch_execz .LBB150_896
; %bb.895:
	v_mov_b32_e32 v23, 0
	ds_read_b64 v[23:24], v23 offset:6240
	s_waitcnt lgkmcnt(0)
	v_mul_f32_e32 v25, v12, v24
	v_mul_f32_e32 v26, v11, v24
	v_fma_f32 v11, v11, v23, -v25
	v_fmac_f32_e32 v26, v12, v23
	v_xor_b32_e32 v23, 0x80000000, v11
	v_xor_b32_e32 v24, 0x80000000, v26
	v_mov_b32_e32 v12, v26
	ds_write_b64 v15, v[23:24]
.LBB150_896:
	s_or_b64 exec, exec, s[0:1]
	s_waitcnt lgkmcnt(0)
	s_barrier
	s_barrier
	s_and_saveexec_b64 s[0:1], s[2:3]
; %bb.897:
	v_lshlrev_b32_e32 v23, 3, v13
	v_lshl_or_b32 v23, v14, 9, v23
	ds_write_b64 v23, v[11:12] offset:7264
; %bb.898:
	s_or_b64 exec, exec, s[0:1]
	s_waitcnt lgkmcnt(0)
	s_barrier
	s_barrier
	s_and_saveexec_b64 s[0:1], s[42:43]
	s_cbranch_execz .LBB150_900
; %bb.899:
	v_lshlrev_b32_e32 v23, 3, v0
	s_movk_i32 s10, 0x1f8
	v_mad_u32_u24 v24, v0, s10, v23
	ds_read_b64 v[11:12], v24 offset:7264
	s_waitcnt lgkmcnt(0)
	ds_write_b64 v23, v[11:12] offset:6256
	ds_read_b64 v[11:12], v24 offset:7272
	s_waitcnt lgkmcnt(0)
	ds_write_b64 v23, v[11:12] offset:6768
.LBB150_900:
	s_or_b64 exec, exec, s[0:1]
	s_waitcnt lgkmcnt(0)
	s_barrier
	s_and_saveexec_b64 s[0:1], vcc
	s_cbranch_execz .LBB150_902
; %bb.901:
	s_movk_i32 s10, 0x60
	v_mov_b32_e32 v11, 0
	v_add_u32_e64 v23, s10, 0
	ds_read_b64 v[11:12], v11 offset:6760
	ds_read2st64_b64 v[23:26], v23 offset0:12 offset1:13
	s_movk_i32 s10, 0x1800
	s_waitcnt lgkmcnt(0)
	v_mul_f32_e32 v27, v12, v24
	v_mul_f32_e32 v24, v11, v24
	v_fma_f32 v27, v11, v23, -v27
	v_fmac_f32_e32 v24, v12, v23
	v_mul_f32_e32 v11, v24, v26
	v_mul_f32_e32 v12, v27, v26
	v_fma_f32 v11, v27, v25, -v11
	v_fmac_f32_e32 v12, v24, v25
	v_add_u32_e64 v23, s10, 0
	ds_write2_b64 v23, v[11:12], v[11:12] offset0:13 offset1:76
.LBB150_902:
	s_or_b64 exec, exec, s[0:1]
	v_mov_b32_e32 v12, 0
	v_mov_b32_e32 v11, 0
	s_waitcnt lgkmcnt(0)
	s_barrier
	buffer_wbinvl1_vol
	s_and_saveexec_b64 s[0:1], s[18:19]
	s_cbranch_execz .LBB150_908
; %bb.903:
	v_lshlrev_b32_e32 v23, 3, v17
	v_lshlrev_b32_e32 v24, 9, v18
	ds_read_b64 v[11:12], v23 offset:6208
	ds_read_b64 v[25:26], v24 offset:6240
	v_cmp_gt_u32_e64 s[10:11], 12, v16
	s_waitcnt lgkmcnt(0)
	v_mul_f32_e32 v27, v26, v12
	v_mul_f32_e32 v12, v25, v12
	v_fma_f32 v25, v25, v11, -v27
	v_fmac_f32_e32 v12, v26, v11
	v_add_f32_e32 v11, 0, v25
	v_add_f32_e32 v12, 0, v12
	s_and_saveexec_b64 s[12:13], s[10:11]
	s_cbranch_execnz .LBB150_1165
; %bb.904:
	s_or_b64 exec, exec, s[12:13]
	v_cmp_gt_u32_e64 s[10:11], 8, v16
	s_and_saveexec_b64 s[12:13], s[10:11]
	s_cbranch_execnz .LBB150_1166
.LBB150_905:
	s_or_b64 exec, exec, s[12:13]
	v_cmp_gt_u32_e64 s[10:11], 4, v16
	s_and_saveexec_b64 s[12:13], s[10:11]
	s_cbranch_execz .LBB150_907
.LBB150_906:
	v_lshlrev_b32_e32 v23, 3, v0
	v_mov_b32_e32 v25, 0
	ds_read_b64 v[23:24], v23 offset:7744
	ds_read_b64 v[25:26], v25 offset:7800
	s_waitcnt lgkmcnt(0)
	v_mul_f32_e32 v27, v26, v24
	v_mul_f32_e32 v24, v25, v24
	v_fma_f32 v25, v25, v23, -v27
	v_fmac_f32_e32 v24, v26, v23
	v_add_f32_e32 v11, v11, v25
	v_add_f32_e32 v12, v12, v24
.LBB150_907:
	s_or_b64 exec, exec, s[12:13]
.LBB150_908:
	s_or_b64 exec, exec, s[0:1]
	s_and_saveexec_b64 s[0:1], s[46:47]
	s_cbranch_execz .LBB150_910
; %bb.909:
	v_mov_b32_e32 v23, 0
	ds_read_b64 v[23:24], v23 offset:5720
	s_waitcnt lgkmcnt(0)
	v_mul_f32_e32 v25, v12, v24
	v_mul_f32_e32 v26, v11, v24
	v_fma_f32 v11, v11, v23, -v25
	v_fmac_f32_e32 v26, v12, v23
	v_xor_b32_e32 v23, 0x80000000, v11
	v_xor_b32_e32 v24, 0x80000000, v26
	v_mov_b32_e32 v12, v26
	ds_write_b64 v19, v[23:24]
.LBB150_910:
	s_or_b64 exec, exec, s[0:1]
	s_waitcnt lgkmcnt(0)
	s_barrier
	s_and_saveexec_b64 s[0:1], s[48:49]
	s_cbranch_execz .LBB150_912
; %bb.911:
	v_lshlrev_b32_e32 v23, 3, v17
	ds_read_b64 v[23:24], v23 offset:5696
	ds_read_b64 v[25:26], v19
	s_waitcnt lgkmcnt(0)
	v_mul_f32_e32 v27, v26, v24
	v_mul_f32_e32 v24, v25, v24
	v_fma_f32 v25, v25, v23, -v27
	v_fmac_f32_e32 v24, v26, v23
	v_sub_f32_e32 v11, v11, v25
	v_sub_f32_e32 v12, v12, v24
.LBB150_912:
	s_or_b64 exec, exec, s[0:1]
	s_barrier
	s_and_saveexec_b64 s[0:1], s[50:51]
	s_cbranch_execz .LBB150_914
; %bb.913:
	v_mov_b32_e32 v23, 0
	ds_read_b64 v[23:24], v23 offset:5200
	s_waitcnt lgkmcnt(0)
	v_mul_f32_e32 v25, v12, v24
	v_mul_f32_e32 v26, v11, v24
	v_fma_f32 v11, v11, v23, -v25
	v_fmac_f32_e32 v26, v12, v23
	v_xor_b32_e32 v23, 0x80000000, v11
	v_xor_b32_e32 v24, 0x80000000, v26
	v_mov_b32_e32 v12, v26
	ds_write_b64 v19, v[23:24]
.LBB150_914:
	s_or_b64 exec, exec, s[0:1]
	s_waitcnt lgkmcnt(0)
	s_barrier
	s_and_saveexec_b64 s[0:1], s[52:53]
	s_cbranch_execz .LBB150_916
; %bb.915:
	v_lshlrev_b32_e32 v23, 3, v17
	ds_read_b64 v[23:24], v23 offset:5184
	ds_read_b64 v[25:26], v19
	s_waitcnt lgkmcnt(0)
	v_mul_f32_e32 v27, v26, v24
	v_mul_f32_e32 v24, v25, v24
	v_fma_f32 v25, v25, v23, -v27
	v_fmac_f32_e32 v24, v26, v23
	v_sub_f32_e32 v11, v11, v25
	v_sub_f32_e32 v12, v12, v24
.LBB150_916:
	s_or_b64 exec, exec, s[0:1]
	s_barrier
	s_and_saveexec_b64 s[0:1], s[54:55]
	s_cbranch_execz .LBB150_918
; %bb.917:
	v_mov_b32_e32 v23, 0
	ds_read_b64 v[23:24], v23 offset:4680
	s_waitcnt lgkmcnt(0)
	v_mul_f32_e32 v25, v12, v24
	v_mul_f32_e32 v26, v11, v24
	v_fma_f32 v11, v11, v23, -v25
	v_fmac_f32_e32 v26, v12, v23
	v_xor_b32_e32 v23, 0x80000000, v11
	v_xor_b32_e32 v24, 0x80000000, v26
	v_mov_b32_e32 v12, v26
	ds_write_b64 v19, v[23:24]
.LBB150_918:
	s_or_b64 exec, exec, s[0:1]
	s_waitcnt lgkmcnt(0)
	s_barrier
	s_and_saveexec_b64 s[0:1], s[44:45]
	s_cbranch_execz .LBB150_920
; %bb.919:
	v_mov_b32_e32 v23, 0
	ds_read_b64 v[23:24], v23 offset:4672
	ds_read_b64 v[25:26], v19
	s_waitcnt lgkmcnt(0)
	v_mul_f32_e32 v27, v26, v24
	v_mul_f32_e32 v24, v25, v24
	v_fma_f32 v25, v25, v23, -v27
	v_fmac_f32_e32 v24, v26, v23
	v_sub_f32_e32 v11, v11, v25
	v_sub_f32_e32 v12, v12, v24
.LBB150_920:
	s_or_b64 exec, exec, s[0:1]
	s_barrier
	s_and_saveexec_b64 s[0:1], s[44:45]
	s_cbranch_execz .LBB150_922
; %bb.921:
	v_mov_b32_e32 v23, 0
	ds_read_b64 v[23:24], v23 offset:4160
	s_waitcnt lgkmcnt(0)
	v_mul_f32_e32 v25, v12, v24
	v_mul_f32_e32 v26, v11, v24
	v_fma_f32 v11, v11, v23, -v25
	v_fmac_f32_e32 v26, v12, v23
	v_xor_b32_e32 v23, 0x80000000, v11
	v_xor_b32_e32 v24, 0x80000000, v26
	v_mov_b32_e32 v12, v26
	ds_write_b64 v19, v[23:24]
.LBB150_922:
	s_or_b64 exec, exec, s[0:1]
	s_waitcnt lgkmcnt(0)
	s_barrier
	s_barrier
	s_and_saveexec_b64 s[0:1], s[18:19]
; %bb.923:
	v_lshlrev_b32_e32 v23, 3, v17
	v_lshl_or_b32 v23, v18, 9, v23
	ds_write_b64 v23, v[11:12] offset:6208
; %bb.924:
	s_or_b64 exec, exec, s[0:1]
	s_waitcnt lgkmcnt(0)
	s_barrier
	s_barrier
	s_and_saveexec_b64 s[0:1], s[56:57]
	s_cbranch_execz .LBB150_926
; %bb.925:
	v_lshlrev_b32_e32 v23, 9, v0
	ds_read_b64 v[11:12], v23 offset:6208
	s_movk_i32 s10, 0xfe08
	v_mad_i32_i24 v24, v0, s10, v23
	s_waitcnt lgkmcnt(0)
	ds_write_b64 v24, v[11:12] offset:4192
	ds_read_b64 v[11:12], v23 offset:6216
	s_waitcnt lgkmcnt(0)
	ds_write_b64 v24, v[11:12] offset:4704
	ds_read_b64 v[11:12], v23 offset:6224
	;; [unrolled: 3-line block ×3, first 2 shown]
	s_waitcnt lgkmcnt(0)
	ds_write_b64 v24, v[11:12] offset:5728
.LBB150_926:
	s_or_b64 exec, exec, s[0:1]
	s_waitcnt lgkmcnt(0)
	s_barrier
	s_and_saveexec_b64 s[0:1], vcc
	s_cbranch_execz .LBB150_928
; %bb.927:
	s_movk_i32 s10, 0x50
	v_mov_b32_e32 v11, 0
	v_add_u32_e64 v23, s10, 0
	ds_read_b64 v[11:12], v11 offset:5720
	ds_read2st64_b64 v[23:26], v23 offset0:10 offset1:11
	s_movk_i32 s10, 0x1000
	s_waitcnt lgkmcnt(0)
	v_mul_f32_e32 v27, v12, v24
	v_mul_f32_e32 v24, v11, v24
	v_fma_f32 v27, v11, v23, -v27
	v_fmac_f32_e32 v24, v12, v23
	v_mul_f32_e32 v11, v24, v26
	v_mul_f32_e32 v12, v27, v26
	v_fma_f32 v11, v27, v25, -v11
	v_fmac_f32_e32 v12, v24, v25
	v_add_u32_e64 v23, s10, 0
	ds_write2_b64 v23, v[11:12], v[11:12] offset0:139 offset1:202
.LBB150_928:
	s_or_b64 exec, exec, s[0:1]
	v_mov_b32_e32 v11, 0
	v_mov_b32_e32 v12, 0
	s_waitcnt lgkmcnt(0)
	s_barrier
	buffer_wbinvl1_vol
	s_and_saveexec_b64 s[0:1], s[2:3]
	s_cbranch_execz .LBB150_932
; %bb.929:
	v_lshlrev_b32_e32 v11, 3, v13
	v_lshlrev_b32_e32 v23, 9, v14
	ds_read_b64 v[11:12], v11 offset:5184
	ds_read_b64 v[23:24], v23 offset:5200
	v_cmp_gt_u32_e64 s[10:11], 2, v16
	s_waitcnt lgkmcnt(0)
	v_mul_f32_e32 v25, v24, v12
	v_mul_f32_e32 v12, v23, v12
	v_fma_f32 v23, v23, v11, -v25
	v_fmac_f32_e32 v12, v24, v11
	v_add_f32_e32 v11, 0, v23
	v_add_f32_e32 v12, 0, v12
	s_and_saveexec_b64 s[12:13], s[10:11]
	s_cbranch_execz .LBB150_931
; %bb.930:
	v_lshlrev_b32_e32 v23, 3, v0
	v_mov_b32_e32 v25, 0
	ds_read_b64 v[23:24], v23 offset:5696
	ds_read_b64 v[25:26], v25 offset:5720
	s_waitcnt lgkmcnt(0)
	v_mul_f32_e32 v27, v26, v24
	v_mul_f32_e32 v24, v25, v24
	v_fma_f32 v25, v25, v23, -v27
	v_fmac_f32_e32 v24, v26, v23
	v_add_f32_e32 v11, v11, v25
	v_add_f32_e32 v12, v12, v24
.LBB150_931:
	s_or_b64 exec, exec, s[12:13]
.LBB150_932:
	s_or_b64 exec, exec, s[0:1]
	s_and_saveexec_b64 s[0:1], s[40:41]
	s_cbranch_execz .LBB150_934
; %bb.933:
	v_mov_b32_e32 v23, 0
	ds_read_b64 v[23:24], v23 offset:4680
	s_waitcnt lgkmcnt(0)
	v_mul_f32_e32 v25, v12, v24
	v_mul_f32_e32 v26, v11, v24
	v_fma_f32 v11, v11, v23, -v25
	v_fmac_f32_e32 v26, v12, v23
	v_xor_b32_e32 v23, 0x80000000, v11
	v_xor_b32_e32 v24, 0x80000000, v26
	v_mov_b32_e32 v12, v26
	ds_write_b64 v15, v[23:24]
.LBB150_934:
	s_or_b64 exec, exec, s[0:1]
	s_waitcnt lgkmcnt(0)
	s_barrier
	s_and_saveexec_b64 s[0:1], s[38:39]
	s_cbranch_execz .LBB150_936
; %bb.935:
	v_mov_b32_e32 v23, 0
	ds_read_b64 v[23:24], v23 offset:4672
	ds_read_b64 v[25:26], v15
	s_waitcnt lgkmcnt(0)
	v_mul_f32_e32 v27, v26, v24
	v_mul_f32_e32 v24, v25, v24
	v_fma_f32 v25, v25, v23, -v27
	v_fmac_f32_e32 v24, v26, v23
	v_sub_f32_e32 v11, v11, v25
	v_sub_f32_e32 v12, v12, v24
.LBB150_936:
	s_or_b64 exec, exec, s[0:1]
	s_barrier
	s_and_saveexec_b64 s[0:1], s[38:39]
	s_cbranch_execz .LBB150_938
; %bb.937:
	v_mov_b32_e32 v23, 0
	ds_read_b64 v[23:24], v23 offset:4160
	s_waitcnt lgkmcnt(0)
	v_mul_f32_e32 v25, v12, v24
	v_mul_f32_e32 v26, v11, v24
	v_fma_f32 v11, v11, v23, -v25
	v_fmac_f32_e32 v26, v12, v23
	v_xor_b32_e32 v23, 0x80000000, v11
	v_xor_b32_e32 v24, 0x80000000, v26
	v_mov_b32_e32 v12, v26
	ds_write_b64 v15, v[23:24]
.LBB150_938:
	s_or_b64 exec, exec, s[0:1]
	s_waitcnt lgkmcnt(0)
	s_barrier
	s_barrier
	s_and_saveexec_b64 s[0:1], s[2:3]
; %bb.939:
	v_lshlrev_b32_e32 v23, 3, v13
	v_lshl_or_b32 v23, v14, 9, v23
	ds_write_b64 v23, v[11:12] offset:5184
; %bb.940:
	s_or_b64 exec, exec, s[0:1]
	s_waitcnt lgkmcnt(0)
	s_barrier
	s_barrier
	s_and_saveexec_b64 s[0:1], s[42:43]
	s_cbranch_execz .LBB150_942
; %bb.941:
	v_lshlrev_b32_e32 v23, 3, v0
	s_movk_i32 s10, 0x1f8
	v_mad_u32_u24 v24, v0, s10, v23
	ds_read_b64 v[11:12], v24 offset:5184
	s_waitcnt lgkmcnt(0)
	ds_write_b64 v23, v[11:12] offset:4176
	ds_read_b64 v[11:12], v24 offset:5192
	s_waitcnt lgkmcnt(0)
	ds_write_b64 v23, v[11:12] offset:4688
.LBB150_942:
	s_or_b64 exec, exec, s[0:1]
	s_waitcnt lgkmcnt(0)
	s_barrier
	s_and_saveexec_b64 s[0:1], vcc
	s_cbranch_execz .LBB150_944
; %bb.943:
	v_mov_b32_e32 v11, 0
	v_add_u32_e64 v12, 64, 0
	ds_read2st64_b64 v[23:26], v12 offset0:8 offset1:9
	ds_read_b64 v[11:12], v11 offset:4680
	s_movk_i32 s10, 0x1000
	s_waitcnt lgkmcnt(0)
	v_mul_f32_e32 v27, v12, v24
	v_mul_f32_e32 v24, v11, v24
	v_fma_f32 v27, v11, v23, -v27
	v_fmac_f32_e32 v24, v12, v23
	v_mul_f32_e32 v11, v24, v26
	v_mul_f32_e32 v12, v27, v26
	v_fma_f32 v11, v27, v25, -v11
	v_fmac_f32_e32 v12, v24, v25
	v_add_u32_e64 v23, s10, 0
	ds_write2_b64 v23, v[11:12], v[11:12] offset0:9 offset1:72
.LBB150_944:
	s_or_b64 exec, exec, s[0:1]
	v_mov_b32_e32 v12, 0
	v_mov_b32_e32 v11, 0
	s_waitcnt lgkmcnt(0)
	s_barrier
	buffer_wbinvl1_vol
	s_and_saveexec_b64 s[0:1], s[8:9]
	s_cbranch_execz .LBB150_954
; %bb.945:
	v_lshlrev_b32_e32 v23, 3, v20
	v_lshlrev_b32_e32 v24, 9, v21
	ds_read_b64 v[11:12], v23 offset:4096
	ds_read_b64 v[25:26], v24 offset:4160
	v_cmp_gt_u32_e64 s[10:11], 56, v16
	s_waitcnt lgkmcnt(0)
	v_mul_f32_e32 v27, v26, v12
	v_mul_f32_e32 v12, v25, v12
	v_fma_f32 v25, v25, v11, -v27
	v_fmac_f32_e32 v12, v26, v11
	v_add_f32_e32 v11, 0, v25
	v_add_f32_e32 v12, 0, v12
	s_and_saveexec_b64 s[12:13], s[10:11]
	s_cbranch_execnz .LBB150_1167
; %bb.946:
	s_or_b64 exec, exec, s[12:13]
	v_cmp_gt_u32_e64 s[10:11], 48, v16
	s_and_saveexec_b64 s[12:13], s[10:11]
	s_cbranch_execnz .LBB150_1168
.LBB150_947:
	s_or_b64 exec, exec, s[12:13]
	v_cmp_gt_u32_e64 s[10:11], 40, v16
	s_and_saveexec_b64 s[12:13], s[10:11]
	s_cbranch_execnz .LBB150_1169
.LBB150_948:
	s_or_b64 exec, exec, s[12:13]
	v_cmp_gt_u32_e64 s[10:11], 32, v16
	s_and_saveexec_b64 s[12:13], s[10:11]
	s_cbranch_execnz .LBB150_1170
.LBB150_949:
	s_or_b64 exec, exec, s[12:13]
	v_cmp_gt_u32_e64 s[10:11], 24, v16
	s_and_saveexec_b64 s[12:13], s[10:11]
	s_cbranch_execnz .LBB150_1171
.LBB150_950:
	s_or_b64 exec, exec, s[12:13]
	s_and_saveexec_b64 s[10:11], s[18:19]
	s_cbranch_execnz .LBB150_1172
.LBB150_951:
	s_or_b64 exec, exec, s[10:11]
	v_cmp_gt_u32_e64 s[10:11], 8, v16
	s_and_saveexec_b64 s[12:13], s[10:11]
	s_cbranch_execz .LBB150_953
.LBB150_952:
	v_lshlrev_b32_e32 v23, 3, v0
	v_mov_b32_e32 v25, 0
	ds_read_b64 v[23:24], v23 offset:7680
	ds_read_b64 v[25:26], v25 offset:7800
	s_waitcnt lgkmcnt(0)
	v_mul_f32_e32 v27, v26, v24
	v_mul_f32_e32 v24, v25, v24
	v_fma_f32 v25, v25, v23, -v27
	v_fmac_f32_e32 v24, v26, v23
	v_add_f32_e32 v11, v11, v25
	v_add_f32_e32 v12, v12, v24
.LBB150_953:
	s_or_b64 exec, exec, s[12:13]
.LBB150_954:
	s_or_b64 exec, exec, s[0:1]
	s_and_saveexec_b64 s[0:1], s[60:61]
	s_cbranch_execz .LBB150_956
; %bb.955:
	v_mov_b32_e32 v23, 0
	ds_read_b64 v[23:24], v23 offset:3640
	s_waitcnt lgkmcnt(0)
	v_mul_f32_e32 v25, v12, v24
	v_mul_f32_e32 v26, v11, v24
	v_fma_f32 v11, v11, v23, -v25
	v_fmac_f32_e32 v26, v12, v23
	v_xor_b32_e32 v23, 0x80000000, v11
	v_xor_b32_e32 v24, 0x80000000, v26
	v_mov_b32_e32 v12, v26
	ds_write_b64 v22, v[23:24]
.LBB150_956:
	s_or_b64 exec, exec, s[0:1]
	s_waitcnt lgkmcnt(0)
	s_barrier
	s_and_saveexec_b64 s[0:1], s[62:63]
	v_readlane_b32 s60, v38, 5
	v_readlane_b32 s61, v38, 6
	s_cbranch_execz .LBB150_958
; %bb.957:
	v_lshlrev_b32_e32 v23, 3, v20
	ds_read_b64 v[23:24], v23 offset:3584
	ds_read_b64 v[25:26], v22
	s_waitcnt lgkmcnt(0)
	v_mul_f32_e32 v27, v26, v24
	v_mul_f32_e32 v24, v25, v24
	v_fma_f32 v25, v25, v23, -v27
	v_fmac_f32_e32 v24, v26, v23
	v_sub_f32_e32 v11, v11, v25
	v_sub_f32_e32 v12, v12, v24
.LBB150_958:
	s_or_b64 exec, exec, s[0:1]
	s_barrier
	s_and_saveexec_b64 s[0:1], s[64:65]
	s_cbranch_execz .LBB150_960
; %bb.959:
	v_mov_b32_e32 v23, 0
	ds_read_b64 v[23:24], v23 offset:3120
	s_waitcnt lgkmcnt(0)
	v_mul_f32_e32 v25, v12, v24
	v_mul_f32_e32 v26, v11, v24
	v_fma_f32 v11, v11, v23, -v25
	v_fmac_f32_e32 v26, v12, v23
	v_xor_b32_e32 v23, 0x80000000, v11
	v_xor_b32_e32 v24, 0x80000000, v26
	v_mov_b32_e32 v12, v26
	ds_write_b64 v22, v[23:24]
.LBB150_960:
	s_or_b64 exec, exec, s[0:1]
	s_waitcnt lgkmcnt(0)
	s_barrier
	s_and_saveexec_b64 s[0:1], s[66:67]
	s_cbranch_execz .LBB150_962
; %bb.961:
	v_lshlrev_b32_e32 v23, 3, v20
	ds_read_b64 v[23:24], v23 offset:3072
	ds_read_b64 v[25:26], v22
	s_waitcnt lgkmcnt(0)
	v_mul_f32_e32 v27, v26, v24
	v_mul_f32_e32 v24, v25, v24
	v_fma_f32 v25, v25, v23, -v27
	v_fmac_f32_e32 v24, v26, v23
	v_sub_f32_e32 v11, v11, v25
	v_sub_f32_e32 v12, v12, v24
.LBB150_962:
	s_or_b64 exec, exec, s[0:1]
	s_barrier
	s_and_saveexec_b64 s[0:1], s[68:69]
	s_cbranch_execz .LBB150_964
; %bb.963:
	v_mov_b32_e32 v23, 0
	ds_read_b64 v[23:24], v23 offset:2600
	s_waitcnt lgkmcnt(0)
	v_mul_f32_e32 v25, v12, v24
	v_mul_f32_e32 v26, v11, v24
	v_fma_f32 v11, v11, v23, -v25
	v_fmac_f32_e32 v26, v12, v23
	v_xor_b32_e32 v23, 0x80000000, v11
	v_xor_b32_e32 v24, 0x80000000, v26
	v_mov_b32_e32 v12, v26
	ds_write_b64 v22, v[23:24]
.LBB150_964:
	s_or_b64 exec, exec, s[0:1]
	s_waitcnt lgkmcnt(0)
	s_barrier
	s_and_saveexec_b64 s[0:1], s[70:71]
	;; [unrolled: 34-line block ×6, first 2 shown]
	s_cbranch_execz .LBB150_982
; %bb.981:
	v_mov_b32_e32 v23, 0
	ds_read_b64 v[23:24], v23 offset:512
	ds_read_b64 v[25:26], v22
	s_waitcnt lgkmcnt(0)
	v_mul_f32_e32 v27, v26, v24
	v_mul_f32_e32 v24, v25, v24
	v_fma_f32 v25, v25, v23, -v27
	v_fmac_f32_e32 v24, v26, v23
	v_sub_f32_e32 v11, v11, v25
	v_sub_f32_e32 v12, v12, v24
.LBB150_982:
	s_or_b64 exec, exec, s[0:1]
	s_barrier
	s_and_saveexec_b64 s[0:1], s[58:59]
	s_cbranch_execz .LBB150_984
; %bb.983:
	v_mov_b32_e32 v23, 0
	ds_read_b64 v[23:24], v23
	s_waitcnt lgkmcnt(0)
	v_mul_f32_e32 v25, v12, v24
	v_mul_f32_e32 v26, v11, v24
	v_fma_f32 v11, v11, v23, -v25
	v_fmac_f32_e32 v26, v12, v23
	v_xor_b32_e32 v23, 0x80000000, v11
	v_xor_b32_e32 v24, 0x80000000, v26
	v_mov_b32_e32 v12, v26
	ds_write_b64 v22, v[23:24]
.LBB150_984:
	s_or_b64 exec, exec, s[0:1]
	s_waitcnt lgkmcnt(0)
	s_barrier
	s_barrier
	s_and_saveexec_b64 s[0:1], s[8:9]
; %bb.985:
	v_lshlrev_b32_e32 v20, 3, v20
	v_lshl_or_b32 v20, v21, 9, v20
	ds_write_b64 v20, v[11:12] offset:4096
; %bb.986:
	s_or_b64 exec, exec, s[0:1]
	s_waitcnt lgkmcnt(0)
	s_barrier
	s_barrier
	s_and_saveexec_b64 s[0:1], s[86:87]
	s_cbranch_execz .LBB150_988
; %bb.987:
	v_lshlrev_b32_e32 v20, 9, v0
	ds_read_b64 v[11:12], v20 offset:4096
	s_movk_i32 s8, 0xfe08
	v_mad_i32_i24 v21, v0, s8, v20
	s_waitcnt lgkmcnt(0)
	ds_write_b64 v21, v[11:12] offset:64
	ds_read_b64 v[11:12], v20 offset:4104
	s_waitcnt lgkmcnt(0)
	ds_write_b64 v21, v[11:12] offset:576
	ds_read_b64 v[11:12], v20 offset:4112
	;; [unrolled: 3-line block ×7, first 2 shown]
	s_waitcnt lgkmcnt(0)
	ds_write_b64 v21, v[11:12] offset:3648
.LBB150_988:
	s_or_b64 exec, exec, s[0:1]
	s_waitcnt lgkmcnt(0)
	s_barrier
	s_and_saveexec_b64 s[0:1], vcc
	s_cbranch_execz .LBB150_990
; %bb.989:
	v_mov_b32_e32 v11, 0
	v_add_u32_e64 v12, 48, 0
	ds_read2st64_b64 v[20:23], v12 offset0:6 offset1:7
	ds_read_b64 v[11:12], v11 offset:3640
	s_movk_i32 s8, 0x800
	s_waitcnt lgkmcnt(0)
	v_mul_f32_e32 v24, v12, v21
	v_mul_f32_e32 v21, v11, v21
	v_fma_f32 v24, v11, v20, -v24
	v_fmac_f32_e32 v21, v12, v20
	v_mul_f32_e32 v11, v21, v23
	v_mul_f32_e32 v12, v24, v23
	v_fma_f32 v11, v24, v22, -v11
	v_fmac_f32_e32 v12, v21, v22
	v_add_u32_e64 v20, s8, 0
	ds_write2_b64 v20, v[11:12], v[11:12] offset0:135 offset1:198
.LBB150_990:
	s_or_b64 exec, exec, s[0:1]
	v_mov_b32_e32 v11, 0
	v_mov_b32_e32 v12, 0
	s_waitcnt lgkmcnt(0)
	s_barrier
	buffer_wbinvl1_vol
	s_and_saveexec_b64 s[0:1], s[2:3]
	s_cbranch_execz .LBB150_994
; %bb.991:
	v_lshlrev_b32_e32 v11, 3, v13
	v_lshlrev_b32_e32 v20, 9, v14
	ds_read_b64 v[11:12], v11 offset:3104
	ds_read_b64 v[20:21], v20 offset:3120
	v_cmp_gt_u32_e64 s[8:9], 2, v16
	s_waitcnt lgkmcnt(0)
	v_mul_f32_e32 v22, v21, v12
	v_mul_f32_e32 v12, v20, v12
	v_fma_f32 v20, v20, v11, -v22
	v_fmac_f32_e32 v12, v21, v11
	v_add_f32_e32 v11, 0, v20
	v_add_f32_e32 v12, 0, v12
	s_and_saveexec_b64 s[10:11], s[8:9]
	s_cbranch_execz .LBB150_993
; %bb.992:
	v_lshlrev_b32_e32 v20, 3, v0
	v_mov_b32_e32 v22, 0
	ds_read_b64 v[20:21], v20 offset:3616
	ds_read_b64 v[22:23], v22 offset:3640
	s_waitcnt lgkmcnt(0)
	v_mul_f32_e32 v24, v23, v21
	v_mul_f32_e32 v21, v22, v21
	v_fma_f32 v22, v22, v20, -v24
	v_fmac_f32_e32 v21, v23, v20
	v_add_f32_e32 v11, v11, v22
	v_add_f32_e32 v12, v12, v21
.LBB150_993:
	s_or_b64 exec, exec, s[10:11]
.LBB150_994:
	s_or_b64 exec, exec, s[0:1]
	s_and_saveexec_b64 s[0:1], s[40:41]
	s_cbranch_execz .LBB150_996
; %bb.995:
	v_mov_b32_e32 v20, 0
	ds_read_b64 v[20:21], v20 offset:2600
	s_waitcnt lgkmcnt(0)
	v_mul_f32_e32 v22, v12, v21
	v_mul_f32_e32 v23, v11, v21
	v_fma_f32 v11, v11, v20, -v22
	v_fmac_f32_e32 v23, v12, v20
	v_xor_b32_e32 v20, 0x80000000, v11
	v_xor_b32_e32 v21, 0x80000000, v23
	v_mov_b32_e32 v12, v23
	ds_write_b64 v15, v[20:21]
.LBB150_996:
	s_or_b64 exec, exec, s[0:1]
	s_waitcnt lgkmcnt(0)
	s_barrier
	s_and_saveexec_b64 s[0:1], s[38:39]
	s_cbranch_execz .LBB150_998
; %bb.997:
	v_mov_b32_e32 v20, 0
	ds_read_b64 v[20:21], v20 offset:2592
	ds_read_b64 v[22:23], v15
	s_waitcnt lgkmcnt(0)
	v_mul_f32_e32 v24, v23, v21
	v_mul_f32_e32 v21, v22, v21
	v_fma_f32 v22, v22, v20, -v24
	v_fmac_f32_e32 v21, v23, v20
	v_sub_f32_e32 v11, v11, v22
	v_sub_f32_e32 v12, v12, v21
.LBB150_998:
	s_or_b64 exec, exec, s[0:1]
	s_barrier
	s_and_saveexec_b64 s[0:1], s[38:39]
	s_cbranch_execz .LBB150_1000
; %bb.999:
	v_mov_b32_e32 v20, 0
	ds_read_b64 v[20:21], v20 offset:2080
	s_waitcnt lgkmcnt(0)
	v_mul_f32_e32 v22, v12, v21
	v_mul_f32_e32 v23, v11, v21
	v_fma_f32 v11, v11, v20, -v22
	v_fmac_f32_e32 v23, v12, v20
	v_xor_b32_e32 v20, 0x80000000, v11
	v_xor_b32_e32 v21, 0x80000000, v23
	v_mov_b32_e32 v12, v23
	ds_write_b64 v15, v[20:21]
.LBB150_1000:
	s_or_b64 exec, exec, s[0:1]
	s_waitcnt lgkmcnt(0)
	s_barrier
	s_barrier
	s_and_saveexec_b64 s[0:1], s[2:3]
; %bb.1001:
	v_lshlrev_b32_e32 v20, 3, v13
	v_lshl_or_b32 v20, v14, 9, v20
	ds_write_b64 v20, v[11:12] offset:3104
; %bb.1002:
	s_or_b64 exec, exec, s[0:1]
	s_waitcnt lgkmcnt(0)
	s_barrier
	s_barrier
	s_and_saveexec_b64 s[0:1], s[42:43]
	s_cbranch_execz .LBB150_1004
; %bb.1003:
	v_lshlrev_b32_e32 v20, 3, v0
	s_movk_i32 s8, 0x1f8
	v_mad_u32_u24 v21, v0, s8, v20
	ds_read_b64 v[11:12], v21 offset:3104
	s_waitcnt lgkmcnt(0)
	ds_write_b64 v20, v[11:12] offset:2096
	ds_read_b64 v[11:12], v21 offset:3112
	s_waitcnt lgkmcnt(0)
	ds_write_b64 v20, v[11:12] offset:2608
.LBB150_1004:
	s_or_b64 exec, exec, s[0:1]
	s_waitcnt lgkmcnt(0)
	s_barrier
	s_and_saveexec_b64 s[0:1], vcc
	s_cbranch_execz .LBB150_1006
; %bb.1005:
	v_mov_b32_e32 v11, 0
	v_add_u32_e64 v12, 32, 0
	ds_read2st64_b64 v[20:23], v12 offset0:4 offset1:5
	ds_read_b64 v[11:12], v11 offset:2600
	s_movk_i32 s8, 0x800
	s_waitcnt lgkmcnt(0)
	v_mul_f32_e32 v24, v12, v21
	v_mul_f32_e32 v21, v11, v21
	v_fma_f32 v24, v11, v20, -v24
	v_fmac_f32_e32 v21, v12, v20
	v_mul_f32_e32 v11, v21, v23
	v_mul_f32_e32 v12, v24, v23
	v_fma_f32 v11, v24, v22, -v11
	v_fmac_f32_e32 v12, v21, v22
	v_add_u32_e64 v20, s8, 0
	ds_write2_b64 v20, v[11:12], v[11:12] offset0:5 offset1:68
.LBB150_1006:
	s_or_b64 exec, exec, s[0:1]
	v_mov_b32_e32 v12, 0
	v_mov_b32_e32 v11, 0
	s_waitcnt lgkmcnt(0)
	s_barrier
	buffer_wbinvl1_vol
	s_and_saveexec_b64 s[0:1], s[18:19]
	s_cbranch_execz .LBB150_1012
; %bb.1007:
	v_lshlrev_b32_e32 v20, 3, v17
	v_lshlrev_b32_e32 v21, 9, v18
	ds_read_b64 v[11:12], v20 offset:2048
	ds_read_b64 v[22:23], v21 offset:2080
	v_cmp_gt_u32_e64 s[8:9], 12, v16
	s_waitcnt lgkmcnt(0)
	v_mul_f32_e32 v24, v23, v12
	v_mul_f32_e32 v12, v22, v12
	v_fma_f32 v22, v22, v11, -v24
	v_fmac_f32_e32 v12, v23, v11
	v_add_f32_e32 v11, 0, v22
	v_add_f32_e32 v12, 0, v12
	s_and_saveexec_b64 s[10:11], s[8:9]
	s_cbranch_execnz .LBB150_1173
; %bb.1008:
	s_or_b64 exec, exec, s[10:11]
	v_cmp_gt_u32_e64 s[8:9], 8, v16
	s_and_saveexec_b64 s[10:11], s[8:9]
	s_cbranch_execnz .LBB150_1174
.LBB150_1009:
	s_or_b64 exec, exec, s[10:11]
	v_cmp_gt_u32_e64 s[8:9], 4, v16
	s_and_saveexec_b64 s[10:11], s[8:9]
	s_cbranch_execz .LBB150_1011
.LBB150_1010:
	v_lshlrev_b32_e32 v20, 3, v0
	v_mov_b32_e32 v22, 0
	ds_read_b64 v[20:21], v20 offset:3584
	ds_read_b64 v[22:23], v22 offset:3640
	s_waitcnt lgkmcnt(0)
	v_mul_f32_e32 v24, v23, v21
	v_mul_f32_e32 v21, v22, v21
	v_fma_f32 v22, v22, v20, -v24
	v_fmac_f32_e32 v21, v23, v20
	v_add_f32_e32 v11, v11, v22
	v_add_f32_e32 v12, v12, v21
.LBB150_1011:
	s_or_b64 exec, exec, s[10:11]
.LBB150_1012:
	s_or_b64 exec, exec, s[0:1]
	s_and_saveexec_b64 s[0:1], s[46:47]
	s_cbranch_execz .LBB150_1014
; %bb.1013:
	v_mov_b32_e32 v20, 0
	ds_read_b64 v[20:21], v20 offset:1560
	s_waitcnt lgkmcnt(0)
	v_mul_f32_e32 v22, v12, v21
	v_mul_f32_e32 v23, v11, v21
	v_fma_f32 v11, v11, v20, -v22
	v_fmac_f32_e32 v23, v12, v20
	v_xor_b32_e32 v20, 0x80000000, v11
	v_xor_b32_e32 v21, 0x80000000, v23
	v_mov_b32_e32 v12, v23
	ds_write_b64 v19, v[20:21]
.LBB150_1014:
	s_or_b64 exec, exec, s[0:1]
	s_waitcnt lgkmcnt(0)
	s_barrier
	s_and_saveexec_b64 s[0:1], s[48:49]
	v_readlane_b32 s34, v38, 2
	v_readlane_b32 s46, v38, 0
	v_readlane_b32 s36, v38, 4
	v_readlane_b32 s35, v38, 3
	v_readlane_b32 s47, v38, 1
	s_cbranch_execz .LBB150_1016
; %bb.1015:
	v_lshlrev_b32_e32 v20, 3, v17
	ds_read_b64 v[20:21], v20 offset:1536
	ds_read_b64 v[22:23], v19
	s_waitcnt lgkmcnt(0)
	v_mul_f32_e32 v24, v23, v21
	v_mul_f32_e32 v21, v22, v21
	v_fma_f32 v22, v22, v20, -v24
	v_fmac_f32_e32 v21, v23, v20
	v_sub_f32_e32 v11, v11, v22
	v_sub_f32_e32 v12, v12, v21
.LBB150_1016:
	s_or_b64 exec, exec, s[0:1]
	s_barrier
	s_and_saveexec_b64 s[0:1], s[50:51]
	s_cbranch_execz .LBB150_1018
; %bb.1017:
	v_mov_b32_e32 v20, 0
	ds_read_b64 v[20:21], v20 offset:1040
	s_waitcnt lgkmcnt(0)
	v_mul_f32_e32 v22, v12, v21
	v_mul_f32_e32 v23, v11, v21
	v_fma_f32 v11, v11, v20, -v22
	v_fmac_f32_e32 v23, v12, v20
	v_xor_b32_e32 v20, 0x80000000, v11
	v_xor_b32_e32 v21, 0x80000000, v23
	v_mov_b32_e32 v12, v23
	ds_write_b64 v19, v[20:21]
.LBB150_1018:
	s_or_b64 exec, exec, s[0:1]
	s_waitcnt lgkmcnt(0)
	s_barrier
	s_and_saveexec_b64 s[0:1], s[52:53]
	s_cbranch_execz .LBB150_1020
; %bb.1019:
	v_lshlrev_b32_e32 v20, 3, v17
	ds_read_b64 v[20:21], v20 offset:1024
	ds_read_b64 v[22:23], v19
	s_waitcnt lgkmcnt(0)
	v_mul_f32_e32 v24, v23, v21
	v_mul_f32_e32 v21, v22, v21
	v_fma_f32 v22, v22, v20, -v24
	v_fmac_f32_e32 v21, v23, v20
	v_sub_f32_e32 v11, v11, v22
	v_sub_f32_e32 v12, v12, v21
.LBB150_1020:
	s_or_b64 exec, exec, s[0:1]
	s_barrier
	s_and_saveexec_b64 s[0:1], s[54:55]
	s_cbranch_execz .LBB150_1022
; %bb.1021:
	v_mov_b32_e32 v20, 0
	ds_read_b64 v[20:21], v20 offset:520
	s_waitcnt lgkmcnt(0)
	v_mul_f32_e32 v22, v12, v21
	v_mul_f32_e32 v23, v11, v21
	v_fma_f32 v11, v11, v20, -v22
	v_fmac_f32_e32 v23, v12, v20
	v_xor_b32_e32 v20, 0x80000000, v11
	v_xor_b32_e32 v21, 0x80000000, v23
	v_mov_b32_e32 v12, v23
	ds_write_b64 v19, v[20:21]
.LBB150_1022:
	s_or_b64 exec, exec, s[0:1]
	s_waitcnt lgkmcnt(0)
	s_barrier
	s_and_saveexec_b64 s[0:1], s[44:45]
	s_cbranch_execz .LBB150_1024
; %bb.1023:
	v_mov_b32_e32 v20, 0
	ds_read_b64 v[20:21], v20 offset:512
	ds_read_b64 v[22:23], v19
	s_waitcnt lgkmcnt(0)
	v_mul_f32_e32 v24, v23, v21
	v_mul_f32_e32 v21, v22, v21
	v_fma_f32 v22, v22, v20, -v24
	v_fmac_f32_e32 v21, v23, v20
	v_sub_f32_e32 v11, v11, v22
	v_sub_f32_e32 v12, v12, v21
.LBB150_1024:
	s_or_b64 exec, exec, s[0:1]
	s_barrier
	s_and_saveexec_b64 s[0:1], s[44:45]
	s_cbranch_execz .LBB150_1026
; %bb.1025:
	v_mov_b32_e32 v20, 0
	ds_read_b64 v[20:21], v20
	s_waitcnt lgkmcnt(0)
	v_mul_f32_e32 v22, v12, v21
	v_mul_f32_e32 v23, v11, v21
	v_fma_f32 v11, v11, v20, -v22
	v_fmac_f32_e32 v23, v12, v20
	v_xor_b32_e32 v20, 0x80000000, v11
	v_xor_b32_e32 v21, 0x80000000, v23
	v_mov_b32_e32 v12, v23
	ds_write_b64 v19, v[20:21]
.LBB150_1026:
	s_or_b64 exec, exec, s[0:1]
	s_waitcnt lgkmcnt(0)
	s_barrier
	s_barrier
	s_and_saveexec_b64 s[0:1], s[18:19]
; %bb.1027:
	v_lshlrev_b32_e32 v17, 3, v17
	v_lshl_or_b32 v17, v18, 9, v17
	ds_write_b64 v17, v[11:12] offset:2048
; %bb.1028:
	s_or_b64 exec, exec, s[0:1]
	s_waitcnt lgkmcnt(0)
	s_barrier
	s_barrier
	s_and_saveexec_b64 s[0:1], s[56:57]
	s_cbranch_execz .LBB150_1030
; %bb.1029:
	v_lshlrev_b32_e32 v17, 9, v0
	ds_read_b64 v[11:12], v17 offset:2048
	s_movk_i32 s8, 0xfe08
	v_mad_i32_i24 v18, v0, s8, v17
	s_waitcnt lgkmcnt(0)
	ds_write_b64 v18, v[11:12] offset:32
	ds_read_b64 v[11:12], v17 offset:2056
	s_waitcnt lgkmcnt(0)
	ds_write_b64 v18, v[11:12] offset:544
	ds_read_b64 v[11:12], v17 offset:2064
	;; [unrolled: 3-line block ×3, first 2 shown]
	s_waitcnt lgkmcnt(0)
	ds_write_b64 v18, v[11:12] offset:1568
.LBB150_1030:
	s_or_b64 exec, exec, s[0:1]
	s_waitcnt lgkmcnt(0)
	s_barrier
	s_and_saveexec_b64 s[0:1], vcc
	s_cbranch_execz .LBB150_1032
; %bb.1031:
	v_mov_b32_e32 v21, 0
	ds_read2_b64 v[17:20], v21 offset0:130 offset1:194
	ds_read_b64 v[11:12], v21 offset:1560
	s_waitcnt lgkmcnt(0)
	v_mul_f32_e32 v22, v12, v18
	v_mul_f32_e32 v18, v11, v18
	v_fma_f32 v11, v11, v17, -v22
	v_fmac_f32_e32 v18, v12, v17
	v_mul_f32_e32 v17, v18, v20
	v_mul_f32_e32 v12, v11, v20
	v_fma_f32 v11, v11, v19, -v17
	v_fmac_f32_e32 v12, v18, v19
	ds_write2_b64 v21, v[11:12], v[11:12] offset0:131 offset1:194
.LBB150_1032:
	s_or_b64 exec, exec, s[0:1]
	v_mov_b32_e32 v11, 0
	v_mov_b32_e32 v12, 0
	s_waitcnt lgkmcnt(0)
	s_barrier
	buffer_wbinvl1_vol
	s_and_saveexec_b64 s[0:1], s[2:3]
	s_cbranch_execz .LBB150_1036
; %bb.1033:
	v_lshlrev_b32_e32 v11, 3, v13
	v_lshlrev_b32_e32 v17, 9, v14
	ds_read_b64 v[11:12], v11 offset:1024
	ds_read_b64 v[17:18], v17 offset:1040
	v_cmp_gt_u32_e64 s[8:9], 2, v16
	s_waitcnt lgkmcnt(0)
	v_mul_f32_e32 v19, v18, v12
	v_mul_f32_e32 v12, v17, v12
	v_fma_f32 v17, v17, v11, -v19
	v_fmac_f32_e32 v12, v18, v11
	v_add_f32_e32 v11, 0, v17
	v_add_f32_e32 v12, 0, v12
	s_and_saveexec_b64 s[10:11], s[8:9]
	s_cbranch_execz .LBB150_1035
; %bb.1034:
	v_lshlrev_b32_e32 v16, 3, v0
	v_mov_b32_e32 v18, 0
	ds_read_b64 v[16:17], v16 offset:1536
	ds_read_b64 v[18:19], v18 offset:1560
	s_waitcnt lgkmcnt(0)
	v_mul_f32_e32 v20, v19, v17
	v_mul_f32_e32 v17, v18, v17
	v_fma_f32 v18, v18, v16, -v20
	v_fmac_f32_e32 v17, v19, v16
	v_add_f32_e32 v11, v11, v18
	v_add_f32_e32 v12, v12, v17
.LBB150_1035:
	s_or_b64 exec, exec, s[10:11]
.LBB150_1036:
	s_or_b64 exec, exec, s[0:1]
	s_and_saveexec_b64 s[0:1], s[40:41]
	s_cbranch_execz .LBB150_1038
; %bb.1037:
	v_mov_b32_e32 v16, 0
	ds_read_b64 v[16:17], v16 offset:520
	s_waitcnt lgkmcnt(0)
	v_mul_f32_e32 v18, v12, v17
	v_mul_f32_e32 v19, v11, v17
	v_fma_f32 v11, v11, v16, -v18
	v_fmac_f32_e32 v19, v12, v16
	v_xor_b32_e32 v16, 0x80000000, v11
	v_xor_b32_e32 v17, 0x80000000, v19
	v_mov_b32_e32 v12, v19
	ds_write_b64 v15, v[16:17]
.LBB150_1038:
	s_or_b64 exec, exec, s[0:1]
	s_waitcnt lgkmcnt(0)
	s_barrier
	s_and_saveexec_b64 s[0:1], s[38:39]
	s_cbranch_execz .LBB150_1040
; %bb.1039:
	v_mov_b32_e32 v16, 0
	ds_read_b64 v[16:17], v16 offset:512
	ds_read_b64 v[18:19], v15
	s_waitcnt lgkmcnt(0)
	v_mul_f32_e32 v20, v19, v17
	v_mul_f32_e32 v17, v18, v17
	v_fma_f32 v18, v18, v16, -v20
	v_fmac_f32_e32 v17, v19, v16
	v_sub_f32_e32 v11, v11, v18
	v_sub_f32_e32 v12, v12, v17
.LBB150_1040:
	s_or_b64 exec, exec, s[0:1]
	s_barrier
	s_and_saveexec_b64 s[0:1], s[38:39]
	s_cbranch_execz .LBB150_1042
; %bb.1041:
	v_mov_b32_e32 v16, 0
	ds_read_b64 v[16:17], v16
	s_waitcnt lgkmcnt(0)
	v_mul_f32_e32 v18, v12, v17
	v_mul_f32_e32 v19, v11, v17
	v_fma_f32 v11, v11, v16, -v18
	v_fmac_f32_e32 v19, v12, v16
	v_xor_b32_e32 v16, 0x80000000, v11
	v_xor_b32_e32 v17, 0x80000000, v19
	v_mov_b32_e32 v12, v19
	ds_write_b64 v15, v[16:17]
.LBB150_1042:
	s_or_b64 exec, exec, s[0:1]
	s_waitcnt lgkmcnt(0)
	s_barrier
	s_barrier
	s_and_saveexec_b64 s[0:1], s[2:3]
; %bb.1043:
	v_lshlrev_b32_e32 v13, 3, v13
	v_lshl_or_b32 v13, v14, 9, v13
	ds_write_b64 v13, v[11:12] offset:1024
; %bb.1044:
	s_or_b64 exec, exec, s[0:1]
	s_waitcnt lgkmcnt(0)
	s_barrier
	s_barrier
	s_and_saveexec_b64 s[0:1], s[42:43]
	s_cbranch_execz .LBB150_1046
; %bb.1045:
	v_lshlrev_b32_e32 v13, 3, v0
	s_movk_i32 s2, 0x1f8
	v_mad_u32_u24 v14, v0, s2, v13
	ds_read_b64 v[11:12], v14 offset:1024
	s_waitcnt lgkmcnt(0)
	ds_write_b64 v13, v[11:12] offset:16
	ds_read_b64 v[11:12], v14 offset:1032
	s_waitcnt lgkmcnt(0)
	ds_write_b64 v13, v[11:12] offset:528
.LBB150_1046:
	s_or_b64 exec, exec, s[0:1]
	s_waitcnt lgkmcnt(0)
	s_barrier
	s_and_saveexec_b64 s[0:1], vcc
	s_cbranch_execz .LBB150_1048
; %bb.1047:
	v_mov_b32_e32 v17, 0
	ds_read2st64_b64 v[11:14], v17 offset1:1
	ds_read_b64 v[15:16], v17 offset:520
	s_waitcnt lgkmcnt(0)
	v_mul_f32_e32 v18, v16, v12
	v_mul_f32_e32 v19, v15, v12
	v_fma_f32 v15, v15, v11, -v18
	v_fmac_f32_e32 v19, v16, v11
	v_mul_f32_e32 v11, v19, v14
	v_mul_f32_e32 v12, v15, v14
	v_fma_f32 v11, v15, v13, -v11
	v_fmac_f32_e32 v12, v19, v13
	ds_write2_b64 v17, v[11:12], v[11:12] offset0:1 offset1:64
.LBB150_1048:
	s_or_b64 exec, exec, s[0:1]
.LBB150_1049:
	s_lshl_b64 s[0:1], s[24:25], 3
	s_add_u32 s20, s46, s0
	v_cmp_le_i32_e32 vcc, s88, v0
	s_addc_u32 s21, s47, s1
	s_and_b64 s[14:15], vcc, s[22:23]
	v_cmp_eq_u32_e64 s[2:3], 0, v2
	s_xor_b64 s[0:1], s[14:15], -1
	s_and_b64 s[8:9], s[2:3], s[0:1]
	v_mov_b32_e32 v11, 0
	v_add_u32_e32 v13, s33, v0
	v_mov_b32_e32 v12, 0
	s_waitcnt lgkmcnt(0)
	s_barrier
	s_and_saveexec_b64 s[0:1], s[8:9]
	s_cbranch_execz .LBB150_1051
; %bb.1050:
	v_ashrrev_i32_e32 v14, 31, v13
	v_mul_lo_u32 v15, s27, v13
	v_mad_u64_u32 v[11:12], s[8:9], s26, v13, 0
	v_mul_lo_u32 v14, s26, v14
	v_add3_u32 v12, v12, v14, v15
	v_lshlrev_b64 v[11:12], 3, v[11:12]
	v_mov_b32_e32 v14, s21
	v_add_co_u32_e32 v11, vcc, s20, v11
	v_addc_co_u32_e32 v12, vcc, v14, v12, vcc
	flat_load_dwordx2 v[14:15], v[11:12]
	s_waitcnt vmcnt(0) lgkmcnt(0)
	v_mul_f32_e32 v11, s34, v14
	v_mul_f32_e32 v12, s34, v15
	v_fma_f32 v11, s35, v15, -v11
	v_fma_f32 v12, v14, -s35, -v12
.LBB150_1051:
	s_or_b64 exec, exec, s[0:1]
	s_load_dwordx2 s[0:1], s[4:5], 0x50
	s_and_b32 s4, 0xffff, s91
	v_mad_u32_u24 v17, v2, s4, v0
	s_cmp_lt_i32 s6, 1
	v_cmp_eq_u32_e64 s[4:5], 0, v17
	s_cbranch_scc1 .LBB150_1086
; %bb.1052:
	v_mad_u64_u32 v[14:15], s[8:9], s30, v13, 0
	s_mov_b32 s24, 0
	v_cmp_gt_u32_e64 s[12:13], 64, v17
	v_mad_u64_u32 v[15:16], s[8:9], s31, v13, v[15:16]
	s_lshl_b64 s[8:9], s[28:29], 2
	s_waitcnt lgkmcnt(0)
	s_add_u32 s16, s0, s8
	s_addc_u32 s17, s1, s9
	v_cmp_gt_i32_e64 s[8:9], s7, v13
	v_lshlrev_b64 v[13:14], 3, v[14:15]
	v_mov_b32_e32 v16, 0xa000
	v_mov_b32_e32 v15, s90
	v_add_co_u32_e32 v20, vcc, s89, v13
	v_lshl_add_u32 v18, v17, 3, v16
	v_lshl_or_b32 v19, v2, 3, v16
	s_add_i32 s25, s6, -1
	v_addc_co_u32_e32 v21, vcc, v15, v14, vcc
	v_mov_b32_e32 v22, -1
	v_mov_b32_e32 v14, 0
	s_branch .LBB150_1055
.LBB150_1053:                           ;   in Loop: Header=BB150_1055 Depth=1
	ds_read_b64 v[15:16], v19 offset:384
	s_waitcnt vmcnt(0) lgkmcnt(0)
	v_mul_f32_e32 v24, v23, v16
	v_mul_f32_e32 v23, v23, v15
	v_fmac_f32_e32 v24, v13, v15
	v_fma_f32 v13, v13, v16, -v23
	v_add_f32_e32 v11, v11, v24
	v_add_f32_e32 v12, v12, v13
.LBB150_1054:                           ;   in Loop: Header=BB150_1055 Depth=1
	s_or_b64 exec, exec, s[18:19]
	s_add_i32 s24, s24, 1
	s_cmp_eq_u32 s24, s6
	s_cbranch_scc1 .LBB150_1086
.LBB150_1055:                           ; =>This Loop Header: Depth=1
                                        ;     Child Loop BB150_1057 Depth 2
	v_cmp_gt_i32_e32 vcc, s24, v22
	s_and_b64 s[18:19], s[4:5], vcc
	s_and_saveexec_b64 s[10:11], s[18:19]
	s_cbranch_execz .LBB150_1058
; %bb.1056:                             ;   in Loop: Header=BB150_1055 Depth=1
	global_load_dword v22, v14, s[16:17]
	s_waitcnt vmcnt(0)
	v_cmp_le_i32_e32 vcc, s24, v22
	s_cbranch_vccnz .LBB150_1058
.LBB150_1057:                           ;   Parent Loop BB150_1055 Depth=1
                                        ; =>  This Inner Loop Header: Depth=2
	buffer_wbinvl1_vol
	global_load_dword v22, v14, s[16:17]
	s_waitcnt vmcnt(0)
	v_cmp_gt_i32_e32 vcc, s24, v22
	s_cbranch_vccnz .LBB150_1057
.LBB150_1058:                           ;   in Loop: Header=BB150_1055 Depth=1
	s_or_b64 exec, exec, s[10:11]
	s_lshl_b32 s30, s24, 6
	buffer_wbinvl1_vol
	s_barrier
	s_and_saveexec_b64 s[10:11], s[12:13]
	s_cbranch_execz .LBB150_1063
; %bb.1059:                             ;   in Loop: Header=BB150_1055 Depth=1
	v_or_b32_e32 v13, s30, v17
	v_cmp_le_i32_e32 vcc, s7, v13
	s_and_saveexec_b64 s[18:19], vcc
	s_xor_b64 s[18:19], exec, s[18:19]
; %bb.1060:                             ;   in Loop: Header=BB150_1055 Depth=1
	v_mov_b32_e32 v13, v14
	ds_write_b64 v18, v[13:14]
                                        ; implicit-def: $vgpr13
; %bb.1061:                             ;   in Loop: Header=BB150_1055 Depth=1
	s_andn2_saveexec_b64 s[18:19], s[18:19]
	s_cbranch_execz .LBB150_1063
; %bb.1062:                             ;   in Loop: Header=BB150_1055 Depth=1
	v_mad_u64_u32 v[15:16], s[18:19], s26, v13, 0
	v_mad_u64_u32 v[23:24], s[18:19], s27, v13, v[16:17]
	v_mov_b32_e32 v13, s21
	v_mov_b32_e32 v16, v23
	v_lshlrev_b64 v[15:16], 3, v[15:16]
	v_add_co_u32_e32 v15, vcc, s20, v15
	v_addc_co_u32_e32 v16, vcc, v13, v16, vcc
	flat_load_dwordx2 v[15:16], v[15:16]
	s_waitcnt vmcnt(0) lgkmcnt(0)
	ds_write_b64 v18, v[15:16]
.LBB150_1063:                           ;   in Loop: Header=BB150_1055 Depth=1
	s_or_b64 exec, exec, s[10:11]
	v_add_u32_e32 v13, s30, v2
	v_lshlrev_b64 v[15:16], 3, v[13:14]
	s_cmp_lg_u32 s24, s25
	v_add_co_u32_e32 v15, vcc, v20, v15
	s_cselect_b64 s[10:11], -1, 0
	v_addc_co_u32_e32 v16, vcc, v21, v16, vcc
	v_cmp_gt_i32_e32 vcc, s7, v13
	v_cndmask_b32_e64 v23, 0, 1, s[10:11]
	s_and_b64 s[30:31], vcc, s[8:9]
	v_cmp_ne_u32_e64 s[10:11], 1, v23
	s_waitcnt lgkmcnt(0)
	s_barrier
	s_and_saveexec_b64 s[18:19], s[30:31]
	s_cbranch_execz .LBB150_1069
; %bb.1064:                             ;   in Loop: Header=BB150_1055 Depth=1
	s_and_b64 vcc, exec, s[10:11]
	v_mov_b32_e32 v23, v5
	s_cbranch_vccnz .LBB150_1066
; %bb.1065:                             ;   in Loop: Header=BB150_1055 Depth=1
	flat_load_dword v23, v[15:16]
.LBB150_1066:                           ;   in Loop: Header=BB150_1055 Depth=1
	s_and_b64 vcc, exec, s[10:11]
	v_mov_b32_e32 v24, v6
	s_cbranch_vccnz .LBB150_1068
; %bb.1067:                             ;   in Loop: Header=BB150_1055 Depth=1
	flat_load_dword v24, v[15:16] offset:4
.LBB150_1068:                           ;   in Loop: Header=BB150_1055 Depth=1
	ds_read_b64 v[25:26], v19
	s_waitcnt vmcnt(0) lgkmcnt(0)
	v_mul_f32_e32 v27, v24, v26
	v_mul_f32_e32 v24, v24, v25
	v_fmac_f32_e32 v27, v23, v25
	v_fma_f32 v23, v23, v26, -v24
	v_add_f32_e32 v11, v11, v27
	v_add_f32_e32 v12, v12, v23
.LBB150_1069:                           ;   in Loop: Header=BB150_1055 Depth=1
	s_or_b64 exec, exec, s[18:19]
	v_add_u32_e32 v23, 16, v13
	v_cmp_gt_i32_e32 vcc, s7, v23
	s_and_b64 s[30:31], vcc, s[8:9]
	s_and_saveexec_b64 s[18:19], s[30:31]
	s_cbranch_execz .LBB150_1075
; %bb.1070:                             ;   in Loop: Header=BB150_1055 Depth=1
	s_and_b64 vcc, exec, s[10:11]
	v_mov_b32_e32 v23, v3
	s_cbranch_vccnz .LBB150_1072
; %bb.1071:                             ;   in Loop: Header=BB150_1055 Depth=1
	flat_load_dword v23, v[15:16] offset:128
.LBB150_1072:                           ;   in Loop: Header=BB150_1055 Depth=1
	s_and_b64 vcc, exec, s[10:11]
	v_mov_b32_e32 v24, v4
	s_cbranch_vccnz .LBB150_1074
; %bb.1073:                             ;   in Loop: Header=BB150_1055 Depth=1
	flat_load_dword v24, v[15:16] offset:132
.LBB150_1074:                           ;   in Loop: Header=BB150_1055 Depth=1
	ds_read_b64 v[25:26], v19 offset:128
	s_waitcnt vmcnt(0) lgkmcnt(0)
	v_mul_f32_e32 v27, v24, v26
	v_mul_f32_e32 v24, v24, v25
	v_fmac_f32_e32 v27, v23, v25
	v_fma_f32 v23, v23, v26, -v24
	v_add_f32_e32 v11, v11, v27
	v_add_f32_e32 v12, v12, v23
.LBB150_1075:                           ;   in Loop: Header=BB150_1055 Depth=1
	s_or_b64 exec, exec, s[18:19]
	v_add_u32_e32 v23, 32, v13
	v_cmp_gt_i32_e32 vcc, s7, v23
	s_and_b64 s[30:31], vcc, s[8:9]
	s_and_saveexec_b64 s[18:19], s[30:31]
	s_cbranch_execz .LBB150_1081
; %bb.1076:                             ;   in Loop: Header=BB150_1055 Depth=1
	s_and_b64 vcc, exec, s[10:11]
	v_mov_b32_e32 v23, v9
	s_cbranch_vccnz .LBB150_1078
; %bb.1077:                             ;   in Loop: Header=BB150_1055 Depth=1
	flat_load_dword v23, v[15:16] offset:256
.LBB150_1078:                           ;   in Loop: Header=BB150_1055 Depth=1
	s_and_b64 vcc, exec, s[10:11]
	v_mov_b32_e32 v24, v10
	s_cbranch_vccnz .LBB150_1080
; %bb.1079:                             ;   in Loop: Header=BB150_1055 Depth=1
	flat_load_dword v24, v[15:16] offset:260
.LBB150_1080:                           ;   in Loop: Header=BB150_1055 Depth=1
	ds_read_b64 v[25:26], v19 offset:256
	s_waitcnt vmcnt(0) lgkmcnt(0)
	v_mul_f32_e32 v27, v24, v26
	v_mul_f32_e32 v24, v24, v25
	v_fmac_f32_e32 v27, v23, v25
	v_fma_f32 v23, v23, v26, -v24
	v_add_f32_e32 v11, v11, v27
	v_add_f32_e32 v12, v12, v23
.LBB150_1081:                           ;   in Loop: Header=BB150_1055 Depth=1
	s_or_b64 exec, exec, s[18:19]
	v_add_u32_e32 v13, 48, v13
	v_cmp_gt_i32_e32 vcc, s7, v13
	s_and_b64 s[30:31], vcc, s[8:9]
	s_and_saveexec_b64 s[18:19], s[30:31]
	s_cbranch_execz .LBB150_1054
; %bb.1082:                             ;   in Loop: Header=BB150_1055 Depth=1
	s_and_b64 vcc, exec, s[10:11]
	v_mov_b32_e32 v13, v7
	s_cbranch_vccnz .LBB150_1084
; %bb.1083:                             ;   in Loop: Header=BB150_1055 Depth=1
	flat_load_dword v13, v[15:16] offset:384
.LBB150_1084:                           ;   in Loop: Header=BB150_1055 Depth=1
	s_and_b64 vcc, exec, s[10:11]
	v_mov_b32_e32 v23, v8
	s_cbranch_vccnz .LBB150_1053
; %bb.1085:                             ;   in Loop: Header=BB150_1055 Depth=1
	flat_load_dword v23, v[15:16] offset:388
	s_branch .LBB150_1053
.LBB150_1086:
	s_xor_b64 s[4:5], s[22:23], -1
	v_lshlrev_b32_e32 v1, 3, v1
	ds_write_b64 v1, v[11:12] offset:32768
	s_waitcnt lgkmcnt(0)
	s_barrier
	s_and_saveexec_b64 s[6:7], s[2:3]
	s_cbranch_execz .LBB150_1088
; %bb.1087:
	v_lshlrev_b32_e32 v15, 3, v0
	ds_read2st64_b64 v[3:6], v15 offset0:65 offset1:66
	ds_read2st64_b64 v[7:10], v15 offset0:67 offset1:68
	ds_read_b64 v[13:14], v15 offset:40448
	s_waitcnt lgkmcnt(2)
	v_add_f32_e32 v3, v11, v3
	v_add_f32_e32 v4, v12, v4
	;; [unrolled: 1-line block ×4, first 2 shown]
	ds_read2st64_b64 v[3:6], v15 offset0:69 offset1:70
	s_waitcnt lgkmcnt(2)
	v_add_f32_e32 v7, v11, v7
	v_add_f32_e32 v8, v12, v8
	;; [unrolled: 1-line block ×4, first 2 shown]
	s_waitcnt lgkmcnt(0)
	v_add_f32_e32 v3, v7, v3
	ds_read2st64_b64 v[7:10], v15 offset0:71 offset1:72
	v_add_f32_e32 v4, v11, v4
	v_add_f32_e32 v11, v3, v5
	;; [unrolled: 1-line block ×3, first 2 shown]
	ds_read2st64_b64 v[3:6], v15 offset0:73 offset1:74
	s_waitcnt lgkmcnt(1)
	v_add_f32_e32 v7, v11, v7
	v_add_f32_e32 v8, v12, v8
	;; [unrolled: 1-line block ×4, first 2 shown]
	s_waitcnt lgkmcnt(0)
	v_add_f32_e32 v3, v7, v3
	ds_read2st64_b64 v[7:10], v15 offset0:75 offset1:76
	v_add_f32_e32 v4, v11, v4
	v_add_f32_e32 v11, v3, v5
	;; [unrolled: 1-line block ×3, first 2 shown]
	ds_read2st64_b64 v[3:6], v15 offset0:77 offset1:78
	s_waitcnt lgkmcnt(1)
	v_add_f32_e32 v7, v11, v7
	v_add_f32_e32 v8, v12, v8
	;; [unrolled: 1-line block ×4, first 2 shown]
	s_waitcnt lgkmcnt(0)
	v_add_f32_e32 v3, v7, v3
	v_add_f32_e32 v4, v8, v4
	;; [unrolled: 1-line block ×6, first 2 shown]
	v_cndmask_b32_e64 v11, -v3, 0, s[14:15]
	v_cndmask_b32_e64 v12, -v4, 0, s[14:15]
.LBB150_1088:
	s_or_b64 exec, exec, s[6:7]
	s_and_b64 vcc, exec, s[60:61]
	s_cbranch_vccnz .LBB150_1101
; %bb.1089:
	v_mov_b32_e32 v3, 0xa000
	v_lshl_or_b32 v5, v2, 3, v3
	s_and_saveexec_b64 s[6:7], s[2:3]
; %bb.1090:
	v_lshl_add_u32 v3, v0, 3, v5
	ds_write_b64 v3, v[11:12]
; %bb.1091:
	s_or_b64 exec, exec, s[6:7]
	v_cmp_le_u32_e32 vcc, v2, v0
	v_mov_b32_e32 v3, 0
	v_mov_b32_e32 v4, 0
	s_waitcnt lgkmcnt(0)
	s_barrier
	s_and_saveexec_b64 s[6:7], vcc
	s_cbranch_execz .LBB150_1093
; %bb.1092:
	ds_read_b64 v[3:4], v1
	ds_read_b64 v[6:7], v5
	s_waitcnt lgkmcnt(0)
	v_mul_f32_e32 v8, v7, v4
	v_mul_f32_e32 v4, v6, v4
	v_fma_f32 v6, v6, v3, -v8
	v_fmac_f32_e32 v4, v7, v3
	v_add_f32_e32 v3, 0, v6
	v_add_f32_e32 v4, 0, v4
.LBB150_1093:
	s_or_b64 exec, exec, s[6:7]
	v_add_u32_e32 v6, 16, v2
	v_cmp_ge_u32_e32 vcc, v0, v6
	s_and_saveexec_b64 s[6:7], vcc
	s_cbranch_execz .LBB150_1095
; %bb.1094:
	ds_read_b64 v[6:7], v1 offset:8192
	ds_read_b64 v[8:9], v5 offset:128
	s_waitcnt lgkmcnt(0)
	v_mul_f32_e32 v10, v9, v7
	v_mul_f32_e32 v7, v8, v7
	v_fma_f32 v8, v8, v6, -v10
	v_fmac_f32_e32 v7, v9, v6
	v_add_f32_e32 v3, v3, v8
	v_add_f32_e32 v4, v4, v7
.LBB150_1095:
	s_or_b64 exec, exec, s[6:7]
	v_add_u32_e32 v6, 32, v2
	v_cmp_ge_u32_e32 vcc, v0, v6
	s_and_saveexec_b64 s[6:7], vcc
	s_cbranch_execz .LBB150_1097
; %bb.1096:
	ds_read_b64 v[6:7], v1 offset:16384
	ds_read_b64 v[8:9], v5 offset:256
	s_waitcnt lgkmcnt(0)
	v_mul_f32_e32 v10, v9, v7
	v_mul_f32_e32 v7, v8, v7
	v_fma_f32 v8, v8, v6, -v10
	v_fmac_f32_e32 v7, v9, v6
	v_add_f32_e32 v3, v3, v8
	v_add_f32_e32 v4, v4, v7
.LBB150_1097:
	s_or_b64 exec, exec, s[6:7]
	v_add_u32_e32 v2, 48, v2
	v_add_u32_e32 v6, 0x8000, v1
	v_cmp_ge_u32_e32 vcc, v0, v2
	s_and_saveexec_b64 s[6:7], vcc
	s_cbranch_execz .LBB150_1099
; %bb.1098:
	ds_read_b64 v[1:2], v1 offset:24576
	ds_read_b64 v[7:8], v5 offset:384
	s_waitcnt lgkmcnt(0)
	v_mul_f32_e32 v5, v8, v2
	v_mul_f32_e32 v2, v7, v2
	v_fma_f32 v5, v7, v1, -v5
	v_fmac_f32_e32 v2, v8, v1
	v_add_f32_e32 v3, v3, v5
	v_add_f32_e32 v4, v4, v2
.LBB150_1099:
	s_or_b64 exec, exec, s[6:7]
	s_mov_b64 s[8:9], 0
	s_mov_b64 s[6:7], 0
	ds_write_b64 v6, v[3:4]
	s_waitcnt lgkmcnt(0)
	s_barrier
                                        ; implicit-def: $vgpr5
                                        ; implicit-def: $vgpr6
                                        ; implicit-def: $vgpr1_vgpr2
	s_and_saveexec_b64 s[10:11], s[2:3]
	s_cbranch_execz .LBB150_1114
; %bb.1100:
	v_lshlrev_b32_e32 v18, 3, v0
	ds_read2st64_b64 v[5:8], v18 offset0:65 offset1:66
	ds_read2st64_b64 v[13:16], v18 offset0:67 offset1:68
	ds_read_b64 v[9:10], v18 offset:40448
	s_mov_b64 s[6:7], exec
	s_waitcnt lgkmcnt(2)
	v_add_f32_e32 v1, v3, v5
	v_add_f32_e32 v2, v4, v6
	;; [unrolled: 1-line block ×4, first 2 shown]
	ds_read2st64_b64 v[1:4], v18 offset0:69 offset1:70
	s_waitcnt lgkmcnt(2)
	v_add_f32_e32 v5, v5, v13
	v_add_f32_e32 v6, v6, v14
	;; [unrolled: 1-line block ×4, first 2 shown]
	s_waitcnt lgkmcnt(0)
	v_add_f32_e32 v1, v5, v1
	ds_read2st64_b64 v[5:8], v18 offset0:71 offset1:72
	v_add_f32_e32 v2, v13, v2
	v_add_f32_e32 v13, v1, v3
	;; [unrolled: 1-line block ×3, first 2 shown]
	ds_read2st64_b64 v[1:4], v18 offset0:73 offset1:74
	s_waitcnt lgkmcnt(1)
	v_add_f32_e32 v5, v13, v5
	v_add_f32_e32 v6, v14, v6
	;; [unrolled: 1-line block ×4, first 2 shown]
	s_waitcnt lgkmcnt(0)
	v_add_f32_e32 v1, v5, v1
	ds_read2st64_b64 v[5:8], v18 offset0:75 offset1:76
	v_add_f32_e32 v2, v13, v2
	v_add_f32_e32 v1, v1, v3
	;; [unrolled: 1-line block ×3, first 2 shown]
	ds_read2st64_b64 v[13:16], v18 offset0:77 offset1:78
	s_waitcnt lgkmcnt(1)
	v_add_f32_e32 v1, v1, v5
	v_add_f32_e32 v2, v2, v6
	v_add_u32_e32 v5, s33, v17
	v_add_f32_e32 v3, v1, v7
	v_add_f32_e32 v4, v2, v8
	v_mad_u64_u32 v[1:2], s[12:13], s26, v5, 0
	s_waitcnt lgkmcnt(0)
	v_add_f32_e32 v3, v3, v13
	v_add_f32_e32 v6, v3, v15
	v_mad_u64_u32 v[2:3], s[12:13], s27, v5, v[2:3]
	v_add_f32_e32 v4, v4, v14
	v_add_f32_e32 v3, v4, v16
	;; [unrolled: 1-line block ×4, first 2 shown]
	s_or_b64 exec, exec, s[10:11]
	s_and_b64 vcc, exec, s[8:9]
	s_cbranch_vccnz .LBB150_1102
	s_branch .LBB150_1115
.LBB150_1101:
	s_mov_b64 s[6:7], 0
                                        ; implicit-def: $vgpr5
                                        ; implicit-def: $vgpr6
                                        ; implicit-def: $vgpr1_vgpr2
	s_cbranch_execz .LBB150_1115
.LBB150_1102:
	v_mul_u32_u24_e32 v1, 0x208, v0
	v_lshlrev_b32_e32 v2, 9, v0
	v_sub_u32_e32 v2, v1, v2
	s_mov_b32 s10, 0
	v_mov_b32_e32 v3, 0
	v_mov_b32_e32 v4, v0
	s_branch .LBB150_1104
.LBB150_1103:                           ;   in Loop: Header=BB150_1104 Depth=1
	s_or_b64 exec, exec, s[8:9]
	s_add_i32 s10, s10, 2
	v_add_u32_e32 v2, 0x400, v2
	s_cmp_lg_u32 s10, 64
	v_add_u32_e32 v4, -2, v4
	s_barrier
	s_cbranch_scc0 .LBB150_1112
.LBB150_1104:                           ; =>This Inner Loop Header: Depth=1
	v_cmp_eq_u32_e32 vcc, 0, v4
	s_and_b64 s[12:13], s[2:3], vcc
	s_and_saveexec_b64 s[8:9], s[12:13]
	s_cbranch_execz .LBB150_1106
; %bb.1105:                             ;   in Loop: Header=BB150_1104 Depth=1
	ds_read_b64 v[5:6], v1
	s_waitcnt lgkmcnt(0)
	v_mul_f32_e32 v8, v12, v6
	v_mul_f32_e32 v7, v11, v6
	v_fma_f32 v6, v11, v5, -v8
	v_fmac_f32_e32 v7, v12, v5
	v_mov_b32_e32 v11, v6
	v_mov_b32_e32 v12, v7
	ds_write_b64 v3, v[6:7] offset:41472
.LBB150_1106:                           ;   in Loop: Header=BB150_1104 Depth=1
	s_or_b64 exec, exec, s[8:9]
	v_cmp_lt_u32_e32 vcc, s10, v0
	s_and_b64 s[12:13], s[2:3], vcc
	s_waitcnt lgkmcnt(0)
	s_barrier
	s_and_saveexec_b64 s[8:9], s[12:13]
	s_cbranch_execz .LBB150_1108
; %bb.1107:                             ;   in Loop: Header=BB150_1104 Depth=1
	ds_read_b64 v[5:6], v2
	ds_read_b64 v[7:8], v3 offset:41472
	s_waitcnt lgkmcnt(0)
	v_mul_f32_e32 v9, v8, v6
	v_mul_f32_e32 v6, v7, v6
	v_fma_f32 v7, v7, v5, -v9
	v_fmac_f32_e32 v6, v8, v5
	v_add_f32_e32 v11, v11, v7
	v_add_f32_e32 v12, v12, v6
.LBB150_1108:                           ;   in Loop: Header=BB150_1104 Depth=1
	s_or_b64 exec, exec, s[8:9]
	s_or_b32 s11, s10, 1
	v_cmp_eq_u32_e32 vcc, s11, v0
	s_and_b64 s[12:13], s[2:3], vcc
	s_barrier
	s_and_saveexec_b64 s[8:9], s[12:13]
	s_cbranch_execz .LBB150_1110
; %bb.1109:                             ;   in Loop: Header=BB150_1104 Depth=1
	ds_read_b64 v[5:6], v1
	s_waitcnt lgkmcnt(0)
	v_mul_f32_e32 v8, v12, v6
	v_mul_f32_e32 v7, v11, v6
	v_fma_f32 v6, v11, v5, -v8
	v_fmac_f32_e32 v7, v12, v5
	v_mov_b32_e32 v11, v6
	v_mov_b32_e32 v12, v7
	ds_write_b64 v3, v[6:7] offset:41472
.LBB150_1110:                           ;   in Loop: Header=BB150_1104 Depth=1
	s_or_b64 exec, exec, s[8:9]
	v_cmp_lt_u32_e32 vcc, s11, v0
	s_and_b64 s[12:13], s[2:3], vcc
	s_waitcnt lgkmcnt(0)
	s_barrier
	s_and_saveexec_b64 s[8:9], s[12:13]
	s_cbranch_execz .LBB150_1103
; %bb.1111:                             ;   in Loop: Header=BB150_1104 Depth=1
	ds_read_b64 v[5:6], v2 offset:512
	ds_read_b64 v[7:8], v3 offset:41472
	s_waitcnt lgkmcnt(0)
	v_mul_f32_e32 v9, v8, v6
	v_mul_f32_e32 v6, v7, v6
	v_fma_f32 v7, v7, v5, -v9
	v_fmac_f32_e32 v6, v8, v5
	v_add_f32_e32 v11, v11, v7
	v_add_f32_e32 v12, v12, v6
	s_branch .LBB150_1103
.LBB150_1112:
	s_and_b64 vcc, exec, s[4:5]
	s_cbranch_vccz .LBB150_1116
; %bb.1113:
	s_and_b64 s[4:5], s[2:3], exec
	s_cbranch_execz .LBB150_1117
	s_branch .LBB150_1118
.LBB150_1114:
	s_or_b64 exec, exec, s[10:11]
	s_and_b64 vcc, exec, s[8:9]
	s_cbranch_vccnz .LBB150_1102
.LBB150_1115:
	v_mov_b32_e32 v12, v5
	v_mov_b32_e32 v11, v6
	s_and_saveexec_b64 s[2:3], s[6:7]
	s_cbranch_execnz .LBB150_1121
	s_branch .LBB150_1122
.LBB150_1116:
	s_mov_b64 s[4:5], 0
.LBB150_1117:
	v_cmp_gt_i32_e32 vcc, s88, v0
	s_and_b64 s[2:3], s[2:3], vcc
	s_andn2_b64 s[4:5], s[4:5], exec
	s_and_b64 s[2:3], s[2:3], exec
	s_or_b64 s[4:5], s[4:5], s[2:3]
.LBB150_1118:
                                        ; implicit-def: $vgpr1_vgpr2
	s_and_saveexec_b64 s[2:3], s[4:5]
	s_cbranch_execz .LBB150_1120
; %bb.1119:
	v_mov_b32_e32 v0, s36
	v_add_co_u32_e32 v1, vcc, s33, v17
	v_addc_co_u32_e32 v0, vcc, 0, v0, vcc
	v_mul_lo_u32 v0, v0, s26
	v_mul_lo_u32 v3, v1, s27
	v_mad_u64_u32 v[1:2], s[4:5], v1, s26, 0
	s_or_b64 s[6:7], s[6:7], exec
	v_add3_u32 v2, v2, v3, v0
.LBB150_1120:
	s_or_b64 exec, exec, s[2:3]
	s_and_saveexec_b64 s[2:3], s[6:7]
	s_cbranch_execz .LBB150_1122
.LBB150_1121:
	v_lshlrev_b64 v[0:1], 3, v[1:2]
	v_mov_b32_e32 v2, s21
	v_add_co_u32_e32 v0, vcc, s20, v0
	v_addc_co_u32_e32 v1, vcc, v2, v1, vcc
	flat_store_dwordx2 v[0:1], v[11:12]
.LBB150_1122:
	s_or_b64 exec, exec, s[2:3]
	v_cmp_eq_u32_e32 vcc, 0, v17
	s_waitcnt vmcnt(0) lgkmcnt(0)
	buffer_wbinvl1_vol
	s_barrier
	s_and_saveexec_b64 s[2:3], vcc
	s_cbranch_execz .LBB150_1124
; %bb.1123:
	s_lshl_b64 s[4:5], s[28:29], 2
	s_add_u32 s0, s0, s4
	s_addc_u32 s1, s1, s5
	v_mov_b32_e32 v0, 0
	global_load_dword v1, v0, s[0:1]
	s_waitcnt vmcnt(0)
	v_add_u32_e32 v1, 1, v1
	global_store_dword v0, v1, s[0:1]
.LBB150_1124:
	s_or_b64 exec, exec, s[2:3]
	s_waitcnt vmcnt(0)
	buffer_wbinvl1_vol
	s_endpgm
.LBB150_1125:
	ds_read_b64 v[22:23], v20 offset:31680
	ds_read_b64 v[24:25], v21 offset:31208
	s_waitcnt lgkmcnt(0)
	v_mul_f32_e32 v26, v25, v23
	v_mul_f32_e32 v23, v24, v23
	v_fma_f32 v24, v24, v22, -v26
	v_fmac_f32_e32 v23, v25, v22
	v_add_f32_e32 v11, v11, v24
	v_add_f32_e32 v12, v12, v23
	s_or_b64 exec, exec, s[14:15]
	v_cmp_gt_u32_e64 s[10:11], 8, v16
	s_and_saveexec_b64 s[14:15], s[10:11]
	s_cbranch_execz .LBB150_149
.LBB150_1126:
	ds_read_b64 v[22:23], v20 offset:32192
	ds_read_b64 v[20:21], v21 offset:31216
	s_waitcnt lgkmcnt(0)
	v_mul_f32_e32 v24, v21, v23
	v_mul_f32_e32 v23, v20, v23
	v_fma_f32 v20, v20, v22, -v24
	v_fmac_f32_e32 v23, v21, v22
	v_add_f32_e32 v11, v11, v20
	v_add_f32_e32 v12, v12, v23
	s_or_b64 exec, exec, s[14:15]
	v_cmp_gt_u32_e64 s[10:11], 4, v16
	s_and_saveexec_b64 s[14:15], s[10:11]
	s_cbranch_execnz .LBB150_150
	s_branch .LBB150_151
.LBB150_1127:
	ds_read_b64 v[25:26], v23 offset:29568
	ds_read_b64 v[27:28], v24 offset:29128
	s_waitcnt lgkmcnt(0)
	v_mul_f32_e32 v29, v28, v26
	v_mul_f32_e32 v26, v27, v26
	v_fma_f32 v27, v27, v25, -v29
	v_fmac_f32_e32 v26, v28, v25
	v_add_f32_e32 v11, v11, v27
	v_add_f32_e32 v12, v12, v26
	s_or_b64 exec, exec, s[16:17]
	v_cmp_gt_u32_e64 s[14:15], 48, v16
	s_and_saveexec_b64 s[16:17], s[14:15]
	s_cbranch_execz .LBB150_191
.LBB150_1128:
	ds_read_b64 v[25:26], v23 offset:30080
	ds_read_b64 v[27:28], v24 offset:29136
	s_waitcnt lgkmcnt(0)
	v_mul_f32_e32 v29, v28, v26
	v_mul_f32_e32 v26, v27, v26
	v_fma_f32 v27, v27, v25, -v29
	v_fmac_f32_e32 v26, v28, v25
	v_add_f32_e32 v11, v11, v27
	v_add_f32_e32 v12, v12, v26
	s_or_b64 exec, exec, s[16:17]
	v_cmp_gt_u32_e64 s[14:15], 40, v16
	s_and_saveexec_b64 s[16:17], s[14:15]
	s_cbranch_execz .LBB150_192
.LBB150_1129:
	ds_read_b64 v[25:26], v23 offset:30592
	ds_read_b64 v[27:28], v24 offset:29144
	s_waitcnt lgkmcnt(0)
	v_mul_f32_e32 v29, v28, v26
	v_mul_f32_e32 v26, v27, v26
	v_fma_f32 v27, v27, v25, -v29
	v_fmac_f32_e32 v26, v28, v25
	v_add_f32_e32 v11, v11, v27
	v_add_f32_e32 v12, v12, v26
	s_or_b64 exec, exec, s[16:17]
	v_cmp_gt_u32_e64 s[14:15], 32, v16
	s_and_saveexec_b64 s[16:17], s[14:15]
	s_cbranch_execz .LBB150_193
.LBB150_1130:
	ds_read_b64 v[25:26], v23 offset:31104
	ds_read_b64 v[27:28], v24 offset:29152
	s_waitcnt lgkmcnt(0)
	v_mul_f32_e32 v29, v28, v26
	v_mul_f32_e32 v26, v27, v26
	v_fma_f32 v27, v27, v25, -v29
	v_fmac_f32_e32 v26, v28, v25
	v_add_f32_e32 v11, v11, v27
	v_add_f32_e32 v12, v12, v26
	s_or_b64 exec, exec, s[16:17]
	v_cmp_gt_u32_e64 s[14:15], 24, v16
	s_and_saveexec_b64 s[16:17], s[14:15]
	s_cbranch_execz .LBB150_194
.LBB150_1131:
	ds_read_b64 v[25:26], v23 offset:31616
	ds_read_b64 v[27:28], v24 offset:29160
	s_waitcnt lgkmcnt(0)
	v_mul_f32_e32 v29, v28, v26
	v_mul_f32_e32 v26, v27, v26
	v_fma_f32 v27, v27, v25, -v29
	v_fmac_f32_e32 v26, v28, v25
	v_add_f32_e32 v11, v11, v27
	v_add_f32_e32 v12, v12, v26
	s_or_b64 exec, exec, s[16:17]
	s_and_saveexec_b64 s[14:15], s[18:19]
	s_cbranch_execz .LBB150_195
.LBB150_1132:
	ds_read_b64 v[25:26], v23 offset:32128
	ds_read_b64 v[23:24], v24 offset:29168
	s_waitcnt lgkmcnt(0)
	v_mul_f32_e32 v27, v24, v26
	v_mul_f32_e32 v26, v23, v26
	v_fma_f32 v23, v23, v25, -v27
	v_fmac_f32_e32 v26, v24, v25
	v_add_f32_e32 v11, v11, v23
	v_add_f32_e32 v12, v12, v26
	s_or_b64 exec, exec, s[14:15]
	v_cmp_gt_u32_e64 s[14:15], 8, v16
	s_and_saveexec_b64 s[16:17], s[14:15]
	s_cbranch_execnz .LBB150_196
	s_branch .LBB150_197
.LBB150_1133:
	ds_read_b64 v[25:26], v23 offset:27520
	ds_read_b64 v[27:28], v24 offset:27048
	s_waitcnt lgkmcnt(0)
	v_mul_f32_e32 v29, v28, v26
	v_mul_f32_e32 v26, v27, v26
	v_fma_f32 v27, v27, v25, -v29
	v_fmac_f32_e32 v26, v28, v25
	v_add_f32_e32 v11, v11, v27
	v_add_f32_e32 v12, v12, v26
	s_or_b64 exec, exec, s[14:15]
	v_cmp_gt_u32_e64 s[10:11], 8, v16
	s_and_saveexec_b64 s[14:15], s[10:11]
	s_cbranch_execz .LBB150_253
.LBB150_1134:
	ds_read_b64 v[25:26], v23 offset:28032
	ds_read_b64 v[23:24], v24 offset:27056
	s_waitcnt lgkmcnt(0)
	v_mul_f32_e32 v27, v24, v26
	v_mul_f32_e32 v26, v23, v26
	v_fma_f32 v23, v23, v25, -v27
	v_fmac_f32_e32 v26, v24, v25
	v_add_f32_e32 v11, v11, v23
	v_add_f32_e32 v12, v12, v26
	s_or_b64 exec, exec, s[14:15]
	v_cmp_gt_u32_e64 s[10:11], 4, v16
	s_and_saveexec_b64 s[14:15], s[10:11]
	s_cbranch_execnz .LBB150_254
	s_branch .LBB150_255
.LBB150_1135:
	ds_read_b64 v[28:29], v26 offset:30464
	ds_read_b64 v[30:31], v27 offset:25048
	s_waitcnt lgkmcnt(0)
	v_mul_f32_e32 v32, v31, v29
	v_mul_f32_e32 v29, v30, v29
	v_fma_f32 v30, v30, v28, -v32
	v_fmac_f32_e32 v29, v31, v28
	v_add_f32_e32 v11, v11, v30
	v_add_f32_e32 v12, v12, v29
	s_or_b64 exec, exec, s[20:21]
	s_and_saveexec_b64 s[16:17], s[8:9]
	s_cbranch_execz .LBB150_315
.LBB150_1136:
	ds_read_b64 v[28:29], v26 offset:30976
	ds_read_b64 v[30:31], v27 offset:25056
	s_waitcnt lgkmcnt(0)
	v_mul_f32_e32 v32, v31, v29
	v_mul_f32_e32 v29, v30, v29
	v_fma_f32 v30, v30, v28, -v32
	v_fmac_f32_e32 v29, v31, v28
	v_add_f32_e32 v11, v11, v30
	v_add_f32_e32 v12, v12, v29
	s_or_b64 exec, exec, s[16:17]
	v_cmp_gt_u32_e64 s[16:17], 48, v16
	s_and_saveexec_b64 s[20:21], s[16:17]
	s_cbranch_execz .LBB150_316
.LBB150_1137:
	ds_read_b64 v[28:29], v26 offset:31488
	ds_read_b64 v[30:31], v27 offset:25064
	s_waitcnt lgkmcnt(0)
	v_mul_f32_e32 v32, v31, v29
	v_mul_f32_e32 v29, v30, v29
	v_fma_f32 v30, v30, v28, -v32
	v_fmac_f32_e32 v29, v31, v28
	v_add_f32_e32 v11, v11, v30
	v_add_f32_e32 v12, v12, v29
	s_or_b64 exec, exec, s[20:21]
	v_cmp_gt_u32_e64 s[16:17], 32, v16
	s_and_saveexec_b64 s[20:21], s[16:17]
	s_cbranch_execz .LBB150_317
.LBB150_1138:
	ds_read_b64 v[28:29], v26 offset:32000
	ds_read_b64 v[26:27], v27 offset:25072
	s_waitcnt lgkmcnt(0)
	v_mul_f32_e32 v30, v27, v29
	v_mul_f32_e32 v29, v26, v29
	v_fma_f32 v26, v26, v28, -v30
	v_fmac_f32_e32 v29, v27, v28
	v_add_f32_e32 v11, v11, v26
	v_add_f32_e32 v12, v12, v29
	s_or_b64 exec, exec, s[20:21]
	v_cmp_gt_u32_e64 s[16:17], 16, v16
	s_and_saveexec_b64 s[20:21], s[16:17]
	s_cbranch_execnz .LBB150_318
	s_branch .LBB150_319
.LBB150_1139:
	ds_read_b64 v[28:29], v26 offset:23360
	ds_read_b64 v[30:31], v27 offset:22888
	s_waitcnt lgkmcnt(0)
	v_mul_f32_e32 v32, v31, v29
	v_mul_f32_e32 v29, v30, v29
	v_fma_f32 v30, v30, v28, -v32
	v_fmac_f32_e32 v29, v31, v28
	v_add_f32_e32 v11, v11, v30
	v_add_f32_e32 v12, v12, v29
	s_or_b64 exec, exec, s[20:21]
	v_cmp_gt_u32_e64 s[14:15], 8, v16
	s_and_saveexec_b64 s[20:21], s[14:15]
	s_cbranch_execz .LBB150_407
.LBB150_1140:
	ds_read_b64 v[28:29], v26 offset:23872
	ds_read_b64 v[26:27], v27 offset:22896
	s_waitcnt lgkmcnt(0)
	v_mul_f32_e32 v30, v27, v29
	v_mul_f32_e32 v29, v26, v29
	v_fma_f32 v26, v26, v28, -v30
	v_fmac_f32_e32 v29, v27, v28
	v_add_f32_e32 v11, v11, v26
	v_add_f32_e32 v12, v12, v29
	s_or_b64 exec, exec, s[20:21]
	v_cmp_gt_u32_e64 s[14:15], 4, v16
	s_and_saveexec_b64 s[20:21], s[14:15]
	s_cbranch_execnz .LBB150_408
	s_branch .LBB150_409
.LBB150_1141:
	ds_read_b64 v[28:29], v26 offset:21248
	ds_read_b64 v[30:31], v27 offset:20808
	s_waitcnt lgkmcnt(0)
	v_mul_f32_e32 v32, v31, v29
	v_mul_f32_e32 v29, v30, v29
	v_fma_f32 v30, v30, v28, -v32
	v_fmac_f32_e32 v29, v31, v28
	v_add_f32_e32 v11, v11, v30
	v_add_f32_e32 v12, v12, v29
	s_or_b64 exec, exec, s[20:21]
	v_cmp_gt_u32_e64 s[14:15], 48, v16
	s_and_saveexec_b64 s[20:21], s[14:15]
	s_cbranch_execz .LBB150_449
.LBB150_1142:
	ds_read_b64 v[28:29], v26 offset:21760
	ds_read_b64 v[30:31], v27 offset:20816
	s_waitcnt lgkmcnt(0)
	v_mul_f32_e32 v32, v31, v29
	v_mul_f32_e32 v29, v30, v29
	v_fma_f32 v30, v30, v28, -v32
	v_fmac_f32_e32 v29, v31, v28
	v_add_f32_e32 v11, v11, v30
	v_add_f32_e32 v12, v12, v29
	s_or_b64 exec, exec, s[20:21]
	v_cmp_gt_u32_e64 s[14:15], 40, v16
	s_and_saveexec_b64 s[20:21], s[14:15]
	s_cbranch_execz .LBB150_450
.LBB150_1143:
	ds_read_b64 v[28:29], v26 offset:22272
	ds_read_b64 v[30:31], v27 offset:20824
	s_waitcnt lgkmcnt(0)
	v_mul_f32_e32 v32, v31, v29
	v_mul_f32_e32 v29, v30, v29
	v_fma_f32 v30, v30, v28, -v32
	v_fmac_f32_e32 v29, v31, v28
	v_add_f32_e32 v11, v11, v30
	v_add_f32_e32 v12, v12, v29
	s_or_b64 exec, exec, s[20:21]
	v_cmp_gt_u32_e64 s[14:15], 32, v16
	s_and_saveexec_b64 s[20:21], s[14:15]
	s_cbranch_execz .LBB150_451
.LBB150_1144:
	ds_read_b64 v[28:29], v26 offset:22784
	ds_read_b64 v[30:31], v27 offset:20832
	s_waitcnt lgkmcnt(0)
	v_mul_f32_e32 v32, v31, v29
	v_mul_f32_e32 v29, v30, v29
	v_fma_f32 v30, v30, v28, -v32
	v_fmac_f32_e32 v29, v31, v28
	v_add_f32_e32 v11, v11, v30
	v_add_f32_e32 v12, v12, v29
	s_or_b64 exec, exec, s[20:21]
	v_cmp_gt_u32_e64 s[14:15], 24, v16
	s_and_saveexec_b64 s[20:21], s[14:15]
	s_cbranch_execz .LBB150_452
.LBB150_1145:
	ds_read_b64 v[28:29], v26 offset:23296
	ds_read_b64 v[30:31], v27 offset:20840
	s_waitcnt lgkmcnt(0)
	v_mul_f32_e32 v32, v31, v29
	v_mul_f32_e32 v29, v30, v29
	v_fma_f32 v30, v30, v28, -v32
	v_fmac_f32_e32 v29, v31, v28
	v_add_f32_e32 v11, v11, v30
	v_add_f32_e32 v12, v12, v29
	s_or_b64 exec, exec, s[20:21]
	s_and_saveexec_b64 s[14:15], s[18:19]
	s_cbranch_execz .LBB150_453
.LBB150_1146:
	ds_read_b64 v[28:29], v26 offset:23808
	ds_read_b64 v[26:27], v27 offset:20848
	s_waitcnt lgkmcnt(0)
	v_mul_f32_e32 v30, v27, v29
	v_mul_f32_e32 v29, v26, v29
	v_fma_f32 v26, v26, v28, -v30
	v_fmac_f32_e32 v29, v27, v28
	v_add_f32_e32 v11, v11, v26
	v_add_f32_e32 v12, v12, v29
	s_or_b64 exec, exec, s[14:15]
	v_cmp_gt_u32_e64 s[14:15], 8, v16
	s_and_saveexec_b64 s[20:21], s[14:15]
	s_cbranch_execnz .LBB150_454
	s_branch .LBB150_455
.LBB150_1147:
	ds_read_b64 v[28:29], v26 offset:19200
	ds_read_b64 v[30:31], v27 offset:18728
	s_waitcnt lgkmcnt(0)
	v_mul_f32_e32 v32, v31, v29
	v_mul_f32_e32 v29, v30, v29
	v_fma_f32 v30, v30, v28, -v32
	v_fmac_f32_e32 v29, v31, v28
	v_add_f32_e32 v11, v11, v30
	v_add_f32_e32 v12, v12, v29
	s_or_b64 exec, exec, s[20:21]
	v_cmp_gt_u32_e64 s[14:15], 8, v16
	s_and_saveexec_b64 s[20:21], s[14:15]
	s_cbranch_execz .LBB150_511
.LBB150_1148:
	ds_read_b64 v[28:29], v26 offset:19712
	ds_read_b64 v[26:27], v27 offset:18736
	s_waitcnt lgkmcnt(0)
	v_mul_f32_e32 v30, v27, v29
	v_mul_f32_e32 v29, v26, v29
	v_fma_f32 v26, v26, v28, -v30
	v_fmac_f32_e32 v29, v27, v28
	v_add_f32_e32 v11, v11, v26
	v_add_f32_e32 v12, v12, v29
	s_or_b64 exec, exec, s[20:21]
	v_cmp_gt_u32_e64 s[14:15], 4, v16
	s_and_saveexec_b64 s[20:21], s[14:15]
	s_cbranch_execnz .LBB150_512
	s_branch .LBB150_513
.LBB150_1149:
	ds_read_b64 v[31:32], v29 offset:31232
	ds_read_b64 v[33:34], v30 offset:16872
	s_waitcnt lgkmcnt(0)
	v_mul_f32_e32 v35, v34, v32
	v_mul_f32_e32 v32, v33, v32
	v_fma_f32 v33, v33, v31, -v35
	v_fmac_f32_e32 v32, v34, v31
	v_add_f32_e32 v11, v11, v33
	v_add_f32_e32 v12, v12, v32
	s_or_b64 exec, exec, s[36:37]
	s_and_saveexec_b64 s[20:21], s[8:9]
	s_cbranch_execz .LBB150_609
.LBB150_1150:
	ds_read_b64 v[31:32], v29 offset:31744
	ds_read_b64 v[33:34], v30 offset:16880
	s_waitcnt lgkmcnt(0)
	v_mul_f32_e32 v35, v34, v32
	v_mul_f32_e32 v32, v33, v32
	v_fma_f32 v33, v33, v31, -v35
	v_fmac_f32_e32 v32, v34, v31
	v_add_f32_e32 v11, v11, v33
	v_add_f32_e32 v12, v12, v32
	s_or_b64 exec, exec, s[20:21]
	v_cmp_gt_u32_e64 s[20:21], 32, v16
	s_and_saveexec_b64 s[36:37], s[20:21]
	s_cbranch_execnz .LBB150_610
	s_branch .LBB150_611
.LBB150_1151:
	ds_read_b64 v[28:29], v26 offset:15040
	ds_read_b64 v[30:31], v27 offset:14568
	s_waitcnt lgkmcnt(0)
	v_mul_f32_e32 v32, v31, v29
	v_mul_f32_e32 v29, v30, v29
	v_fma_f32 v30, v30, v28, -v32
	v_fmac_f32_e32 v29, v31, v28
	v_add_f32_e32 v11, v11, v30
	v_add_f32_e32 v12, v12, v29
	s_or_b64 exec, exec, s[16:17]
	v_cmp_gt_u32_e64 s[12:13], 8, v16
	s_and_saveexec_b64 s[16:17], s[12:13]
	s_cbranch_execz .LBB150_647
.LBB150_1152:
	ds_read_b64 v[28:29], v26 offset:15552
	ds_read_b64 v[26:27], v27 offset:14576
	s_waitcnt lgkmcnt(0)
	v_mul_f32_e32 v30, v27, v29
	v_mul_f32_e32 v29, v26, v29
	v_fma_f32 v26, v26, v28, -v30
	v_fmac_f32_e32 v29, v27, v28
	v_add_f32_e32 v11, v11, v26
	v_add_f32_e32 v12, v12, v29
	s_or_b64 exec, exec, s[16:17]
	v_cmp_gt_u32_e64 s[12:13], 4, v16
	s_and_saveexec_b64 s[16:17], s[12:13]
	s_cbranch_execnz .LBB150_648
	s_branch .LBB150_649
.LBB150_1153:
	ds_read_b64 v[28:29], v26 offset:12928
	ds_read_b64 v[30:31], v27 offset:12488
	s_waitcnt lgkmcnt(0)
	v_mul_f32_e32 v32, v31, v29
	v_mul_f32_e32 v29, v30, v29
	v_fma_f32 v30, v30, v28, -v32
	v_fmac_f32_e32 v29, v31, v28
	v_add_f32_e32 v11, v11, v30
	v_add_f32_e32 v12, v12, v29
	s_or_b64 exec, exec, s[16:17]
	v_cmp_gt_u32_e64 s[12:13], 48, v16
	s_and_saveexec_b64 s[16:17], s[12:13]
	s_cbranch_execz .LBB150_689
.LBB150_1154:
	ds_read_b64 v[28:29], v26 offset:13440
	ds_read_b64 v[30:31], v27 offset:12496
	s_waitcnt lgkmcnt(0)
	v_mul_f32_e32 v32, v31, v29
	v_mul_f32_e32 v29, v30, v29
	v_fma_f32 v30, v30, v28, -v32
	v_fmac_f32_e32 v29, v31, v28
	v_add_f32_e32 v11, v11, v30
	v_add_f32_e32 v12, v12, v29
	s_or_b64 exec, exec, s[16:17]
	v_cmp_gt_u32_e64 s[12:13], 40, v16
	s_and_saveexec_b64 s[16:17], s[12:13]
	s_cbranch_execz .LBB150_690
.LBB150_1155:
	ds_read_b64 v[28:29], v26 offset:13952
	ds_read_b64 v[30:31], v27 offset:12504
	s_waitcnt lgkmcnt(0)
	v_mul_f32_e32 v32, v31, v29
	v_mul_f32_e32 v29, v30, v29
	v_fma_f32 v30, v30, v28, -v32
	v_fmac_f32_e32 v29, v31, v28
	v_add_f32_e32 v11, v11, v30
	v_add_f32_e32 v12, v12, v29
	s_or_b64 exec, exec, s[16:17]
	v_cmp_gt_u32_e64 s[12:13], 32, v16
	s_and_saveexec_b64 s[16:17], s[12:13]
	s_cbranch_execz .LBB150_691
.LBB150_1156:
	ds_read_b64 v[28:29], v26 offset:14464
	ds_read_b64 v[30:31], v27 offset:12512
	s_waitcnt lgkmcnt(0)
	v_mul_f32_e32 v32, v31, v29
	v_mul_f32_e32 v29, v30, v29
	v_fma_f32 v30, v30, v28, -v32
	v_fmac_f32_e32 v29, v31, v28
	v_add_f32_e32 v11, v11, v30
	v_add_f32_e32 v12, v12, v29
	s_or_b64 exec, exec, s[16:17]
	v_cmp_gt_u32_e64 s[12:13], 24, v16
	s_and_saveexec_b64 s[16:17], s[12:13]
	s_cbranch_execz .LBB150_692
.LBB150_1157:
	ds_read_b64 v[28:29], v26 offset:14976
	ds_read_b64 v[30:31], v27 offset:12520
	s_waitcnt lgkmcnt(0)
	v_mul_f32_e32 v32, v31, v29
	v_mul_f32_e32 v29, v30, v29
	v_fma_f32 v30, v30, v28, -v32
	v_fmac_f32_e32 v29, v31, v28
	v_add_f32_e32 v11, v11, v30
	v_add_f32_e32 v12, v12, v29
	s_or_b64 exec, exec, s[16:17]
	s_and_saveexec_b64 s[12:13], s[18:19]
	s_cbranch_execz .LBB150_693
.LBB150_1158:
	ds_read_b64 v[28:29], v26 offset:15488
	ds_read_b64 v[26:27], v27 offset:12528
	s_waitcnt lgkmcnt(0)
	v_mul_f32_e32 v30, v27, v29
	v_mul_f32_e32 v29, v26, v29
	v_fma_f32 v26, v26, v28, -v30
	v_fmac_f32_e32 v29, v27, v28
	v_add_f32_e32 v11, v11, v26
	v_add_f32_e32 v12, v12, v29
	s_or_b64 exec, exec, s[12:13]
	v_cmp_gt_u32_e64 s[12:13], 8, v16
	s_and_saveexec_b64 s[16:17], s[12:13]
	s_cbranch_execnz .LBB150_694
	s_branch .LBB150_695
.LBB150_1159:
	ds_read_b64 v[28:29], v26 offset:10880
	ds_read_b64 v[30:31], v27 offset:10408
	s_waitcnt lgkmcnt(0)
	v_mul_f32_e32 v32, v31, v29
	v_mul_f32_e32 v29, v30, v29
	v_fma_f32 v30, v30, v28, -v32
	v_fmac_f32_e32 v29, v31, v28
	v_add_f32_e32 v11, v11, v30
	v_add_f32_e32 v12, v12, v29
	s_or_b64 exec, exec, s[16:17]
	v_cmp_gt_u32_e64 s[12:13], 8, v16
	s_and_saveexec_b64 s[16:17], s[12:13]
	s_cbranch_execz .LBB150_751
.LBB150_1160:
	ds_read_b64 v[28:29], v26 offset:11392
	ds_read_b64 v[26:27], v27 offset:10416
	s_waitcnt lgkmcnt(0)
	v_mul_f32_e32 v30, v27, v29
	v_mul_f32_e32 v29, v26, v29
	v_fma_f32 v26, v26, v28, -v30
	v_fmac_f32_e32 v29, v27, v28
	v_add_f32_e32 v11, v11, v26
	v_add_f32_e32 v12, v12, v29
	s_or_b64 exec, exec, s[16:17]
	v_cmp_gt_u32_e64 s[12:13], 4, v16
	s_and_saveexec_b64 s[16:17], s[12:13]
	s_cbranch_execnz .LBB150_752
	s_branch .LBB150_753
.LBB150_1161:
	ds_read_b64 v[28:29], v26 offset:13824
	ds_read_b64 v[30:31], v27 offset:8408
	s_waitcnt lgkmcnt(0)
	v_mul_f32_e32 v32, v31, v29
	v_mul_f32_e32 v29, v30, v29
	v_fma_f32 v30, v30, v28, -v32
	v_fmac_f32_e32 v29, v31, v28
	v_add_f32_e32 v11, v11, v30
	v_add_f32_e32 v12, v12, v29
	s_or_b64 exec, exec, s[16:17]
	s_and_saveexec_b64 s[12:13], s[8:9]
	s_cbranch_execz .LBB150_813
.LBB150_1162:
	ds_read_b64 v[28:29], v26 offset:14336
	ds_read_b64 v[30:31], v27 offset:8416
	s_waitcnt lgkmcnt(0)
	v_mul_f32_e32 v32, v31, v29
	v_mul_f32_e32 v29, v30, v29
	v_fma_f32 v30, v30, v28, -v32
	v_fmac_f32_e32 v29, v31, v28
	v_add_f32_e32 v11, v11, v30
	v_add_f32_e32 v12, v12, v29
	s_or_b64 exec, exec, s[12:13]
	v_cmp_gt_u32_e64 s[12:13], 48, v16
	s_and_saveexec_b64 s[16:17], s[12:13]
	s_cbranch_execz .LBB150_814
.LBB150_1163:
	ds_read_b64 v[28:29], v26 offset:14848
	ds_read_b64 v[30:31], v27 offset:8424
	s_waitcnt lgkmcnt(0)
	v_mul_f32_e32 v32, v31, v29
	v_mul_f32_e32 v29, v30, v29
	v_fma_f32 v30, v30, v28, -v32
	v_fmac_f32_e32 v29, v31, v28
	v_add_f32_e32 v11, v11, v30
	v_add_f32_e32 v12, v12, v29
	s_or_b64 exec, exec, s[16:17]
	v_cmp_gt_u32_e64 s[12:13], 32, v16
	s_and_saveexec_b64 s[16:17], s[12:13]
	s_cbranch_execz .LBB150_815
.LBB150_1164:
	ds_read_b64 v[28:29], v26 offset:15360
	ds_read_b64 v[26:27], v27 offset:8432
	s_waitcnt lgkmcnt(0)
	v_mul_f32_e32 v30, v27, v29
	v_mul_f32_e32 v29, v26, v29
	v_fma_f32 v26, v26, v28, -v30
	v_fmac_f32_e32 v29, v27, v28
	v_add_f32_e32 v11, v11, v26
	v_add_f32_e32 v12, v12, v29
	s_or_b64 exec, exec, s[16:17]
	v_cmp_gt_u32_e64 s[12:13], 16, v16
	s_and_saveexec_b64 s[16:17], s[12:13]
	s_cbranch_execnz .LBB150_816
	s_branch .LBB150_817
.LBB150_1165:
	ds_read_b64 v[25:26], v23 offset:6720
	ds_read_b64 v[27:28], v24 offset:6248
	s_waitcnt lgkmcnt(0)
	v_mul_f32_e32 v29, v28, v26
	v_mul_f32_e32 v26, v27, v26
	v_fma_f32 v27, v27, v25, -v29
	v_fmac_f32_e32 v26, v28, v25
	v_add_f32_e32 v11, v11, v27
	v_add_f32_e32 v12, v12, v26
	s_or_b64 exec, exec, s[12:13]
	v_cmp_gt_u32_e64 s[10:11], 8, v16
	s_and_saveexec_b64 s[12:13], s[10:11]
	s_cbranch_execz .LBB150_905
.LBB150_1166:
	ds_read_b64 v[25:26], v23 offset:7232
	ds_read_b64 v[23:24], v24 offset:6256
	s_waitcnt lgkmcnt(0)
	v_mul_f32_e32 v27, v24, v26
	v_mul_f32_e32 v26, v23, v26
	v_fma_f32 v23, v23, v25, -v27
	v_fmac_f32_e32 v26, v24, v25
	v_add_f32_e32 v11, v11, v23
	v_add_f32_e32 v12, v12, v26
	s_or_b64 exec, exec, s[12:13]
	v_cmp_gt_u32_e64 s[10:11], 4, v16
	s_and_saveexec_b64 s[12:13], s[10:11]
	s_cbranch_execnz .LBB150_906
	s_branch .LBB150_907
.LBB150_1167:
	ds_read_b64 v[25:26], v23 offset:4608
	ds_read_b64 v[27:28], v24 offset:4168
	s_waitcnt lgkmcnt(0)
	v_mul_f32_e32 v29, v28, v26
	v_mul_f32_e32 v26, v27, v26
	v_fma_f32 v27, v27, v25, -v29
	v_fmac_f32_e32 v26, v28, v25
	v_add_f32_e32 v11, v11, v27
	v_add_f32_e32 v12, v12, v26
	s_or_b64 exec, exec, s[12:13]
	v_cmp_gt_u32_e64 s[10:11], 48, v16
	s_and_saveexec_b64 s[12:13], s[10:11]
	s_cbranch_execz .LBB150_947
.LBB150_1168:
	ds_read_b64 v[25:26], v23 offset:5120
	ds_read_b64 v[27:28], v24 offset:4176
	s_waitcnt lgkmcnt(0)
	v_mul_f32_e32 v29, v28, v26
	v_mul_f32_e32 v26, v27, v26
	v_fma_f32 v27, v27, v25, -v29
	v_fmac_f32_e32 v26, v28, v25
	v_add_f32_e32 v11, v11, v27
	v_add_f32_e32 v12, v12, v26
	s_or_b64 exec, exec, s[12:13]
	v_cmp_gt_u32_e64 s[10:11], 40, v16
	s_and_saveexec_b64 s[12:13], s[10:11]
	s_cbranch_execz .LBB150_948
.LBB150_1169:
	ds_read_b64 v[25:26], v23 offset:5632
	ds_read_b64 v[27:28], v24 offset:4184
	s_waitcnt lgkmcnt(0)
	v_mul_f32_e32 v29, v28, v26
	v_mul_f32_e32 v26, v27, v26
	v_fma_f32 v27, v27, v25, -v29
	v_fmac_f32_e32 v26, v28, v25
	v_add_f32_e32 v11, v11, v27
	v_add_f32_e32 v12, v12, v26
	s_or_b64 exec, exec, s[12:13]
	v_cmp_gt_u32_e64 s[10:11], 32, v16
	s_and_saveexec_b64 s[12:13], s[10:11]
	s_cbranch_execz .LBB150_949
.LBB150_1170:
	ds_read_b64 v[25:26], v23 offset:6144
	ds_read_b64 v[27:28], v24 offset:4192
	s_waitcnt lgkmcnt(0)
	v_mul_f32_e32 v29, v28, v26
	v_mul_f32_e32 v26, v27, v26
	v_fma_f32 v27, v27, v25, -v29
	v_fmac_f32_e32 v26, v28, v25
	v_add_f32_e32 v11, v11, v27
	v_add_f32_e32 v12, v12, v26
	s_or_b64 exec, exec, s[12:13]
	v_cmp_gt_u32_e64 s[10:11], 24, v16
	s_and_saveexec_b64 s[12:13], s[10:11]
	s_cbranch_execz .LBB150_950
.LBB150_1171:
	ds_read_b64 v[25:26], v23 offset:6656
	ds_read_b64 v[27:28], v24 offset:4200
	s_waitcnt lgkmcnt(0)
	v_mul_f32_e32 v29, v28, v26
	v_mul_f32_e32 v26, v27, v26
	v_fma_f32 v27, v27, v25, -v29
	v_fmac_f32_e32 v26, v28, v25
	v_add_f32_e32 v11, v11, v27
	v_add_f32_e32 v12, v12, v26
	s_or_b64 exec, exec, s[12:13]
	s_and_saveexec_b64 s[10:11], s[18:19]
	s_cbranch_execz .LBB150_951
.LBB150_1172:
	ds_read_b64 v[25:26], v23 offset:7168
	ds_read_b64 v[23:24], v24 offset:4208
	s_waitcnt lgkmcnt(0)
	v_mul_f32_e32 v27, v24, v26
	v_mul_f32_e32 v26, v23, v26
	v_fma_f32 v23, v23, v25, -v27
	v_fmac_f32_e32 v26, v24, v25
	v_add_f32_e32 v11, v11, v23
	v_add_f32_e32 v12, v12, v26
	s_or_b64 exec, exec, s[10:11]
	v_cmp_gt_u32_e64 s[10:11], 8, v16
	s_and_saveexec_b64 s[12:13], s[10:11]
	s_cbranch_execnz .LBB150_952
	s_branch .LBB150_953
.LBB150_1173:
	ds_read_b64 v[22:23], v20 offset:2560
	ds_read_b64 v[24:25], v21 offset:2088
	s_waitcnt lgkmcnt(0)
	v_mul_f32_e32 v26, v25, v23
	v_mul_f32_e32 v23, v24, v23
	v_fma_f32 v24, v24, v22, -v26
	v_fmac_f32_e32 v23, v25, v22
	v_add_f32_e32 v11, v11, v24
	v_add_f32_e32 v12, v12, v23
	s_or_b64 exec, exec, s[10:11]
	v_cmp_gt_u32_e64 s[8:9], 8, v16
	s_and_saveexec_b64 s[10:11], s[8:9]
	s_cbranch_execz .LBB150_1009
.LBB150_1174:
	ds_read_b64 v[22:23], v20 offset:3072
	ds_read_b64 v[20:21], v21 offset:2096
	s_waitcnt lgkmcnt(0)
	v_mul_f32_e32 v24, v21, v23
	v_mul_f32_e32 v23, v20, v23
	v_fma_f32 v20, v20, v22, -v24
	v_fmac_f32_e32 v23, v21, v22
	v_add_f32_e32 v11, v11, v20
	v_add_f32_e32 v12, v12, v23
	s_or_b64 exec, exec, s[10:11]
	v_cmp_gt_u32_e64 s[8:9], 4, v16
	s_and_saveexec_b64 s[10:11], s[8:9]
	s_cbranch_execnz .LBB150_1010
	s_branch .LBB150_1011
	.section	.rodata,"a",@progbits
	.p2align	6, 0x0
	.amdhsa_kernel _ZL19rocblas_trsv_deviceILi64ELi16ELb0ELb1ELb1ELb0E19rocblas_complex_numIfEPKS1_PKS3_PKPS1_EviT7_lllT6_T8_lllPii
		.amdhsa_group_segment_fixed_size 41480
		.amdhsa_private_segment_fixed_size 0
		.amdhsa_kernarg_size 352
		.amdhsa_user_sgpr_count 6
		.amdhsa_user_sgpr_private_segment_buffer 1
		.amdhsa_user_sgpr_dispatch_ptr 0
		.amdhsa_user_sgpr_queue_ptr 0
		.amdhsa_user_sgpr_kernarg_segment_ptr 1
		.amdhsa_user_sgpr_dispatch_id 0
		.amdhsa_user_sgpr_flat_scratch_init 0
		.amdhsa_user_sgpr_private_segment_size 0
		.amdhsa_uses_dynamic_stack 0
		.amdhsa_system_sgpr_private_segment_wavefront_offset 0
		.amdhsa_system_sgpr_workgroup_id_x 1
		.amdhsa_system_sgpr_workgroup_id_y 0
		.amdhsa_system_sgpr_workgroup_id_z 1
		.amdhsa_system_sgpr_workgroup_info 0
		.amdhsa_system_vgpr_workitem_id 1
		.amdhsa_next_free_vgpr 49
		.amdhsa_next_free_sgpr 98
		.amdhsa_reserve_vcc 1
		.amdhsa_reserve_flat_scratch 0
		.amdhsa_float_round_mode_32 0
		.amdhsa_float_round_mode_16_64 0
		.amdhsa_float_denorm_mode_32 3
		.amdhsa_float_denorm_mode_16_64 3
		.amdhsa_dx10_clamp 1
		.amdhsa_ieee_mode 1
		.amdhsa_fp16_overflow 0
		.amdhsa_exception_fp_ieee_invalid_op 0
		.amdhsa_exception_fp_denorm_src 0
		.amdhsa_exception_fp_ieee_div_zero 0
		.amdhsa_exception_fp_ieee_overflow 0
		.amdhsa_exception_fp_ieee_underflow 0
		.amdhsa_exception_fp_ieee_inexact 0
		.amdhsa_exception_int_div_zero 0
	.end_amdhsa_kernel
	.section	.text._ZL19rocblas_trsv_deviceILi64ELi16ELb0ELb1ELb1ELb0E19rocblas_complex_numIfEPKS1_PKS3_PKPS1_EviT7_lllT6_T8_lllPii,"axG",@progbits,_ZL19rocblas_trsv_deviceILi64ELi16ELb0ELb1ELb1ELb0E19rocblas_complex_numIfEPKS1_PKS3_PKPS1_EviT7_lllT6_T8_lllPii,comdat
.Lfunc_end150:
	.size	_ZL19rocblas_trsv_deviceILi64ELi16ELb0ELb1ELb1ELb0E19rocblas_complex_numIfEPKS1_PKS3_PKPS1_EviT7_lllT6_T8_lllPii, .Lfunc_end150-_ZL19rocblas_trsv_deviceILi64ELi16ELb0ELb1ELb1ELb0E19rocblas_complex_numIfEPKS1_PKS3_PKPS1_EviT7_lllT6_T8_lllPii
                                        ; -- End function
	.set _ZL19rocblas_trsv_deviceILi64ELi16ELb0ELb1ELb1ELb0E19rocblas_complex_numIfEPKS1_PKS3_PKPS1_EviT7_lllT6_T8_lllPii.num_vgpr, 39
	.set _ZL19rocblas_trsv_deviceILi64ELi16ELb0ELb1ELb1ELb0E19rocblas_complex_numIfEPKS1_PKS3_PKPS1_EviT7_lllT6_T8_lllPii.num_agpr, 0
	.set _ZL19rocblas_trsv_deviceILi64ELi16ELb0ELb1ELb1ELb0E19rocblas_complex_numIfEPKS1_PKS3_PKPS1_EviT7_lllT6_T8_lllPii.numbered_sgpr, 96
	.set _ZL19rocblas_trsv_deviceILi64ELi16ELb0ELb1ELb1ELb0E19rocblas_complex_numIfEPKS1_PKS3_PKPS1_EviT7_lllT6_T8_lllPii.num_named_barrier, 0
	.set _ZL19rocblas_trsv_deviceILi64ELi16ELb0ELb1ELb1ELb0E19rocblas_complex_numIfEPKS1_PKS3_PKPS1_EviT7_lllT6_T8_lllPii.private_seg_size, 0
	.set _ZL19rocblas_trsv_deviceILi64ELi16ELb0ELb1ELb1ELb0E19rocblas_complex_numIfEPKS1_PKS3_PKPS1_EviT7_lllT6_T8_lllPii.uses_vcc, 1
	.set _ZL19rocblas_trsv_deviceILi64ELi16ELb0ELb1ELb1ELb0E19rocblas_complex_numIfEPKS1_PKS3_PKPS1_EviT7_lllT6_T8_lllPii.uses_flat_scratch, 0
	.set _ZL19rocblas_trsv_deviceILi64ELi16ELb0ELb1ELb1ELb0E19rocblas_complex_numIfEPKS1_PKS3_PKPS1_EviT7_lllT6_T8_lllPii.has_dyn_sized_stack, 0
	.set _ZL19rocblas_trsv_deviceILi64ELi16ELb0ELb1ELb1ELb0E19rocblas_complex_numIfEPKS1_PKS3_PKPS1_EviT7_lllT6_T8_lllPii.has_recursion, 0
	.set _ZL19rocblas_trsv_deviceILi64ELi16ELb0ELb1ELb1ELb0E19rocblas_complex_numIfEPKS1_PKS3_PKPS1_EviT7_lllT6_T8_lllPii.has_indirect_call, 0
	.section	.AMDGPU.csdata,"",@progbits
; Kernel info:
; codeLenInByte = 50268
; TotalNumSgprs: 100
; NumVgprs: 39
; ScratchSize: 0
; MemoryBound: 0
; FloatMode: 240
; IeeeMode: 1
; LDSByteSize: 41480 bytes/workgroup (compile time only)
; SGPRBlocks: 12
; VGPRBlocks: 12
; NumSGPRsForWavesPerEU: 102
; NumVGPRsForWavesPerEU: 49
; Occupancy: 4
; WaveLimiterHint : 1
; COMPUTE_PGM_RSRC2:SCRATCH_EN: 0
; COMPUTE_PGM_RSRC2:USER_SGPR: 6
; COMPUTE_PGM_RSRC2:TRAP_HANDLER: 0
; COMPUTE_PGM_RSRC2:TGID_X_EN: 1
; COMPUTE_PGM_RSRC2:TGID_Y_EN: 0
; COMPUTE_PGM_RSRC2:TGID_Z_EN: 1
; COMPUTE_PGM_RSRC2:TIDIG_COMP_CNT: 1
	.section	.text._ZL19rocblas_trsv_deviceILi64ELi16ELb1ELb0ELb0ELb1E19rocblas_complex_numIfEPKS1_PKS3_PKPS1_EviT7_lllT6_T8_lllPii,"axG",@progbits,_ZL19rocblas_trsv_deviceILi64ELi16ELb1ELb0ELb0ELb1E19rocblas_complex_numIfEPKS1_PKS3_PKPS1_EviT7_lllT6_T8_lllPii,comdat
	.globl	_ZL19rocblas_trsv_deviceILi64ELi16ELb1ELb0ELb0ELb1E19rocblas_complex_numIfEPKS1_PKS3_PKPS1_EviT7_lllT6_T8_lllPii ; -- Begin function _ZL19rocblas_trsv_deviceILi64ELi16ELb1ELb0ELb0ELb1E19rocblas_complex_numIfEPKS1_PKS3_PKPS1_EviT7_lllT6_T8_lllPii
	.p2align	8
	.type	_ZL19rocblas_trsv_deviceILi64ELi16ELb1ELb0ELb0ELb1E19rocblas_complex_numIfEPKS1_PKS3_PKPS1_EviT7_lllT6_T8_lllPii,@function
_ZL19rocblas_trsv_deviceILi64ELi16ELb1ELb0ELb0ELb1E19rocblas_complex_numIfEPKS1_PKS3_PKPS1_EviT7_lllT6_T8_lllPii: ; @_ZL19rocblas_trsv_deviceILi64ELi16ELb1ELb0ELb0ELb1E19rocblas_complex_numIfEPKS1_PKS3_PKPS1_EviT7_lllT6_T8_lllPii
; %bb.0:
	s_load_dwordx4 s[12:15], s[4:5], 0x8
	s_add_u32 flat_scratch_lo, s6, s10
	s_addc_u32 flat_scratch_hi, s7, 0
	s_add_u32 s0, s0, s10
	s_mov_b32 s28, s9
	s_mov_b32 s29, 0
	s_addc_u32 s1, s1, 0
	s_lshl_b64 s[6:7], s[28:29], 3
	s_waitcnt lgkmcnt(0)
	s_add_u32 s10, s12, s6
	s_addc_u32 s11, s13, s7
	s_load_dwordx2 s[12:13], s[10:11], 0x0
	s_load_dword s33, s[4:5], 0x0
	s_load_dwordx8 s[20:27], s[4:5], 0x28
	s_load_dwordx2 s[30:31], s[4:5], 0x18
	s_lshl_b64 s[10:11], s[14:15], 3
	s_waitcnt lgkmcnt(0)
	s_add_u32 s86, s12, s10
	s_addc_u32 s87, s13, s11
	s_add_u32 s6, s22, s6
	s_addc_u32 s7, s23, s7
	s_load_dwordx2 s[36:37], s[6:7], 0x0
	s_load_dwordx2 s[34:35], s[20:21], 0x0
	s_load_dword s46, s[4:5], 0x6c
	s_cmp_eq_u32 s8, 0
	s_cbranch_scc1 .LBB151_18
; %bb.1:
	s_lshl_b32 s9, s8, 6
	v_add_u32_e32 v2, s9, v1
	v_subrev_u32_e32 v4, 64, v2
	v_ashrrev_i32_e32 v2, 31, v4
	v_mul_lo_u32 v7, s30, v2
	v_mul_lo_u32 v8, s31, v4
	v_mad_u64_u32 v[2:3], s[6:7], s30, v4, 0
	v_add_u32_e32 v5, s9, v0
	v_ashrrev_i32_e32 v6, 31, v5
	v_add3_u32 v3, v3, v7, v8
	v_lshlrev_b64 v[2:3], 3, v[2:3]
	v_mov_b32_e32 v7, s87
	v_add_co_u32_e64 v8, s[6:7], s86, v2
	v_addc_co_u32_e64 v7, s[6:7], v7, v3, s[6:7]
	v_lshlrev_b64 v[2:3], 3, v[5:6]
	v_cmp_gt_i32_e32 vcc, s33, v5
	v_add_co_u32_e64 v2, s[6:7], v8, v2
	v_addc_co_u32_e64 v3, s[6:7], v7, v3, s[6:7]
	v_max_i32_e32 v5, v5, v4
	v_cmp_le_i32_e64 s[6:7], s33, v5
	s_waitcnt lgkmcnt(0)
	s_barrier
	s_and_saveexec_b64 s[10:11], s[6:7]
	s_xor_b64 s[6:7], exec, s[10:11]
	s_cbranch_execz .LBB151_3
; %bb.2:
	v_mov_b32_e32 v5, 0
	buffer_store_dword v5, off, s[0:3], 0
	buffer_store_dword v5, off, s[0:3], 0 offset:4
.LBB151_3:
	s_andn2_saveexec_b64 s[6:7], s[6:7]
	s_cbranch_execz .LBB151_5
; %bb.4:
	flat_load_dwordx2 v[5:6], v[2:3]
	s_waitcnt vmcnt(0) lgkmcnt(0)
	buffer_store_dword v6, off, s[0:3], 0 offset:4
	buffer_store_dword v5, off, s[0:3], 0
.LBB151_5:
	s_or_b64 exec, exec, s[6:7]
	v_add_u32_e32 v5, 16, v4
	v_cmp_le_i32_e64 s[6:7], s33, v5
	s_xor_b64 s[10:11], vcc, -1
	s_or_b64 s[6:7], s[10:11], s[6:7]
	s_waitcnt vmcnt(0)
	s_barrier
	s_and_saveexec_b64 s[12:13], s[6:7]
	s_xor_b64 s[6:7], exec, s[12:13]
	s_cbranch_execz .LBB151_7
; %bb.6:
	v_mov_b32_e32 v5, 0
	buffer_store_dword v5, off, s[0:3], 0 offset:8
	buffer_store_dword v5, off, s[0:3], 0 offset:12
.LBB151_7:
	s_andn2_saveexec_b64 s[6:7], s[6:7]
	s_cbranch_execz .LBB151_9
; %bb.8:
	s_lshl_b64 s[12:13], s[30:31], 7
	v_mov_b32_e32 v6, s13
	v_add_co_u32_e32 v5, vcc, s12, v2
	v_addc_co_u32_e32 v6, vcc, v3, v6, vcc
	flat_load_dwordx2 v[5:6], v[5:6]
	s_waitcnt vmcnt(0) lgkmcnt(0)
	buffer_store_dword v6, off, s[0:3], 0 offset:12
	buffer_store_dword v5, off, s[0:3], 0 offset:8
.LBB151_9:
	s_or_b64 exec, exec, s[6:7]
	v_add_u32_e32 v5, 32, v4
	v_cmp_le_i32_e32 vcc, s33, v5
	s_or_b64 s[6:7], s[10:11], vcc
	s_waitcnt vmcnt(0)
	s_barrier
	s_and_saveexec_b64 s[12:13], s[6:7]
	s_xor_b64 s[6:7], exec, s[12:13]
	s_cbranch_execz .LBB151_11
; %bb.10:
	v_mov_b32_e32 v5, 0
	buffer_store_dword v5, off, s[0:3], 0 offset:16
	buffer_store_dword v5, off, s[0:3], 0 offset:20
.LBB151_11:
	s_andn2_saveexec_b64 s[6:7], s[6:7]
	s_cbranch_execz .LBB151_13
; %bb.12:
	s_lshl_b64 s[12:13], s[30:31], 8
	v_mov_b32_e32 v6, s13
	v_add_co_u32_e32 v5, vcc, s12, v2
	v_addc_co_u32_e32 v6, vcc, v3, v6, vcc
	flat_load_dwordx2 v[5:6], v[5:6]
	s_waitcnt vmcnt(0) lgkmcnt(0)
	buffer_store_dword v6, off, s[0:3], 0 offset:20
	buffer_store_dword v5, off, s[0:3], 0 offset:16
.LBB151_13:
	s_or_b64 exec, exec, s[6:7]
	v_add_u32_e32 v4, 48, v4
	v_cmp_le_i32_e32 vcc, s33, v4
	s_or_b64 s[6:7], s[10:11], vcc
	s_waitcnt vmcnt(0)
	s_barrier
	s_and_saveexec_b64 s[10:11], s[6:7]
	s_xor_b64 s[6:7], exec, s[10:11]
	s_cbranch_execz .LBB151_15
; %bb.14:
	v_mov_b32_e32 v2, 0
	buffer_store_dword v2, off, s[0:3], 0 offset:24
	buffer_store_dword v2, off, s[0:3], 0 offset:28
                                        ; implicit-def: $vgpr2_vgpr3
.LBB151_15:
	s_andn2_saveexec_b64 s[6:7], s[6:7]
	s_cbranch_execz .LBB151_17
; %bb.16:
	v_mov_b32_e32 v4, 0x180
	v_mad_u64_u32 v[2:3], s[10:11], s30, v4, v[2:3]
	s_mul_i32 s9, s31, 0x180
	v_add_u32_e32 v3, s9, v3
	flat_load_dwordx2 v[2:3], v[2:3]
	s_waitcnt vmcnt(0) lgkmcnt(0)
	buffer_store_dword v3, off, s[0:3], 0 offset:28
	buffer_store_dword v2, off, s[0:3], 0 offset:24
.LBB151_17:
	s_or_b64 exec, exec, s[6:7]
.LBB151_18:
	s_ashr_i32 s6, s33, 31
	s_lshr_b32 s6, s6, 26
	s_add_i32 s6, s33, s6
	s_andn2_b32 s6, s6, 63
	s_sub_i32 s9, s33, s6
	s_add_i32 s6, s33, -1
	s_ashr_i32 s7, s6, 31
	s_lshr_b32 s7, s7, 26
	s_add_i32 s6, s6, s7
	s_ashr_i32 s6, s6, 6
	s_cmp_eq_u32 s6, s8
	s_cselect_b64 s[6:7], -1, 0
	s_cmp_lg_u32 s9, 0
	s_cselect_b64 s[10:11], -1, 0
	s_and_b64 s[22:23], s[10:11], s[6:7]
	s_mov_b64 s[10:11], -1
	s_and_b64 vcc, exec, s[22:23]
	v_cmp_le_u32_e64 s[6:7], v0, v1
	v_lshlrev_b32_e32 v8, 3, v0
	v_lshl_add_u32 v7, v1, 6, v0
	s_cbranch_vccnz .LBB151_44
; %bb.19:
	s_add_u32 s10, s30, 1
	s_addc_u32 s11, s31, 0
	s_lshl_b32 s12, s8, 6
	s_ashr_i32 s13, s12, 31
	s_mul_hi_u32 s14, s10, s12
	s_mul_i32 s13, s10, s13
	s_add_i32 s13, s14, s13
	s_mul_i32 s11, s11, s12
	s_add_i32 s11, s13, s11
	s_mul_i32 s10, s10, s12
	s_lshl_b64 s[10:11], s[10:11], 3
	s_add_u32 s10, s86, s10
	s_addc_u32 s11, s87, s11
	v_lshlrev_b32_e32 v2, 3, v0
	v_mov_b32_e32 v3, s11
	v_add_co_u32_e32 v2, vcc, s10, v2
	v_addc_co_u32_e32 v3, vcc, 0, v3, vcc
	s_and_saveexec_b64 s[10:11], s[6:7]
	s_xor_b64 s[6:7], exec, s[10:11]
	s_cbranch_execz .LBB151_23
; %bb.20:
	v_or_b32_e32 v4, v1, v0
	v_cmp_gt_u32_e32 vcc, 64, v4
	s_and_saveexec_b64 s[10:11], vcc
; %bb.21:
	v_mov_b32_e32 v4, 0
	v_lshlrev_b32_e32 v6, 3, v7
	v_mov_b32_e32 v5, v4
	ds_write_b64 v6, v[4:5]
; %bb.22:
	s_or_b64 exec, exec, s[10:11]
.LBB151_23:
	s_andn2_saveexec_b64 s[6:7], s[6:7]
	s_cbranch_execz .LBB151_25
; %bb.24:
	v_mad_u64_u32 v[4:5], s[10:11], s30, v1, 0
	v_mad_u64_u32 v[5:6], s[10:11], s31, v1, v[5:6]
	v_lshlrev_b32_e32 v6, 3, v7
	v_lshlrev_b64 v[4:5], 3, v[4:5]
	v_add_co_u32_e32 v4, vcc, v2, v4
	v_addc_co_u32_e32 v5, vcc, v3, v5, vcc
	flat_load_dwordx2 v[4:5], v[4:5]
	s_waitcnt vmcnt(0) lgkmcnt(0)
	v_xor_b32_e32 v4, 0x80000000, v4
	v_xor_b32_e32 v5, 0x80000000, v5
	ds_write_b64 v6, v[4:5]
.LBB151_25:
	s_or_b64 exec, exec, s[6:7]
	v_add_u32_e32 v5, 16, v1
	v_lshl_add_u32 v4, v5, 6, v0
	v_cmp_le_u32_e32 vcc, v0, v5
	s_and_saveexec_b64 s[6:7], vcc
	s_xor_b64 s[6:7], exec, s[6:7]
	s_cbranch_execz .LBB151_29
; %bb.26:
	v_or_b32_e32 v5, v5, v0
	v_cmp_gt_u32_e32 vcc, 64, v5
	s_and_saveexec_b64 s[10:11], vcc
; %bb.27:
	v_lshlrev_b32_e32 v6, 3, v4
	v_mov_b32_e32 v4, 0
	v_mov_b32_e32 v5, v4
	ds_write_b64 v6, v[4:5]
; %bb.28:
	s_or_b64 exec, exec, s[10:11]
                                        ; implicit-def: $vgpr5
                                        ; implicit-def: $vgpr4
.LBB151_29:
	s_andn2_saveexec_b64 s[6:7], s[6:7]
	s_cbranch_execz .LBB151_31
; %bb.30:
	v_mad_u64_u32 v[9:10], s[10:11], s30, v5, 0
	v_lshlrev_b32_e32 v4, 3, v4
	v_mov_b32_e32 v6, v10
	v_mad_u64_u32 v[5:6], s[10:11], s31, v5, v[6:7]
	v_mov_b32_e32 v10, v5
	v_lshlrev_b64 v[5:6], 3, v[9:10]
	v_add_co_u32_e32 v5, vcc, v2, v5
	v_addc_co_u32_e32 v6, vcc, v3, v6, vcc
	flat_load_dwordx2 v[5:6], v[5:6]
	s_waitcnt vmcnt(0) lgkmcnt(0)
	v_xor_b32_e32 v5, 0x80000000, v5
	v_xor_b32_e32 v6, 0x80000000, v6
	ds_write_b64 v4, v[5:6]
.LBB151_31:
	s_or_b64 exec, exec, s[6:7]
	v_add_u32_e32 v5, 32, v1
	v_lshl_add_u32 v4, v5, 6, v0
	v_cmp_le_u32_e32 vcc, v0, v5
	s_and_saveexec_b64 s[6:7], vcc
	s_xor_b64 s[6:7], exec, s[6:7]
	s_cbranch_execz .LBB151_35
; %bb.32:
	v_or_b32_e32 v5, v5, v0
	v_cmp_gt_u32_e32 vcc, 64, v5
	s_and_saveexec_b64 s[10:11], vcc
; %bb.33:
	v_lshlrev_b32_e32 v6, 3, v4
	v_mov_b32_e32 v4, 0
	v_mov_b32_e32 v5, v4
	ds_write_b64 v6, v[4:5]
; %bb.34:
	s_or_b64 exec, exec, s[10:11]
                                        ; implicit-def: $vgpr5
                                        ; implicit-def: $vgpr4
.LBB151_35:
	s_andn2_saveexec_b64 s[6:7], s[6:7]
	s_cbranch_execz .LBB151_37
; %bb.36:
	v_mad_u64_u32 v[9:10], s[10:11], s30, v5, 0
	v_lshlrev_b32_e32 v4, 3, v4
	v_mov_b32_e32 v6, v10
	v_mad_u64_u32 v[5:6], s[10:11], s31, v5, v[6:7]
	v_mov_b32_e32 v10, v5
	v_lshlrev_b64 v[5:6], 3, v[9:10]
	v_add_co_u32_e32 v5, vcc, v2, v5
	v_addc_co_u32_e32 v6, vcc, v3, v6, vcc
	flat_load_dwordx2 v[5:6], v[5:6]
	s_waitcnt vmcnt(0) lgkmcnt(0)
	v_xor_b32_e32 v5, 0x80000000, v5
	v_xor_b32_e32 v6, 0x80000000, v6
	ds_write_b64 v4, v[5:6]
.LBB151_37:
	s_or_b64 exec, exec, s[6:7]
	v_add_u32_e32 v5, 48, v1
	v_lshl_add_u32 v4, v5, 6, v0
	v_cmp_le_u32_e32 vcc, v0, v5
	s_and_saveexec_b64 s[6:7], vcc
	s_xor_b64 s[6:7], exec, s[6:7]
	s_cbranch_execz .LBB151_41
; %bb.38:
	v_or_b32_e32 v2, v5, v0
	v_cmp_gt_u32_e32 vcc, 64, v2
	s_and_saveexec_b64 s[10:11], vcc
; %bb.39:
	v_mov_b32_e32 v2, 0
	v_lshlrev_b32_e32 v4, 3, v4
	v_mov_b32_e32 v3, v2
	ds_write_b64 v4, v[2:3]
; %bb.40:
	s_or_b64 exec, exec, s[10:11]
                                        ; implicit-def: $vgpr5
                                        ; implicit-def: $vgpr2
                                        ; implicit-def: $vgpr3
                                        ; implicit-def: $vgpr4
.LBB151_41:
	s_andn2_saveexec_b64 s[6:7], s[6:7]
	s_cbranch_execz .LBB151_43
; %bb.42:
	v_mad_u64_u32 v[9:10], s[10:11], s30, v5, 0
	v_lshlrev_b32_e32 v4, 3, v4
	v_mov_b32_e32 v6, v10
	v_mad_u64_u32 v[5:6], s[10:11], s31, v5, v[6:7]
	v_mov_b32_e32 v10, v5
	v_lshlrev_b64 v[5:6], 3, v[9:10]
	v_add_co_u32_e32 v2, vcc, v2, v5
	v_addc_co_u32_e32 v3, vcc, v3, v6, vcc
	flat_load_dwordx2 v[2:3], v[2:3]
	s_waitcnt vmcnt(0) lgkmcnt(0)
	v_xor_b32_e32 v2, 0x80000000, v2
	v_xor_b32_e32 v3, 0x80000000, v3
	ds_write_b64 v4, v[2:3]
.LBB151_43:
	s_or_b64 exec, exec, s[6:7]
	s_mov_b64 s[10:11], 0
.LBB151_44:
	s_and_b64 vcc, exec, s[10:11]
	s_cbranch_vccz .LBB151_70
; %bb.45:
	s_add_u32 s6, s30, 1
	s_addc_u32 s7, s31, 0
	s_lshl_b32 s10, s8, 6
	s_ashr_i32 s11, s10, 31
	s_mul_hi_u32 s12, s6, s10
	s_mul_i32 s11, s6, s11
	s_add_i32 s11, s12, s11
	s_mul_i32 s7, s7, s10
	s_add_i32 s7, s11, s7
	s_mul_i32 s6, s6, s10
	s_lshl_b64 s[6:7], s[6:7], 3
	s_add_u32 s6, s86, s6
	s_addc_u32 s7, s87, s7
	v_lshlrev_b32_e32 v2, 3, v0
	v_mov_b32_e32 v3, s7
	v_add_co_u32_e64 v2, s[6:7], s6, v2
	v_addc_co_u32_e64 v3, s[6:7], 0, v3, s[6:7]
	v_max_i32_e32 v4, v1, v0
	v_cmp_le_u32_e64 s[6:7], v0, v1
	v_cmp_le_i32_e64 s[10:11], s9, v4
	v_cmp_gt_i32_e32 vcc, s9, v0
	s_or_b64 s[6:7], s[10:11], s[6:7]
	s_and_saveexec_b64 s[10:11], s[6:7]
	s_xor_b64 s[10:11], exec, s[10:11]
	s_cbranch_execz .LBB151_49
; %bb.46:
	v_or_b32_e32 v4, v1, v0
	v_cmp_gt_u32_e64 s[6:7], 64, v4
	s_and_saveexec_b64 s[12:13], s[6:7]
; %bb.47:
	v_mov_b32_e32 v4, 0
	v_lshlrev_b32_e32 v6, 3, v7
	v_mov_b32_e32 v5, v4
	ds_write_b64 v6, v[4:5]
; %bb.48:
	s_or_b64 exec, exec, s[12:13]
.LBB151_49:
	s_andn2_saveexec_b64 s[10:11], s[10:11]
	s_cbranch_execz .LBB151_51
; %bb.50:
	v_mad_u64_u32 v[4:5], s[6:7], s30, v1, 0
	v_mad_u64_u32 v[5:6], s[6:7], s31, v1, v[5:6]
	v_lshlrev_b32_e32 v6, 3, v7
	v_lshlrev_b64 v[4:5], 3, v[4:5]
	v_add_co_u32_e64 v4, s[6:7], v2, v4
	v_addc_co_u32_e64 v5, s[6:7], v3, v5, s[6:7]
	flat_load_dwordx2 v[4:5], v[4:5]
	s_waitcnt vmcnt(0) lgkmcnt(0)
	v_xor_b32_e32 v4, 0x80000000, v4
	v_xor_b32_e32 v5, 0x80000000, v5
	ds_write_b64 v6, v[4:5]
.LBB151_51:
	s_or_b64 exec, exec, s[10:11]
	v_add_u32_e32 v5, 16, v1
	v_cmp_gt_u32_e64 s[6:7], v0, v5
	v_cmp_gt_i32_e64 s[10:11], s9, v5
	s_and_b64 s[6:7], s[6:7], s[10:11]
	s_and_b64 s[6:7], s[6:7], vcc
	v_lshl_add_u32 v4, v5, 6, v0
	s_xor_b64 s[6:7], s[6:7], -1
	s_and_saveexec_b64 s[10:11], s[6:7]
	s_xor_b64 s[10:11], exec, s[10:11]
	s_cbranch_execz .LBB151_55
; %bb.52:
	v_or_b32_e32 v5, v5, v0
	v_cmp_gt_u32_e64 s[6:7], 64, v5
	s_and_saveexec_b64 s[12:13], s[6:7]
; %bb.53:
	v_lshlrev_b32_e32 v6, 3, v4
	v_mov_b32_e32 v4, 0
	v_mov_b32_e32 v5, v4
	ds_write_b64 v6, v[4:5]
; %bb.54:
	s_or_b64 exec, exec, s[12:13]
                                        ; implicit-def: $vgpr5
                                        ; implicit-def: $vgpr4
.LBB151_55:
	s_andn2_saveexec_b64 s[10:11], s[10:11]
	s_cbranch_execz .LBB151_57
; %bb.56:
	v_mad_u64_u32 v[9:10], s[6:7], s30, v5, 0
	v_lshlrev_b32_e32 v4, 3, v4
	v_mov_b32_e32 v6, v10
	v_mad_u64_u32 v[5:6], s[6:7], s31, v5, v[6:7]
	v_mov_b32_e32 v10, v5
	v_lshlrev_b64 v[5:6], 3, v[9:10]
	v_add_co_u32_e64 v5, s[6:7], v2, v5
	v_addc_co_u32_e64 v6, s[6:7], v3, v6, s[6:7]
	flat_load_dwordx2 v[5:6], v[5:6]
	s_waitcnt vmcnt(0) lgkmcnt(0)
	v_xor_b32_e32 v5, 0x80000000, v5
	v_xor_b32_e32 v6, 0x80000000, v6
	ds_write_b64 v4, v[5:6]
.LBB151_57:
	s_or_b64 exec, exec, s[10:11]
	v_add_u32_e32 v5, 32, v1
	v_cmp_gt_u32_e64 s[6:7], v0, v5
	v_cmp_gt_i32_e64 s[10:11], s9, v5
	s_and_b64 s[6:7], s[6:7], s[10:11]
	s_and_b64 s[6:7], s[6:7], vcc
	v_lshl_add_u32 v4, v5, 6, v0
	s_xor_b64 s[6:7], s[6:7], -1
	s_and_saveexec_b64 s[10:11], s[6:7]
	s_xor_b64 s[10:11], exec, s[10:11]
	s_cbranch_execz .LBB151_61
; %bb.58:
	v_or_b32_e32 v5, v5, v0
	v_cmp_gt_u32_e64 s[6:7], 64, v5
	s_and_saveexec_b64 s[12:13], s[6:7]
; %bb.59:
	v_lshlrev_b32_e32 v6, 3, v4
	v_mov_b32_e32 v4, 0
	v_mov_b32_e32 v5, v4
	ds_write_b64 v6, v[4:5]
; %bb.60:
	s_or_b64 exec, exec, s[12:13]
                                        ; implicit-def: $vgpr5
                                        ; implicit-def: $vgpr4
.LBB151_61:
	s_andn2_saveexec_b64 s[10:11], s[10:11]
	s_cbranch_execz .LBB151_63
; %bb.62:
	v_mad_u64_u32 v[9:10], s[6:7], s30, v5, 0
	v_lshlrev_b32_e32 v4, 3, v4
	v_mov_b32_e32 v6, v10
	v_mad_u64_u32 v[5:6], s[6:7], s31, v5, v[6:7]
	v_mov_b32_e32 v10, v5
	v_lshlrev_b64 v[5:6], 3, v[9:10]
	v_add_co_u32_e64 v5, s[6:7], v2, v5
	v_addc_co_u32_e64 v6, s[6:7], v3, v6, s[6:7]
	flat_load_dwordx2 v[5:6], v[5:6]
	s_waitcnt vmcnt(0) lgkmcnt(0)
	v_xor_b32_e32 v5, 0x80000000, v5
	v_xor_b32_e32 v6, 0x80000000, v6
	ds_write_b64 v4, v[5:6]
.LBB151_63:
	s_or_b64 exec, exec, s[10:11]
	v_add_u32_e32 v5, 48, v1
	v_cmp_gt_u32_e64 s[6:7], v0, v5
	v_cmp_gt_i32_e64 s[10:11], s9, v5
	s_and_b64 s[6:7], s[6:7], s[10:11]
	s_and_b64 s[6:7], s[6:7], vcc
	v_lshl_add_u32 v4, v5, 6, v0
	s_xor_b64 s[6:7], s[6:7], -1
	s_and_saveexec_b64 s[10:11], s[6:7]
	s_xor_b64 s[6:7], exec, s[10:11]
	s_cbranch_execz .LBB151_67
; %bb.64:
	v_or_b32_e32 v2, v5, v0
	v_cmp_gt_u32_e32 vcc, 64, v2
	s_and_saveexec_b64 s[10:11], vcc
; %bb.65:
	v_mov_b32_e32 v2, 0
	v_lshlrev_b32_e32 v4, 3, v4
	v_mov_b32_e32 v3, v2
	ds_write_b64 v4, v[2:3]
; %bb.66:
	s_or_b64 exec, exec, s[10:11]
                                        ; implicit-def: $vgpr5
                                        ; implicit-def: $vgpr2
                                        ; implicit-def: $vgpr3
                                        ; implicit-def: $vgpr4
.LBB151_67:
	s_andn2_saveexec_b64 s[6:7], s[6:7]
	s_cbranch_execz .LBB151_69
; %bb.68:
	v_mad_u64_u32 v[9:10], s[10:11], s30, v5, 0
	v_lshlrev_b32_e32 v4, 3, v4
	v_mov_b32_e32 v6, v10
	v_mad_u64_u32 v[5:6], s[10:11], s31, v5, v[6:7]
	v_mov_b32_e32 v10, v5
	v_lshlrev_b64 v[5:6], 3, v[9:10]
	v_add_co_u32_e32 v2, vcc, v2, v5
	v_addc_co_u32_e32 v3, vcc, v3, v6, vcc
	flat_load_dwordx2 v[2:3], v[2:3]
	s_waitcnt vmcnt(0) lgkmcnt(0)
	v_xor_b32_e32 v2, 0x80000000, v2
	v_xor_b32_e32 v3, 0x80000000, v3
	ds_write_b64 v4, v[2:3]
.LBB151_69:
	s_or_b64 exec, exec, s[6:7]
.LBB151_70:
	s_cmp_lt_i32 s8, 5
	s_cselect_b64 s[6:7], -1, 0
	s_or_b64 s[38:39], s[6:7], s[22:23]
	s_and_b64 vcc, exec, s[38:39]
	s_waitcnt vmcnt(0) lgkmcnt(0)
	s_barrier
	s_cbranch_vccnz .LBB151_930
; %bb.71:
	v_or_b32_e32 v2, v0, v1
	s_mov_b32 s11, 0
	v_cmp_eq_u32_e32 vcc, 0, v2
	s_and_saveexec_b64 s[6:7], vcc
; %bb.72:
	s_mov_b32 s10, 1.0
	v_mov_b32_e32 v2, s10
	v_mov_b32_e32 v4, 0
	;; [unrolled: 1-line block ×3, first 2 shown]
	ds_write2_b64 v4, v[2:3], v[2:3] offset1:65
; %bb.73:
	s_or_b64 exec, exec, s[6:7]
	v_and_b32_e32 v9, 1, v0
	v_lshrrev_b32_e32 v6, 1, v7
	v_lshlrev_b32_e32 v2, 3, v9
	v_cmp_lt_u32_e64 s[10:11], 3, v7
	v_cmp_gt_u32_e64 s[6:7], 4, v7
	v_lshl_or_b32 v4, v6, 9, v2
	v_mov_b32_e32 v3, 0
	v_mov_b32_e32 v2, 0
	s_waitcnt lgkmcnt(0)
	s_barrier
	s_and_saveexec_b64 s[14:15], s[6:7]
	s_cbranch_execz .LBB151_77
; %bb.74:
	v_mul_u32_u24_e32 v5, 0x208, v6
	ds_read_b64 v[2:3], v4 offset:16
	ds_read_b64 v[10:11], v5
	v_cmp_gt_u32_e64 s[12:13], 2, v7
	s_waitcnt lgkmcnt(0)
	v_mul_f32_e32 v5, v11, v3
	v_mul_f32_e32 v3, v10, v3
	v_fma_f32 v5, v10, v2, -v5
	v_fmac_f32_e32 v3, v11, v2
	v_add_f32_e32 v2, 0, v5
	v_add_f32_e32 v3, 0, v3
	s_and_saveexec_b64 s[16:17], s[12:13]
	s_cbranch_execz .LBB151_76
; %bb.75:
	v_lshlrev_b32_e32 v5, 3, v0
	v_mov_b32_e32 v12, 0
	ds_read_b64 v[10:11], v5 offset:528
	ds_read_b64 v[12:13], v12 offset:8
	s_waitcnt lgkmcnt(0)
	v_mul_f32_e32 v5, v13, v11
	v_mul_f32_e32 v11, v12, v11
	v_fma_f32 v5, v12, v10, -v5
	v_fmac_f32_e32 v11, v13, v10
	v_add_f32_e32 v2, v2, v5
	v_add_f32_e32 v3, v3, v11
.LBB151_76:
	s_or_b64 exec, exec, s[16:17]
	v_xor_b32_e32 v2, 0x80000000, v2
	v_xor_b32_e32 v3, 0x80000000, v3
.LBB151_77:
	s_or_b64 exec, exec, s[14:15]
	v_mov_b32_e32 v5, 0x8000
	v_cmp_eq_u32_e64 s[12:13], 0, v9
	s_xor_b64 s[14:15], s[10:11], -1
	v_lshl_add_u32 v5, v6, 3, v5
	s_and_b64 s[42:43], s[12:13], s[14:15]
	s_and_saveexec_b64 s[10:11], s[42:43]
; %bb.78:
	ds_write_b64 v5, v[2:3]
; %bb.79:
	s_or_b64 exec, exec, s[10:11]
	v_cmp_ne_u32_e64 s[10:11], 0, v9
	s_and_b64 s[40:41], s[10:11], s[14:15]
	s_waitcnt lgkmcnt(0)
	s_barrier
	s_and_saveexec_b64 s[10:11], s[40:41]
	s_cbranch_execz .LBB151_81
; %bb.80:
	v_mov_b32_e32 v9, 0
	ds_read_b64 v[9:10], v9 offset:1048
	ds_read_b64 v[11:12], v5
	s_waitcnt lgkmcnt(0)
	v_mul_f32_e32 v13, v12, v10
	v_mul_f32_e32 v10, v11, v10
	v_fma_f32 v11, v11, v9, -v13
	v_fmac_f32_e32 v10, v12, v9
	v_add_f32_e32 v2, v2, v11
	v_add_f32_e32 v3, v3, v10
.LBB151_81:
	s_or_b64 exec, exec, s[10:11]
	s_barrier
	s_and_saveexec_b64 s[10:11], s[40:41]
; %bb.82:
	ds_write_b64 v5, v[2:3]
; %bb.83:
	s_or_b64 exec, exec, s[10:11]
	s_waitcnt lgkmcnt(0)
	s_barrier
	s_barrier
	s_and_saveexec_b64 s[10:11], s[6:7]
; %bb.84:
	v_xor_b32_e32 v3, 0x80000000, v3
	v_xor_b32_e32 v2, 0x80000000, v2
	ds_write_b64 v4, v[2:3] offset:16
; %bb.85:
	s_or_b64 exec, exec, s[10:11]
	s_waitcnt lgkmcnt(0)
	s_barrier
	s_barrier
	s_and_saveexec_b64 s[10:11], vcc
; %bb.86:
	s_mov_b64 s[12:13], 0x3f800000
	v_mov_b32_e32 v2, s12
	v_mov_b32_e32 v9, 0
	;; [unrolled: 1-line block ×3, first 2 shown]
	ds_write2_b64 v9, v[2:3], v[2:3] offset0:130 offset1:195
; %bb.87:
	s_or_b64 exec, exec, s[10:11]
	v_and_b32_e32 v12, 3, v0
	v_lshrrev_b32_e32 v13, 2, v7
	v_lshlrev_b32_e32 v10, 3, v12
	v_cmp_lt_u32_e64 s[10:11], 15, v7
	v_cmp_gt_u32_e64 s[18:19], 16, v7
	v_lshl_or_b32 v9, v13, 9, v10
	v_mov_b32_e32 v3, 0
	v_mov_b32_e32 v2, 0
	s_waitcnt lgkmcnt(0)
	s_barrier
	s_and_saveexec_b64 s[14:15], s[18:19]
	s_cbranch_execz .LBB151_93
; %bb.88:
	v_mul_u32_u24_e32 v11, 0x208, v13
	ds_read_b64 v[2:3], v9 offset:32
	ds_read_b64 v[14:15], v11
	v_cmp_gt_u32_e64 s[12:13], 12, v7
	s_waitcnt lgkmcnt(0)
	v_mul_f32_e32 v16, v15, v3
	v_mul_f32_e32 v3, v14, v3
	v_fma_f32 v14, v14, v2, -v16
	v_fmac_f32_e32 v3, v15, v2
	v_add_f32_e32 v2, 0, v14
	v_add_f32_e32 v3, 0, v3
	s_and_saveexec_b64 s[16:17], s[12:13]
	s_cbranch_execnz .LBB151_990
; %bb.89:
	s_or_b64 exec, exec, s[16:17]
	v_cmp_gt_u32_e64 s[12:13], 8, v7
	s_and_saveexec_b64 s[16:17], s[12:13]
	s_cbranch_execnz .LBB151_991
.LBB151_90:
	s_or_b64 exec, exec, s[16:17]
	v_cmp_gt_u32_e64 s[12:13], 4, v7
	s_and_saveexec_b64 s[16:17], s[12:13]
	s_cbranch_execz .LBB151_92
.LBB151_91:
	v_lshlrev_b32_e32 v11, 3, v0
	v_mov_b32_e32 v16, 0
	ds_read_b64 v[14:15], v11 offset:1568
	ds_read_b64 v[16:17], v16 offset:24
	s_waitcnt lgkmcnt(0)
	v_mul_f32_e32 v11, v17, v15
	v_mul_f32_e32 v15, v16, v15
	v_fma_f32 v11, v16, v14, -v11
	v_fmac_f32_e32 v15, v17, v14
	v_add_f32_e32 v2, v2, v11
	v_add_f32_e32 v3, v3, v15
.LBB151_92:
	s_or_b64 exec, exec, s[16:17]
	v_xor_b32_e32 v2, 0x80000000, v2
	v_xor_b32_e32 v3, 0x80000000, v3
.LBB151_93:
	s_or_b64 exec, exec, s[14:15]
	v_mov_b32_e32 v11, 0x8000
	v_cmp_eq_u32_e64 s[12:13], 0, v12
	s_xor_b64 s[14:15], s[10:11], -1
	v_lshl_add_u32 v11, v13, 3, v11
	s_and_b64 s[46:47], s[12:13], s[14:15]
	s_and_saveexec_b64 s[10:11], s[46:47]
; %bb.94:
	ds_write_b64 v11, v[2:3]
; %bb.95:
	s_or_b64 exec, exec, s[10:11]
	v_cmp_ne_u32_e64 s[10:11], 0, v12
	s_and_b64 s[48:49], s[10:11], s[14:15]
	s_waitcnt lgkmcnt(0)
	s_barrier
	s_and_saveexec_b64 s[10:11], s[48:49]
	s_cbranch_execz .LBB151_97
; %bb.96:
	ds_read_b64 v[14:15], v10 offset:2080
	ds_read_b64 v[16:17], v11
	s_waitcnt lgkmcnt(0)
	v_mul_f32_e32 v18, v17, v15
	v_mul_f32_e32 v15, v16, v15
	v_fma_f32 v16, v16, v14, -v18
	v_fmac_f32_e32 v15, v17, v14
	v_add_f32_e32 v2, v2, v16
	v_add_f32_e32 v3, v3, v15
.LBB151_97:
	s_or_b64 exec, exec, s[10:11]
	v_cmp_eq_u32_e64 s[10:11], 1, v12
	s_and_b64 s[50:51], s[10:11], s[14:15]
	s_barrier
	s_and_saveexec_b64 s[10:11], s[50:51]
; %bb.98:
	ds_write_b64 v11, v[2:3]
; %bb.99:
	s_or_b64 exec, exec, s[10:11]
	v_cmp_lt_u32_e64 s[10:11], 1, v12
	s_and_b64 s[52:53], s[10:11], s[14:15]
	s_waitcnt lgkmcnt(0)
	s_barrier
	s_and_saveexec_b64 s[10:11], s[52:53]
	s_cbranch_execz .LBB151_101
; %bb.100:
	ds_read_b64 v[14:15], v10 offset:2592
	ds_read_b64 v[16:17], v11
	s_waitcnt lgkmcnt(0)
	v_mul_f32_e32 v18, v17, v15
	v_mul_f32_e32 v15, v16, v15
	v_fma_f32 v16, v16, v14, -v18
	v_fmac_f32_e32 v15, v17, v14
	v_add_f32_e32 v2, v2, v16
	v_add_f32_e32 v3, v3, v15
.LBB151_101:
	s_or_b64 exec, exec, s[10:11]
	v_cmp_eq_u32_e64 s[10:11], 2, v12
	s_and_b64 s[54:55], s[10:11], s[14:15]
	s_barrier
	s_and_saveexec_b64 s[10:11], s[54:55]
; %bb.102:
	ds_write_b64 v11, v[2:3]
; %bb.103:
	s_or_b64 exec, exec, s[10:11]
	v_cmp_eq_u32_e64 s[10:11], 3, v12
	s_and_b64 s[44:45], s[10:11], s[14:15]
	s_waitcnt lgkmcnt(0)
	s_barrier
	s_and_saveexec_b64 s[10:11], s[44:45]
	s_cbranch_execz .LBB151_105
; %bb.104:
	v_mov_b32_e32 v14, 0
	ds_read_b64 v[14:15], v14 offset:3128
	ds_read_b64 v[16:17], v11
	s_waitcnt lgkmcnt(0)
	v_mul_f32_e32 v18, v17, v15
	v_mul_f32_e32 v15, v16, v15
	v_fma_f32 v16, v16, v14, -v18
	v_fmac_f32_e32 v15, v17, v14
	v_add_f32_e32 v2, v2, v16
	v_add_f32_e32 v3, v3, v15
.LBB151_105:
	s_or_b64 exec, exec, s[10:11]
	s_barrier
	s_and_saveexec_b64 s[10:11], s[44:45]
; %bb.106:
	ds_write_b64 v11, v[2:3]
; %bb.107:
	s_or_b64 exec, exec, s[10:11]
	s_waitcnt lgkmcnt(0)
	s_barrier
	s_barrier
	s_and_saveexec_b64 s[10:11], s[18:19]
; %bb.108:
	v_xor_b32_e32 v2, 0x80000000, v2
	v_xor_b32_e32 v3, 0x80000000, v3
	ds_write_b64 v9, v[2:3] offset:32
; %bb.109:
	s_or_b64 exec, exec, s[10:11]
	s_waitcnt lgkmcnt(0)
	s_barrier
	s_barrier
	s_and_saveexec_b64 s[10:11], vcc
	s_cbranch_execz .LBB151_111
; %bb.110:
	s_mov_b64 s[12:13], 0x3f800000
	v_mov_b32_e32 v2, s12
	v_mov_b32_e32 v3, s13
	s_movk_i32 s12, 0x800
	v_add_u32_e64 v14, s12, 0
	ds_write2_b64 v14, v[2:3], v[2:3] offset0:4 offset1:69
.LBB151_111:
	s_or_b64 exec, exec, s[10:11]
	v_mov_b32_e32 v3, 0
	v_mov_b32_e32 v2, 0
	s_waitcnt lgkmcnt(0)
	s_barrier
	s_and_saveexec_b64 s[12:13], s[6:7]
	s_cbranch_execz .LBB151_115
; %bb.112:
	v_mul_u32_u24_e32 v14, 0x208, v6
	ds_read_b64 v[2:3], v4 offset:2096
	ds_read_b64 v[14:15], v14 offset:2080
	v_cmp_gt_u32_e64 s[10:11], 2, v7
	s_waitcnt lgkmcnt(0)
	v_mul_f32_e32 v16, v15, v3
	v_mul_f32_e32 v3, v14, v3
	v_fma_f32 v14, v14, v2, -v16
	v_fmac_f32_e32 v3, v15, v2
	v_add_f32_e32 v2, 0, v14
	v_add_f32_e32 v3, 0, v3
	s_and_saveexec_b64 s[14:15], s[10:11]
	s_cbranch_execz .LBB151_114
; %bb.113:
	v_lshlrev_b32_e32 v14, 3, v0
	v_mov_b32_e32 v16, 0
	ds_read_b64 v[14:15], v14 offset:2608
	ds_read_b64 v[16:17], v16 offset:2088
	s_waitcnt lgkmcnt(0)
	v_mul_f32_e32 v18, v17, v15
	v_mul_f32_e32 v15, v16, v15
	v_fma_f32 v16, v16, v14, -v18
	v_fmac_f32_e32 v15, v17, v14
	v_add_f32_e32 v2, v2, v16
	v_add_f32_e32 v3, v3, v15
.LBB151_114:
	s_or_b64 exec, exec, s[14:15]
	v_xor_b32_e32 v2, 0x80000000, v2
	v_xor_b32_e32 v3, 0x80000000, v3
.LBB151_115:
	s_or_b64 exec, exec, s[12:13]
	s_and_saveexec_b64 s[10:11], s[42:43]
; %bb.116:
	ds_write_b64 v5, v[2:3]
; %bb.117:
	s_or_b64 exec, exec, s[10:11]
	s_waitcnt lgkmcnt(0)
	s_barrier
	s_and_saveexec_b64 s[10:11], s[40:41]
	s_cbranch_execz .LBB151_119
; %bb.118:
	v_mov_b32_e32 v14, 0
	ds_read_b64 v[14:15], v14 offset:3128
	ds_read_b64 v[16:17], v5
	s_waitcnt lgkmcnt(0)
	v_mul_f32_e32 v18, v17, v15
	v_mul_f32_e32 v15, v16, v15
	v_fma_f32 v16, v16, v14, -v18
	v_fmac_f32_e32 v15, v17, v14
	v_add_f32_e32 v2, v2, v16
	v_add_f32_e32 v3, v3, v15
.LBB151_119:
	s_or_b64 exec, exec, s[10:11]
	s_barrier
	s_and_saveexec_b64 s[10:11], s[40:41]
; %bb.120:
	ds_write_b64 v5, v[2:3]
; %bb.121:
	s_or_b64 exec, exec, s[10:11]
	s_waitcnt lgkmcnt(0)
	s_barrier
	s_barrier
	s_and_saveexec_b64 s[10:11], s[6:7]
; %bb.122:
	v_xor_b32_e32 v3, 0x80000000, v3
	v_xor_b32_e32 v2, 0x80000000, v2
	ds_write_b64 v4, v[2:3] offset:2096
; %bb.123:
	s_or_b64 exec, exec, s[10:11]
	s_waitcnt lgkmcnt(0)
	s_barrier
	s_barrier
	s_and_saveexec_b64 s[10:11], vcc
	s_cbranch_execz .LBB151_125
; %bb.124:
	s_mov_b64 s[12:13], 0x3f800000
	v_mov_b32_e32 v2, s12
	v_mov_b32_e32 v3, s13
	s_movk_i32 s12, 0x800
	v_add_u32_e64 v14, s12, 0
	ds_write2_b64 v14, v[2:3], v[2:3] offset0:134 offset1:199
.LBB151_125:
	s_or_b64 exec, exec, s[10:11]
	v_and_b32_e32 v17, 7, v0
	v_lshrrev_b32_e32 v18, 3, v7
	v_lshlrev_b32_e32 v15, 3, v17
	v_cmp_lt_u32_e64 s[12:13], 63, v7
	v_cmp_gt_u32_e64 s[10:11], 64, v7
	v_lshl_or_b32 v14, v18, 9, v15
	v_mov_b32_e32 v3, 0
	v_mov_b32_e32 v2, 0
	s_waitcnt lgkmcnt(0)
	s_barrier
	s_and_saveexec_b64 s[16:17], s[10:11]
	s_cbranch_execz .LBB151_135
; %bb.126:
	v_mul_u32_u24_e32 v16, 0x208, v18
	ds_read_b64 v[2:3], v14 offset:64
	ds_read_b64 v[19:20], v16
	v_cmp_gt_u32_e64 s[14:15], 56, v7
	s_waitcnt lgkmcnt(0)
	v_mul_f32_e32 v21, v20, v3
	v_mul_f32_e32 v3, v19, v3
	v_fma_f32 v19, v19, v2, -v21
	v_fmac_f32_e32 v3, v20, v2
	v_add_f32_e32 v2, 0, v19
	v_add_f32_e32 v3, 0, v3
	s_and_saveexec_b64 s[20:21], s[14:15]
	s_cbranch_execnz .LBB151_992
; %bb.127:
	s_or_b64 exec, exec, s[20:21]
	v_cmp_gt_u32_e64 s[14:15], 48, v7
	s_and_saveexec_b64 s[20:21], s[14:15]
	s_cbranch_execnz .LBB151_993
.LBB151_128:
	s_or_b64 exec, exec, s[20:21]
	v_cmp_gt_u32_e64 s[14:15], 40, v7
	s_and_saveexec_b64 s[20:21], s[14:15]
	s_cbranch_execnz .LBB151_994
.LBB151_129:
	s_or_b64 exec, exec, s[20:21]
	v_cmp_gt_u32_e64 s[14:15], 32, v7
	s_and_saveexec_b64 s[20:21], s[14:15]
	s_cbranch_execnz .LBB151_995
.LBB151_130:
	s_or_b64 exec, exec, s[20:21]
	v_cmp_gt_u32_e64 s[14:15], 24, v7
	s_and_saveexec_b64 s[20:21], s[14:15]
	s_cbranch_execnz .LBB151_996
.LBB151_131:
	s_or_b64 exec, exec, s[20:21]
	v_cmp_gt_u32_e64 s[14:15], 16, v7
	s_and_saveexec_b64 s[20:21], s[14:15]
	s_cbranch_execnz .LBB151_997
.LBB151_132:
	s_or_b64 exec, exec, s[20:21]
	v_cmp_gt_u32_e64 s[14:15], 8, v7
	s_and_saveexec_b64 s[20:21], s[14:15]
	s_cbranch_execz .LBB151_134
.LBB151_133:
	v_lshlrev_b32_e32 v16, 3, v0
	v_mov_b32_e32 v21, 0
	ds_read_b64 v[19:20], v16 offset:3648
	ds_read_b64 v[21:22], v21 offset:56
	s_waitcnt lgkmcnt(0)
	v_mul_f32_e32 v16, v22, v20
	v_mul_f32_e32 v20, v21, v20
	v_fma_f32 v16, v21, v19, -v16
	v_fmac_f32_e32 v20, v22, v19
	v_add_f32_e32 v2, v2, v16
	v_add_f32_e32 v3, v3, v20
.LBB151_134:
	s_or_b64 exec, exec, s[20:21]
	v_xor_b32_e32 v2, 0x80000000, v2
	v_xor_b32_e32 v3, 0x80000000, v3
.LBB151_135:
	s_or_b64 exec, exec, s[16:17]
	v_mov_b32_e32 v16, 0x8000
	v_cmp_eq_u32_e64 s[14:15], 0, v17
	s_xor_b64 s[16:17], s[12:13], -1
	v_lshl_add_u32 v16, v18, 3, v16
	s_and_b64 s[58:59], s[14:15], s[16:17]
	s_and_saveexec_b64 s[12:13], s[58:59]
; %bb.136:
	ds_write_b64 v16, v[2:3]
; %bb.137:
	s_or_b64 exec, exec, s[12:13]
	v_cmp_ne_u32_e64 s[12:13], 0, v17
	s_and_b64 s[60:61], s[12:13], s[16:17]
	s_waitcnt lgkmcnt(0)
	s_barrier
	s_and_saveexec_b64 s[12:13], s[60:61]
	s_cbranch_execz .LBB151_139
; %bb.138:
	ds_read_b64 v[19:20], v15 offset:4160
	ds_read_b64 v[21:22], v16
	s_waitcnt lgkmcnt(0)
	v_mul_f32_e32 v23, v22, v20
	v_mul_f32_e32 v20, v21, v20
	v_fma_f32 v21, v21, v19, -v23
	v_fmac_f32_e32 v20, v22, v19
	v_add_f32_e32 v2, v2, v21
	v_add_f32_e32 v3, v3, v20
.LBB151_139:
	s_or_b64 exec, exec, s[12:13]
	v_cmp_eq_u32_e64 s[12:13], 1, v17
	s_and_b64 s[62:63], s[12:13], s[16:17]
	s_barrier
	s_and_saveexec_b64 s[12:13], s[62:63]
; %bb.140:
	ds_write_b64 v16, v[2:3]
; %bb.141:
	s_or_b64 exec, exec, s[12:13]
	v_cmp_lt_u32_e64 s[12:13], 1, v17
	s_and_b64 s[64:65], s[12:13], s[16:17]
	s_waitcnt lgkmcnt(0)
	s_barrier
	s_and_saveexec_b64 s[12:13], s[64:65]
	s_cbranch_execz .LBB151_143
; %bb.142:
	ds_read_b64 v[19:20], v15 offset:4672
	ds_read_b64 v[21:22], v16
	s_waitcnt lgkmcnt(0)
	v_mul_f32_e32 v23, v22, v20
	v_mul_f32_e32 v20, v21, v20
	v_fma_f32 v21, v21, v19, -v23
	v_fmac_f32_e32 v20, v22, v19
	v_add_f32_e32 v2, v2, v21
	v_add_f32_e32 v3, v3, v20
.LBB151_143:
	s_or_b64 exec, exec, s[12:13]
	v_cmp_eq_u32_e64 s[12:13], 2, v17
	s_and_b64 s[66:67], s[12:13], s[16:17]
	s_barrier
	s_and_saveexec_b64 s[12:13], s[66:67]
; %bb.144:
	ds_write_b64 v16, v[2:3]
; %bb.145:
	s_or_b64 exec, exec, s[12:13]
	v_cmp_lt_u32_e64 s[12:13], 2, v17
	;; [unrolled: 26-line block ×5, first 2 shown]
	s_and_b64 s[80:81], s[12:13], s[16:17]
	s_waitcnt lgkmcnt(0)
	s_barrier
	s_and_saveexec_b64 s[12:13], s[80:81]
	s_cbranch_execz .LBB151_159
; %bb.158:
	ds_read_b64 v[19:20], v15 offset:6720
	ds_read_b64 v[21:22], v16
	s_waitcnt lgkmcnt(0)
	v_mul_f32_e32 v23, v22, v20
	v_mul_f32_e32 v20, v21, v20
	v_fma_f32 v21, v21, v19, -v23
	v_fmac_f32_e32 v20, v22, v19
	v_add_f32_e32 v2, v2, v21
	v_add_f32_e32 v3, v3, v20
.LBB151_159:
	s_or_b64 exec, exec, s[12:13]
	v_cmp_eq_u32_e64 s[12:13], 6, v17
	s_and_b64 s[82:83], s[12:13], s[16:17]
	s_barrier
	s_and_saveexec_b64 s[12:13], s[82:83]
; %bb.160:
	ds_write_b64 v16, v[2:3]
; %bb.161:
	s_or_b64 exec, exec, s[12:13]
	v_cmp_eq_u32_e64 s[12:13], 7, v17
	s_and_b64 s[56:57], s[12:13], s[16:17]
	s_waitcnt lgkmcnt(0)
	s_barrier
	s_and_saveexec_b64 s[12:13], s[56:57]
	s_cbranch_execz .LBB151_163
; %bb.162:
	v_mov_b32_e32 v19, 0
	ds_read_b64 v[19:20], v19 offset:7288
	ds_read_b64 v[21:22], v16
	s_waitcnt lgkmcnt(0)
	v_mul_f32_e32 v23, v22, v20
	v_mul_f32_e32 v20, v21, v20
	v_fma_f32 v21, v21, v19, -v23
	v_fmac_f32_e32 v20, v22, v19
	v_add_f32_e32 v2, v2, v21
	v_add_f32_e32 v3, v3, v20
.LBB151_163:
	s_or_b64 exec, exec, s[12:13]
	s_barrier
	s_and_saveexec_b64 s[12:13], s[56:57]
; %bb.164:
	ds_write_b64 v16, v[2:3]
; %bb.165:
	s_or_b64 exec, exec, s[12:13]
	s_waitcnt lgkmcnt(0)
	s_barrier
	s_barrier
	s_and_saveexec_b64 s[12:13], s[10:11]
; %bb.166:
	v_xor_b32_e32 v3, 0x80000000, v3
	v_xor_b32_e32 v2, 0x80000000, v2
	ds_write_b64 v14, v[2:3] offset:64
; %bb.167:
	s_or_b64 exec, exec, s[12:13]
	s_waitcnt lgkmcnt(0)
	s_barrier
	s_barrier
	s_and_saveexec_b64 s[12:13], vcc
	s_cbranch_execz .LBB151_169
; %bb.168:
	s_mov_b64 s[14:15], 0x3f800000
	v_mov_b32_e32 v2, s14
	v_mov_b32_e32 v3, s15
	s_movk_i32 s14, 0x1000
	v_add_u32_e64 v19, s14, 0
	ds_write2_b64 v19, v[2:3], v[2:3] offset0:8 offset1:73
.LBB151_169:
	s_or_b64 exec, exec, s[12:13]
	v_mov_b32_e32 v3, 0
	v_mov_b32_e32 v2, 0
	s_waitcnt lgkmcnt(0)
	s_barrier
	s_and_saveexec_b64 s[14:15], s[6:7]
	s_cbranch_execz .LBB151_173
; %bb.170:
	v_mul_u32_u24_e32 v19, 0x208, v6
	ds_read_b64 v[2:3], v4 offset:4176
	ds_read_b64 v[19:20], v19 offset:4160
	v_cmp_gt_u32_e64 s[12:13], 2, v7
	s_waitcnt lgkmcnt(0)
	v_mul_f32_e32 v21, v20, v3
	v_mul_f32_e32 v3, v19, v3
	v_fma_f32 v19, v19, v2, -v21
	v_fmac_f32_e32 v3, v20, v2
	v_add_f32_e32 v2, 0, v19
	v_add_f32_e32 v3, 0, v3
	s_and_saveexec_b64 s[16:17], s[12:13]
	s_cbranch_execz .LBB151_172
; %bb.171:
	v_lshlrev_b32_e32 v19, 3, v0
	v_mov_b32_e32 v21, 0
	ds_read_b64 v[19:20], v19 offset:4688
	ds_read_b64 v[21:22], v21 offset:4168
	s_waitcnt lgkmcnt(0)
	v_mul_f32_e32 v23, v22, v20
	v_mul_f32_e32 v20, v21, v20
	v_fma_f32 v21, v21, v19, -v23
	v_fmac_f32_e32 v20, v22, v19
	v_add_f32_e32 v2, v2, v21
	v_add_f32_e32 v3, v3, v20
.LBB151_172:
	s_or_b64 exec, exec, s[16:17]
	v_xor_b32_e32 v2, 0x80000000, v2
	v_xor_b32_e32 v3, 0x80000000, v3
.LBB151_173:
	s_or_b64 exec, exec, s[14:15]
	s_and_saveexec_b64 s[12:13], s[42:43]
; %bb.174:
	ds_write_b64 v5, v[2:3]
; %bb.175:
	s_or_b64 exec, exec, s[12:13]
	s_waitcnt lgkmcnt(0)
	s_barrier
	s_and_saveexec_b64 s[12:13], s[40:41]
	s_cbranch_execz .LBB151_177
; %bb.176:
	v_mov_b32_e32 v19, 0
	ds_read_b64 v[19:20], v19 offset:5208
	ds_read_b64 v[21:22], v5
	s_waitcnt lgkmcnt(0)
	v_mul_f32_e32 v23, v22, v20
	v_mul_f32_e32 v20, v21, v20
	v_fma_f32 v21, v21, v19, -v23
	v_fmac_f32_e32 v20, v22, v19
	v_add_f32_e32 v2, v2, v21
	v_add_f32_e32 v3, v3, v20
.LBB151_177:
	s_or_b64 exec, exec, s[12:13]
	s_barrier
	s_and_saveexec_b64 s[12:13], s[40:41]
; %bb.178:
	ds_write_b64 v5, v[2:3]
; %bb.179:
	s_or_b64 exec, exec, s[12:13]
	s_waitcnt lgkmcnt(0)
	s_barrier
	s_barrier
	s_and_saveexec_b64 s[12:13], s[6:7]
; %bb.180:
	v_xor_b32_e32 v3, 0x80000000, v3
	v_xor_b32_e32 v2, 0x80000000, v2
	ds_write_b64 v4, v[2:3] offset:4176
; %bb.181:
	s_or_b64 exec, exec, s[12:13]
	s_waitcnt lgkmcnt(0)
	s_barrier
	s_barrier
	s_and_saveexec_b64 s[12:13], vcc
	s_cbranch_execz .LBB151_183
; %bb.182:
	s_mov_b64 s[14:15], 0x3f800000
	v_mov_b32_e32 v2, s14
	v_mov_b32_e32 v3, s15
	s_movk_i32 s14, 0x1000
	v_add_u32_e64 v19, s14, 0
	ds_write2_b64 v19, v[2:3], v[2:3] offset0:138 offset1:203
.LBB151_183:
	s_or_b64 exec, exec, s[12:13]
	v_mov_b32_e32 v3, 0
	v_mov_b32_e32 v2, 0
	s_waitcnt lgkmcnt(0)
	s_barrier
	s_and_saveexec_b64 s[14:15], s[18:19]
	s_cbranch_execz .LBB151_189
; %bb.184:
	v_mul_u32_u24_e32 v19, 0x208, v13
	ds_read_b64 v[2:3], v9 offset:4192
	ds_read_b64 v[20:21], v19 offset:4160
	v_cmp_gt_u32_e64 s[12:13], 12, v7
	s_waitcnt lgkmcnt(0)
	v_mul_f32_e32 v22, v21, v3
	v_mul_f32_e32 v3, v20, v3
	v_fma_f32 v20, v20, v2, -v22
	v_fmac_f32_e32 v3, v21, v2
	v_add_f32_e32 v2, 0, v20
	v_add_f32_e32 v3, 0, v3
	s_and_saveexec_b64 s[16:17], s[12:13]
	s_cbranch_execnz .LBB151_998
; %bb.185:
	s_or_b64 exec, exec, s[16:17]
	v_cmp_gt_u32_e64 s[12:13], 8, v7
	s_and_saveexec_b64 s[16:17], s[12:13]
	s_cbranch_execnz .LBB151_999
.LBB151_186:
	s_or_b64 exec, exec, s[16:17]
	v_cmp_gt_u32_e64 s[12:13], 4, v7
	s_and_saveexec_b64 s[16:17], s[12:13]
	s_cbranch_execz .LBB151_188
.LBB151_187:
	v_lshlrev_b32_e32 v19, 3, v0
	v_mov_b32_e32 v21, 0
	ds_read_b64 v[19:20], v19 offset:5728
	ds_read_b64 v[21:22], v21 offset:4184
	s_waitcnt lgkmcnt(0)
	v_mul_f32_e32 v23, v22, v20
	v_mul_f32_e32 v20, v21, v20
	v_fma_f32 v21, v21, v19, -v23
	v_fmac_f32_e32 v20, v22, v19
	v_add_f32_e32 v2, v2, v21
	v_add_f32_e32 v3, v3, v20
.LBB151_188:
	s_or_b64 exec, exec, s[16:17]
	v_xor_b32_e32 v2, 0x80000000, v2
	v_xor_b32_e32 v3, 0x80000000, v3
.LBB151_189:
	s_or_b64 exec, exec, s[14:15]
	s_and_saveexec_b64 s[12:13], s[46:47]
; %bb.190:
	ds_write_b64 v11, v[2:3]
; %bb.191:
	s_or_b64 exec, exec, s[12:13]
	s_waitcnt lgkmcnt(0)
	s_barrier
	s_and_saveexec_b64 s[12:13], s[48:49]
	s_cbranch_execz .LBB151_193
; %bb.192:
	ds_read_b64 v[19:20], v10 offset:6240
	ds_read_b64 v[21:22], v11
	s_waitcnt lgkmcnt(0)
	v_mul_f32_e32 v23, v22, v20
	v_mul_f32_e32 v20, v21, v20
	v_fma_f32 v21, v21, v19, -v23
	v_fmac_f32_e32 v20, v22, v19
	v_add_f32_e32 v2, v2, v21
	v_add_f32_e32 v3, v3, v20
.LBB151_193:
	s_or_b64 exec, exec, s[12:13]
	s_barrier
	s_and_saveexec_b64 s[12:13], s[50:51]
; %bb.194:
	ds_write_b64 v11, v[2:3]
; %bb.195:
	s_or_b64 exec, exec, s[12:13]
	s_waitcnt lgkmcnt(0)
	s_barrier
	s_and_saveexec_b64 s[12:13], s[52:53]
	s_cbranch_execz .LBB151_197
; %bb.196:
	ds_read_b64 v[19:20], v10 offset:6752
	ds_read_b64 v[21:22], v11
	s_waitcnt lgkmcnt(0)
	v_mul_f32_e32 v23, v22, v20
	v_mul_f32_e32 v20, v21, v20
	v_fma_f32 v21, v21, v19, -v23
	v_fmac_f32_e32 v20, v22, v19
	v_add_f32_e32 v2, v2, v21
	v_add_f32_e32 v3, v3, v20
.LBB151_197:
	s_or_b64 exec, exec, s[12:13]
	s_barrier
	s_and_saveexec_b64 s[12:13], s[54:55]
; %bb.198:
	ds_write_b64 v11, v[2:3]
; %bb.199:
	s_or_b64 exec, exec, s[12:13]
	s_waitcnt lgkmcnt(0)
	s_barrier
	s_and_saveexec_b64 s[12:13], s[44:45]
	s_cbranch_execz .LBB151_201
; %bb.200:
	v_mov_b32_e32 v19, 0
	ds_read_b64 v[19:20], v19 offset:7288
	ds_read_b64 v[21:22], v11
	s_waitcnt lgkmcnt(0)
	v_mul_f32_e32 v23, v22, v20
	v_mul_f32_e32 v20, v21, v20
	v_fma_f32 v21, v21, v19, -v23
	v_fmac_f32_e32 v20, v22, v19
	v_add_f32_e32 v2, v2, v21
	v_add_f32_e32 v3, v3, v20
.LBB151_201:
	s_or_b64 exec, exec, s[12:13]
	s_barrier
	s_and_saveexec_b64 s[12:13], s[44:45]
; %bb.202:
	ds_write_b64 v11, v[2:3]
; %bb.203:
	s_or_b64 exec, exec, s[12:13]
	s_waitcnt lgkmcnt(0)
	s_barrier
	s_barrier
	s_and_saveexec_b64 s[12:13], s[18:19]
; %bb.204:
	v_xor_b32_e32 v2, 0x80000000, v2
	v_xor_b32_e32 v3, 0x80000000, v3
	ds_write_b64 v9, v[2:3] offset:4192
; %bb.205:
	s_or_b64 exec, exec, s[12:13]
	s_waitcnt lgkmcnt(0)
	s_barrier
	s_barrier
	s_and_saveexec_b64 s[12:13], vcc
	s_cbranch_execz .LBB151_207
; %bb.206:
	s_mov_b64 s[14:15], 0x3f800000
	v_mov_b32_e32 v2, s14
	v_mov_b32_e32 v3, s15
	s_movk_i32 s14, 0x1800
	v_add_u32_e64 v19, s14, 0
	ds_write2_b64 v19, v[2:3], v[2:3] offset0:12 offset1:77
.LBB151_207:
	s_or_b64 exec, exec, s[12:13]
	v_mov_b32_e32 v3, 0
	v_mov_b32_e32 v2, 0
	s_waitcnt lgkmcnt(0)
	s_barrier
	s_and_saveexec_b64 s[14:15], s[6:7]
	s_cbranch_execz .LBB151_211
; %bb.208:
	v_mul_u32_u24_e32 v19, 0x208, v6
	ds_read_b64 v[2:3], v4 offset:6256
	ds_read_b64 v[19:20], v19 offset:6240
	v_cmp_gt_u32_e64 s[12:13], 2, v7
	s_waitcnt lgkmcnt(0)
	v_mul_f32_e32 v21, v20, v3
	v_mul_f32_e32 v3, v19, v3
	v_fma_f32 v19, v19, v2, -v21
	v_fmac_f32_e32 v3, v20, v2
	v_add_f32_e32 v2, 0, v19
	v_add_f32_e32 v3, 0, v3
	s_and_saveexec_b64 s[16:17], s[12:13]
	s_cbranch_execz .LBB151_210
; %bb.209:
	v_lshlrev_b32_e32 v19, 3, v0
	v_mov_b32_e32 v21, 0
	ds_read_b64 v[19:20], v19 offset:6768
	ds_read_b64 v[21:22], v21 offset:6248
	s_waitcnt lgkmcnt(0)
	v_mul_f32_e32 v23, v22, v20
	v_mul_f32_e32 v20, v21, v20
	v_fma_f32 v21, v21, v19, -v23
	v_fmac_f32_e32 v20, v22, v19
	v_add_f32_e32 v2, v2, v21
	v_add_f32_e32 v3, v3, v20
.LBB151_210:
	s_or_b64 exec, exec, s[16:17]
	v_xor_b32_e32 v2, 0x80000000, v2
	v_xor_b32_e32 v3, 0x80000000, v3
.LBB151_211:
	s_or_b64 exec, exec, s[14:15]
	s_and_saveexec_b64 s[12:13], s[42:43]
; %bb.212:
	ds_write_b64 v5, v[2:3]
; %bb.213:
	s_or_b64 exec, exec, s[12:13]
	s_waitcnt lgkmcnt(0)
	s_barrier
	s_and_saveexec_b64 s[12:13], s[40:41]
	s_cbranch_execz .LBB151_215
; %bb.214:
	v_mov_b32_e32 v19, 0
	ds_read_b64 v[19:20], v19 offset:7288
	ds_read_b64 v[21:22], v5
	s_waitcnt lgkmcnt(0)
	v_mul_f32_e32 v23, v22, v20
	v_mul_f32_e32 v20, v21, v20
	v_fma_f32 v21, v21, v19, -v23
	v_fmac_f32_e32 v20, v22, v19
	v_add_f32_e32 v2, v2, v21
	v_add_f32_e32 v3, v3, v20
.LBB151_215:
	s_or_b64 exec, exec, s[12:13]
	s_barrier
	s_and_saveexec_b64 s[12:13], s[40:41]
; %bb.216:
	ds_write_b64 v5, v[2:3]
; %bb.217:
	s_or_b64 exec, exec, s[12:13]
	s_waitcnt lgkmcnt(0)
	s_barrier
	s_barrier
	s_and_saveexec_b64 s[12:13], s[6:7]
; %bb.218:
	v_xor_b32_e32 v3, 0x80000000, v3
	v_xor_b32_e32 v2, 0x80000000, v2
	ds_write_b64 v4, v[2:3] offset:6256
; %bb.219:
	s_or_b64 exec, exec, s[12:13]
	s_waitcnt lgkmcnt(0)
	s_barrier
	s_barrier
	s_and_saveexec_b64 s[12:13], vcc
	s_cbranch_execz .LBB151_221
; %bb.220:
	s_mov_b64 s[14:15], 0x3f800000
	v_mov_b32_e32 v2, s14
	v_mov_b32_e32 v3, s15
	s_movk_i32 s14, 0x1800
	v_add_u32_e64 v19, s14, 0
	ds_write2_b64 v19, v[2:3], v[2:3] offset0:142 offset1:207
.LBB151_221:
	s_or_b64 exec, exec, s[12:13]
	v_lshrrev_b32_e32 v23, 4, v7
	v_and_b32_e32 v20, 15, v0
	s_movk_i32 s12, 0xff
	v_lshlrev_b32_e32 v22, 6, v23
	v_cmp_lt_u32_e64 s[14:15], s12, v7
	s_movk_i32 s12, 0x100
	v_or_b32_e32 v2, v22, v20
	v_cmp_gt_u32_e64 s[12:13], s12, v7
	v_lshlrev_b32_e32 v19, 3, v2
	v_mov_b32_e32 v3, 0
	v_mov_b32_e32 v2, 0
	s_waitcnt lgkmcnt(0)
	s_barrier
	s_and_saveexec_b64 s[20:21], s[12:13]
	s_cbranch_execz .LBB151_249
; %bb.222:
	v_mul_u32_u24_e32 v21, 0x208, v23
	ds_read_b64 v[2:3], v19 offset:128
	ds_read_b64 v[24:25], v21
	s_movk_i32 s16, 0xf0
	v_cmp_gt_u32_e64 s[16:17], s16, v7
	s_waitcnt lgkmcnt(0)
	v_mul_f32_e32 v26, v25, v3
	v_mul_f32_e32 v3, v24, v3
	v_fma_f32 v24, v24, v2, -v26
	v_fmac_f32_e32 v3, v25, v2
	v_add_f32_e32 v2, 0, v24
	v_add_f32_e32 v3, 0, v3
	s_and_saveexec_b64 s[84:85], s[16:17]
	s_cbranch_execz .LBB151_224
; %bb.223:
	v_lshlrev_b32_e32 v24, 3, v23
	v_sub_u32_e32 v24, v21, v24
	v_lshl_add_u32 v24, v20, 3, v24
	ds_read_b64 v[24:25], v24 offset:640
	ds_read_b64 v[26:27], v21 offset:8
	s_waitcnt lgkmcnt(0)
	v_mul_f32_e32 v28, v27, v25
	v_mul_f32_e32 v25, v26, v25
	v_fma_f32 v26, v26, v24, -v28
	v_fmac_f32_e32 v25, v27, v24
	v_add_f32_e32 v2, v2, v26
	v_add_f32_e32 v3, v3, v25
.LBB151_224:
	s_or_b64 exec, exec, s[84:85]
	s_movk_i32 s16, 0xe0
	v_cmp_gt_u32_e64 s[16:17], s16, v7
	s_and_saveexec_b64 s[84:85], s[16:17]
	s_cbranch_execz .LBB151_226
; %bb.225:
	v_lshlrev_b32_e32 v24, 3, v23
	v_sub_u32_e32 v24, v21, v24
	v_lshl_add_u32 v24, v20, 3, v24
	ds_read_b64 v[24:25], v24 offset:1152
	ds_read_b64 v[26:27], v21 offset:16
	s_waitcnt lgkmcnt(0)
	v_mul_f32_e32 v28, v27, v25
	v_mul_f32_e32 v25, v26, v25
	v_fma_f32 v26, v26, v24, -v28
	v_fmac_f32_e32 v25, v27, v24
	v_add_f32_e32 v2, v2, v26
	v_add_f32_e32 v3, v3, v25
.LBB151_226:
	s_or_b64 exec, exec, s[84:85]
	s_movk_i32 s16, 0xd0
	v_cmp_gt_u32_e64 s[16:17], s16, v7
	;; [unrolled: 19-line block ×7, first 2 shown]
	s_and_saveexec_b64 s[84:85], s[16:17]
	s_cbranch_execz .LBB151_238
; %bb.237:
	ds_read_b64 v[24:25], v19 offset:4224
	ds_read_b64 v[26:27], v21 offset:64
	s_waitcnt lgkmcnt(0)
	v_mul_f32_e32 v28, v27, v25
	v_mul_f32_e32 v25, v26, v25
	v_fma_f32 v26, v26, v24, -v28
	v_fmac_f32_e32 v25, v27, v24
	v_add_f32_e32 v2, v2, v26
	v_add_f32_e32 v3, v3, v25
.LBB151_238:
	s_or_b64 exec, exec, s[84:85]
	s_movk_i32 s16, 0x70
	v_cmp_gt_u32_e64 s[16:17], s16, v7
	s_and_saveexec_b64 s[84:85], s[16:17]
	s_cbranch_execz .LBB151_240
; %bb.239:
	v_lshlrev_b32_e32 v24, 3, v20
	v_lshl_add_u32 v24, v22, 3, v24
	ds_read_b64 v[24:25], v24 offset:4736
	ds_read_b64 v[26:27], v21 offset:72
	s_waitcnt lgkmcnt(0)
	v_mul_f32_e32 v28, v27, v25
	v_mul_f32_e32 v25, v26, v25
	v_fma_f32 v26, v26, v24, -v28
	v_fmac_f32_e32 v25, v27, v24
	v_add_f32_e32 v2, v2, v26
	v_add_f32_e32 v3, v3, v25
.LBB151_240:
	s_or_b64 exec, exec, s[84:85]
	s_movk_i32 s16, 0x60
	v_cmp_gt_u32_e64 s[16:17], s16, v7
	s_and_saveexec_b64 s[84:85], s[16:17]
	s_cbranch_execz .LBB151_242
; %bb.241:
	v_lshlrev_b32_e32 v24, 3, v20
	v_lshl_add_u32 v24, v22, 3, v24
	ds_read_b64 v[24:25], v24 offset:5248
	ds_read_b64 v[26:27], v21 offset:80
	s_waitcnt lgkmcnt(0)
	v_mul_f32_e32 v28, v27, v25
	v_mul_f32_e32 v25, v26, v25
	v_fma_f32 v26, v26, v24, -v28
	v_fmac_f32_e32 v25, v27, v24
	v_add_f32_e32 v2, v2, v26
	v_add_f32_e32 v3, v3, v25
.LBB151_242:
	s_or_b64 exec, exec, s[84:85]
	s_movk_i32 s16, 0x50
	v_cmp_gt_u32_e64 s[16:17], s16, v7
	s_and_saveexec_b64 s[84:85], s[16:17]
	s_cbranch_execnz .LBB151_1000
; %bb.243:
	s_or_b64 exec, exec, s[84:85]
	v_cmp_gt_u32_e64 s[16:17], 64, v7
	s_and_saveexec_b64 s[84:85], s[16:17]
	s_cbranch_execnz .LBB151_1001
.LBB151_244:
	s_or_b64 exec, exec, s[84:85]
	v_cmp_gt_u32_e64 s[16:17], 48, v7
	s_and_saveexec_b64 s[84:85], s[16:17]
	s_cbranch_execnz .LBB151_1002
.LBB151_245:
	s_or_b64 exec, exec, s[84:85]
	v_cmp_gt_u32_e64 s[16:17], 32, v7
	s_and_saveexec_b64 s[84:85], s[16:17]
	s_cbranch_execnz .LBB151_1003
.LBB151_246:
	s_or_b64 exec, exec, s[84:85]
	v_cmp_gt_u32_e64 s[16:17], 16, v7
	s_and_saveexec_b64 s[84:85], s[16:17]
	s_cbranch_execz .LBB151_248
.LBB151_247:
	v_lshlrev_b32_e32 v21, 3, v0
	v_mov_b32_e32 v26, 0
	ds_read_b64 v[24:25], v21 offset:7808
	ds_read_b64 v[26:27], v26 offset:120
	s_waitcnt lgkmcnt(0)
	v_mul_f32_e32 v21, v27, v25
	v_mul_f32_e32 v25, v26, v25
	v_fma_f32 v21, v26, v24, -v21
	v_fmac_f32_e32 v25, v27, v24
	v_add_f32_e32 v2, v2, v21
	v_add_f32_e32 v3, v3, v25
.LBB151_248:
	s_or_b64 exec, exec, s[84:85]
	v_xor_b32_e32 v2, 0x80000000, v2
	v_xor_b32_e32 v3, 0x80000000, v3
.LBB151_249:
	s_or_b64 exec, exec, s[20:21]
	v_mov_b32_e32 v21, 0x8000
	v_lshl_add_u32 v21, v23, 3, v21
	v_cmp_eq_u32_e64 s[16:17], 0, v20
	s_xor_b64 s[20:21], s[14:15], -1
	s_and_b64 s[16:17], s[16:17], s[20:21]
	s_mov_b64 s[14:15], exec
                                        ; implicit-def: $vgpr35 : SGPR spill to VGPR lane
	v_writelane_b32 v35, s16, 0
	v_writelane_b32 v35, s17, 1
	s_and_b64 s[16:17], s[14:15], s[16:17]
	s_mov_b64 exec, s[16:17]
; %bb.250:
	ds_write_b64 v21, v[2:3]
; %bb.251:
	s_or_b64 exec, exec, s[14:15]
	v_cmp_ne_u32_e64 s[14:15], 0, v20
	s_waitcnt lgkmcnt(0)
	s_barrier
	s_and_b64 s[16:17], s[14:15], s[20:21]
	s_mov_b64 s[14:15], exec
	v_writelane_b32 v35, s16, 2
	v_writelane_b32 v35, s17, 3
	s_and_b64 s[16:17], s[14:15], s[16:17]
	s_mov_b64 exec, s[16:17]
	s_cbranch_execz .LBB151_253
; %bb.252:
	v_lshlrev_b32_e32 v24, 3, v20
	ds_read_b64 v[24:25], v24 offset:8320
	ds_read_b64 v[26:27], v21
	s_waitcnt lgkmcnt(0)
	v_mul_f32_e32 v28, v27, v25
	v_mul_f32_e32 v25, v26, v25
	v_fma_f32 v26, v26, v24, -v28
	v_fmac_f32_e32 v25, v27, v24
	v_add_f32_e32 v2, v2, v26
	v_add_f32_e32 v3, v3, v25
.LBB151_253:
	s_or_b64 exec, exec, s[14:15]
	v_cmp_eq_u32_e64 s[14:15], 1, v20
	s_barrier
	s_and_b64 s[16:17], s[14:15], s[20:21]
	s_mov_b64 s[14:15], exec
	v_writelane_b32 v35, s16, 4
	v_writelane_b32 v35, s17, 5
	s_and_b64 s[16:17], s[14:15], s[16:17]
	s_mov_b64 exec, s[16:17]
; %bb.254:
	ds_write_b64 v21, v[2:3]
; %bb.255:
	s_or_b64 exec, exec, s[14:15]
	v_cmp_lt_u32_e64 s[14:15], 1, v20
	s_waitcnt lgkmcnt(0)
	s_barrier
	s_and_b64 s[16:17], s[14:15], s[20:21]
	s_mov_b64 s[14:15], exec
	v_writelane_b32 v35, s16, 6
	v_writelane_b32 v35, s17, 7
	s_and_b64 s[16:17], s[14:15], s[16:17]
	s_mov_b64 exec, s[16:17]
	s_cbranch_execz .LBB151_257
; %bb.256:
	v_lshlrev_b32_e32 v24, 3, v20
	ds_read_b64 v[24:25], v24 offset:8832
	ds_read_b64 v[26:27], v21
	s_waitcnt lgkmcnt(0)
	v_mul_f32_e32 v28, v27, v25
	v_mul_f32_e32 v25, v26, v25
	v_fma_f32 v26, v26, v24, -v28
	v_fmac_f32_e32 v25, v27, v24
	v_add_f32_e32 v2, v2, v26
	v_add_f32_e32 v3, v3, v25
.LBB151_257:
	s_or_b64 exec, exec, s[14:15]
	v_cmp_eq_u32_e64 s[14:15], 2, v20
	s_barrier
	s_and_b64 s[16:17], s[14:15], s[20:21]
	s_mov_b64 s[14:15], exec
	v_writelane_b32 v35, s16, 8
	v_writelane_b32 v35, s17, 9
	s_and_b64 s[16:17], s[14:15], s[16:17]
	s_mov_b64 exec, s[16:17]
; %bb.258:
	ds_write_b64 v21, v[2:3]
; %bb.259:
	s_or_b64 exec, exec, s[14:15]
	v_cmp_lt_u32_e64 s[14:15], 2, v20
	;; [unrolled: 35-line block ×12, first 2 shown]
	s_and_b64 s[88:89], s[14:15], s[20:21]
	s_waitcnt lgkmcnt(0)
	s_barrier
	s_and_saveexec_b64 s[14:15], s[88:89]
	s_cbranch_execz .LBB151_301
; %bb.300:
	v_lshlrev_b32_e32 v24, 3, v20
	ds_read_b64 v[24:25], v24 offset:14464
	ds_read_b64 v[26:27], v21
	s_waitcnt lgkmcnt(0)
	v_mul_f32_e32 v28, v27, v25
	v_mul_f32_e32 v25, v26, v25
	v_fma_f32 v26, v26, v24, -v28
	v_fmac_f32_e32 v25, v27, v24
	v_add_f32_e32 v2, v2, v26
	v_add_f32_e32 v3, v3, v25
.LBB151_301:
	s_or_b64 exec, exec, s[14:15]
	v_cmp_eq_u32_e64 s[14:15], 13, v20
	s_and_b64 s[90:91], s[14:15], s[20:21]
	s_barrier
	s_and_saveexec_b64 s[14:15], s[90:91]
; %bb.302:
	ds_write_b64 v21, v[2:3]
; %bb.303:
	s_or_b64 exec, exec, s[14:15]
	v_cmp_lt_u32_e64 s[14:15], 13, v20
	s_and_b64 s[94:95], s[14:15], s[20:21]
	s_waitcnt lgkmcnt(0)
	s_barrier
	s_and_saveexec_b64 s[14:15], s[94:95]
	s_cbranch_execz .LBB151_305
; %bb.304:
	v_lshlrev_b32_e32 v24, 3, v20
	ds_read_b64 v[24:25], v24 offset:14976
	ds_read_b64 v[26:27], v21
	s_waitcnt lgkmcnt(0)
	v_mul_f32_e32 v28, v27, v25
	v_mul_f32_e32 v25, v26, v25
	v_fma_f32 v26, v26, v24, -v28
	v_fmac_f32_e32 v25, v27, v24
	v_add_f32_e32 v2, v2, v26
	v_add_f32_e32 v3, v3, v25
.LBB151_305:
	s_or_b64 exec, exec, s[14:15]
	v_cmp_eq_u32_e64 s[14:15], 14, v20
	s_and_b64 s[96:97], s[14:15], s[20:21]
	s_barrier
	s_and_saveexec_b64 s[14:15], s[96:97]
; %bb.306:
	ds_write_b64 v21, v[2:3]
; %bb.307:
	s_or_b64 exec, exec, s[14:15]
	v_cmp_eq_u32_e64 s[14:15], 15, v20
	s_and_b64 s[92:93], s[14:15], s[20:21]
	s_waitcnt lgkmcnt(0)
	s_barrier
	s_and_saveexec_b64 s[14:15], s[92:93]
	s_cbranch_execz .LBB151_309
; %bb.308:
	v_mov_b32_e32 v24, 0
	ds_read_b64 v[24:25], v24 offset:15608
	ds_read_b64 v[26:27], v21
	s_waitcnt lgkmcnt(0)
	v_mul_f32_e32 v28, v27, v25
	v_mul_f32_e32 v25, v26, v25
	v_fma_f32 v26, v26, v24, -v28
	v_fmac_f32_e32 v25, v27, v24
	v_add_f32_e32 v2, v2, v26
	v_add_f32_e32 v3, v3, v25
.LBB151_309:
	s_or_b64 exec, exec, s[14:15]
	s_barrier
	s_and_saveexec_b64 s[14:15], s[92:93]
; %bb.310:
	ds_write_b64 v21, v[2:3]
; %bb.311:
	s_or_b64 exec, exec, s[14:15]
	s_waitcnt lgkmcnt(0)
	s_barrier
	s_barrier
	s_and_saveexec_b64 s[14:15], s[12:13]
; %bb.312:
	v_xor_b32_e32 v2, 0x80000000, v2
	v_xor_b32_e32 v3, 0x80000000, v3
	ds_write_b64 v19, v[2:3] offset:128
; %bb.313:
	s_or_b64 exec, exec, s[14:15]
	s_waitcnt lgkmcnt(0)
	s_barrier
	s_barrier
	s_and_saveexec_b64 s[14:15], vcc
	s_cbranch_execz .LBB151_315
; %bb.314:
	s_mov_b64 s[16:17], 0x3f800000
	v_mov_b32_e32 v2, s16
	v_mov_b32_e32 v3, s17
	s_movk_i32 s16, 0x2000
	v_add_u32_e64 v24, s16, 0
	ds_write2_b64 v24, v[2:3], v[2:3] offset0:16 offset1:81
.LBB151_315:
	s_or_b64 exec, exec, s[14:15]
	v_mov_b32_e32 v3, 0
	v_mov_b32_e32 v2, 0
	s_waitcnt lgkmcnt(0)
	s_barrier
	s_and_saveexec_b64 s[16:17], s[6:7]
	s_cbranch_execz .LBB151_319
; %bb.316:
	v_mul_u32_u24_e32 v24, 0x208, v6
	ds_read_b64 v[2:3], v4 offset:8336
	ds_read_b64 v[24:25], v24 offset:8320
	v_cmp_gt_u32_e64 s[14:15], 2, v7
	s_waitcnt lgkmcnt(0)
	v_mul_f32_e32 v26, v25, v3
	v_mul_f32_e32 v3, v24, v3
	v_fma_f32 v24, v24, v2, -v26
	v_fmac_f32_e32 v3, v25, v2
	v_add_f32_e32 v2, 0, v24
	v_add_f32_e32 v3, 0, v3
	s_and_saveexec_b64 s[20:21], s[14:15]
	s_cbranch_execz .LBB151_318
; %bb.317:
	v_lshlrev_b32_e32 v24, 3, v0
	v_mov_b32_e32 v26, 0
	ds_read_b64 v[24:25], v24 offset:8848
	ds_read_b64 v[26:27], v26 offset:8328
	s_waitcnt lgkmcnt(0)
	v_mul_f32_e32 v28, v27, v25
	v_mul_f32_e32 v25, v26, v25
	v_fma_f32 v26, v26, v24, -v28
	v_fmac_f32_e32 v25, v27, v24
	v_add_f32_e32 v2, v2, v26
	v_add_f32_e32 v3, v3, v25
.LBB151_318:
	s_or_b64 exec, exec, s[20:21]
	v_xor_b32_e32 v2, 0x80000000, v2
	v_xor_b32_e32 v3, 0x80000000, v3
.LBB151_319:
	s_or_b64 exec, exec, s[16:17]
	s_and_saveexec_b64 s[14:15], s[42:43]
; %bb.320:
	ds_write_b64 v5, v[2:3]
; %bb.321:
	s_or_b64 exec, exec, s[14:15]
	s_waitcnt lgkmcnt(0)
	s_barrier
	s_and_saveexec_b64 s[14:15], s[40:41]
	s_cbranch_execz .LBB151_323
; %bb.322:
	v_mov_b32_e32 v24, 0
	ds_read_b64 v[24:25], v24 offset:9368
	ds_read_b64 v[26:27], v5
	s_waitcnt lgkmcnt(0)
	v_mul_f32_e32 v28, v27, v25
	v_mul_f32_e32 v25, v26, v25
	v_fma_f32 v26, v26, v24, -v28
	v_fmac_f32_e32 v25, v27, v24
	v_add_f32_e32 v2, v2, v26
	v_add_f32_e32 v3, v3, v25
.LBB151_323:
	s_or_b64 exec, exec, s[14:15]
	s_barrier
	s_and_saveexec_b64 s[14:15], s[40:41]
; %bb.324:
	ds_write_b64 v5, v[2:3]
; %bb.325:
	s_or_b64 exec, exec, s[14:15]
	s_waitcnt lgkmcnt(0)
	s_barrier
	s_barrier
	s_and_saveexec_b64 s[14:15], s[6:7]
; %bb.326:
	v_xor_b32_e32 v3, 0x80000000, v3
	v_xor_b32_e32 v2, 0x80000000, v2
	ds_write_b64 v4, v[2:3] offset:8336
; %bb.327:
	s_or_b64 exec, exec, s[14:15]
	s_waitcnt lgkmcnt(0)
	s_barrier
	s_barrier
	s_and_saveexec_b64 s[14:15], vcc
	s_cbranch_execz .LBB151_329
; %bb.328:
	s_mov_b64 s[16:17], 0x3f800000
	v_mov_b32_e32 v2, s16
	v_mov_b32_e32 v3, s17
	s_movk_i32 s16, 0x2000
	v_add_u32_e64 v24, s16, 0
	ds_write2_b64 v24, v[2:3], v[2:3] offset0:146 offset1:211
.LBB151_329:
	s_or_b64 exec, exec, s[14:15]
	v_mov_b32_e32 v3, 0
	v_mov_b32_e32 v2, 0
	s_waitcnt lgkmcnt(0)
	s_barrier
	s_and_saveexec_b64 s[16:17], s[18:19]
	s_cbranch_execz .LBB151_335
; %bb.330:
	v_mul_u32_u24_e32 v24, 0x208, v13
	ds_read_b64 v[2:3], v9 offset:8352
	ds_read_b64 v[25:26], v24 offset:8320
	v_cmp_gt_u32_e64 s[14:15], 12, v7
	s_waitcnt lgkmcnt(0)
	v_mul_f32_e32 v27, v26, v3
	v_mul_f32_e32 v3, v25, v3
	v_fma_f32 v25, v25, v2, -v27
	v_fmac_f32_e32 v3, v26, v2
	v_add_f32_e32 v2, 0, v25
	v_add_f32_e32 v3, 0, v3
	s_and_saveexec_b64 s[20:21], s[14:15]
	s_cbranch_execnz .LBB151_1004
; %bb.331:
	s_or_b64 exec, exec, s[20:21]
	v_cmp_gt_u32_e64 s[14:15], 8, v7
	s_and_saveexec_b64 s[20:21], s[14:15]
	s_cbranch_execnz .LBB151_1005
.LBB151_332:
	s_or_b64 exec, exec, s[20:21]
	v_cmp_gt_u32_e64 s[14:15], 4, v7
	s_and_saveexec_b64 s[20:21], s[14:15]
	s_cbranch_execz .LBB151_334
.LBB151_333:
	v_lshlrev_b32_e32 v24, 3, v0
	v_mov_b32_e32 v26, 0
	ds_read_b64 v[24:25], v24 offset:9888
	ds_read_b64 v[26:27], v26 offset:8344
	s_waitcnt lgkmcnt(0)
	v_mul_f32_e32 v28, v27, v25
	v_mul_f32_e32 v25, v26, v25
	v_fma_f32 v26, v26, v24, -v28
	v_fmac_f32_e32 v25, v27, v24
	v_add_f32_e32 v2, v2, v26
	v_add_f32_e32 v3, v3, v25
.LBB151_334:
	s_or_b64 exec, exec, s[20:21]
	v_xor_b32_e32 v2, 0x80000000, v2
	v_xor_b32_e32 v3, 0x80000000, v3
.LBB151_335:
	s_or_b64 exec, exec, s[16:17]
	s_and_saveexec_b64 s[14:15], s[46:47]
; %bb.336:
	ds_write_b64 v11, v[2:3]
; %bb.337:
	s_or_b64 exec, exec, s[14:15]
	s_waitcnt lgkmcnt(0)
	s_barrier
	s_and_saveexec_b64 s[14:15], s[48:49]
	s_cbranch_execz .LBB151_339
; %bb.338:
	ds_read_b64 v[24:25], v10 offset:10400
	ds_read_b64 v[26:27], v11
	s_waitcnt lgkmcnt(0)
	v_mul_f32_e32 v28, v27, v25
	v_mul_f32_e32 v25, v26, v25
	v_fma_f32 v26, v26, v24, -v28
	v_fmac_f32_e32 v25, v27, v24
	v_add_f32_e32 v2, v2, v26
	v_add_f32_e32 v3, v3, v25
.LBB151_339:
	s_or_b64 exec, exec, s[14:15]
	s_barrier
	s_and_saveexec_b64 s[14:15], s[50:51]
; %bb.340:
	ds_write_b64 v11, v[2:3]
; %bb.341:
	s_or_b64 exec, exec, s[14:15]
	s_waitcnt lgkmcnt(0)
	s_barrier
	s_and_saveexec_b64 s[14:15], s[52:53]
	s_cbranch_execz .LBB151_343
; %bb.342:
	ds_read_b64 v[24:25], v10 offset:10912
	ds_read_b64 v[26:27], v11
	s_waitcnt lgkmcnt(0)
	v_mul_f32_e32 v28, v27, v25
	v_mul_f32_e32 v25, v26, v25
	v_fma_f32 v26, v26, v24, -v28
	v_fmac_f32_e32 v25, v27, v24
	v_add_f32_e32 v2, v2, v26
	v_add_f32_e32 v3, v3, v25
.LBB151_343:
	s_or_b64 exec, exec, s[14:15]
	s_barrier
	s_and_saveexec_b64 s[14:15], s[54:55]
; %bb.344:
	ds_write_b64 v11, v[2:3]
; %bb.345:
	s_or_b64 exec, exec, s[14:15]
	s_waitcnt lgkmcnt(0)
	s_barrier
	s_and_saveexec_b64 s[14:15], s[44:45]
	s_cbranch_execz .LBB151_347
; %bb.346:
	v_mov_b32_e32 v24, 0
	ds_read_b64 v[24:25], v24 offset:11448
	ds_read_b64 v[26:27], v11
	s_waitcnt lgkmcnt(0)
	v_mul_f32_e32 v28, v27, v25
	v_mul_f32_e32 v25, v26, v25
	v_fma_f32 v26, v26, v24, -v28
	v_fmac_f32_e32 v25, v27, v24
	v_add_f32_e32 v2, v2, v26
	v_add_f32_e32 v3, v3, v25
.LBB151_347:
	s_or_b64 exec, exec, s[14:15]
	s_barrier
	s_and_saveexec_b64 s[14:15], s[44:45]
; %bb.348:
	ds_write_b64 v11, v[2:3]
; %bb.349:
	s_or_b64 exec, exec, s[14:15]
	s_waitcnt lgkmcnt(0)
	s_barrier
	s_barrier
	s_and_saveexec_b64 s[14:15], s[18:19]
; %bb.350:
	v_xor_b32_e32 v2, 0x80000000, v2
	v_xor_b32_e32 v3, 0x80000000, v3
	ds_write_b64 v9, v[2:3] offset:8352
; %bb.351:
	s_or_b64 exec, exec, s[14:15]
	s_waitcnt lgkmcnt(0)
	s_barrier
	s_barrier
	s_and_saveexec_b64 s[14:15], vcc
	s_cbranch_execz .LBB151_353
; %bb.352:
	s_mov_b64 s[16:17], 0x3f800000
	v_mov_b32_e32 v2, s16
	v_mov_b32_e32 v3, s17
	s_movk_i32 s16, 0x2800
	v_add_u32_e64 v24, s16, 0
	ds_write2_b64 v24, v[2:3], v[2:3] offset0:20 offset1:85
.LBB151_353:
	s_or_b64 exec, exec, s[14:15]
	v_mov_b32_e32 v3, 0
	v_mov_b32_e32 v2, 0
	s_waitcnt lgkmcnt(0)
	s_barrier
	s_and_saveexec_b64 s[16:17], s[6:7]
	s_cbranch_execz .LBB151_357
; %bb.354:
	v_mul_u32_u24_e32 v24, 0x208, v6
	ds_read_b64 v[2:3], v4 offset:10416
	ds_read_b64 v[24:25], v24 offset:10400
	v_cmp_gt_u32_e64 s[14:15], 2, v7
	s_waitcnt lgkmcnt(0)
	v_mul_f32_e32 v26, v25, v3
	v_mul_f32_e32 v3, v24, v3
	v_fma_f32 v24, v24, v2, -v26
	v_fmac_f32_e32 v3, v25, v2
	v_add_f32_e32 v2, 0, v24
	v_add_f32_e32 v3, 0, v3
	s_and_saveexec_b64 s[20:21], s[14:15]
	s_cbranch_execz .LBB151_356
; %bb.355:
	v_lshlrev_b32_e32 v24, 3, v0
	v_mov_b32_e32 v26, 0
	ds_read_b64 v[24:25], v24 offset:10928
	ds_read_b64 v[26:27], v26 offset:10408
	s_waitcnt lgkmcnt(0)
	v_mul_f32_e32 v28, v27, v25
	v_mul_f32_e32 v25, v26, v25
	v_fma_f32 v26, v26, v24, -v28
	v_fmac_f32_e32 v25, v27, v24
	v_add_f32_e32 v2, v2, v26
	v_add_f32_e32 v3, v3, v25
.LBB151_356:
	s_or_b64 exec, exec, s[20:21]
	v_xor_b32_e32 v2, 0x80000000, v2
	v_xor_b32_e32 v3, 0x80000000, v3
.LBB151_357:
	s_or_b64 exec, exec, s[16:17]
	s_and_saveexec_b64 s[14:15], s[42:43]
; %bb.358:
	ds_write_b64 v5, v[2:3]
; %bb.359:
	s_or_b64 exec, exec, s[14:15]
	s_waitcnt lgkmcnt(0)
	s_barrier
	s_and_saveexec_b64 s[14:15], s[40:41]
	s_cbranch_execz .LBB151_361
; %bb.360:
	v_mov_b32_e32 v24, 0
	ds_read_b64 v[24:25], v24 offset:11448
	ds_read_b64 v[26:27], v5
	s_waitcnt lgkmcnt(0)
	v_mul_f32_e32 v28, v27, v25
	v_mul_f32_e32 v25, v26, v25
	v_fma_f32 v26, v26, v24, -v28
	v_fmac_f32_e32 v25, v27, v24
	v_add_f32_e32 v2, v2, v26
	v_add_f32_e32 v3, v3, v25
.LBB151_361:
	s_or_b64 exec, exec, s[14:15]
	s_barrier
	s_and_saveexec_b64 s[14:15], s[40:41]
; %bb.362:
	ds_write_b64 v5, v[2:3]
; %bb.363:
	s_or_b64 exec, exec, s[14:15]
	s_waitcnt lgkmcnt(0)
	s_barrier
	s_barrier
	s_and_saveexec_b64 s[14:15], s[6:7]
; %bb.364:
	v_xor_b32_e32 v3, 0x80000000, v3
	v_xor_b32_e32 v2, 0x80000000, v2
	ds_write_b64 v4, v[2:3] offset:10416
; %bb.365:
	s_or_b64 exec, exec, s[14:15]
	s_waitcnt lgkmcnt(0)
	s_barrier
	s_barrier
	s_and_saveexec_b64 s[14:15], vcc
	s_cbranch_execz .LBB151_367
; %bb.366:
	s_mov_b64 s[16:17], 0x3f800000
	v_mov_b32_e32 v2, s16
	v_mov_b32_e32 v3, s17
	s_movk_i32 s16, 0x2800
	v_add_u32_e64 v24, s16, 0
	ds_write2_b64 v24, v[2:3], v[2:3] offset0:150 offset1:215
.LBB151_367:
	s_or_b64 exec, exec, s[14:15]
	v_mov_b32_e32 v3, 0
	v_mov_b32_e32 v2, 0
	s_waitcnt lgkmcnt(0)
	s_barrier
	s_and_saveexec_b64 s[16:17], s[10:11]
	s_cbranch_execz .LBB151_377
; %bb.368:
	v_mul_u32_u24_e32 v24, 0x208, v18
	ds_read_b64 v[2:3], v14 offset:8384
	ds_read_b64 v[25:26], v24 offset:8320
	v_cmp_gt_u32_e64 s[14:15], 56, v7
	s_waitcnt lgkmcnt(0)
	v_mul_f32_e32 v27, v26, v3
	v_mul_f32_e32 v3, v25, v3
	v_fma_f32 v25, v25, v2, -v27
	v_fmac_f32_e32 v3, v26, v2
	v_add_f32_e32 v2, 0, v25
	v_add_f32_e32 v3, 0, v3
	s_and_saveexec_b64 s[20:21], s[14:15]
	s_cbranch_execnz .LBB151_1006
; %bb.369:
	s_or_b64 exec, exec, s[20:21]
	v_cmp_gt_u32_e64 s[14:15], 48, v7
	s_and_saveexec_b64 s[20:21], s[14:15]
	s_cbranch_execnz .LBB151_1007
.LBB151_370:
	s_or_b64 exec, exec, s[20:21]
	v_cmp_gt_u32_e64 s[14:15], 40, v7
	s_and_saveexec_b64 s[20:21], s[14:15]
	s_cbranch_execnz .LBB151_1008
.LBB151_371:
	s_or_b64 exec, exec, s[20:21]
	v_cmp_gt_u32_e64 s[14:15], 32, v7
	s_and_saveexec_b64 s[20:21], s[14:15]
	s_cbranch_execnz .LBB151_1009
.LBB151_372:
	s_or_b64 exec, exec, s[20:21]
	v_cmp_gt_u32_e64 s[14:15], 24, v7
	s_and_saveexec_b64 s[20:21], s[14:15]
	s_cbranch_execnz .LBB151_1010
.LBB151_373:
	s_or_b64 exec, exec, s[20:21]
	v_cmp_gt_u32_e64 s[14:15], 16, v7
	s_and_saveexec_b64 s[20:21], s[14:15]
	s_cbranch_execnz .LBB151_1011
.LBB151_374:
	s_or_b64 exec, exec, s[20:21]
	v_cmp_gt_u32_e64 s[14:15], 8, v7
	s_and_saveexec_b64 s[20:21], s[14:15]
	s_cbranch_execz .LBB151_376
.LBB151_375:
	v_lshlrev_b32_e32 v24, 3, v0
	v_mov_b32_e32 v26, 0
	ds_read_b64 v[24:25], v24 offset:11968
	ds_read_b64 v[26:27], v26 offset:8376
	s_waitcnt lgkmcnt(0)
	v_mul_f32_e32 v28, v27, v25
	v_mul_f32_e32 v25, v26, v25
	v_fma_f32 v26, v26, v24, -v28
	v_fmac_f32_e32 v25, v27, v24
	v_add_f32_e32 v2, v2, v26
	v_add_f32_e32 v3, v3, v25
.LBB151_376:
	s_or_b64 exec, exec, s[20:21]
	v_xor_b32_e32 v2, 0x80000000, v2
	v_xor_b32_e32 v3, 0x80000000, v3
.LBB151_377:
	s_or_b64 exec, exec, s[16:17]
	s_and_saveexec_b64 s[14:15], s[58:59]
; %bb.378:
	ds_write_b64 v16, v[2:3]
; %bb.379:
	s_or_b64 exec, exec, s[14:15]
	s_waitcnt lgkmcnt(0)
	s_barrier
	s_and_saveexec_b64 s[14:15], s[60:61]
	s_cbranch_execz .LBB151_381
; %bb.380:
	ds_read_b64 v[24:25], v15 offset:12480
	ds_read_b64 v[26:27], v16
	s_waitcnt lgkmcnt(0)
	v_mul_f32_e32 v28, v27, v25
	v_mul_f32_e32 v25, v26, v25
	v_fma_f32 v26, v26, v24, -v28
	v_fmac_f32_e32 v25, v27, v24
	v_add_f32_e32 v2, v2, v26
	v_add_f32_e32 v3, v3, v25
.LBB151_381:
	s_or_b64 exec, exec, s[14:15]
	s_barrier
	s_and_saveexec_b64 s[14:15], s[62:63]
; %bb.382:
	ds_write_b64 v16, v[2:3]
; %bb.383:
	s_or_b64 exec, exec, s[14:15]
	s_waitcnt lgkmcnt(0)
	s_barrier
	s_and_saveexec_b64 s[14:15], s[64:65]
	s_cbranch_execz .LBB151_385
; %bb.384:
	ds_read_b64 v[24:25], v15 offset:12992
	ds_read_b64 v[26:27], v16
	s_waitcnt lgkmcnt(0)
	v_mul_f32_e32 v28, v27, v25
	v_mul_f32_e32 v25, v26, v25
	v_fma_f32 v26, v26, v24, -v28
	v_fmac_f32_e32 v25, v27, v24
	v_add_f32_e32 v2, v2, v26
	v_add_f32_e32 v3, v3, v25
.LBB151_385:
	s_or_b64 exec, exec, s[14:15]
	s_barrier
	;; [unrolled: 22-line block ×6, first 2 shown]
	s_and_saveexec_b64 s[14:15], s[82:83]
; %bb.402:
	ds_write_b64 v16, v[2:3]
; %bb.403:
	s_or_b64 exec, exec, s[14:15]
	s_waitcnt lgkmcnt(0)
	s_barrier
	s_and_saveexec_b64 s[14:15], s[56:57]
	s_cbranch_execz .LBB151_405
; %bb.404:
	v_mov_b32_e32 v24, 0
	ds_read_b64 v[24:25], v24 offset:15608
	ds_read_b64 v[26:27], v16
	s_waitcnt lgkmcnt(0)
	v_mul_f32_e32 v28, v27, v25
	v_mul_f32_e32 v25, v26, v25
	v_fma_f32 v26, v26, v24, -v28
	v_fmac_f32_e32 v25, v27, v24
	v_add_f32_e32 v2, v2, v26
	v_add_f32_e32 v3, v3, v25
.LBB151_405:
	s_or_b64 exec, exec, s[14:15]
	s_barrier
	s_and_saveexec_b64 s[14:15], s[56:57]
; %bb.406:
	ds_write_b64 v16, v[2:3]
; %bb.407:
	s_or_b64 exec, exec, s[14:15]
	s_waitcnt lgkmcnt(0)
	s_barrier
	s_barrier
	s_and_saveexec_b64 s[14:15], s[10:11]
; %bb.408:
	v_xor_b32_e32 v3, 0x80000000, v3
	v_xor_b32_e32 v2, 0x80000000, v2
	ds_write_b64 v14, v[2:3] offset:8384
; %bb.409:
	s_or_b64 exec, exec, s[14:15]
	s_waitcnt lgkmcnt(0)
	s_barrier
	s_barrier
	s_and_saveexec_b64 s[14:15], vcc
	s_cbranch_execz .LBB151_411
; %bb.410:
	s_mov_b64 s[16:17], 0x3f800000
	v_mov_b32_e32 v2, s16
	v_mov_b32_e32 v3, s17
	s_movk_i32 s16, 0x3000
	v_add_u32_e64 v24, s16, 0
	ds_write2_b64 v24, v[2:3], v[2:3] offset0:24 offset1:89
.LBB151_411:
	s_or_b64 exec, exec, s[14:15]
	v_mov_b32_e32 v3, 0
	v_mov_b32_e32 v2, 0
	s_waitcnt lgkmcnt(0)
	s_barrier
	s_and_saveexec_b64 s[16:17], s[6:7]
	s_cbranch_execz .LBB151_415
; %bb.412:
	v_mul_u32_u24_e32 v24, 0x208, v6
	ds_read_b64 v[2:3], v4 offset:12496
	ds_read_b64 v[24:25], v24 offset:12480
	v_cmp_gt_u32_e64 s[14:15], 2, v7
	s_waitcnt lgkmcnt(0)
	v_mul_f32_e32 v26, v25, v3
	v_mul_f32_e32 v3, v24, v3
	v_fma_f32 v24, v24, v2, -v26
	v_fmac_f32_e32 v3, v25, v2
	v_add_f32_e32 v2, 0, v24
	v_add_f32_e32 v3, 0, v3
	s_and_saveexec_b64 s[20:21], s[14:15]
	s_cbranch_execz .LBB151_414
; %bb.413:
	v_lshlrev_b32_e32 v24, 3, v0
	v_mov_b32_e32 v26, 0
	ds_read_b64 v[24:25], v24 offset:13008
	ds_read_b64 v[26:27], v26 offset:12488
	s_waitcnt lgkmcnt(0)
	v_mul_f32_e32 v28, v27, v25
	v_mul_f32_e32 v25, v26, v25
	v_fma_f32 v26, v26, v24, -v28
	v_fmac_f32_e32 v25, v27, v24
	v_add_f32_e32 v2, v2, v26
	v_add_f32_e32 v3, v3, v25
.LBB151_414:
	s_or_b64 exec, exec, s[20:21]
	v_xor_b32_e32 v2, 0x80000000, v2
	v_xor_b32_e32 v3, 0x80000000, v3
.LBB151_415:
	s_or_b64 exec, exec, s[16:17]
	s_and_saveexec_b64 s[14:15], s[42:43]
; %bb.416:
	ds_write_b64 v5, v[2:3]
; %bb.417:
	s_or_b64 exec, exec, s[14:15]
	s_waitcnt lgkmcnt(0)
	s_barrier
	s_and_saveexec_b64 s[14:15], s[40:41]
	s_cbranch_execz .LBB151_419
; %bb.418:
	v_mov_b32_e32 v24, 0
	ds_read_b64 v[24:25], v24 offset:13528
	ds_read_b64 v[26:27], v5
	s_waitcnt lgkmcnt(0)
	v_mul_f32_e32 v28, v27, v25
	v_mul_f32_e32 v25, v26, v25
	v_fma_f32 v26, v26, v24, -v28
	v_fmac_f32_e32 v25, v27, v24
	v_add_f32_e32 v2, v2, v26
	v_add_f32_e32 v3, v3, v25
.LBB151_419:
	s_or_b64 exec, exec, s[14:15]
	s_barrier
	s_and_saveexec_b64 s[14:15], s[40:41]
; %bb.420:
	ds_write_b64 v5, v[2:3]
; %bb.421:
	s_or_b64 exec, exec, s[14:15]
	s_waitcnt lgkmcnt(0)
	s_barrier
	s_barrier
	s_and_saveexec_b64 s[14:15], s[6:7]
; %bb.422:
	v_xor_b32_e32 v3, 0x80000000, v3
	v_xor_b32_e32 v2, 0x80000000, v2
	ds_write_b64 v4, v[2:3] offset:12496
; %bb.423:
	s_or_b64 exec, exec, s[14:15]
	s_waitcnt lgkmcnt(0)
	s_barrier
	s_barrier
	s_and_saveexec_b64 s[14:15], vcc
	s_cbranch_execz .LBB151_425
; %bb.424:
	s_mov_b64 s[16:17], 0x3f800000
	v_mov_b32_e32 v2, s16
	v_mov_b32_e32 v3, s17
	s_movk_i32 s16, 0x3000
	v_add_u32_e64 v24, s16, 0
	ds_write2_b64 v24, v[2:3], v[2:3] offset0:154 offset1:219
.LBB151_425:
	s_or_b64 exec, exec, s[14:15]
	v_mov_b32_e32 v3, 0
	v_mov_b32_e32 v2, 0
	s_waitcnt lgkmcnt(0)
	s_barrier
	s_and_saveexec_b64 s[16:17], s[18:19]
	s_cbranch_execz .LBB151_431
; %bb.426:
	v_mul_u32_u24_e32 v24, 0x208, v13
	ds_read_b64 v[2:3], v9 offset:12512
	ds_read_b64 v[25:26], v24 offset:12480
	v_cmp_gt_u32_e64 s[14:15], 12, v7
	s_waitcnt lgkmcnt(0)
	v_mul_f32_e32 v27, v26, v3
	v_mul_f32_e32 v3, v25, v3
	v_fma_f32 v25, v25, v2, -v27
	v_fmac_f32_e32 v3, v26, v2
	v_add_f32_e32 v2, 0, v25
	v_add_f32_e32 v3, 0, v3
	s_and_saveexec_b64 s[20:21], s[14:15]
	s_cbranch_execnz .LBB151_1012
; %bb.427:
	s_or_b64 exec, exec, s[20:21]
	v_cmp_gt_u32_e64 s[14:15], 8, v7
	s_and_saveexec_b64 s[20:21], s[14:15]
	s_cbranch_execnz .LBB151_1013
.LBB151_428:
	s_or_b64 exec, exec, s[20:21]
	v_cmp_gt_u32_e64 s[14:15], 4, v7
	s_and_saveexec_b64 s[20:21], s[14:15]
	s_cbranch_execz .LBB151_430
.LBB151_429:
	v_lshlrev_b32_e32 v24, 3, v0
	v_mov_b32_e32 v26, 0
	ds_read_b64 v[24:25], v24 offset:14048
	ds_read_b64 v[26:27], v26 offset:12504
	s_waitcnt lgkmcnt(0)
	v_mul_f32_e32 v28, v27, v25
	v_mul_f32_e32 v25, v26, v25
	v_fma_f32 v26, v26, v24, -v28
	v_fmac_f32_e32 v25, v27, v24
	v_add_f32_e32 v2, v2, v26
	v_add_f32_e32 v3, v3, v25
.LBB151_430:
	s_or_b64 exec, exec, s[20:21]
	v_xor_b32_e32 v2, 0x80000000, v2
	v_xor_b32_e32 v3, 0x80000000, v3
.LBB151_431:
	s_or_b64 exec, exec, s[16:17]
	s_and_saveexec_b64 s[14:15], s[46:47]
; %bb.432:
	ds_write_b64 v11, v[2:3]
; %bb.433:
	s_or_b64 exec, exec, s[14:15]
	s_waitcnt lgkmcnt(0)
	s_barrier
	s_and_saveexec_b64 s[14:15], s[48:49]
	s_cbranch_execz .LBB151_435
; %bb.434:
	ds_read_b64 v[24:25], v10 offset:14560
	ds_read_b64 v[26:27], v11
	s_waitcnt lgkmcnt(0)
	v_mul_f32_e32 v28, v27, v25
	v_mul_f32_e32 v25, v26, v25
	v_fma_f32 v26, v26, v24, -v28
	v_fmac_f32_e32 v25, v27, v24
	v_add_f32_e32 v2, v2, v26
	v_add_f32_e32 v3, v3, v25
.LBB151_435:
	s_or_b64 exec, exec, s[14:15]
	s_barrier
	s_and_saveexec_b64 s[14:15], s[50:51]
; %bb.436:
	ds_write_b64 v11, v[2:3]
; %bb.437:
	s_or_b64 exec, exec, s[14:15]
	s_waitcnt lgkmcnt(0)
	s_barrier
	s_and_saveexec_b64 s[14:15], s[52:53]
	s_cbranch_execz .LBB151_439
; %bb.438:
	ds_read_b64 v[24:25], v10 offset:15072
	ds_read_b64 v[26:27], v11
	s_waitcnt lgkmcnt(0)
	v_mul_f32_e32 v28, v27, v25
	v_mul_f32_e32 v25, v26, v25
	v_fma_f32 v26, v26, v24, -v28
	v_fmac_f32_e32 v25, v27, v24
	v_add_f32_e32 v2, v2, v26
	v_add_f32_e32 v3, v3, v25
.LBB151_439:
	s_or_b64 exec, exec, s[14:15]
	s_barrier
	s_and_saveexec_b64 s[14:15], s[54:55]
; %bb.440:
	ds_write_b64 v11, v[2:3]
; %bb.441:
	s_or_b64 exec, exec, s[14:15]
	s_waitcnt lgkmcnt(0)
	s_barrier
	s_and_saveexec_b64 s[14:15], s[44:45]
	s_cbranch_execz .LBB151_443
; %bb.442:
	v_mov_b32_e32 v24, 0
	ds_read_b64 v[24:25], v24 offset:15608
	ds_read_b64 v[26:27], v11
	s_waitcnt lgkmcnt(0)
	v_mul_f32_e32 v28, v27, v25
	v_mul_f32_e32 v25, v26, v25
	v_fma_f32 v26, v26, v24, -v28
	v_fmac_f32_e32 v25, v27, v24
	v_add_f32_e32 v2, v2, v26
	v_add_f32_e32 v3, v3, v25
.LBB151_443:
	s_or_b64 exec, exec, s[14:15]
	s_barrier
	s_and_saveexec_b64 s[14:15], s[44:45]
; %bb.444:
	ds_write_b64 v11, v[2:3]
; %bb.445:
	s_or_b64 exec, exec, s[14:15]
	s_waitcnt lgkmcnt(0)
	s_barrier
	s_barrier
	s_and_saveexec_b64 s[14:15], s[18:19]
; %bb.446:
	v_xor_b32_e32 v2, 0x80000000, v2
	v_xor_b32_e32 v3, 0x80000000, v3
	ds_write_b64 v9, v[2:3] offset:12512
; %bb.447:
	s_or_b64 exec, exec, s[14:15]
	s_waitcnt lgkmcnt(0)
	s_barrier
	s_barrier
	s_and_saveexec_b64 s[14:15], vcc
	s_cbranch_execz .LBB151_449
; %bb.448:
	s_mov_b64 s[16:17], 0x3f800000
	v_mov_b32_e32 v2, s16
	v_mov_b32_e32 v3, s17
	s_movk_i32 s16, 0x3800
	v_add_u32_e64 v24, s16, 0
	ds_write2_b64 v24, v[2:3], v[2:3] offset0:28 offset1:93
.LBB151_449:
	s_or_b64 exec, exec, s[14:15]
	v_mov_b32_e32 v3, 0
	v_mov_b32_e32 v2, 0
	s_waitcnt lgkmcnt(0)
	s_barrier
	s_and_saveexec_b64 s[16:17], s[6:7]
	s_cbranch_execz .LBB151_453
; %bb.450:
	v_mul_u32_u24_e32 v24, 0x208, v6
	ds_read_b64 v[2:3], v4 offset:14576
	ds_read_b64 v[24:25], v24 offset:14560
	v_cmp_gt_u32_e64 s[14:15], 2, v7
	s_waitcnt lgkmcnt(0)
	v_mul_f32_e32 v26, v25, v3
	v_mul_f32_e32 v3, v24, v3
	v_fma_f32 v24, v24, v2, -v26
	v_fmac_f32_e32 v3, v25, v2
	v_add_f32_e32 v2, 0, v24
	v_add_f32_e32 v3, 0, v3
	s_and_saveexec_b64 s[20:21], s[14:15]
	s_cbranch_execz .LBB151_452
; %bb.451:
	v_lshlrev_b32_e32 v24, 3, v0
	v_mov_b32_e32 v26, 0
	ds_read_b64 v[24:25], v24 offset:15088
	ds_read_b64 v[26:27], v26 offset:14568
	s_waitcnt lgkmcnt(0)
	v_mul_f32_e32 v28, v27, v25
	v_mul_f32_e32 v25, v26, v25
	v_fma_f32 v26, v26, v24, -v28
	v_fmac_f32_e32 v25, v27, v24
	v_add_f32_e32 v2, v2, v26
	v_add_f32_e32 v3, v3, v25
.LBB151_452:
	s_or_b64 exec, exec, s[20:21]
	v_xor_b32_e32 v2, 0x80000000, v2
	v_xor_b32_e32 v3, 0x80000000, v3
.LBB151_453:
	s_or_b64 exec, exec, s[16:17]
	s_and_saveexec_b64 s[14:15], s[42:43]
; %bb.454:
	ds_write_b64 v5, v[2:3]
; %bb.455:
	s_or_b64 exec, exec, s[14:15]
	s_waitcnt lgkmcnt(0)
	s_barrier
	s_and_saveexec_b64 s[14:15], s[40:41]
	s_cbranch_execz .LBB151_457
; %bb.456:
	v_mov_b32_e32 v24, 0
	ds_read_b64 v[24:25], v24 offset:15608
	ds_read_b64 v[26:27], v5
	s_waitcnt lgkmcnt(0)
	v_mul_f32_e32 v28, v27, v25
	v_mul_f32_e32 v25, v26, v25
	v_fma_f32 v26, v26, v24, -v28
	v_fmac_f32_e32 v25, v27, v24
	v_add_f32_e32 v2, v2, v26
	v_add_f32_e32 v3, v3, v25
.LBB151_457:
	s_or_b64 exec, exec, s[14:15]
	s_barrier
	s_and_saveexec_b64 s[14:15], s[40:41]
; %bb.458:
	ds_write_b64 v5, v[2:3]
; %bb.459:
	s_or_b64 exec, exec, s[14:15]
	s_waitcnt lgkmcnt(0)
	s_barrier
	s_barrier
	s_and_saveexec_b64 s[14:15], s[6:7]
; %bb.460:
	v_xor_b32_e32 v3, 0x80000000, v3
	v_xor_b32_e32 v2, 0x80000000, v2
	ds_write_b64 v4, v[2:3] offset:14576
; %bb.461:
	s_or_b64 exec, exec, s[14:15]
	s_waitcnt lgkmcnt(0)
	s_barrier
	s_barrier
	s_and_saveexec_b64 s[14:15], vcc
	s_cbranch_execz .LBB151_463
; %bb.462:
	s_mov_b64 s[16:17], 0x3f800000
	v_mov_b32_e32 v2, s16
	v_mov_b32_e32 v3, s17
	s_movk_i32 s16, 0x3800
	v_add_u32_e64 v24, s16, 0
	ds_write2_b64 v24, v[2:3], v[2:3] offset0:158 offset1:223
.LBB151_463:
	s_or_b64 exec, exec, s[14:15]
	s_movk_i32 s14, 0x3ff
	v_lshrrev_b32_e32 v26, 5, v7
	v_cmp_lt_u32_e64 s[16:17], s14, v7
	s_movk_i32 s14, 0x400
	v_mov_b32_e32 v3, 0
	v_and_b32_e32 v24, 31, v0
	v_cmp_gt_u32_e64 s[14:15], s14, v7
	v_lshlrev_b32_e32 v25, 9, v26
	v_mov_b32_e32 v2, v3
	s_waitcnt lgkmcnt(0)
	s_barrier
	s_and_saveexec_b64 s[84:85], s[14:15]
	s_cbranch_execz .LBB151_525
; %bb.464:
	v_lshlrev_b32_e32 v27, 3, v24
	v_add_u32_e32 v29, v27, v25
	v_mul_u32_u24_e32 v28, 0x208, v26
	ds_read_b64 v[2:3], v29 offset:256
	ds_read_b64 v[30:31], v28
	s_movk_i32 s20, 0x3e0
	v_cmp_gt_u32_e64 s[20:21], s20, v7
	s_waitcnt lgkmcnt(0)
	v_mul_f32_e32 v32, v31, v3
	v_mul_f32_e32 v3, v30, v3
	v_fma_f32 v30, v30, v2, -v32
	v_fmac_f32_e32 v3, v31, v2
	v_add_f32_e32 v2, 0, v30
	v_add_f32_e32 v3, 0, v3
	s_and_saveexec_b64 s[98:99], s[20:21]
	s_cbranch_execz .LBB151_466
; %bb.465:
	ds_read_b64 v[30:31], v29 offset:768
	ds_read_b64 v[32:33], v28 offset:8
	s_waitcnt lgkmcnt(0)
	v_mul_f32_e32 v34, v33, v31
	v_mul_f32_e32 v31, v32, v31
	v_fma_f32 v32, v32, v30, -v34
	v_fmac_f32_e32 v31, v33, v30
	v_add_f32_e32 v2, v2, v32
	v_add_f32_e32 v3, v3, v31
.LBB151_466:
	s_or_b64 exec, exec, s[98:99]
	s_movk_i32 s20, 0x3c0
	v_cmp_gt_u32_e64 s[20:21], s20, v7
	s_and_saveexec_b64 s[98:99], s[20:21]
	s_cbranch_execz .LBB151_468
; %bb.467:
	ds_read_b64 v[30:31], v29 offset:1280
	ds_read_b64 v[32:33], v28 offset:16
	s_waitcnt lgkmcnt(0)
	v_mul_f32_e32 v34, v33, v31
	v_mul_f32_e32 v31, v32, v31
	v_fma_f32 v32, v32, v30, -v34
	v_fmac_f32_e32 v31, v33, v30
	v_add_f32_e32 v2, v2, v32
	v_add_f32_e32 v3, v3, v31
.LBB151_468:
	s_or_b64 exec, exec, s[98:99]
	s_movk_i32 s20, 0x3a0
	v_cmp_gt_u32_e64 s[20:21], s20, v7
	s_and_saveexec_b64 s[98:99], s[20:21]
	s_cbranch_execz .LBB151_470
; %bb.469:
	ds_read_b64 v[30:31], v29 offset:1792
	ds_read_b64 v[32:33], v28 offset:24
	s_waitcnt lgkmcnt(0)
	v_mul_f32_e32 v34, v33, v31
	v_mul_f32_e32 v31, v32, v31
	v_fma_f32 v32, v32, v30, -v34
	v_fmac_f32_e32 v31, v33, v30
	v_add_f32_e32 v2, v2, v32
	v_add_f32_e32 v3, v3, v31
.LBB151_470:
	s_or_b64 exec, exec, s[98:99]
	s_movk_i32 s20, 0x380
	v_cmp_gt_u32_e64 s[20:21], s20, v7
	s_and_saveexec_b64 s[98:99], s[20:21]
	s_cbranch_execz .LBB151_472
; %bb.471:
	ds_read_b64 v[30:31], v29 offset:2304
	ds_read_b64 v[32:33], v28 offset:32
	s_waitcnt lgkmcnt(0)
	v_mul_f32_e32 v34, v33, v31
	v_mul_f32_e32 v31, v32, v31
	v_fma_f32 v32, v32, v30, -v34
	v_fmac_f32_e32 v31, v33, v30
	v_add_f32_e32 v2, v2, v32
	v_add_f32_e32 v3, v3, v31
.LBB151_472:
	s_or_b64 exec, exec, s[98:99]
	s_movk_i32 s20, 0x360
	v_cmp_gt_u32_e64 s[20:21], s20, v7
	s_and_saveexec_b64 s[98:99], s[20:21]
	s_cbranch_execz .LBB151_474
; %bb.473:
	ds_read_b64 v[30:31], v29 offset:2816
	ds_read_b64 v[32:33], v28 offset:40
	s_waitcnt lgkmcnt(0)
	v_mul_f32_e32 v34, v33, v31
	v_mul_f32_e32 v31, v32, v31
	v_fma_f32 v32, v32, v30, -v34
	v_fmac_f32_e32 v31, v33, v30
	v_add_f32_e32 v2, v2, v32
	v_add_f32_e32 v3, v3, v31
.LBB151_474:
	s_or_b64 exec, exec, s[98:99]
	s_movk_i32 s20, 0x340
	v_cmp_gt_u32_e64 s[20:21], s20, v7
	s_and_saveexec_b64 s[98:99], s[20:21]
	s_cbranch_execz .LBB151_476
; %bb.475:
	ds_read_b64 v[30:31], v29 offset:3328
	ds_read_b64 v[32:33], v28 offset:48
	s_waitcnt lgkmcnt(0)
	v_mul_f32_e32 v34, v33, v31
	v_mul_f32_e32 v31, v32, v31
	v_fma_f32 v32, v32, v30, -v34
	v_fmac_f32_e32 v31, v33, v30
	v_add_f32_e32 v2, v2, v32
	v_add_f32_e32 v3, v3, v31
.LBB151_476:
	s_or_b64 exec, exec, s[98:99]
	s_movk_i32 s20, 0x320
	v_cmp_gt_u32_e64 s[20:21], s20, v7
	s_and_saveexec_b64 s[98:99], s[20:21]
	s_cbranch_execz .LBB151_478
; %bb.477:
	ds_read_b64 v[30:31], v29 offset:3840
	ds_read_b64 v[32:33], v28 offset:56
	s_waitcnt lgkmcnt(0)
	v_mul_f32_e32 v34, v33, v31
	v_mul_f32_e32 v31, v32, v31
	v_fma_f32 v32, v32, v30, -v34
	v_fmac_f32_e32 v31, v33, v30
	v_add_f32_e32 v2, v2, v32
	v_add_f32_e32 v3, v3, v31
.LBB151_478:
	s_or_b64 exec, exec, s[98:99]
	s_movk_i32 s20, 0x300
	v_cmp_gt_u32_e64 s[20:21], s20, v7
	s_and_saveexec_b64 s[98:99], s[20:21]
	s_cbranch_execz .LBB151_480
; %bb.479:
	ds_read_b64 v[30:31], v29 offset:4352
	ds_read_b64 v[32:33], v28 offset:64
	s_waitcnt lgkmcnt(0)
	v_mul_f32_e32 v34, v33, v31
	v_mul_f32_e32 v31, v32, v31
	v_fma_f32 v32, v32, v30, -v34
	v_fmac_f32_e32 v31, v33, v30
	v_add_f32_e32 v2, v2, v32
	v_add_f32_e32 v3, v3, v31
.LBB151_480:
	s_or_b64 exec, exec, s[98:99]
	s_movk_i32 s20, 0x2e0
	v_cmp_gt_u32_e64 s[20:21], s20, v7
	s_and_saveexec_b64 s[98:99], s[20:21]
	s_cbranch_execz .LBB151_482
; %bb.481:
	ds_read_b64 v[30:31], v29 offset:4864
	ds_read_b64 v[32:33], v28 offset:72
	s_waitcnt lgkmcnt(0)
	v_mul_f32_e32 v34, v33, v31
	v_mul_f32_e32 v31, v32, v31
	v_fma_f32 v32, v32, v30, -v34
	v_fmac_f32_e32 v31, v33, v30
	v_add_f32_e32 v2, v2, v32
	v_add_f32_e32 v3, v3, v31
.LBB151_482:
	s_or_b64 exec, exec, s[98:99]
	s_movk_i32 s20, 0x2c0
	v_cmp_gt_u32_e64 s[20:21], s20, v7
	s_and_saveexec_b64 s[98:99], s[20:21]
	s_cbranch_execz .LBB151_484
; %bb.483:
	ds_read_b64 v[30:31], v29 offset:5376
	ds_read_b64 v[32:33], v28 offset:80
	s_waitcnt lgkmcnt(0)
	v_mul_f32_e32 v34, v33, v31
	v_mul_f32_e32 v31, v32, v31
	v_fma_f32 v32, v32, v30, -v34
	v_fmac_f32_e32 v31, v33, v30
	v_add_f32_e32 v2, v2, v32
	v_add_f32_e32 v3, v3, v31
.LBB151_484:
	s_or_b64 exec, exec, s[98:99]
	s_movk_i32 s20, 0x2a0
	v_cmp_gt_u32_e64 s[20:21], s20, v7
	s_and_saveexec_b64 s[98:99], s[20:21]
	s_cbranch_execz .LBB151_486
; %bb.485:
	ds_read_b64 v[30:31], v29 offset:5888
	ds_read_b64 v[32:33], v28 offset:88
	s_waitcnt lgkmcnt(0)
	v_mul_f32_e32 v34, v33, v31
	v_mul_f32_e32 v31, v32, v31
	v_fma_f32 v32, v32, v30, -v34
	v_fmac_f32_e32 v31, v33, v30
	v_add_f32_e32 v2, v2, v32
	v_add_f32_e32 v3, v3, v31
.LBB151_486:
	s_or_b64 exec, exec, s[98:99]
	s_movk_i32 s20, 0x280
	v_cmp_gt_u32_e64 s[20:21], s20, v7
	s_and_saveexec_b64 s[98:99], s[20:21]
	s_cbranch_execz .LBB151_488
; %bb.487:
	ds_read_b64 v[30:31], v29 offset:6400
	ds_read_b64 v[32:33], v28 offset:96
	s_waitcnt lgkmcnt(0)
	v_mul_f32_e32 v34, v33, v31
	v_mul_f32_e32 v31, v32, v31
	v_fma_f32 v32, v32, v30, -v34
	v_fmac_f32_e32 v31, v33, v30
	v_add_f32_e32 v2, v2, v32
	v_add_f32_e32 v3, v3, v31
.LBB151_488:
	s_or_b64 exec, exec, s[98:99]
	s_movk_i32 s20, 0x260
	v_cmp_gt_u32_e64 s[20:21], s20, v7
	s_and_saveexec_b64 s[98:99], s[20:21]
	s_cbranch_execz .LBB151_490
; %bb.489:
	ds_read_b64 v[30:31], v29 offset:6912
	ds_read_b64 v[32:33], v28 offset:104
	s_waitcnt lgkmcnt(0)
	v_mul_f32_e32 v34, v33, v31
	v_mul_f32_e32 v31, v32, v31
	v_fma_f32 v32, v32, v30, -v34
	v_fmac_f32_e32 v31, v33, v30
	v_add_f32_e32 v2, v2, v32
	v_add_f32_e32 v3, v3, v31
.LBB151_490:
	s_or_b64 exec, exec, s[98:99]
	s_movk_i32 s20, 0x240
	v_cmp_gt_u32_e64 s[20:21], s20, v7
	s_and_saveexec_b64 s[98:99], s[20:21]
	s_cbranch_execz .LBB151_492
; %bb.491:
	ds_read_b64 v[30:31], v29 offset:7424
	ds_read_b64 v[32:33], v28 offset:112
	s_waitcnt lgkmcnt(0)
	v_mul_f32_e32 v34, v33, v31
	v_mul_f32_e32 v31, v32, v31
	v_fma_f32 v32, v32, v30, -v34
	v_fmac_f32_e32 v31, v33, v30
	v_add_f32_e32 v2, v2, v32
	v_add_f32_e32 v3, v3, v31
.LBB151_492:
	s_or_b64 exec, exec, s[98:99]
	s_movk_i32 s20, 0x220
	v_cmp_gt_u32_e64 s[20:21], s20, v7
	s_and_saveexec_b64 s[98:99], s[20:21]
	s_cbranch_execz .LBB151_494
; %bb.493:
	ds_read_b64 v[30:31], v29 offset:7936
	ds_read_b64 v[32:33], v28 offset:120
	s_waitcnt lgkmcnt(0)
	v_mul_f32_e32 v34, v33, v31
	v_mul_f32_e32 v31, v32, v31
	v_fma_f32 v32, v32, v30, -v34
	v_fmac_f32_e32 v31, v33, v30
	v_add_f32_e32 v2, v2, v32
	v_add_f32_e32 v3, v3, v31
.LBB151_494:
	s_or_b64 exec, exec, s[98:99]
	s_movk_i32 s20, 0x200
	v_cmp_gt_u32_e64 s[20:21], s20, v7
	s_and_saveexec_b64 s[98:99], s[20:21]
	s_cbranch_execz .LBB151_496
; %bb.495:
	ds_read_b64 v[30:31], v29 offset:8448
	ds_read_b64 v[32:33], v28 offset:128
	s_waitcnt lgkmcnt(0)
	v_mul_f32_e32 v34, v33, v31
	v_mul_f32_e32 v31, v32, v31
	v_fma_f32 v32, v32, v30, -v34
	v_fmac_f32_e32 v31, v33, v30
	v_add_f32_e32 v2, v2, v32
	v_add_f32_e32 v3, v3, v31
.LBB151_496:
	s_or_b64 exec, exec, s[98:99]
	s_movk_i32 s20, 0x1e0
	v_cmp_gt_u32_e64 s[20:21], s20, v7
	s_and_saveexec_b64 s[98:99], s[20:21]
	s_cbranch_execz .LBB151_498
; %bb.497:
	ds_read_b64 v[30:31], v29 offset:8960
	ds_read_b64 v[32:33], v28 offset:136
	s_waitcnt lgkmcnt(0)
	v_mul_f32_e32 v34, v33, v31
	v_mul_f32_e32 v31, v32, v31
	v_fma_f32 v32, v32, v30, -v34
	v_fmac_f32_e32 v31, v33, v30
	v_add_f32_e32 v2, v2, v32
	v_add_f32_e32 v3, v3, v31
.LBB151_498:
	s_or_b64 exec, exec, s[98:99]
	s_movk_i32 s20, 0x1c0
	v_cmp_gt_u32_e64 s[20:21], s20, v7
	s_and_saveexec_b64 s[98:99], s[20:21]
	s_cbranch_execz .LBB151_500
; %bb.499:
	ds_read_b64 v[30:31], v29 offset:9472
	ds_read_b64 v[32:33], v28 offset:144
	s_waitcnt lgkmcnt(0)
	v_mul_f32_e32 v34, v33, v31
	v_mul_f32_e32 v31, v32, v31
	v_fma_f32 v32, v32, v30, -v34
	v_fmac_f32_e32 v31, v33, v30
	v_add_f32_e32 v2, v2, v32
	v_add_f32_e32 v3, v3, v31
.LBB151_500:
	s_or_b64 exec, exec, s[98:99]
	s_movk_i32 s20, 0x1a0
	v_cmp_gt_u32_e64 s[20:21], s20, v7
	s_and_saveexec_b64 s[98:99], s[20:21]
	s_cbranch_execz .LBB151_502
; %bb.501:
	ds_read_b64 v[30:31], v29 offset:9984
	ds_read_b64 v[32:33], v28 offset:152
	s_waitcnt lgkmcnt(0)
	v_mul_f32_e32 v34, v33, v31
	v_mul_f32_e32 v31, v32, v31
	v_fma_f32 v32, v32, v30, -v34
	v_fmac_f32_e32 v31, v33, v30
	v_add_f32_e32 v2, v2, v32
	v_add_f32_e32 v3, v3, v31
.LBB151_502:
	s_or_b64 exec, exec, s[98:99]
	s_movk_i32 s20, 0x180
	v_cmp_gt_u32_e64 s[20:21], s20, v7
	s_and_saveexec_b64 s[98:99], s[20:21]
	s_cbranch_execz .LBB151_504
; %bb.503:
	ds_read_b64 v[30:31], v29 offset:10496
	ds_read_b64 v[32:33], v28 offset:160
	s_waitcnt lgkmcnt(0)
	v_mul_f32_e32 v34, v33, v31
	v_mul_f32_e32 v31, v32, v31
	v_fma_f32 v32, v32, v30, -v34
	v_fmac_f32_e32 v31, v33, v30
	v_add_f32_e32 v2, v2, v32
	v_add_f32_e32 v3, v3, v31
.LBB151_504:
	s_or_b64 exec, exec, s[98:99]
	s_movk_i32 s20, 0x160
	v_cmp_gt_u32_e64 s[20:21], s20, v7
	s_and_saveexec_b64 s[98:99], s[20:21]
	s_cbranch_execz .LBB151_506
; %bb.505:
	ds_read_b64 v[30:31], v29 offset:11008
	ds_read_b64 v[32:33], v28 offset:168
	s_waitcnt lgkmcnt(0)
	v_mul_f32_e32 v34, v33, v31
	v_mul_f32_e32 v31, v32, v31
	v_fma_f32 v32, v32, v30, -v34
	v_fmac_f32_e32 v31, v33, v30
	v_add_f32_e32 v2, v2, v32
	v_add_f32_e32 v3, v3, v31
.LBB151_506:
	s_or_b64 exec, exec, s[98:99]
	s_movk_i32 s20, 0x140
	v_cmp_gt_u32_e64 s[20:21], s20, v7
	s_and_saveexec_b64 s[98:99], s[20:21]
	s_cbranch_execz .LBB151_508
; %bb.507:
	ds_read_b64 v[30:31], v29 offset:11520
	ds_read_b64 v[32:33], v28 offset:176
	s_waitcnt lgkmcnt(0)
	v_mul_f32_e32 v34, v33, v31
	v_mul_f32_e32 v31, v32, v31
	v_fma_f32 v32, v32, v30, -v34
	v_fmac_f32_e32 v31, v33, v30
	v_add_f32_e32 v2, v2, v32
	v_add_f32_e32 v3, v3, v31
.LBB151_508:
	s_or_b64 exec, exec, s[98:99]
	s_movk_i32 s20, 0x120
	v_cmp_gt_u32_e64 s[20:21], s20, v7
	s_and_saveexec_b64 s[98:99], s[20:21]
	s_cbranch_execz .LBB151_510
; %bb.509:
	ds_read_b64 v[30:31], v29 offset:12032
	ds_read_b64 v[32:33], v28 offset:184
	s_waitcnt lgkmcnt(0)
	v_mul_f32_e32 v34, v33, v31
	v_mul_f32_e32 v31, v32, v31
	v_fma_f32 v32, v32, v30, -v34
	v_fmac_f32_e32 v31, v33, v30
	v_add_f32_e32 v2, v2, v32
	v_add_f32_e32 v3, v3, v31
.LBB151_510:
	s_or_b64 exec, exec, s[98:99]
	s_movk_i32 s20, 0x100
	v_cmp_gt_u32_e64 s[20:21], s20, v7
	s_and_saveexec_b64 s[98:99], s[20:21]
	s_cbranch_execz .LBB151_512
; %bb.511:
	ds_read_b64 v[30:31], v29 offset:12544
	ds_read_b64 v[32:33], v28 offset:192
	s_waitcnt lgkmcnt(0)
	v_mul_f32_e32 v34, v33, v31
	v_mul_f32_e32 v31, v32, v31
	v_fma_f32 v32, v32, v30, -v34
	v_fmac_f32_e32 v31, v33, v30
	v_add_f32_e32 v2, v2, v32
	v_add_f32_e32 v3, v3, v31
.LBB151_512:
	s_or_b64 exec, exec, s[98:99]
	s_movk_i32 s20, 0xe0
	v_cmp_gt_u32_e64 s[20:21], s20, v7
	s_and_saveexec_b64 s[98:99], s[20:21]
	s_cbranch_execz .LBB151_514
; %bb.513:
	ds_read_b64 v[30:31], v29 offset:13056
	ds_read_b64 v[32:33], v28 offset:200
	s_waitcnt lgkmcnt(0)
	v_mul_f32_e32 v34, v33, v31
	v_mul_f32_e32 v31, v32, v31
	v_fma_f32 v32, v32, v30, -v34
	v_fmac_f32_e32 v31, v33, v30
	v_add_f32_e32 v2, v2, v32
	v_add_f32_e32 v3, v3, v31
.LBB151_514:
	s_or_b64 exec, exec, s[98:99]
	s_movk_i32 s20, 0xc0
	v_cmp_gt_u32_e64 s[20:21], s20, v7
	s_and_saveexec_b64 s[98:99], s[20:21]
	s_cbranch_execz .LBB151_516
; %bb.515:
	ds_read_b64 v[30:31], v29 offset:13568
	ds_read_b64 v[32:33], v28 offset:208
	s_waitcnt lgkmcnt(0)
	v_mul_f32_e32 v34, v33, v31
	v_mul_f32_e32 v31, v32, v31
	v_fma_f32 v32, v32, v30, -v34
	v_fmac_f32_e32 v31, v33, v30
	v_add_f32_e32 v2, v2, v32
	v_add_f32_e32 v3, v3, v31
.LBB151_516:
	s_or_b64 exec, exec, s[98:99]
	s_movk_i32 s20, 0xa0
	v_cmp_gt_u32_e64 s[20:21], s20, v7
	s_and_saveexec_b64 s[98:99], s[20:21]
	s_cbranch_execz .LBB151_518
; %bb.517:
	ds_read_b64 v[30:31], v29 offset:14080
	ds_read_b64 v[32:33], v28 offset:216
	s_waitcnt lgkmcnt(0)
	v_mul_f32_e32 v34, v33, v31
	v_mul_f32_e32 v31, v32, v31
	v_fma_f32 v32, v32, v30, -v34
	v_fmac_f32_e32 v31, v33, v30
	v_add_f32_e32 v2, v2, v32
	v_add_f32_e32 v3, v3, v31
.LBB151_518:
	s_or_b64 exec, exec, s[98:99]
	s_movk_i32 s20, 0x80
	v_cmp_gt_u32_e64 s[20:21], s20, v7
	s_and_saveexec_b64 s[98:99], s[20:21]
	s_cbranch_execz .LBB151_520
; %bb.519:
	ds_read_b64 v[30:31], v29 offset:14592
	ds_read_b64 v[32:33], v28 offset:224
	s_waitcnt lgkmcnt(0)
	v_mul_f32_e32 v34, v33, v31
	v_mul_f32_e32 v31, v32, v31
	v_fma_f32 v32, v32, v30, -v34
	v_fmac_f32_e32 v31, v33, v30
	v_add_f32_e32 v2, v2, v32
	v_add_f32_e32 v3, v3, v31
.LBB151_520:
	s_or_b64 exec, exec, s[98:99]
	s_movk_i32 s20, 0x60
	v_cmp_gt_u32_e64 s[20:21], s20, v7
	s_and_saveexec_b64 s[98:99], s[20:21]
	s_cbranch_execnz .LBB151_1014
; %bb.521:
	s_or_b64 exec, exec, s[98:99]
	v_cmp_gt_u32_e64 s[20:21], 64, v7
	s_and_saveexec_b64 s[98:99], s[20:21]
	s_cbranch_execnz .LBB151_1015
.LBB151_522:
	s_or_b64 exec, exec, s[98:99]
	v_cmp_gt_u32_e64 s[20:21], 32, v7
	s_and_saveexec_b64 s[98:99], s[20:21]
	s_cbranch_execz .LBB151_524
.LBB151_523:
	ds_read_b64 v[29:30], v27 offset:16128
	ds_read_b64 v[27:28], v28 offset:248
	s_waitcnt lgkmcnt(0)
	v_mul_f32_e32 v31, v28, v30
	v_mul_f32_e32 v30, v27, v30
	v_fma_f32 v27, v27, v29, -v31
	v_fmac_f32_e32 v30, v28, v29
	v_add_f32_e32 v2, v2, v27
	v_add_f32_e32 v3, v3, v30
.LBB151_524:
	s_or_b64 exec, exec, s[98:99]
	v_xor_b32_e32 v2, 0x80000000, v2
	v_xor_b32_e32 v3, 0x80000000, v3
.LBB151_525:
	s_or_b64 exec, exec, s[84:85]
	v_mov_b32_e32 v27, 0x8000
	v_lshl_or_b32 v26, v26, 3, v27
	v_mov_b32_e32 v27, 0x4100
	v_lshl_or_b32 v27, v24, 3, v27
	s_mov_b32 s84, 0
	s_xor_b64 s[20:21], s[16:17], -1
	v_mov_b32_e32 v28, v24
	s_branch .LBB151_527
.LBB151_526:                            ;   in Loop: Header=BB151_527 Depth=1
	s_or_b64 exec, exec, s[16:17]
	s_add_i32 s84, s84, 2
	v_add_u32_e32 v27, 0x400, v27
	s_cmp_eq_u32 s84, 32
	v_add_u32_e32 v28, -2, v28
	s_barrier
	s_cbranch_scc1 .LBB151_535
.LBB151_527:                            ; =>This Inner Loop Header: Depth=1
	v_cmp_eq_u32_e64 s[16:17], 0, v28
	s_and_b64 s[98:99], s[20:21], s[16:17]
	s_and_saveexec_b64 s[16:17], s[98:99]
; %bb.528:                              ;   in Loop: Header=BB151_527 Depth=1
	ds_write_b64 v26, v[2:3]
; %bb.529:                              ;   in Loop: Header=BB151_527 Depth=1
	s_or_b64 exec, exec, s[16:17]
	v_cmp_lt_u32_e64 s[16:17], s84, v24
	s_and_b64 s[98:99], s[20:21], s[16:17]
	s_waitcnt lgkmcnt(0)
	s_barrier
	s_and_saveexec_b64 s[16:17], s[98:99]
	s_cbranch_execz .LBB151_531
; %bb.530:                              ;   in Loop: Header=BB151_527 Depth=1
	ds_read_b64 v[29:30], v27
	ds_read_b64 v[31:32], v26
	s_waitcnt lgkmcnt(0)
	v_mul_f32_e32 v33, v32, v30
	v_mul_f32_e32 v30, v31, v30
	v_fma_f32 v31, v31, v29, -v33
	v_fmac_f32_e32 v30, v32, v29
	v_add_f32_e32 v2, v2, v31
	v_add_f32_e32 v3, v3, v30
.LBB151_531:                            ;   in Loop: Header=BB151_527 Depth=1
	s_or_b64 exec, exec, s[16:17]
	s_or_b32 s85, s84, 1
	v_cmp_eq_u32_e64 s[16:17], s85, v24
	s_and_b64 s[98:99], s[20:21], s[16:17]
	s_barrier
	s_and_saveexec_b64 s[16:17], s[98:99]
; %bb.532:                              ;   in Loop: Header=BB151_527 Depth=1
	ds_write_b64 v26, v[2:3]
; %bb.533:                              ;   in Loop: Header=BB151_527 Depth=1
	s_or_b64 exec, exec, s[16:17]
	v_cmp_lt_u32_e64 s[16:17], s85, v24
	s_and_b64 s[98:99], s[20:21], s[16:17]
	s_waitcnt lgkmcnt(0)
	s_barrier
	s_and_saveexec_b64 s[16:17], s[98:99]
	s_cbranch_execz .LBB151_526
; %bb.534:                              ;   in Loop: Header=BB151_527 Depth=1
	ds_read_b64 v[29:30], v27 offset:512
	ds_read_b64 v[31:32], v26
	s_waitcnt lgkmcnt(0)
	v_mul_f32_e32 v33, v32, v30
	v_mul_f32_e32 v30, v31, v30
	v_fma_f32 v31, v31, v29, -v33
	v_fmac_f32_e32 v30, v32, v29
	v_add_f32_e32 v2, v2, v31
	v_add_f32_e32 v3, v3, v30
	s_branch .LBB151_526
.LBB151_535:
	s_and_saveexec_b64 s[16:17], s[14:15]
; %bb.536:
	v_lshl_add_u32 v24, v24, 3, v25
	v_xor_b32_e32 v3, 0x80000000, v3
	v_xor_b32_e32 v2, 0x80000000, v2
	ds_write_b64 v24, v[2:3] offset:256
; %bb.537:
	s_or_b64 exec, exec, s[16:17]
	s_waitcnt lgkmcnt(0)
	s_barrier
	s_barrier
	s_and_saveexec_b64 s[14:15], vcc
	s_cbranch_execz .LBB151_539
; %bb.538:
	s_mov_b64 s[16:17], 0x3f800000
	v_mov_b32_e32 v2, s16
	v_mov_b32_e32 v3, s17
	s_movk_i32 s16, 0x4000
	v_add_u32_e64 v24, s16, 0
	ds_write2_b64 v24, v[2:3], v[2:3] offset0:32 offset1:97
.LBB151_539:
	s_or_b64 exec, exec, s[14:15]
	v_mov_b32_e32 v3, 0
	v_mov_b32_e32 v2, 0
	s_waitcnt lgkmcnt(0)
	s_barrier
	s_and_saveexec_b64 s[16:17], s[6:7]
	s_cbranch_execz .LBB151_543
; %bb.540:
	v_mul_u32_u24_e32 v24, 0x208, v6
	ds_read_b64 v[2:3], v4 offset:16656
	ds_read_b64 v[24:25], v24 offset:16640
	v_cmp_gt_u32_e64 s[14:15], 2, v7
	s_waitcnt lgkmcnt(0)
	v_mul_f32_e32 v26, v25, v3
	v_mul_f32_e32 v3, v24, v3
	v_fma_f32 v24, v24, v2, -v26
	v_fmac_f32_e32 v3, v25, v2
	v_add_f32_e32 v2, 0, v24
	v_add_f32_e32 v3, 0, v3
	s_and_saveexec_b64 s[20:21], s[14:15]
	s_cbranch_execz .LBB151_542
; %bb.541:
	v_lshlrev_b32_e32 v24, 3, v0
	v_mov_b32_e32 v26, 0
	ds_read_b64 v[24:25], v24 offset:17168
	ds_read_b64 v[26:27], v26 offset:16648
	s_waitcnt lgkmcnt(0)
	v_mul_f32_e32 v28, v27, v25
	v_mul_f32_e32 v25, v26, v25
	v_fma_f32 v26, v26, v24, -v28
	v_fmac_f32_e32 v25, v27, v24
	v_add_f32_e32 v2, v2, v26
	v_add_f32_e32 v3, v3, v25
.LBB151_542:
	s_or_b64 exec, exec, s[20:21]
	v_xor_b32_e32 v2, 0x80000000, v2
	v_xor_b32_e32 v3, 0x80000000, v3
.LBB151_543:
	s_or_b64 exec, exec, s[16:17]
	s_and_saveexec_b64 s[14:15], s[42:43]
; %bb.544:
	ds_write_b64 v5, v[2:3]
; %bb.545:
	s_or_b64 exec, exec, s[14:15]
	s_waitcnt lgkmcnt(0)
	s_barrier
	s_and_saveexec_b64 s[14:15], s[40:41]
	s_cbranch_execz .LBB151_547
; %bb.546:
	v_mov_b32_e32 v24, 0
	ds_read_b64 v[24:25], v24 offset:17688
	ds_read_b64 v[26:27], v5
	s_waitcnt lgkmcnt(0)
	v_mul_f32_e32 v28, v27, v25
	v_mul_f32_e32 v25, v26, v25
	v_fma_f32 v26, v26, v24, -v28
	v_fmac_f32_e32 v25, v27, v24
	v_add_f32_e32 v2, v2, v26
	v_add_f32_e32 v3, v3, v25
.LBB151_547:
	s_or_b64 exec, exec, s[14:15]
	s_barrier
	s_and_saveexec_b64 s[14:15], s[40:41]
; %bb.548:
	ds_write_b64 v5, v[2:3]
; %bb.549:
	s_or_b64 exec, exec, s[14:15]
	s_waitcnt lgkmcnt(0)
	s_barrier
	s_barrier
	s_and_saveexec_b64 s[14:15], s[6:7]
; %bb.550:
	v_xor_b32_e32 v3, 0x80000000, v3
	v_xor_b32_e32 v2, 0x80000000, v2
	ds_write_b64 v4, v[2:3] offset:16656
; %bb.551:
	s_or_b64 exec, exec, s[14:15]
	s_waitcnt lgkmcnt(0)
	s_barrier
	s_barrier
	s_and_saveexec_b64 s[14:15], vcc
	s_cbranch_execz .LBB151_553
; %bb.552:
	s_mov_b64 s[16:17], 0x3f800000
	v_mov_b32_e32 v2, s16
	v_mov_b32_e32 v3, s17
	s_movk_i32 s16, 0x4000
	v_add_u32_e64 v24, s16, 0
	ds_write2_b64 v24, v[2:3], v[2:3] offset0:162 offset1:227
.LBB151_553:
	s_or_b64 exec, exec, s[14:15]
	v_mov_b32_e32 v3, 0
	v_mov_b32_e32 v2, 0
	s_waitcnt lgkmcnt(0)
	s_barrier
	s_and_saveexec_b64 s[16:17], s[18:19]
	s_cbranch_execz .LBB151_559
; %bb.554:
	v_mul_u32_u24_e32 v24, 0x208, v13
	ds_read_b64 v[2:3], v9 offset:16672
	ds_read_b64 v[25:26], v24 offset:16640
	v_cmp_gt_u32_e64 s[14:15], 12, v7
	s_waitcnt lgkmcnt(0)
	v_mul_f32_e32 v27, v26, v3
	v_mul_f32_e32 v3, v25, v3
	v_fma_f32 v25, v25, v2, -v27
	v_fmac_f32_e32 v3, v26, v2
	v_add_f32_e32 v2, 0, v25
	v_add_f32_e32 v3, 0, v3
	s_and_saveexec_b64 s[20:21], s[14:15]
	s_cbranch_execnz .LBB151_1016
; %bb.555:
	s_or_b64 exec, exec, s[20:21]
	v_cmp_gt_u32_e64 s[14:15], 8, v7
	s_and_saveexec_b64 s[20:21], s[14:15]
	s_cbranch_execnz .LBB151_1017
.LBB151_556:
	s_or_b64 exec, exec, s[20:21]
	v_cmp_gt_u32_e64 s[14:15], 4, v7
	s_and_saveexec_b64 s[20:21], s[14:15]
	s_cbranch_execz .LBB151_558
.LBB151_557:
	v_lshlrev_b32_e32 v24, 3, v0
	v_mov_b32_e32 v26, 0
	ds_read_b64 v[24:25], v24 offset:18208
	ds_read_b64 v[26:27], v26 offset:16664
	s_waitcnt lgkmcnt(0)
	v_mul_f32_e32 v28, v27, v25
	v_mul_f32_e32 v25, v26, v25
	v_fma_f32 v26, v26, v24, -v28
	v_fmac_f32_e32 v25, v27, v24
	v_add_f32_e32 v2, v2, v26
	v_add_f32_e32 v3, v3, v25
.LBB151_558:
	s_or_b64 exec, exec, s[20:21]
	v_xor_b32_e32 v2, 0x80000000, v2
	v_xor_b32_e32 v3, 0x80000000, v3
.LBB151_559:
	s_or_b64 exec, exec, s[16:17]
	s_and_saveexec_b64 s[14:15], s[46:47]
; %bb.560:
	ds_write_b64 v11, v[2:3]
; %bb.561:
	s_or_b64 exec, exec, s[14:15]
	s_waitcnt lgkmcnt(0)
	s_barrier
	s_and_saveexec_b64 s[14:15], s[48:49]
	s_cbranch_execz .LBB151_563
; %bb.562:
	ds_read_b64 v[24:25], v10 offset:18720
	ds_read_b64 v[26:27], v11
	s_waitcnt lgkmcnt(0)
	v_mul_f32_e32 v28, v27, v25
	v_mul_f32_e32 v25, v26, v25
	v_fma_f32 v26, v26, v24, -v28
	v_fmac_f32_e32 v25, v27, v24
	v_add_f32_e32 v2, v2, v26
	v_add_f32_e32 v3, v3, v25
.LBB151_563:
	s_or_b64 exec, exec, s[14:15]
	s_barrier
	s_and_saveexec_b64 s[14:15], s[50:51]
; %bb.564:
	ds_write_b64 v11, v[2:3]
; %bb.565:
	s_or_b64 exec, exec, s[14:15]
	s_waitcnt lgkmcnt(0)
	s_barrier
	s_and_saveexec_b64 s[14:15], s[52:53]
	s_cbranch_execz .LBB151_567
; %bb.566:
	ds_read_b64 v[24:25], v10 offset:19232
	ds_read_b64 v[26:27], v11
	s_waitcnt lgkmcnt(0)
	v_mul_f32_e32 v28, v27, v25
	v_mul_f32_e32 v25, v26, v25
	v_fma_f32 v26, v26, v24, -v28
	v_fmac_f32_e32 v25, v27, v24
	v_add_f32_e32 v2, v2, v26
	v_add_f32_e32 v3, v3, v25
.LBB151_567:
	s_or_b64 exec, exec, s[14:15]
	s_barrier
	s_and_saveexec_b64 s[14:15], s[54:55]
; %bb.568:
	ds_write_b64 v11, v[2:3]
; %bb.569:
	s_or_b64 exec, exec, s[14:15]
	s_waitcnt lgkmcnt(0)
	s_barrier
	s_and_saveexec_b64 s[14:15], s[44:45]
	s_cbranch_execz .LBB151_571
; %bb.570:
	v_mov_b32_e32 v24, 0
	ds_read_b64 v[24:25], v24 offset:19768
	ds_read_b64 v[26:27], v11
	s_waitcnt lgkmcnt(0)
	v_mul_f32_e32 v28, v27, v25
	v_mul_f32_e32 v25, v26, v25
	v_fma_f32 v26, v26, v24, -v28
	v_fmac_f32_e32 v25, v27, v24
	v_add_f32_e32 v2, v2, v26
	v_add_f32_e32 v3, v3, v25
.LBB151_571:
	s_or_b64 exec, exec, s[14:15]
	s_barrier
	s_and_saveexec_b64 s[14:15], s[44:45]
; %bb.572:
	ds_write_b64 v11, v[2:3]
; %bb.573:
	s_or_b64 exec, exec, s[14:15]
	s_waitcnt lgkmcnt(0)
	s_barrier
	s_barrier
	s_and_saveexec_b64 s[14:15], s[18:19]
; %bb.574:
	v_xor_b32_e32 v2, 0x80000000, v2
	v_xor_b32_e32 v3, 0x80000000, v3
	ds_write_b64 v9, v[2:3] offset:16672
; %bb.575:
	s_or_b64 exec, exec, s[14:15]
	s_waitcnt lgkmcnt(0)
	s_barrier
	s_barrier
	s_and_saveexec_b64 s[14:15], vcc
	s_cbranch_execz .LBB151_577
; %bb.576:
	s_mov_b64 s[16:17], 0x3f800000
	v_mov_b32_e32 v2, s16
	v_mov_b32_e32 v3, s17
	s_movk_i32 s16, 0x4800
	v_add_u32_e64 v24, s16, 0
	ds_write2_b64 v24, v[2:3], v[2:3] offset0:36 offset1:101
.LBB151_577:
	s_or_b64 exec, exec, s[14:15]
	v_mov_b32_e32 v3, 0
	v_mov_b32_e32 v2, 0
	s_waitcnt lgkmcnt(0)
	s_barrier
	s_and_saveexec_b64 s[16:17], s[6:7]
	s_cbranch_execz .LBB151_581
; %bb.578:
	v_mul_u32_u24_e32 v24, 0x208, v6
	ds_read_b64 v[2:3], v4 offset:18736
	ds_read_b64 v[24:25], v24 offset:18720
	v_cmp_gt_u32_e64 s[14:15], 2, v7
	s_waitcnt lgkmcnt(0)
	v_mul_f32_e32 v26, v25, v3
	v_mul_f32_e32 v3, v24, v3
	v_fma_f32 v24, v24, v2, -v26
	v_fmac_f32_e32 v3, v25, v2
	v_add_f32_e32 v2, 0, v24
	v_add_f32_e32 v3, 0, v3
	s_and_saveexec_b64 s[20:21], s[14:15]
	s_cbranch_execz .LBB151_580
; %bb.579:
	v_lshlrev_b32_e32 v24, 3, v0
	v_mov_b32_e32 v26, 0
	ds_read_b64 v[24:25], v24 offset:19248
	ds_read_b64 v[26:27], v26 offset:18728
	s_waitcnt lgkmcnt(0)
	v_mul_f32_e32 v28, v27, v25
	v_mul_f32_e32 v25, v26, v25
	v_fma_f32 v26, v26, v24, -v28
	v_fmac_f32_e32 v25, v27, v24
	v_add_f32_e32 v2, v2, v26
	v_add_f32_e32 v3, v3, v25
.LBB151_580:
	s_or_b64 exec, exec, s[20:21]
	v_xor_b32_e32 v2, 0x80000000, v2
	v_xor_b32_e32 v3, 0x80000000, v3
.LBB151_581:
	s_or_b64 exec, exec, s[16:17]
	s_and_saveexec_b64 s[14:15], s[42:43]
; %bb.582:
	ds_write_b64 v5, v[2:3]
; %bb.583:
	s_or_b64 exec, exec, s[14:15]
	s_waitcnt lgkmcnt(0)
	s_barrier
	s_and_saveexec_b64 s[14:15], s[40:41]
	s_cbranch_execz .LBB151_585
; %bb.584:
	v_mov_b32_e32 v24, 0
	ds_read_b64 v[24:25], v24 offset:19768
	ds_read_b64 v[26:27], v5
	s_waitcnt lgkmcnt(0)
	v_mul_f32_e32 v28, v27, v25
	v_mul_f32_e32 v25, v26, v25
	v_fma_f32 v26, v26, v24, -v28
	v_fmac_f32_e32 v25, v27, v24
	v_add_f32_e32 v2, v2, v26
	v_add_f32_e32 v3, v3, v25
.LBB151_585:
	s_or_b64 exec, exec, s[14:15]
	s_barrier
	s_and_saveexec_b64 s[14:15], s[40:41]
; %bb.586:
	ds_write_b64 v5, v[2:3]
; %bb.587:
	s_or_b64 exec, exec, s[14:15]
	s_waitcnt lgkmcnt(0)
	s_barrier
	s_barrier
	s_and_saveexec_b64 s[14:15], s[6:7]
; %bb.588:
	v_xor_b32_e32 v3, 0x80000000, v3
	v_xor_b32_e32 v2, 0x80000000, v2
	ds_write_b64 v4, v[2:3] offset:18736
; %bb.589:
	s_or_b64 exec, exec, s[14:15]
	s_waitcnt lgkmcnt(0)
	s_barrier
	s_barrier
	s_and_saveexec_b64 s[14:15], vcc
	s_cbranch_execz .LBB151_591
; %bb.590:
	s_mov_b64 s[16:17], 0x3f800000
	v_mov_b32_e32 v2, s16
	v_mov_b32_e32 v3, s17
	s_movk_i32 s16, 0x4800
	v_add_u32_e64 v24, s16, 0
	ds_write2_b64 v24, v[2:3], v[2:3] offset0:166 offset1:231
.LBB151_591:
	s_or_b64 exec, exec, s[14:15]
	v_mov_b32_e32 v3, 0
	v_mov_b32_e32 v2, 0
	s_waitcnt lgkmcnt(0)
	s_barrier
	s_and_saveexec_b64 s[16:17], s[10:11]
	s_cbranch_execz .LBB151_601
; %bb.592:
	v_mul_u32_u24_e32 v24, 0x208, v18
	ds_read_b64 v[2:3], v14 offset:16704
	ds_read_b64 v[25:26], v24 offset:16640
	v_cmp_gt_u32_e64 s[14:15], 56, v7
	s_waitcnt lgkmcnt(0)
	v_mul_f32_e32 v27, v26, v3
	v_mul_f32_e32 v3, v25, v3
	v_fma_f32 v25, v25, v2, -v27
	v_fmac_f32_e32 v3, v26, v2
	v_add_f32_e32 v2, 0, v25
	v_add_f32_e32 v3, 0, v3
	s_and_saveexec_b64 s[20:21], s[14:15]
	s_cbranch_execnz .LBB151_1018
; %bb.593:
	s_or_b64 exec, exec, s[20:21]
	v_cmp_gt_u32_e64 s[14:15], 48, v7
	s_and_saveexec_b64 s[20:21], s[14:15]
	s_cbranch_execnz .LBB151_1019
.LBB151_594:
	s_or_b64 exec, exec, s[20:21]
	v_cmp_gt_u32_e64 s[14:15], 40, v7
	s_and_saveexec_b64 s[20:21], s[14:15]
	s_cbranch_execnz .LBB151_1020
.LBB151_595:
	s_or_b64 exec, exec, s[20:21]
	v_cmp_gt_u32_e64 s[14:15], 32, v7
	s_and_saveexec_b64 s[20:21], s[14:15]
	s_cbranch_execnz .LBB151_1021
.LBB151_596:
	s_or_b64 exec, exec, s[20:21]
	v_cmp_gt_u32_e64 s[14:15], 24, v7
	s_and_saveexec_b64 s[20:21], s[14:15]
	s_cbranch_execnz .LBB151_1022
.LBB151_597:
	s_or_b64 exec, exec, s[20:21]
	v_cmp_gt_u32_e64 s[14:15], 16, v7
	s_and_saveexec_b64 s[20:21], s[14:15]
	s_cbranch_execnz .LBB151_1023
.LBB151_598:
	s_or_b64 exec, exec, s[20:21]
	v_cmp_gt_u32_e64 s[14:15], 8, v7
	s_and_saveexec_b64 s[20:21], s[14:15]
	s_cbranch_execz .LBB151_600
.LBB151_599:
	v_lshlrev_b32_e32 v24, 3, v0
	v_mov_b32_e32 v26, 0
	ds_read_b64 v[24:25], v24 offset:20288
	ds_read_b64 v[26:27], v26 offset:16696
	s_waitcnt lgkmcnt(0)
	v_mul_f32_e32 v28, v27, v25
	v_mul_f32_e32 v25, v26, v25
	v_fma_f32 v26, v26, v24, -v28
	v_fmac_f32_e32 v25, v27, v24
	v_add_f32_e32 v2, v2, v26
	v_add_f32_e32 v3, v3, v25
.LBB151_600:
	s_or_b64 exec, exec, s[20:21]
	v_xor_b32_e32 v2, 0x80000000, v2
	v_xor_b32_e32 v3, 0x80000000, v3
.LBB151_601:
	s_or_b64 exec, exec, s[16:17]
	s_and_saveexec_b64 s[14:15], s[58:59]
; %bb.602:
	ds_write_b64 v16, v[2:3]
; %bb.603:
	s_or_b64 exec, exec, s[14:15]
	s_waitcnt lgkmcnt(0)
	s_barrier
	s_and_saveexec_b64 s[14:15], s[60:61]
	s_cbranch_execz .LBB151_605
; %bb.604:
	ds_read_b64 v[24:25], v15 offset:20800
	ds_read_b64 v[26:27], v16
	s_waitcnt lgkmcnt(0)
	v_mul_f32_e32 v28, v27, v25
	v_mul_f32_e32 v25, v26, v25
	v_fma_f32 v26, v26, v24, -v28
	v_fmac_f32_e32 v25, v27, v24
	v_add_f32_e32 v2, v2, v26
	v_add_f32_e32 v3, v3, v25
.LBB151_605:
	s_or_b64 exec, exec, s[14:15]
	s_barrier
	s_and_saveexec_b64 s[14:15], s[62:63]
; %bb.606:
	ds_write_b64 v16, v[2:3]
; %bb.607:
	s_or_b64 exec, exec, s[14:15]
	s_waitcnt lgkmcnt(0)
	s_barrier
	s_and_saveexec_b64 s[14:15], s[64:65]
	s_cbranch_execz .LBB151_609
; %bb.608:
	ds_read_b64 v[24:25], v15 offset:21312
	ds_read_b64 v[26:27], v16
	s_waitcnt lgkmcnt(0)
	v_mul_f32_e32 v28, v27, v25
	v_mul_f32_e32 v25, v26, v25
	v_fma_f32 v26, v26, v24, -v28
	v_fmac_f32_e32 v25, v27, v24
	v_add_f32_e32 v2, v2, v26
	v_add_f32_e32 v3, v3, v25
.LBB151_609:
	s_or_b64 exec, exec, s[14:15]
	s_barrier
	;; [unrolled: 22-line block ×6, first 2 shown]
	s_and_saveexec_b64 s[14:15], s[82:83]
; %bb.626:
	ds_write_b64 v16, v[2:3]
; %bb.627:
	s_or_b64 exec, exec, s[14:15]
	s_waitcnt lgkmcnt(0)
	s_barrier
	s_and_saveexec_b64 s[14:15], s[56:57]
	s_cbranch_execz .LBB151_629
; %bb.628:
	v_mov_b32_e32 v24, 0
	ds_read_b64 v[24:25], v24 offset:23928
	ds_read_b64 v[26:27], v16
	s_waitcnt lgkmcnt(0)
	v_mul_f32_e32 v28, v27, v25
	v_mul_f32_e32 v25, v26, v25
	v_fma_f32 v26, v26, v24, -v28
	v_fmac_f32_e32 v25, v27, v24
	v_add_f32_e32 v2, v2, v26
	v_add_f32_e32 v3, v3, v25
.LBB151_629:
	s_or_b64 exec, exec, s[14:15]
	s_barrier
	s_and_saveexec_b64 s[14:15], s[56:57]
; %bb.630:
	ds_write_b64 v16, v[2:3]
; %bb.631:
	s_or_b64 exec, exec, s[14:15]
	s_waitcnt lgkmcnt(0)
	s_barrier
	s_barrier
	s_and_saveexec_b64 s[14:15], s[10:11]
; %bb.632:
	v_xor_b32_e32 v3, 0x80000000, v3
	v_xor_b32_e32 v2, 0x80000000, v2
	ds_write_b64 v14, v[2:3] offset:16704
; %bb.633:
	s_or_b64 exec, exec, s[14:15]
	s_waitcnt lgkmcnt(0)
	s_barrier
	s_barrier
	s_and_saveexec_b64 s[14:15], vcc
	s_cbranch_execz .LBB151_635
; %bb.634:
	s_mov_b64 s[16:17], 0x3f800000
	v_mov_b32_e32 v2, s16
	v_mov_b32_e32 v3, s17
	s_movk_i32 s16, 0x5000
	v_add_u32_e64 v24, s16, 0
	ds_write2_b64 v24, v[2:3], v[2:3] offset0:40 offset1:105
.LBB151_635:
	s_or_b64 exec, exec, s[14:15]
	v_mov_b32_e32 v3, 0
	v_mov_b32_e32 v2, 0
	s_waitcnt lgkmcnt(0)
	s_barrier
	s_and_saveexec_b64 s[16:17], s[6:7]
	s_cbranch_execz .LBB151_639
; %bb.636:
	v_mul_u32_u24_e32 v24, 0x208, v6
	ds_read_b64 v[2:3], v4 offset:20816
	ds_read_b64 v[24:25], v24 offset:20800
	v_cmp_gt_u32_e64 s[14:15], 2, v7
	s_waitcnt lgkmcnt(0)
	v_mul_f32_e32 v26, v25, v3
	v_mul_f32_e32 v3, v24, v3
	v_fma_f32 v24, v24, v2, -v26
	v_fmac_f32_e32 v3, v25, v2
	v_add_f32_e32 v2, 0, v24
	v_add_f32_e32 v3, 0, v3
	s_and_saveexec_b64 s[20:21], s[14:15]
	s_cbranch_execz .LBB151_638
; %bb.637:
	v_lshlrev_b32_e32 v24, 3, v0
	v_mov_b32_e32 v26, 0
	ds_read_b64 v[24:25], v24 offset:21328
	ds_read_b64 v[26:27], v26 offset:20808
	s_waitcnt lgkmcnt(0)
	v_mul_f32_e32 v28, v27, v25
	v_mul_f32_e32 v25, v26, v25
	v_fma_f32 v26, v26, v24, -v28
	v_fmac_f32_e32 v25, v27, v24
	v_add_f32_e32 v2, v2, v26
	v_add_f32_e32 v3, v3, v25
.LBB151_638:
	s_or_b64 exec, exec, s[20:21]
	v_xor_b32_e32 v2, 0x80000000, v2
	v_xor_b32_e32 v3, 0x80000000, v3
.LBB151_639:
	s_or_b64 exec, exec, s[16:17]
	s_and_saveexec_b64 s[14:15], s[42:43]
; %bb.640:
	ds_write_b64 v5, v[2:3]
; %bb.641:
	s_or_b64 exec, exec, s[14:15]
	s_waitcnt lgkmcnt(0)
	s_barrier
	s_and_saveexec_b64 s[14:15], s[40:41]
	s_cbranch_execz .LBB151_643
; %bb.642:
	v_mov_b32_e32 v24, 0
	ds_read_b64 v[24:25], v24 offset:21848
	ds_read_b64 v[26:27], v5
	s_waitcnt lgkmcnt(0)
	v_mul_f32_e32 v28, v27, v25
	v_mul_f32_e32 v25, v26, v25
	v_fma_f32 v26, v26, v24, -v28
	v_fmac_f32_e32 v25, v27, v24
	v_add_f32_e32 v2, v2, v26
	v_add_f32_e32 v3, v3, v25
.LBB151_643:
	s_or_b64 exec, exec, s[14:15]
	s_barrier
	s_and_saveexec_b64 s[14:15], s[40:41]
; %bb.644:
	ds_write_b64 v5, v[2:3]
; %bb.645:
	s_or_b64 exec, exec, s[14:15]
	s_waitcnt lgkmcnt(0)
	s_barrier
	s_barrier
	s_and_saveexec_b64 s[14:15], s[6:7]
; %bb.646:
	v_xor_b32_e32 v3, 0x80000000, v3
	v_xor_b32_e32 v2, 0x80000000, v2
	ds_write_b64 v4, v[2:3] offset:20816
; %bb.647:
	s_or_b64 exec, exec, s[14:15]
	s_waitcnt lgkmcnt(0)
	s_barrier
	s_barrier
	s_and_saveexec_b64 s[14:15], vcc
	s_cbranch_execz .LBB151_649
; %bb.648:
	s_mov_b64 s[16:17], 0x3f800000
	v_mov_b32_e32 v2, s16
	v_mov_b32_e32 v3, s17
	s_movk_i32 s16, 0x5000
	v_add_u32_e64 v24, s16, 0
	ds_write2_b64 v24, v[2:3], v[2:3] offset0:170 offset1:235
.LBB151_649:
	s_or_b64 exec, exec, s[14:15]
	v_mov_b32_e32 v3, 0
	v_mov_b32_e32 v2, 0
	s_waitcnt lgkmcnt(0)
	s_barrier
	s_and_saveexec_b64 s[16:17], s[18:19]
	s_cbranch_execz .LBB151_655
; %bb.650:
	v_mul_u32_u24_e32 v24, 0x208, v13
	ds_read_b64 v[2:3], v9 offset:20832
	ds_read_b64 v[25:26], v24 offset:20800
	v_cmp_gt_u32_e64 s[14:15], 12, v7
	s_waitcnt lgkmcnt(0)
	v_mul_f32_e32 v27, v26, v3
	v_mul_f32_e32 v3, v25, v3
	v_fma_f32 v25, v25, v2, -v27
	v_fmac_f32_e32 v3, v26, v2
	v_add_f32_e32 v2, 0, v25
	v_add_f32_e32 v3, 0, v3
	s_and_saveexec_b64 s[20:21], s[14:15]
	s_cbranch_execnz .LBB151_1024
; %bb.651:
	s_or_b64 exec, exec, s[20:21]
	v_cmp_gt_u32_e64 s[14:15], 8, v7
	s_and_saveexec_b64 s[20:21], s[14:15]
	s_cbranch_execnz .LBB151_1025
.LBB151_652:
	s_or_b64 exec, exec, s[20:21]
	v_cmp_gt_u32_e64 s[14:15], 4, v7
	s_and_saveexec_b64 s[20:21], s[14:15]
	s_cbranch_execz .LBB151_654
.LBB151_653:
	v_lshlrev_b32_e32 v24, 3, v0
	v_mov_b32_e32 v26, 0
	ds_read_b64 v[24:25], v24 offset:22368
	ds_read_b64 v[26:27], v26 offset:20824
	s_waitcnt lgkmcnt(0)
	v_mul_f32_e32 v28, v27, v25
	v_mul_f32_e32 v25, v26, v25
	v_fma_f32 v26, v26, v24, -v28
	v_fmac_f32_e32 v25, v27, v24
	v_add_f32_e32 v2, v2, v26
	v_add_f32_e32 v3, v3, v25
.LBB151_654:
	s_or_b64 exec, exec, s[20:21]
	v_xor_b32_e32 v2, 0x80000000, v2
	v_xor_b32_e32 v3, 0x80000000, v3
.LBB151_655:
	s_or_b64 exec, exec, s[16:17]
	s_and_saveexec_b64 s[14:15], s[46:47]
; %bb.656:
	ds_write_b64 v11, v[2:3]
; %bb.657:
	s_or_b64 exec, exec, s[14:15]
	s_waitcnt lgkmcnt(0)
	s_barrier
	s_and_saveexec_b64 s[14:15], s[48:49]
	s_cbranch_execz .LBB151_659
; %bb.658:
	ds_read_b64 v[24:25], v10 offset:22880
	ds_read_b64 v[26:27], v11
	s_waitcnt lgkmcnt(0)
	v_mul_f32_e32 v28, v27, v25
	v_mul_f32_e32 v25, v26, v25
	v_fma_f32 v26, v26, v24, -v28
	v_fmac_f32_e32 v25, v27, v24
	v_add_f32_e32 v2, v2, v26
	v_add_f32_e32 v3, v3, v25
.LBB151_659:
	s_or_b64 exec, exec, s[14:15]
	s_barrier
	s_and_saveexec_b64 s[14:15], s[50:51]
; %bb.660:
	ds_write_b64 v11, v[2:3]
; %bb.661:
	s_or_b64 exec, exec, s[14:15]
	s_waitcnt lgkmcnt(0)
	s_barrier
	s_and_saveexec_b64 s[14:15], s[52:53]
	s_cbranch_execz .LBB151_663
; %bb.662:
	ds_read_b64 v[24:25], v10 offset:23392
	ds_read_b64 v[26:27], v11
	s_waitcnt lgkmcnt(0)
	v_mul_f32_e32 v28, v27, v25
	v_mul_f32_e32 v25, v26, v25
	v_fma_f32 v26, v26, v24, -v28
	v_fmac_f32_e32 v25, v27, v24
	v_add_f32_e32 v2, v2, v26
	v_add_f32_e32 v3, v3, v25
.LBB151_663:
	s_or_b64 exec, exec, s[14:15]
	s_barrier
	s_and_saveexec_b64 s[14:15], s[54:55]
; %bb.664:
	ds_write_b64 v11, v[2:3]
; %bb.665:
	s_or_b64 exec, exec, s[14:15]
	s_waitcnt lgkmcnt(0)
	s_barrier
	s_and_saveexec_b64 s[14:15], s[44:45]
	s_cbranch_execz .LBB151_667
; %bb.666:
	v_mov_b32_e32 v24, 0
	ds_read_b64 v[24:25], v24 offset:23928
	ds_read_b64 v[26:27], v11
	s_waitcnt lgkmcnt(0)
	v_mul_f32_e32 v28, v27, v25
	v_mul_f32_e32 v25, v26, v25
	v_fma_f32 v26, v26, v24, -v28
	v_fmac_f32_e32 v25, v27, v24
	v_add_f32_e32 v2, v2, v26
	v_add_f32_e32 v3, v3, v25
.LBB151_667:
	s_or_b64 exec, exec, s[14:15]
	s_barrier
	s_and_saveexec_b64 s[14:15], s[44:45]
; %bb.668:
	ds_write_b64 v11, v[2:3]
; %bb.669:
	s_or_b64 exec, exec, s[14:15]
	s_waitcnt lgkmcnt(0)
	s_barrier
	s_barrier
	s_and_saveexec_b64 s[14:15], s[18:19]
; %bb.670:
	v_xor_b32_e32 v2, 0x80000000, v2
	v_xor_b32_e32 v3, 0x80000000, v3
	ds_write_b64 v9, v[2:3] offset:20832
; %bb.671:
	s_or_b64 exec, exec, s[14:15]
	s_waitcnt lgkmcnt(0)
	s_barrier
	s_barrier
	s_and_saveexec_b64 s[14:15], vcc
	s_cbranch_execz .LBB151_673
; %bb.672:
	s_mov_b64 s[16:17], 0x3f800000
	v_mov_b32_e32 v2, s16
	v_mov_b32_e32 v3, s17
	s_movk_i32 s16, 0x5800
	v_add_u32_e64 v24, s16, 0
	ds_write2_b64 v24, v[2:3], v[2:3] offset0:44 offset1:109
.LBB151_673:
	s_or_b64 exec, exec, s[14:15]
	v_mov_b32_e32 v3, 0
	v_mov_b32_e32 v2, 0
	s_waitcnt lgkmcnt(0)
	s_barrier
	s_and_saveexec_b64 s[16:17], s[6:7]
	s_cbranch_execz .LBB151_677
; %bb.674:
	v_mul_u32_u24_e32 v24, 0x208, v6
	ds_read_b64 v[2:3], v4 offset:22896
	ds_read_b64 v[24:25], v24 offset:22880
	v_cmp_gt_u32_e64 s[14:15], 2, v7
	s_waitcnt lgkmcnt(0)
	v_mul_f32_e32 v26, v25, v3
	v_mul_f32_e32 v3, v24, v3
	v_fma_f32 v24, v24, v2, -v26
	v_fmac_f32_e32 v3, v25, v2
	v_add_f32_e32 v2, 0, v24
	v_add_f32_e32 v3, 0, v3
	s_and_saveexec_b64 s[20:21], s[14:15]
	s_cbranch_execz .LBB151_676
; %bb.675:
	v_lshlrev_b32_e32 v24, 3, v0
	v_mov_b32_e32 v26, 0
	ds_read_b64 v[24:25], v24 offset:23408
	ds_read_b64 v[26:27], v26 offset:22888
	s_waitcnt lgkmcnt(0)
	v_mul_f32_e32 v28, v27, v25
	v_mul_f32_e32 v25, v26, v25
	v_fma_f32 v26, v26, v24, -v28
	v_fmac_f32_e32 v25, v27, v24
	v_add_f32_e32 v2, v2, v26
	v_add_f32_e32 v3, v3, v25
.LBB151_676:
	s_or_b64 exec, exec, s[20:21]
	v_xor_b32_e32 v2, 0x80000000, v2
	v_xor_b32_e32 v3, 0x80000000, v3
.LBB151_677:
	s_or_b64 exec, exec, s[16:17]
	s_and_saveexec_b64 s[14:15], s[42:43]
; %bb.678:
	ds_write_b64 v5, v[2:3]
; %bb.679:
	s_or_b64 exec, exec, s[14:15]
	s_waitcnt lgkmcnt(0)
	s_barrier
	s_and_saveexec_b64 s[14:15], s[40:41]
	s_cbranch_execz .LBB151_681
; %bb.680:
	v_mov_b32_e32 v24, 0
	ds_read_b64 v[24:25], v24 offset:23928
	ds_read_b64 v[26:27], v5
	s_waitcnt lgkmcnt(0)
	v_mul_f32_e32 v28, v27, v25
	v_mul_f32_e32 v25, v26, v25
	v_fma_f32 v26, v26, v24, -v28
	v_fmac_f32_e32 v25, v27, v24
	v_add_f32_e32 v2, v2, v26
	v_add_f32_e32 v3, v3, v25
.LBB151_681:
	s_or_b64 exec, exec, s[14:15]
	s_barrier
	s_and_saveexec_b64 s[14:15], s[40:41]
; %bb.682:
	ds_write_b64 v5, v[2:3]
; %bb.683:
	s_or_b64 exec, exec, s[14:15]
	s_waitcnt lgkmcnt(0)
	s_barrier
	s_barrier
	s_and_saveexec_b64 s[14:15], s[6:7]
; %bb.684:
	v_xor_b32_e32 v3, 0x80000000, v3
	v_xor_b32_e32 v2, 0x80000000, v2
	ds_write_b64 v4, v[2:3] offset:22896
; %bb.685:
	s_or_b64 exec, exec, s[14:15]
	s_waitcnt lgkmcnt(0)
	s_barrier
	s_barrier
	s_and_saveexec_b64 s[14:15], vcc
	s_cbranch_execz .LBB151_687
; %bb.686:
	s_mov_b64 s[16:17], 0x3f800000
	v_mov_b32_e32 v2, s16
	v_mov_b32_e32 v3, s17
	s_movk_i32 s16, 0x5800
	v_add_u32_e64 v24, s16, 0
	ds_write2_b64 v24, v[2:3], v[2:3] offset0:174 offset1:239
.LBB151_687:
	s_or_b64 exec, exec, s[14:15]
	v_mov_b32_e32 v3, 0
	v_mov_b32_e32 v2, 0
	s_waitcnt lgkmcnt(0)
	s_barrier
	s_and_saveexec_b64 s[16:17], s[12:13]
	s_cbranch_execz .LBB151_715
; %bb.688:
	v_mul_u32_u24_e32 v24, 0x208, v23
	ds_read_b64 v[2:3], v19 offset:16768
	ds_read_b64 v[25:26], v24 offset:16640
	s_movk_i32 s14, 0xf0
	v_cmp_gt_u32_e64 s[14:15], s14, v7
	s_waitcnt lgkmcnt(0)
	v_mul_f32_e32 v27, v26, v3
	v_mul_f32_e32 v3, v25, v3
	v_fma_f32 v25, v25, v2, -v27
	v_fmac_f32_e32 v3, v26, v2
	v_add_f32_e32 v2, 0, v25
	v_add_f32_e32 v3, 0, v3
	s_and_saveexec_b64 s[20:21], s[14:15]
	s_cbranch_execz .LBB151_690
; %bb.689:
	v_lshlrev_b32_e32 v25, 3, v23
	v_sub_u32_e32 v25, v24, v25
	v_lshl_add_u32 v25, v20, 3, v25
	ds_read_b64 v[25:26], v25 offset:17280
	ds_read_b64 v[27:28], v24 offset:16648
	s_waitcnt lgkmcnt(0)
	v_mul_f32_e32 v29, v28, v26
	v_mul_f32_e32 v26, v27, v26
	v_fma_f32 v27, v27, v25, -v29
	v_fmac_f32_e32 v26, v28, v25
	v_add_f32_e32 v2, v2, v27
	v_add_f32_e32 v3, v3, v26
.LBB151_690:
	s_or_b64 exec, exec, s[20:21]
	s_movk_i32 s14, 0xe0
	v_cmp_gt_u32_e64 s[14:15], s14, v7
	s_and_saveexec_b64 s[20:21], s[14:15]
	s_cbranch_execz .LBB151_692
; %bb.691:
	v_lshlrev_b32_e32 v25, 3, v23
	v_sub_u32_e32 v25, v24, v25
	v_lshl_add_u32 v25, v20, 3, v25
	ds_read_b64 v[25:26], v25 offset:17792
	ds_read_b64 v[27:28], v24 offset:16656
	s_waitcnt lgkmcnt(0)
	v_mul_f32_e32 v29, v28, v26
	v_mul_f32_e32 v26, v27, v26
	v_fma_f32 v27, v27, v25, -v29
	v_fmac_f32_e32 v26, v28, v25
	v_add_f32_e32 v2, v2, v27
	v_add_f32_e32 v3, v3, v26
.LBB151_692:
	s_or_b64 exec, exec, s[20:21]
	s_movk_i32 s14, 0xd0
	v_cmp_gt_u32_e64 s[14:15], s14, v7
	;; [unrolled: 19-line block ×6, first 2 shown]
	s_and_saveexec_b64 s[20:21], s[14:15]
	s_cbranch_execz .LBB151_702
; %bb.701:
	v_lshlrev_b32_e32 v23, 3, v20
	v_lshl_add_u32 v23, v22, 3, v23
	ds_read_b64 v[25:26], v23 offset:20352
	ds_read_b64 v[27:28], v24 offset:16696
	s_waitcnt lgkmcnt(0)
	v_mul_f32_e32 v23, v28, v26
	v_mul_f32_e32 v26, v27, v26
	v_fma_f32 v23, v27, v25, -v23
	v_fmac_f32_e32 v26, v28, v25
	v_add_f32_e32 v2, v2, v23
	v_add_f32_e32 v3, v3, v26
.LBB151_702:
	s_or_b64 exec, exec, s[20:21]
	s_movk_i32 s14, 0x80
	v_cmp_gt_u32_e64 s[14:15], s14, v7
	s_and_saveexec_b64 s[20:21], s[14:15]
	s_cbranch_execz .LBB151_704
; %bb.703:
	ds_read_b64 v[25:26], v19 offset:20864
	ds_read_b64 v[27:28], v24 offset:16704
	s_waitcnt lgkmcnt(0)
	v_mul_f32_e32 v23, v28, v26
	v_mul_f32_e32 v26, v27, v26
	v_fma_f32 v23, v27, v25, -v23
	v_fmac_f32_e32 v26, v28, v25
	v_add_f32_e32 v2, v2, v23
	v_add_f32_e32 v3, v3, v26
.LBB151_704:
	s_or_b64 exec, exec, s[20:21]
	s_movk_i32 s14, 0x70
	v_cmp_gt_u32_e64 s[14:15], s14, v7
	s_and_saveexec_b64 s[20:21], s[14:15]
	s_cbranch_execz .LBB151_706
; %bb.705:
	v_lshlrev_b32_e32 v23, 3, v20
	v_lshl_add_u32 v23, v22, 3, v23
	ds_read_b64 v[25:26], v23 offset:21376
	ds_read_b64 v[27:28], v24 offset:16712
	s_waitcnt lgkmcnt(0)
	v_mul_f32_e32 v23, v28, v26
	v_mul_f32_e32 v26, v27, v26
	v_fma_f32 v23, v27, v25, -v23
	v_fmac_f32_e32 v26, v28, v25
	v_add_f32_e32 v2, v2, v23
	v_add_f32_e32 v3, v3, v26
.LBB151_706:
	s_or_b64 exec, exec, s[20:21]
	s_movk_i32 s14, 0x60
	v_cmp_gt_u32_e64 s[14:15], s14, v7
	s_and_saveexec_b64 s[20:21], s[14:15]
	s_cbranch_execz .LBB151_708
; %bb.707:
	v_lshlrev_b32_e32 v23, 3, v20
	v_lshl_add_u32 v23, v22, 3, v23
	ds_read_b64 v[25:26], v23 offset:21888
	ds_read_b64 v[27:28], v24 offset:16720
	s_waitcnt lgkmcnt(0)
	v_mul_f32_e32 v23, v28, v26
	v_mul_f32_e32 v26, v27, v26
	v_fma_f32 v23, v27, v25, -v23
	v_fmac_f32_e32 v26, v28, v25
	v_add_f32_e32 v2, v2, v23
	v_add_f32_e32 v3, v3, v26
.LBB151_708:
	s_or_b64 exec, exec, s[20:21]
	s_movk_i32 s14, 0x50
	v_cmp_gt_u32_e64 s[14:15], s14, v7
	s_and_saveexec_b64 s[20:21], s[14:15]
	s_cbranch_execnz .LBB151_1026
; %bb.709:
	s_or_b64 exec, exec, s[20:21]
	v_cmp_gt_u32_e64 s[14:15], 64, v7
	s_and_saveexec_b64 s[20:21], s[14:15]
	s_cbranch_execnz .LBB151_1027
.LBB151_710:
	s_or_b64 exec, exec, s[20:21]
	v_cmp_gt_u32_e64 s[14:15], 48, v7
	s_and_saveexec_b64 s[20:21], s[14:15]
	s_cbranch_execnz .LBB151_1028
.LBB151_711:
	s_or_b64 exec, exec, s[20:21]
	v_cmp_gt_u32_e64 s[14:15], 32, v7
	s_and_saveexec_b64 s[20:21], s[14:15]
	s_cbranch_execnz .LBB151_1029
.LBB151_712:
	s_or_b64 exec, exec, s[20:21]
	v_cmp_gt_u32_e64 s[14:15], 16, v7
	s_and_saveexec_b64 s[20:21], s[14:15]
	s_cbranch_execz .LBB151_714
.LBB151_713:
	v_lshlrev_b32_e32 v22, 3, v0
	v_mov_b32_e32 v24, 0
	ds_read_b64 v[22:23], v22 offset:24448
	ds_read_b64 v[24:25], v24 offset:16760
	s_waitcnt lgkmcnt(0)
	v_mul_f32_e32 v26, v25, v23
	v_mul_f32_e32 v23, v24, v23
	v_fma_f32 v24, v24, v22, -v26
	v_fmac_f32_e32 v23, v25, v22
	v_add_f32_e32 v2, v2, v24
	v_add_f32_e32 v3, v3, v23
.LBB151_714:
	s_or_b64 exec, exec, s[20:21]
	v_xor_b32_e32 v2, 0x80000000, v2
	v_xor_b32_e32 v3, 0x80000000, v3
.LBB151_715:
	s_or_b64 exec, exec, s[16:17]
	s_mov_b64 s[14:15], exec
	v_readlane_b32 s16, v35, 0
	v_readlane_b32 s17, v35, 1
	s_and_b64 s[16:17], s[14:15], s[16:17]
	s_mov_b64 exec, s[16:17]
; %bb.716:
	ds_write_b64 v21, v[2:3]
; %bb.717:
	s_or_b64 exec, exec, s[14:15]
	s_waitcnt lgkmcnt(0)
	s_barrier
	s_mov_b64 s[14:15], exec
	v_readlane_b32 s16, v35, 2
	v_readlane_b32 s17, v35, 3
	s_and_b64 s[16:17], s[14:15], s[16:17]
	s_mov_b64 exec, s[16:17]
	s_cbranch_execz .LBB151_719
; %bb.718:
	v_lshlrev_b32_e32 v22, 3, v20
	ds_read_b64 v[22:23], v22 offset:24960
	ds_read_b64 v[24:25], v21
	s_waitcnt lgkmcnt(0)
	v_mul_f32_e32 v26, v25, v23
	v_mul_f32_e32 v23, v24, v23
	v_fma_f32 v24, v24, v22, -v26
	v_fmac_f32_e32 v23, v25, v22
	v_add_f32_e32 v2, v2, v24
	v_add_f32_e32 v3, v3, v23
.LBB151_719:
	s_or_b64 exec, exec, s[14:15]
	s_barrier
	s_mov_b64 s[14:15], exec
	v_readlane_b32 s16, v35, 4
	v_readlane_b32 s17, v35, 5
	s_and_b64 s[16:17], s[14:15], s[16:17]
	s_mov_b64 exec, s[16:17]
; %bb.720:
	ds_write_b64 v21, v[2:3]
; %bb.721:
	s_or_b64 exec, exec, s[14:15]
	s_waitcnt lgkmcnt(0)
	s_barrier
	s_mov_b64 s[14:15], exec
	v_readlane_b32 s16, v35, 6
	v_readlane_b32 s17, v35, 7
	s_and_b64 s[16:17], s[14:15], s[16:17]
	s_mov_b64 exec, s[16:17]
	s_cbranch_execz .LBB151_723
; %bb.722:
	v_lshlrev_b32_e32 v22, 3, v20
	ds_read_b64 v[22:23], v22 offset:25472
	ds_read_b64 v[24:25], v21
	s_waitcnt lgkmcnt(0)
	v_mul_f32_e32 v26, v25, v23
	v_mul_f32_e32 v23, v24, v23
	v_fma_f32 v24, v24, v22, -v26
	v_fmac_f32_e32 v23, v25, v22
	v_add_f32_e32 v2, v2, v24
	v_add_f32_e32 v3, v3, v23
.LBB151_723:
	s_or_b64 exec, exec, s[14:15]
	s_barrier
	;; [unrolled: 31-line block ×12, first 2 shown]
	s_mov_b64 s[14:15], exec
	v_readlane_b32 s16, v35, 48
	v_readlane_b32 s17, v35, 49
	s_and_b64 s[16:17], s[14:15], s[16:17]
	s_mov_b64 exec, s[16:17]
; %bb.764:
	ds_write_b64 v21, v[2:3]
; %bb.765:
	s_or_b64 exec, exec, s[14:15]
	s_waitcnt lgkmcnt(0)
	s_barrier
	s_and_saveexec_b64 s[14:15], s[88:89]
	s_cbranch_execz .LBB151_767
; %bb.766:
	v_lshlrev_b32_e32 v22, 3, v20
	ds_read_b64 v[22:23], v22 offset:31104
	ds_read_b64 v[24:25], v21
	s_waitcnt lgkmcnt(0)
	v_mul_f32_e32 v26, v25, v23
	v_mul_f32_e32 v23, v24, v23
	v_fma_f32 v24, v24, v22, -v26
	v_fmac_f32_e32 v23, v25, v22
	v_add_f32_e32 v2, v2, v24
	v_add_f32_e32 v3, v3, v23
.LBB151_767:
	s_or_b64 exec, exec, s[14:15]
	s_barrier
	s_and_saveexec_b64 s[14:15], s[90:91]
; %bb.768:
	ds_write_b64 v21, v[2:3]
; %bb.769:
	s_or_b64 exec, exec, s[14:15]
	s_waitcnt lgkmcnt(0)
	s_barrier
	s_and_saveexec_b64 s[14:15], s[94:95]
	s_cbranch_execz .LBB151_771
; %bb.770:
	v_lshlrev_b32_e32 v20, 3, v20
	ds_read_b64 v[22:23], v20 offset:31616
	ds_read_b64 v[24:25], v21
	s_waitcnt lgkmcnt(0)
	v_mul_f32_e32 v20, v25, v23
	v_mul_f32_e32 v23, v24, v23
	v_fma_f32 v20, v24, v22, -v20
	v_fmac_f32_e32 v23, v25, v22
	v_add_f32_e32 v2, v2, v20
	v_add_f32_e32 v3, v3, v23
.LBB151_771:
	s_or_b64 exec, exec, s[14:15]
	s_barrier
	s_and_saveexec_b64 s[14:15], s[96:97]
; %bb.772:
	ds_write_b64 v21, v[2:3]
; %bb.773:
	s_or_b64 exec, exec, s[14:15]
	s_waitcnt lgkmcnt(0)
	s_barrier
	s_and_saveexec_b64 s[14:15], s[92:93]
	s_cbranch_execz .LBB151_775
; %bb.774:
	v_mov_b32_e32 v20, 0
	ds_read_b64 v[22:23], v20 offset:32248
	ds_read_b64 v[24:25], v21
	s_waitcnt lgkmcnt(0)
	v_mul_f32_e32 v20, v25, v23
	v_mul_f32_e32 v23, v24, v23
	v_fma_f32 v20, v24, v22, -v20
	v_fmac_f32_e32 v23, v25, v22
	v_add_f32_e32 v2, v2, v20
	v_add_f32_e32 v3, v3, v23
.LBB151_775:
	s_or_b64 exec, exec, s[14:15]
	s_barrier
	s_and_saveexec_b64 s[14:15], s[92:93]
; %bb.776:
	ds_write_b64 v21, v[2:3]
; %bb.777:
	s_or_b64 exec, exec, s[14:15]
	s_waitcnt lgkmcnt(0)
	s_barrier
	s_barrier
	s_and_saveexec_b64 s[14:15], s[12:13]
; %bb.778:
	v_xor_b32_e32 v2, 0x80000000, v2
	v_xor_b32_e32 v3, 0x80000000, v3
	ds_write_b64 v19, v[2:3] offset:16768
; %bb.779:
	s_or_b64 exec, exec, s[14:15]
	s_waitcnt lgkmcnt(0)
	s_barrier
	s_barrier
	s_and_saveexec_b64 s[12:13], vcc
	s_cbranch_execz .LBB151_781
; %bb.780:
	s_mov_b64 s[14:15], 0x3f800000
	v_mov_b32_e32 v2, s14
	v_mov_b32_e32 v3, s15
	s_movk_i32 s14, 0x6000
	v_add_u32_e64 v19, s14, 0
	ds_write2_b64 v19, v[2:3], v[2:3] offset0:48 offset1:113
.LBB151_781:
	s_or_b64 exec, exec, s[12:13]
	v_mov_b32_e32 v3, 0
	v_mov_b32_e32 v2, 0
	s_waitcnt lgkmcnt(0)
	s_barrier
	s_and_saveexec_b64 s[14:15], s[6:7]
	s_cbranch_execz .LBB151_785
; %bb.782:
	v_mul_u32_u24_e32 v19, 0x208, v6
	ds_read_b64 v[2:3], v4 offset:24976
	ds_read_b64 v[19:20], v19 offset:24960
	v_cmp_gt_u32_e64 s[12:13], 2, v7
	s_waitcnt lgkmcnt(0)
	v_mul_f32_e32 v21, v20, v3
	v_mul_f32_e32 v3, v19, v3
	v_fma_f32 v19, v19, v2, -v21
	v_fmac_f32_e32 v3, v20, v2
	v_add_f32_e32 v2, 0, v19
	v_add_f32_e32 v3, 0, v3
	s_and_saveexec_b64 s[16:17], s[12:13]
	s_cbranch_execz .LBB151_784
; %bb.783:
	v_lshlrev_b32_e32 v19, 3, v0
	v_mov_b32_e32 v21, 0
	ds_read_b64 v[19:20], v19 offset:25488
	ds_read_b64 v[21:22], v21 offset:24968
	s_waitcnt lgkmcnt(0)
	v_mul_f32_e32 v23, v22, v20
	v_mul_f32_e32 v20, v21, v20
	v_fma_f32 v21, v21, v19, -v23
	v_fmac_f32_e32 v20, v22, v19
	v_add_f32_e32 v2, v2, v21
	v_add_f32_e32 v3, v3, v20
.LBB151_784:
	s_or_b64 exec, exec, s[16:17]
	v_xor_b32_e32 v2, 0x80000000, v2
	v_xor_b32_e32 v3, 0x80000000, v3
.LBB151_785:
	s_or_b64 exec, exec, s[14:15]
	s_and_saveexec_b64 s[12:13], s[42:43]
; %bb.786:
	ds_write_b64 v5, v[2:3]
; %bb.787:
	s_or_b64 exec, exec, s[12:13]
	s_waitcnt lgkmcnt(0)
	s_barrier
	s_and_saveexec_b64 s[12:13], s[40:41]
	s_cbranch_execz .LBB151_789
; %bb.788:
	v_mov_b32_e32 v19, 0
	ds_read_b64 v[19:20], v19 offset:26008
	ds_read_b64 v[21:22], v5
	s_waitcnt lgkmcnt(0)
	v_mul_f32_e32 v23, v22, v20
	v_mul_f32_e32 v20, v21, v20
	v_fma_f32 v21, v21, v19, -v23
	v_fmac_f32_e32 v20, v22, v19
	v_add_f32_e32 v2, v2, v21
	v_add_f32_e32 v3, v3, v20
.LBB151_789:
	s_or_b64 exec, exec, s[12:13]
	s_barrier
	s_and_saveexec_b64 s[12:13], s[40:41]
; %bb.790:
	ds_write_b64 v5, v[2:3]
; %bb.791:
	s_or_b64 exec, exec, s[12:13]
	s_waitcnt lgkmcnt(0)
	s_barrier
	s_barrier
	s_and_saveexec_b64 s[12:13], s[6:7]
; %bb.792:
	v_xor_b32_e32 v3, 0x80000000, v3
	v_xor_b32_e32 v2, 0x80000000, v2
	ds_write_b64 v4, v[2:3] offset:24976
; %bb.793:
	s_or_b64 exec, exec, s[12:13]
	s_waitcnt lgkmcnt(0)
	s_barrier
	s_barrier
	s_and_saveexec_b64 s[12:13], vcc
	s_cbranch_execz .LBB151_795
; %bb.794:
	s_mov_b64 s[14:15], 0x3f800000
	v_mov_b32_e32 v2, s14
	v_mov_b32_e32 v3, s15
	s_movk_i32 s14, 0x6000
	v_add_u32_e64 v19, s14, 0
	ds_write2_b64 v19, v[2:3], v[2:3] offset0:178 offset1:243
.LBB151_795:
	s_or_b64 exec, exec, s[12:13]
	v_mov_b32_e32 v3, 0
	v_mov_b32_e32 v2, 0
	s_waitcnt lgkmcnt(0)
	s_barrier
	s_and_saveexec_b64 s[14:15], s[18:19]
	s_cbranch_execz .LBB151_801
; %bb.796:
	v_mul_u32_u24_e32 v19, 0x208, v13
	ds_read_b64 v[2:3], v9 offset:24992
	ds_read_b64 v[20:21], v19 offset:24960
	v_cmp_gt_u32_e64 s[12:13], 12, v7
	s_waitcnt lgkmcnt(0)
	v_mul_f32_e32 v22, v21, v3
	v_mul_f32_e32 v3, v20, v3
	v_fma_f32 v20, v20, v2, -v22
	v_fmac_f32_e32 v3, v21, v2
	v_add_f32_e32 v2, 0, v20
	v_add_f32_e32 v3, 0, v3
	s_and_saveexec_b64 s[16:17], s[12:13]
	s_cbranch_execnz .LBB151_1030
; %bb.797:
	s_or_b64 exec, exec, s[16:17]
	v_cmp_gt_u32_e64 s[12:13], 8, v7
	s_and_saveexec_b64 s[16:17], s[12:13]
	s_cbranch_execnz .LBB151_1031
.LBB151_798:
	s_or_b64 exec, exec, s[16:17]
	v_cmp_gt_u32_e64 s[12:13], 4, v7
	s_and_saveexec_b64 s[16:17], s[12:13]
	s_cbranch_execz .LBB151_800
.LBB151_799:
	v_lshlrev_b32_e32 v19, 3, v0
	v_mov_b32_e32 v21, 0
	ds_read_b64 v[19:20], v19 offset:26528
	ds_read_b64 v[21:22], v21 offset:24984
	s_waitcnt lgkmcnt(0)
	v_mul_f32_e32 v23, v22, v20
	v_mul_f32_e32 v20, v21, v20
	v_fma_f32 v21, v21, v19, -v23
	v_fmac_f32_e32 v20, v22, v19
	v_add_f32_e32 v2, v2, v21
	v_add_f32_e32 v3, v3, v20
.LBB151_800:
	s_or_b64 exec, exec, s[16:17]
	v_xor_b32_e32 v2, 0x80000000, v2
	v_xor_b32_e32 v3, 0x80000000, v3
.LBB151_801:
	s_or_b64 exec, exec, s[14:15]
	s_and_saveexec_b64 s[12:13], s[46:47]
; %bb.802:
	ds_write_b64 v11, v[2:3]
; %bb.803:
	s_or_b64 exec, exec, s[12:13]
	s_waitcnt lgkmcnt(0)
	s_barrier
	s_and_saveexec_b64 s[12:13], s[48:49]
	s_cbranch_execz .LBB151_805
; %bb.804:
	ds_read_b64 v[19:20], v10 offset:27040
	ds_read_b64 v[21:22], v11
	s_waitcnt lgkmcnt(0)
	v_mul_f32_e32 v23, v22, v20
	v_mul_f32_e32 v20, v21, v20
	v_fma_f32 v21, v21, v19, -v23
	v_fmac_f32_e32 v20, v22, v19
	v_add_f32_e32 v2, v2, v21
	v_add_f32_e32 v3, v3, v20
.LBB151_805:
	s_or_b64 exec, exec, s[12:13]
	s_barrier
	s_and_saveexec_b64 s[12:13], s[50:51]
; %bb.806:
	ds_write_b64 v11, v[2:3]
; %bb.807:
	s_or_b64 exec, exec, s[12:13]
	s_waitcnt lgkmcnt(0)
	s_barrier
	s_and_saveexec_b64 s[12:13], s[52:53]
	s_cbranch_execz .LBB151_809
; %bb.808:
	ds_read_b64 v[19:20], v10 offset:27552
	ds_read_b64 v[21:22], v11
	s_waitcnt lgkmcnt(0)
	v_mul_f32_e32 v23, v22, v20
	v_mul_f32_e32 v20, v21, v20
	v_fma_f32 v21, v21, v19, -v23
	v_fmac_f32_e32 v20, v22, v19
	v_add_f32_e32 v2, v2, v21
	v_add_f32_e32 v3, v3, v20
.LBB151_809:
	s_or_b64 exec, exec, s[12:13]
	s_barrier
	s_and_saveexec_b64 s[12:13], s[54:55]
; %bb.810:
	ds_write_b64 v11, v[2:3]
; %bb.811:
	s_or_b64 exec, exec, s[12:13]
	s_waitcnt lgkmcnt(0)
	s_barrier
	s_and_saveexec_b64 s[12:13], s[44:45]
	s_cbranch_execz .LBB151_813
; %bb.812:
	v_mov_b32_e32 v19, 0
	ds_read_b64 v[19:20], v19 offset:28088
	ds_read_b64 v[21:22], v11
	s_waitcnt lgkmcnt(0)
	v_mul_f32_e32 v23, v22, v20
	v_mul_f32_e32 v20, v21, v20
	v_fma_f32 v21, v21, v19, -v23
	v_fmac_f32_e32 v20, v22, v19
	v_add_f32_e32 v2, v2, v21
	v_add_f32_e32 v3, v3, v20
.LBB151_813:
	s_or_b64 exec, exec, s[12:13]
	s_barrier
	s_and_saveexec_b64 s[12:13], s[44:45]
; %bb.814:
	ds_write_b64 v11, v[2:3]
; %bb.815:
	s_or_b64 exec, exec, s[12:13]
	s_waitcnt lgkmcnt(0)
	s_barrier
	s_barrier
	s_and_saveexec_b64 s[12:13], s[18:19]
; %bb.816:
	v_xor_b32_e32 v2, 0x80000000, v2
	v_xor_b32_e32 v3, 0x80000000, v3
	ds_write_b64 v9, v[2:3] offset:24992
; %bb.817:
	s_or_b64 exec, exec, s[12:13]
	s_waitcnt lgkmcnt(0)
	s_barrier
	s_barrier
	s_and_saveexec_b64 s[12:13], vcc
	s_cbranch_execz .LBB151_819
; %bb.818:
	s_mov_b64 s[14:15], 0x3f800000
	v_mov_b32_e32 v2, s14
	v_mov_b32_e32 v3, s15
	s_movk_i32 s14, 0x6800
	v_add_u32_e64 v19, s14, 0
	ds_write2_b64 v19, v[2:3], v[2:3] offset0:52 offset1:117
.LBB151_819:
	s_or_b64 exec, exec, s[12:13]
	v_mov_b32_e32 v3, 0
	v_mov_b32_e32 v2, 0
	s_waitcnt lgkmcnt(0)
	s_barrier
	s_and_saveexec_b64 s[14:15], s[6:7]
	s_cbranch_execz .LBB151_823
; %bb.820:
	v_mul_u32_u24_e32 v19, 0x208, v6
	ds_read_b64 v[2:3], v4 offset:27056
	ds_read_b64 v[19:20], v19 offset:27040
	v_cmp_gt_u32_e64 s[12:13], 2, v7
	s_waitcnt lgkmcnt(0)
	v_mul_f32_e32 v21, v20, v3
	v_mul_f32_e32 v3, v19, v3
	v_fma_f32 v19, v19, v2, -v21
	v_fmac_f32_e32 v3, v20, v2
	v_add_f32_e32 v2, 0, v19
	v_add_f32_e32 v3, 0, v3
	s_and_saveexec_b64 s[16:17], s[12:13]
	s_cbranch_execz .LBB151_822
; %bb.821:
	v_lshlrev_b32_e32 v19, 3, v0
	v_mov_b32_e32 v21, 0
	ds_read_b64 v[19:20], v19 offset:27568
	ds_read_b64 v[21:22], v21 offset:27048
	s_waitcnt lgkmcnt(0)
	v_mul_f32_e32 v23, v22, v20
	v_mul_f32_e32 v20, v21, v20
	v_fma_f32 v21, v21, v19, -v23
	v_fmac_f32_e32 v20, v22, v19
	v_add_f32_e32 v2, v2, v21
	v_add_f32_e32 v3, v3, v20
.LBB151_822:
	s_or_b64 exec, exec, s[16:17]
	v_xor_b32_e32 v2, 0x80000000, v2
	v_xor_b32_e32 v3, 0x80000000, v3
.LBB151_823:
	s_or_b64 exec, exec, s[14:15]
	s_and_saveexec_b64 s[12:13], s[42:43]
; %bb.824:
	ds_write_b64 v5, v[2:3]
; %bb.825:
	s_or_b64 exec, exec, s[12:13]
	s_waitcnt lgkmcnt(0)
	s_barrier
	s_and_saveexec_b64 s[12:13], s[40:41]
	s_cbranch_execz .LBB151_827
; %bb.826:
	v_mov_b32_e32 v19, 0
	ds_read_b64 v[19:20], v19 offset:28088
	ds_read_b64 v[21:22], v5
	s_waitcnt lgkmcnt(0)
	v_mul_f32_e32 v23, v22, v20
	v_mul_f32_e32 v20, v21, v20
	v_fma_f32 v21, v21, v19, -v23
	v_fmac_f32_e32 v20, v22, v19
	v_add_f32_e32 v2, v2, v21
	v_add_f32_e32 v3, v3, v20
.LBB151_827:
	s_or_b64 exec, exec, s[12:13]
	s_barrier
	s_and_saveexec_b64 s[12:13], s[40:41]
; %bb.828:
	ds_write_b64 v5, v[2:3]
; %bb.829:
	s_or_b64 exec, exec, s[12:13]
	s_waitcnt lgkmcnt(0)
	s_barrier
	s_barrier
	s_and_saveexec_b64 s[12:13], s[6:7]
; %bb.830:
	v_xor_b32_e32 v3, 0x80000000, v3
	v_xor_b32_e32 v2, 0x80000000, v2
	ds_write_b64 v4, v[2:3] offset:27056
; %bb.831:
	s_or_b64 exec, exec, s[12:13]
	s_waitcnt lgkmcnt(0)
	s_barrier
	s_barrier
	s_and_saveexec_b64 s[12:13], vcc
	s_cbranch_execz .LBB151_833
; %bb.832:
	s_mov_b64 s[14:15], 0x3f800000
	v_mov_b32_e32 v2, s14
	v_mov_b32_e32 v3, s15
	s_movk_i32 s14, 0x6800
	v_add_u32_e64 v19, s14, 0
	ds_write2_b64 v19, v[2:3], v[2:3] offset0:182 offset1:247
.LBB151_833:
	s_or_b64 exec, exec, s[12:13]
	v_mov_b32_e32 v3, 0
	v_mov_b32_e32 v2, 0
	s_waitcnt lgkmcnt(0)
	s_barrier
	s_and_saveexec_b64 s[14:15], s[10:11]
	s_cbranch_execz .LBB151_843
; %bb.834:
	v_mul_u32_u24_e32 v19, 0x208, v18
	ds_read_b64 v[2:3], v14 offset:25024
	ds_read_b64 v[20:21], v19 offset:24960
	v_cmp_gt_u32_e64 s[12:13], 56, v7
	s_waitcnt lgkmcnt(0)
	v_mul_f32_e32 v22, v21, v3
	v_mul_f32_e32 v3, v20, v3
	v_fma_f32 v20, v20, v2, -v22
	v_fmac_f32_e32 v3, v21, v2
	v_add_f32_e32 v2, 0, v20
	v_add_f32_e32 v3, 0, v3
	s_and_saveexec_b64 s[16:17], s[12:13]
	s_cbranch_execnz .LBB151_1032
; %bb.835:
	s_or_b64 exec, exec, s[16:17]
	v_cmp_gt_u32_e64 s[12:13], 48, v7
	s_and_saveexec_b64 s[16:17], s[12:13]
	s_cbranch_execnz .LBB151_1033
.LBB151_836:
	s_or_b64 exec, exec, s[16:17]
	v_cmp_gt_u32_e64 s[12:13], 40, v7
	s_and_saveexec_b64 s[16:17], s[12:13]
	s_cbranch_execnz .LBB151_1034
.LBB151_837:
	s_or_b64 exec, exec, s[16:17]
	v_cmp_gt_u32_e64 s[12:13], 32, v7
	s_and_saveexec_b64 s[16:17], s[12:13]
	s_cbranch_execnz .LBB151_1035
.LBB151_838:
	s_or_b64 exec, exec, s[16:17]
	v_cmp_gt_u32_e64 s[12:13], 24, v7
	s_and_saveexec_b64 s[16:17], s[12:13]
	s_cbranch_execnz .LBB151_1036
.LBB151_839:
	s_or_b64 exec, exec, s[16:17]
	v_cmp_gt_u32_e64 s[12:13], 16, v7
	s_and_saveexec_b64 s[16:17], s[12:13]
	s_cbranch_execnz .LBB151_1037
.LBB151_840:
	s_or_b64 exec, exec, s[16:17]
	v_cmp_gt_u32_e64 s[12:13], 8, v7
	s_and_saveexec_b64 s[16:17], s[12:13]
	s_cbranch_execz .LBB151_842
.LBB151_841:
	v_lshlrev_b32_e32 v17, 3, v0
	v_mov_b32_e32 v19, 0
	ds_read_b64 v[17:18], v17 offset:28608
	ds_read_b64 v[19:20], v19 offset:25016
	s_waitcnt lgkmcnt(0)
	v_mul_f32_e32 v21, v20, v18
	v_mul_f32_e32 v18, v19, v18
	v_fma_f32 v19, v19, v17, -v21
	v_fmac_f32_e32 v18, v20, v17
	v_add_f32_e32 v2, v2, v19
	v_add_f32_e32 v3, v3, v18
.LBB151_842:
	s_or_b64 exec, exec, s[16:17]
	v_xor_b32_e32 v2, 0x80000000, v2
	v_xor_b32_e32 v3, 0x80000000, v3
.LBB151_843:
	s_or_b64 exec, exec, s[14:15]
	s_and_saveexec_b64 s[12:13], s[58:59]
; %bb.844:
	ds_write_b64 v16, v[2:3]
; %bb.845:
	s_or_b64 exec, exec, s[12:13]
	s_waitcnt lgkmcnt(0)
	s_barrier
	s_and_saveexec_b64 s[12:13], s[60:61]
	s_cbranch_execz .LBB151_847
; %bb.846:
	ds_read_b64 v[17:18], v15 offset:29120
	ds_read_b64 v[19:20], v16
	s_waitcnt lgkmcnt(0)
	v_mul_f32_e32 v21, v20, v18
	v_mul_f32_e32 v18, v19, v18
	v_fma_f32 v19, v19, v17, -v21
	v_fmac_f32_e32 v18, v20, v17
	v_add_f32_e32 v2, v2, v19
	v_add_f32_e32 v3, v3, v18
.LBB151_847:
	s_or_b64 exec, exec, s[12:13]
	s_barrier
	s_and_saveexec_b64 s[12:13], s[62:63]
; %bb.848:
	ds_write_b64 v16, v[2:3]
; %bb.849:
	s_or_b64 exec, exec, s[12:13]
	s_waitcnt lgkmcnt(0)
	s_barrier
	s_and_saveexec_b64 s[12:13], s[64:65]
	s_cbranch_execz .LBB151_851
; %bb.850:
	ds_read_b64 v[17:18], v15 offset:29632
	ds_read_b64 v[19:20], v16
	s_waitcnt lgkmcnt(0)
	v_mul_f32_e32 v21, v20, v18
	v_mul_f32_e32 v18, v19, v18
	v_fma_f32 v19, v19, v17, -v21
	v_fmac_f32_e32 v18, v20, v17
	v_add_f32_e32 v2, v2, v19
	v_add_f32_e32 v3, v3, v18
.LBB151_851:
	s_or_b64 exec, exec, s[12:13]
	s_barrier
	;; [unrolled: 22-line block ×6, first 2 shown]
	s_and_saveexec_b64 s[12:13], s[82:83]
; %bb.868:
	ds_write_b64 v16, v[2:3]
; %bb.869:
	s_or_b64 exec, exec, s[12:13]
	s_waitcnt lgkmcnt(0)
	s_barrier
	s_and_saveexec_b64 s[12:13], s[56:57]
	s_cbranch_execz .LBB151_871
; %bb.870:
	v_mov_b32_e32 v15, 0
	ds_read_b64 v[17:18], v15 offset:32248
	ds_read_b64 v[19:20], v16
	s_waitcnt lgkmcnt(0)
	v_mul_f32_e32 v15, v20, v18
	v_mul_f32_e32 v18, v19, v18
	v_fma_f32 v15, v19, v17, -v15
	v_fmac_f32_e32 v18, v20, v17
	v_add_f32_e32 v2, v2, v15
	v_add_f32_e32 v3, v3, v18
.LBB151_871:
	s_or_b64 exec, exec, s[12:13]
	s_barrier
	s_and_saveexec_b64 s[12:13], s[56:57]
; %bb.872:
	ds_write_b64 v16, v[2:3]
; %bb.873:
	s_or_b64 exec, exec, s[12:13]
	s_waitcnt lgkmcnt(0)
	s_barrier
	s_barrier
	s_and_saveexec_b64 s[12:13], s[10:11]
; %bb.874:
	v_xor_b32_e32 v3, 0x80000000, v3
	v_xor_b32_e32 v2, 0x80000000, v2
	ds_write_b64 v14, v[2:3] offset:25024
; %bb.875:
	s_or_b64 exec, exec, s[12:13]
	s_waitcnt lgkmcnt(0)
	s_barrier
	s_barrier
	s_and_saveexec_b64 s[10:11], vcc
	s_cbranch_execz .LBB151_877
; %bb.876:
	s_mov_b64 s[12:13], 0x3f800000
	v_mov_b32_e32 v2, s12
	v_mov_b32_e32 v3, s13
	s_movk_i32 s12, 0x7000
	v_add_u32_e64 v14, s12, 0
	ds_write2_b64 v14, v[2:3], v[2:3] offset0:56 offset1:121
.LBB151_877:
	s_or_b64 exec, exec, s[10:11]
	v_mov_b32_e32 v3, 0
	v_mov_b32_e32 v2, 0
	s_waitcnt lgkmcnt(0)
	s_barrier
	s_and_saveexec_b64 s[12:13], s[6:7]
	s_cbranch_execz .LBB151_881
; %bb.878:
	v_mul_u32_u24_e32 v14, 0x208, v6
	ds_read_b64 v[2:3], v4 offset:29136
	ds_read_b64 v[14:15], v14 offset:29120
	v_cmp_gt_u32_e64 s[10:11], 2, v7
	s_waitcnt lgkmcnt(0)
	v_mul_f32_e32 v16, v15, v3
	v_mul_f32_e32 v3, v14, v3
	v_fma_f32 v14, v14, v2, -v16
	v_fmac_f32_e32 v3, v15, v2
	v_add_f32_e32 v2, 0, v14
	v_add_f32_e32 v3, 0, v3
	s_and_saveexec_b64 s[14:15], s[10:11]
	s_cbranch_execz .LBB151_880
; %bb.879:
	v_lshlrev_b32_e32 v14, 3, v0
	v_mov_b32_e32 v16, 0
	ds_read_b64 v[14:15], v14 offset:29648
	ds_read_b64 v[16:17], v16 offset:29128
	s_waitcnt lgkmcnt(0)
	v_mul_f32_e32 v18, v17, v15
	v_mul_f32_e32 v15, v16, v15
	v_fma_f32 v16, v16, v14, -v18
	v_fmac_f32_e32 v15, v17, v14
	v_add_f32_e32 v2, v2, v16
	v_add_f32_e32 v3, v3, v15
.LBB151_880:
	s_or_b64 exec, exec, s[14:15]
	v_xor_b32_e32 v2, 0x80000000, v2
	v_xor_b32_e32 v3, 0x80000000, v3
.LBB151_881:
	s_or_b64 exec, exec, s[12:13]
	s_and_saveexec_b64 s[10:11], s[42:43]
; %bb.882:
	ds_write_b64 v5, v[2:3]
; %bb.883:
	s_or_b64 exec, exec, s[10:11]
	s_waitcnt lgkmcnt(0)
	s_barrier
	s_and_saveexec_b64 s[10:11], s[40:41]
	s_cbranch_execz .LBB151_885
; %bb.884:
	v_mov_b32_e32 v14, 0
	ds_read_b64 v[14:15], v14 offset:30168
	ds_read_b64 v[16:17], v5
	s_waitcnt lgkmcnt(0)
	v_mul_f32_e32 v18, v17, v15
	v_mul_f32_e32 v15, v16, v15
	v_fma_f32 v16, v16, v14, -v18
	v_fmac_f32_e32 v15, v17, v14
	v_add_f32_e32 v2, v2, v16
	v_add_f32_e32 v3, v3, v15
.LBB151_885:
	s_or_b64 exec, exec, s[10:11]
	s_barrier
	s_and_saveexec_b64 s[10:11], s[40:41]
; %bb.886:
	ds_write_b64 v5, v[2:3]
; %bb.887:
	s_or_b64 exec, exec, s[10:11]
	s_waitcnt lgkmcnt(0)
	s_barrier
	s_barrier
	s_and_saveexec_b64 s[10:11], s[6:7]
; %bb.888:
	v_xor_b32_e32 v3, 0x80000000, v3
	v_xor_b32_e32 v2, 0x80000000, v2
	ds_write_b64 v4, v[2:3] offset:29136
; %bb.889:
	s_or_b64 exec, exec, s[10:11]
	s_waitcnt lgkmcnt(0)
	s_barrier
	s_barrier
	s_and_saveexec_b64 s[10:11], vcc
	s_cbranch_execz .LBB151_891
; %bb.890:
	s_mov_b64 s[12:13], 0x3f800000
	v_mov_b32_e32 v2, s12
	v_mov_b32_e32 v3, s13
	s_movk_i32 s12, 0x7000
	v_add_u32_e64 v14, s12, 0
	ds_write2_b64 v14, v[2:3], v[2:3] offset0:186 offset1:251
.LBB151_891:
	s_or_b64 exec, exec, s[10:11]
	v_mov_b32_e32 v3, 0
	v_mov_b32_e32 v2, 0
	s_waitcnt lgkmcnt(0)
	s_barrier
	s_and_saveexec_b64 s[12:13], s[18:19]
	s_cbranch_execz .LBB151_897
; %bb.892:
	v_mul_u32_u24_e32 v14, 0x208, v13
	ds_read_b64 v[2:3], v9 offset:29152
	ds_read_b64 v[15:16], v14 offset:29120
	v_cmp_gt_u32_e64 s[10:11], 12, v7
	s_waitcnt lgkmcnt(0)
	v_mul_f32_e32 v17, v16, v3
	v_mul_f32_e32 v3, v15, v3
	v_fma_f32 v15, v15, v2, -v17
	v_fmac_f32_e32 v3, v16, v2
	v_add_f32_e32 v2, 0, v15
	v_add_f32_e32 v3, 0, v3
	s_and_saveexec_b64 s[14:15], s[10:11]
	s_cbranch_execnz .LBB151_1038
; %bb.893:
	s_or_b64 exec, exec, s[14:15]
	v_cmp_gt_u32_e64 s[10:11], 8, v7
	s_and_saveexec_b64 s[14:15], s[10:11]
	s_cbranch_execnz .LBB151_1039
.LBB151_894:
	s_or_b64 exec, exec, s[14:15]
	v_cmp_gt_u32_e64 s[10:11], 4, v7
	s_and_saveexec_b64 s[14:15], s[10:11]
	s_cbranch_execz .LBB151_896
.LBB151_895:
	v_lshlrev_b32_e32 v12, 3, v0
	v_mov_b32_e32 v14, 0
	ds_read_b64 v[12:13], v12 offset:30688
	ds_read_b64 v[14:15], v14 offset:29144
	s_waitcnt lgkmcnt(0)
	v_mul_f32_e32 v16, v15, v13
	v_mul_f32_e32 v13, v14, v13
	v_fma_f32 v14, v14, v12, -v16
	v_fmac_f32_e32 v13, v15, v12
	v_add_f32_e32 v2, v2, v14
	v_add_f32_e32 v3, v3, v13
.LBB151_896:
	s_or_b64 exec, exec, s[14:15]
	v_xor_b32_e32 v2, 0x80000000, v2
	v_xor_b32_e32 v3, 0x80000000, v3
.LBB151_897:
	s_or_b64 exec, exec, s[12:13]
	s_and_saveexec_b64 s[10:11], s[46:47]
; %bb.898:
	ds_write_b64 v11, v[2:3]
; %bb.899:
	s_or_b64 exec, exec, s[10:11]
	s_waitcnt lgkmcnt(0)
	s_barrier
	s_and_saveexec_b64 s[10:11], s[48:49]
	s_load_dword s46, s[4:5], 0x6c
	s_cbranch_execz .LBB151_901
; %bb.900:
	ds_read_b64 v[12:13], v10 offset:31200
	ds_read_b64 v[14:15], v11
	s_waitcnt lgkmcnt(0)
	v_mul_f32_e32 v16, v15, v13
	v_mul_f32_e32 v13, v14, v13
	v_fma_f32 v14, v14, v12, -v16
	v_fmac_f32_e32 v13, v15, v12
	v_add_f32_e32 v2, v2, v14
	v_add_f32_e32 v3, v3, v13
.LBB151_901:
	s_or_b64 exec, exec, s[10:11]
	s_waitcnt lgkmcnt(0)
	s_barrier
	s_and_saveexec_b64 s[10:11], s[50:51]
; %bb.902:
	ds_write_b64 v11, v[2:3]
; %bb.903:
	s_or_b64 exec, exec, s[10:11]
	s_waitcnt lgkmcnt(0)
	s_barrier
	s_and_saveexec_b64 s[10:11], s[52:53]
	s_cbranch_execz .LBB151_905
; %bb.904:
	ds_read_b64 v[12:13], v10 offset:31712
	ds_read_b64 v[14:15], v11
	s_waitcnt lgkmcnt(0)
	v_mul_f32_e32 v10, v15, v13
	v_mul_f32_e32 v13, v14, v13
	v_fma_f32 v10, v14, v12, -v10
	v_fmac_f32_e32 v13, v15, v12
	v_add_f32_e32 v2, v2, v10
	v_add_f32_e32 v3, v3, v13
.LBB151_905:
	s_or_b64 exec, exec, s[10:11]
	s_barrier
	s_and_saveexec_b64 s[10:11], s[54:55]
; %bb.906:
	ds_write_b64 v11, v[2:3]
; %bb.907:
	s_or_b64 exec, exec, s[10:11]
	s_waitcnt lgkmcnt(0)
	s_barrier
	s_and_saveexec_b64 s[10:11], s[44:45]
	s_cbranch_execz .LBB151_909
; %bb.908:
	v_mov_b32_e32 v10, 0
	ds_read_b64 v[12:13], v10 offset:32248
	ds_read_b64 v[14:15], v11
	s_waitcnt lgkmcnt(0)
	v_mul_f32_e32 v10, v15, v13
	v_mul_f32_e32 v13, v14, v13
	v_fma_f32 v10, v14, v12, -v10
	v_fmac_f32_e32 v13, v15, v12
	v_add_f32_e32 v2, v2, v10
	v_add_f32_e32 v3, v3, v13
.LBB151_909:
	s_or_b64 exec, exec, s[10:11]
	s_barrier
	s_and_saveexec_b64 s[10:11], s[44:45]
; %bb.910:
	ds_write_b64 v11, v[2:3]
; %bb.911:
	s_or_b64 exec, exec, s[10:11]
	s_waitcnt lgkmcnt(0)
	s_barrier
	s_barrier
	s_and_saveexec_b64 s[10:11], s[18:19]
; %bb.912:
	v_xor_b32_e32 v2, 0x80000000, v2
	v_xor_b32_e32 v3, 0x80000000, v3
	ds_write_b64 v9, v[2:3] offset:29152
; %bb.913:
	s_or_b64 exec, exec, s[10:11]
	s_waitcnt lgkmcnt(0)
	s_barrier
	s_barrier
	s_and_saveexec_b64 s[10:11], vcc
	s_cbranch_execz .LBB151_915
; %bb.914:
	s_mov_b64 s[12:13], 0x3f800000
	v_mov_b32_e32 v2, s12
	v_mov_b32_e32 v3, s13
	s_movk_i32 s12, 0x7800
	v_add_u32_e64 v9, s12, 0
	ds_write2_b64 v9, v[2:3], v[2:3] offset0:60 offset1:125
.LBB151_915:
	s_or_b64 exec, exec, s[10:11]
	v_mov_b32_e32 v3, 0
	v_mov_b32_e32 v2, 0
	s_waitcnt lgkmcnt(0)
	s_barrier
	s_and_saveexec_b64 s[12:13], s[6:7]
	s_cbranch_execz .LBB151_919
; %bb.916:
	v_mul_u32_u24_e32 v6, 0x208, v6
	ds_read_b64 v[2:3], v4 offset:31216
	ds_read_b64 v[9:10], v6 offset:31200
	v_cmp_gt_u32_e64 s[10:11], 2, v7
	s_waitcnt lgkmcnt(0)
	v_mul_f32_e32 v6, v10, v3
	v_mul_f32_e32 v3, v9, v3
	v_fma_f32 v6, v9, v2, -v6
	v_fmac_f32_e32 v3, v10, v2
	v_add_f32_e32 v2, 0, v6
	v_add_f32_e32 v3, 0, v3
	s_and_saveexec_b64 s[14:15], s[10:11]
	s_cbranch_execz .LBB151_918
; %bb.917:
	v_lshlrev_b32_e32 v6, 3, v0
	v_mov_b32_e32 v11, 0
	ds_read_b64 v[9:10], v6 offset:31728
	ds_read_b64 v[11:12], v11 offset:31208
	s_waitcnt lgkmcnt(0)
	v_mul_f32_e32 v6, v12, v10
	v_mul_f32_e32 v10, v11, v10
	v_fma_f32 v6, v11, v9, -v6
	v_fmac_f32_e32 v10, v12, v9
	v_add_f32_e32 v2, v2, v6
	v_add_f32_e32 v3, v3, v10
.LBB151_918:
	s_or_b64 exec, exec, s[14:15]
	v_xor_b32_e32 v2, 0x80000000, v2
	v_xor_b32_e32 v3, 0x80000000, v3
.LBB151_919:
	s_or_b64 exec, exec, s[12:13]
	s_and_saveexec_b64 s[10:11], s[42:43]
; %bb.920:
	ds_write_b64 v5, v[2:3]
; %bb.921:
	s_or_b64 exec, exec, s[10:11]
	s_waitcnt lgkmcnt(0)
	s_barrier
	s_and_saveexec_b64 s[10:11], s[40:41]
	s_cbranch_execz .LBB151_923
; %bb.922:
	v_mov_b32_e32 v6, 0
	ds_read_b64 v[9:10], v6 offset:32248
	ds_read_b64 v[11:12], v5
	s_waitcnt lgkmcnt(0)
	v_mul_f32_e32 v6, v12, v10
	v_mul_f32_e32 v10, v11, v10
	v_fma_f32 v6, v11, v9, -v6
	v_fmac_f32_e32 v10, v12, v9
	v_add_f32_e32 v2, v2, v6
	v_add_f32_e32 v3, v3, v10
.LBB151_923:
	s_or_b64 exec, exec, s[10:11]
	s_barrier
	s_and_saveexec_b64 s[10:11], s[40:41]
; %bb.924:
	ds_write_b64 v5, v[2:3]
; %bb.925:
	s_or_b64 exec, exec, s[10:11]
	s_waitcnt lgkmcnt(0)
	s_barrier
	s_barrier
	s_and_saveexec_b64 s[10:11], s[6:7]
; %bb.926:
	v_xor_b32_e32 v3, 0x80000000, v3
	v_xor_b32_e32 v2, 0x80000000, v2
	ds_write_b64 v4, v[2:3] offset:31216
; %bb.927:
	s_or_b64 exec, exec, s[10:11]
	s_waitcnt lgkmcnt(0)
	s_barrier
	s_barrier
	s_and_saveexec_b64 s[6:7], vcc
	s_cbranch_execz .LBB151_929
; %bb.928:
	s_mov_b64 s[10:11], 0x3f800000
	v_mov_b32_e32 v2, s10
	v_mov_b32_e32 v3, s11
	s_movk_i32 s10, 0x7800
	v_add_u32_e64 v4, s10, 0
	ds_write2_b64 v4, v[2:3], v[2:3] offset0:190 offset1:255
.LBB151_929:
	s_or_b64 exec, exec, s[6:7]
.LBB151_930:
	s_lshl_b64 s[6:7], s[24:25], 3
	s_add_u32 s42, s36, s6
	v_cmp_le_i32_e32 vcc, s9, v0
	s_addc_u32 s43, s37, s7
	s_and_b64 s[18:19], vcc, s[22:23]
	v_cmp_eq_u32_e64 s[6:7], 0, v1
	s_xor_b64 s[10:11], s[18:19], -1
	v_mov_b32_e32 v2, 0
	s_and_b64 s[12:13], s[6:7], s[10:11]
	v_lshl_add_u32 v5, s8, 6, v0
	v_mov_b32_e32 v3, v2
	s_waitcnt lgkmcnt(0)
	s_barrier
	s_and_saveexec_b64 s[10:11], s[12:13]
	s_cbranch_execz .LBB151_932
; %bb.931:
	v_ashrrev_i32_e32 v4, 31, v5
	v_mul_lo_u32 v6, s27, v5
	v_mad_u64_u32 v[2:3], s[12:13], s26, v5, 0
	v_mul_lo_u32 v4, s26, v4
	v_add3_u32 v3, v3, v4, v6
	v_lshlrev_b64 v[2:3], 3, v[2:3]
	v_mov_b32_e32 v4, s43
	v_add_co_u32_e32 v2, vcc, s42, v2
	v_addc_co_u32_e32 v3, vcc, v4, v3, vcc
	flat_load_dwordx2 v[3:4], v[2:3]
	s_waitcnt vmcnt(0) lgkmcnt(0)
	v_mul_f32_e32 v2, s34, v3
	v_mul_f32_e32 v6, s34, v4
	v_fma_f32 v2, s35, v4, -v2
	v_fma_f32 v3, v3, -s35, -v6
.LBB151_932:
	s_or_b64 exec, exec, s[10:11]
	s_load_dwordx2 s[16:17], s[4:5], 0x50
	s_and_b32 s4, 0xffff, s46
	v_mad_u32_u24 v9, v1, s4, v0
	s_cmp_lt_i32 s8, 1
	v_cmp_eq_u32_e64 s[4:5], 0, v9
	s_cbranch_scc1 .LBB151_951
; %bb.933:
	v_mov_b32_e32 v4, 0
	v_mov_b32_e32 v6, v4
	s_lshl_b64 s[10:11], s[28:29], 2
	v_lshlrev_b64 v[12:13], 3, v[5:6]
	s_waitcnt lgkmcnt(0)
	s_add_u32 s24, s16, s10
	s_mov_b64 s[20:21], src_private_base
	s_addc_u32 s25, s17, s11
	v_mov_b32_e32 v11, 0xa000
	v_cmp_gt_i32_e64 s[10:11], s33, v5
	v_mov_b32_e32 v5, s87
	v_add_co_u32_e32 v6, vcc, s86, v12
	s_mul_i32 s14, s31, 0x180
	s_mul_hi_u32 s15, s30, 0x180
	s_mov_b32 s20, 0
	v_cmp_gt_u32_e64 s[12:13], 64, v9
	v_lshl_add_u32 v10, v9, 3, v11
	v_lshl_or_b32 v11, v1, 3, v11
	s_add_i32 s44, s8, -1
	v_addc_co_u32_e32 v12, vcc, v5, v13, vcc
	s_lshl_b64 s[34:35], s[30:31], 7
	s_lshl_b64 s[36:37], s[30:31], 8
	s_add_i32 s45, s15, s14
	s_mul_i32 s46, s30, 0x180
	v_mov_b32_e32 v16, -1
	v_mov_b32_e32 v13, 0
	v_mov_b32_e32 v14, 8
	;; [unrolled: 1-line block ×4, first 2 shown]
	s_branch .LBB151_935
.LBB151_934:                            ;   in Loop: Header=BB151_935 Depth=1
	s_or_b64 exec, exec, s[40:41]
	s_add_i32 s20, s20, 1
	s_cmp_eq_u32 s20, s8
	s_cbranch_scc1 .LBB151_951
.LBB151_935:                            ; =>This Loop Header: Depth=1
                                        ;     Child Loop BB151_937 Depth 2
	v_cmp_gt_i32_e32 vcc, s20, v16
	s_and_b64 s[40:41], s[4:5], vcc
	s_and_saveexec_b64 s[14:15], s[40:41]
	s_cbranch_execz .LBB151_938
; %bb.936:                              ;   in Loop: Header=BB151_935 Depth=1
	global_load_dword v16, v4, s[24:25]
	s_waitcnt vmcnt(0)
	v_cmp_le_i32_e32 vcc, s20, v16
	s_cbranch_vccnz .LBB151_938
.LBB151_937:                            ;   Parent Loop BB151_935 Depth=1
                                        ; =>  This Inner Loop Header: Depth=2
	buffer_wbinvl1_vol
	global_load_dword v16, v4, s[24:25]
	s_waitcnt vmcnt(0)
	v_cmp_gt_i32_e32 vcc, s20, v16
	s_cbranch_vccnz .LBB151_937
.LBB151_938:                            ;   in Loop: Header=BB151_935 Depth=1
	s_or_b64 exec, exec, s[14:15]
	s_lshl_b32 s47, s20, 6
	buffer_wbinvl1_vol
	s_barrier
	s_and_saveexec_b64 s[14:15], s[12:13]
	s_cbranch_execz .LBB151_943
; %bb.939:                              ;   in Loop: Header=BB151_935 Depth=1
	v_or_b32_e32 v5, s47, v9
	v_cmp_le_i32_e32 vcc, s33, v5
	s_and_saveexec_b64 s[40:41], vcc
	s_xor_b64 s[40:41], exec, s[40:41]
; %bb.940:                              ;   in Loop: Header=BB151_935 Depth=1
	v_mov_b32_e32 v5, v4
	ds_write_b64 v10, v[4:5]
                                        ; implicit-def: $vgpr5
; %bb.941:                              ;   in Loop: Header=BB151_935 Depth=1
	s_andn2_saveexec_b64 s[40:41], s[40:41]
	s_cbranch_execz .LBB151_943
; %bb.942:                              ;   in Loop: Header=BB151_935 Depth=1
	v_mad_u64_u32 v[18:19], s[40:41], s26, v5, 0
	v_mad_u64_u32 v[19:20], s[40:41], s27, v5, v[19:20]
	v_mov_b32_e32 v5, s43
	v_lshlrev_b64 v[18:19], 3, v[18:19]
	v_add_co_u32_e32 v18, vcc, s42, v18
	v_addc_co_u32_e32 v19, vcc, v5, v19, vcc
	flat_load_dwordx2 v[18:19], v[18:19]
	s_waitcnt vmcnt(0) lgkmcnt(0)
	ds_write_b64 v10, v[18:19]
.LBB151_943:                            ;   in Loop: Header=BB151_935 Depth=1
	s_or_b64 exec, exec, s[14:15]
	v_add_u32_e32 v5, s47, v1
	v_mad_u64_u32 v[18:19], s[14:15], s30, v5, 0
	s_cmp_eq_u32 s20, s44
	s_cselect_b64 vcc, -1, 0
	v_mad_u64_u32 v[19:20], s[14:15], s31, v5, v[19:20]
	s_waitcnt lgkmcnt(0)
	s_barrier
	v_lshlrev_b64 v[18:19], 3, v[18:19]
	v_add_co_u32_e64 v18, s[14:15], v6, v18
	v_addc_co_u32_e64 v19, s[14:15], v12, v19, s[14:15]
	v_cmp_gt_i32_e64 s[14:15], s33, v5
	s_and_b64 s[40:41], s[10:11], s[14:15]
	s_and_saveexec_b64 s[14:15], s[40:41]
	s_cbranch_execz .LBB151_945
; %bb.944:                              ;   in Loop: Header=BB151_935 Depth=1
	v_mov_b32_e32 v20, s21
	v_cndmask_b32_e32 v21, v19, v20, vcc
	v_cndmask_b32_e32 v20, v18, v13, vcc
	flat_load_dwordx2 v[20:21], v[20:21]
	ds_read_b64 v[22:23], v11
	s_waitcnt vmcnt(0) lgkmcnt(0)
	v_mul_f32_e32 v24, v23, v21
	v_mul_f32_e32 v21, v22, v21
	v_fma_f32 v22, v22, v20, -v24
	v_fmac_f32_e32 v21, v23, v20
	v_add_f32_e32 v2, v2, v22
	v_add_f32_e32 v3, v3, v21
.LBB151_945:                            ;   in Loop: Header=BB151_935 Depth=1
	s_or_b64 exec, exec, s[14:15]
	v_add_u32_e32 v20, 16, v5
	v_cmp_gt_i32_e64 s[14:15], s33, v20
	s_and_b64 s[14:15], s[10:11], s[14:15]
	s_and_saveexec_b64 s[40:41], s[14:15]
	s_cbranch_execz .LBB151_947
; %bb.946:                              ;   in Loop: Header=BB151_935 Depth=1
	v_mov_b32_e32 v20, s35
	v_add_co_u32_e64 v22, s[14:15], s34, v18
	v_addc_co_u32_e64 v20, s[14:15], v19, v20, s[14:15]
	v_mov_b32_e32 v21, s21
	v_cndmask_b32_e32 v21, v20, v21, vcc
	v_cndmask_b32_e32 v20, v22, v14, vcc
	flat_load_dwordx2 v[20:21], v[20:21]
	ds_read_b64 v[22:23], v11 offset:128
	s_waitcnt vmcnt(0) lgkmcnt(0)
	v_mul_f32_e32 v24, v23, v21
	v_mul_f32_e32 v21, v22, v21
	v_fma_f32 v22, v22, v20, -v24
	v_fmac_f32_e32 v21, v23, v20
	v_add_f32_e32 v2, v2, v22
	v_add_f32_e32 v3, v3, v21
.LBB151_947:                            ;   in Loop: Header=BB151_935 Depth=1
	s_or_b64 exec, exec, s[40:41]
	v_add_u32_e32 v20, 32, v5
	v_cmp_gt_i32_e64 s[14:15], s33, v20
	s_and_b64 s[14:15], s[10:11], s[14:15]
	s_and_saveexec_b64 s[40:41], s[14:15]
	s_cbranch_execz .LBB151_949
; %bb.948:                              ;   in Loop: Header=BB151_935 Depth=1
	v_mov_b32_e32 v20, s37
	v_add_co_u32_e64 v22, s[14:15], s36, v18
	v_addc_co_u32_e64 v20, s[14:15], v19, v20, s[14:15]
	v_mov_b32_e32 v21, s21
	v_cndmask_b32_e32 v21, v20, v21, vcc
	v_cndmask_b32_e32 v20, v22, v15, vcc
	flat_load_dwordx2 v[20:21], v[20:21]
	ds_read_b64 v[22:23], v11 offset:256
	s_waitcnt vmcnt(0) lgkmcnt(0)
	v_mul_f32_e32 v24, v23, v21
	v_mul_f32_e32 v21, v22, v21
	v_fma_f32 v22, v22, v20, -v24
	v_fmac_f32_e32 v21, v23, v20
	v_add_f32_e32 v2, v2, v22
	v_add_f32_e32 v3, v3, v21
.LBB151_949:                            ;   in Loop: Header=BB151_935 Depth=1
	s_or_b64 exec, exec, s[40:41]
	v_add_u32_e32 v5, 48, v5
	v_cmp_gt_i32_e64 s[14:15], s33, v5
	s_and_b64 s[14:15], s[10:11], s[14:15]
	s_and_saveexec_b64 s[40:41], s[14:15]
	s_cbranch_execz .LBB151_934
; %bb.950:                              ;   in Loop: Header=BB151_935 Depth=1
	v_mov_b32_e32 v5, s45
	v_add_co_u32_e64 v18, s[14:15], s46, v18
	v_addc_co_u32_e64 v5, s[14:15], v19, v5, s[14:15]
	v_mov_b32_e32 v19, s21
	v_cndmask_b32_e32 v19, v5, v19, vcc
	v_cndmask_b32_e32 v18, v18, v17, vcc
	flat_load_dwordx2 v[18:19], v[18:19]
	ds_read_b64 v[20:21], v11 offset:384
	s_waitcnt vmcnt(0) lgkmcnt(0)
	v_mul_f32_e32 v5, v21, v19
	v_mul_f32_e32 v19, v20, v19
	v_fma_f32 v5, v20, v18, -v5
	v_fmac_f32_e32 v19, v21, v18
	v_add_f32_e32 v2, v2, v5
	v_add_f32_e32 v3, v3, v19
	s_branch .LBB151_934
.LBB151_951:
	s_xor_b64 s[4:5], s[22:23], -1
	s_xor_b64 s[10:11], s[38:39], -1
	v_lshlrev_b32_e32 v6, 3, v7
	ds_write_b64 v6, v[2:3] offset:32768
	s_waitcnt lgkmcnt(0)
	s_barrier
	s_and_saveexec_b64 s[12:13], s[6:7]
	s_cbranch_execz .LBB151_953
; %bb.952:
	v_lshlrev_b32_e32 v7, 3, v0
	ds_read2st64_b64 v[10:13], v7 offset0:65 offset1:66
	ds_read2st64_b64 v[14:17], v7 offset0:67 offset1:68
	ds_read_b64 v[18:19], v7 offset:40448
	s_waitcnt lgkmcnt(2)
	v_add_f32_e32 v2, v2, v10
	v_add_f32_e32 v3, v3, v11
	;; [unrolled: 1-line block ×4, first 2 shown]
	ds_read2st64_b64 v[2:5], v7 offset0:69 offset1:70
	s_waitcnt lgkmcnt(2)
	v_add_f32_e32 v10, v10, v14
	v_add_f32_e32 v11, v11, v15
	v_add_f32_e32 v10, v10, v16
	v_add_f32_e32 v14, v11, v17
	s_waitcnt lgkmcnt(0)
	v_add_f32_e32 v2, v10, v2
	ds_read2st64_b64 v[10:13], v7 offset0:71 offset1:72
	v_add_f32_e32 v3, v14, v3
	v_add_f32_e32 v14, v2, v4
	;; [unrolled: 1-line block ×3, first 2 shown]
	ds_read2st64_b64 v[2:5], v7 offset0:73 offset1:74
	s_waitcnt lgkmcnt(1)
	v_add_f32_e32 v10, v14, v10
	v_add_f32_e32 v11, v15, v11
	;; [unrolled: 1-line block ×4, first 2 shown]
	s_waitcnt lgkmcnt(0)
	v_add_f32_e32 v2, v10, v2
	ds_read2st64_b64 v[10:13], v7 offset0:75 offset1:76
	v_add_f32_e32 v3, v14, v3
	v_add_f32_e32 v14, v2, v4
	;; [unrolled: 1-line block ×3, first 2 shown]
	ds_read2st64_b64 v[2:5], v7 offset0:77 offset1:78
	s_waitcnt lgkmcnt(1)
	v_add_f32_e32 v7, v14, v10
	v_add_f32_e32 v10, v15, v11
	;; [unrolled: 1-line block ×4, first 2 shown]
	s_waitcnt lgkmcnt(0)
	v_add_f32_e32 v2, v7, v2
	v_add_f32_e32 v3, v10, v3
	v_add_f32_e32 v2, v2, v4
	v_add_f32_e32 v3, v3, v5
	v_add_f32_e32 v2, v2, v18
	v_add_f32_e32 v3, v3, v19
	v_cndmask_b32_e64 v2, -v2, 0, s[18:19]
	v_cndmask_b32_e64 v3, -v3, 0, s[18:19]
.LBB151_953:
	s_or_b64 exec, exec, s[12:13]
	s_andn2_b64 vcc, exec, s[10:11]
	s_cbranch_vccnz .LBB151_966
; %bb.954:
	v_mov_b32_e32 v4, 0xa000
	v_lshl_or_b32 v7, v1, 3, v4
	s_and_saveexec_b64 s[10:11], s[6:7]
; %bb.955:
	v_lshl_add_u32 v4, v0, 3, v7
	ds_write_b64 v4, v[2:3]
; %bb.956:
	s_or_b64 exec, exec, s[10:11]
	v_cmp_ge_u32_e32 vcc, v0, v1
	v_mov_b32_e32 v4, 0
	v_mov_b32_e32 v5, 0
	s_waitcnt lgkmcnt(0)
	s_barrier
	s_and_saveexec_b64 s[10:11], vcc
	s_cbranch_execz .LBB151_958
; %bb.957:
	ds_read_b64 v[4:5], v6
	ds_read_b64 v[10:11], v7
	s_waitcnt lgkmcnt(0)
	v_mul_f32_e32 v12, v11, v5
	v_mul_f32_e32 v5, v10, v5
	v_fma_f32 v10, v10, v4, -v12
	v_fmac_f32_e32 v5, v11, v4
	v_add_f32_e32 v4, 0, v10
	v_add_f32_e32 v5, 0, v5
.LBB151_958:
	s_or_b64 exec, exec, s[10:11]
	v_add_u32_e32 v10, 16, v1
	v_cmp_ge_u32_e32 vcc, v0, v10
	s_and_saveexec_b64 s[10:11], vcc
	s_cbranch_execz .LBB151_960
; %bb.959:
	ds_read_b64 v[10:11], v6 offset:8192
	ds_read_b64 v[12:13], v7 offset:128
	s_waitcnt lgkmcnt(0)
	v_mul_f32_e32 v14, v13, v11
	v_mul_f32_e32 v11, v12, v11
	v_fma_f32 v12, v12, v10, -v14
	v_fmac_f32_e32 v11, v13, v10
	v_add_f32_e32 v4, v4, v12
	v_add_f32_e32 v5, v5, v11
.LBB151_960:
	s_or_b64 exec, exec, s[10:11]
	v_add_u32_e32 v10, 32, v1
	v_cmp_ge_u32_e32 vcc, v0, v10
	s_and_saveexec_b64 s[10:11], vcc
	s_cbranch_execz .LBB151_962
; %bb.961:
	ds_read_b64 v[10:11], v6 offset:16384
	ds_read_b64 v[12:13], v7 offset:256
	s_waitcnt lgkmcnt(0)
	v_mul_f32_e32 v14, v13, v11
	v_mul_f32_e32 v11, v12, v11
	v_fma_f32 v12, v12, v10, -v14
	v_fmac_f32_e32 v11, v13, v10
	v_add_f32_e32 v4, v4, v12
	v_add_f32_e32 v5, v5, v11
.LBB151_962:
	s_or_b64 exec, exec, s[10:11]
	v_add_u32_e32 v1, 48, v1
	v_add_u32_e32 v10, 0x8000, v6
	v_cmp_ge_u32_e32 vcc, v0, v1
	s_and_saveexec_b64 s[10:11], vcc
	s_cbranch_execz .LBB151_964
; %bb.963:
	ds_read_b64 v[11:12], v6 offset:24576
	ds_read_b64 v[6:7], v7 offset:384
	s_waitcnt lgkmcnt(0)
	v_mul_f32_e32 v1, v7, v12
	v_mul_f32_e32 v12, v6, v12
	v_fma_f32 v1, v6, v11, -v1
	v_fmac_f32_e32 v12, v7, v11
	v_add_f32_e32 v4, v4, v1
	v_add_f32_e32 v5, v5, v12
.LBB151_964:
	s_or_b64 exec, exec, s[10:11]
	s_mov_b64 s[12:13], 0
	s_mov_b64 s[10:11], 0
	ds_write_b64 v10, v[4:5]
	s_waitcnt lgkmcnt(0)
	s_barrier
                                        ; implicit-def: $vgpr1
                                        ; implicit-def: $vgpr10
                                        ; implicit-def: $vgpr6_vgpr7
	s_and_saveexec_b64 s[14:15], s[6:7]
	s_cbranch_execz .LBB151_979
; %bb.965:
	v_lshlrev_b32_e32 v1, 3, v0
	ds_read2st64_b64 v[10:13], v1 offset0:65 offset1:66
	ds_read2st64_b64 v[14:17], v1 offset0:67 offset1:68
	ds_read_b64 v[18:19], v1 offset:40448
	s_mov_b64 s[10:11], exec
	s_waitcnt lgkmcnt(2)
	v_add_f32_e32 v4, v4, v10
	v_add_f32_e32 v5, v5, v11
	;; [unrolled: 1-line block ×4, first 2 shown]
	ds_read2st64_b64 v[4:7], v1 offset0:69 offset1:70
	s_waitcnt lgkmcnt(2)
	v_add_f32_e32 v10, v10, v14
	v_add_f32_e32 v11, v11, v15
	;; [unrolled: 1-line block ×4, first 2 shown]
	s_waitcnt lgkmcnt(0)
	v_add_f32_e32 v4, v10, v4
	ds_read2st64_b64 v[10:13], v1 offset0:71 offset1:72
	v_add_f32_e32 v5, v14, v5
	v_add_f32_e32 v14, v4, v6
	;; [unrolled: 1-line block ×3, first 2 shown]
	ds_read2st64_b64 v[4:7], v1 offset0:73 offset1:74
	s_waitcnt lgkmcnt(1)
	v_add_f32_e32 v10, v14, v10
	v_add_f32_e32 v11, v15, v11
	;; [unrolled: 1-line block ×4, first 2 shown]
	s_waitcnt lgkmcnt(0)
	v_add_f32_e32 v4, v10, v4
	ds_read2st64_b64 v[10:13], v1 offset0:75 offset1:76
	v_add_f32_e32 v5, v14, v5
	v_add_f32_e32 v4, v4, v6
	;; [unrolled: 1-line block ×3, first 2 shown]
	ds_read2st64_b64 v[14:17], v1 offset0:77 offset1:78
	s_waitcnt lgkmcnt(1)
	v_add_f32_e32 v1, v4, v10
	v_add_f32_e32 v4, v5, v11
	v_lshl_add_u32 v5, s8, 6, v9
	v_mad_u64_u32 v[6:7], s[18:19], s26, v5, 0
	v_add_f32_e32 v1, v1, v12
	s_waitcnt lgkmcnt(0)
	v_add_f32_e32 v1, v1, v14
	v_add_f32_e32 v4, v4, v13
	;; [unrolled: 1-line block ×3, first 2 shown]
	v_mov_b32_e32 v1, v7
	v_add_f32_e32 v10, v4, v15
	v_mad_u64_u32 v[4:5], s[18:19], s27, v5, v[1:2]
	v_add_f32_e32 v1, v10, v17
	v_add_f32_e32 v10, v11, v18
	;; [unrolled: 1-line block ×3, first 2 shown]
	v_mov_b32_e32 v7, v4
	s_or_b64 exec, exec, s[14:15]
	s_and_b64 vcc, exec, s[12:13]
	s_cbranch_vccnz .LBB151_967
	s_branch .LBB151_980
.LBB151_966:
	s_mov_b64 s[10:11], 0
                                        ; implicit-def: $vgpr1
                                        ; implicit-def: $vgpr10
                                        ; implicit-def: $vgpr6_vgpr7
	s_cbranch_execz .LBB151_980
.LBB151_967:
	s_mov_b32 s14, 0
	v_mov_b32_e32 v1, 0
	v_mov_b32_e32 v4, v0
	s_branch .LBB151_969
.LBB151_968:                            ;   in Loop: Header=BB151_969 Depth=1
	s_or_b64 exec, exec, s[12:13]
	s_add_i32 s14, s14, 2
	v_add_u32_e32 v8, 0x400, v8
	s_cmp_lg_u32 s14, 64
	v_add_u32_e32 v4, -2, v4
	s_barrier
	s_cbranch_scc0 .LBB151_977
.LBB151_969:                            ; =>This Inner Loop Header: Depth=1
	v_cmp_eq_u32_e32 vcc, 0, v4
	s_and_b64 s[18:19], s[6:7], vcc
	s_and_saveexec_b64 s[12:13], s[18:19]
; %bb.970:                              ;   in Loop: Header=BB151_969 Depth=1
	ds_write_b64 v1, v[2:3] offset:41472
; %bb.971:                              ;   in Loop: Header=BB151_969 Depth=1
	s_or_b64 exec, exec, s[12:13]
	v_cmp_lt_u32_e32 vcc, s14, v0
	s_and_b64 s[18:19], s[6:7], vcc
	s_waitcnt lgkmcnt(0)
	s_barrier
	s_and_saveexec_b64 s[12:13], s[18:19]
	s_cbranch_execz .LBB151_973
; %bb.972:                              ;   in Loop: Header=BB151_969 Depth=1
	ds_read_b64 v[5:6], v8
	ds_read_b64 v[10:11], v1 offset:41472
	s_waitcnt lgkmcnt(0)
	v_mul_f32_e32 v7, v11, v6
	v_mul_f32_e32 v6, v10, v6
	v_fma_f32 v7, v10, v5, -v7
	v_fmac_f32_e32 v6, v11, v5
	v_add_f32_e32 v2, v2, v7
	v_add_f32_e32 v3, v3, v6
.LBB151_973:                            ;   in Loop: Header=BB151_969 Depth=1
	s_or_b64 exec, exec, s[12:13]
	s_or_b32 s15, s14, 1
	v_cmp_eq_u32_e32 vcc, s15, v0
	s_and_b64 s[18:19], s[6:7], vcc
	s_barrier
	s_and_saveexec_b64 s[12:13], s[18:19]
; %bb.974:                              ;   in Loop: Header=BB151_969 Depth=1
	ds_write_b64 v1, v[2:3] offset:41472
; %bb.975:                              ;   in Loop: Header=BB151_969 Depth=1
	s_or_b64 exec, exec, s[12:13]
	v_cmp_lt_u32_e32 vcc, s15, v0
	s_and_b64 s[18:19], s[6:7], vcc
	s_waitcnt lgkmcnt(0)
	s_barrier
	s_and_saveexec_b64 s[12:13], s[18:19]
	s_cbranch_execz .LBB151_968
; %bb.976:                              ;   in Loop: Header=BB151_969 Depth=1
	ds_read_b64 v[5:6], v8 offset:512
	ds_read_b64 v[10:11], v1 offset:41472
	s_waitcnt lgkmcnt(0)
	v_mul_f32_e32 v7, v11, v6
	v_mul_f32_e32 v6, v10, v6
	v_fma_f32 v7, v10, v5, -v7
	v_fmac_f32_e32 v6, v11, v5
	v_add_f32_e32 v2, v2, v7
	v_add_f32_e32 v3, v3, v6
	s_branch .LBB151_968
.LBB151_977:
	s_and_b64 vcc, exec, s[4:5]
	s_cbranch_vccz .LBB151_981
; %bb.978:
	s_and_b64 s[4:5], s[6:7], exec
	s_cbranch_execz .LBB151_982
	s_branch .LBB151_983
.LBB151_979:
	s_or_b64 exec, exec, s[14:15]
	s_and_b64 vcc, exec, s[12:13]
	s_cbranch_vccnz .LBB151_967
.LBB151_980:
	v_mov_b32_e32 v3, v1
	v_mov_b32_e32 v2, v10
	s_and_saveexec_b64 s[4:5], s[10:11]
	s_cbranch_execnz .LBB151_986
	s_branch .LBB151_987
.LBB151_981:
	s_mov_b64 s[4:5], 0
.LBB151_982:
	v_cmp_gt_i32_e32 vcc, s9, v0
	s_and_b64 s[6:7], s[6:7], vcc
	s_andn2_b64 s[4:5], s[4:5], exec
	s_and_b64 s[6:7], s[6:7], exec
	s_or_b64 s[4:5], s[4:5], s[6:7]
.LBB151_983:
                                        ; implicit-def: $vgpr6_vgpr7
	s_and_saveexec_b64 s[6:7], s[4:5]
	s_cbranch_execz .LBB151_985
; %bb.984:
	s_lshl_b32 s4, s8, 6
	s_ashr_i32 s5, s4, 31
	v_mov_b32_e32 v0, s5
	v_add_co_u32_e32 v1, vcc, s4, v9
	v_addc_co_u32_e32 v0, vcc, 0, v0, vcc
	v_mul_lo_u32 v0, v0, s26
	v_mul_lo_u32 v4, v1, s27
	v_mad_u64_u32 v[6:7], s[4:5], v1, s26, 0
	s_or_b64 s[10:11], s[10:11], exec
	v_add3_u32 v7, v7, v4, v0
.LBB151_985:
	s_or_b64 exec, exec, s[6:7]
	s_and_saveexec_b64 s[4:5], s[10:11]
	s_cbranch_execz .LBB151_987
.LBB151_986:
	v_lshlrev_b64 v[0:1], 3, v[6:7]
	v_mov_b32_e32 v4, s43
	v_add_co_u32_e32 v0, vcc, s42, v0
	v_addc_co_u32_e32 v1, vcc, v4, v1, vcc
	flat_store_dwordx2 v[0:1], v[2:3]
.LBB151_987:
	s_or_b64 exec, exec, s[4:5]
	v_cmp_eq_u32_e32 vcc, 0, v9
	s_waitcnt vmcnt(0) lgkmcnt(0)
	buffer_wbinvl1_vol
	s_barrier
	s_and_saveexec_b64 s[4:5], vcc
	s_cbranch_execz .LBB151_989
; %bb.988:
	s_lshl_b64 s[6:7], s[28:29], 2
	s_add_u32 s6, s16, s6
	s_addc_u32 s7, s17, s7
	v_mov_b32_e32 v0, 0
	global_load_dword v1, v0, s[6:7]
	s_waitcnt vmcnt(0)
	v_add_u32_e32 v1, 1, v1
	global_store_dword v0, v1, s[6:7]
.LBB151_989:
	s_or_b64 exec, exec, s[4:5]
	s_waitcnt vmcnt(0)
	buffer_wbinvl1_vol
	s_endpgm
.LBB151_990:
	v_lshlrev_b32_e32 v14, 3, v13
	v_sub_u32_e32 v14, v11, v14
	v_lshl_add_u32 v14, v12, 3, v14
	ds_read_b64 v[14:15], v14 offset:544
	ds_read_b64 v[16:17], v11 offset:8
	s_waitcnt lgkmcnt(0)
	v_mul_f32_e32 v18, v17, v15
	v_mul_f32_e32 v15, v16, v15
	v_fma_f32 v16, v16, v14, -v18
	v_fmac_f32_e32 v15, v17, v14
	v_add_f32_e32 v2, v2, v16
	v_add_f32_e32 v3, v3, v15
	s_or_b64 exec, exec, s[16:17]
	v_cmp_gt_u32_e64 s[12:13], 8, v7
	s_and_saveexec_b64 s[16:17], s[12:13]
	s_cbranch_execz .LBB151_90
.LBB151_991:
	ds_read_b64 v[14:15], v9 offset:1056
	ds_read_b64 v[16:17], v11 offset:16
	s_waitcnt lgkmcnt(0)
	v_mul_f32_e32 v11, v17, v15
	v_mul_f32_e32 v15, v16, v15
	v_fma_f32 v11, v16, v14, -v11
	v_fmac_f32_e32 v15, v17, v14
	v_add_f32_e32 v2, v2, v11
	v_add_f32_e32 v3, v3, v15
	s_or_b64 exec, exec, s[16:17]
	v_cmp_gt_u32_e64 s[12:13], 4, v7
	s_and_saveexec_b64 s[16:17], s[12:13]
	s_cbranch_execnz .LBB151_91
	s_branch .LBB151_92
.LBB151_992:
	v_lshlrev_b32_e32 v19, 3, v18
	v_sub_u32_e32 v19, v16, v19
	v_lshl_add_u32 v19, v17, 3, v19
	ds_read_b64 v[19:20], v19 offset:576
	ds_read_b64 v[21:22], v16 offset:8
	s_waitcnt lgkmcnt(0)
	v_mul_f32_e32 v23, v22, v20
	v_mul_f32_e32 v20, v21, v20
	v_fma_f32 v21, v21, v19, -v23
	v_fmac_f32_e32 v20, v22, v19
	v_add_f32_e32 v2, v2, v21
	v_add_f32_e32 v3, v3, v20
	s_or_b64 exec, exec, s[20:21]
	v_cmp_gt_u32_e64 s[14:15], 48, v7
	s_and_saveexec_b64 s[20:21], s[14:15]
	s_cbranch_execz .LBB151_128
.LBB151_993:
	v_lshlrev_b32_e32 v19, 3, v18
	v_sub_u32_e32 v19, v16, v19
	v_lshl_add_u32 v19, v17, 3, v19
	ds_read_b64 v[19:20], v19 offset:1088
	ds_read_b64 v[21:22], v16 offset:16
	s_waitcnt lgkmcnt(0)
	v_mul_f32_e32 v23, v22, v20
	v_mul_f32_e32 v20, v21, v20
	v_fma_f32 v21, v21, v19, -v23
	v_fmac_f32_e32 v20, v22, v19
	v_add_f32_e32 v2, v2, v21
	v_add_f32_e32 v3, v3, v20
	s_or_b64 exec, exec, s[20:21]
	v_cmp_gt_u32_e64 s[14:15], 40, v7
	s_and_saveexec_b64 s[20:21], s[14:15]
	s_cbranch_execz .LBB151_129
.LBB151_994:
	v_lshlrev_b32_e32 v19, 3, v18
	v_sub_u32_e32 v19, v16, v19
	v_lshl_add_u32 v19, v17, 3, v19
	ds_read_b64 v[19:20], v19 offset:1600
	ds_read_b64 v[21:22], v16 offset:24
	s_waitcnt lgkmcnt(0)
	v_mul_f32_e32 v23, v22, v20
	v_mul_f32_e32 v20, v21, v20
	v_fma_f32 v21, v21, v19, -v23
	v_fmac_f32_e32 v20, v22, v19
	v_add_f32_e32 v2, v2, v21
	v_add_f32_e32 v3, v3, v20
	s_or_b64 exec, exec, s[20:21]
	v_cmp_gt_u32_e64 s[14:15], 32, v7
	s_and_saveexec_b64 s[20:21], s[14:15]
	s_cbranch_execz .LBB151_130
.LBB151_995:
	ds_read_b64 v[19:20], v14 offset:2112
	ds_read_b64 v[21:22], v16 offset:32
	s_waitcnt lgkmcnt(0)
	v_mul_f32_e32 v23, v22, v20
	v_mul_f32_e32 v20, v21, v20
	v_fma_f32 v21, v21, v19, -v23
	v_fmac_f32_e32 v20, v22, v19
	v_add_f32_e32 v2, v2, v21
	v_add_f32_e32 v3, v3, v20
	s_or_b64 exec, exec, s[20:21]
	v_cmp_gt_u32_e64 s[14:15], 24, v7
	s_and_saveexec_b64 s[20:21], s[14:15]
	s_cbranch_execz .LBB151_131
.LBB151_996:
	v_lshlrev_b32_e32 v19, 3, v18
	v_sub_u32_e32 v19, v16, v19
	v_lshl_add_u32 v19, v17, 3, v19
	ds_read_b64 v[19:20], v19 offset:2624
	ds_read_b64 v[21:22], v16 offset:40
	s_waitcnt lgkmcnt(0)
	v_mul_f32_e32 v23, v22, v20
	v_mul_f32_e32 v20, v21, v20
	v_fma_f32 v21, v21, v19, -v23
	v_fmac_f32_e32 v20, v22, v19
	v_add_f32_e32 v2, v2, v21
	v_add_f32_e32 v3, v3, v20
	s_or_b64 exec, exec, s[20:21]
	v_cmp_gt_u32_e64 s[14:15], 16, v7
	s_and_saveexec_b64 s[20:21], s[14:15]
	s_cbranch_execz .LBB151_132
.LBB151_997:
	ds_read_b64 v[19:20], v14 offset:3136
	ds_read_b64 v[21:22], v16 offset:48
	s_waitcnt lgkmcnt(0)
	v_mul_f32_e32 v16, v22, v20
	v_mul_f32_e32 v20, v21, v20
	v_fma_f32 v16, v21, v19, -v16
	v_fmac_f32_e32 v20, v22, v19
	v_add_f32_e32 v2, v2, v16
	v_add_f32_e32 v3, v3, v20
	s_or_b64 exec, exec, s[20:21]
	v_cmp_gt_u32_e64 s[14:15], 8, v7
	s_and_saveexec_b64 s[20:21], s[14:15]
	s_cbranch_execnz .LBB151_133
	s_branch .LBB151_134
.LBB151_998:
	v_lshlrev_b32_e32 v20, 3, v13
	v_sub_u32_e32 v20, v19, v20
	v_lshl_add_u32 v20, v12, 3, v20
	ds_read_b64 v[20:21], v20 offset:4704
	ds_read_b64 v[22:23], v19 offset:4168
	s_waitcnt lgkmcnt(0)
	v_mul_f32_e32 v24, v23, v21
	v_mul_f32_e32 v21, v22, v21
	v_fma_f32 v22, v22, v20, -v24
	v_fmac_f32_e32 v21, v23, v20
	v_add_f32_e32 v2, v2, v22
	v_add_f32_e32 v3, v3, v21
	s_or_b64 exec, exec, s[16:17]
	v_cmp_gt_u32_e64 s[12:13], 8, v7
	s_and_saveexec_b64 s[16:17], s[12:13]
	s_cbranch_execz .LBB151_186
.LBB151_999:
	ds_read_b64 v[20:21], v9 offset:5216
	ds_read_b64 v[22:23], v19 offset:4176
	s_waitcnt lgkmcnt(0)
	v_mul_f32_e32 v19, v23, v21
	v_mul_f32_e32 v21, v22, v21
	v_fma_f32 v19, v22, v20, -v19
	v_fmac_f32_e32 v21, v23, v20
	v_add_f32_e32 v2, v2, v19
	v_add_f32_e32 v3, v3, v21
	s_or_b64 exec, exec, s[16:17]
	v_cmp_gt_u32_e64 s[12:13], 4, v7
	s_and_saveexec_b64 s[16:17], s[12:13]
	s_cbranch_execnz .LBB151_187
	s_branch .LBB151_188
.LBB151_1000:
	v_lshlrev_b32_e32 v24, 3, v20
	v_lshl_add_u32 v24, v22, 3, v24
	ds_read_b64 v[24:25], v24 offset:5760
	ds_read_b64 v[26:27], v21 offset:88
	s_waitcnt lgkmcnt(0)
	v_mul_f32_e32 v28, v27, v25
	v_mul_f32_e32 v25, v26, v25
	v_fma_f32 v26, v26, v24, -v28
	v_fmac_f32_e32 v25, v27, v24
	v_add_f32_e32 v2, v2, v26
	v_add_f32_e32 v3, v3, v25
	s_or_b64 exec, exec, s[84:85]
	v_cmp_gt_u32_e64 s[16:17], 64, v7
	s_and_saveexec_b64 s[84:85], s[16:17]
	s_cbranch_execz .LBB151_244
.LBB151_1001:
	ds_read_b64 v[24:25], v19 offset:6272
	ds_read_b64 v[26:27], v21 offset:96
	s_waitcnt lgkmcnt(0)
	v_mul_f32_e32 v28, v27, v25
	v_mul_f32_e32 v25, v26, v25
	v_fma_f32 v26, v26, v24, -v28
	v_fmac_f32_e32 v25, v27, v24
	v_add_f32_e32 v2, v2, v26
	v_add_f32_e32 v3, v3, v25
	s_or_b64 exec, exec, s[84:85]
	v_cmp_gt_u32_e64 s[16:17], 48, v7
	s_and_saveexec_b64 s[84:85], s[16:17]
	s_cbranch_execz .LBB151_245
.LBB151_1002:
	v_lshlrev_b32_e32 v24, 3, v20
	v_lshl_add_u32 v24, v22, 3, v24
	ds_read_b64 v[24:25], v24 offset:6784
	ds_read_b64 v[26:27], v21 offset:104
	s_waitcnt lgkmcnt(0)
	v_mul_f32_e32 v28, v27, v25
	v_mul_f32_e32 v25, v26, v25
	v_fma_f32 v26, v26, v24, -v28
	v_fmac_f32_e32 v25, v27, v24
	v_add_f32_e32 v2, v2, v26
	v_add_f32_e32 v3, v3, v25
	s_or_b64 exec, exec, s[84:85]
	v_cmp_gt_u32_e64 s[16:17], 32, v7
	s_and_saveexec_b64 s[84:85], s[16:17]
	s_cbranch_execz .LBB151_246
.LBB151_1003:
	ds_read_b64 v[24:25], v19 offset:7296
	ds_read_b64 v[26:27], v21 offset:112
	s_waitcnt lgkmcnt(0)
	v_mul_f32_e32 v21, v27, v25
	v_mul_f32_e32 v25, v26, v25
	v_fma_f32 v21, v26, v24, -v21
	v_fmac_f32_e32 v25, v27, v24
	v_add_f32_e32 v2, v2, v21
	v_add_f32_e32 v3, v3, v25
	s_or_b64 exec, exec, s[84:85]
	v_cmp_gt_u32_e64 s[16:17], 16, v7
	s_and_saveexec_b64 s[84:85], s[16:17]
	s_cbranch_execnz .LBB151_247
	s_branch .LBB151_248
.LBB151_1004:
	v_lshlrev_b32_e32 v25, 3, v13
	v_sub_u32_e32 v25, v24, v25
	v_lshl_add_u32 v25, v12, 3, v25
	ds_read_b64 v[25:26], v25 offset:8864
	ds_read_b64 v[27:28], v24 offset:8328
	s_waitcnt lgkmcnt(0)
	v_mul_f32_e32 v29, v28, v26
	v_mul_f32_e32 v26, v27, v26
	v_fma_f32 v27, v27, v25, -v29
	v_fmac_f32_e32 v26, v28, v25
	v_add_f32_e32 v2, v2, v27
	v_add_f32_e32 v3, v3, v26
	s_or_b64 exec, exec, s[20:21]
	v_cmp_gt_u32_e64 s[14:15], 8, v7
	s_and_saveexec_b64 s[20:21], s[14:15]
	s_cbranch_execz .LBB151_332
.LBB151_1005:
	ds_read_b64 v[25:26], v9 offset:9376
	ds_read_b64 v[27:28], v24 offset:8336
	s_waitcnt lgkmcnt(0)
	v_mul_f32_e32 v24, v28, v26
	v_mul_f32_e32 v26, v27, v26
	v_fma_f32 v24, v27, v25, -v24
	v_fmac_f32_e32 v26, v28, v25
	v_add_f32_e32 v2, v2, v24
	v_add_f32_e32 v3, v3, v26
	s_or_b64 exec, exec, s[20:21]
	v_cmp_gt_u32_e64 s[14:15], 4, v7
	s_and_saveexec_b64 s[20:21], s[14:15]
	s_cbranch_execnz .LBB151_333
	s_branch .LBB151_334
.LBB151_1006:
	v_lshlrev_b32_e32 v25, 3, v18
	v_sub_u32_e32 v25, v24, v25
	v_lshl_add_u32 v25, v17, 3, v25
	ds_read_b64 v[25:26], v25 offset:8896
	ds_read_b64 v[27:28], v24 offset:8328
	s_waitcnt lgkmcnt(0)
	v_mul_f32_e32 v29, v28, v26
	v_mul_f32_e32 v26, v27, v26
	v_fma_f32 v27, v27, v25, -v29
	v_fmac_f32_e32 v26, v28, v25
	v_add_f32_e32 v2, v2, v27
	v_add_f32_e32 v3, v3, v26
	s_or_b64 exec, exec, s[20:21]
	v_cmp_gt_u32_e64 s[14:15], 48, v7
	s_and_saveexec_b64 s[20:21], s[14:15]
	s_cbranch_execz .LBB151_370
.LBB151_1007:
	v_lshlrev_b32_e32 v25, 3, v18
	v_sub_u32_e32 v25, v24, v25
	v_lshl_add_u32 v25, v17, 3, v25
	ds_read_b64 v[25:26], v25 offset:9408
	ds_read_b64 v[27:28], v24 offset:8336
	s_waitcnt lgkmcnt(0)
	v_mul_f32_e32 v29, v28, v26
	v_mul_f32_e32 v26, v27, v26
	v_fma_f32 v27, v27, v25, -v29
	v_fmac_f32_e32 v26, v28, v25
	v_add_f32_e32 v2, v2, v27
	v_add_f32_e32 v3, v3, v26
	s_or_b64 exec, exec, s[20:21]
	v_cmp_gt_u32_e64 s[14:15], 40, v7
	s_and_saveexec_b64 s[20:21], s[14:15]
	s_cbranch_execz .LBB151_371
.LBB151_1008:
	v_lshlrev_b32_e32 v25, 3, v18
	v_sub_u32_e32 v25, v24, v25
	v_lshl_add_u32 v25, v17, 3, v25
	ds_read_b64 v[25:26], v25 offset:9920
	ds_read_b64 v[27:28], v24 offset:8344
	s_waitcnt lgkmcnt(0)
	v_mul_f32_e32 v29, v28, v26
	v_mul_f32_e32 v26, v27, v26
	v_fma_f32 v27, v27, v25, -v29
	v_fmac_f32_e32 v26, v28, v25
	v_add_f32_e32 v2, v2, v27
	v_add_f32_e32 v3, v3, v26
	s_or_b64 exec, exec, s[20:21]
	v_cmp_gt_u32_e64 s[14:15], 32, v7
	s_and_saveexec_b64 s[20:21], s[14:15]
	s_cbranch_execz .LBB151_372
.LBB151_1009:
	ds_read_b64 v[25:26], v14 offset:10432
	ds_read_b64 v[27:28], v24 offset:8352
	s_waitcnt lgkmcnt(0)
	v_mul_f32_e32 v29, v28, v26
	v_mul_f32_e32 v26, v27, v26
	v_fma_f32 v27, v27, v25, -v29
	v_fmac_f32_e32 v26, v28, v25
	v_add_f32_e32 v2, v2, v27
	v_add_f32_e32 v3, v3, v26
	s_or_b64 exec, exec, s[20:21]
	v_cmp_gt_u32_e64 s[14:15], 24, v7
	s_and_saveexec_b64 s[20:21], s[14:15]
	s_cbranch_execz .LBB151_373
.LBB151_1010:
	v_lshlrev_b32_e32 v25, 3, v18
	v_sub_u32_e32 v25, v24, v25
	v_lshl_add_u32 v25, v17, 3, v25
	ds_read_b64 v[25:26], v25 offset:10944
	ds_read_b64 v[27:28], v24 offset:8360
	s_waitcnt lgkmcnt(0)
	v_mul_f32_e32 v29, v28, v26
	v_mul_f32_e32 v26, v27, v26
	v_fma_f32 v27, v27, v25, -v29
	v_fmac_f32_e32 v26, v28, v25
	v_add_f32_e32 v2, v2, v27
	v_add_f32_e32 v3, v3, v26
	s_or_b64 exec, exec, s[20:21]
	v_cmp_gt_u32_e64 s[14:15], 16, v7
	s_and_saveexec_b64 s[20:21], s[14:15]
	s_cbranch_execz .LBB151_374
.LBB151_1011:
	ds_read_b64 v[25:26], v14 offset:11456
	ds_read_b64 v[27:28], v24 offset:8368
	s_waitcnt lgkmcnt(0)
	v_mul_f32_e32 v24, v28, v26
	v_mul_f32_e32 v26, v27, v26
	v_fma_f32 v24, v27, v25, -v24
	v_fmac_f32_e32 v26, v28, v25
	v_add_f32_e32 v2, v2, v24
	v_add_f32_e32 v3, v3, v26
	s_or_b64 exec, exec, s[20:21]
	v_cmp_gt_u32_e64 s[14:15], 8, v7
	s_and_saveexec_b64 s[20:21], s[14:15]
	s_cbranch_execnz .LBB151_375
	s_branch .LBB151_376
.LBB151_1012:
	v_lshlrev_b32_e32 v25, 3, v13
	v_sub_u32_e32 v25, v24, v25
	v_lshl_add_u32 v25, v12, 3, v25
	ds_read_b64 v[25:26], v25 offset:13024
	ds_read_b64 v[27:28], v24 offset:12488
	s_waitcnt lgkmcnt(0)
	v_mul_f32_e32 v29, v28, v26
	v_mul_f32_e32 v26, v27, v26
	v_fma_f32 v27, v27, v25, -v29
	v_fmac_f32_e32 v26, v28, v25
	v_add_f32_e32 v2, v2, v27
	v_add_f32_e32 v3, v3, v26
	s_or_b64 exec, exec, s[20:21]
	v_cmp_gt_u32_e64 s[14:15], 8, v7
	s_and_saveexec_b64 s[20:21], s[14:15]
	s_cbranch_execz .LBB151_428
.LBB151_1013:
	ds_read_b64 v[25:26], v9 offset:13536
	ds_read_b64 v[27:28], v24 offset:12496
	s_waitcnt lgkmcnt(0)
	v_mul_f32_e32 v24, v28, v26
	v_mul_f32_e32 v26, v27, v26
	v_fma_f32 v24, v27, v25, -v24
	v_fmac_f32_e32 v26, v28, v25
	v_add_f32_e32 v2, v2, v24
	v_add_f32_e32 v3, v3, v26
	s_or_b64 exec, exec, s[20:21]
	v_cmp_gt_u32_e64 s[14:15], 4, v7
	s_and_saveexec_b64 s[20:21], s[14:15]
	s_cbranch_execnz .LBB151_429
	s_branch .LBB151_430
.LBB151_1014:
	ds_read_b64 v[30:31], v29 offset:15104
	ds_read_b64 v[32:33], v28 offset:232
	s_waitcnt lgkmcnt(0)
	v_mul_f32_e32 v34, v33, v31
	v_mul_f32_e32 v31, v32, v31
	v_fma_f32 v32, v32, v30, -v34
	v_fmac_f32_e32 v31, v33, v30
	v_add_f32_e32 v2, v2, v32
	v_add_f32_e32 v3, v3, v31
	s_or_b64 exec, exec, s[98:99]
	v_cmp_gt_u32_e64 s[20:21], 64, v7
	s_and_saveexec_b64 s[98:99], s[20:21]
	s_cbranch_execz .LBB151_522
.LBB151_1015:
	ds_read_b64 v[29:30], v29 offset:15616
	ds_read_b64 v[31:32], v28 offset:240
	s_waitcnt lgkmcnt(0)
	v_mul_f32_e32 v33, v32, v30
	v_mul_f32_e32 v30, v31, v30
	v_fma_f32 v31, v31, v29, -v33
	v_fmac_f32_e32 v30, v32, v29
	v_add_f32_e32 v2, v2, v31
	v_add_f32_e32 v3, v3, v30
	s_or_b64 exec, exec, s[98:99]
	v_cmp_gt_u32_e64 s[20:21], 32, v7
	s_and_saveexec_b64 s[98:99], s[20:21]
	s_cbranch_execnz .LBB151_523
	s_branch .LBB151_524
.LBB151_1016:
	v_lshlrev_b32_e32 v25, 3, v13
	v_sub_u32_e32 v25, v24, v25
	v_lshl_add_u32 v25, v12, 3, v25
	ds_read_b64 v[25:26], v25 offset:17184
	ds_read_b64 v[27:28], v24 offset:16648
	s_waitcnt lgkmcnt(0)
	v_mul_f32_e32 v29, v28, v26
	v_mul_f32_e32 v26, v27, v26
	v_fma_f32 v27, v27, v25, -v29
	v_fmac_f32_e32 v26, v28, v25
	v_add_f32_e32 v2, v2, v27
	v_add_f32_e32 v3, v3, v26
	s_or_b64 exec, exec, s[20:21]
	v_cmp_gt_u32_e64 s[14:15], 8, v7
	s_and_saveexec_b64 s[20:21], s[14:15]
	s_cbranch_execz .LBB151_556
.LBB151_1017:
	ds_read_b64 v[25:26], v9 offset:17696
	ds_read_b64 v[27:28], v24 offset:16656
	s_waitcnt lgkmcnt(0)
	v_mul_f32_e32 v24, v28, v26
	v_mul_f32_e32 v26, v27, v26
	v_fma_f32 v24, v27, v25, -v24
	v_fmac_f32_e32 v26, v28, v25
	v_add_f32_e32 v2, v2, v24
	v_add_f32_e32 v3, v3, v26
	s_or_b64 exec, exec, s[20:21]
	v_cmp_gt_u32_e64 s[14:15], 4, v7
	s_and_saveexec_b64 s[20:21], s[14:15]
	s_cbranch_execnz .LBB151_557
	s_branch .LBB151_558
.LBB151_1018:
	v_lshlrev_b32_e32 v25, 3, v18
	v_sub_u32_e32 v25, v24, v25
	v_lshl_add_u32 v25, v17, 3, v25
	ds_read_b64 v[25:26], v25 offset:17216
	ds_read_b64 v[27:28], v24 offset:16648
	s_waitcnt lgkmcnt(0)
	v_mul_f32_e32 v29, v28, v26
	v_mul_f32_e32 v26, v27, v26
	v_fma_f32 v27, v27, v25, -v29
	v_fmac_f32_e32 v26, v28, v25
	v_add_f32_e32 v2, v2, v27
	v_add_f32_e32 v3, v3, v26
	s_or_b64 exec, exec, s[20:21]
	v_cmp_gt_u32_e64 s[14:15], 48, v7
	s_and_saveexec_b64 s[20:21], s[14:15]
	s_cbranch_execz .LBB151_594
.LBB151_1019:
	v_lshlrev_b32_e32 v25, 3, v18
	v_sub_u32_e32 v25, v24, v25
	v_lshl_add_u32 v25, v17, 3, v25
	ds_read_b64 v[25:26], v25 offset:17728
	ds_read_b64 v[27:28], v24 offset:16656
	s_waitcnt lgkmcnt(0)
	v_mul_f32_e32 v29, v28, v26
	v_mul_f32_e32 v26, v27, v26
	v_fma_f32 v27, v27, v25, -v29
	v_fmac_f32_e32 v26, v28, v25
	v_add_f32_e32 v2, v2, v27
	v_add_f32_e32 v3, v3, v26
	s_or_b64 exec, exec, s[20:21]
	v_cmp_gt_u32_e64 s[14:15], 40, v7
	s_and_saveexec_b64 s[20:21], s[14:15]
	s_cbranch_execz .LBB151_595
.LBB151_1020:
	v_lshlrev_b32_e32 v25, 3, v18
	v_sub_u32_e32 v25, v24, v25
	v_lshl_add_u32 v25, v17, 3, v25
	ds_read_b64 v[25:26], v25 offset:18240
	ds_read_b64 v[27:28], v24 offset:16664
	s_waitcnt lgkmcnt(0)
	v_mul_f32_e32 v29, v28, v26
	v_mul_f32_e32 v26, v27, v26
	v_fma_f32 v27, v27, v25, -v29
	v_fmac_f32_e32 v26, v28, v25
	v_add_f32_e32 v2, v2, v27
	v_add_f32_e32 v3, v3, v26
	s_or_b64 exec, exec, s[20:21]
	v_cmp_gt_u32_e64 s[14:15], 32, v7
	s_and_saveexec_b64 s[20:21], s[14:15]
	s_cbranch_execz .LBB151_596
.LBB151_1021:
	ds_read_b64 v[25:26], v14 offset:18752
	ds_read_b64 v[27:28], v24 offset:16672
	s_waitcnt lgkmcnt(0)
	v_mul_f32_e32 v29, v28, v26
	v_mul_f32_e32 v26, v27, v26
	v_fma_f32 v27, v27, v25, -v29
	v_fmac_f32_e32 v26, v28, v25
	v_add_f32_e32 v2, v2, v27
	v_add_f32_e32 v3, v3, v26
	s_or_b64 exec, exec, s[20:21]
	v_cmp_gt_u32_e64 s[14:15], 24, v7
	s_and_saveexec_b64 s[20:21], s[14:15]
	s_cbranch_execz .LBB151_597
.LBB151_1022:
	v_lshlrev_b32_e32 v25, 3, v18
	v_sub_u32_e32 v25, v24, v25
	v_lshl_add_u32 v25, v17, 3, v25
	ds_read_b64 v[25:26], v25 offset:19264
	ds_read_b64 v[27:28], v24 offset:16680
	s_waitcnt lgkmcnt(0)
	v_mul_f32_e32 v29, v28, v26
	v_mul_f32_e32 v26, v27, v26
	v_fma_f32 v27, v27, v25, -v29
	v_fmac_f32_e32 v26, v28, v25
	v_add_f32_e32 v2, v2, v27
	v_add_f32_e32 v3, v3, v26
	s_or_b64 exec, exec, s[20:21]
	v_cmp_gt_u32_e64 s[14:15], 16, v7
	s_and_saveexec_b64 s[20:21], s[14:15]
	s_cbranch_execz .LBB151_598
.LBB151_1023:
	ds_read_b64 v[25:26], v14 offset:19776
	ds_read_b64 v[27:28], v24 offset:16688
	s_waitcnt lgkmcnt(0)
	v_mul_f32_e32 v24, v28, v26
	v_mul_f32_e32 v26, v27, v26
	v_fma_f32 v24, v27, v25, -v24
	v_fmac_f32_e32 v26, v28, v25
	v_add_f32_e32 v2, v2, v24
	v_add_f32_e32 v3, v3, v26
	s_or_b64 exec, exec, s[20:21]
	v_cmp_gt_u32_e64 s[14:15], 8, v7
	s_and_saveexec_b64 s[20:21], s[14:15]
	s_cbranch_execnz .LBB151_599
	s_branch .LBB151_600
.LBB151_1024:
	v_lshlrev_b32_e32 v25, 3, v13
	v_sub_u32_e32 v25, v24, v25
	v_lshl_add_u32 v25, v12, 3, v25
	ds_read_b64 v[25:26], v25 offset:21344
	ds_read_b64 v[27:28], v24 offset:20808
	s_waitcnt lgkmcnt(0)
	v_mul_f32_e32 v29, v28, v26
	v_mul_f32_e32 v26, v27, v26
	v_fma_f32 v27, v27, v25, -v29
	v_fmac_f32_e32 v26, v28, v25
	v_add_f32_e32 v2, v2, v27
	v_add_f32_e32 v3, v3, v26
	s_or_b64 exec, exec, s[20:21]
	v_cmp_gt_u32_e64 s[14:15], 8, v7
	s_and_saveexec_b64 s[20:21], s[14:15]
	s_cbranch_execz .LBB151_652
.LBB151_1025:
	ds_read_b64 v[25:26], v9 offset:21856
	ds_read_b64 v[27:28], v24 offset:20816
	s_waitcnt lgkmcnt(0)
	v_mul_f32_e32 v24, v28, v26
	v_mul_f32_e32 v26, v27, v26
	v_fma_f32 v24, v27, v25, -v24
	v_fmac_f32_e32 v26, v28, v25
	v_add_f32_e32 v2, v2, v24
	v_add_f32_e32 v3, v3, v26
	s_or_b64 exec, exec, s[20:21]
	v_cmp_gt_u32_e64 s[14:15], 4, v7
	s_and_saveexec_b64 s[20:21], s[14:15]
	s_cbranch_execnz .LBB151_653
	s_branch .LBB151_654
.LBB151_1026:
	v_lshlrev_b32_e32 v23, 3, v20
	v_lshl_add_u32 v23, v22, 3, v23
	ds_read_b64 v[25:26], v23 offset:22400
	ds_read_b64 v[27:28], v24 offset:16728
	s_waitcnt lgkmcnt(0)
	v_mul_f32_e32 v23, v28, v26
	v_mul_f32_e32 v26, v27, v26
	v_fma_f32 v23, v27, v25, -v23
	v_fmac_f32_e32 v26, v28, v25
	v_add_f32_e32 v2, v2, v23
	v_add_f32_e32 v3, v3, v26
	s_or_b64 exec, exec, s[20:21]
	v_cmp_gt_u32_e64 s[14:15], 64, v7
	s_and_saveexec_b64 s[20:21], s[14:15]
	s_cbranch_execz .LBB151_710
.LBB151_1027:
	ds_read_b64 v[25:26], v19 offset:22912
	ds_read_b64 v[27:28], v24 offset:16736
	s_waitcnt lgkmcnt(0)
	v_mul_f32_e32 v23, v28, v26
	v_mul_f32_e32 v26, v27, v26
	v_fma_f32 v23, v27, v25, -v23
	v_fmac_f32_e32 v26, v28, v25
	v_add_f32_e32 v2, v2, v23
	v_add_f32_e32 v3, v3, v26
	s_or_b64 exec, exec, s[20:21]
	v_cmp_gt_u32_e64 s[14:15], 48, v7
	s_and_saveexec_b64 s[20:21], s[14:15]
	s_cbranch_execz .LBB151_711
.LBB151_1028:
	v_lshlrev_b32_e32 v23, 3, v20
	v_lshl_add_u32 v22, v22, 3, v23
	ds_read_b64 v[22:23], v22 offset:23424
	ds_read_b64 v[25:26], v24 offset:16744
	s_waitcnt lgkmcnt(0)
	v_mul_f32_e32 v27, v26, v23
	v_mul_f32_e32 v23, v25, v23
	v_fma_f32 v25, v25, v22, -v27
	v_fmac_f32_e32 v23, v26, v22
	v_add_f32_e32 v2, v2, v25
	v_add_f32_e32 v3, v3, v23
	s_or_b64 exec, exec, s[20:21]
	v_cmp_gt_u32_e64 s[14:15], 32, v7
	s_and_saveexec_b64 s[20:21], s[14:15]
	s_cbranch_execz .LBB151_712
.LBB151_1029:
	ds_read_b64 v[22:23], v19 offset:23936
	ds_read_b64 v[24:25], v24 offset:16752
	s_waitcnt lgkmcnt(0)
	v_mul_f32_e32 v26, v25, v23
	v_mul_f32_e32 v23, v24, v23
	v_fma_f32 v24, v24, v22, -v26
	v_fmac_f32_e32 v23, v25, v22
	v_add_f32_e32 v2, v2, v24
	v_add_f32_e32 v3, v3, v23
	s_or_b64 exec, exec, s[20:21]
	v_cmp_gt_u32_e64 s[14:15], 16, v7
	s_and_saveexec_b64 s[20:21], s[14:15]
	s_cbranch_execnz .LBB151_713
	s_branch .LBB151_714
.LBB151_1030:
	v_lshlrev_b32_e32 v20, 3, v13
	v_sub_u32_e32 v20, v19, v20
	v_lshl_add_u32 v20, v12, 3, v20
	ds_read_b64 v[20:21], v20 offset:25504
	ds_read_b64 v[22:23], v19 offset:24968
	s_waitcnt lgkmcnt(0)
	v_mul_f32_e32 v24, v23, v21
	v_mul_f32_e32 v21, v22, v21
	v_fma_f32 v22, v22, v20, -v24
	v_fmac_f32_e32 v21, v23, v20
	v_add_f32_e32 v2, v2, v22
	v_add_f32_e32 v3, v3, v21
	s_or_b64 exec, exec, s[16:17]
	v_cmp_gt_u32_e64 s[12:13], 8, v7
	s_and_saveexec_b64 s[16:17], s[12:13]
	s_cbranch_execz .LBB151_798
.LBB151_1031:
	ds_read_b64 v[20:21], v9 offset:26016
	ds_read_b64 v[22:23], v19 offset:24976
	s_waitcnt lgkmcnt(0)
	v_mul_f32_e32 v19, v23, v21
	v_mul_f32_e32 v21, v22, v21
	v_fma_f32 v19, v22, v20, -v19
	v_fmac_f32_e32 v21, v23, v20
	v_add_f32_e32 v2, v2, v19
	v_add_f32_e32 v3, v3, v21
	s_or_b64 exec, exec, s[16:17]
	v_cmp_gt_u32_e64 s[12:13], 4, v7
	s_and_saveexec_b64 s[16:17], s[12:13]
	s_cbranch_execnz .LBB151_799
	s_branch .LBB151_800
.LBB151_1032:
	v_lshlrev_b32_e32 v20, 3, v18
	v_sub_u32_e32 v20, v19, v20
	v_lshl_add_u32 v20, v17, 3, v20
	ds_read_b64 v[20:21], v20 offset:25536
	ds_read_b64 v[22:23], v19 offset:24968
	s_waitcnt lgkmcnt(0)
	v_mul_f32_e32 v24, v23, v21
	v_mul_f32_e32 v21, v22, v21
	v_fma_f32 v22, v22, v20, -v24
	v_fmac_f32_e32 v21, v23, v20
	v_add_f32_e32 v2, v2, v22
	v_add_f32_e32 v3, v3, v21
	s_or_b64 exec, exec, s[16:17]
	v_cmp_gt_u32_e64 s[12:13], 48, v7
	s_and_saveexec_b64 s[16:17], s[12:13]
	s_cbranch_execz .LBB151_836
.LBB151_1033:
	v_lshlrev_b32_e32 v20, 3, v18
	v_sub_u32_e32 v20, v19, v20
	v_lshl_add_u32 v20, v17, 3, v20
	ds_read_b64 v[20:21], v20 offset:26048
	ds_read_b64 v[22:23], v19 offset:24976
	s_waitcnt lgkmcnt(0)
	v_mul_f32_e32 v24, v23, v21
	v_mul_f32_e32 v21, v22, v21
	v_fma_f32 v22, v22, v20, -v24
	v_fmac_f32_e32 v21, v23, v20
	v_add_f32_e32 v2, v2, v22
	v_add_f32_e32 v3, v3, v21
	s_or_b64 exec, exec, s[16:17]
	v_cmp_gt_u32_e64 s[12:13], 40, v7
	s_and_saveexec_b64 s[16:17], s[12:13]
	s_cbranch_execz .LBB151_837
.LBB151_1034:
	v_lshlrev_b32_e32 v20, 3, v18
	v_sub_u32_e32 v20, v19, v20
	v_lshl_add_u32 v20, v17, 3, v20
	ds_read_b64 v[20:21], v20 offset:26560
	ds_read_b64 v[22:23], v19 offset:24984
	s_waitcnt lgkmcnt(0)
	v_mul_f32_e32 v24, v23, v21
	v_mul_f32_e32 v21, v22, v21
	v_fma_f32 v22, v22, v20, -v24
	v_fmac_f32_e32 v21, v23, v20
	v_add_f32_e32 v2, v2, v22
	v_add_f32_e32 v3, v3, v21
	s_or_b64 exec, exec, s[16:17]
	v_cmp_gt_u32_e64 s[12:13], 32, v7
	s_and_saveexec_b64 s[16:17], s[12:13]
	s_cbranch_execz .LBB151_838
.LBB151_1035:
	ds_read_b64 v[20:21], v14 offset:27072
	ds_read_b64 v[22:23], v19 offset:24992
	s_waitcnt lgkmcnt(0)
	v_mul_f32_e32 v24, v23, v21
	v_mul_f32_e32 v21, v22, v21
	v_fma_f32 v22, v22, v20, -v24
	v_fmac_f32_e32 v21, v23, v20
	v_add_f32_e32 v2, v2, v22
	v_add_f32_e32 v3, v3, v21
	s_or_b64 exec, exec, s[16:17]
	v_cmp_gt_u32_e64 s[12:13], 24, v7
	s_and_saveexec_b64 s[16:17], s[12:13]
	s_cbranch_execz .LBB151_839
.LBB151_1036:
	v_lshlrev_b32_e32 v18, 3, v18
	v_sub_u32_e32 v18, v19, v18
	v_lshl_add_u32 v17, v17, 3, v18
	ds_read_b64 v[17:18], v17 offset:27584
	ds_read_b64 v[20:21], v19 offset:25000
	s_waitcnt lgkmcnt(0)
	v_mul_f32_e32 v22, v21, v18
	v_mul_f32_e32 v18, v20, v18
	v_fma_f32 v20, v20, v17, -v22
	v_fmac_f32_e32 v18, v21, v17
	v_add_f32_e32 v2, v2, v20
	v_add_f32_e32 v3, v3, v18
	s_or_b64 exec, exec, s[16:17]
	v_cmp_gt_u32_e64 s[12:13], 16, v7
	s_and_saveexec_b64 s[16:17], s[12:13]
	s_cbranch_execz .LBB151_840
.LBB151_1037:
	ds_read_b64 v[17:18], v14 offset:28096
	ds_read_b64 v[19:20], v19 offset:25008
	s_waitcnt lgkmcnt(0)
	v_mul_f32_e32 v21, v20, v18
	v_mul_f32_e32 v18, v19, v18
	v_fma_f32 v19, v19, v17, -v21
	v_fmac_f32_e32 v18, v20, v17
	v_add_f32_e32 v2, v2, v19
	v_add_f32_e32 v3, v3, v18
	s_or_b64 exec, exec, s[16:17]
	v_cmp_gt_u32_e64 s[12:13], 8, v7
	s_and_saveexec_b64 s[16:17], s[12:13]
	s_cbranch_execnz .LBB151_841
	s_branch .LBB151_842
.LBB151_1038:
	v_lshlrev_b32_e32 v13, 3, v13
	v_sub_u32_e32 v13, v14, v13
	v_lshl_add_u32 v12, v12, 3, v13
	ds_read_b64 v[12:13], v12 offset:29664
	ds_read_b64 v[15:16], v14 offset:29128
	s_waitcnt lgkmcnt(0)
	v_mul_f32_e32 v17, v16, v13
	v_mul_f32_e32 v13, v15, v13
	v_fma_f32 v15, v15, v12, -v17
	v_fmac_f32_e32 v13, v16, v12
	v_add_f32_e32 v2, v2, v15
	v_add_f32_e32 v3, v3, v13
	s_or_b64 exec, exec, s[14:15]
	v_cmp_gt_u32_e64 s[10:11], 8, v7
	s_and_saveexec_b64 s[14:15], s[10:11]
	s_cbranch_execz .LBB151_894
.LBB151_1039:
	ds_read_b64 v[12:13], v9 offset:30176
	ds_read_b64 v[14:15], v14 offset:29136
	s_waitcnt lgkmcnt(0)
	v_mul_f32_e32 v16, v15, v13
	v_mul_f32_e32 v13, v14, v13
	v_fma_f32 v14, v14, v12, -v16
	v_fmac_f32_e32 v13, v15, v12
	v_add_f32_e32 v2, v2, v14
	v_add_f32_e32 v3, v3, v13
	s_or_b64 exec, exec, s[14:15]
	v_cmp_gt_u32_e64 s[10:11], 4, v7
	s_and_saveexec_b64 s[14:15], s[10:11]
	s_cbranch_execnz .LBB151_895
	s_branch .LBB151_896
	.section	.rodata,"a",@progbits
	.p2align	6, 0x0
	.amdhsa_kernel _ZL19rocblas_trsv_deviceILi64ELi16ELb1ELb0ELb0ELb1E19rocblas_complex_numIfEPKS1_PKS3_PKPS1_EviT7_lllT6_T8_lllPii
		.amdhsa_group_segment_fixed_size 41480
		.amdhsa_private_segment_fixed_size 48
		.amdhsa_kernarg_size 352
		.amdhsa_user_sgpr_count 8
		.amdhsa_user_sgpr_private_segment_buffer 1
		.amdhsa_user_sgpr_dispatch_ptr 0
		.amdhsa_user_sgpr_queue_ptr 0
		.amdhsa_user_sgpr_kernarg_segment_ptr 1
		.amdhsa_user_sgpr_dispatch_id 0
		.amdhsa_user_sgpr_flat_scratch_init 1
		.amdhsa_user_sgpr_private_segment_size 0
		.amdhsa_uses_dynamic_stack 0
		.amdhsa_system_sgpr_private_segment_wavefront_offset 1
		.amdhsa_system_sgpr_workgroup_id_x 1
		.amdhsa_system_sgpr_workgroup_id_y 0
		.amdhsa_system_sgpr_workgroup_id_z 1
		.amdhsa_system_sgpr_workgroup_info 0
		.amdhsa_system_vgpr_workitem_id 1
		.amdhsa_next_free_vgpr 49
		.amdhsa_next_free_sgpr 100
		.amdhsa_reserve_vcc 1
		.amdhsa_reserve_flat_scratch 1
		.amdhsa_float_round_mode_32 0
		.amdhsa_float_round_mode_16_64 0
		.amdhsa_float_denorm_mode_32 3
		.amdhsa_float_denorm_mode_16_64 3
		.amdhsa_dx10_clamp 1
		.amdhsa_ieee_mode 1
		.amdhsa_fp16_overflow 0
		.amdhsa_exception_fp_ieee_invalid_op 0
		.amdhsa_exception_fp_denorm_src 0
		.amdhsa_exception_fp_ieee_div_zero 0
		.amdhsa_exception_fp_ieee_overflow 0
		.amdhsa_exception_fp_ieee_underflow 0
		.amdhsa_exception_fp_ieee_inexact 0
		.amdhsa_exception_int_div_zero 0
	.end_amdhsa_kernel
	.section	.text._ZL19rocblas_trsv_deviceILi64ELi16ELb1ELb0ELb0ELb1E19rocblas_complex_numIfEPKS1_PKS3_PKPS1_EviT7_lllT6_T8_lllPii,"axG",@progbits,_ZL19rocblas_trsv_deviceILi64ELi16ELb1ELb0ELb0ELb1E19rocblas_complex_numIfEPKS1_PKS3_PKPS1_EviT7_lllT6_T8_lllPii,comdat
.Lfunc_end151:
	.size	_ZL19rocblas_trsv_deviceILi64ELi16ELb1ELb0ELb0ELb1E19rocblas_complex_numIfEPKS1_PKS3_PKPS1_EviT7_lllT6_T8_lllPii, .Lfunc_end151-_ZL19rocblas_trsv_deviceILi64ELi16ELb1ELb0ELb0ELb1E19rocblas_complex_numIfEPKS1_PKS3_PKPS1_EviT7_lllT6_T8_lllPii
                                        ; -- End function
	.set _ZL19rocblas_trsv_deviceILi64ELi16ELb1ELb0ELb0ELb1E19rocblas_complex_numIfEPKS1_PKS3_PKPS1_EviT7_lllT6_T8_lllPii.num_vgpr, 36
	.set _ZL19rocblas_trsv_deviceILi64ELi16ELb1ELb0ELb0ELb1E19rocblas_complex_numIfEPKS1_PKS3_PKPS1_EviT7_lllT6_T8_lllPii.num_agpr, 0
	.set _ZL19rocblas_trsv_deviceILi64ELi16ELb1ELb0ELb0ELb1E19rocblas_complex_numIfEPKS1_PKS3_PKPS1_EviT7_lllT6_T8_lllPii.numbered_sgpr, 100
	.set _ZL19rocblas_trsv_deviceILi64ELi16ELb1ELb0ELb0ELb1E19rocblas_complex_numIfEPKS1_PKS3_PKPS1_EviT7_lllT6_T8_lllPii.num_named_barrier, 0
	.set _ZL19rocblas_trsv_deviceILi64ELi16ELb1ELb0ELb0ELb1E19rocblas_complex_numIfEPKS1_PKS3_PKPS1_EviT7_lllT6_T8_lllPii.private_seg_size, 48
	.set _ZL19rocblas_trsv_deviceILi64ELi16ELb1ELb0ELb0ELb1E19rocblas_complex_numIfEPKS1_PKS3_PKPS1_EviT7_lllT6_T8_lllPii.uses_vcc, 1
	.set _ZL19rocblas_trsv_deviceILi64ELi16ELb1ELb0ELb0ELb1E19rocblas_complex_numIfEPKS1_PKS3_PKPS1_EviT7_lllT6_T8_lllPii.uses_flat_scratch, 1
	.set _ZL19rocblas_trsv_deviceILi64ELi16ELb1ELb0ELb0ELb1E19rocblas_complex_numIfEPKS1_PKS3_PKPS1_EviT7_lllT6_T8_lllPii.has_dyn_sized_stack, 0
	.set _ZL19rocblas_trsv_deviceILi64ELi16ELb1ELb0ELb0ELb1E19rocblas_complex_numIfEPKS1_PKS3_PKPS1_EviT7_lllT6_T8_lllPii.has_recursion, 0
	.set _ZL19rocblas_trsv_deviceILi64ELi16ELb1ELb0ELb0ELb1E19rocblas_complex_numIfEPKS1_PKS3_PKPS1_EviT7_lllT6_T8_lllPii.has_indirect_call, 0
	.section	.AMDGPU.csdata,"",@progbits
; Kernel info:
; codeLenInByte = 33856
; TotalNumSgprs: 106
; NumVgprs: 36
; ScratchSize: 48
; MemoryBound: 1
; FloatMode: 240
; IeeeMode: 1
; LDSByteSize: 41480 bytes/workgroup (compile time only)
; SGPRBlocks: 13
; VGPRBlocks: 12
; NumSGPRsForWavesPerEU: 106
; NumVGPRsForWavesPerEU: 49
; Occupancy: 4
; WaveLimiterHint : 1
; COMPUTE_PGM_RSRC2:SCRATCH_EN: 1
; COMPUTE_PGM_RSRC2:USER_SGPR: 8
; COMPUTE_PGM_RSRC2:TRAP_HANDLER: 0
; COMPUTE_PGM_RSRC2:TGID_X_EN: 1
; COMPUTE_PGM_RSRC2:TGID_Y_EN: 0
; COMPUTE_PGM_RSRC2:TGID_Z_EN: 1
; COMPUTE_PGM_RSRC2:TIDIG_COMP_CNT: 1
	.section	.text._ZL19rocblas_trsv_deviceILi64ELi16ELb1ELb1ELb0ELb1E19rocblas_complex_numIfEPKS1_PKS3_PKPS1_EviT7_lllT6_T8_lllPii,"axG",@progbits,_ZL19rocblas_trsv_deviceILi64ELi16ELb1ELb1ELb0ELb1E19rocblas_complex_numIfEPKS1_PKS3_PKPS1_EviT7_lllT6_T8_lllPii,comdat
	.globl	_ZL19rocblas_trsv_deviceILi64ELi16ELb1ELb1ELb0ELb1E19rocblas_complex_numIfEPKS1_PKS3_PKPS1_EviT7_lllT6_T8_lllPii ; -- Begin function _ZL19rocblas_trsv_deviceILi64ELi16ELb1ELb1ELb0ELb1E19rocblas_complex_numIfEPKS1_PKS3_PKPS1_EviT7_lllT6_T8_lllPii
	.p2align	8
	.type	_ZL19rocblas_trsv_deviceILi64ELi16ELb1ELb1ELb0ELb1E19rocblas_complex_numIfEPKS1_PKS3_PKPS1_EviT7_lllT6_T8_lllPii,@function
_ZL19rocblas_trsv_deviceILi64ELi16ELb1ELb1ELb0ELb1E19rocblas_complex_numIfEPKS1_PKS3_PKPS1_EviT7_lllT6_T8_lllPii: ; @_ZL19rocblas_trsv_deviceILi64ELi16ELb1ELb1ELb0ELb1E19rocblas_complex_numIfEPKS1_PKS3_PKPS1_EviT7_lllT6_T8_lllPii
; %bb.0:
	s_load_dwordx4 s[12:15], s[4:5], 0x8
	s_add_u32 flat_scratch_lo, s6, s10
	s_addc_u32 flat_scratch_hi, s7, 0
	s_add_u32 s0, s0, s10
	s_mov_b32 s34, s9
	s_mov_b32 s35, 0
	s_addc_u32 s1, s1, 0
	s_lshl_b64 s[6:7], s[34:35], 3
	s_waitcnt lgkmcnt(0)
	s_add_u32 s10, s12, s6
	s_addc_u32 s11, s13, s7
	s_load_dwordx2 s[12:13], s[10:11], 0x0
	s_load_dword s36, s[4:5], 0x0
	s_load_dwordx8 s[24:31], s[4:5], 0x28
	s_load_dwordx2 s[38:39], s[4:5], 0x18
	s_lshl_b64 s[10:11], s[14:15], 3
	s_waitcnt lgkmcnt(0)
	s_add_u32 s95, s12, s10
	s_addc_u32 s40, s13, s11
	s_add_u32 s6, s26, s6
	s_load_dword s9, s[4:5], 0x60
	s_addc_u32 s7, s27, s7
	s_load_dwordx2 s[42:43], s[6:7], 0x0
	s_load_dwordx2 s[20:21], s[24:25], 0x0
	s_load_dword s41, s[4:5], 0x6c
	s_waitcnt lgkmcnt(0)
	s_add_i32 s9, s9, -1
	s_sub_i32 s33, s9, s8
	s_cmp_eq_u32 s8, 0
	s_cbranch_scc1 .LBB152_18
; %bb.1:
	s_lshl_b32 s10, s33, 6
	v_add_u32_e32 v6, s10, v0
	v_ashrrev_i32_e32 v2, 31, v6
	v_mul_lo_u32 v7, s38, v2
	v_mul_lo_u32 v8, s39, v6
	v_mad_u64_u32 v[2:3], s[6:7], s38, v6, 0
	v_add3_u32 v4, v1, s10, 64
	v_ashrrev_i32_e32 v5, 31, v4
	v_add3_u32 v3, v3, v7, v8
	v_lshlrev_b64 v[2:3], 3, v[2:3]
	v_mov_b32_e32 v7, s40
	v_add_co_u32_e64 v8, s[6:7], s95, v2
	v_addc_co_u32_e64 v7, s[6:7], v7, v3, s[6:7]
	v_lshlrev_b64 v[2:3], 3, v[4:5]
	v_max_i32_e32 v5, v4, v6
	v_add_co_u32_e64 v2, s[6:7], v8, v2
	v_addc_co_u32_e64 v3, s[6:7], v7, v3, s[6:7]
	v_cmp_gt_i32_e32 vcc, s36, v6
	v_cmp_le_i32_e64 s[6:7], s36, v5
	s_barrier
	s_and_saveexec_b64 s[10:11], s[6:7]
	s_xor_b64 s[6:7], exec, s[10:11]
	s_cbranch_execz .LBB152_3
; %bb.2:
	v_mov_b32_e32 v5, 0
	buffer_store_dword v5, off, s[0:3], 0
	buffer_store_dword v5, off, s[0:3], 0 offset:4
.LBB152_3:
	s_andn2_saveexec_b64 s[6:7], s[6:7]
	s_cbranch_execz .LBB152_5
; %bb.4:
	flat_load_dwordx2 v[5:6], v[2:3]
	s_waitcnt vmcnt(0) lgkmcnt(0)
	buffer_store_dword v6, off, s[0:3], 0 offset:4
	buffer_store_dword v5, off, s[0:3], 0
.LBB152_5:
	s_or_b64 exec, exec, s[6:7]
	v_add_u32_e32 v5, 16, v4
	v_cmp_le_i32_e64 s[6:7], s36, v5
	s_xor_b64 s[10:11], vcc, -1
	s_or_b64 s[6:7], s[6:7], s[10:11]
	s_waitcnt vmcnt(0)
	s_barrier
	s_and_saveexec_b64 s[12:13], s[6:7]
	s_xor_b64 s[6:7], exec, s[12:13]
	s_cbranch_execz .LBB152_7
; %bb.6:
	v_mov_b32_e32 v5, 0
	buffer_store_dword v5, off, s[0:3], 0 offset:8
	buffer_store_dword v5, off, s[0:3], 0 offset:12
.LBB152_7:
	s_andn2_saveexec_b64 s[6:7], s[6:7]
	s_cbranch_execz .LBB152_9
; %bb.8:
	flat_load_dwordx2 v[5:6], v[2:3] offset:128
	s_waitcnt vmcnt(0) lgkmcnt(0)
	buffer_store_dword v6, off, s[0:3], 0 offset:12
	buffer_store_dword v5, off, s[0:3], 0 offset:8
.LBB152_9:
	s_or_b64 exec, exec, s[6:7]
	v_add_u32_e32 v5, 32, v4
	v_cmp_le_i32_e32 vcc, s36, v5
	s_or_b64 s[6:7], vcc, s[10:11]
	s_waitcnt vmcnt(0)
	s_barrier
	s_and_saveexec_b64 s[12:13], s[6:7]
	s_xor_b64 s[6:7], exec, s[12:13]
	s_cbranch_execz .LBB152_11
; %bb.10:
	v_mov_b32_e32 v5, 0
	buffer_store_dword v5, off, s[0:3], 0 offset:16
	buffer_store_dword v5, off, s[0:3], 0 offset:20
.LBB152_11:
	s_andn2_saveexec_b64 s[6:7], s[6:7]
	s_cbranch_execz .LBB152_13
; %bb.12:
	flat_load_dwordx2 v[5:6], v[2:3] offset:256
	s_waitcnt vmcnt(0) lgkmcnt(0)
	buffer_store_dword v6, off, s[0:3], 0 offset:20
	buffer_store_dword v5, off, s[0:3], 0 offset:16
.LBB152_13:
	s_or_b64 exec, exec, s[6:7]
	v_add_u32_e32 v4, 48, v4
	v_cmp_le_i32_e32 vcc, s36, v4
	s_or_b64 s[6:7], vcc, s[10:11]
	s_waitcnt vmcnt(0)
	s_barrier
	s_and_saveexec_b64 s[10:11], s[6:7]
	s_xor_b64 s[6:7], exec, s[10:11]
	s_cbranch_execz .LBB152_15
; %bb.14:
	v_mov_b32_e32 v2, 0
	buffer_store_dword v2, off, s[0:3], 0 offset:24
	buffer_store_dword v2, off, s[0:3], 0 offset:28
                                        ; implicit-def: $vgpr2_vgpr3
.LBB152_15:
	s_andn2_saveexec_b64 s[6:7], s[6:7]
	s_cbranch_execz .LBB152_17
; %bb.16:
	flat_load_dwordx2 v[2:3], v[2:3] offset:384
	s_waitcnt vmcnt(0) lgkmcnt(0)
	buffer_store_dword v3, off, s[0:3], 0 offset:28
	buffer_store_dword v2, off, s[0:3], 0 offset:24
.LBB152_17:
	s_or_b64 exec, exec, s[6:7]
.LBB152_18:
	s_ashr_i32 s37, s36, 31
	s_lshr_b32 s6, s37, 26
	s_add_i32 s6, s36, s6
	s_andn2_b32 s6, s6, 63
	s_sub_i32 s94, s36, s6
	s_add_i32 s6, s36, -1
	s_ashr_i32 s7, s6, 31
	s_lshr_b32 s7, s7, 26
	s_add_i32 s6, s6, s7
	s_ashr_i32 s6, s6, 6
	s_cmp_eq_u32 s6, s33
	s_cselect_b64 s[6:7], -1, 0
	s_cmp_lg_u32 s94, 0
	s_cselect_b64 s[10:11], -1, 0
	s_and_b64 s[26:27], s[10:11], s[6:7]
	s_cmp_lt_i32 s8, 5
	s_cselect_b64 s[12:13], -1, 0
	v_lshlrev_b32_e32 v2, 6, v0
	s_mov_b64 s[16:17], -1
	s_or_b64 s[6:7], s[12:13], s[26:27]
	s_and_b64 vcc, exec, s[26:27]
	v_add_u32_e32 v3, v1, v2
	v_cmp_le_u32_e64 s[10:11], v0, v1
	v_lshl_add_u32 v7, v1, 6, v0
	s_cbranch_vccnz .LBB152_44
; %bb.19:
	s_add_u32 s14, s38, 1
	s_addc_u32 s15, s39, 0
	s_lshl_b32 s16, s33, 6
	s_ashr_i32 s17, s16, 31
	s_mul_hi_u32 s18, s14, s16
	s_mul_i32 s17, s14, s17
	s_add_i32 s17, s18, s17
	s_mul_i32 s15, s15, s16
	s_add_i32 s15, s17, s15
	s_mul_i32 s14, s14, s16
	s_lshl_b64 s[14:15], s[14:15], 3
	s_add_u32 s14, s95, s14
	s_addc_u32 s15, s40, s15
	v_lshlrev_b32_e32 v4, 3, v0
	v_mov_b32_e32 v5, s15
	v_add_co_u32_e32 v4, vcc, s14, v4
	v_addc_co_u32_e32 v5, vcc, 0, v5, vcc
	v_cndmask_b32_e64 v6, v7, v3, s[12:13]
	s_and_saveexec_b64 s[12:13], s[10:11]
	s_xor_b64 s[10:11], exec, s[12:13]
	s_cbranch_execz .LBB152_23
; %bb.20:
	v_or_b32_e32 v8, v1, v0
	v_cmp_gt_u32_e32 vcc, 64, v8
	s_and_saveexec_b64 s[12:13], vcc
; %bb.21:
	v_mov_b32_e32 v8, 0
	v_lshlrev_b32_e32 v6, 3, v6
	v_mov_b32_e32 v9, v8
	ds_write_b64 v6, v[8:9]
; %bb.22:
	s_or_b64 exec, exec, s[12:13]
                                        ; implicit-def: $vgpr6
.LBB152_23:
	s_andn2_saveexec_b64 s[10:11], s[10:11]
	s_cbranch_execz .LBB152_25
; %bb.24:
	v_mad_u64_u32 v[8:9], s[12:13], s38, v1, 0
	v_lshlrev_b32_e32 v6, 3, v6
	v_mad_u64_u32 v[9:10], s[12:13], s39, v1, v[9:10]
	v_lshlrev_b64 v[8:9], 3, v[8:9]
	v_add_co_u32_e32 v8, vcc, v4, v8
	v_addc_co_u32_e32 v9, vcc, v5, v9, vcc
	flat_load_dwordx2 v[8:9], v[8:9]
	s_waitcnt vmcnt(0) lgkmcnt(0)
	v_xor_b32_e32 v8, 0x80000000, v8
	v_xor_b32_e32 v9, 0x80000000, v9
	ds_write_b64 v6, v[8:9]
.LBB152_25:
	s_or_b64 exec, exec, s[10:11]
	v_add_u32_e32 v8, 16, v1
	v_add_u32_e32 v6, v8, v2
	v_lshl_add_u32 v9, v8, 6, v0
	v_cndmask_b32_e64 v6, v9, v6, s[6:7]
	v_cmp_le_u32_e32 vcc, v0, v8
	s_and_saveexec_b64 s[10:11], vcc
	s_xor_b64 s[10:11], exec, s[10:11]
	s_cbranch_execz .LBB152_29
; %bb.26:
	v_or_b32_e32 v8, v8, v0
	v_cmp_gt_u32_e32 vcc, 64, v8
	s_and_saveexec_b64 s[12:13], vcc
; %bb.27:
	v_mov_b32_e32 v8, 0
	v_lshlrev_b32_e32 v6, 3, v6
	v_mov_b32_e32 v9, v8
	ds_write_b64 v6, v[8:9]
; %bb.28:
	s_or_b64 exec, exec, s[12:13]
                                        ; implicit-def: $vgpr8
                                        ; implicit-def: $vgpr6
.LBB152_29:
	s_andn2_saveexec_b64 s[10:11], s[10:11]
	s_cbranch_execz .LBB152_31
; %bb.30:
	v_mad_u64_u32 v[9:10], s[12:13], s38, v8, 0
	v_lshlrev_b32_e32 v6, 3, v6
	v_mad_u64_u32 v[10:11], s[12:13], s39, v8, v[10:11]
	v_lshlrev_b64 v[8:9], 3, v[9:10]
	v_add_co_u32_e32 v8, vcc, v4, v8
	v_addc_co_u32_e32 v9, vcc, v5, v9, vcc
	flat_load_dwordx2 v[8:9], v[8:9]
	s_waitcnt vmcnt(0) lgkmcnt(0)
	v_xor_b32_e32 v8, 0x80000000, v8
	v_xor_b32_e32 v9, 0x80000000, v9
	ds_write_b64 v6, v[8:9]
.LBB152_31:
	s_or_b64 exec, exec, s[10:11]
	v_add_u32_e32 v8, 32, v1
	v_add_u32_e32 v6, v8, v2
	v_lshl_add_u32 v9, v8, 6, v0
	v_cndmask_b32_e64 v6, v9, v6, s[6:7]
	v_cmp_le_u32_e32 vcc, v0, v8
	s_and_saveexec_b64 s[10:11], vcc
	s_xor_b64 s[10:11], exec, s[10:11]
	s_cbranch_execz .LBB152_35
; %bb.32:
	v_or_b32_e32 v8, v8, v0
	v_cmp_gt_u32_e32 vcc, 64, v8
	s_and_saveexec_b64 s[12:13], vcc
; %bb.33:
	v_mov_b32_e32 v8, 0
	v_lshlrev_b32_e32 v6, 3, v6
	v_mov_b32_e32 v9, v8
	ds_write_b64 v6, v[8:9]
; %bb.34:
	s_or_b64 exec, exec, s[12:13]
                                        ; implicit-def: $vgpr8
                                        ; implicit-def: $vgpr6
.LBB152_35:
	s_andn2_saveexec_b64 s[10:11], s[10:11]
	s_cbranch_execz .LBB152_37
; %bb.36:
	v_mad_u64_u32 v[9:10], s[12:13], s38, v8, 0
	v_lshlrev_b32_e32 v6, 3, v6
	v_mad_u64_u32 v[10:11], s[12:13], s39, v8, v[10:11]
	v_lshlrev_b64 v[8:9], 3, v[9:10]
	v_add_co_u32_e32 v8, vcc, v4, v8
	v_addc_co_u32_e32 v9, vcc, v5, v9, vcc
	flat_load_dwordx2 v[8:9], v[8:9]
	s_waitcnt vmcnt(0) lgkmcnt(0)
	v_xor_b32_e32 v8, 0x80000000, v8
	v_xor_b32_e32 v9, 0x80000000, v9
	ds_write_b64 v6, v[8:9]
.LBB152_37:
	s_or_b64 exec, exec, s[10:11]
	v_add_u32_e32 v8, 48, v1
	v_add_u32_e32 v6, v8, v2
	v_lshl_add_u32 v9, v8, 6, v0
	v_cndmask_b32_e64 v6, v9, v6, s[6:7]
	v_cmp_le_u32_e32 vcc, v0, v8
	s_and_saveexec_b64 s[10:11], vcc
	s_xor_b64 s[10:11], exec, s[10:11]
	s_cbranch_execz .LBB152_41
; %bb.38:
	v_or_b32_e32 v4, v8, v0
	v_cmp_gt_u32_e32 vcc, 64, v4
	s_and_saveexec_b64 s[12:13], vcc
; %bb.39:
	v_mov_b32_e32 v4, 0
	v_lshlrev_b32_e32 v6, 3, v6
	v_mov_b32_e32 v5, v4
	ds_write_b64 v6, v[4:5]
; %bb.40:
	s_or_b64 exec, exec, s[12:13]
                                        ; implicit-def: $vgpr8
                                        ; implicit-def: $vgpr4
                                        ; implicit-def: $vgpr5
                                        ; implicit-def: $vgpr6
.LBB152_41:
	s_andn2_saveexec_b64 s[10:11], s[10:11]
	s_cbranch_execz .LBB152_43
; %bb.42:
	v_mad_u64_u32 v[9:10], s[12:13], s38, v8, 0
	v_lshlrev_b32_e32 v6, 3, v6
	v_mad_u64_u32 v[10:11], s[12:13], s39, v8, v[10:11]
	v_lshlrev_b64 v[8:9], 3, v[9:10]
	v_add_co_u32_e32 v4, vcc, v4, v8
	v_addc_co_u32_e32 v5, vcc, v5, v9, vcc
	flat_load_dwordx2 v[4:5], v[4:5]
	s_waitcnt vmcnt(0) lgkmcnt(0)
	v_xor_b32_e32 v4, 0x80000000, v4
	v_xor_b32_e32 v5, 0x80000000, v5
	ds_write_b64 v6, v[4:5]
.LBB152_43:
	s_or_b64 exec, exec, s[10:11]
	s_mov_b64 s[16:17], 0
.LBB152_44:
	s_xor_b64 s[14:15], s[6:7], -1
	s_and_b64 vcc, exec, s[16:17]
	s_cbranch_vccz .LBB152_70
; %bb.45:
	s_add_u32 s10, s38, 1
	s_addc_u32 s11, s39, 0
	s_lshl_b32 s12, s33, 6
	s_ashr_i32 s13, s12, 31
	s_mul_hi_u32 s16, s10, s12
	s_mul_i32 s13, s10, s13
	s_add_i32 s13, s16, s13
	s_mul_i32 s11, s11, s12
	s_add_i32 s11, s13, s11
	s_mul_i32 s10, s10, s12
	s_lshl_b64 s[10:11], s[10:11], 3
	s_add_u32 s10, s95, s10
	s_addc_u32 s11, s40, s11
	v_lshlrev_b32_e32 v4, 3, v0
	v_mov_b32_e32 v5, s11
	v_add_co_u32_e64 v4, s[10:11], s10, v4
	v_addc_co_u32_e64 v5, s[10:11], 0, v5, s[10:11]
	v_max_i32_e32 v6, v1, v0
	v_cmp_le_u32_e64 s[10:11], v0, v1
	v_cmp_le_i32_e64 s[12:13], s94, v6
	v_cmp_gt_i32_e32 vcc, s94, v0
	s_or_b64 s[10:11], s[12:13], s[10:11]
	s_and_saveexec_b64 s[12:13], s[10:11]
	s_xor_b64 s[12:13], exec, s[12:13]
	s_cbranch_execz .LBB152_49
; %bb.46:
	v_or_b32_e32 v6, v1, v0
	v_cmp_gt_u32_e64 s[10:11], 64, v6
	s_and_saveexec_b64 s[16:17], s[10:11]
; %bb.47:
	v_mov_b32_e32 v8, 0
	v_lshlrev_b32_e32 v3, 3, v3
	v_mov_b32_e32 v9, v8
	ds_write_b64 v3, v[8:9]
; %bb.48:
	s_or_b64 exec, exec, s[16:17]
                                        ; implicit-def: $vgpr3
.LBB152_49:
	s_andn2_saveexec_b64 s[12:13], s[12:13]
	s_cbranch_execz .LBB152_51
; %bb.50:
	v_mad_u64_u32 v[8:9], s[10:11], s38, v1, 0
	v_lshlrev_b32_e32 v3, 3, v3
	v_mov_b32_e32 v6, v9
	v_mad_u64_u32 v[9:10], s[10:11], s39, v1, v[6:7]
	v_lshlrev_b64 v[8:9], 3, v[8:9]
	v_add_co_u32_e64 v8, s[10:11], v4, v8
	v_addc_co_u32_e64 v9, s[10:11], v5, v9, s[10:11]
	flat_load_dwordx2 v[8:9], v[8:9]
	s_waitcnt vmcnt(0) lgkmcnt(0)
	v_xor_b32_e32 v8, 0x80000000, v8
	v_xor_b32_e32 v9, 0x80000000, v9
	ds_write_b64 v3, v[8:9]
.LBB152_51:
	s_or_b64 exec, exec, s[12:13]
	v_add_u32_e32 v6, 16, v1
	v_cmp_gt_u32_e64 s[10:11], v0, v6
	v_cmp_gt_i32_e64 s[12:13], s94, v6
	s_and_b64 s[10:11], s[10:11], s[12:13]
	v_add_u32_e32 v3, v6, v2
	v_lshl_add_u32 v8, v6, 6, v0
	s_and_b64 s[10:11], s[10:11], vcc
	v_cndmask_b32_e64 v3, v8, v3, s[6:7]
	s_xor_b64 s[10:11], s[10:11], -1
	s_and_saveexec_b64 s[12:13], s[10:11]
	s_xor_b64 s[12:13], exec, s[12:13]
	s_cbranch_execz .LBB152_55
; %bb.52:
	v_or_b32_e32 v6, v6, v0
	v_cmp_gt_u32_e64 s[10:11], 64, v6
	s_and_saveexec_b64 s[16:17], s[10:11]
; %bb.53:
	v_mov_b32_e32 v8, 0
	v_lshlrev_b32_e32 v3, 3, v3
	v_mov_b32_e32 v9, v8
	ds_write_b64 v3, v[8:9]
; %bb.54:
	s_or_b64 exec, exec, s[16:17]
                                        ; implicit-def: $vgpr6
                                        ; implicit-def: $vgpr3
.LBB152_55:
	s_andn2_saveexec_b64 s[12:13], s[12:13]
	s_cbranch_execz .LBB152_57
; %bb.56:
	v_mad_u64_u32 v[8:9], s[10:11], s38, v6, 0
	v_lshlrev_b32_e32 v3, 3, v3
	v_mad_u64_u32 v[9:10], s[10:11], s39, v6, v[9:10]
	v_lshlrev_b64 v[8:9], 3, v[8:9]
	v_add_co_u32_e64 v8, s[10:11], v4, v8
	v_addc_co_u32_e64 v9, s[10:11], v5, v9, s[10:11]
	flat_load_dwordx2 v[8:9], v[8:9]
	s_waitcnt vmcnt(0) lgkmcnt(0)
	v_xor_b32_e32 v8, 0x80000000, v8
	v_xor_b32_e32 v9, 0x80000000, v9
	ds_write_b64 v3, v[8:9]
.LBB152_57:
	s_or_b64 exec, exec, s[12:13]
	v_add_u32_e32 v6, 32, v1
	v_cmp_gt_u32_e64 s[10:11], v0, v6
	v_cmp_gt_i32_e64 s[12:13], s94, v6
	s_and_b64 s[10:11], s[10:11], s[12:13]
	v_add_u32_e32 v3, v6, v2
	v_lshl_add_u32 v8, v6, 6, v0
	s_and_b64 s[10:11], s[10:11], vcc
	v_cndmask_b32_e64 v3, v8, v3, s[6:7]
	s_xor_b64 s[10:11], s[10:11], -1
	s_and_saveexec_b64 s[12:13], s[10:11]
	s_xor_b64 s[12:13], exec, s[12:13]
	s_cbranch_execz .LBB152_61
; %bb.58:
	v_or_b32_e32 v6, v6, v0
	v_cmp_gt_u32_e64 s[10:11], 64, v6
	s_and_saveexec_b64 s[16:17], s[10:11]
; %bb.59:
	v_mov_b32_e32 v8, 0
	v_lshlrev_b32_e32 v3, 3, v3
	v_mov_b32_e32 v9, v8
	ds_write_b64 v3, v[8:9]
; %bb.60:
	s_or_b64 exec, exec, s[16:17]
                                        ; implicit-def: $vgpr6
                                        ; implicit-def: $vgpr3
.LBB152_61:
	s_andn2_saveexec_b64 s[12:13], s[12:13]
	s_cbranch_execz .LBB152_63
; %bb.62:
	v_mad_u64_u32 v[8:9], s[10:11], s38, v6, 0
	v_lshlrev_b32_e32 v3, 3, v3
	v_mad_u64_u32 v[9:10], s[10:11], s39, v6, v[9:10]
	v_lshlrev_b64 v[8:9], 3, v[8:9]
	v_add_co_u32_e64 v8, s[10:11], v4, v8
	v_addc_co_u32_e64 v9, s[10:11], v5, v9, s[10:11]
	flat_load_dwordx2 v[8:9], v[8:9]
	s_waitcnt vmcnt(0) lgkmcnt(0)
	v_xor_b32_e32 v8, 0x80000000, v8
	v_xor_b32_e32 v9, 0x80000000, v9
	ds_write_b64 v3, v[8:9]
.LBB152_63:
	s_or_b64 exec, exec, s[12:13]
	v_add_u32_e32 v3, 48, v1
	v_add_u32_e32 v2, v3, v2
	v_lshl_add_u32 v6, v3, 6, v0
	v_cndmask_b32_e64 v2, v6, v2, s[6:7]
	v_cmp_gt_u32_e64 s[6:7], v0, v3
	v_cmp_gt_i32_e64 s[10:11], s94, v3
	s_and_b64 s[6:7], s[6:7], s[10:11]
	s_and_b64 s[6:7], s[6:7], vcc
	s_xor_b64 s[6:7], s[6:7], -1
	s_and_saveexec_b64 s[10:11], s[6:7]
	s_xor_b64 s[6:7], exec, s[10:11]
	s_cbranch_execz .LBB152_67
; %bb.64:
	v_or_b32_e32 v3, v3, v0
	v_cmp_gt_u32_e32 vcc, 64, v3
	s_and_saveexec_b64 s[10:11], vcc
; %bb.65:
	v_lshlrev_b32_e32 v4, 3, v2
	v_mov_b32_e32 v2, 0
	v_mov_b32_e32 v3, v2
	ds_write_b64 v4, v[2:3]
; %bb.66:
	s_or_b64 exec, exec, s[10:11]
                                        ; implicit-def: $vgpr3
                                        ; implicit-def: $vgpr4
                                        ; implicit-def: $vgpr5
                                        ; implicit-def: $vgpr2
.LBB152_67:
	s_andn2_saveexec_b64 s[6:7], s[6:7]
	s_cbranch_execz .LBB152_69
; %bb.68:
	v_mad_u64_u32 v[8:9], s[10:11], s38, v3, 0
	v_lshlrev_b32_e32 v2, 3, v2
	v_mov_b32_e32 v6, v9
	v_mad_u64_u32 v[9:10], s[10:11], s39, v3, v[6:7]
	v_lshlrev_b64 v[8:9], 3, v[8:9]
	v_add_co_u32_e32 v3, vcc, v4, v8
	v_addc_co_u32_e32 v4, vcc, v5, v9, vcc
	flat_load_dwordx2 v[3:4], v[3:4]
	s_waitcnt vmcnt(0) lgkmcnt(0)
	v_xor_b32_e32 v3, 0x80000000, v3
	v_xor_b32_e32 v4, 0x80000000, v4
	ds_write_b64 v2, v[3:4]
.LBB152_69:
	s_or_b64 exec, exec, s[6:7]
.LBB152_70:
	v_cndmask_b32_e64 v2, 0, 1, s[14:15]
	v_cmp_ne_u32_e64 s[46:47], 1, v2
	s_andn2_b64 vcc, exec, s[14:15]
	s_waitcnt vmcnt(0) lgkmcnt(0)
	s_barrier
	s_cbranch_vccnz .LBB152_992
; %bb.71:
	v_or_b32_e32 v2, v0, v1
	s_mov_b32 s11, 0
	v_cmp_eq_u32_e32 vcc, 0, v2
	s_and_saveexec_b64 s[6:7], vcc
	s_cbranch_execz .LBB152_73
; %bb.72:
	v_mov_b32_e32 v6, 0
	ds_read_b64 v[2:3], v6 offset:8
	s_mov_b32 s10, 1.0
	v_mov_b32_e32 v4, s10
	v_mov_b32_e32 v5, s11
	ds_write_b64 v6, v[4:5] offset:520
	s_waitcnt lgkmcnt(1)
	ds_write2st64_b64 v6, v[4:5], v[2:3] offset1:1
.LBB152_73:
	s_or_b64 exec, exec, s[6:7]
	v_and_b32_e32 v8, 1, v0
	v_lshrrev_b32_e32 v6, 1, v7
	v_lshlrev_b32_e32 v2, 3, v8
	v_cmp_lt_u32_e64 s[10:11], 3, v7
	v_cmp_gt_u32_e64 s[22:23], 4, v7
	v_lshl_or_b32 v4, v6, 9, v2
	v_mov_b32_e32 v3, 0
	v_mov_b32_e32 v2, 0
	s_waitcnt lgkmcnt(0)
	s_barrier
	s_and_saveexec_b64 s[6:7], s[22:23]
	s_cbranch_execz .LBB152_77
; %bb.74:
	v_mul_u32_u24_e32 v5, 0x208, v6
	ds_read_b64 v[2:3], v4 offset:16
	ds_read_b64 v[9:10], v5
	v_cmp_gt_u32_e64 s[12:13], 2, v7
	s_waitcnt lgkmcnt(0)
	v_mul_f32_e32 v5, v10, v3
	v_mul_f32_e32 v3, v9, v3
	v_fma_f32 v5, v9, v2, -v5
	v_fmac_f32_e32 v3, v10, v2
	v_add_f32_e32 v2, 0, v5
	v_add_f32_e32 v3, 0, v3
	s_and_saveexec_b64 s[14:15], s[12:13]
	s_cbranch_execz .LBB152_76
; %bb.75:
	v_lshlrev_b32_e32 v5, 3, v0
	v_mov_b32_e32 v11, 0
	ds_read_b64 v[9:10], v5 offset:528
	ds_read_b64 v[11:12], v11 offset:8
	s_waitcnt lgkmcnt(0)
	v_mul_f32_e32 v5, v12, v10
	v_mul_f32_e32 v10, v11, v10
	v_fma_f32 v5, v11, v9, -v5
	v_fmac_f32_e32 v10, v12, v9
	v_add_f32_e32 v2, v2, v5
	v_add_f32_e32 v3, v3, v10
.LBB152_76:
	s_or_b64 exec, exec, s[14:15]
	v_xor_b32_e32 v2, 0x80000000, v2
	v_xor_b32_e32 v3, 0x80000000, v3
.LBB152_77:
                                        ; implicit-def: $vgpr34 : SGPR spill to VGPR lane
	v_writelane_b32 v34, s46, 0
	v_writelane_b32 v34, s47, 1
	;; [unrolled: 1-line block ×4, first 2 shown]
	s_or_b64 exec, exec, s[6:7]
	v_mov_b32_e32 v5, 0x8000
	v_cmp_eq_u32_e64 s[12:13], 0, v8
	s_xor_b64 s[6:7], s[10:11], -1
	v_lshl_add_u32 v5, v6, 3, v5
	s_and_b64 s[46:47], s[12:13], s[6:7]
	s_and_saveexec_b64 s[10:11], s[46:47]
; %bb.78:
	ds_write_b64 v5, v[2:3]
; %bb.79:
	s_or_b64 exec, exec, s[10:11]
	v_cmp_ne_u32_e64 s[10:11], 0, v8
	s_and_b64 s[44:45], s[10:11], s[6:7]
	s_waitcnt lgkmcnt(0)
	s_barrier
	s_and_saveexec_b64 s[6:7], s[44:45]
	s_cbranch_execz .LBB152_81
; %bb.80:
	v_mov_b32_e32 v8, 0
	ds_read_b64 v[8:9], v8 offset:1048
	ds_read_b64 v[10:11], v5
	s_waitcnt lgkmcnt(0)
	v_mul_f32_e32 v12, v11, v9
	v_mul_f32_e32 v9, v10, v9
	v_fma_f32 v10, v10, v8, -v12
	v_fmac_f32_e32 v9, v11, v8
	v_add_f32_e32 v2, v2, v10
	v_add_f32_e32 v3, v3, v9
.LBB152_81:
	s_or_b64 exec, exec, s[6:7]
	s_barrier
	s_and_saveexec_b64 s[6:7], s[44:45]
; %bb.82:
	ds_write_b64 v5, v[2:3]
; %bb.83:
	s_or_b64 exec, exec, s[6:7]
	s_waitcnt lgkmcnt(0)
	s_barrier
	s_barrier
	s_and_saveexec_b64 s[6:7], s[22:23]
; %bb.84:
	v_xor_b32_e32 v3, 0x80000000, v3
	v_xor_b32_e32 v2, 0x80000000, v2
	ds_write_b64 v4, v[2:3] offset:16
; %bb.85:
	s_or_b64 exec, exec, s[6:7]
	v_cmp_eq_u32_e64 s[16:17], 0, v1
	v_cmp_gt_u32_e64 s[10:11], 2, v0
	s_and_b64 s[48:49], s[16:17], s[10:11]
	s_waitcnt lgkmcnt(0)
	s_barrier
	s_barrier
	s_and_saveexec_b64 s[6:7], s[48:49]
	s_cbranch_execz .LBB152_87
; %bb.86:
	v_lshlrev_b32_e32 v8, 3, v0
	s_movk_i32 s10, 0x1f8
	v_mad_u32_u24 v9, v0, s10, v8
	ds_read_b64 v[2:3], v9 offset:16
	s_waitcnt lgkmcnt(0)
	ds_write_b64 v8, v[2:3] offset:1024
	ds_read_b64 v[2:3], v9 offset:24
	s_waitcnt lgkmcnt(0)
	ds_write_b64 v8, v[2:3] offset:1536
.LBB152_87:
	s_or_b64 exec, exec, s[6:7]
	s_waitcnt lgkmcnt(0)
	s_barrier
	s_and_saveexec_b64 s[6:7], vcc
	s_cbranch_execz .LBB152_89
; %bb.88:
	v_mov_b32_e32 v10, 0
	ds_read_b64 v[2:3], v10 offset:1048
	s_mov_b64 s[10:11], 0x3f800000
	v_mov_b32_e32 v8, s10
	v_mov_b32_e32 v9, s11
	ds_write_b64 v10, v[8:9] offset:1560
	s_waitcnt lgkmcnt(1)
	ds_write2_b64 v10, v[8:9], v[2:3] offset0:130 offset1:194
.LBB152_89:
	s_or_b64 exec, exec, s[6:7]
	v_and_b32_e32 v11, 3, v0
	v_lshrrev_b32_e32 v12, 2, v7
	v_lshlrev_b32_e32 v9, 3, v11
	v_cmp_lt_u32_e64 s[12:13], 15, v7
	v_cmp_gt_u32_e64 s[10:11], 16, v7
	v_lshl_or_b32 v8, v12, 9, v9
	v_mov_b32_e32 v3, 0
	v_mov_b32_e32 v2, 0
	s_waitcnt lgkmcnt(0)
	s_barrier
	s_and_saveexec_b64 s[6:7], s[10:11]
	s_cbranch_execz .LBB152_95
; %bb.90:
	v_mul_u32_u24_e32 v10, 0x208, v12
	ds_read_b64 v[2:3], v8 offset:32
	ds_read_b64 v[13:14], v10
	v_cmp_gt_u32_e64 s[14:15], 12, v7
	s_waitcnt lgkmcnt(0)
	v_mul_f32_e32 v15, v14, v3
	v_mul_f32_e32 v3, v13, v3
	v_fma_f32 v13, v13, v2, -v15
	v_fmac_f32_e32 v3, v14, v2
	v_add_f32_e32 v2, 0, v13
	v_add_f32_e32 v3, 0, v3
	s_and_saveexec_b64 s[18:19], s[14:15]
	s_cbranch_execnz .LBB152_1050
; %bb.91:
	s_or_b64 exec, exec, s[18:19]
	v_cmp_gt_u32_e64 s[14:15], 8, v7
	s_and_saveexec_b64 s[18:19], s[14:15]
	s_cbranch_execnz .LBB152_1051
.LBB152_92:
	s_or_b64 exec, exec, s[18:19]
	v_cmp_gt_u32_e64 s[14:15], 4, v7
	s_and_saveexec_b64 s[18:19], s[14:15]
	s_cbranch_execz .LBB152_94
.LBB152_93:
	v_lshlrev_b32_e32 v10, 3, v0
	v_mov_b32_e32 v15, 0
	ds_read_b64 v[13:14], v10 offset:1568
	ds_read_b64 v[15:16], v15 offset:24
	s_waitcnt lgkmcnt(0)
	v_mul_f32_e32 v10, v16, v14
	v_mul_f32_e32 v14, v15, v14
	v_fma_f32 v10, v15, v13, -v10
	v_fmac_f32_e32 v14, v16, v13
	v_add_f32_e32 v2, v2, v10
	v_add_f32_e32 v3, v3, v14
.LBB152_94:
	s_or_b64 exec, exec, s[18:19]
	v_xor_b32_e32 v2, 0x80000000, v2
	v_xor_b32_e32 v3, 0x80000000, v3
.LBB152_95:
	s_or_b64 exec, exec, s[6:7]
	v_mov_b32_e32 v10, 0x8000
	v_cmp_eq_u32_e64 s[14:15], 0, v11
	s_xor_b64 s[6:7], s[12:13], -1
	v_lshl_add_u32 v10, v12, 3, v10
	s_and_b64 s[52:53], s[14:15], s[6:7]
	s_and_saveexec_b64 s[12:13], s[52:53]
; %bb.96:
	ds_write_b64 v10, v[2:3]
; %bb.97:
	s_or_b64 exec, exec, s[12:13]
	v_cmp_ne_u32_e64 s[12:13], 0, v11
	s_and_b64 s[54:55], s[12:13], s[6:7]
	s_waitcnt lgkmcnt(0)
	s_barrier
	s_and_saveexec_b64 s[12:13], s[54:55]
	s_cbranch_execz .LBB152_99
; %bb.98:
	ds_read_b64 v[13:14], v9 offset:2080
	ds_read_b64 v[15:16], v10
	s_waitcnt lgkmcnt(0)
	v_mul_f32_e32 v17, v16, v14
	v_mul_f32_e32 v14, v15, v14
	v_fma_f32 v15, v15, v13, -v17
	v_fmac_f32_e32 v14, v16, v13
	v_add_f32_e32 v2, v2, v15
	v_add_f32_e32 v3, v3, v14
.LBB152_99:
	s_or_b64 exec, exec, s[12:13]
	v_cmp_eq_u32_e64 s[12:13], 1, v11
	s_and_b64 s[56:57], s[12:13], s[6:7]
	s_barrier
	s_and_saveexec_b64 s[12:13], s[56:57]
; %bb.100:
	ds_write_b64 v10, v[2:3]
; %bb.101:
	s_or_b64 exec, exec, s[12:13]
	v_cmp_lt_u32_e64 s[12:13], 1, v11
	s_and_b64 s[58:59], s[12:13], s[6:7]
	s_waitcnt lgkmcnt(0)
	s_barrier
	s_and_saveexec_b64 s[12:13], s[58:59]
	s_cbranch_execz .LBB152_103
; %bb.102:
	ds_read_b64 v[13:14], v9 offset:2592
	ds_read_b64 v[15:16], v10
	s_waitcnt lgkmcnt(0)
	v_mul_f32_e32 v17, v16, v14
	v_mul_f32_e32 v14, v15, v14
	v_fma_f32 v15, v15, v13, -v17
	v_fmac_f32_e32 v14, v16, v13
	v_add_f32_e32 v2, v2, v15
	v_add_f32_e32 v3, v3, v14
.LBB152_103:
	s_or_b64 exec, exec, s[12:13]
	v_cmp_eq_u32_e64 s[12:13], 2, v11
	s_and_b64 s[60:61], s[12:13], s[6:7]
	s_barrier
	s_and_saveexec_b64 s[12:13], s[60:61]
; %bb.104:
	ds_write_b64 v10, v[2:3]
; %bb.105:
	s_or_b64 exec, exec, s[12:13]
	v_cmp_eq_u32_e64 s[12:13], 3, v11
	s_and_b64 s[50:51], s[12:13], s[6:7]
	s_waitcnt lgkmcnt(0)
	s_barrier
	s_and_saveexec_b64 s[6:7], s[50:51]
	s_cbranch_execz .LBB152_107
; %bb.106:
	v_mov_b32_e32 v13, 0
	ds_read_b64 v[13:14], v13 offset:3128
	ds_read_b64 v[15:16], v10
	s_waitcnt lgkmcnt(0)
	v_mul_f32_e32 v17, v16, v14
	v_mul_f32_e32 v14, v15, v14
	v_fma_f32 v15, v15, v13, -v17
	v_fmac_f32_e32 v14, v16, v13
	v_add_f32_e32 v2, v2, v15
	v_add_f32_e32 v3, v3, v14
.LBB152_107:
	s_or_b64 exec, exec, s[6:7]
	s_barrier
	s_and_saveexec_b64 s[6:7], s[50:51]
; %bb.108:
	ds_write_b64 v10, v[2:3]
; %bb.109:
	s_or_b64 exec, exec, s[6:7]
	s_waitcnt lgkmcnt(0)
	s_barrier
	s_barrier
	s_and_saveexec_b64 s[6:7], s[10:11]
; %bb.110:
	v_xor_b32_e32 v2, 0x80000000, v2
	v_xor_b32_e32 v3, 0x80000000, v3
	ds_write_b64 v8, v[2:3] offset:32
; %bb.111:
	s_or_b64 exec, exec, s[6:7]
	v_cmp_gt_u32_e64 s[12:13], 4, v0
	s_and_b64 s[62:63], s[16:17], s[12:13]
	s_waitcnt lgkmcnt(0)
	s_barrier
	s_barrier
	s_and_saveexec_b64 s[6:7], s[62:63]
	s_cbranch_execz .LBB152_113
; %bb.112:
	v_lshlrev_b32_e32 v13, 9, v0
	ds_read_b64 v[2:3], v13 offset:32
	s_movk_i32 s12, 0xfe08
	v_mad_i32_i24 v14, v0, s12, v13
	s_waitcnt lgkmcnt(0)
	ds_write_b64 v14, v[2:3] offset:2048
	ds_read_b64 v[2:3], v13 offset:40
	s_waitcnt lgkmcnt(0)
	ds_write_b64 v14, v[2:3] offset:2560
	ds_read_b64 v[2:3], v13 offset:48
	;; [unrolled: 3-line block ×3, first 2 shown]
	s_waitcnt lgkmcnt(0)
	ds_write_b64 v14, v[2:3] offset:3584
.LBB152_113:
	s_or_b64 exec, exec, s[6:7]
	s_waitcnt lgkmcnt(0)
	s_barrier
	s_and_saveexec_b64 s[6:7], vcc
	s_cbranch_execz .LBB152_115
; %bb.114:
	v_mov_b32_e32 v15, 0
	ds_read_b64 v[2:3], v15 offset:2088
	s_mov_b64 s[12:13], 0x3f800000
	v_mov_b32_e32 v14, s13
	v_mov_b32_e32 v13, s12
	ds_write_b64 v15, v[13:14] offset:2600
	v_add_u32_e64 v15, 32, 0
	s_waitcnt lgkmcnt(1)
	ds_write2st64_b64 v15, v[13:14], v[2:3] offset0:4 offset1:5
.LBB152_115:
	s_or_b64 exec, exec, s[6:7]
	v_mov_b32_e32 v3, 0
	v_mov_b32_e32 v2, 0
	s_waitcnt lgkmcnt(0)
	s_barrier
	s_and_saveexec_b64 s[6:7], s[22:23]
	s_cbranch_execz .LBB152_119
; %bb.116:
	v_mul_u32_u24_e32 v13, 0x208, v6
	ds_read_b64 v[2:3], v4 offset:2096
	ds_read_b64 v[13:14], v13 offset:2080
	v_cmp_gt_u32_e64 s[12:13], 2, v7
	s_waitcnt lgkmcnt(0)
	v_mul_f32_e32 v15, v14, v3
	v_mul_f32_e32 v3, v13, v3
	v_fma_f32 v13, v13, v2, -v15
	v_fmac_f32_e32 v3, v14, v2
	v_add_f32_e32 v2, 0, v13
	v_add_f32_e32 v3, 0, v3
	s_and_saveexec_b64 s[14:15], s[12:13]
	s_cbranch_execz .LBB152_118
; %bb.117:
	v_lshlrev_b32_e32 v13, 3, v0
	v_mov_b32_e32 v15, 0
	ds_read_b64 v[13:14], v13 offset:2608
	ds_read_b64 v[15:16], v15 offset:2088
	s_waitcnt lgkmcnt(0)
	v_mul_f32_e32 v17, v16, v14
	v_mul_f32_e32 v14, v15, v14
	v_fma_f32 v15, v15, v13, -v17
	v_fmac_f32_e32 v14, v16, v13
	v_add_f32_e32 v2, v2, v15
	v_add_f32_e32 v3, v3, v14
.LBB152_118:
	s_or_b64 exec, exec, s[14:15]
	v_xor_b32_e32 v2, 0x80000000, v2
	v_xor_b32_e32 v3, 0x80000000, v3
.LBB152_119:
	s_or_b64 exec, exec, s[6:7]
	s_and_saveexec_b64 s[6:7], s[46:47]
; %bb.120:
	ds_write_b64 v5, v[2:3]
; %bb.121:
	s_or_b64 exec, exec, s[6:7]
	s_waitcnt lgkmcnt(0)
	s_barrier
	s_and_saveexec_b64 s[6:7], s[44:45]
	s_cbranch_execz .LBB152_123
; %bb.122:
	v_mov_b32_e32 v13, 0
	ds_read_b64 v[13:14], v13 offset:3128
	ds_read_b64 v[15:16], v5
	s_waitcnt lgkmcnt(0)
	v_mul_f32_e32 v17, v16, v14
	v_mul_f32_e32 v14, v15, v14
	v_fma_f32 v15, v15, v13, -v17
	v_fmac_f32_e32 v14, v16, v13
	v_add_f32_e32 v2, v2, v15
	v_add_f32_e32 v3, v3, v14
.LBB152_123:
	s_or_b64 exec, exec, s[6:7]
	s_barrier
	s_and_saveexec_b64 s[6:7], s[44:45]
; %bb.124:
	ds_write_b64 v5, v[2:3]
; %bb.125:
	s_or_b64 exec, exec, s[6:7]
	s_waitcnt lgkmcnt(0)
	s_barrier
	s_barrier
	s_and_saveexec_b64 s[6:7], s[22:23]
; %bb.126:
	v_xor_b32_e32 v3, 0x80000000, v3
	v_xor_b32_e32 v2, 0x80000000, v2
	ds_write_b64 v4, v[2:3] offset:2096
; %bb.127:
	s_or_b64 exec, exec, s[6:7]
	s_waitcnt lgkmcnt(0)
	s_barrier
	s_barrier
	s_and_saveexec_b64 s[6:7], s[48:49]
	s_cbranch_execz .LBB152_129
; %bb.128:
	v_lshlrev_b32_e32 v13, 3, v0
	s_movk_i32 s12, 0x1f8
	v_mad_u32_u24 v14, v0, s12, v13
	ds_read_b64 v[2:3], v14 offset:2096
	s_waitcnt lgkmcnt(0)
	ds_write_b64 v13, v[2:3] offset:3104
	ds_read_b64 v[2:3], v14 offset:2104
	s_waitcnt lgkmcnt(0)
	ds_write_b64 v13, v[2:3] offset:3616
.LBB152_129:
	s_or_b64 exec, exec, s[6:7]
	s_waitcnt lgkmcnt(0)
	s_barrier
	s_and_saveexec_b64 s[6:7], vcc
	s_cbranch_execz .LBB152_131
; %bb.130:
	v_mov_b32_e32 v15, 0
	ds_read_b64 v[2:3], v15 offset:3128
	s_mov_b64 s[12:13], 0x3f800000
	v_mov_b32_e32 v14, s13
	v_mov_b32_e32 v13, s12
	ds_write_b64 v15, v[13:14] offset:3640
	v_add_u32_e64 v15, 48, 0
	s_waitcnt lgkmcnt(1)
	ds_write2st64_b64 v15, v[13:14], v[2:3] offset0:6 offset1:7
.LBB152_131:
	s_or_b64 exec, exec, s[6:7]
	v_and_b32_e32 v16, 7, v0
	v_lshrrev_b32_e32 v17, 3, v7
	v_lshlrev_b32_e32 v14, 3, v16
	v_cmp_lt_u32_e64 s[14:15], 63, v7
	v_cmp_gt_u32_e64 s[12:13], 64, v7
	v_lshl_or_b32 v13, v17, 9, v14
	v_mov_b32_e32 v3, 0
	v_mov_b32_e32 v2, 0
	s_waitcnt lgkmcnt(0)
	s_barrier
	s_and_saveexec_b64 s[6:7], s[12:13]
	s_cbranch_execz .LBB152_141
; %bb.132:
	v_mul_u32_u24_e32 v15, 0x208, v17
	ds_read_b64 v[2:3], v13 offset:64
	ds_read_b64 v[18:19], v15
	v_cmp_gt_u32_e64 s[18:19], 56, v7
	s_waitcnt lgkmcnt(0)
	v_mul_f32_e32 v20, v19, v3
	v_mul_f32_e32 v3, v18, v3
	v_fma_f32 v18, v18, v2, -v20
	v_fmac_f32_e32 v3, v19, v2
	v_add_f32_e32 v2, 0, v18
	v_add_f32_e32 v3, 0, v3
	s_and_saveexec_b64 s[20:21], s[18:19]
	s_cbranch_execnz .LBB152_1052
; %bb.133:
	s_or_b64 exec, exec, s[20:21]
	v_cmp_gt_u32_e64 s[18:19], 48, v7
	s_and_saveexec_b64 s[20:21], s[18:19]
	s_cbranch_execnz .LBB152_1053
.LBB152_134:
	s_or_b64 exec, exec, s[20:21]
	v_cmp_gt_u32_e64 s[18:19], 40, v7
	s_and_saveexec_b64 s[20:21], s[18:19]
	s_cbranch_execnz .LBB152_1054
.LBB152_135:
	s_or_b64 exec, exec, s[20:21]
	v_cmp_gt_u32_e64 s[18:19], 32, v7
	s_and_saveexec_b64 s[20:21], s[18:19]
	s_cbranch_execnz .LBB152_1055
.LBB152_136:
	s_or_b64 exec, exec, s[20:21]
	v_cmp_gt_u32_e64 s[18:19], 24, v7
	s_and_saveexec_b64 s[20:21], s[18:19]
	s_cbranch_execnz .LBB152_1056
.LBB152_137:
	s_or_b64 exec, exec, s[20:21]
	v_cmp_gt_u32_e64 s[18:19], 16, v7
	s_and_saveexec_b64 s[20:21], s[18:19]
	s_cbranch_execnz .LBB152_1057
.LBB152_138:
	s_or_b64 exec, exec, s[20:21]
	v_cmp_gt_u32_e64 s[18:19], 8, v7
	s_and_saveexec_b64 s[20:21], s[18:19]
	s_cbranch_execz .LBB152_140
.LBB152_139:
	v_lshlrev_b32_e32 v15, 3, v0
	v_mov_b32_e32 v20, 0
	ds_read_b64 v[18:19], v15 offset:3648
	ds_read_b64 v[20:21], v20 offset:56
	s_waitcnt lgkmcnt(0)
	v_mul_f32_e32 v15, v21, v19
	v_mul_f32_e32 v19, v20, v19
	v_fma_f32 v15, v20, v18, -v15
	v_fmac_f32_e32 v19, v21, v18
	v_add_f32_e32 v2, v2, v15
	v_add_f32_e32 v3, v3, v19
.LBB152_140:
	s_or_b64 exec, exec, s[20:21]
	v_xor_b32_e32 v2, 0x80000000, v2
	v_xor_b32_e32 v3, 0x80000000, v3
.LBB152_141:
	s_or_b64 exec, exec, s[6:7]
	v_mov_b32_e32 v15, 0x8000
	v_cmp_eq_u32_e64 s[18:19], 0, v16
	s_xor_b64 s[6:7], s[14:15], -1
	v_lshl_add_u32 v15, v17, 3, v15
	s_and_b64 s[66:67], s[18:19], s[6:7]
	s_and_saveexec_b64 s[14:15], s[66:67]
; %bb.142:
	ds_write_b64 v15, v[2:3]
; %bb.143:
	s_or_b64 exec, exec, s[14:15]
	v_cmp_ne_u32_e64 s[14:15], 0, v16
	s_and_b64 s[68:69], s[14:15], s[6:7]
	s_waitcnt lgkmcnt(0)
	s_barrier
	s_and_saveexec_b64 s[14:15], s[68:69]
	s_cbranch_execz .LBB152_145
; %bb.144:
	ds_read_b64 v[18:19], v14 offset:4160
	ds_read_b64 v[20:21], v15
	s_waitcnt lgkmcnt(0)
	v_mul_f32_e32 v22, v21, v19
	v_mul_f32_e32 v19, v20, v19
	v_fma_f32 v20, v20, v18, -v22
	v_fmac_f32_e32 v19, v21, v18
	v_add_f32_e32 v2, v2, v20
	v_add_f32_e32 v3, v3, v19
.LBB152_145:
	s_or_b64 exec, exec, s[14:15]
	v_cmp_eq_u32_e64 s[14:15], 1, v16
	s_and_b64 s[70:71], s[14:15], s[6:7]
	s_barrier
	s_and_saveexec_b64 s[14:15], s[70:71]
; %bb.146:
	ds_write_b64 v15, v[2:3]
; %bb.147:
	s_or_b64 exec, exec, s[14:15]
	v_cmp_lt_u32_e64 s[14:15], 1, v16
	s_and_b64 s[72:73], s[14:15], s[6:7]
	s_waitcnt lgkmcnt(0)
	s_barrier
	s_and_saveexec_b64 s[14:15], s[72:73]
	s_cbranch_execz .LBB152_149
; %bb.148:
	ds_read_b64 v[18:19], v14 offset:4672
	ds_read_b64 v[20:21], v15
	s_waitcnt lgkmcnt(0)
	v_mul_f32_e32 v22, v21, v19
	v_mul_f32_e32 v19, v20, v19
	v_fma_f32 v20, v20, v18, -v22
	v_fmac_f32_e32 v19, v21, v18
	v_add_f32_e32 v2, v2, v20
	v_add_f32_e32 v3, v3, v19
.LBB152_149:
	s_or_b64 exec, exec, s[14:15]
	v_cmp_eq_u32_e64 s[14:15], 2, v16
	s_and_b64 s[74:75], s[14:15], s[6:7]
	s_barrier
	s_and_saveexec_b64 s[14:15], s[74:75]
; %bb.150:
	ds_write_b64 v15, v[2:3]
; %bb.151:
	s_or_b64 exec, exec, s[14:15]
	v_cmp_lt_u32_e64 s[14:15], 2, v16
	;; [unrolled: 26-line block ×5, first 2 shown]
	s_and_b64 s[88:89], s[14:15], s[6:7]
	s_waitcnt lgkmcnt(0)
	s_barrier
	s_and_saveexec_b64 s[14:15], s[88:89]
	s_cbranch_execz .LBB152_165
; %bb.164:
	ds_read_b64 v[18:19], v14 offset:6720
	ds_read_b64 v[20:21], v15
	s_waitcnt lgkmcnt(0)
	v_mul_f32_e32 v22, v21, v19
	v_mul_f32_e32 v19, v20, v19
	v_fma_f32 v20, v20, v18, -v22
	v_fmac_f32_e32 v19, v21, v18
	v_add_f32_e32 v2, v2, v20
	v_add_f32_e32 v3, v3, v19
.LBB152_165:
	s_or_b64 exec, exec, s[14:15]
	v_cmp_eq_u32_e64 s[14:15], 6, v16
	s_and_b64 s[90:91], s[14:15], s[6:7]
	s_barrier
	s_and_saveexec_b64 s[14:15], s[90:91]
; %bb.166:
	ds_write_b64 v15, v[2:3]
; %bb.167:
	s_or_b64 exec, exec, s[14:15]
	v_cmp_eq_u32_e64 s[14:15], 7, v16
	s_and_b64 s[64:65], s[14:15], s[6:7]
	s_waitcnt lgkmcnt(0)
	s_barrier
	s_and_saveexec_b64 s[6:7], s[64:65]
	s_cbranch_execz .LBB152_169
; %bb.168:
	v_mov_b32_e32 v18, 0
	ds_read_b64 v[18:19], v18 offset:7288
	ds_read_b64 v[20:21], v15
	s_waitcnt lgkmcnt(0)
	v_mul_f32_e32 v22, v21, v19
	v_mul_f32_e32 v19, v20, v19
	v_fma_f32 v20, v20, v18, -v22
	v_fmac_f32_e32 v19, v21, v18
	v_add_f32_e32 v2, v2, v20
	v_add_f32_e32 v3, v3, v19
.LBB152_169:
	s_or_b64 exec, exec, s[6:7]
	s_barrier
	s_and_saveexec_b64 s[6:7], s[64:65]
; %bb.170:
	ds_write_b64 v15, v[2:3]
; %bb.171:
	s_or_b64 exec, exec, s[6:7]
	s_waitcnt lgkmcnt(0)
	s_barrier
	s_barrier
	s_and_saveexec_b64 s[6:7], s[12:13]
; %bb.172:
	v_xor_b32_e32 v3, 0x80000000, v3
	v_xor_b32_e32 v2, 0x80000000, v2
	ds_write_b64 v13, v[2:3] offset:64
; %bb.173:
	s_or_b64 exec, exec, s[6:7]
	v_cmp_gt_u32_e64 s[14:15], 8, v0
	s_and_b64 s[92:93], s[16:17], s[14:15]
	s_waitcnt lgkmcnt(0)
	s_barrier
	s_barrier
	s_and_saveexec_b64 s[6:7], s[92:93]
	s_cbranch_execz .LBB152_175
; %bb.174:
	v_lshlrev_b32_e32 v18, 9, v0
	ds_read_b64 v[2:3], v18 offset:64
	s_movk_i32 s14, 0xfe08
	v_mad_i32_i24 v19, v0, s14, v18
	s_waitcnt lgkmcnt(0)
	ds_write_b64 v19, v[2:3] offset:4096
	ds_read_b64 v[2:3], v18 offset:72
	s_waitcnt lgkmcnt(0)
	ds_write_b64 v19, v[2:3] offset:4608
	ds_read_b64 v[2:3], v18 offset:80
	;; [unrolled: 3-line block ×7, first 2 shown]
	s_waitcnt lgkmcnt(0)
	ds_write_b64 v19, v[2:3] offset:7680
.LBB152_175:
	s_or_b64 exec, exec, s[6:7]
	s_waitcnt lgkmcnt(0)
	s_barrier
	s_and_saveexec_b64 s[6:7], vcc
	s_cbranch_execz .LBB152_177
; %bb.176:
	v_mov_b32_e32 v20, 0
	ds_read_b64 v[2:3], v20 offset:4168
	s_mov_b64 s[14:15], 0x3f800000
	v_mov_b32_e32 v19, s15
	v_mov_b32_e32 v18, s14
	ds_write_b64 v20, v[18:19] offset:4680
	v_add_u32_e64 v20, 64, 0
	s_waitcnt lgkmcnt(1)
	ds_write2st64_b64 v20, v[18:19], v[2:3] offset0:8 offset1:9
.LBB152_177:
	s_or_b64 exec, exec, s[6:7]
	v_mov_b32_e32 v3, 0
	v_mov_b32_e32 v2, 0
	s_waitcnt lgkmcnt(0)
	s_barrier
	s_and_saveexec_b64 s[6:7], s[22:23]
	s_cbranch_execz .LBB152_181
; %bb.178:
	v_mul_u32_u24_e32 v18, 0x208, v6
	ds_read_b64 v[2:3], v4 offset:4176
	ds_read_b64 v[18:19], v18 offset:4160
	v_cmp_gt_u32_e64 s[14:15], 2, v7
	s_waitcnt lgkmcnt(0)
	v_mul_f32_e32 v20, v19, v3
	v_mul_f32_e32 v3, v18, v3
	v_fma_f32 v18, v18, v2, -v20
	v_fmac_f32_e32 v3, v19, v2
	v_add_f32_e32 v2, 0, v18
	v_add_f32_e32 v3, 0, v3
	s_and_saveexec_b64 s[18:19], s[14:15]
	s_cbranch_execz .LBB152_180
; %bb.179:
	v_lshlrev_b32_e32 v18, 3, v0
	v_mov_b32_e32 v20, 0
	ds_read_b64 v[18:19], v18 offset:4688
	ds_read_b64 v[20:21], v20 offset:4168
	s_waitcnt lgkmcnt(0)
	v_mul_f32_e32 v22, v21, v19
	v_mul_f32_e32 v19, v20, v19
	v_fma_f32 v20, v20, v18, -v22
	v_fmac_f32_e32 v19, v21, v18
	v_add_f32_e32 v2, v2, v20
	v_add_f32_e32 v3, v3, v19
.LBB152_180:
	s_or_b64 exec, exec, s[18:19]
	v_xor_b32_e32 v2, 0x80000000, v2
	v_xor_b32_e32 v3, 0x80000000, v3
.LBB152_181:
	s_or_b64 exec, exec, s[6:7]
	s_and_saveexec_b64 s[6:7], s[46:47]
; %bb.182:
	ds_write_b64 v5, v[2:3]
; %bb.183:
	s_or_b64 exec, exec, s[6:7]
	s_waitcnt lgkmcnt(0)
	s_barrier
	s_and_saveexec_b64 s[6:7], s[44:45]
	s_cbranch_execz .LBB152_185
; %bb.184:
	v_mov_b32_e32 v18, 0
	ds_read_b64 v[18:19], v18 offset:5208
	ds_read_b64 v[20:21], v5
	s_waitcnt lgkmcnt(0)
	v_mul_f32_e32 v22, v21, v19
	v_mul_f32_e32 v19, v20, v19
	v_fma_f32 v20, v20, v18, -v22
	v_fmac_f32_e32 v19, v21, v18
	v_add_f32_e32 v2, v2, v20
	v_add_f32_e32 v3, v3, v19
.LBB152_185:
	s_or_b64 exec, exec, s[6:7]
	s_barrier
	s_and_saveexec_b64 s[6:7], s[44:45]
; %bb.186:
	ds_write_b64 v5, v[2:3]
; %bb.187:
	s_or_b64 exec, exec, s[6:7]
	s_waitcnt lgkmcnt(0)
	s_barrier
	s_barrier
	s_and_saveexec_b64 s[6:7], s[22:23]
; %bb.188:
	v_xor_b32_e32 v3, 0x80000000, v3
	v_xor_b32_e32 v2, 0x80000000, v2
	ds_write_b64 v4, v[2:3] offset:4176
; %bb.189:
	s_or_b64 exec, exec, s[6:7]
	s_waitcnt lgkmcnt(0)
	s_barrier
	s_barrier
	s_and_saveexec_b64 s[6:7], s[48:49]
	s_cbranch_execz .LBB152_191
; %bb.190:
	v_lshlrev_b32_e32 v18, 3, v0
	s_movk_i32 s14, 0x1f8
	v_mad_u32_u24 v19, v0, s14, v18
	ds_read_b64 v[2:3], v19 offset:4176
	s_waitcnt lgkmcnt(0)
	ds_write_b64 v18, v[2:3] offset:5184
	ds_read_b64 v[2:3], v19 offset:4184
	s_waitcnt lgkmcnt(0)
	ds_write_b64 v18, v[2:3] offset:5696
.LBB152_191:
	s_or_b64 exec, exec, s[6:7]
	s_waitcnt lgkmcnt(0)
	s_barrier
	s_and_saveexec_b64 s[6:7], vcc
	s_cbranch_execz .LBB152_193
; %bb.192:
	v_mov_b32_e32 v20, 0
	ds_read_b64 v[2:3], v20 offset:5208
	s_mov_b64 s[14:15], 0x3f800000
	v_mov_b32_e32 v19, s15
	v_mov_b32_e32 v18, s14
	s_movk_i32 s14, 0x50
	ds_write_b64 v20, v[18:19] offset:5720
	v_add_u32_e64 v20, s14, 0
	s_waitcnt lgkmcnt(1)
	ds_write2st64_b64 v20, v[18:19], v[2:3] offset0:10 offset1:11
.LBB152_193:
	s_or_b64 exec, exec, s[6:7]
	v_mov_b32_e32 v3, 0
	v_mov_b32_e32 v2, 0
	s_waitcnt lgkmcnt(0)
	s_barrier
	s_and_saveexec_b64 s[6:7], s[10:11]
	s_cbranch_execz .LBB152_199
; %bb.194:
	v_mul_u32_u24_e32 v18, 0x208, v12
	ds_read_b64 v[2:3], v8 offset:4192
	ds_read_b64 v[19:20], v18 offset:4160
	v_cmp_gt_u32_e64 s[14:15], 12, v7
	s_waitcnt lgkmcnt(0)
	v_mul_f32_e32 v21, v20, v3
	v_mul_f32_e32 v3, v19, v3
	v_fma_f32 v19, v19, v2, -v21
	v_fmac_f32_e32 v3, v20, v2
	v_add_f32_e32 v2, 0, v19
	v_add_f32_e32 v3, 0, v3
	s_and_saveexec_b64 s[18:19], s[14:15]
	s_cbranch_execnz .LBB152_1058
; %bb.195:
	s_or_b64 exec, exec, s[18:19]
	v_cmp_gt_u32_e64 s[14:15], 8, v7
	s_and_saveexec_b64 s[18:19], s[14:15]
	s_cbranch_execnz .LBB152_1059
.LBB152_196:
	s_or_b64 exec, exec, s[18:19]
	v_cmp_gt_u32_e64 s[14:15], 4, v7
	s_and_saveexec_b64 s[18:19], s[14:15]
	s_cbranch_execz .LBB152_198
.LBB152_197:
	v_lshlrev_b32_e32 v18, 3, v0
	v_mov_b32_e32 v20, 0
	ds_read_b64 v[18:19], v18 offset:5728
	ds_read_b64 v[20:21], v20 offset:4184
	s_waitcnt lgkmcnt(0)
	v_mul_f32_e32 v22, v21, v19
	v_mul_f32_e32 v19, v20, v19
	v_fma_f32 v20, v20, v18, -v22
	v_fmac_f32_e32 v19, v21, v18
	v_add_f32_e32 v2, v2, v20
	v_add_f32_e32 v3, v3, v19
.LBB152_198:
	s_or_b64 exec, exec, s[18:19]
	v_xor_b32_e32 v2, 0x80000000, v2
	v_xor_b32_e32 v3, 0x80000000, v3
.LBB152_199:
	s_or_b64 exec, exec, s[6:7]
	s_and_saveexec_b64 s[6:7], s[52:53]
; %bb.200:
	ds_write_b64 v10, v[2:3]
; %bb.201:
	s_or_b64 exec, exec, s[6:7]
	s_waitcnt lgkmcnt(0)
	s_barrier
	s_and_saveexec_b64 s[6:7], s[54:55]
	s_cbranch_execz .LBB152_203
; %bb.202:
	ds_read_b64 v[18:19], v9 offset:6240
	ds_read_b64 v[20:21], v10
	s_waitcnt lgkmcnt(0)
	v_mul_f32_e32 v22, v21, v19
	v_mul_f32_e32 v19, v20, v19
	v_fma_f32 v20, v20, v18, -v22
	v_fmac_f32_e32 v19, v21, v18
	v_add_f32_e32 v2, v2, v20
	v_add_f32_e32 v3, v3, v19
.LBB152_203:
	s_or_b64 exec, exec, s[6:7]
	s_barrier
	s_and_saveexec_b64 s[6:7], s[56:57]
; %bb.204:
	ds_write_b64 v10, v[2:3]
; %bb.205:
	s_or_b64 exec, exec, s[6:7]
	s_waitcnt lgkmcnt(0)
	s_barrier
	s_and_saveexec_b64 s[6:7], s[58:59]
	s_cbranch_execz .LBB152_207
; %bb.206:
	ds_read_b64 v[18:19], v9 offset:6752
	ds_read_b64 v[20:21], v10
	s_waitcnt lgkmcnt(0)
	v_mul_f32_e32 v22, v21, v19
	v_mul_f32_e32 v19, v20, v19
	v_fma_f32 v20, v20, v18, -v22
	v_fmac_f32_e32 v19, v21, v18
	v_add_f32_e32 v2, v2, v20
	v_add_f32_e32 v3, v3, v19
.LBB152_207:
	s_or_b64 exec, exec, s[6:7]
	s_barrier
	s_and_saveexec_b64 s[6:7], s[60:61]
; %bb.208:
	ds_write_b64 v10, v[2:3]
; %bb.209:
	s_or_b64 exec, exec, s[6:7]
	s_waitcnt lgkmcnt(0)
	s_barrier
	s_and_saveexec_b64 s[6:7], s[50:51]
	s_cbranch_execz .LBB152_211
; %bb.210:
	v_mov_b32_e32 v18, 0
	ds_read_b64 v[18:19], v18 offset:7288
	ds_read_b64 v[20:21], v10
	s_waitcnt lgkmcnt(0)
	v_mul_f32_e32 v22, v21, v19
	v_mul_f32_e32 v19, v20, v19
	v_fma_f32 v20, v20, v18, -v22
	v_fmac_f32_e32 v19, v21, v18
	v_add_f32_e32 v2, v2, v20
	v_add_f32_e32 v3, v3, v19
.LBB152_211:
	s_or_b64 exec, exec, s[6:7]
	s_barrier
	s_and_saveexec_b64 s[6:7], s[50:51]
; %bb.212:
	ds_write_b64 v10, v[2:3]
; %bb.213:
	s_or_b64 exec, exec, s[6:7]
	s_waitcnt lgkmcnt(0)
	s_barrier
	s_barrier
	s_and_saveexec_b64 s[6:7], s[10:11]
; %bb.214:
	v_xor_b32_e32 v2, 0x80000000, v2
	v_xor_b32_e32 v3, 0x80000000, v3
	ds_write_b64 v8, v[2:3] offset:4192
; %bb.215:
	s_or_b64 exec, exec, s[6:7]
	s_waitcnt lgkmcnt(0)
	s_barrier
	s_barrier
	s_and_saveexec_b64 s[6:7], s[62:63]
	s_cbranch_execz .LBB152_217
; %bb.216:
	v_lshlrev_b32_e32 v18, 9, v0
	ds_read_b64 v[2:3], v18 offset:4192
	s_movk_i32 s14, 0xfe08
	v_mad_i32_i24 v19, v0, s14, v18
	s_waitcnt lgkmcnt(0)
	ds_write_b64 v19, v[2:3] offset:6208
	ds_read_b64 v[2:3], v18 offset:4200
	s_waitcnt lgkmcnt(0)
	ds_write_b64 v19, v[2:3] offset:6720
	ds_read_b64 v[2:3], v18 offset:4208
	;; [unrolled: 3-line block ×3, first 2 shown]
	s_waitcnt lgkmcnt(0)
	ds_write_b64 v19, v[2:3] offset:7744
.LBB152_217:
	s_or_b64 exec, exec, s[6:7]
	s_waitcnt lgkmcnt(0)
	s_barrier
	s_and_saveexec_b64 s[6:7], vcc
	s_cbranch_execz .LBB152_219
; %bb.218:
	v_mov_b32_e32 v20, 0
	ds_read_b64 v[2:3], v20 offset:6248
	s_mov_b64 s[14:15], 0x3f800000
	v_mov_b32_e32 v19, s15
	v_mov_b32_e32 v18, s14
	s_movk_i32 s14, 0x60
	ds_write_b64 v20, v[18:19] offset:6760
	v_add_u32_e64 v20, s14, 0
	s_waitcnt lgkmcnt(1)
	ds_write2st64_b64 v20, v[18:19], v[2:3] offset0:12 offset1:13
.LBB152_219:
	s_or_b64 exec, exec, s[6:7]
	v_mov_b32_e32 v3, 0
	v_mov_b32_e32 v2, 0
	s_waitcnt lgkmcnt(0)
	s_barrier
	s_and_saveexec_b64 s[6:7], s[22:23]
	s_cbranch_execz .LBB152_223
; %bb.220:
	v_mul_u32_u24_e32 v18, 0x208, v6
	ds_read_b64 v[2:3], v4 offset:6256
	ds_read_b64 v[18:19], v18 offset:6240
	v_cmp_gt_u32_e64 s[14:15], 2, v7
	s_waitcnt lgkmcnt(0)
	v_mul_f32_e32 v20, v19, v3
	v_mul_f32_e32 v3, v18, v3
	v_fma_f32 v18, v18, v2, -v20
	v_fmac_f32_e32 v3, v19, v2
	v_add_f32_e32 v2, 0, v18
	v_add_f32_e32 v3, 0, v3
	s_and_saveexec_b64 s[18:19], s[14:15]
	s_cbranch_execz .LBB152_222
; %bb.221:
	v_lshlrev_b32_e32 v18, 3, v0
	v_mov_b32_e32 v20, 0
	ds_read_b64 v[18:19], v18 offset:6768
	ds_read_b64 v[20:21], v20 offset:6248
	s_waitcnt lgkmcnt(0)
	v_mul_f32_e32 v22, v21, v19
	v_mul_f32_e32 v19, v20, v19
	v_fma_f32 v20, v20, v18, -v22
	v_fmac_f32_e32 v19, v21, v18
	v_add_f32_e32 v2, v2, v20
	v_add_f32_e32 v3, v3, v19
.LBB152_222:
	s_or_b64 exec, exec, s[18:19]
	v_xor_b32_e32 v2, 0x80000000, v2
	v_xor_b32_e32 v3, 0x80000000, v3
.LBB152_223:
	s_or_b64 exec, exec, s[6:7]
	s_and_saveexec_b64 s[6:7], s[46:47]
; %bb.224:
	ds_write_b64 v5, v[2:3]
; %bb.225:
	s_or_b64 exec, exec, s[6:7]
	s_waitcnt lgkmcnt(0)
	s_barrier
	s_and_saveexec_b64 s[6:7], s[44:45]
	s_cbranch_execz .LBB152_227
; %bb.226:
	v_mov_b32_e32 v18, 0
	ds_read_b64 v[18:19], v18 offset:7288
	ds_read_b64 v[20:21], v5
	s_waitcnt lgkmcnt(0)
	v_mul_f32_e32 v22, v21, v19
	v_mul_f32_e32 v19, v20, v19
	v_fma_f32 v20, v20, v18, -v22
	v_fmac_f32_e32 v19, v21, v18
	v_add_f32_e32 v2, v2, v20
	v_add_f32_e32 v3, v3, v19
.LBB152_227:
	s_or_b64 exec, exec, s[6:7]
	s_barrier
	s_and_saveexec_b64 s[6:7], s[44:45]
; %bb.228:
	ds_write_b64 v5, v[2:3]
; %bb.229:
	s_or_b64 exec, exec, s[6:7]
	s_waitcnt lgkmcnt(0)
	s_barrier
	s_barrier
	s_and_saveexec_b64 s[6:7], s[22:23]
; %bb.230:
	v_xor_b32_e32 v3, 0x80000000, v3
	v_xor_b32_e32 v2, 0x80000000, v2
	ds_write_b64 v4, v[2:3] offset:6256
; %bb.231:
	s_or_b64 exec, exec, s[6:7]
	s_waitcnt lgkmcnt(0)
	s_barrier
	s_barrier
	s_and_saveexec_b64 s[6:7], s[48:49]
	s_cbranch_execz .LBB152_233
; %bb.232:
	v_lshlrev_b32_e32 v18, 3, v0
	s_movk_i32 s14, 0x1f8
	v_mad_u32_u24 v19, v0, s14, v18
	ds_read_b64 v[2:3], v19 offset:6256
	s_waitcnt lgkmcnt(0)
	ds_write_b64 v18, v[2:3] offset:7264
	ds_read_b64 v[2:3], v19 offset:6264
	s_waitcnt lgkmcnt(0)
	ds_write_b64 v18, v[2:3] offset:7776
.LBB152_233:
	s_or_b64 exec, exec, s[6:7]
	s_waitcnt lgkmcnt(0)
	s_barrier
	s_and_saveexec_b64 s[6:7], vcc
	s_cbranch_execz .LBB152_235
; %bb.234:
	v_mov_b32_e32 v20, 0
	ds_read_b64 v[2:3], v20 offset:7288
	s_mov_b64 s[14:15], 0x3f800000
	v_mov_b32_e32 v19, s15
	v_mov_b32_e32 v18, s14
	s_movk_i32 s14, 0x70
	ds_write_b64 v20, v[18:19] offset:7800
	v_add_u32_e64 v20, s14, 0
	s_waitcnt lgkmcnt(1)
	ds_write2st64_b64 v20, v[18:19], v[2:3] offset0:14 offset1:15
.LBB152_235:
	s_or_b64 exec, exec, s[6:7]
	v_lshrrev_b32_e32 v22, 4, v7
	v_and_b32_e32 v19, 15, v0
	s_movk_i32 s6, 0xff
	v_lshlrev_b32_e32 v21, 6, v22
	v_cmp_lt_u32_e64 s[18:19], s6, v7
	s_movk_i32 s6, 0x100
	v_or_b32_e32 v2, v21, v19
	v_cmp_gt_u32_e64 s[14:15], s6, v7
	v_lshlrev_b32_e32 v18, 3, v2
	v_mov_b32_e32 v3, 0
	v_mov_b32_e32 v2, 0
	s_waitcnt lgkmcnt(0)
	s_barrier
	s_and_saveexec_b64 s[6:7], s[14:15]
	s_cbranch_execz .LBB152_263
; %bb.236:
	v_mul_u32_u24_e32 v20, 0x208, v22
	ds_read_b64 v[2:3], v18 offset:128
	ds_read_b64 v[23:24], v20
	s_movk_i32 s20, 0xf0
	v_cmp_gt_u32_e64 s[20:21], s20, v7
	s_waitcnt lgkmcnt(0)
	v_mul_f32_e32 v25, v24, v3
	v_mul_f32_e32 v3, v23, v3
	v_fma_f32 v23, v23, v2, -v25
	v_fmac_f32_e32 v3, v24, v2
	v_add_f32_e32 v2, 0, v23
	v_add_f32_e32 v3, 0, v3
	s_and_saveexec_b64 s[24:25], s[20:21]
	s_cbranch_execz .LBB152_238
; %bb.237:
	v_lshlrev_b32_e32 v23, 3, v22
	v_sub_u32_e32 v23, v20, v23
	v_lshl_add_u32 v23, v19, 3, v23
	ds_read_b64 v[23:24], v23 offset:640
	ds_read_b64 v[25:26], v20 offset:8
	s_waitcnt lgkmcnt(0)
	v_mul_f32_e32 v27, v26, v24
	v_mul_f32_e32 v24, v25, v24
	v_fma_f32 v25, v25, v23, -v27
	v_fmac_f32_e32 v24, v26, v23
	v_add_f32_e32 v2, v2, v25
	v_add_f32_e32 v3, v3, v24
.LBB152_238:
	s_or_b64 exec, exec, s[24:25]
	s_movk_i32 s20, 0xe0
	v_cmp_gt_u32_e64 s[20:21], s20, v7
	s_and_saveexec_b64 s[24:25], s[20:21]
	s_cbranch_execz .LBB152_240
; %bb.239:
	v_lshlrev_b32_e32 v23, 3, v22
	v_sub_u32_e32 v23, v20, v23
	v_lshl_add_u32 v23, v19, 3, v23
	ds_read_b64 v[23:24], v23 offset:1152
	ds_read_b64 v[25:26], v20 offset:16
	s_waitcnt lgkmcnt(0)
	v_mul_f32_e32 v27, v26, v24
	v_mul_f32_e32 v24, v25, v24
	v_fma_f32 v25, v25, v23, -v27
	v_fmac_f32_e32 v24, v26, v23
	v_add_f32_e32 v2, v2, v25
	v_add_f32_e32 v3, v3, v24
.LBB152_240:
	s_or_b64 exec, exec, s[24:25]
	s_movk_i32 s20, 0xd0
	v_cmp_gt_u32_e64 s[20:21], s20, v7
	;; [unrolled: 19-line block ×7, first 2 shown]
	s_and_saveexec_b64 s[24:25], s[20:21]
	s_cbranch_execz .LBB152_252
; %bb.251:
	ds_read_b64 v[23:24], v18 offset:4224
	ds_read_b64 v[25:26], v20 offset:64
	s_waitcnt lgkmcnt(0)
	v_mul_f32_e32 v27, v26, v24
	v_mul_f32_e32 v24, v25, v24
	v_fma_f32 v25, v25, v23, -v27
	v_fmac_f32_e32 v24, v26, v23
	v_add_f32_e32 v2, v2, v25
	v_add_f32_e32 v3, v3, v24
.LBB152_252:
	s_or_b64 exec, exec, s[24:25]
	s_movk_i32 s20, 0x70
	v_cmp_gt_u32_e64 s[20:21], s20, v7
	s_and_saveexec_b64 s[24:25], s[20:21]
	s_cbranch_execz .LBB152_254
; %bb.253:
	v_lshlrev_b32_e32 v23, 3, v19
	v_lshl_add_u32 v23, v21, 3, v23
	ds_read_b64 v[23:24], v23 offset:4736
	ds_read_b64 v[25:26], v20 offset:72
	s_waitcnt lgkmcnt(0)
	v_mul_f32_e32 v27, v26, v24
	v_mul_f32_e32 v24, v25, v24
	v_fma_f32 v25, v25, v23, -v27
	v_fmac_f32_e32 v24, v26, v23
	v_add_f32_e32 v2, v2, v25
	v_add_f32_e32 v3, v3, v24
.LBB152_254:
	s_or_b64 exec, exec, s[24:25]
	s_movk_i32 s20, 0x60
	v_cmp_gt_u32_e64 s[20:21], s20, v7
	s_and_saveexec_b64 s[24:25], s[20:21]
	s_cbranch_execz .LBB152_256
; %bb.255:
	v_lshlrev_b32_e32 v23, 3, v19
	v_lshl_add_u32 v23, v21, 3, v23
	ds_read_b64 v[23:24], v23 offset:5248
	ds_read_b64 v[25:26], v20 offset:80
	s_waitcnt lgkmcnt(0)
	v_mul_f32_e32 v27, v26, v24
	v_mul_f32_e32 v24, v25, v24
	v_fma_f32 v25, v25, v23, -v27
	v_fmac_f32_e32 v24, v26, v23
	v_add_f32_e32 v2, v2, v25
	v_add_f32_e32 v3, v3, v24
.LBB152_256:
	s_or_b64 exec, exec, s[24:25]
	s_movk_i32 s20, 0x50
	v_cmp_gt_u32_e64 s[20:21], s20, v7
	s_and_saveexec_b64 s[24:25], s[20:21]
	s_cbranch_execnz .LBB152_1060
; %bb.257:
	s_or_b64 exec, exec, s[24:25]
	v_cmp_gt_u32_e64 s[20:21], 64, v7
	s_and_saveexec_b64 s[24:25], s[20:21]
	s_cbranch_execnz .LBB152_1061
.LBB152_258:
	s_or_b64 exec, exec, s[24:25]
	v_cmp_gt_u32_e64 s[20:21], 48, v7
	s_and_saveexec_b64 s[24:25], s[20:21]
	s_cbranch_execnz .LBB152_1062
.LBB152_259:
	s_or_b64 exec, exec, s[24:25]
	v_cmp_gt_u32_e64 s[20:21], 32, v7
	s_and_saveexec_b64 s[24:25], s[20:21]
	s_cbranch_execnz .LBB152_1063
.LBB152_260:
	s_or_b64 exec, exec, s[24:25]
	v_cmp_gt_u32_e64 s[20:21], 16, v7
	s_and_saveexec_b64 s[24:25], s[20:21]
	s_cbranch_execz .LBB152_262
.LBB152_261:
	v_lshlrev_b32_e32 v20, 3, v0
	v_mov_b32_e32 v25, 0
	ds_read_b64 v[23:24], v20 offset:7808
	ds_read_b64 v[25:26], v25 offset:120
	s_waitcnt lgkmcnt(0)
	v_mul_f32_e32 v20, v26, v24
	v_mul_f32_e32 v24, v25, v24
	v_fma_f32 v20, v25, v23, -v20
	v_fmac_f32_e32 v24, v26, v23
	v_add_f32_e32 v2, v2, v20
	v_add_f32_e32 v3, v3, v24
.LBB152_262:
	s_or_b64 exec, exec, s[24:25]
	v_xor_b32_e32 v2, 0x80000000, v2
	v_xor_b32_e32 v3, 0x80000000, v3
.LBB152_263:
	s_or_b64 exec, exec, s[6:7]
	v_mov_b32_e32 v20, 0x8000
	v_lshl_add_u32 v20, v22, 3, v20
	v_cmp_eq_u32_e64 s[20:21], 0, v19
	s_xor_b64 s[6:7], s[18:19], -1
	s_and_b64 s[20:21], s[20:21], s[6:7]
	s_mov_b64 s[18:19], exec
	v_writelane_b32 v34, s20, 4
	v_writelane_b32 v34, s21, 5
	s_and_b64 s[20:21], s[18:19], s[20:21]
	s_mov_b64 exec, s[20:21]
; %bb.264:
	ds_write_b64 v20, v[2:3]
; %bb.265:
	s_or_b64 exec, exec, s[18:19]
	v_cmp_ne_u32_e64 s[18:19], 0, v19
	s_waitcnt lgkmcnt(0)
	s_barrier
	s_and_b64 s[20:21], s[18:19], s[6:7]
	s_mov_b64 s[18:19], exec
	v_writelane_b32 v34, s20, 6
	v_writelane_b32 v34, s21, 7
	s_and_b64 s[20:21], s[18:19], s[20:21]
	s_mov_b64 exec, s[20:21]
	s_cbranch_execz .LBB152_267
; %bb.266:
	v_lshlrev_b32_e32 v23, 3, v19
	ds_read_b64 v[23:24], v23 offset:8320
	ds_read_b64 v[25:26], v20
	s_waitcnt lgkmcnt(0)
	v_mul_f32_e32 v27, v26, v24
	v_mul_f32_e32 v24, v25, v24
	v_fma_f32 v25, v25, v23, -v27
	v_fmac_f32_e32 v24, v26, v23
	v_add_f32_e32 v2, v2, v25
	v_add_f32_e32 v3, v3, v24
.LBB152_267:
	s_or_b64 exec, exec, s[18:19]
	v_cmp_eq_u32_e64 s[18:19], 1, v19
	s_barrier
	s_and_b64 s[20:21], s[18:19], s[6:7]
	s_mov_b64 s[18:19], exec
	v_writelane_b32 v34, s20, 8
	v_writelane_b32 v34, s21, 9
	s_and_b64 s[20:21], s[18:19], s[20:21]
	s_mov_b64 exec, s[20:21]
; %bb.268:
	ds_write_b64 v20, v[2:3]
; %bb.269:
	s_or_b64 exec, exec, s[18:19]
	v_cmp_lt_u32_e64 s[18:19], 1, v19
	s_waitcnt lgkmcnt(0)
	s_barrier
	s_and_b64 s[20:21], s[18:19], s[6:7]
	s_mov_b64 s[18:19], exec
	v_writelane_b32 v34, s20, 10
	v_writelane_b32 v34, s21, 11
	s_and_b64 s[20:21], s[18:19], s[20:21]
	s_mov_b64 exec, s[20:21]
	s_cbranch_execz .LBB152_271
; %bb.270:
	v_lshlrev_b32_e32 v23, 3, v19
	ds_read_b64 v[23:24], v23 offset:8832
	ds_read_b64 v[25:26], v20
	s_waitcnt lgkmcnt(0)
	v_mul_f32_e32 v27, v26, v24
	v_mul_f32_e32 v24, v25, v24
	v_fma_f32 v25, v25, v23, -v27
	v_fmac_f32_e32 v24, v26, v23
	v_add_f32_e32 v2, v2, v25
	v_add_f32_e32 v3, v3, v24
.LBB152_271:
	s_or_b64 exec, exec, s[18:19]
	v_cmp_eq_u32_e64 s[18:19], 2, v19
	s_barrier
	s_and_b64 s[20:21], s[18:19], s[6:7]
	s_mov_b64 s[18:19], exec
	v_writelane_b32 v34, s20, 12
	v_writelane_b32 v34, s21, 13
	s_and_b64 s[20:21], s[18:19], s[20:21]
	s_mov_b64 exec, s[20:21]
; %bb.272:
	ds_write_b64 v20, v[2:3]
; %bb.273:
	s_or_b64 exec, exec, s[18:19]
	v_cmp_lt_u32_e64 s[18:19], 2, v19
	;; [unrolled: 35-line block ×13, first 2 shown]
	s_waitcnt lgkmcnt(0)
	s_barrier
	s_and_b64 s[20:21], s[18:19], s[6:7]
	s_mov_b64 s[18:19], exec
	v_writelane_b32 v34, s20, 58
	v_writelane_b32 v34, s21, 59
	s_and_b64 s[20:21], s[18:19], s[20:21]
	s_mov_b64 exec, s[20:21]
	s_cbranch_execz .LBB152_319
; %bb.318:
	v_lshlrev_b32_e32 v23, 3, v19
	ds_read_b64 v[23:24], v23 offset:14976
	ds_read_b64 v[25:26], v20
	s_waitcnt lgkmcnt(0)
	v_mul_f32_e32 v27, v26, v24
	v_mul_f32_e32 v24, v25, v24
	v_fma_f32 v25, v25, v23, -v27
	v_fmac_f32_e32 v24, v26, v23
	v_add_f32_e32 v2, v2, v25
	v_add_f32_e32 v3, v3, v24
.LBB152_319:
	s_or_b64 exec, exec, s[18:19]
	v_cmp_eq_u32_e64 s[18:19], 14, v19
	s_barrier
	s_and_b64 s[20:21], s[18:19], s[6:7]
	s_mov_b64 s[18:19], exec
	v_writelane_b32 v34, s20, 60
	v_writelane_b32 v34, s21, 61
	s_and_b64 s[20:21], s[18:19], s[20:21]
	s_mov_b64 exec, s[20:21]
; %bb.320:
	ds_write_b64 v20, v[2:3]
; %bb.321:
	s_or_b64 exec, exec, s[18:19]
	v_cmp_eq_u32_e64 s[18:19], 15, v19
	s_and_b64 s[6:7], s[18:19], s[6:7]
	s_waitcnt lgkmcnt(0)
	s_barrier
	s_and_saveexec_b64 s[18:19], s[6:7]
	s_cbranch_execz .LBB152_323
; %bb.322:
	v_mov_b32_e32 v23, 0
	ds_read_b64 v[23:24], v23 offset:15608
	ds_read_b64 v[25:26], v20
	s_waitcnt lgkmcnt(0)
	v_mul_f32_e32 v27, v26, v24
	v_mul_f32_e32 v24, v25, v24
	v_fma_f32 v25, v25, v23, -v27
	v_fmac_f32_e32 v24, v26, v23
	v_add_f32_e32 v2, v2, v25
	v_add_f32_e32 v3, v3, v24
.LBB152_323:
	s_or_b64 exec, exec, s[18:19]
	s_barrier
	s_and_saveexec_b64 s[18:19], s[6:7]
; %bb.324:
	ds_write_b64 v20, v[2:3]
; %bb.325:
	s_or_b64 exec, exec, s[18:19]
	s_waitcnt lgkmcnt(0)
	s_barrier
	s_barrier
	s_and_saveexec_b64 s[18:19], s[14:15]
; %bb.326:
	v_xor_b32_e32 v2, 0x80000000, v2
	v_xor_b32_e32 v3, 0x80000000, v3
	ds_write_b64 v18, v[2:3] offset:128
; %bb.327:
	s_or_b64 exec, exec, s[18:19]
	v_cmp_gt_u32_e64 s[18:19], 16, v0
	s_waitcnt lgkmcnt(0)
	s_barrier
	s_barrier
	s_and_b64 s[20:21], s[16:17], s[18:19]
	s_mov_b64 s[18:19], exec
	v_writelane_b32 v34, s20, 62
	v_writelane_b32 v34, s21, 63
	s_and_b64 s[20:21], s[18:19], s[20:21]
	s_mov_b64 exec, s[20:21]
	s_cbranch_execz .LBB152_329
; %bb.328:
	v_lshlrev_b32_e32 v23, 9, v0
	ds_read_b64 v[2:3], v23 offset:128
	s_movk_i32 s20, 0xfe08
	v_mad_i32_i24 v24, v0, s20, v23
	s_waitcnt lgkmcnt(0)
	ds_write_b64 v24, v[2:3] offset:8192
	ds_read_b64 v[2:3], v23 offset:136
	s_waitcnt lgkmcnt(0)
	ds_write_b64 v24, v[2:3] offset:8704
	ds_read_b64 v[2:3], v23 offset:144
	;; [unrolled: 3-line block ×15, first 2 shown]
	s_waitcnt lgkmcnt(0)
	ds_write_b64 v24, v[2:3] offset:15872
.LBB152_329:
	s_or_b64 exec, exec, s[18:19]
	s_waitcnt lgkmcnt(0)
	s_barrier
	s_and_saveexec_b64 s[18:19], vcc
	s_cbranch_execz .LBB152_331
; %bb.330:
	v_mov_b32_e32 v25, 0
	ds_read_b64 v[2:3], v25 offset:8328
	s_mov_b64 s[20:21], 0x3f800000
	v_mov_b32_e32 v24, s21
	v_mov_b32_e32 v23, s20
	s_movk_i32 s20, 0x80
	ds_write_b64 v25, v[23:24] offset:8840
	v_add_u32_e64 v25, s20, 0
	s_waitcnt lgkmcnt(1)
	ds_write2st64_b64 v25, v[23:24], v[2:3] offset0:16 offset1:17
.LBB152_331:
	s_or_b64 exec, exec, s[18:19]
	v_mov_b32_e32 v3, 0
	v_mov_b32_e32 v2, 0
	s_waitcnt lgkmcnt(0)
	s_barrier
	s_and_saveexec_b64 s[20:21], s[22:23]
	s_cbranch_execz .LBB152_335
; %bb.332:
	v_mul_u32_u24_e32 v23, 0x208, v6
	ds_read_b64 v[2:3], v4 offset:8336
	ds_read_b64 v[23:24], v23 offset:8320
	v_cmp_gt_u32_e64 s[18:19], 2, v7
	s_waitcnt lgkmcnt(0)
	v_mul_f32_e32 v25, v24, v3
	v_mul_f32_e32 v3, v23, v3
	v_fma_f32 v23, v23, v2, -v25
	v_fmac_f32_e32 v3, v24, v2
	v_add_f32_e32 v2, 0, v23
	v_add_f32_e32 v3, 0, v3
	s_and_saveexec_b64 s[24:25], s[18:19]
	s_cbranch_execz .LBB152_334
; %bb.333:
	v_lshlrev_b32_e32 v23, 3, v0
	v_mov_b32_e32 v25, 0
	ds_read_b64 v[23:24], v23 offset:8848
	ds_read_b64 v[25:26], v25 offset:8328
	s_waitcnt lgkmcnt(0)
	v_mul_f32_e32 v27, v26, v24
	v_mul_f32_e32 v24, v25, v24
	v_fma_f32 v25, v25, v23, -v27
	v_fmac_f32_e32 v24, v26, v23
	v_add_f32_e32 v2, v2, v25
	v_add_f32_e32 v3, v3, v24
.LBB152_334:
	s_or_b64 exec, exec, s[24:25]
	v_xor_b32_e32 v2, 0x80000000, v2
	v_xor_b32_e32 v3, 0x80000000, v3
.LBB152_335:
	s_or_b64 exec, exec, s[20:21]
	s_and_saveexec_b64 s[18:19], s[46:47]
; %bb.336:
	ds_write_b64 v5, v[2:3]
; %bb.337:
	s_or_b64 exec, exec, s[18:19]
	s_waitcnt lgkmcnt(0)
	s_barrier
	s_and_saveexec_b64 s[18:19], s[44:45]
	s_cbranch_execz .LBB152_339
; %bb.338:
	v_mov_b32_e32 v23, 0
	ds_read_b64 v[23:24], v23 offset:9368
	ds_read_b64 v[25:26], v5
	s_waitcnt lgkmcnt(0)
	v_mul_f32_e32 v27, v26, v24
	v_mul_f32_e32 v24, v25, v24
	v_fma_f32 v25, v25, v23, -v27
	v_fmac_f32_e32 v24, v26, v23
	v_add_f32_e32 v2, v2, v25
	v_add_f32_e32 v3, v3, v24
.LBB152_339:
	s_or_b64 exec, exec, s[18:19]
	s_barrier
	s_and_saveexec_b64 s[18:19], s[44:45]
; %bb.340:
	ds_write_b64 v5, v[2:3]
; %bb.341:
	s_or_b64 exec, exec, s[18:19]
	s_waitcnt lgkmcnt(0)
	s_barrier
	s_barrier
	s_and_saveexec_b64 s[18:19], s[22:23]
; %bb.342:
	v_xor_b32_e32 v3, 0x80000000, v3
	v_xor_b32_e32 v2, 0x80000000, v2
	ds_write_b64 v4, v[2:3] offset:8336
; %bb.343:
	s_or_b64 exec, exec, s[18:19]
	s_waitcnt lgkmcnt(0)
	s_barrier
	s_barrier
	s_and_saveexec_b64 s[18:19], s[48:49]
	s_cbranch_execz .LBB152_345
; %bb.344:
	v_lshlrev_b32_e32 v23, 3, v0
	s_movk_i32 s20, 0x1f8
	v_mad_u32_u24 v24, v0, s20, v23
	ds_read_b64 v[2:3], v24 offset:8336
	s_waitcnt lgkmcnt(0)
	ds_write_b64 v23, v[2:3] offset:9344
	ds_read_b64 v[2:3], v24 offset:8344
	s_waitcnt lgkmcnt(0)
	ds_write_b64 v23, v[2:3] offset:9856
.LBB152_345:
	s_or_b64 exec, exec, s[18:19]
	s_waitcnt lgkmcnt(0)
	s_barrier
	s_and_saveexec_b64 s[18:19], vcc
	s_cbranch_execz .LBB152_347
; %bb.346:
	v_mov_b32_e32 v25, 0
	ds_read_b64 v[2:3], v25 offset:9368
	s_mov_b64 s[20:21], 0x3f800000
	v_mov_b32_e32 v24, s21
	v_mov_b32_e32 v23, s20
	s_movk_i32 s20, 0x90
	ds_write_b64 v25, v[23:24] offset:9880
	v_add_u32_e64 v25, s20, 0
	s_waitcnt lgkmcnt(1)
	ds_write2st64_b64 v25, v[23:24], v[2:3] offset0:18 offset1:19
.LBB152_347:
	s_or_b64 exec, exec, s[18:19]
	v_mov_b32_e32 v3, 0
	v_mov_b32_e32 v2, 0
	s_waitcnt lgkmcnt(0)
	s_barrier
	s_and_saveexec_b64 s[20:21], s[10:11]
	s_cbranch_execz .LBB152_353
; %bb.348:
	v_mul_u32_u24_e32 v23, 0x208, v12
	ds_read_b64 v[2:3], v8 offset:8352
	ds_read_b64 v[24:25], v23 offset:8320
	v_cmp_gt_u32_e64 s[18:19], 12, v7
	s_waitcnt lgkmcnt(0)
	v_mul_f32_e32 v26, v25, v3
	v_mul_f32_e32 v3, v24, v3
	v_fma_f32 v24, v24, v2, -v26
	v_fmac_f32_e32 v3, v25, v2
	v_add_f32_e32 v2, 0, v24
	v_add_f32_e32 v3, 0, v3
	s_and_saveexec_b64 s[24:25], s[18:19]
	s_cbranch_execnz .LBB152_1064
; %bb.349:
	s_or_b64 exec, exec, s[24:25]
	v_cmp_gt_u32_e64 s[18:19], 8, v7
	s_and_saveexec_b64 s[24:25], s[18:19]
	s_cbranch_execnz .LBB152_1065
.LBB152_350:
	s_or_b64 exec, exec, s[24:25]
	v_cmp_gt_u32_e64 s[18:19], 4, v7
	s_and_saveexec_b64 s[24:25], s[18:19]
	s_cbranch_execz .LBB152_352
.LBB152_351:
	v_lshlrev_b32_e32 v23, 3, v0
	v_mov_b32_e32 v25, 0
	ds_read_b64 v[23:24], v23 offset:9888
	ds_read_b64 v[25:26], v25 offset:8344
	s_waitcnt lgkmcnt(0)
	v_mul_f32_e32 v27, v26, v24
	v_mul_f32_e32 v24, v25, v24
	v_fma_f32 v25, v25, v23, -v27
	v_fmac_f32_e32 v24, v26, v23
	v_add_f32_e32 v2, v2, v25
	v_add_f32_e32 v3, v3, v24
.LBB152_352:
	s_or_b64 exec, exec, s[24:25]
	v_xor_b32_e32 v2, 0x80000000, v2
	v_xor_b32_e32 v3, 0x80000000, v3
.LBB152_353:
	s_or_b64 exec, exec, s[20:21]
	s_and_saveexec_b64 s[18:19], s[52:53]
; %bb.354:
	ds_write_b64 v10, v[2:3]
; %bb.355:
	s_or_b64 exec, exec, s[18:19]
	s_waitcnt lgkmcnt(0)
	s_barrier
	s_and_saveexec_b64 s[18:19], s[54:55]
	s_cbranch_execz .LBB152_357
; %bb.356:
	ds_read_b64 v[23:24], v9 offset:10400
	ds_read_b64 v[25:26], v10
	s_waitcnt lgkmcnt(0)
	v_mul_f32_e32 v27, v26, v24
	v_mul_f32_e32 v24, v25, v24
	v_fma_f32 v25, v25, v23, -v27
	v_fmac_f32_e32 v24, v26, v23
	v_add_f32_e32 v2, v2, v25
	v_add_f32_e32 v3, v3, v24
.LBB152_357:
	s_or_b64 exec, exec, s[18:19]
	s_barrier
	s_and_saveexec_b64 s[18:19], s[56:57]
; %bb.358:
	ds_write_b64 v10, v[2:3]
; %bb.359:
	s_or_b64 exec, exec, s[18:19]
	s_waitcnt lgkmcnt(0)
	s_barrier
	s_and_saveexec_b64 s[18:19], s[58:59]
	s_cbranch_execz .LBB152_361
; %bb.360:
	ds_read_b64 v[23:24], v9 offset:10912
	ds_read_b64 v[25:26], v10
	s_waitcnt lgkmcnt(0)
	v_mul_f32_e32 v27, v26, v24
	v_mul_f32_e32 v24, v25, v24
	v_fma_f32 v25, v25, v23, -v27
	v_fmac_f32_e32 v24, v26, v23
	v_add_f32_e32 v2, v2, v25
	v_add_f32_e32 v3, v3, v24
.LBB152_361:
	s_or_b64 exec, exec, s[18:19]
	s_barrier
	s_and_saveexec_b64 s[18:19], s[60:61]
; %bb.362:
	ds_write_b64 v10, v[2:3]
; %bb.363:
	s_or_b64 exec, exec, s[18:19]
	s_waitcnt lgkmcnt(0)
	s_barrier
	s_and_saveexec_b64 s[18:19], s[50:51]
	s_cbranch_execz .LBB152_365
; %bb.364:
	v_mov_b32_e32 v23, 0
	ds_read_b64 v[23:24], v23 offset:11448
	ds_read_b64 v[25:26], v10
	s_waitcnt lgkmcnt(0)
	v_mul_f32_e32 v27, v26, v24
	v_mul_f32_e32 v24, v25, v24
	v_fma_f32 v25, v25, v23, -v27
	v_fmac_f32_e32 v24, v26, v23
	v_add_f32_e32 v2, v2, v25
	v_add_f32_e32 v3, v3, v24
.LBB152_365:
	s_or_b64 exec, exec, s[18:19]
	s_barrier
	s_and_saveexec_b64 s[18:19], s[50:51]
; %bb.366:
	ds_write_b64 v10, v[2:3]
; %bb.367:
	s_or_b64 exec, exec, s[18:19]
	s_waitcnt lgkmcnt(0)
	s_barrier
	s_barrier
	s_and_saveexec_b64 s[18:19], s[10:11]
; %bb.368:
	v_xor_b32_e32 v2, 0x80000000, v2
	v_xor_b32_e32 v3, 0x80000000, v3
	ds_write_b64 v8, v[2:3] offset:8352
; %bb.369:
	s_or_b64 exec, exec, s[18:19]
	s_waitcnt lgkmcnt(0)
	s_barrier
	s_barrier
	s_and_saveexec_b64 s[18:19], s[62:63]
	s_cbranch_execz .LBB152_371
; %bb.370:
	v_lshlrev_b32_e32 v23, 9, v0
	ds_read_b64 v[2:3], v23 offset:8352
	s_movk_i32 s20, 0xfe08
	v_mad_i32_i24 v24, v0, s20, v23
	s_waitcnt lgkmcnt(0)
	ds_write_b64 v24, v[2:3] offset:10368
	ds_read_b64 v[2:3], v23 offset:8360
	s_waitcnt lgkmcnt(0)
	ds_write_b64 v24, v[2:3] offset:10880
	ds_read_b64 v[2:3], v23 offset:8368
	;; [unrolled: 3-line block ×3, first 2 shown]
	s_waitcnt lgkmcnt(0)
	ds_write_b64 v24, v[2:3] offset:11904
.LBB152_371:
	s_or_b64 exec, exec, s[18:19]
	s_waitcnt lgkmcnt(0)
	s_barrier
	s_and_saveexec_b64 s[18:19], vcc
	s_cbranch_execz .LBB152_373
; %bb.372:
	v_mov_b32_e32 v25, 0
	ds_read_b64 v[2:3], v25 offset:10408
	s_mov_b64 s[20:21], 0x3f800000
	v_mov_b32_e32 v24, s21
	v_mov_b32_e32 v23, s20
	s_movk_i32 s20, 0xa0
	ds_write_b64 v25, v[23:24] offset:10920
	v_add_u32_e64 v25, s20, 0
	s_waitcnt lgkmcnt(1)
	ds_write2st64_b64 v25, v[23:24], v[2:3] offset0:20 offset1:21
.LBB152_373:
	s_or_b64 exec, exec, s[18:19]
	v_mov_b32_e32 v3, 0
	v_mov_b32_e32 v2, 0
	s_waitcnt lgkmcnt(0)
	s_barrier
	s_and_saveexec_b64 s[20:21], s[22:23]
	s_cbranch_execz .LBB152_377
; %bb.374:
	v_mul_u32_u24_e32 v23, 0x208, v6
	ds_read_b64 v[2:3], v4 offset:10416
	ds_read_b64 v[23:24], v23 offset:10400
	v_cmp_gt_u32_e64 s[18:19], 2, v7
	s_waitcnt lgkmcnt(0)
	v_mul_f32_e32 v25, v24, v3
	v_mul_f32_e32 v3, v23, v3
	v_fma_f32 v23, v23, v2, -v25
	v_fmac_f32_e32 v3, v24, v2
	v_add_f32_e32 v2, 0, v23
	v_add_f32_e32 v3, 0, v3
	s_and_saveexec_b64 s[24:25], s[18:19]
	s_cbranch_execz .LBB152_376
; %bb.375:
	v_lshlrev_b32_e32 v23, 3, v0
	v_mov_b32_e32 v25, 0
	ds_read_b64 v[23:24], v23 offset:10928
	ds_read_b64 v[25:26], v25 offset:10408
	s_waitcnt lgkmcnt(0)
	v_mul_f32_e32 v27, v26, v24
	v_mul_f32_e32 v24, v25, v24
	v_fma_f32 v25, v25, v23, -v27
	v_fmac_f32_e32 v24, v26, v23
	v_add_f32_e32 v2, v2, v25
	v_add_f32_e32 v3, v3, v24
.LBB152_376:
	s_or_b64 exec, exec, s[24:25]
	v_xor_b32_e32 v2, 0x80000000, v2
	v_xor_b32_e32 v3, 0x80000000, v3
.LBB152_377:
	s_or_b64 exec, exec, s[20:21]
	s_and_saveexec_b64 s[18:19], s[46:47]
; %bb.378:
	ds_write_b64 v5, v[2:3]
; %bb.379:
	s_or_b64 exec, exec, s[18:19]
	s_waitcnt lgkmcnt(0)
	s_barrier
	s_and_saveexec_b64 s[18:19], s[44:45]
	s_cbranch_execz .LBB152_381
; %bb.380:
	v_mov_b32_e32 v23, 0
	ds_read_b64 v[23:24], v23 offset:11448
	ds_read_b64 v[25:26], v5
	s_waitcnt lgkmcnt(0)
	v_mul_f32_e32 v27, v26, v24
	v_mul_f32_e32 v24, v25, v24
	v_fma_f32 v25, v25, v23, -v27
	v_fmac_f32_e32 v24, v26, v23
	v_add_f32_e32 v2, v2, v25
	v_add_f32_e32 v3, v3, v24
.LBB152_381:
	s_or_b64 exec, exec, s[18:19]
	s_barrier
	s_and_saveexec_b64 s[18:19], s[44:45]
; %bb.382:
	ds_write_b64 v5, v[2:3]
; %bb.383:
	s_or_b64 exec, exec, s[18:19]
	s_waitcnt lgkmcnt(0)
	s_barrier
	s_barrier
	s_and_saveexec_b64 s[18:19], s[22:23]
; %bb.384:
	v_xor_b32_e32 v3, 0x80000000, v3
	v_xor_b32_e32 v2, 0x80000000, v2
	ds_write_b64 v4, v[2:3] offset:10416
; %bb.385:
	s_or_b64 exec, exec, s[18:19]
	s_waitcnt lgkmcnt(0)
	s_barrier
	s_barrier
	s_and_saveexec_b64 s[18:19], s[48:49]
	s_cbranch_execz .LBB152_387
; %bb.386:
	v_lshlrev_b32_e32 v23, 3, v0
	s_movk_i32 s20, 0x1f8
	v_mad_u32_u24 v24, v0, s20, v23
	ds_read_b64 v[2:3], v24 offset:10416
	s_waitcnt lgkmcnt(0)
	ds_write_b64 v23, v[2:3] offset:11424
	ds_read_b64 v[2:3], v24 offset:10424
	s_waitcnt lgkmcnt(0)
	ds_write_b64 v23, v[2:3] offset:11936
.LBB152_387:
	s_or_b64 exec, exec, s[18:19]
	s_waitcnt lgkmcnt(0)
	s_barrier
	s_and_saveexec_b64 s[18:19], vcc
	s_cbranch_execz .LBB152_389
; %bb.388:
	v_mov_b32_e32 v25, 0
	ds_read_b64 v[2:3], v25 offset:11448
	s_mov_b64 s[20:21], 0x3f800000
	v_mov_b32_e32 v24, s21
	v_mov_b32_e32 v23, s20
	s_movk_i32 s20, 0xb0
	ds_write_b64 v25, v[23:24] offset:11960
	v_add_u32_e64 v25, s20, 0
	s_waitcnt lgkmcnt(1)
	ds_write2st64_b64 v25, v[23:24], v[2:3] offset0:22 offset1:23
.LBB152_389:
	s_or_b64 exec, exec, s[18:19]
	v_mov_b32_e32 v3, 0
	v_mov_b32_e32 v2, 0
	s_waitcnt lgkmcnt(0)
	s_barrier
	s_and_saveexec_b64 s[20:21], s[12:13]
	s_cbranch_execz .LBB152_399
; %bb.390:
	v_mul_u32_u24_e32 v23, 0x208, v17
	ds_read_b64 v[2:3], v13 offset:8384
	ds_read_b64 v[24:25], v23 offset:8320
	v_cmp_gt_u32_e64 s[18:19], 56, v7
	s_waitcnt lgkmcnt(0)
	v_mul_f32_e32 v26, v25, v3
	v_mul_f32_e32 v3, v24, v3
	v_fma_f32 v24, v24, v2, -v26
	v_fmac_f32_e32 v3, v25, v2
	v_add_f32_e32 v2, 0, v24
	v_add_f32_e32 v3, 0, v3
	s_and_saveexec_b64 s[24:25], s[18:19]
	s_cbranch_execnz .LBB152_1066
; %bb.391:
	s_or_b64 exec, exec, s[24:25]
	v_cmp_gt_u32_e64 s[18:19], 48, v7
	s_and_saveexec_b64 s[24:25], s[18:19]
	s_cbranch_execnz .LBB152_1067
.LBB152_392:
	s_or_b64 exec, exec, s[24:25]
	v_cmp_gt_u32_e64 s[18:19], 40, v7
	s_and_saveexec_b64 s[24:25], s[18:19]
	s_cbranch_execnz .LBB152_1068
.LBB152_393:
	s_or_b64 exec, exec, s[24:25]
	v_cmp_gt_u32_e64 s[18:19], 32, v7
	s_and_saveexec_b64 s[24:25], s[18:19]
	s_cbranch_execnz .LBB152_1069
.LBB152_394:
	s_or_b64 exec, exec, s[24:25]
	v_cmp_gt_u32_e64 s[18:19], 24, v7
	s_and_saveexec_b64 s[24:25], s[18:19]
	s_cbranch_execnz .LBB152_1070
.LBB152_395:
	s_or_b64 exec, exec, s[24:25]
	v_cmp_gt_u32_e64 s[18:19], 16, v7
	s_and_saveexec_b64 s[24:25], s[18:19]
	s_cbranch_execnz .LBB152_1071
.LBB152_396:
	s_or_b64 exec, exec, s[24:25]
	v_cmp_gt_u32_e64 s[18:19], 8, v7
	s_and_saveexec_b64 s[24:25], s[18:19]
	s_cbranch_execz .LBB152_398
.LBB152_397:
	v_lshlrev_b32_e32 v23, 3, v0
	v_mov_b32_e32 v25, 0
	ds_read_b64 v[23:24], v23 offset:11968
	ds_read_b64 v[25:26], v25 offset:8376
	s_waitcnt lgkmcnt(0)
	v_mul_f32_e32 v27, v26, v24
	v_mul_f32_e32 v24, v25, v24
	v_fma_f32 v25, v25, v23, -v27
	v_fmac_f32_e32 v24, v26, v23
	v_add_f32_e32 v2, v2, v25
	v_add_f32_e32 v3, v3, v24
.LBB152_398:
	s_or_b64 exec, exec, s[24:25]
	v_xor_b32_e32 v2, 0x80000000, v2
	v_xor_b32_e32 v3, 0x80000000, v3
.LBB152_399:
	s_or_b64 exec, exec, s[20:21]
	s_and_saveexec_b64 s[18:19], s[66:67]
; %bb.400:
	ds_write_b64 v15, v[2:3]
; %bb.401:
	s_or_b64 exec, exec, s[18:19]
	s_waitcnt lgkmcnt(0)
	s_barrier
	s_and_saveexec_b64 s[18:19], s[68:69]
	s_cbranch_execz .LBB152_403
; %bb.402:
	ds_read_b64 v[23:24], v14 offset:12480
	ds_read_b64 v[25:26], v15
	s_waitcnt lgkmcnt(0)
	v_mul_f32_e32 v27, v26, v24
	v_mul_f32_e32 v24, v25, v24
	v_fma_f32 v25, v25, v23, -v27
	v_fmac_f32_e32 v24, v26, v23
	v_add_f32_e32 v2, v2, v25
	v_add_f32_e32 v3, v3, v24
.LBB152_403:
	s_or_b64 exec, exec, s[18:19]
	s_barrier
	s_and_saveexec_b64 s[18:19], s[70:71]
; %bb.404:
	ds_write_b64 v15, v[2:3]
; %bb.405:
	s_or_b64 exec, exec, s[18:19]
	s_waitcnt lgkmcnt(0)
	s_barrier
	s_and_saveexec_b64 s[18:19], s[72:73]
	s_cbranch_execz .LBB152_407
; %bb.406:
	ds_read_b64 v[23:24], v14 offset:12992
	ds_read_b64 v[25:26], v15
	s_waitcnt lgkmcnt(0)
	v_mul_f32_e32 v27, v26, v24
	v_mul_f32_e32 v24, v25, v24
	v_fma_f32 v25, v25, v23, -v27
	v_fmac_f32_e32 v24, v26, v23
	v_add_f32_e32 v2, v2, v25
	v_add_f32_e32 v3, v3, v24
.LBB152_407:
	s_or_b64 exec, exec, s[18:19]
	s_barrier
	;; [unrolled: 22-line block ×6, first 2 shown]
	s_and_saveexec_b64 s[18:19], s[90:91]
; %bb.424:
	ds_write_b64 v15, v[2:3]
; %bb.425:
	s_or_b64 exec, exec, s[18:19]
	s_waitcnt lgkmcnt(0)
	s_barrier
	s_and_saveexec_b64 s[18:19], s[64:65]
	s_cbranch_execz .LBB152_427
; %bb.426:
	v_mov_b32_e32 v23, 0
	ds_read_b64 v[23:24], v23 offset:15608
	ds_read_b64 v[25:26], v15
	s_waitcnt lgkmcnt(0)
	v_mul_f32_e32 v27, v26, v24
	v_mul_f32_e32 v24, v25, v24
	v_fma_f32 v25, v25, v23, -v27
	v_fmac_f32_e32 v24, v26, v23
	v_add_f32_e32 v2, v2, v25
	v_add_f32_e32 v3, v3, v24
.LBB152_427:
	s_or_b64 exec, exec, s[18:19]
	s_barrier
	s_and_saveexec_b64 s[18:19], s[64:65]
; %bb.428:
	ds_write_b64 v15, v[2:3]
; %bb.429:
	s_or_b64 exec, exec, s[18:19]
	s_waitcnt lgkmcnt(0)
	s_barrier
	s_barrier
	s_and_saveexec_b64 s[18:19], s[12:13]
; %bb.430:
	v_xor_b32_e32 v3, 0x80000000, v3
	v_xor_b32_e32 v2, 0x80000000, v2
	ds_write_b64 v13, v[2:3] offset:8384
; %bb.431:
	s_or_b64 exec, exec, s[18:19]
	s_waitcnt lgkmcnt(0)
	s_barrier
	s_barrier
	s_and_saveexec_b64 s[18:19], s[92:93]
	s_cbranch_execz .LBB152_433
; %bb.432:
	v_lshlrev_b32_e32 v23, 9, v0
	ds_read_b64 v[2:3], v23 offset:8384
	s_movk_i32 s20, 0xfe08
	v_mad_i32_i24 v24, v0, s20, v23
	s_waitcnt lgkmcnt(0)
	ds_write_b64 v24, v[2:3] offset:12416
	ds_read_b64 v[2:3], v23 offset:8392
	s_waitcnt lgkmcnt(0)
	ds_write_b64 v24, v[2:3] offset:12928
	ds_read_b64 v[2:3], v23 offset:8400
	;; [unrolled: 3-line block ×7, first 2 shown]
	s_waitcnt lgkmcnt(0)
	ds_write_b64 v24, v[2:3] offset:16000
.LBB152_433:
	s_or_b64 exec, exec, s[18:19]
	s_waitcnt lgkmcnt(0)
	s_barrier
	s_and_saveexec_b64 s[18:19], vcc
	s_cbranch_execz .LBB152_435
; %bb.434:
	v_mov_b32_e32 v25, 0
	ds_read_b64 v[2:3], v25 offset:12488
	s_mov_b64 s[20:21], 0x3f800000
	v_mov_b32_e32 v24, s21
	v_mov_b32_e32 v23, s20
	s_movk_i32 s20, 0xc0
	ds_write_b64 v25, v[23:24] offset:13000
	v_add_u32_e64 v25, s20, 0
	s_waitcnt lgkmcnt(1)
	ds_write2st64_b64 v25, v[23:24], v[2:3] offset0:24 offset1:25
.LBB152_435:
	s_or_b64 exec, exec, s[18:19]
	v_mov_b32_e32 v3, 0
	v_mov_b32_e32 v2, 0
	s_waitcnt lgkmcnt(0)
	s_barrier
	s_and_saveexec_b64 s[20:21], s[22:23]
	s_cbranch_execz .LBB152_439
; %bb.436:
	v_mul_u32_u24_e32 v23, 0x208, v6
	ds_read_b64 v[2:3], v4 offset:12496
	ds_read_b64 v[23:24], v23 offset:12480
	v_cmp_gt_u32_e64 s[18:19], 2, v7
	s_waitcnt lgkmcnt(0)
	v_mul_f32_e32 v25, v24, v3
	v_mul_f32_e32 v3, v23, v3
	v_fma_f32 v23, v23, v2, -v25
	v_fmac_f32_e32 v3, v24, v2
	v_add_f32_e32 v2, 0, v23
	v_add_f32_e32 v3, 0, v3
	s_and_saveexec_b64 s[24:25], s[18:19]
	s_cbranch_execz .LBB152_438
; %bb.437:
	v_lshlrev_b32_e32 v23, 3, v0
	v_mov_b32_e32 v25, 0
	ds_read_b64 v[23:24], v23 offset:13008
	ds_read_b64 v[25:26], v25 offset:12488
	s_waitcnt lgkmcnt(0)
	v_mul_f32_e32 v27, v26, v24
	v_mul_f32_e32 v24, v25, v24
	v_fma_f32 v25, v25, v23, -v27
	v_fmac_f32_e32 v24, v26, v23
	v_add_f32_e32 v2, v2, v25
	v_add_f32_e32 v3, v3, v24
.LBB152_438:
	s_or_b64 exec, exec, s[24:25]
	v_xor_b32_e32 v2, 0x80000000, v2
	v_xor_b32_e32 v3, 0x80000000, v3
.LBB152_439:
	s_or_b64 exec, exec, s[20:21]
	s_and_saveexec_b64 s[18:19], s[46:47]
; %bb.440:
	ds_write_b64 v5, v[2:3]
; %bb.441:
	s_or_b64 exec, exec, s[18:19]
	s_waitcnt lgkmcnt(0)
	s_barrier
	s_and_saveexec_b64 s[18:19], s[44:45]
	s_cbranch_execz .LBB152_443
; %bb.442:
	v_mov_b32_e32 v23, 0
	ds_read_b64 v[23:24], v23 offset:13528
	ds_read_b64 v[25:26], v5
	s_waitcnt lgkmcnt(0)
	v_mul_f32_e32 v27, v26, v24
	v_mul_f32_e32 v24, v25, v24
	v_fma_f32 v25, v25, v23, -v27
	v_fmac_f32_e32 v24, v26, v23
	v_add_f32_e32 v2, v2, v25
	v_add_f32_e32 v3, v3, v24
.LBB152_443:
	s_or_b64 exec, exec, s[18:19]
	s_barrier
	s_and_saveexec_b64 s[18:19], s[44:45]
; %bb.444:
	ds_write_b64 v5, v[2:3]
; %bb.445:
	s_or_b64 exec, exec, s[18:19]
	s_waitcnt lgkmcnt(0)
	s_barrier
	s_barrier
	s_and_saveexec_b64 s[18:19], s[22:23]
; %bb.446:
	v_xor_b32_e32 v3, 0x80000000, v3
	v_xor_b32_e32 v2, 0x80000000, v2
	ds_write_b64 v4, v[2:3] offset:12496
; %bb.447:
	s_or_b64 exec, exec, s[18:19]
	s_waitcnt lgkmcnt(0)
	s_barrier
	s_barrier
	s_and_saveexec_b64 s[18:19], s[48:49]
	s_cbranch_execz .LBB152_449
; %bb.448:
	v_lshlrev_b32_e32 v23, 3, v0
	s_movk_i32 s20, 0x1f8
	v_mad_u32_u24 v24, v0, s20, v23
	ds_read_b64 v[2:3], v24 offset:12496
	s_waitcnt lgkmcnt(0)
	ds_write_b64 v23, v[2:3] offset:13504
	ds_read_b64 v[2:3], v24 offset:12504
	s_waitcnt lgkmcnt(0)
	ds_write_b64 v23, v[2:3] offset:14016
.LBB152_449:
	s_or_b64 exec, exec, s[18:19]
	s_waitcnt lgkmcnt(0)
	s_barrier
	s_and_saveexec_b64 s[18:19], vcc
	s_cbranch_execz .LBB152_451
; %bb.450:
	v_mov_b32_e32 v25, 0
	ds_read_b64 v[2:3], v25 offset:13528
	s_mov_b64 s[20:21], 0x3f800000
	v_mov_b32_e32 v24, s21
	v_mov_b32_e32 v23, s20
	s_movk_i32 s20, 0xd0
	ds_write_b64 v25, v[23:24] offset:14040
	v_add_u32_e64 v25, s20, 0
	s_waitcnt lgkmcnt(1)
	ds_write2st64_b64 v25, v[23:24], v[2:3] offset0:26 offset1:27
.LBB152_451:
	s_or_b64 exec, exec, s[18:19]
	v_mov_b32_e32 v3, 0
	v_mov_b32_e32 v2, 0
	s_waitcnt lgkmcnt(0)
	s_barrier
	s_and_saveexec_b64 s[20:21], s[10:11]
	s_cbranch_execz .LBB152_457
; %bb.452:
	v_mul_u32_u24_e32 v23, 0x208, v12
	ds_read_b64 v[2:3], v8 offset:12512
	ds_read_b64 v[24:25], v23 offset:12480
	v_cmp_gt_u32_e64 s[18:19], 12, v7
	s_waitcnt lgkmcnt(0)
	v_mul_f32_e32 v26, v25, v3
	v_mul_f32_e32 v3, v24, v3
	v_fma_f32 v24, v24, v2, -v26
	v_fmac_f32_e32 v3, v25, v2
	v_add_f32_e32 v2, 0, v24
	v_add_f32_e32 v3, 0, v3
	s_and_saveexec_b64 s[24:25], s[18:19]
	s_cbranch_execnz .LBB152_1072
; %bb.453:
	s_or_b64 exec, exec, s[24:25]
	v_cmp_gt_u32_e64 s[18:19], 8, v7
	s_and_saveexec_b64 s[24:25], s[18:19]
	s_cbranch_execnz .LBB152_1073
.LBB152_454:
	s_or_b64 exec, exec, s[24:25]
	v_cmp_gt_u32_e64 s[18:19], 4, v7
	s_and_saveexec_b64 s[24:25], s[18:19]
	s_cbranch_execz .LBB152_456
.LBB152_455:
	v_lshlrev_b32_e32 v23, 3, v0
	v_mov_b32_e32 v25, 0
	ds_read_b64 v[23:24], v23 offset:14048
	ds_read_b64 v[25:26], v25 offset:12504
	s_waitcnt lgkmcnt(0)
	v_mul_f32_e32 v27, v26, v24
	v_mul_f32_e32 v24, v25, v24
	v_fma_f32 v25, v25, v23, -v27
	v_fmac_f32_e32 v24, v26, v23
	v_add_f32_e32 v2, v2, v25
	v_add_f32_e32 v3, v3, v24
.LBB152_456:
	s_or_b64 exec, exec, s[24:25]
	v_xor_b32_e32 v2, 0x80000000, v2
	v_xor_b32_e32 v3, 0x80000000, v3
.LBB152_457:
	s_or_b64 exec, exec, s[20:21]
	s_and_saveexec_b64 s[18:19], s[52:53]
; %bb.458:
	ds_write_b64 v10, v[2:3]
; %bb.459:
	s_or_b64 exec, exec, s[18:19]
	s_waitcnt lgkmcnt(0)
	s_barrier
	s_and_saveexec_b64 s[18:19], s[54:55]
	s_cbranch_execz .LBB152_461
; %bb.460:
	ds_read_b64 v[23:24], v9 offset:14560
	ds_read_b64 v[25:26], v10
	s_waitcnt lgkmcnt(0)
	v_mul_f32_e32 v27, v26, v24
	v_mul_f32_e32 v24, v25, v24
	v_fma_f32 v25, v25, v23, -v27
	v_fmac_f32_e32 v24, v26, v23
	v_add_f32_e32 v2, v2, v25
	v_add_f32_e32 v3, v3, v24
.LBB152_461:
	s_or_b64 exec, exec, s[18:19]
	s_barrier
	s_and_saveexec_b64 s[18:19], s[56:57]
; %bb.462:
	ds_write_b64 v10, v[2:3]
; %bb.463:
	s_or_b64 exec, exec, s[18:19]
	s_waitcnt lgkmcnt(0)
	s_barrier
	s_and_saveexec_b64 s[18:19], s[58:59]
	s_cbranch_execz .LBB152_465
; %bb.464:
	ds_read_b64 v[23:24], v9 offset:15072
	ds_read_b64 v[25:26], v10
	s_waitcnt lgkmcnt(0)
	v_mul_f32_e32 v27, v26, v24
	v_mul_f32_e32 v24, v25, v24
	v_fma_f32 v25, v25, v23, -v27
	v_fmac_f32_e32 v24, v26, v23
	v_add_f32_e32 v2, v2, v25
	v_add_f32_e32 v3, v3, v24
.LBB152_465:
	s_or_b64 exec, exec, s[18:19]
	s_barrier
	s_and_saveexec_b64 s[18:19], s[60:61]
; %bb.466:
	ds_write_b64 v10, v[2:3]
; %bb.467:
	s_or_b64 exec, exec, s[18:19]
	s_waitcnt lgkmcnt(0)
	s_barrier
	s_and_saveexec_b64 s[18:19], s[50:51]
	s_cbranch_execz .LBB152_469
; %bb.468:
	v_mov_b32_e32 v23, 0
	ds_read_b64 v[23:24], v23 offset:15608
	ds_read_b64 v[25:26], v10
	s_waitcnt lgkmcnt(0)
	v_mul_f32_e32 v27, v26, v24
	v_mul_f32_e32 v24, v25, v24
	v_fma_f32 v25, v25, v23, -v27
	v_fmac_f32_e32 v24, v26, v23
	v_add_f32_e32 v2, v2, v25
	v_add_f32_e32 v3, v3, v24
.LBB152_469:
	s_or_b64 exec, exec, s[18:19]
	s_barrier
	s_and_saveexec_b64 s[18:19], s[50:51]
; %bb.470:
	ds_write_b64 v10, v[2:3]
; %bb.471:
	s_or_b64 exec, exec, s[18:19]
	s_waitcnt lgkmcnt(0)
	s_barrier
	s_barrier
	s_and_saveexec_b64 s[18:19], s[10:11]
; %bb.472:
	v_xor_b32_e32 v2, 0x80000000, v2
	v_xor_b32_e32 v3, 0x80000000, v3
	ds_write_b64 v8, v[2:3] offset:12512
; %bb.473:
	s_or_b64 exec, exec, s[18:19]
	s_waitcnt lgkmcnt(0)
	s_barrier
	s_barrier
	s_and_saveexec_b64 s[18:19], s[62:63]
	s_cbranch_execz .LBB152_475
; %bb.474:
	v_lshlrev_b32_e32 v23, 9, v0
	ds_read_b64 v[2:3], v23 offset:12512
	s_movk_i32 s20, 0xfe08
	v_mad_i32_i24 v24, v0, s20, v23
	s_waitcnt lgkmcnt(0)
	ds_write_b64 v24, v[2:3] offset:14528
	ds_read_b64 v[2:3], v23 offset:12520
	s_waitcnt lgkmcnt(0)
	ds_write_b64 v24, v[2:3] offset:15040
	ds_read_b64 v[2:3], v23 offset:12528
	;; [unrolled: 3-line block ×3, first 2 shown]
	s_waitcnt lgkmcnt(0)
	ds_write_b64 v24, v[2:3] offset:16064
.LBB152_475:
	s_or_b64 exec, exec, s[18:19]
	s_waitcnt lgkmcnt(0)
	s_barrier
	s_and_saveexec_b64 s[18:19], vcc
	s_cbranch_execz .LBB152_477
; %bb.476:
	v_mov_b32_e32 v25, 0
	ds_read_b64 v[2:3], v25 offset:14568
	s_mov_b64 s[20:21], 0x3f800000
	v_mov_b32_e32 v24, s21
	v_mov_b32_e32 v23, s20
	s_movk_i32 s20, 0xe0
	ds_write_b64 v25, v[23:24] offset:15080
	v_add_u32_e64 v25, s20, 0
	s_waitcnt lgkmcnt(1)
	ds_write2st64_b64 v25, v[23:24], v[2:3] offset0:28 offset1:29
.LBB152_477:
	s_or_b64 exec, exec, s[18:19]
	v_mov_b32_e32 v3, 0
	v_mov_b32_e32 v2, 0
	s_waitcnt lgkmcnt(0)
	s_barrier
	s_and_saveexec_b64 s[20:21], s[22:23]
	s_cbranch_execz .LBB152_481
; %bb.478:
	v_mul_u32_u24_e32 v23, 0x208, v6
	ds_read_b64 v[2:3], v4 offset:14576
	ds_read_b64 v[23:24], v23 offset:14560
	v_cmp_gt_u32_e64 s[18:19], 2, v7
	s_waitcnt lgkmcnt(0)
	v_mul_f32_e32 v25, v24, v3
	v_mul_f32_e32 v3, v23, v3
	v_fma_f32 v23, v23, v2, -v25
	v_fmac_f32_e32 v3, v24, v2
	v_add_f32_e32 v2, 0, v23
	v_add_f32_e32 v3, 0, v3
	s_and_saveexec_b64 s[24:25], s[18:19]
	s_cbranch_execz .LBB152_480
; %bb.479:
	v_lshlrev_b32_e32 v23, 3, v0
	v_mov_b32_e32 v25, 0
	ds_read_b64 v[23:24], v23 offset:15088
	ds_read_b64 v[25:26], v25 offset:14568
	s_waitcnt lgkmcnt(0)
	v_mul_f32_e32 v27, v26, v24
	v_mul_f32_e32 v24, v25, v24
	v_fma_f32 v25, v25, v23, -v27
	v_fmac_f32_e32 v24, v26, v23
	v_add_f32_e32 v2, v2, v25
	v_add_f32_e32 v3, v3, v24
.LBB152_480:
	s_or_b64 exec, exec, s[24:25]
	v_xor_b32_e32 v2, 0x80000000, v2
	v_xor_b32_e32 v3, 0x80000000, v3
.LBB152_481:
	s_or_b64 exec, exec, s[20:21]
	s_and_saveexec_b64 s[18:19], s[46:47]
; %bb.482:
	ds_write_b64 v5, v[2:3]
; %bb.483:
	s_or_b64 exec, exec, s[18:19]
	s_waitcnt lgkmcnt(0)
	s_barrier
	s_and_saveexec_b64 s[18:19], s[44:45]
	s_cbranch_execz .LBB152_485
; %bb.484:
	v_mov_b32_e32 v23, 0
	ds_read_b64 v[23:24], v23 offset:15608
	ds_read_b64 v[25:26], v5
	s_waitcnt lgkmcnt(0)
	v_mul_f32_e32 v27, v26, v24
	v_mul_f32_e32 v24, v25, v24
	v_fma_f32 v25, v25, v23, -v27
	v_fmac_f32_e32 v24, v26, v23
	v_add_f32_e32 v2, v2, v25
	v_add_f32_e32 v3, v3, v24
.LBB152_485:
	s_or_b64 exec, exec, s[18:19]
	s_barrier
	s_and_saveexec_b64 s[18:19], s[44:45]
; %bb.486:
	ds_write_b64 v5, v[2:3]
; %bb.487:
	s_or_b64 exec, exec, s[18:19]
	s_waitcnt lgkmcnt(0)
	s_barrier
	s_barrier
	s_and_saveexec_b64 s[18:19], s[22:23]
; %bb.488:
	v_xor_b32_e32 v3, 0x80000000, v3
	v_xor_b32_e32 v2, 0x80000000, v2
	ds_write_b64 v4, v[2:3] offset:14576
; %bb.489:
	s_or_b64 exec, exec, s[18:19]
	s_waitcnt lgkmcnt(0)
	s_barrier
	s_barrier
	s_and_saveexec_b64 s[18:19], s[48:49]
	s_cbranch_execz .LBB152_491
; %bb.490:
	v_lshlrev_b32_e32 v23, 3, v0
	s_movk_i32 s20, 0x1f8
	v_mad_u32_u24 v24, v0, s20, v23
	ds_read_b64 v[2:3], v24 offset:14576
	s_waitcnt lgkmcnt(0)
	ds_write_b64 v23, v[2:3] offset:15584
	ds_read_b64 v[2:3], v24 offset:14584
	s_waitcnt lgkmcnt(0)
	ds_write_b64 v23, v[2:3] offset:16096
.LBB152_491:
	s_or_b64 exec, exec, s[18:19]
	s_waitcnt lgkmcnt(0)
	s_barrier
	s_and_saveexec_b64 s[18:19], vcc
	s_cbranch_execz .LBB152_493
; %bb.492:
	v_mov_b32_e32 v25, 0
	ds_read_b64 v[2:3], v25 offset:15608
	s_mov_b64 s[20:21], 0x3f800000
	v_mov_b32_e32 v24, s21
	v_mov_b32_e32 v23, s20
	s_movk_i32 s20, 0xf0
	ds_write_b64 v25, v[23:24] offset:16120
	v_add_u32_e64 v25, s20, 0
	s_waitcnt lgkmcnt(1)
	ds_write2st64_b64 v25, v[23:24], v[2:3] offset0:30 offset1:31
.LBB152_493:
	s_or_b64 exec, exec, s[18:19]
	s_movk_i32 s18, 0x3ff
	v_lshrrev_b32_e32 v25, 5, v7
	v_cmp_lt_u32_e64 s[20:21], s18, v7
	s_movk_i32 s18, 0x400
	v_mov_b32_e32 v3, 0
	v_and_b32_e32 v23, 31, v0
	v_cmp_gt_u32_e64 s[18:19], s18, v7
	v_lshlrev_b32_e32 v24, 9, v25
	v_mov_b32_e32 v2, v3
	s_waitcnt lgkmcnt(0)
	s_barrier
	s_and_saveexec_b64 s[98:99], s[18:19]
	s_cbranch_execz .LBB152_555
; %bb.494:
	v_lshlrev_b32_e32 v26, 3, v23
	v_add_u32_e32 v28, v26, v24
	v_mul_u32_u24_e32 v27, 0x208, v25
	ds_read_b64 v[2:3], v28 offset:256
	ds_read_b64 v[29:30], v27
	s_movk_i32 s24, 0x3e0
	v_cmp_gt_u32_e64 s[24:25], s24, v7
	s_waitcnt lgkmcnt(0)
	v_mul_f32_e32 v31, v30, v3
	v_mul_f32_e32 v3, v29, v3
	v_fma_f32 v29, v29, v2, -v31
	v_fmac_f32_e32 v3, v30, v2
	v_add_f32_e32 v2, 0, v29
	v_add_f32_e32 v3, 0, v3
	s_and_saveexec_b64 s[96:97], s[24:25]
	s_cbranch_execz .LBB152_496
; %bb.495:
	ds_read_b64 v[29:30], v28 offset:768
	ds_read_b64 v[31:32], v27 offset:8
	s_waitcnt lgkmcnt(0)
	v_mul_f32_e32 v33, v32, v30
	v_mul_f32_e32 v30, v31, v30
	v_fma_f32 v31, v31, v29, -v33
	v_fmac_f32_e32 v30, v32, v29
	v_add_f32_e32 v2, v2, v31
	v_add_f32_e32 v3, v3, v30
.LBB152_496:
	s_or_b64 exec, exec, s[96:97]
	s_movk_i32 s24, 0x3c0
	v_cmp_gt_u32_e64 s[24:25], s24, v7
	s_and_saveexec_b64 s[96:97], s[24:25]
	s_cbranch_execz .LBB152_498
; %bb.497:
	ds_read_b64 v[29:30], v28 offset:1280
	ds_read_b64 v[31:32], v27 offset:16
	s_waitcnt lgkmcnt(0)
	v_mul_f32_e32 v33, v32, v30
	v_mul_f32_e32 v30, v31, v30
	v_fma_f32 v31, v31, v29, -v33
	v_fmac_f32_e32 v30, v32, v29
	v_add_f32_e32 v2, v2, v31
	v_add_f32_e32 v3, v3, v30
.LBB152_498:
	s_or_b64 exec, exec, s[96:97]
	s_movk_i32 s24, 0x3a0
	v_cmp_gt_u32_e64 s[24:25], s24, v7
	;; [unrolled: 16-line block ×28, first 2 shown]
	s_and_saveexec_b64 s[96:97], s[24:25]
	s_cbranch_execnz .LBB152_1074
; %bb.551:
	s_or_b64 exec, exec, s[96:97]
	v_cmp_gt_u32_e64 s[24:25], 64, v7
	s_and_saveexec_b64 s[96:97], s[24:25]
	s_cbranch_execnz .LBB152_1075
.LBB152_552:
	s_or_b64 exec, exec, s[96:97]
	v_cmp_gt_u32_e64 s[24:25], 32, v7
	s_and_saveexec_b64 s[96:97], s[24:25]
	s_cbranch_execz .LBB152_554
.LBB152_553:
	ds_read_b64 v[28:29], v26 offset:16128
	ds_read_b64 v[26:27], v27 offset:248
	s_waitcnt lgkmcnt(0)
	v_mul_f32_e32 v30, v27, v29
	v_mul_f32_e32 v29, v26, v29
	v_fma_f32 v26, v26, v28, -v30
	v_fmac_f32_e32 v29, v27, v28
	v_add_f32_e32 v2, v2, v26
	v_add_f32_e32 v3, v3, v29
.LBB152_554:
	s_or_b64 exec, exec, s[96:97]
	v_xor_b32_e32 v2, 0x80000000, v2
	v_xor_b32_e32 v3, 0x80000000, v3
.LBB152_555:
	s_or_b64 exec, exec, s[98:99]
	v_mov_b32_e32 v26, 0x8000
	v_lshl_or_b32 v25, v25, 3, v26
	v_mov_b32_e32 v26, 0x4100
	v_lshl_or_b32 v26, v23, 3, v26
	s_mov_b32 s96, 0
	s_xor_b64 s[24:25], s[20:21], -1
	v_mov_b32_e32 v27, v23
	s_branch .LBB152_557
.LBB152_556:                            ;   in Loop: Header=BB152_557 Depth=1
	s_or_b64 exec, exec, s[20:21]
	s_add_i32 s96, s96, 2
	v_add_u32_e32 v26, 0x400, v26
	s_cmp_eq_u32 s96, 32
	v_add_u32_e32 v27, -2, v27
	s_barrier
	s_cbranch_scc1 .LBB152_565
.LBB152_557:                            ; =>This Inner Loop Header: Depth=1
	v_cmp_eq_u32_e64 s[20:21], 0, v27
	s_and_b64 s[98:99], s[24:25], s[20:21]
	s_and_saveexec_b64 s[20:21], s[98:99]
; %bb.558:                              ;   in Loop: Header=BB152_557 Depth=1
	ds_write_b64 v25, v[2:3]
; %bb.559:                              ;   in Loop: Header=BB152_557 Depth=1
	s_or_b64 exec, exec, s[20:21]
	v_cmp_lt_u32_e64 s[20:21], s96, v23
	s_and_b64 s[98:99], s[24:25], s[20:21]
	s_waitcnt lgkmcnt(0)
	s_barrier
	s_and_saveexec_b64 s[20:21], s[98:99]
	s_cbranch_execz .LBB152_561
; %bb.560:                              ;   in Loop: Header=BB152_557 Depth=1
	ds_read_b64 v[28:29], v26
	ds_read_b64 v[30:31], v25
	s_waitcnt lgkmcnt(0)
	v_mul_f32_e32 v32, v31, v29
	v_mul_f32_e32 v29, v30, v29
	v_fma_f32 v30, v30, v28, -v32
	v_fmac_f32_e32 v29, v31, v28
	v_add_f32_e32 v2, v2, v30
	v_add_f32_e32 v3, v3, v29
.LBB152_561:                            ;   in Loop: Header=BB152_557 Depth=1
	s_or_b64 exec, exec, s[20:21]
	s_or_b32 s97, s96, 1
	v_cmp_eq_u32_e64 s[20:21], s97, v23
	s_and_b64 s[98:99], s[24:25], s[20:21]
	s_barrier
	s_and_saveexec_b64 s[20:21], s[98:99]
; %bb.562:                              ;   in Loop: Header=BB152_557 Depth=1
	ds_write_b64 v25, v[2:3]
; %bb.563:                              ;   in Loop: Header=BB152_557 Depth=1
	s_or_b64 exec, exec, s[20:21]
	v_cmp_lt_u32_e64 s[20:21], s97, v23
	s_and_b64 s[98:99], s[24:25], s[20:21]
	s_waitcnt lgkmcnt(0)
	s_barrier
	s_and_saveexec_b64 s[20:21], s[98:99]
	s_cbranch_execz .LBB152_556
; %bb.564:                              ;   in Loop: Header=BB152_557 Depth=1
	ds_read_b64 v[28:29], v26 offset:512
	ds_read_b64 v[30:31], v25
	s_waitcnt lgkmcnt(0)
	v_mul_f32_e32 v32, v31, v29
	v_mul_f32_e32 v29, v30, v29
	v_fma_f32 v30, v30, v28, -v32
	v_fmac_f32_e32 v29, v31, v28
	v_add_f32_e32 v2, v2, v30
	v_add_f32_e32 v3, v3, v29
	s_branch .LBB152_556
.LBB152_565:
	s_and_saveexec_b64 s[20:21], s[18:19]
; %bb.566:
	v_lshl_add_u32 v23, v23, 3, v24
	v_xor_b32_e32 v3, 0x80000000, v3
	v_xor_b32_e32 v2, 0x80000000, v2
	ds_write_b64 v23, v[2:3] offset:256
; %bb.567:
	s_or_b64 exec, exec, s[20:21]
	v_cmp_gt_u32_e64 s[18:19], 32, v0
	s_and_b64 s[18:19], s[16:17], s[18:19]
	s_waitcnt lgkmcnt(0)
	s_barrier
	s_barrier
	s_and_saveexec_b64 s[16:17], s[18:19]
	s_cbranch_execz .LBB152_569
; %bb.568:
	v_lshlrev_b32_e32 v23, 9, v0
	ds_read_b64 v[2:3], v23 offset:256
	s_movk_i32 s18, 0xfe08
	v_mad_i32_i24 v24, v0, s18, v23
	s_waitcnt lgkmcnt(0)
	ds_write_b64 v24, v[2:3] offset:16384
	ds_read_b64 v[2:3], v23 offset:264
	s_waitcnt lgkmcnt(0)
	ds_write_b64 v24, v[2:3] offset:16896
	ds_read_b64 v[2:3], v23 offset:272
	s_waitcnt lgkmcnt(0)
	ds_write_b64 v24, v[2:3] offset:17408
	ds_read_b64 v[2:3], v23 offset:280
	s_waitcnt lgkmcnt(0)
	ds_write_b64 v24, v[2:3] offset:17920
	ds_read_b64 v[2:3], v23 offset:288
	s_waitcnt lgkmcnt(0)
	ds_write_b64 v24, v[2:3] offset:18432
	ds_read_b64 v[2:3], v23 offset:296
	s_waitcnt lgkmcnt(0)
	ds_write_b64 v24, v[2:3] offset:18944
	ds_read_b64 v[2:3], v23 offset:304
	s_waitcnt lgkmcnt(0)
	ds_write_b64 v24, v[2:3] offset:19456
	ds_read_b64 v[2:3], v23 offset:312
	s_waitcnt lgkmcnt(0)
	ds_write_b64 v24, v[2:3] offset:19968
	ds_read_b64 v[2:3], v23 offset:320
	s_waitcnt lgkmcnt(0)
	ds_write_b64 v24, v[2:3] offset:20480
	ds_read_b64 v[2:3], v23 offset:328
	s_waitcnt lgkmcnt(0)
	ds_write_b64 v24, v[2:3] offset:20992
	ds_read_b64 v[2:3], v23 offset:336
	s_waitcnt lgkmcnt(0)
	ds_write_b64 v24, v[2:3] offset:21504
	ds_read_b64 v[2:3], v23 offset:344
	s_waitcnt lgkmcnt(0)
	ds_write_b64 v24, v[2:3] offset:22016
	ds_read_b64 v[2:3], v23 offset:352
	s_waitcnt lgkmcnt(0)
	ds_write_b64 v24, v[2:3] offset:22528
	ds_read_b64 v[2:3], v23 offset:360
	s_waitcnt lgkmcnt(0)
	ds_write_b64 v24, v[2:3] offset:23040
	ds_read_b64 v[2:3], v23 offset:368
	s_waitcnt lgkmcnt(0)
	ds_write_b64 v24, v[2:3] offset:23552
	ds_read_b64 v[2:3], v23 offset:376
	s_waitcnt lgkmcnt(0)
	ds_write_b64 v24, v[2:3] offset:24064
	ds_read_b64 v[2:3], v23 offset:384
	s_waitcnt lgkmcnt(0)
	ds_write_b64 v24, v[2:3] offset:24576
	ds_read_b64 v[2:3], v23 offset:392
	s_waitcnt lgkmcnt(0)
	ds_write_b64 v24, v[2:3] offset:25088
	ds_read_b64 v[2:3], v23 offset:400
	s_waitcnt lgkmcnt(0)
	ds_write_b64 v24, v[2:3] offset:25600
	ds_read_b64 v[2:3], v23 offset:408
	s_waitcnt lgkmcnt(0)
	ds_write_b64 v24, v[2:3] offset:26112
	ds_read_b64 v[2:3], v23 offset:416
	s_waitcnt lgkmcnt(0)
	ds_write_b64 v24, v[2:3] offset:26624
	ds_read_b64 v[2:3], v23 offset:424
	s_waitcnt lgkmcnt(0)
	ds_write_b64 v24, v[2:3] offset:27136
	ds_read_b64 v[2:3], v23 offset:432
	s_waitcnt lgkmcnt(0)
	ds_write_b64 v24, v[2:3] offset:27648
	ds_read_b64 v[2:3], v23 offset:440
	s_waitcnt lgkmcnt(0)
	ds_write_b64 v24, v[2:3] offset:28160
	ds_read_b64 v[2:3], v23 offset:448
	s_waitcnt lgkmcnt(0)
	ds_write_b64 v24, v[2:3] offset:28672
	ds_read_b64 v[2:3], v23 offset:456
	s_waitcnt lgkmcnt(0)
	ds_write_b64 v24, v[2:3] offset:29184
	ds_read_b64 v[2:3], v23 offset:464
	s_waitcnt lgkmcnt(0)
	ds_write_b64 v24, v[2:3] offset:29696
	ds_read_b64 v[2:3], v23 offset:472
	s_waitcnt lgkmcnt(0)
	ds_write_b64 v24, v[2:3] offset:30208
	ds_read_b64 v[2:3], v23 offset:480
	s_waitcnt lgkmcnt(0)
	ds_write_b64 v24, v[2:3] offset:30720
	ds_read_b64 v[2:3], v23 offset:488
	s_waitcnt lgkmcnt(0)
	ds_write_b64 v24, v[2:3] offset:31232
	ds_read_b64 v[2:3], v23 offset:496
	s_waitcnt lgkmcnt(0)
	ds_write_b64 v24, v[2:3] offset:31744
	ds_read_b64 v[2:3], v23 offset:504
	s_waitcnt lgkmcnt(0)
	ds_write_b64 v24, v[2:3] offset:32256
.LBB152_569:
	s_or_b64 exec, exec, s[16:17]
	s_waitcnt lgkmcnt(0)
	s_barrier
	s_and_saveexec_b64 s[16:17], vcc
	s_cbranch_execz .LBB152_571
; %bb.570:
	v_mov_b32_e32 v25, 0
	ds_read_b64 v[2:3], v25 offset:16648
	s_mov_b64 s[18:19], 0x3f800000
	v_mov_b32_e32 v24, s19
	v_mov_b32_e32 v23, s18
	s_movk_i32 s18, 0x100
	ds_write_b64 v25, v[23:24] offset:17160
	v_add_u32_e64 v25, s18, 0
	s_waitcnt lgkmcnt(1)
	ds_write2st64_b64 v25, v[23:24], v[2:3] offset0:32 offset1:33
.LBB152_571:
	s_or_b64 exec, exec, s[16:17]
	v_mov_b32_e32 v3, 0
	v_mov_b32_e32 v2, 0
	s_waitcnt lgkmcnt(0)
	s_barrier
	s_and_saveexec_b64 s[18:19], s[22:23]
	s_cbranch_execz .LBB152_575
; %bb.572:
	v_mul_u32_u24_e32 v23, 0x208, v6
	ds_read_b64 v[2:3], v4 offset:16656
	ds_read_b64 v[23:24], v23 offset:16640
	v_cmp_gt_u32_e64 s[16:17], 2, v7
	s_waitcnt lgkmcnt(0)
	v_mul_f32_e32 v25, v24, v3
	v_mul_f32_e32 v3, v23, v3
	v_fma_f32 v23, v23, v2, -v25
	v_fmac_f32_e32 v3, v24, v2
	v_add_f32_e32 v2, 0, v23
	v_add_f32_e32 v3, 0, v3
	s_and_saveexec_b64 s[20:21], s[16:17]
	s_cbranch_execz .LBB152_574
; %bb.573:
	v_lshlrev_b32_e32 v23, 3, v0
	v_mov_b32_e32 v25, 0
	ds_read_b64 v[23:24], v23 offset:17168
	ds_read_b64 v[25:26], v25 offset:16648
	s_waitcnt lgkmcnt(0)
	v_mul_f32_e32 v27, v26, v24
	v_mul_f32_e32 v24, v25, v24
	v_fma_f32 v25, v25, v23, -v27
	v_fmac_f32_e32 v24, v26, v23
	v_add_f32_e32 v2, v2, v25
	v_add_f32_e32 v3, v3, v24
.LBB152_574:
	s_or_b64 exec, exec, s[20:21]
	v_xor_b32_e32 v2, 0x80000000, v2
	v_xor_b32_e32 v3, 0x80000000, v3
.LBB152_575:
	s_or_b64 exec, exec, s[18:19]
	s_and_saveexec_b64 s[16:17], s[46:47]
; %bb.576:
	ds_write_b64 v5, v[2:3]
; %bb.577:
	s_or_b64 exec, exec, s[16:17]
	s_waitcnt lgkmcnt(0)
	s_barrier
	s_and_saveexec_b64 s[16:17], s[44:45]
	s_cbranch_execz .LBB152_579
; %bb.578:
	v_mov_b32_e32 v23, 0
	ds_read_b64 v[23:24], v23 offset:17688
	ds_read_b64 v[25:26], v5
	s_waitcnt lgkmcnt(0)
	v_mul_f32_e32 v27, v26, v24
	v_mul_f32_e32 v24, v25, v24
	v_fma_f32 v25, v25, v23, -v27
	v_fmac_f32_e32 v24, v26, v23
	v_add_f32_e32 v2, v2, v25
	v_add_f32_e32 v3, v3, v24
.LBB152_579:
	s_or_b64 exec, exec, s[16:17]
	s_barrier
	s_and_saveexec_b64 s[16:17], s[44:45]
; %bb.580:
	ds_write_b64 v5, v[2:3]
; %bb.581:
	s_or_b64 exec, exec, s[16:17]
	s_waitcnt lgkmcnt(0)
	s_barrier
	s_barrier
	s_and_saveexec_b64 s[16:17], s[22:23]
; %bb.582:
	v_xor_b32_e32 v3, 0x80000000, v3
	v_xor_b32_e32 v2, 0x80000000, v2
	ds_write_b64 v4, v[2:3] offset:16656
; %bb.583:
	s_or_b64 exec, exec, s[16:17]
	s_waitcnt lgkmcnt(0)
	s_barrier
	s_barrier
	s_and_saveexec_b64 s[16:17], s[48:49]
	s_cbranch_execz .LBB152_585
; %bb.584:
	v_lshlrev_b32_e32 v23, 3, v0
	s_movk_i32 s18, 0x1f8
	v_mad_u32_u24 v24, v0, s18, v23
	ds_read_b64 v[2:3], v24 offset:16656
	s_waitcnt lgkmcnt(0)
	ds_write_b64 v23, v[2:3] offset:17664
	ds_read_b64 v[2:3], v24 offset:16664
	s_waitcnt lgkmcnt(0)
	ds_write_b64 v23, v[2:3] offset:18176
.LBB152_585:
	s_or_b64 exec, exec, s[16:17]
	s_waitcnt lgkmcnt(0)
	s_barrier
	s_and_saveexec_b64 s[16:17], vcc
	s_cbranch_execz .LBB152_587
; %bb.586:
	v_mov_b32_e32 v25, 0
	ds_read_b64 v[2:3], v25 offset:17688
	s_mov_b64 s[18:19], 0x3f800000
	v_mov_b32_e32 v24, s19
	v_mov_b32_e32 v23, s18
	s_movk_i32 s18, 0x110
	ds_write_b64 v25, v[23:24] offset:18200
	v_add_u32_e64 v25, s18, 0
	s_waitcnt lgkmcnt(1)
	ds_write2st64_b64 v25, v[23:24], v[2:3] offset0:34 offset1:35
.LBB152_587:
	s_or_b64 exec, exec, s[16:17]
	v_mov_b32_e32 v3, 0
	v_mov_b32_e32 v2, 0
	s_waitcnt lgkmcnt(0)
	s_barrier
	s_and_saveexec_b64 s[18:19], s[10:11]
	s_cbranch_execz .LBB152_593
; %bb.588:
	v_mul_u32_u24_e32 v23, 0x208, v12
	ds_read_b64 v[2:3], v8 offset:16672
	ds_read_b64 v[24:25], v23 offset:16640
	v_cmp_gt_u32_e64 s[16:17], 12, v7
	s_waitcnt lgkmcnt(0)
	v_mul_f32_e32 v26, v25, v3
	v_mul_f32_e32 v3, v24, v3
	v_fma_f32 v24, v24, v2, -v26
	v_fmac_f32_e32 v3, v25, v2
	v_add_f32_e32 v2, 0, v24
	v_add_f32_e32 v3, 0, v3
	s_and_saveexec_b64 s[20:21], s[16:17]
	s_cbranch_execnz .LBB152_1076
; %bb.589:
	s_or_b64 exec, exec, s[20:21]
	v_cmp_gt_u32_e64 s[16:17], 8, v7
	s_and_saveexec_b64 s[20:21], s[16:17]
	s_cbranch_execnz .LBB152_1077
.LBB152_590:
	s_or_b64 exec, exec, s[20:21]
	v_cmp_gt_u32_e64 s[16:17], 4, v7
	s_and_saveexec_b64 s[20:21], s[16:17]
	s_cbranch_execz .LBB152_592
.LBB152_591:
	v_lshlrev_b32_e32 v23, 3, v0
	v_mov_b32_e32 v25, 0
	ds_read_b64 v[23:24], v23 offset:18208
	ds_read_b64 v[25:26], v25 offset:16664
	s_waitcnt lgkmcnt(0)
	v_mul_f32_e32 v27, v26, v24
	v_mul_f32_e32 v24, v25, v24
	v_fma_f32 v25, v25, v23, -v27
	v_fmac_f32_e32 v24, v26, v23
	v_add_f32_e32 v2, v2, v25
	v_add_f32_e32 v3, v3, v24
.LBB152_592:
	s_or_b64 exec, exec, s[20:21]
	v_xor_b32_e32 v2, 0x80000000, v2
	v_xor_b32_e32 v3, 0x80000000, v3
.LBB152_593:
	s_or_b64 exec, exec, s[18:19]
	s_and_saveexec_b64 s[16:17], s[52:53]
; %bb.594:
	ds_write_b64 v10, v[2:3]
; %bb.595:
	s_or_b64 exec, exec, s[16:17]
	s_waitcnt lgkmcnt(0)
	s_barrier
	s_and_saveexec_b64 s[16:17], s[54:55]
	s_cbranch_execz .LBB152_597
; %bb.596:
	ds_read_b64 v[23:24], v9 offset:18720
	ds_read_b64 v[25:26], v10
	s_waitcnt lgkmcnt(0)
	v_mul_f32_e32 v27, v26, v24
	v_mul_f32_e32 v24, v25, v24
	v_fma_f32 v25, v25, v23, -v27
	v_fmac_f32_e32 v24, v26, v23
	v_add_f32_e32 v2, v2, v25
	v_add_f32_e32 v3, v3, v24
.LBB152_597:
	s_or_b64 exec, exec, s[16:17]
	s_barrier
	s_and_saveexec_b64 s[16:17], s[56:57]
; %bb.598:
	ds_write_b64 v10, v[2:3]
; %bb.599:
	s_or_b64 exec, exec, s[16:17]
	s_waitcnt lgkmcnt(0)
	s_barrier
	s_and_saveexec_b64 s[16:17], s[58:59]
	s_cbranch_execz .LBB152_601
; %bb.600:
	ds_read_b64 v[23:24], v9 offset:19232
	ds_read_b64 v[25:26], v10
	s_waitcnt lgkmcnt(0)
	v_mul_f32_e32 v27, v26, v24
	v_mul_f32_e32 v24, v25, v24
	v_fma_f32 v25, v25, v23, -v27
	v_fmac_f32_e32 v24, v26, v23
	v_add_f32_e32 v2, v2, v25
	v_add_f32_e32 v3, v3, v24
.LBB152_601:
	s_or_b64 exec, exec, s[16:17]
	s_barrier
	s_and_saveexec_b64 s[16:17], s[60:61]
; %bb.602:
	ds_write_b64 v10, v[2:3]
; %bb.603:
	s_or_b64 exec, exec, s[16:17]
	s_waitcnt lgkmcnt(0)
	s_barrier
	s_and_saveexec_b64 s[16:17], s[50:51]
	s_cbranch_execz .LBB152_605
; %bb.604:
	v_mov_b32_e32 v23, 0
	ds_read_b64 v[23:24], v23 offset:19768
	ds_read_b64 v[25:26], v10
	s_waitcnt lgkmcnt(0)
	v_mul_f32_e32 v27, v26, v24
	v_mul_f32_e32 v24, v25, v24
	v_fma_f32 v25, v25, v23, -v27
	v_fmac_f32_e32 v24, v26, v23
	v_add_f32_e32 v2, v2, v25
	v_add_f32_e32 v3, v3, v24
.LBB152_605:
	s_or_b64 exec, exec, s[16:17]
	s_barrier
	s_and_saveexec_b64 s[16:17], s[50:51]
; %bb.606:
	ds_write_b64 v10, v[2:3]
; %bb.607:
	s_or_b64 exec, exec, s[16:17]
	s_waitcnt lgkmcnt(0)
	s_barrier
	s_barrier
	s_and_saveexec_b64 s[16:17], s[10:11]
; %bb.608:
	v_xor_b32_e32 v2, 0x80000000, v2
	v_xor_b32_e32 v3, 0x80000000, v3
	ds_write_b64 v8, v[2:3] offset:16672
; %bb.609:
	s_or_b64 exec, exec, s[16:17]
	s_waitcnt lgkmcnt(0)
	s_barrier
	s_barrier
	s_and_saveexec_b64 s[16:17], s[62:63]
	s_cbranch_execz .LBB152_611
; %bb.610:
	v_lshlrev_b32_e32 v23, 9, v0
	ds_read_b64 v[2:3], v23 offset:16672
	s_movk_i32 s18, 0xfe08
	v_mad_i32_i24 v24, v0, s18, v23
	s_waitcnt lgkmcnt(0)
	ds_write_b64 v24, v[2:3] offset:18688
	ds_read_b64 v[2:3], v23 offset:16680
	s_waitcnt lgkmcnt(0)
	ds_write_b64 v24, v[2:3] offset:19200
	ds_read_b64 v[2:3], v23 offset:16688
	;; [unrolled: 3-line block ×3, first 2 shown]
	s_waitcnt lgkmcnt(0)
	ds_write_b64 v24, v[2:3] offset:20224
.LBB152_611:
	s_or_b64 exec, exec, s[16:17]
	s_waitcnt lgkmcnt(0)
	s_barrier
	s_and_saveexec_b64 s[16:17], vcc
	s_cbranch_execz .LBB152_613
; %bb.612:
	v_mov_b32_e32 v25, 0
	ds_read_b64 v[2:3], v25 offset:18728
	s_mov_b64 s[18:19], 0x3f800000
	v_mov_b32_e32 v24, s19
	v_mov_b32_e32 v23, s18
	s_movk_i32 s18, 0x120
	ds_write_b64 v25, v[23:24] offset:19240
	v_add_u32_e64 v25, s18, 0
	s_waitcnt lgkmcnt(1)
	ds_write2st64_b64 v25, v[23:24], v[2:3] offset0:36 offset1:37
.LBB152_613:
	s_or_b64 exec, exec, s[16:17]
	v_mov_b32_e32 v3, 0
	v_mov_b32_e32 v2, 0
	s_waitcnt lgkmcnt(0)
	s_barrier
	s_and_saveexec_b64 s[18:19], s[22:23]
	s_cbranch_execz .LBB152_617
; %bb.614:
	v_mul_u32_u24_e32 v23, 0x208, v6
	ds_read_b64 v[2:3], v4 offset:18736
	ds_read_b64 v[23:24], v23 offset:18720
	v_cmp_gt_u32_e64 s[16:17], 2, v7
	s_waitcnt lgkmcnt(0)
	v_mul_f32_e32 v25, v24, v3
	v_mul_f32_e32 v3, v23, v3
	v_fma_f32 v23, v23, v2, -v25
	v_fmac_f32_e32 v3, v24, v2
	v_add_f32_e32 v2, 0, v23
	v_add_f32_e32 v3, 0, v3
	s_and_saveexec_b64 s[20:21], s[16:17]
	s_cbranch_execz .LBB152_616
; %bb.615:
	v_lshlrev_b32_e32 v23, 3, v0
	v_mov_b32_e32 v25, 0
	ds_read_b64 v[23:24], v23 offset:19248
	ds_read_b64 v[25:26], v25 offset:18728
	s_waitcnt lgkmcnt(0)
	v_mul_f32_e32 v27, v26, v24
	v_mul_f32_e32 v24, v25, v24
	v_fma_f32 v25, v25, v23, -v27
	v_fmac_f32_e32 v24, v26, v23
	v_add_f32_e32 v2, v2, v25
	v_add_f32_e32 v3, v3, v24
.LBB152_616:
	s_or_b64 exec, exec, s[20:21]
	v_xor_b32_e32 v2, 0x80000000, v2
	v_xor_b32_e32 v3, 0x80000000, v3
.LBB152_617:
	s_or_b64 exec, exec, s[18:19]
	s_and_saveexec_b64 s[16:17], s[46:47]
; %bb.618:
	ds_write_b64 v5, v[2:3]
; %bb.619:
	s_or_b64 exec, exec, s[16:17]
	s_waitcnt lgkmcnt(0)
	s_barrier
	s_and_saveexec_b64 s[16:17], s[44:45]
	s_cbranch_execz .LBB152_621
; %bb.620:
	v_mov_b32_e32 v23, 0
	ds_read_b64 v[23:24], v23 offset:19768
	ds_read_b64 v[25:26], v5
	s_waitcnt lgkmcnt(0)
	v_mul_f32_e32 v27, v26, v24
	v_mul_f32_e32 v24, v25, v24
	v_fma_f32 v25, v25, v23, -v27
	v_fmac_f32_e32 v24, v26, v23
	v_add_f32_e32 v2, v2, v25
	v_add_f32_e32 v3, v3, v24
.LBB152_621:
	s_or_b64 exec, exec, s[16:17]
	s_barrier
	s_and_saveexec_b64 s[16:17], s[44:45]
; %bb.622:
	ds_write_b64 v5, v[2:3]
; %bb.623:
	s_or_b64 exec, exec, s[16:17]
	s_waitcnt lgkmcnt(0)
	s_barrier
	s_barrier
	s_and_saveexec_b64 s[16:17], s[22:23]
; %bb.624:
	v_xor_b32_e32 v3, 0x80000000, v3
	v_xor_b32_e32 v2, 0x80000000, v2
	ds_write_b64 v4, v[2:3] offset:18736
; %bb.625:
	s_or_b64 exec, exec, s[16:17]
	s_waitcnt lgkmcnt(0)
	s_barrier
	s_barrier
	s_and_saveexec_b64 s[16:17], s[48:49]
	s_cbranch_execz .LBB152_627
; %bb.626:
	v_lshlrev_b32_e32 v23, 3, v0
	s_movk_i32 s18, 0x1f8
	v_mad_u32_u24 v24, v0, s18, v23
	ds_read_b64 v[2:3], v24 offset:18736
	s_waitcnt lgkmcnt(0)
	ds_write_b64 v23, v[2:3] offset:19744
	ds_read_b64 v[2:3], v24 offset:18744
	s_waitcnt lgkmcnt(0)
	ds_write_b64 v23, v[2:3] offset:20256
.LBB152_627:
	s_or_b64 exec, exec, s[16:17]
	s_waitcnt lgkmcnt(0)
	s_barrier
	s_and_saveexec_b64 s[16:17], vcc
	s_cbranch_execz .LBB152_629
; %bb.628:
	v_mov_b32_e32 v25, 0
	ds_read_b64 v[2:3], v25 offset:19768
	s_mov_b64 s[18:19], 0x3f800000
	v_mov_b32_e32 v24, s19
	v_mov_b32_e32 v23, s18
	s_movk_i32 s18, 0x130
	ds_write_b64 v25, v[23:24] offset:20280
	v_add_u32_e64 v25, s18, 0
	s_waitcnt lgkmcnt(1)
	ds_write2st64_b64 v25, v[23:24], v[2:3] offset0:38 offset1:39
.LBB152_629:
	s_or_b64 exec, exec, s[16:17]
	v_mov_b32_e32 v3, 0
	v_mov_b32_e32 v2, 0
	s_waitcnt lgkmcnt(0)
	s_barrier
	s_and_saveexec_b64 s[18:19], s[12:13]
	s_cbranch_execz .LBB152_639
; %bb.630:
	v_mul_u32_u24_e32 v23, 0x208, v17
	ds_read_b64 v[2:3], v13 offset:16704
	ds_read_b64 v[24:25], v23 offset:16640
	v_cmp_gt_u32_e64 s[16:17], 56, v7
	s_waitcnt lgkmcnt(0)
	v_mul_f32_e32 v26, v25, v3
	v_mul_f32_e32 v3, v24, v3
	v_fma_f32 v24, v24, v2, -v26
	v_fmac_f32_e32 v3, v25, v2
	v_add_f32_e32 v2, 0, v24
	v_add_f32_e32 v3, 0, v3
	s_and_saveexec_b64 s[20:21], s[16:17]
	s_cbranch_execnz .LBB152_1078
; %bb.631:
	s_or_b64 exec, exec, s[20:21]
	v_cmp_gt_u32_e64 s[16:17], 48, v7
	s_and_saveexec_b64 s[20:21], s[16:17]
	s_cbranch_execnz .LBB152_1079
.LBB152_632:
	s_or_b64 exec, exec, s[20:21]
	v_cmp_gt_u32_e64 s[16:17], 40, v7
	s_and_saveexec_b64 s[20:21], s[16:17]
	s_cbranch_execnz .LBB152_1080
.LBB152_633:
	s_or_b64 exec, exec, s[20:21]
	v_cmp_gt_u32_e64 s[16:17], 32, v7
	s_and_saveexec_b64 s[20:21], s[16:17]
	s_cbranch_execnz .LBB152_1081
.LBB152_634:
	s_or_b64 exec, exec, s[20:21]
	v_cmp_gt_u32_e64 s[16:17], 24, v7
	s_and_saveexec_b64 s[20:21], s[16:17]
	s_cbranch_execnz .LBB152_1082
.LBB152_635:
	s_or_b64 exec, exec, s[20:21]
	v_cmp_gt_u32_e64 s[16:17], 16, v7
	s_and_saveexec_b64 s[20:21], s[16:17]
	s_cbranch_execnz .LBB152_1083
.LBB152_636:
	s_or_b64 exec, exec, s[20:21]
	v_cmp_gt_u32_e64 s[16:17], 8, v7
	s_and_saveexec_b64 s[20:21], s[16:17]
	s_cbranch_execz .LBB152_638
.LBB152_637:
	v_lshlrev_b32_e32 v23, 3, v0
	v_mov_b32_e32 v25, 0
	ds_read_b64 v[23:24], v23 offset:20288
	ds_read_b64 v[25:26], v25 offset:16696
	s_waitcnt lgkmcnt(0)
	v_mul_f32_e32 v27, v26, v24
	v_mul_f32_e32 v24, v25, v24
	v_fma_f32 v25, v25, v23, -v27
	v_fmac_f32_e32 v24, v26, v23
	v_add_f32_e32 v2, v2, v25
	v_add_f32_e32 v3, v3, v24
.LBB152_638:
	s_or_b64 exec, exec, s[20:21]
	v_xor_b32_e32 v2, 0x80000000, v2
	v_xor_b32_e32 v3, 0x80000000, v3
.LBB152_639:
	s_or_b64 exec, exec, s[18:19]
	s_and_saveexec_b64 s[16:17], s[66:67]
; %bb.640:
	ds_write_b64 v15, v[2:3]
; %bb.641:
	s_or_b64 exec, exec, s[16:17]
	s_waitcnt lgkmcnt(0)
	s_barrier
	s_and_saveexec_b64 s[16:17], s[68:69]
	s_cbranch_execz .LBB152_643
; %bb.642:
	ds_read_b64 v[23:24], v14 offset:20800
	ds_read_b64 v[25:26], v15
	s_waitcnt lgkmcnt(0)
	v_mul_f32_e32 v27, v26, v24
	v_mul_f32_e32 v24, v25, v24
	v_fma_f32 v25, v25, v23, -v27
	v_fmac_f32_e32 v24, v26, v23
	v_add_f32_e32 v2, v2, v25
	v_add_f32_e32 v3, v3, v24
.LBB152_643:
	s_or_b64 exec, exec, s[16:17]
	s_barrier
	s_and_saveexec_b64 s[16:17], s[70:71]
; %bb.644:
	ds_write_b64 v15, v[2:3]
; %bb.645:
	s_or_b64 exec, exec, s[16:17]
	s_waitcnt lgkmcnt(0)
	s_barrier
	s_and_saveexec_b64 s[16:17], s[72:73]
	s_cbranch_execz .LBB152_647
; %bb.646:
	ds_read_b64 v[23:24], v14 offset:21312
	ds_read_b64 v[25:26], v15
	s_waitcnt lgkmcnt(0)
	v_mul_f32_e32 v27, v26, v24
	v_mul_f32_e32 v24, v25, v24
	v_fma_f32 v25, v25, v23, -v27
	v_fmac_f32_e32 v24, v26, v23
	v_add_f32_e32 v2, v2, v25
	v_add_f32_e32 v3, v3, v24
.LBB152_647:
	s_or_b64 exec, exec, s[16:17]
	s_barrier
	;; [unrolled: 22-line block ×6, first 2 shown]
	s_and_saveexec_b64 s[16:17], s[90:91]
; %bb.664:
	ds_write_b64 v15, v[2:3]
; %bb.665:
	s_or_b64 exec, exec, s[16:17]
	s_waitcnt lgkmcnt(0)
	s_barrier
	s_and_saveexec_b64 s[16:17], s[64:65]
	s_cbranch_execz .LBB152_667
; %bb.666:
	v_mov_b32_e32 v23, 0
	ds_read_b64 v[23:24], v23 offset:23928
	ds_read_b64 v[25:26], v15
	s_waitcnt lgkmcnt(0)
	v_mul_f32_e32 v27, v26, v24
	v_mul_f32_e32 v24, v25, v24
	v_fma_f32 v25, v25, v23, -v27
	v_fmac_f32_e32 v24, v26, v23
	v_add_f32_e32 v2, v2, v25
	v_add_f32_e32 v3, v3, v24
.LBB152_667:
	s_or_b64 exec, exec, s[16:17]
	s_barrier
	s_and_saveexec_b64 s[16:17], s[64:65]
; %bb.668:
	ds_write_b64 v15, v[2:3]
; %bb.669:
	s_or_b64 exec, exec, s[16:17]
	s_waitcnt lgkmcnt(0)
	s_barrier
	s_barrier
	s_and_saveexec_b64 s[16:17], s[12:13]
; %bb.670:
	v_xor_b32_e32 v3, 0x80000000, v3
	v_xor_b32_e32 v2, 0x80000000, v2
	ds_write_b64 v13, v[2:3] offset:16704
; %bb.671:
	s_or_b64 exec, exec, s[16:17]
	s_waitcnt lgkmcnt(0)
	s_barrier
	s_barrier
	s_and_saveexec_b64 s[16:17], s[92:93]
	s_cbranch_execz .LBB152_673
; %bb.672:
	v_lshlrev_b32_e32 v23, 9, v0
	ds_read_b64 v[2:3], v23 offset:16704
	s_movk_i32 s18, 0xfe08
	v_mad_i32_i24 v24, v0, s18, v23
	s_waitcnt lgkmcnt(0)
	ds_write_b64 v24, v[2:3] offset:20736
	ds_read_b64 v[2:3], v23 offset:16712
	s_waitcnt lgkmcnt(0)
	ds_write_b64 v24, v[2:3] offset:21248
	ds_read_b64 v[2:3], v23 offset:16720
	;; [unrolled: 3-line block ×7, first 2 shown]
	s_waitcnt lgkmcnt(0)
	ds_write_b64 v24, v[2:3] offset:24320
.LBB152_673:
	s_or_b64 exec, exec, s[16:17]
	s_waitcnt lgkmcnt(0)
	s_barrier
	s_and_saveexec_b64 s[16:17], vcc
	s_cbranch_execz .LBB152_675
; %bb.674:
	v_mov_b32_e32 v25, 0
	ds_read_b64 v[2:3], v25 offset:20808
	s_mov_b64 s[18:19], 0x3f800000
	v_mov_b32_e32 v24, s19
	v_mov_b32_e32 v23, s18
	s_movk_i32 s18, 0x140
	ds_write_b64 v25, v[23:24] offset:21320
	v_add_u32_e64 v25, s18, 0
	s_waitcnt lgkmcnt(1)
	ds_write2st64_b64 v25, v[23:24], v[2:3] offset0:40 offset1:41
.LBB152_675:
	s_or_b64 exec, exec, s[16:17]
	v_mov_b32_e32 v3, 0
	v_mov_b32_e32 v2, 0
	s_waitcnt lgkmcnt(0)
	s_barrier
	s_and_saveexec_b64 s[18:19], s[22:23]
	s_cbranch_execz .LBB152_679
; %bb.676:
	v_mul_u32_u24_e32 v23, 0x208, v6
	ds_read_b64 v[2:3], v4 offset:20816
	ds_read_b64 v[23:24], v23 offset:20800
	v_cmp_gt_u32_e64 s[16:17], 2, v7
	s_waitcnt lgkmcnt(0)
	v_mul_f32_e32 v25, v24, v3
	v_mul_f32_e32 v3, v23, v3
	v_fma_f32 v23, v23, v2, -v25
	v_fmac_f32_e32 v3, v24, v2
	v_add_f32_e32 v2, 0, v23
	v_add_f32_e32 v3, 0, v3
	s_and_saveexec_b64 s[20:21], s[16:17]
	s_cbranch_execz .LBB152_678
; %bb.677:
	v_lshlrev_b32_e32 v23, 3, v0
	v_mov_b32_e32 v25, 0
	ds_read_b64 v[23:24], v23 offset:21328
	ds_read_b64 v[25:26], v25 offset:20808
	s_waitcnt lgkmcnt(0)
	v_mul_f32_e32 v27, v26, v24
	v_mul_f32_e32 v24, v25, v24
	v_fma_f32 v25, v25, v23, -v27
	v_fmac_f32_e32 v24, v26, v23
	v_add_f32_e32 v2, v2, v25
	v_add_f32_e32 v3, v3, v24
.LBB152_678:
	s_or_b64 exec, exec, s[20:21]
	v_xor_b32_e32 v2, 0x80000000, v2
	v_xor_b32_e32 v3, 0x80000000, v3
.LBB152_679:
	s_or_b64 exec, exec, s[18:19]
	s_and_saveexec_b64 s[16:17], s[46:47]
; %bb.680:
	ds_write_b64 v5, v[2:3]
; %bb.681:
	s_or_b64 exec, exec, s[16:17]
	s_waitcnt lgkmcnt(0)
	s_barrier
	s_and_saveexec_b64 s[16:17], s[44:45]
	s_cbranch_execz .LBB152_683
; %bb.682:
	v_mov_b32_e32 v23, 0
	ds_read_b64 v[23:24], v23 offset:21848
	ds_read_b64 v[25:26], v5
	s_waitcnt lgkmcnt(0)
	v_mul_f32_e32 v27, v26, v24
	v_mul_f32_e32 v24, v25, v24
	v_fma_f32 v25, v25, v23, -v27
	v_fmac_f32_e32 v24, v26, v23
	v_add_f32_e32 v2, v2, v25
	v_add_f32_e32 v3, v3, v24
.LBB152_683:
	s_or_b64 exec, exec, s[16:17]
	s_barrier
	s_and_saveexec_b64 s[16:17], s[44:45]
; %bb.684:
	ds_write_b64 v5, v[2:3]
; %bb.685:
	s_or_b64 exec, exec, s[16:17]
	s_waitcnt lgkmcnt(0)
	s_barrier
	s_barrier
	s_and_saveexec_b64 s[16:17], s[22:23]
; %bb.686:
	v_xor_b32_e32 v3, 0x80000000, v3
	v_xor_b32_e32 v2, 0x80000000, v2
	ds_write_b64 v4, v[2:3] offset:20816
; %bb.687:
	s_or_b64 exec, exec, s[16:17]
	s_waitcnt lgkmcnt(0)
	s_barrier
	s_barrier
	s_and_saveexec_b64 s[16:17], s[48:49]
	s_cbranch_execz .LBB152_689
; %bb.688:
	v_lshlrev_b32_e32 v23, 3, v0
	s_movk_i32 s18, 0x1f8
	v_mad_u32_u24 v24, v0, s18, v23
	ds_read_b64 v[2:3], v24 offset:20816
	s_waitcnt lgkmcnt(0)
	ds_write_b64 v23, v[2:3] offset:21824
	ds_read_b64 v[2:3], v24 offset:20824
	s_waitcnt lgkmcnt(0)
	ds_write_b64 v23, v[2:3] offset:22336
.LBB152_689:
	s_or_b64 exec, exec, s[16:17]
	s_waitcnt lgkmcnt(0)
	s_barrier
	s_and_saveexec_b64 s[16:17], vcc
	s_cbranch_execz .LBB152_691
; %bb.690:
	v_mov_b32_e32 v25, 0
	ds_read_b64 v[2:3], v25 offset:21848
	s_mov_b64 s[18:19], 0x3f800000
	v_mov_b32_e32 v24, s19
	v_mov_b32_e32 v23, s18
	s_movk_i32 s18, 0x150
	ds_write_b64 v25, v[23:24] offset:22360
	v_add_u32_e64 v25, s18, 0
	s_waitcnt lgkmcnt(1)
	ds_write2st64_b64 v25, v[23:24], v[2:3] offset0:42 offset1:43
.LBB152_691:
	s_or_b64 exec, exec, s[16:17]
	v_mov_b32_e32 v3, 0
	v_mov_b32_e32 v2, 0
	s_waitcnt lgkmcnt(0)
	s_barrier
	s_and_saveexec_b64 s[18:19], s[10:11]
	s_cbranch_execz .LBB152_697
; %bb.692:
	v_mul_u32_u24_e32 v23, 0x208, v12
	ds_read_b64 v[2:3], v8 offset:20832
	ds_read_b64 v[24:25], v23 offset:20800
	v_cmp_gt_u32_e64 s[16:17], 12, v7
	s_waitcnt lgkmcnt(0)
	v_mul_f32_e32 v26, v25, v3
	v_mul_f32_e32 v3, v24, v3
	v_fma_f32 v24, v24, v2, -v26
	v_fmac_f32_e32 v3, v25, v2
	v_add_f32_e32 v2, 0, v24
	v_add_f32_e32 v3, 0, v3
	s_and_saveexec_b64 s[20:21], s[16:17]
	s_cbranch_execnz .LBB152_1084
; %bb.693:
	s_or_b64 exec, exec, s[20:21]
	v_cmp_gt_u32_e64 s[16:17], 8, v7
	s_and_saveexec_b64 s[20:21], s[16:17]
	s_cbranch_execnz .LBB152_1085
.LBB152_694:
	s_or_b64 exec, exec, s[20:21]
	v_cmp_gt_u32_e64 s[16:17], 4, v7
	s_and_saveexec_b64 s[20:21], s[16:17]
	s_cbranch_execz .LBB152_696
.LBB152_695:
	v_lshlrev_b32_e32 v23, 3, v0
	v_mov_b32_e32 v25, 0
	ds_read_b64 v[23:24], v23 offset:22368
	ds_read_b64 v[25:26], v25 offset:20824
	s_waitcnt lgkmcnt(0)
	v_mul_f32_e32 v27, v26, v24
	v_mul_f32_e32 v24, v25, v24
	v_fma_f32 v25, v25, v23, -v27
	v_fmac_f32_e32 v24, v26, v23
	v_add_f32_e32 v2, v2, v25
	v_add_f32_e32 v3, v3, v24
.LBB152_696:
	s_or_b64 exec, exec, s[20:21]
	v_xor_b32_e32 v2, 0x80000000, v2
	v_xor_b32_e32 v3, 0x80000000, v3
.LBB152_697:
	s_or_b64 exec, exec, s[18:19]
	s_and_saveexec_b64 s[16:17], s[52:53]
; %bb.698:
	ds_write_b64 v10, v[2:3]
; %bb.699:
	s_or_b64 exec, exec, s[16:17]
	s_waitcnt lgkmcnt(0)
	s_barrier
	s_and_saveexec_b64 s[16:17], s[54:55]
	s_cbranch_execz .LBB152_701
; %bb.700:
	ds_read_b64 v[23:24], v9 offset:22880
	ds_read_b64 v[25:26], v10
	s_waitcnt lgkmcnt(0)
	v_mul_f32_e32 v27, v26, v24
	v_mul_f32_e32 v24, v25, v24
	v_fma_f32 v25, v25, v23, -v27
	v_fmac_f32_e32 v24, v26, v23
	v_add_f32_e32 v2, v2, v25
	v_add_f32_e32 v3, v3, v24
.LBB152_701:
	s_or_b64 exec, exec, s[16:17]
	s_barrier
	s_and_saveexec_b64 s[16:17], s[56:57]
; %bb.702:
	ds_write_b64 v10, v[2:3]
; %bb.703:
	s_or_b64 exec, exec, s[16:17]
	s_waitcnt lgkmcnt(0)
	s_barrier
	s_and_saveexec_b64 s[16:17], s[58:59]
	s_cbranch_execz .LBB152_705
; %bb.704:
	ds_read_b64 v[23:24], v9 offset:23392
	ds_read_b64 v[25:26], v10
	s_waitcnt lgkmcnt(0)
	v_mul_f32_e32 v27, v26, v24
	v_mul_f32_e32 v24, v25, v24
	v_fma_f32 v25, v25, v23, -v27
	v_fmac_f32_e32 v24, v26, v23
	v_add_f32_e32 v2, v2, v25
	v_add_f32_e32 v3, v3, v24
.LBB152_705:
	s_or_b64 exec, exec, s[16:17]
	s_barrier
	s_and_saveexec_b64 s[16:17], s[60:61]
; %bb.706:
	ds_write_b64 v10, v[2:3]
; %bb.707:
	s_or_b64 exec, exec, s[16:17]
	s_waitcnt lgkmcnt(0)
	s_barrier
	s_and_saveexec_b64 s[16:17], s[50:51]
	s_cbranch_execz .LBB152_709
; %bb.708:
	v_mov_b32_e32 v23, 0
	ds_read_b64 v[23:24], v23 offset:23928
	ds_read_b64 v[25:26], v10
	s_waitcnt lgkmcnt(0)
	v_mul_f32_e32 v27, v26, v24
	v_mul_f32_e32 v24, v25, v24
	v_fma_f32 v25, v25, v23, -v27
	v_fmac_f32_e32 v24, v26, v23
	v_add_f32_e32 v2, v2, v25
	v_add_f32_e32 v3, v3, v24
.LBB152_709:
	s_or_b64 exec, exec, s[16:17]
	s_barrier
	s_and_saveexec_b64 s[16:17], s[50:51]
; %bb.710:
	ds_write_b64 v10, v[2:3]
; %bb.711:
	s_or_b64 exec, exec, s[16:17]
	s_waitcnt lgkmcnt(0)
	s_barrier
	s_barrier
	s_and_saveexec_b64 s[16:17], s[10:11]
; %bb.712:
	v_xor_b32_e32 v2, 0x80000000, v2
	v_xor_b32_e32 v3, 0x80000000, v3
	ds_write_b64 v8, v[2:3] offset:20832
; %bb.713:
	s_or_b64 exec, exec, s[16:17]
	s_waitcnt lgkmcnt(0)
	s_barrier
	s_barrier
	s_and_saveexec_b64 s[16:17], s[62:63]
	s_cbranch_execz .LBB152_715
; %bb.714:
	v_lshlrev_b32_e32 v23, 9, v0
	ds_read_b64 v[2:3], v23 offset:20832
	s_movk_i32 s18, 0xfe08
	v_mad_i32_i24 v24, v0, s18, v23
	s_waitcnt lgkmcnt(0)
	ds_write_b64 v24, v[2:3] offset:22848
	ds_read_b64 v[2:3], v23 offset:20840
	s_waitcnt lgkmcnt(0)
	ds_write_b64 v24, v[2:3] offset:23360
	ds_read_b64 v[2:3], v23 offset:20848
	;; [unrolled: 3-line block ×3, first 2 shown]
	s_waitcnt lgkmcnt(0)
	ds_write_b64 v24, v[2:3] offset:24384
.LBB152_715:
	s_or_b64 exec, exec, s[16:17]
	s_waitcnt lgkmcnt(0)
	s_barrier
	s_and_saveexec_b64 s[16:17], vcc
	s_cbranch_execz .LBB152_717
; %bb.716:
	v_mov_b32_e32 v25, 0
	ds_read_b64 v[2:3], v25 offset:22888
	s_mov_b64 s[18:19], 0x3f800000
	v_mov_b32_e32 v24, s19
	v_mov_b32_e32 v23, s18
	s_movk_i32 s18, 0x160
	ds_write_b64 v25, v[23:24] offset:23400
	v_add_u32_e64 v25, s18, 0
	s_waitcnt lgkmcnt(1)
	ds_write2st64_b64 v25, v[23:24], v[2:3] offset0:44 offset1:45
.LBB152_717:
	s_or_b64 exec, exec, s[16:17]
	v_mov_b32_e32 v3, 0
	v_mov_b32_e32 v2, 0
	s_waitcnt lgkmcnt(0)
	s_barrier
	s_and_saveexec_b64 s[18:19], s[22:23]
	s_cbranch_execz .LBB152_721
; %bb.718:
	v_mul_u32_u24_e32 v23, 0x208, v6
	ds_read_b64 v[2:3], v4 offset:22896
	ds_read_b64 v[23:24], v23 offset:22880
	v_cmp_gt_u32_e64 s[16:17], 2, v7
	s_waitcnt lgkmcnt(0)
	v_mul_f32_e32 v25, v24, v3
	v_mul_f32_e32 v3, v23, v3
	v_fma_f32 v23, v23, v2, -v25
	v_fmac_f32_e32 v3, v24, v2
	v_add_f32_e32 v2, 0, v23
	v_add_f32_e32 v3, 0, v3
	s_and_saveexec_b64 s[20:21], s[16:17]
	s_cbranch_execz .LBB152_720
; %bb.719:
	v_lshlrev_b32_e32 v23, 3, v0
	v_mov_b32_e32 v25, 0
	ds_read_b64 v[23:24], v23 offset:23408
	ds_read_b64 v[25:26], v25 offset:22888
	s_waitcnt lgkmcnt(0)
	v_mul_f32_e32 v27, v26, v24
	v_mul_f32_e32 v24, v25, v24
	v_fma_f32 v25, v25, v23, -v27
	v_fmac_f32_e32 v24, v26, v23
	v_add_f32_e32 v2, v2, v25
	v_add_f32_e32 v3, v3, v24
.LBB152_720:
	s_or_b64 exec, exec, s[20:21]
	v_xor_b32_e32 v2, 0x80000000, v2
	v_xor_b32_e32 v3, 0x80000000, v3
.LBB152_721:
	s_or_b64 exec, exec, s[18:19]
	s_and_saveexec_b64 s[16:17], s[46:47]
; %bb.722:
	ds_write_b64 v5, v[2:3]
; %bb.723:
	s_or_b64 exec, exec, s[16:17]
	s_waitcnt lgkmcnt(0)
	s_barrier
	s_and_saveexec_b64 s[16:17], s[44:45]
	s_cbranch_execz .LBB152_725
; %bb.724:
	v_mov_b32_e32 v23, 0
	ds_read_b64 v[23:24], v23 offset:23928
	ds_read_b64 v[25:26], v5
	s_waitcnt lgkmcnt(0)
	v_mul_f32_e32 v27, v26, v24
	v_mul_f32_e32 v24, v25, v24
	v_fma_f32 v25, v25, v23, -v27
	v_fmac_f32_e32 v24, v26, v23
	v_add_f32_e32 v2, v2, v25
	v_add_f32_e32 v3, v3, v24
.LBB152_725:
	s_or_b64 exec, exec, s[16:17]
	s_barrier
	s_and_saveexec_b64 s[16:17], s[44:45]
; %bb.726:
	ds_write_b64 v5, v[2:3]
; %bb.727:
	s_or_b64 exec, exec, s[16:17]
	s_waitcnt lgkmcnt(0)
	s_barrier
	s_barrier
	s_and_saveexec_b64 s[16:17], s[22:23]
; %bb.728:
	v_xor_b32_e32 v3, 0x80000000, v3
	v_xor_b32_e32 v2, 0x80000000, v2
	ds_write_b64 v4, v[2:3] offset:22896
; %bb.729:
	s_or_b64 exec, exec, s[16:17]
	s_waitcnt lgkmcnt(0)
	s_barrier
	s_barrier
	s_and_saveexec_b64 s[16:17], s[48:49]
	s_cbranch_execz .LBB152_731
; %bb.730:
	v_lshlrev_b32_e32 v23, 3, v0
	s_movk_i32 s18, 0x1f8
	v_mad_u32_u24 v24, v0, s18, v23
	ds_read_b64 v[2:3], v24 offset:22896
	s_waitcnt lgkmcnt(0)
	ds_write_b64 v23, v[2:3] offset:23904
	ds_read_b64 v[2:3], v24 offset:22904
	s_waitcnt lgkmcnt(0)
	ds_write_b64 v23, v[2:3] offset:24416
.LBB152_731:
	s_or_b64 exec, exec, s[16:17]
	s_waitcnt lgkmcnt(0)
	s_barrier
	s_and_saveexec_b64 s[16:17], vcc
	s_cbranch_execz .LBB152_733
; %bb.732:
	v_mov_b32_e32 v25, 0
	ds_read_b64 v[2:3], v25 offset:23928
	s_mov_b64 s[18:19], 0x3f800000
	v_mov_b32_e32 v24, s19
	v_mov_b32_e32 v23, s18
	s_movk_i32 s18, 0x170
	ds_write_b64 v25, v[23:24] offset:24440
	v_add_u32_e64 v25, s18, 0
	s_waitcnt lgkmcnt(1)
	ds_write2st64_b64 v25, v[23:24], v[2:3] offset0:46 offset1:47
.LBB152_733:
	s_or_b64 exec, exec, s[16:17]
	v_mov_b32_e32 v3, 0
	v_mov_b32_e32 v2, 0
	s_waitcnt lgkmcnt(0)
	s_barrier
	s_and_saveexec_b64 s[18:19], s[14:15]
	s_cbranch_execz .LBB152_761
; %bb.734:
	v_mul_u32_u24_e32 v23, 0x208, v22
	ds_read_b64 v[2:3], v18 offset:16768
	ds_read_b64 v[24:25], v23 offset:16640
	s_movk_i32 s16, 0xf0
	v_cmp_gt_u32_e64 s[16:17], s16, v7
	s_waitcnt lgkmcnt(0)
	v_mul_f32_e32 v26, v25, v3
	v_mul_f32_e32 v3, v24, v3
	v_fma_f32 v24, v24, v2, -v26
	v_fmac_f32_e32 v3, v25, v2
	v_add_f32_e32 v2, 0, v24
	v_add_f32_e32 v3, 0, v3
	s_and_saveexec_b64 s[20:21], s[16:17]
	s_cbranch_execz .LBB152_736
; %bb.735:
	v_lshlrev_b32_e32 v24, 3, v22
	v_sub_u32_e32 v24, v23, v24
	v_lshl_add_u32 v24, v19, 3, v24
	ds_read_b64 v[24:25], v24 offset:17280
	ds_read_b64 v[26:27], v23 offset:16648
	s_waitcnt lgkmcnt(0)
	v_mul_f32_e32 v28, v27, v25
	v_mul_f32_e32 v25, v26, v25
	v_fma_f32 v26, v26, v24, -v28
	v_fmac_f32_e32 v25, v27, v24
	v_add_f32_e32 v2, v2, v26
	v_add_f32_e32 v3, v3, v25
.LBB152_736:
	s_or_b64 exec, exec, s[20:21]
	s_movk_i32 s16, 0xe0
	v_cmp_gt_u32_e64 s[16:17], s16, v7
	s_and_saveexec_b64 s[20:21], s[16:17]
	s_cbranch_execz .LBB152_738
; %bb.737:
	v_lshlrev_b32_e32 v24, 3, v22
	v_sub_u32_e32 v24, v23, v24
	v_lshl_add_u32 v24, v19, 3, v24
	ds_read_b64 v[24:25], v24 offset:17792
	ds_read_b64 v[26:27], v23 offset:16656
	s_waitcnt lgkmcnt(0)
	v_mul_f32_e32 v28, v27, v25
	v_mul_f32_e32 v25, v26, v25
	v_fma_f32 v26, v26, v24, -v28
	v_fmac_f32_e32 v25, v27, v24
	v_add_f32_e32 v2, v2, v26
	v_add_f32_e32 v3, v3, v25
.LBB152_738:
	s_or_b64 exec, exec, s[20:21]
	s_movk_i32 s16, 0xd0
	v_cmp_gt_u32_e64 s[16:17], s16, v7
	;; [unrolled: 19-line block ×6, first 2 shown]
	s_and_saveexec_b64 s[20:21], s[16:17]
	s_cbranch_execz .LBB152_748
; %bb.747:
	v_lshlrev_b32_e32 v22, 3, v19
	v_lshl_add_u32 v22, v21, 3, v22
	ds_read_b64 v[24:25], v22 offset:20352
	ds_read_b64 v[26:27], v23 offset:16696
	s_waitcnt lgkmcnt(0)
	v_mul_f32_e32 v22, v27, v25
	v_mul_f32_e32 v25, v26, v25
	v_fma_f32 v22, v26, v24, -v22
	v_fmac_f32_e32 v25, v27, v24
	v_add_f32_e32 v2, v2, v22
	v_add_f32_e32 v3, v3, v25
.LBB152_748:
	s_or_b64 exec, exec, s[20:21]
	s_movk_i32 s16, 0x80
	v_cmp_gt_u32_e64 s[16:17], s16, v7
	s_and_saveexec_b64 s[20:21], s[16:17]
	s_cbranch_execz .LBB152_750
; %bb.749:
	ds_read_b64 v[24:25], v18 offset:20864
	ds_read_b64 v[26:27], v23 offset:16704
	s_waitcnt lgkmcnt(0)
	v_mul_f32_e32 v22, v27, v25
	v_mul_f32_e32 v25, v26, v25
	v_fma_f32 v22, v26, v24, -v22
	v_fmac_f32_e32 v25, v27, v24
	v_add_f32_e32 v2, v2, v22
	v_add_f32_e32 v3, v3, v25
.LBB152_750:
	s_or_b64 exec, exec, s[20:21]
	s_movk_i32 s16, 0x70
	v_cmp_gt_u32_e64 s[16:17], s16, v7
	s_and_saveexec_b64 s[20:21], s[16:17]
	s_cbranch_execz .LBB152_752
; %bb.751:
	v_lshlrev_b32_e32 v22, 3, v19
	v_lshl_add_u32 v22, v21, 3, v22
	ds_read_b64 v[24:25], v22 offset:21376
	ds_read_b64 v[26:27], v23 offset:16712
	s_waitcnt lgkmcnt(0)
	v_mul_f32_e32 v22, v27, v25
	v_mul_f32_e32 v25, v26, v25
	v_fma_f32 v22, v26, v24, -v22
	v_fmac_f32_e32 v25, v27, v24
	v_add_f32_e32 v2, v2, v22
	v_add_f32_e32 v3, v3, v25
.LBB152_752:
	s_or_b64 exec, exec, s[20:21]
	s_movk_i32 s16, 0x60
	v_cmp_gt_u32_e64 s[16:17], s16, v7
	s_and_saveexec_b64 s[20:21], s[16:17]
	s_cbranch_execz .LBB152_754
; %bb.753:
	v_lshlrev_b32_e32 v22, 3, v19
	v_lshl_add_u32 v22, v21, 3, v22
	ds_read_b64 v[24:25], v22 offset:21888
	ds_read_b64 v[26:27], v23 offset:16720
	s_waitcnt lgkmcnt(0)
	v_mul_f32_e32 v22, v27, v25
	v_mul_f32_e32 v25, v26, v25
	v_fma_f32 v22, v26, v24, -v22
	v_fmac_f32_e32 v25, v27, v24
	v_add_f32_e32 v2, v2, v22
	v_add_f32_e32 v3, v3, v25
.LBB152_754:
	s_or_b64 exec, exec, s[20:21]
	s_movk_i32 s16, 0x50
	v_cmp_gt_u32_e64 s[16:17], s16, v7
	s_and_saveexec_b64 s[20:21], s[16:17]
	s_cbranch_execnz .LBB152_1086
; %bb.755:
	s_or_b64 exec, exec, s[20:21]
	v_cmp_gt_u32_e64 s[16:17], 64, v7
	s_and_saveexec_b64 s[20:21], s[16:17]
	s_cbranch_execnz .LBB152_1087
.LBB152_756:
	s_or_b64 exec, exec, s[20:21]
	v_cmp_gt_u32_e64 s[16:17], 48, v7
	s_and_saveexec_b64 s[20:21], s[16:17]
	s_cbranch_execnz .LBB152_1088
.LBB152_757:
	s_or_b64 exec, exec, s[20:21]
	v_cmp_gt_u32_e64 s[16:17], 32, v7
	s_and_saveexec_b64 s[20:21], s[16:17]
	s_cbranch_execnz .LBB152_1089
.LBB152_758:
	s_or_b64 exec, exec, s[20:21]
	v_cmp_gt_u32_e64 s[16:17], 16, v7
	s_and_saveexec_b64 s[20:21], s[16:17]
	s_cbranch_execz .LBB152_760
.LBB152_759:
	v_lshlrev_b32_e32 v21, 3, v0
	v_mov_b32_e32 v23, 0
	ds_read_b64 v[21:22], v21 offset:24448
	ds_read_b64 v[23:24], v23 offset:16760
	s_waitcnt lgkmcnt(0)
	v_mul_f32_e32 v25, v24, v22
	v_mul_f32_e32 v22, v23, v22
	v_fma_f32 v23, v23, v21, -v25
	v_fmac_f32_e32 v22, v24, v21
	v_add_f32_e32 v2, v2, v23
	v_add_f32_e32 v3, v3, v22
.LBB152_760:
	s_or_b64 exec, exec, s[20:21]
	v_xor_b32_e32 v2, 0x80000000, v2
	v_xor_b32_e32 v3, 0x80000000, v3
.LBB152_761:
	s_or_b64 exec, exec, s[18:19]
	s_mov_b64 s[16:17], exec
	v_readlane_b32 s18, v34, 4
	v_readlane_b32 s19, v34, 5
	s_and_b64 s[18:19], s[16:17], s[18:19]
	s_mov_b64 exec, s[18:19]
; %bb.762:
	ds_write_b64 v20, v[2:3]
; %bb.763:
	s_or_b64 exec, exec, s[16:17]
	s_waitcnt lgkmcnt(0)
	s_barrier
	s_mov_b64 s[16:17], exec
	v_readlane_b32 s18, v34, 6
	v_readlane_b32 s19, v34, 7
	s_and_b64 s[18:19], s[16:17], s[18:19]
	s_mov_b64 exec, s[18:19]
	s_cbranch_execz .LBB152_765
; %bb.764:
	v_lshlrev_b32_e32 v21, 3, v19
	ds_read_b64 v[21:22], v21 offset:24960
	ds_read_b64 v[23:24], v20
	s_waitcnt lgkmcnt(0)
	v_mul_f32_e32 v25, v24, v22
	v_mul_f32_e32 v22, v23, v22
	v_fma_f32 v23, v23, v21, -v25
	v_fmac_f32_e32 v22, v24, v21
	v_add_f32_e32 v2, v2, v23
	v_add_f32_e32 v3, v3, v22
.LBB152_765:
	s_or_b64 exec, exec, s[16:17]
	s_barrier
	s_mov_b64 s[16:17], exec
	v_readlane_b32 s18, v34, 8
	v_readlane_b32 s19, v34, 9
	s_and_b64 s[18:19], s[16:17], s[18:19]
	s_mov_b64 exec, s[18:19]
; %bb.766:
	ds_write_b64 v20, v[2:3]
; %bb.767:
	s_or_b64 exec, exec, s[16:17]
	s_waitcnt lgkmcnt(0)
	s_barrier
	s_mov_b64 s[16:17], exec
	v_readlane_b32 s18, v34, 10
	v_readlane_b32 s19, v34, 11
	s_and_b64 s[18:19], s[16:17], s[18:19]
	s_mov_b64 exec, s[18:19]
	s_cbranch_execz .LBB152_769
; %bb.768:
	v_lshlrev_b32_e32 v21, 3, v19
	ds_read_b64 v[21:22], v21 offset:25472
	ds_read_b64 v[23:24], v20
	s_waitcnt lgkmcnt(0)
	v_mul_f32_e32 v25, v24, v22
	v_mul_f32_e32 v22, v23, v22
	v_fma_f32 v23, v23, v21, -v25
	v_fmac_f32_e32 v22, v24, v21
	v_add_f32_e32 v2, v2, v23
	v_add_f32_e32 v3, v3, v22
.LBB152_769:
	s_or_b64 exec, exec, s[16:17]
	s_barrier
	;; [unrolled: 31-line block ×14, first 2 shown]
	s_mov_b64 s[16:17], exec
	v_readlane_b32 s18, v34, 60
	v_readlane_b32 s19, v34, 61
	s_and_b64 s[18:19], s[16:17], s[18:19]
	s_mov_b64 exec, s[18:19]
; %bb.818:
	ds_write_b64 v20, v[2:3]
; %bb.819:
	s_or_b64 exec, exec, s[16:17]
	s_waitcnt lgkmcnt(0)
	s_barrier
	s_and_saveexec_b64 s[16:17], s[6:7]
	s_cbranch_execz .LBB152_821
; %bb.820:
	v_mov_b32_e32 v19, 0
	ds_read_b64 v[21:22], v19 offset:32248
	ds_read_b64 v[23:24], v20
	s_waitcnt lgkmcnt(0)
	v_mul_f32_e32 v19, v24, v22
	v_mul_f32_e32 v22, v23, v22
	v_fma_f32 v19, v23, v21, -v19
	v_fmac_f32_e32 v22, v24, v21
	v_add_f32_e32 v2, v2, v19
	v_add_f32_e32 v3, v3, v22
.LBB152_821:
	s_or_b64 exec, exec, s[16:17]
	s_barrier
	s_and_saveexec_b64 s[16:17], s[6:7]
; %bb.822:
	ds_write_b64 v20, v[2:3]
; %bb.823:
	s_or_b64 exec, exec, s[16:17]
	s_waitcnt lgkmcnt(0)
	s_barrier
	s_barrier
	s_and_saveexec_b64 s[6:7], s[14:15]
; %bb.824:
	v_xor_b32_e32 v2, 0x80000000, v2
	v_xor_b32_e32 v3, 0x80000000, v3
	ds_write_b64 v18, v[2:3] offset:16768
; %bb.825:
	s_or_b64 exec, exec, s[6:7]
	s_waitcnt lgkmcnt(0)
	s_barrier
	s_barrier
	s_mov_b64 s[6:7], exec
	v_readlane_b32 s14, v34, 62
	v_readlane_b32 s15, v34, 63
	s_and_b64 s[14:15], s[6:7], s[14:15]
	s_mov_b64 exec, s[14:15]
	s_cbranch_execz .LBB152_827
; %bb.826:
	v_lshlrev_b32_e32 v18, 9, v0
	ds_read_b64 v[2:3], v18 offset:16768
	s_movk_i32 s14, 0xfe08
	v_mad_i32_i24 v19, v0, s14, v18
	s_waitcnt lgkmcnt(0)
	ds_write_b64 v19, v[2:3] offset:24832
	ds_read_b64 v[2:3], v18 offset:16776
	s_waitcnt lgkmcnt(0)
	ds_write_b64 v19, v[2:3] offset:25344
	ds_read_b64 v[2:3], v18 offset:16784
	;; [unrolled: 3-line block ×15, first 2 shown]
	s_waitcnt lgkmcnt(0)
	ds_write_b64 v19, v[2:3] offset:32512
.LBB152_827:
	s_or_b64 exec, exec, s[6:7]
	s_waitcnt lgkmcnt(0)
	s_barrier
	s_and_saveexec_b64 s[6:7], vcc
	s_cbranch_execz .LBB152_829
; %bb.828:
	v_mov_b32_e32 v20, 0
	ds_read_b64 v[2:3], v20 offset:24968
	s_mov_b64 s[14:15], 0x3f800000
	v_mov_b32_e32 v19, s15
	v_mov_b32_e32 v18, s14
	s_movk_i32 s14, 0x180
	ds_write_b64 v20, v[18:19] offset:25480
	v_add_u32_e64 v20, s14, 0
	s_waitcnt lgkmcnt(1)
	ds_write2st64_b64 v20, v[18:19], v[2:3] offset0:48 offset1:49
.LBB152_829:
	s_or_b64 exec, exec, s[6:7]
	v_mov_b32_e32 v3, 0
	v_mov_b32_e32 v2, 0
	s_waitcnt lgkmcnt(0)
	s_barrier
	s_and_saveexec_b64 s[6:7], s[22:23]
	s_cbranch_execz .LBB152_833
; %bb.830:
	v_mul_u32_u24_e32 v18, 0x208, v6
	ds_read_b64 v[2:3], v4 offset:24976
	ds_read_b64 v[18:19], v18 offset:24960
	v_cmp_gt_u32_e64 s[14:15], 2, v7
	s_waitcnt lgkmcnt(0)
	v_mul_f32_e32 v20, v19, v3
	v_mul_f32_e32 v3, v18, v3
	v_fma_f32 v18, v18, v2, -v20
	v_fmac_f32_e32 v3, v19, v2
	v_add_f32_e32 v2, 0, v18
	v_add_f32_e32 v3, 0, v3
	s_and_saveexec_b64 s[16:17], s[14:15]
	s_cbranch_execz .LBB152_832
; %bb.831:
	v_lshlrev_b32_e32 v18, 3, v0
	v_mov_b32_e32 v20, 0
	ds_read_b64 v[18:19], v18 offset:25488
	ds_read_b64 v[20:21], v20 offset:24968
	s_waitcnt lgkmcnt(0)
	v_mul_f32_e32 v22, v21, v19
	v_mul_f32_e32 v19, v20, v19
	v_fma_f32 v20, v20, v18, -v22
	v_fmac_f32_e32 v19, v21, v18
	v_add_f32_e32 v2, v2, v20
	v_add_f32_e32 v3, v3, v19
.LBB152_832:
	s_or_b64 exec, exec, s[16:17]
	v_xor_b32_e32 v2, 0x80000000, v2
	v_xor_b32_e32 v3, 0x80000000, v3
.LBB152_833:
	s_or_b64 exec, exec, s[6:7]
	s_and_saveexec_b64 s[6:7], s[46:47]
; %bb.834:
	ds_write_b64 v5, v[2:3]
; %bb.835:
	s_or_b64 exec, exec, s[6:7]
	s_waitcnt lgkmcnt(0)
	s_barrier
	s_and_saveexec_b64 s[6:7], s[44:45]
	s_cbranch_execz .LBB152_837
; %bb.836:
	v_mov_b32_e32 v18, 0
	ds_read_b64 v[18:19], v18 offset:26008
	ds_read_b64 v[20:21], v5
	s_waitcnt lgkmcnt(0)
	v_mul_f32_e32 v22, v21, v19
	v_mul_f32_e32 v19, v20, v19
	v_fma_f32 v20, v20, v18, -v22
	v_fmac_f32_e32 v19, v21, v18
	v_add_f32_e32 v2, v2, v20
	v_add_f32_e32 v3, v3, v19
.LBB152_837:
	s_or_b64 exec, exec, s[6:7]
	s_barrier
	s_and_saveexec_b64 s[6:7], s[44:45]
; %bb.838:
	ds_write_b64 v5, v[2:3]
; %bb.839:
	s_or_b64 exec, exec, s[6:7]
	s_waitcnt lgkmcnt(0)
	s_barrier
	s_barrier
	s_and_saveexec_b64 s[6:7], s[22:23]
; %bb.840:
	v_xor_b32_e32 v3, 0x80000000, v3
	v_xor_b32_e32 v2, 0x80000000, v2
	ds_write_b64 v4, v[2:3] offset:24976
; %bb.841:
	s_or_b64 exec, exec, s[6:7]
	s_waitcnt lgkmcnt(0)
	s_barrier
	s_barrier
	s_and_saveexec_b64 s[6:7], s[48:49]
	s_cbranch_execz .LBB152_843
; %bb.842:
	v_lshlrev_b32_e32 v18, 3, v0
	s_movk_i32 s14, 0x1f8
	v_mad_u32_u24 v19, v0, s14, v18
	ds_read_b64 v[2:3], v19 offset:24976
	s_waitcnt lgkmcnt(0)
	ds_write_b64 v18, v[2:3] offset:25984
	ds_read_b64 v[2:3], v19 offset:24984
	s_waitcnt lgkmcnt(0)
	ds_write_b64 v18, v[2:3] offset:26496
.LBB152_843:
	s_or_b64 exec, exec, s[6:7]
	s_waitcnt lgkmcnt(0)
	s_barrier
	s_and_saveexec_b64 s[6:7], vcc
	s_cbranch_execz .LBB152_845
; %bb.844:
	v_mov_b32_e32 v20, 0
	ds_read_b64 v[2:3], v20 offset:26008
	s_mov_b64 s[14:15], 0x3f800000
	v_mov_b32_e32 v19, s15
	v_mov_b32_e32 v18, s14
	s_movk_i32 s14, 0x190
	ds_write_b64 v20, v[18:19] offset:26520
	v_add_u32_e64 v20, s14, 0
	s_waitcnt lgkmcnt(1)
	ds_write2st64_b64 v20, v[18:19], v[2:3] offset0:50 offset1:51
.LBB152_845:
	s_or_b64 exec, exec, s[6:7]
	v_mov_b32_e32 v3, 0
	v_mov_b32_e32 v2, 0
	s_waitcnt lgkmcnt(0)
	s_barrier
	s_and_saveexec_b64 s[6:7], s[10:11]
	s_cbranch_execz .LBB152_851
; %bb.846:
	v_mul_u32_u24_e32 v18, 0x208, v12
	ds_read_b64 v[2:3], v8 offset:24992
	ds_read_b64 v[19:20], v18 offset:24960
	v_cmp_gt_u32_e64 s[14:15], 12, v7
	s_waitcnt lgkmcnt(0)
	v_mul_f32_e32 v21, v20, v3
	v_mul_f32_e32 v3, v19, v3
	v_fma_f32 v19, v19, v2, -v21
	v_fmac_f32_e32 v3, v20, v2
	v_add_f32_e32 v2, 0, v19
	v_add_f32_e32 v3, 0, v3
	s_and_saveexec_b64 s[16:17], s[14:15]
	s_cbranch_execnz .LBB152_1090
; %bb.847:
	s_or_b64 exec, exec, s[16:17]
	v_cmp_gt_u32_e64 s[14:15], 8, v7
	s_and_saveexec_b64 s[16:17], s[14:15]
	s_cbranch_execnz .LBB152_1091
.LBB152_848:
	s_or_b64 exec, exec, s[16:17]
	v_cmp_gt_u32_e64 s[14:15], 4, v7
	s_and_saveexec_b64 s[16:17], s[14:15]
	s_cbranch_execz .LBB152_850
.LBB152_849:
	v_lshlrev_b32_e32 v18, 3, v0
	v_mov_b32_e32 v20, 0
	ds_read_b64 v[18:19], v18 offset:26528
	ds_read_b64 v[20:21], v20 offset:24984
	s_waitcnt lgkmcnt(0)
	v_mul_f32_e32 v22, v21, v19
	v_mul_f32_e32 v19, v20, v19
	v_fma_f32 v20, v20, v18, -v22
	v_fmac_f32_e32 v19, v21, v18
	v_add_f32_e32 v2, v2, v20
	v_add_f32_e32 v3, v3, v19
.LBB152_850:
	s_or_b64 exec, exec, s[16:17]
	v_xor_b32_e32 v2, 0x80000000, v2
	v_xor_b32_e32 v3, 0x80000000, v3
.LBB152_851:
	s_or_b64 exec, exec, s[6:7]
	s_and_saveexec_b64 s[6:7], s[52:53]
; %bb.852:
	ds_write_b64 v10, v[2:3]
; %bb.853:
	s_or_b64 exec, exec, s[6:7]
	s_waitcnt lgkmcnt(0)
	s_barrier
	s_and_saveexec_b64 s[6:7], s[54:55]
	s_cbranch_execz .LBB152_855
; %bb.854:
	ds_read_b64 v[18:19], v9 offset:27040
	ds_read_b64 v[20:21], v10
	s_waitcnt lgkmcnt(0)
	v_mul_f32_e32 v22, v21, v19
	v_mul_f32_e32 v19, v20, v19
	v_fma_f32 v20, v20, v18, -v22
	v_fmac_f32_e32 v19, v21, v18
	v_add_f32_e32 v2, v2, v20
	v_add_f32_e32 v3, v3, v19
.LBB152_855:
	s_or_b64 exec, exec, s[6:7]
	s_barrier
	s_and_saveexec_b64 s[6:7], s[56:57]
; %bb.856:
	ds_write_b64 v10, v[2:3]
; %bb.857:
	s_or_b64 exec, exec, s[6:7]
	s_waitcnt lgkmcnt(0)
	s_barrier
	s_and_saveexec_b64 s[6:7], s[58:59]
	s_cbranch_execz .LBB152_859
; %bb.858:
	ds_read_b64 v[18:19], v9 offset:27552
	ds_read_b64 v[20:21], v10
	s_waitcnt lgkmcnt(0)
	v_mul_f32_e32 v22, v21, v19
	v_mul_f32_e32 v19, v20, v19
	v_fma_f32 v20, v20, v18, -v22
	v_fmac_f32_e32 v19, v21, v18
	v_add_f32_e32 v2, v2, v20
	v_add_f32_e32 v3, v3, v19
.LBB152_859:
	s_or_b64 exec, exec, s[6:7]
	s_barrier
	s_and_saveexec_b64 s[6:7], s[60:61]
; %bb.860:
	ds_write_b64 v10, v[2:3]
; %bb.861:
	s_or_b64 exec, exec, s[6:7]
	s_waitcnt lgkmcnt(0)
	s_barrier
	s_and_saveexec_b64 s[6:7], s[50:51]
	s_cbranch_execz .LBB152_863
; %bb.862:
	v_mov_b32_e32 v18, 0
	ds_read_b64 v[18:19], v18 offset:28088
	ds_read_b64 v[20:21], v10
	s_waitcnt lgkmcnt(0)
	v_mul_f32_e32 v22, v21, v19
	v_mul_f32_e32 v19, v20, v19
	v_fma_f32 v20, v20, v18, -v22
	v_fmac_f32_e32 v19, v21, v18
	v_add_f32_e32 v2, v2, v20
	v_add_f32_e32 v3, v3, v19
.LBB152_863:
	s_or_b64 exec, exec, s[6:7]
	s_barrier
	s_and_saveexec_b64 s[6:7], s[50:51]
; %bb.864:
	ds_write_b64 v10, v[2:3]
; %bb.865:
	s_or_b64 exec, exec, s[6:7]
	s_waitcnt lgkmcnt(0)
	s_barrier
	s_barrier
	s_and_saveexec_b64 s[6:7], s[10:11]
; %bb.866:
	v_xor_b32_e32 v2, 0x80000000, v2
	v_xor_b32_e32 v3, 0x80000000, v3
	ds_write_b64 v8, v[2:3] offset:24992
; %bb.867:
	s_or_b64 exec, exec, s[6:7]
	s_waitcnt lgkmcnt(0)
	s_barrier
	s_barrier
	s_and_saveexec_b64 s[6:7], s[62:63]
	s_cbranch_execz .LBB152_869
; %bb.868:
	v_lshlrev_b32_e32 v18, 9, v0
	ds_read_b64 v[2:3], v18 offset:24992
	s_movk_i32 s14, 0xfe08
	v_mad_i32_i24 v19, v0, s14, v18
	s_waitcnt lgkmcnt(0)
	ds_write_b64 v19, v[2:3] offset:27008
	ds_read_b64 v[2:3], v18 offset:25000
	s_waitcnt lgkmcnt(0)
	ds_write_b64 v19, v[2:3] offset:27520
	ds_read_b64 v[2:3], v18 offset:25008
	;; [unrolled: 3-line block ×3, first 2 shown]
	s_waitcnt lgkmcnt(0)
	ds_write_b64 v19, v[2:3] offset:28544
.LBB152_869:
	s_or_b64 exec, exec, s[6:7]
	s_waitcnt lgkmcnt(0)
	s_barrier
	s_and_saveexec_b64 s[6:7], vcc
	s_cbranch_execz .LBB152_871
; %bb.870:
	v_mov_b32_e32 v20, 0
	ds_read_b64 v[2:3], v20 offset:27048
	s_mov_b64 s[14:15], 0x3f800000
	v_mov_b32_e32 v19, s15
	v_mov_b32_e32 v18, s14
	s_movk_i32 s14, 0x1a0
	ds_write_b64 v20, v[18:19] offset:27560
	v_add_u32_e64 v20, s14, 0
	s_waitcnt lgkmcnt(1)
	ds_write2st64_b64 v20, v[18:19], v[2:3] offset0:52 offset1:53
.LBB152_871:
	s_or_b64 exec, exec, s[6:7]
	v_mov_b32_e32 v3, 0
	v_mov_b32_e32 v2, 0
	s_waitcnt lgkmcnt(0)
	s_barrier
	s_and_saveexec_b64 s[6:7], s[22:23]
	s_cbranch_execz .LBB152_875
; %bb.872:
	v_mul_u32_u24_e32 v18, 0x208, v6
	ds_read_b64 v[2:3], v4 offset:27056
	ds_read_b64 v[18:19], v18 offset:27040
	v_cmp_gt_u32_e64 s[14:15], 2, v7
	s_waitcnt lgkmcnt(0)
	v_mul_f32_e32 v20, v19, v3
	v_mul_f32_e32 v3, v18, v3
	v_fma_f32 v18, v18, v2, -v20
	v_fmac_f32_e32 v3, v19, v2
	v_add_f32_e32 v2, 0, v18
	v_add_f32_e32 v3, 0, v3
	s_and_saveexec_b64 s[16:17], s[14:15]
	s_cbranch_execz .LBB152_874
; %bb.873:
	v_lshlrev_b32_e32 v18, 3, v0
	v_mov_b32_e32 v20, 0
	ds_read_b64 v[18:19], v18 offset:27568
	ds_read_b64 v[20:21], v20 offset:27048
	s_waitcnt lgkmcnt(0)
	v_mul_f32_e32 v22, v21, v19
	v_mul_f32_e32 v19, v20, v19
	v_fma_f32 v20, v20, v18, -v22
	v_fmac_f32_e32 v19, v21, v18
	v_add_f32_e32 v2, v2, v20
	v_add_f32_e32 v3, v3, v19
.LBB152_874:
	s_or_b64 exec, exec, s[16:17]
	v_xor_b32_e32 v2, 0x80000000, v2
	v_xor_b32_e32 v3, 0x80000000, v3
.LBB152_875:
	s_or_b64 exec, exec, s[6:7]
	s_and_saveexec_b64 s[6:7], s[46:47]
; %bb.876:
	ds_write_b64 v5, v[2:3]
; %bb.877:
	s_or_b64 exec, exec, s[6:7]
	s_waitcnt lgkmcnt(0)
	s_barrier
	s_and_saveexec_b64 s[6:7], s[44:45]
	s_cbranch_execz .LBB152_879
; %bb.878:
	v_mov_b32_e32 v18, 0
	ds_read_b64 v[18:19], v18 offset:28088
	ds_read_b64 v[20:21], v5
	s_waitcnt lgkmcnt(0)
	v_mul_f32_e32 v22, v21, v19
	v_mul_f32_e32 v19, v20, v19
	v_fma_f32 v20, v20, v18, -v22
	v_fmac_f32_e32 v19, v21, v18
	v_add_f32_e32 v2, v2, v20
	v_add_f32_e32 v3, v3, v19
.LBB152_879:
	s_or_b64 exec, exec, s[6:7]
	s_barrier
	s_and_saveexec_b64 s[6:7], s[44:45]
; %bb.880:
	ds_write_b64 v5, v[2:3]
; %bb.881:
	s_or_b64 exec, exec, s[6:7]
	s_waitcnt lgkmcnt(0)
	s_barrier
	s_barrier
	s_and_saveexec_b64 s[6:7], s[22:23]
; %bb.882:
	v_xor_b32_e32 v3, 0x80000000, v3
	v_xor_b32_e32 v2, 0x80000000, v2
	ds_write_b64 v4, v[2:3] offset:27056
; %bb.883:
	s_or_b64 exec, exec, s[6:7]
	s_waitcnt lgkmcnt(0)
	s_barrier
	s_barrier
	s_and_saveexec_b64 s[6:7], s[48:49]
	s_cbranch_execz .LBB152_885
; %bb.884:
	v_lshlrev_b32_e32 v18, 3, v0
	s_movk_i32 s14, 0x1f8
	v_mad_u32_u24 v19, v0, s14, v18
	ds_read_b64 v[2:3], v19 offset:27056
	s_waitcnt lgkmcnt(0)
	ds_write_b64 v18, v[2:3] offset:28064
	ds_read_b64 v[2:3], v19 offset:27064
	s_waitcnt lgkmcnt(0)
	ds_write_b64 v18, v[2:3] offset:28576
.LBB152_885:
	s_or_b64 exec, exec, s[6:7]
	s_waitcnt lgkmcnt(0)
	s_barrier
	s_and_saveexec_b64 s[6:7], vcc
	s_cbranch_execz .LBB152_887
; %bb.886:
	v_mov_b32_e32 v20, 0
	ds_read_b64 v[2:3], v20 offset:28088
	s_mov_b64 s[14:15], 0x3f800000
	v_mov_b32_e32 v19, s15
	v_mov_b32_e32 v18, s14
	s_movk_i32 s14, 0x1b0
	ds_write_b64 v20, v[18:19] offset:28600
	v_add_u32_e64 v20, s14, 0
	s_waitcnt lgkmcnt(1)
	ds_write2st64_b64 v20, v[18:19], v[2:3] offset0:54 offset1:55
.LBB152_887:
	s_or_b64 exec, exec, s[6:7]
	v_mov_b32_e32 v3, 0
	v_mov_b32_e32 v2, 0
	s_waitcnt lgkmcnt(0)
	s_barrier
	s_and_saveexec_b64 s[6:7], s[12:13]
	s_cbranch_execz .LBB152_897
; %bb.888:
	v_mul_u32_u24_e32 v18, 0x208, v17
	ds_read_b64 v[2:3], v13 offset:25024
	ds_read_b64 v[19:20], v18 offset:24960
	v_cmp_gt_u32_e64 s[14:15], 56, v7
	s_waitcnt lgkmcnt(0)
	v_mul_f32_e32 v21, v20, v3
	v_mul_f32_e32 v3, v19, v3
	v_fma_f32 v19, v19, v2, -v21
	v_fmac_f32_e32 v3, v20, v2
	v_add_f32_e32 v2, 0, v19
	v_add_f32_e32 v3, 0, v3
	s_and_saveexec_b64 s[16:17], s[14:15]
	s_cbranch_execnz .LBB152_1092
; %bb.889:
	s_or_b64 exec, exec, s[16:17]
	v_cmp_gt_u32_e64 s[14:15], 48, v7
	s_and_saveexec_b64 s[16:17], s[14:15]
	s_cbranch_execnz .LBB152_1093
.LBB152_890:
	s_or_b64 exec, exec, s[16:17]
	v_cmp_gt_u32_e64 s[14:15], 40, v7
	s_and_saveexec_b64 s[16:17], s[14:15]
	s_cbranch_execnz .LBB152_1094
.LBB152_891:
	s_or_b64 exec, exec, s[16:17]
	v_cmp_gt_u32_e64 s[14:15], 32, v7
	s_and_saveexec_b64 s[16:17], s[14:15]
	s_cbranch_execnz .LBB152_1095
.LBB152_892:
	s_or_b64 exec, exec, s[16:17]
	v_cmp_gt_u32_e64 s[14:15], 24, v7
	s_and_saveexec_b64 s[16:17], s[14:15]
	s_cbranch_execnz .LBB152_1096
.LBB152_893:
	s_or_b64 exec, exec, s[16:17]
	v_cmp_gt_u32_e64 s[14:15], 16, v7
	s_and_saveexec_b64 s[16:17], s[14:15]
	s_cbranch_execnz .LBB152_1097
.LBB152_894:
	s_or_b64 exec, exec, s[16:17]
	v_cmp_gt_u32_e64 s[14:15], 8, v7
	s_and_saveexec_b64 s[16:17], s[14:15]
	s_cbranch_execz .LBB152_896
.LBB152_895:
	v_lshlrev_b32_e32 v16, 3, v0
	v_mov_b32_e32 v18, 0
	ds_read_b64 v[16:17], v16 offset:28608
	ds_read_b64 v[18:19], v18 offset:25016
	s_waitcnt lgkmcnt(0)
	v_mul_f32_e32 v20, v19, v17
	v_mul_f32_e32 v17, v18, v17
	v_fma_f32 v18, v18, v16, -v20
	v_fmac_f32_e32 v17, v19, v16
	v_add_f32_e32 v2, v2, v18
	v_add_f32_e32 v3, v3, v17
.LBB152_896:
	s_or_b64 exec, exec, s[16:17]
	v_xor_b32_e32 v2, 0x80000000, v2
	v_xor_b32_e32 v3, 0x80000000, v3
.LBB152_897:
	s_or_b64 exec, exec, s[6:7]
	s_and_saveexec_b64 s[6:7], s[66:67]
; %bb.898:
	ds_write_b64 v15, v[2:3]
; %bb.899:
	s_or_b64 exec, exec, s[6:7]
	s_waitcnt lgkmcnt(0)
	s_barrier
	s_and_saveexec_b64 s[6:7], s[68:69]
	s_cbranch_execz .LBB152_901
; %bb.900:
	ds_read_b64 v[16:17], v14 offset:29120
	ds_read_b64 v[18:19], v15
	s_waitcnt lgkmcnt(0)
	v_mul_f32_e32 v20, v19, v17
	v_mul_f32_e32 v17, v18, v17
	v_fma_f32 v18, v18, v16, -v20
	v_fmac_f32_e32 v17, v19, v16
	v_add_f32_e32 v2, v2, v18
	v_add_f32_e32 v3, v3, v17
.LBB152_901:
	s_or_b64 exec, exec, s[6:7]
	s_barrier
	s_and_saveexec_b64 s[6:7], s[70:71]
; %bb.902:
	ds_write_b64 v15, v[2:3]
; %bb.903:
	s_or_b64 exec, exec, s[6:7]
	s_waitcnt lgkmcnt(0)
	s_barrier
	s_and_saveexec_b64 s[6:7], s[72:73]
	s_cbranch_execz .LBB152_905
; %bb.904:
	ds_read_b64 v[16:17], v14 offset:29632
	ds_read_b64 v[18:19], v15
	s_waitcnt lgkmcnt(0)
	v_mul_f32_e32 v20, v19, v17
	v_mul_f32_e32 v17, v18, v17
	v_fma_f32 v18, v18, v16, -v20
	v_fmac_f32_e32 v17, v19, v16
	v_add_f32_e32 v2, v2, v18
	v_add_f32_e32 v3, v3, v17
.LBB152_905:
	s_or_b64 exec, exec, s[6:7]
	s_barrier
	;; [unrolled: 22-line block ×6, first 2 shown]
	s_and_saveexec_b64 s[6:7], s[90:91]
; %bb.922:
	ds_write_b64 v15, v[2:3]
; %bb.923:
	s_or_b64 exec, exec, s[6:7]
	s_waitcnt lgkmcnt(0)
	s_barrier
	s_and_saveexec_b64 s[6:7], s[64:65]
	s_cbranch_execz .LBB152_925
; %bb.924:
	v_mov_b32_e32 v14, 0
	ds_read_b64 v[16:17], v14 offset:32248
	ds_read_b64 v[18:19], v15
	s_waitcnt lgkmcnt(0)
	v_mul_f32_e32 v14, v19, v17
	v_mul_f32_e32 v17, v18, v17
	v_fma_f32 v14, v18, v16, -v14
	v_fmac_f32_e32 v17, v19, v16
	v_add_f32_e32 v2, v2, v14
	v_add_f32_e32 v3, v3, v17
.LBB152_925:
	s_or_b64 exec, exec, s[6:7]
	s_barrier
	s_and_saveexec_b64 s[6:7], s[64:65]
; %bb.926:
	ds_write_b64 v15, v[2:3]
; %bb.927:
	s_or_b64 exec, exec, s[6:7]
	s_waitcnt lgkmcnt(0)
	s_barrier
	s_barrier
	s_and_saveexec_b64 s[6:7], s[12:13]
; %bb.928:
	v_xor_b32_e32 v3, 0x80000000, v3
	v_xor_b32_e32 v2, 0x80000000, v2
	ds_write_b64 v13, v[2:3] offset:25024
; %bb.929:
	s_or_b64 exec, exec, s[6:7]
	s_waitcnt lgkmcnt(0)
	s_barrier
	s_barrier
	s_and_saveexec_b64 s[6:7], s[92:93]
	s_cbranch_execz .LBB152_931
; %bb.930:
	v_lshlrev_b32_e32 v13, 9, v0
	ds_read_b64 v[2:3], v13 offset:25024
	s_movk_i32 s12, 0xfe08
	v_mad_i32_i24 v14, v0, s12, v13
	s_waitcnt lgkmcnt(0)
	ds_write_b64 v14, v[2:3] offset:29056
	ds_read_b64 v[2:3], v13 offset:25032
	s_waitcnt lgkmcnt(0)
	ds_write_b64 v14, v[2:3] offset:29568
	ds_read_b64 v[2:3], v13 offset:25040
	;; [unrolled: 3-line block ×7, first 2 shown]
	s_waitcnt lgkmcnt(0)
	ds_write_b64 v14, v[2:3] offset:32640
.LBB152_931:
	s_or_b64 exec, exec, s[6:7]
	s_waitcnt lgkmcnt(0)
	s_barrier
	s_and_saveexec_b64 s[6:7], vcc
	s_cbranch_execz .LBB152_933
; %bb.932:
	v_mov_b32_e32 v15, 0
	ds_read_b64 v[2:3], v15 offset:29128
	s_mov_b64 s[12:13], 0x3f800000
	v_mov_b32_e32 v14, s13
	v_mov_b32_e32 v13, s12
	s_movk_i32 s12, 0x1c0
	ds_write_b64 v15, v[13:14] offset:29640
	v_add_u32_e64 v15, s12, 0
	s_waitcnt lgkmcnt(1)
	ds_write2st64_b64 v15, v[13:14], v[2:3] offset0:56 offset1:57
.LBB152_933:
	s_or_b64 exec, exec, s[6:7]
	v_mov_b32_e32 v3, 0
	v_mov_b32_e32 v2, 0
	s_waitcnt lgkmcnt(0)
	s_barrier
	s_and_saveexec_b64 s[6:7], s[22:23]
	s_cbranch_execz .LBB152_937
; %bb.934:
	v_mul_u32_u24_e32 v13, 0x208, v6
	ds_read_b64 v[2:3], v4 offset:29136
	ds_read_b64 v[13:14], v13 offset:29120
	v_cmp_gt_u32_e64 s[12:13], 2, v7
	s_waitcnt lgkmcnt(0)
	v_mul_f32_e32 v15, v14, v3
	v_mul_f32_e32 v3, v13, v3
	v_fma_f32 v13, v13, v2, -v15
	v_fmac_f32_e32 v3, v14, v2
	v_add_f32_e32 v2, 0, v13
	v_add_f32_e32 v3, 0, v3
	s_and_saveexec_b64 s[14:15], s[12:13]
	s_cbranch_execz .LBB152_936
; %bb.935:
	v_lshlrev_b32_e32 v13, 3, v0
	v_mov_b32_e32 v15, 0
	ds_read_b64 v[13:14], v13 offset:29648
	ds_read_b64 v[15:16], v15 offset:29128
	s_waitcnt lgkmcnt(0)
	v_mul_f32_e32 v17, v16, v14
	v_mul_f32_e32 v14, v15, v14
	v_fma_f32 v15, v15, v13, -v17
	v_fmac_f32_e32 v14, v16, v13
	v_add_f32_e32 v2, v2, v15
	v_add_f32_e32 v3, v3, v14
.LBB152_936:
	s_or_b64 exec, exec, s[14:15]
	v_xor_b32_e32 v2, 0x80000000, v2
	v_xor_b32_e32 v3, 0x80000000, v3
.LBB152_937:
	s_or_b64 exec, exec, s[6:7]
	s_and_saveexec_b64 s[6:7], s[46:47]
; %bb.938:
	ds_write_b64 v5, v[2:3]
; %bb.939:
	s_or_b64 exec, exec, s[6:7]
	s_waitcnt lgkmcnt(0)
	s_barrier
	s_and_saveexec_b64 s[6:7], s[44:45]
	s_cbranch_execz .LBB152_941
; %bb.940:
	v_mov_b32_e32 v13, 0
	ds_read_b64 v[13:14], v13 offset:30168
	ds_read_b64 v[15:16], v5
	s_waitcnt lgkmcnt(0)
	v_mul_f32_e32 v17, v16, v14
	v_mul_f32_e32 v14, v15, v14
	v_fma_f32 v15, v15, v13, -v17
	v_fmac_f32_e32 v14, v16, v13
	v_add_f32_e32 v2, v2, v15
	v_add_f32_e32 v3, v3, v14
.LBB152_941:
	s_or_b64 exec, exec, s[6:7]
	s_barrier
	s_and_saveexec_b64 s[6:7], s[44:45]
; %bb.942:
	ds_write_b64 v5, v[2:3]
; %bb.943:
	s_or_b64 exec, exec, s[6:7]
	s_waitcnt lgkmcnt(0)
	s_barrier
	s_barrier
	s_and_saveexec_b64 s[6:7], s[22:23]
; %bb.944:
	v_xor_b32_e32 v3, 0x80000000, v3
	v_xor_b32_e32 v2, 0x80000000, v2
	ds_write_b64 v4, v[2:3] offset:29136
; %bb.945:
	s_or_b64 exec, exec, s[6:7]
	s_waitcnt lgkmcnt(0)
	s_barrier
	s_barrier
	s_and_saveexec_b64 s[6:7], s[48:49]
	s_cbranch_execz .LBB152_947
; %bb.946:
	v_lshlrev_b32_e32 v13, 3, v0
	s_movk_i32 s12, 0x1f8
	v_mad_u32_u24 v14, v0, s12, v13
	ds_read_b64 v[2:3], v14 offset:29136
	s_waitcnt lgkmcnt(0)
	ds_write_b64 v13, v[2:3] offset:30144
	ds_read_b64 v[2:3], v14 offset:29144
	s_waitcnt lgkmcnt(0)
	ds_write_b64 v13, v[2:3] offset:30656
.LBB152_947:
	s_or_b64 exec, exec, s[6:7]
	s_waitcnt lgkmcnt(0)
	s_barrier
	s_and_saveexec_b64 s[6:7], vcc
	s_cbranch_execz .LBB152_949
; %bb.948:
	v_mov_b32_e32 v15, 0
	ds_read_b64 v[2:3], v15 offset:30168
	s_mov_b64 s[12:13], 0x3f800000
	v_mov_b32_e32 v14, s13
	v_mov_b32_e32 v13, s12
	s_movk_i32 s12, 0x1d0
	ds_write_b64 v15, v[13:14] offset:30680
	v_add_u32_e64 v15, s12, 0
	s_waitcnt lgkmcnt(1)
	ds_write2st64_b64 v15, v[13:14], v[2:3] offset0:58 offset1:59
.LBB152_949:
	s_or_b64 exec, exec, s[6:7]
	v_mov_b32_e32 v3, 0
	v_mov_b32_e32 v2, 0
	s_waitcnt lgkmcnt(0)
	s_barrier
	s_and_saveexec_b64 s[6:7], s[10:11]
	s_cbranch_execz .LBB152_955
; %bb.950:
	v_mul_u32_u24_e32 v13, 0x208, v12
	ds_read_b64 v[2:3], v8 offset:29152
	ds_read_b64 v[14:15], v13 offset:29120
	v_cmp_gt_u32_e64 s[12:13], 12, v7
	s_waitcnt lgkmcnt(0)
	v_mul_f32_e32 v16, v15, v3
	v_mul_f32_e32 v3, v14, v3
	v_fma_f32 v14, v14, v2, -v16
	v_fmac_f32_e32 v3, v15, v2
	v_add_f32_e32 v2, 0, v14
	v_add_f32_e32 v3, 0, v3
	s_and_saveexec_b64 s[14:15], s[12:13]
	s_cbranch_execnz .LBB152_1098
; %bb.951:
	s_or_b64 exec, exec, s[14:15]
	v_cmp_gt_u32_e64 s[12:13], 8, v7
	s_and_saveexec_b64 s[14:15], s[12:13]
	s_cbranch_execnz .LBB152_1099
.LBB152_952:
	s_or_b64 exec, exec, s[14:15]
	v_cmp_gt_u32_e64 s[12:13], 4, v7
	s_and_saveexec_b64 s[14:15], s[12:13]
	s_cbranch_execz .LBB152_954
.LBB152_953:
	v_lshlrev_b32_e32 v11, 3, v0
	v_mov_b32_e32 v13, 0
	ds_read_b64 v[11:12], v11 offset:30688
	ds_read_b64 v[13:14], v13 offset:29144
	s_waitcnt lgkmcnt(0)
	v_mul_f32_e32 v15, v14, v12
	v_mul_f32_e32 v12, v13, v12
	v_fma_f32 v13, v13, v11, -v15
	v_fmac_f32_e32 v12, v14, v11
	v_add_f32_e32 v2, v2, v13
	v_add_f32_e32 v3, v3, v12
.LBB152_954:
	s_or_b64 exec, exec, s[14:15]
	v_xor_b32_e32 v2, 0x80000000, v2
	v_xor_b32_e32 v3, 0x80000000, v3
.LBB152_955:
	s_or_b64 exec, exec, s[6:7]
	s_and_saveexec_b64 s[6:7], s[52:53]
; %bb.956:
	ds_write_b64 v10, v[2:3]
; %bb.957:
	s_or_b64 exec, exec, s[6:7]
	s_waitcnt lgkmcnt(0)
	s_barrier
	s_and_saveexec_b64 s[6:7], s[54:55]
	s_cbranch_execz .LBB152_959
; %bb.958:
	ds_read_b64 v[11:12], v9 offset:31200
	ds_read_b64 v[13:14], v10
	s_waitcnt lgkmcnt(0)
	v_mul_f32_e32 v15, v14, v12
	v_mul_f32_e32 v12, v13, v12
	v_fma_f32 v13, v13, v11, -v15
	v_fmac_f32_e32 v12, v14, v11
	v_add_f32_e32 v2, v2, v13
	v_add_f32_e32 v3, v3, v12
.LBB152_959:
	s_or_b64 exec, exec, s[6:7]
	s_barrier
	s_and_saveexec_b64 s[6:7], s[56:57]
; %bb.960:
	ds_write_b64 v10, v[2:3]
; %bb.961:
	s_or_b64 exec, exec, s[6:7]
	s_waitcnt lgkmcnt(0)
	s_barrier
	s_and_saveexec_b64 s[6:7], s[58:59]
	s_cbranch_execz .LBB152_963
; %bb.962:
	ds_read_b64 v[11:12], v9 offset:31712
	ds_read_b64 v[13:14], v10
	s_waitcnt lgkmcnt(0)
	v_mul_f32_e32 v9, v14, v12
	v_mul_f32_e32 v12, v13, v12
	v_fma_f32 v9, v13, v11, -v9
	v_fmac_f32_e32 v12, v14, v11
	v_add_f32_e32 v2, v2, v9
	v_add_f32_e32 v3, v3, v12
.LBB152_963:
	s_or_b64 exec, exec, s[6:7]
	s_barrier
	s_and_saveexec_b64 s[6:7], s[60:61]
; %bb.964:
	ds_write_b64 v10, v[2:3]
; %bb.965:
	s_or_b64 exec, exec, s[6:7]
	s_waitcnt lgkmcnt(0)
	s_barrier
	s_and_saveexec_b64 s[6:7], s[50:51]
	s_cbranch_execz .LBB152_967
; %bb.966:
	v_mov_b32_e32 v9, 0
	ds_read_b64 v[11:12], v9 offset:32248
	ds_read_b64 v[13:14], v10
	s_waitcnt lgkmcnt(0)
	v_mul_f32_e32 v9, v14, v12
	v_mul_f32_e32 v12, v13, v12
	v_fma_f32 v9, v13, v11, -v9
	v_fmac_f32_e32 v12, v14, v11
	v_add_f32_e32 v2, v2, v9
	v_add_f32_e32 v3, v3, v12
.LBB152_967:
	s_or_b64 exec, exec, s[6:7]
	s_barrier
	s_and_saveexec_b64 s[6:7], s[50:51]
; %bb.968:
	ds_write_b64 v10, v[2:3]
; %bb.969:
	s_or_b64 exec, exec, s[6:7]
	s_waitcnt lgkmcnt(0)
	s_barrier
	s_barrier
	s_and_saveexec_b64 s[6:7], s[10:11]
; %bb.970:
	v_xor_b32_e32 v2, 0x80000000, v2
	v_xor_b32_e32 v3, 0x80000000, v3
	ds_write_b64 v8, v[2:3] offset:29152
; %bb.971:
	s_or_b64 exec, exec, s[6:7]
	s_waitcnt lgkmcnt(0)
	s_barrier
	s_barrier
	s_and_saveexec_b64 s[6:7], s[62:63]
	s_cbranch_execz .LBB152_973
; %bb.972:
	v_lshlrev_b32_e32 v8, 9, v0
	ds_read_b64 v[2:3], v8 offset:29152
	s_movk_i32 s10, 0xfe08
	v_mad_i32_i24 v9, v0, s10, v8
	s_waitcnt lgkmcnt(0)
	ds_write_b64 v9, v[2:3] offset:31168
	ds_read_b64 v[2:3], v8 offset:29160
	s_waitcnt lgkmcnt(0)
	ds_write_b64 v9, v[2:3] offset:31680
	ds_read_b64 v[2:3], v8 offset:29168
	;; [unrolled: 3-line block ×3, first 2 shown]
	s_waitcnt lgkmcnt(0)
	ds_write_b64 v9, v[2:3] offset:32704
.LBB152_973:
	s_or_b64 exec, exec, s[6:7]
	s_waitcnt lgkmcnt(0)
	s_barrier
	s_and_saveexec_b64 s[6:7], vcc
	s_cbranch_execz .LBB152_975
; %bb.974:
	v_mov_b32_e32 v10, 0
	ds_read_b64 v[2:3], v10 offset:31208
	s_mov_b64 s[10:11], 0x3f800000
	v_mov_b32_e32 v8, s10
	v_mov_b32_e32 v9, s11
	s_movk_i32 s10, 0x1e0
	ds_write_b64 v10, v[8:9] offset:31720
	v_add_u32_e64 v10, s10, 0
	s_waitcnt lgkmcnt(1)
	ds_write2st64_b64 v10, v[8:9], v[2:3] offset0:60 offset1:61
.LBB152_975:
	s_or_b64 exec, exec, s[6:7]
	v_mov_b32_e32 v3, 0
	v_mov_b32_e32 v2, 0
	s_waitcnt lgkmcnt(0)
	s_barrier
	s_and_saveexec_b64 s[6:7], s[22:23]
	s_cbranch_execz .LBB152_979
; %bb.976:
	v_mul_u32_u24_e32 v6, 0x208, v6
	ds_read_b64 v[2:3], v4 offset:31216
	ds_read_b64 v[8:9], v6 offset:31200
	v_cmp_gt_u32_e64 s[10:11], 2, v7
	s_waitcnt lgkmcnt(0)
	v_mul_f32_e32 v6, v9, v3
	v_mul_f32_e32 v3, v8, v3
	v_fma_f32 v6, v8, v2, -v6
	v_fmac_f32_e32 v3, v9, v2
	v_add_f32_e32 v2, 0, v6
	v_add_f32_e32 v3, 0, v3
	s_and_saveexec_b64 s[12:13], s[10:11]
	s_cbranch_execz .LBB152_978
; %bb.977:
	v_lshlrev_b32_e32 v6, 3, v0
	v_mov_b32_e32 v10, 0
	ds_read_b64 v[8:9], v6 offset:31728
	ds_read_b64 v[10:11], v10 offset:31208
	s_waitcnt lgkmcnt(0)
	v_mul_f32_e32 v6, v11, v9
	v_mul_f32_e32 v9, v10, v9
	v_fma_f32 v6, v10, v8, -v6
	v_fmac_f32_e32 v9, v11, v8
	v_add_f32_e32 v2, v2, v6
	v_add_f32_e32 v3, v3, v9
.LBB152_978:
	s_or_b64 exec, exec, s[12:13]
	v_xor_b32_e32 v2, 0x80000000, v2
	v_xor_b32_e32 v3, 0x80000000, v3
.LBB152_979:
	s_or_b64 exec, exec, s[6:7]
	s_and_saveexec_b64 s[6:7], s[46:47]
; %bb.980:
	ds_write_b64 v5, v[2:3]
; %bb.981:
	s_or_b64 exec, exec, s[6:7]
	s_waitcnt lgkmcnt(0)
	s_barrier
	s_and_saveexec_b64 s[6:7], s[44:45]
	v_readlane_b32 s20, v34, 2
	v_readlane_b32 s46, v34, 0
	;; [unrolled: 1-line block ×4, first 2 shown]
	s_cbranch_execz .LBB152_983
; %bb.982:
	v_mov_b32_e32 v6, 0
	ds_read_b64 v[8:9], v6 offset:32248
	ds_read_b64 v[10:11], v5
	s_waitcnt lgkmcnt(0)
	v_mul_f32_e32 v6, v11, v9
	v_mul_f32_e32 v9, v10, v9
	v_fma_f32 v6, v10, v8, -v6
	v_fmac_f32_e32 v9, v11, v8
	v_add_f32_e32 v2, v2, v6
	v_add_f32_e32 v3, v3, v9
.LBB152_983:
	s_or_b64 exec, exec, s[6:7]
	s_barrier
	s_and_saveexec_b64 s[6:7], s[44:45]
; %bb.984:
	ds_write_b64 v5, v[2:3]
; %bb.985:
	s_or_b64 exec, exec, s[6:7]
	s_waitcnt lgkmcnt(0)
	s_barrier
	s_barrier
	s_and_saveexec_b64 s[6:7], s[22:23]
; %bb.986:
	v_xor_b32_e32 v3, 0x80000000, v3
	v_xor_b32_e32 v2, 0x80000000, v2
	ds_write_b64 v4, v[2:3] offset:31216
; %bb.987:
	s_or_b64 exec, exec, s[6:7]
	s_waitcnt lgkmcnt(0)
	s_barrier
	s_barrier
	s_and_saveexec_b64 s[6:7], s[48:49]
	s_cbranch_execz .LBB152_989
; %bb.988:
	v_lshlrev_b32_e32 v4, 3, v0
	s_movk_i32 s10, 0x1f8
	v_mad_u32_u24 v5, v0, s10, v4
	ds_read_b64 v[2:3], v5 offset:31216
	s_waitcnt lgkmcnt(0)
	ds_write_b64 v4, v[2:3] offset:32224
	ds_read_b64 v[2:3], v5 offset:31224
	s_waitcnt lgkmcnt(0)
	ds_write_b64 v4, v[2:3] offset:32736
.LBB152_989:
	s_or_b64 exec, exec, s[6:7]
	s_waitcnt lgkmcnt(0)
	s_barrier
	s_and_saveexec_b64 s[6:7], vcc
	s_cbranch_execz .LBB152_991
; %bb.990:
	v_mov_b32_e32 v6, 0
	ds_read_b64 v[2:3], v6 offset:32248
	s_mov_b64 s[10:11], 0x3f800000
	v_mov_b32_e32 v4, s10
	v_mov_b32_e32 v5, s11
	s_movk_i32 s10, 0x1f0
	ds_write_b64 v6, v[4:5] offset:32760
	v_add_u32_e64 v6, s10, 0
	s_waitcnt lgkmcnt(1)
	ds_write2st64_b64 v6, v[4:5], v[2:3] offset0:62 offset1:63
.LBB152_991:
	s_or_b64 exec, exec, s[6:7]
.LBB152_992:
	s_lshl_b64 s[6:7], s[28:29], 3
	s_add_u32 s28, s42, s6
	v_cmp_le_i32_e32 vcc, s94, v0
	s_addc_u32 s29, s43, s7
	s_and_b64 s[18:19], vcc, s[26:27]
	v_cmp_eq_u32_e64 s[16:17], 0, v1
	s_xor_b64 s[6:7], s[18:19], -1
	v_mov_b32_e32 v2, 0
	s_and_b64 s[10:11], s[16:17], s[6:7]
	v_lshl_add_u32 v4, s33, 6, v0
	v_mov_b32_e32 v3, v2
	s_waitcnt lgkmcnt(0)
	s_barrier
	s_and_saveexec_b64 s[6:7], s[10:11]
	s_cbranch_execz .LBB152_994
; %bb.993:
	v_ashrrev_i32_e32 v5, 31, v4
	v_mul_lo_u32 v6, s31, v4
	v_mad_u64_u32 v[2:3], s[10:11], s30, v4, 0
	v_mul_lo_u32 v5, s30, v5
	v_add3_u32 v3, v3, v5, v6
	v_lshlrev_b64 v[2:3], 3, v[2:3]
	v_mov_b32_e32 v5, s29
	v_add_co_u32_e32 v2, vcc, s28, v2
	v_addc_co_u32_e32 v3, vcc, v5, v3, vcc
	flat_load_dwordx2 v[5:6], v[2:3]
	s_waitcnt vmcnt(0) lgkmcnt(0)
	v_mul_f32_e32 v2, s20, v5
	v_mul_f32_e32 v3, s20, v6
	v_fma_f32 v2, s21, v6, -v2
	v_fma_f32 v3, v5, -s21, -v3
.LBB152_994:
	s_or_b64 exec, exec, s[6:7]
	s_load_dwordx2 s[6:7], s[4:5], 0x50
	s_and_b32 s4, 0xffff, s41
	v_mad_u32_u24 v8, v1, s4, v0
	s_cmp_lt_i32 s8, 1
	v_cmp_eq_u32_e64 s[4:5], 0, v8
	s_cbranch_scc1 .LBB152_1013
; %bb.995:
	v_ashrrev_i32_e32 v5, 31, v4
	v_mul_lo_u32 v9, s38, v5
	v_mul_lo_u32 v10, s39, v4
	v_mad_u64_u32 v[5:6], s[10:11], s38, v4, 0
	v_cmp_gt_i32_e64 s[12:13], s36, v4
	s_lshl_b64 s[10:11], s[34:35], 2
	v_add3_u32 v6, v6, v9, v10
	v_lshlrev_b64 v[4:5], 3, v[5:6]
	s_mov_b64 s[20:21], src_private_base
	s_waitcnt lgkmcnt(0)
	s_add_u32 s22, s6, s10
	v_mov_b32_e32 v10, 0xa000
	v_mov_b32_e32 v6, s40
	v_add_co_u32_e32 v11, vcc, s95, v4
	s_mov_b32 s20, 0
	s_addc_u32 s23, s7, s11
	v_cmp_gt_u32_e64 s[10:11], 64, v8
	v_lshl_add_u32 v9, v8, 3, v10
	v_lshl_or_b32 v10, v1, 3, v10
	s_add_i32 s38, s33, 1
	v_addc_co_u32_e32 v12, vcc, v6, v5, vcc
	v_mov_b32_e32 v15, -1
	v_mov_b32_e32 v4, 0
	v_mov_b32_e32 v13, 0
	;; [unrolled: 1-line block ×5, first 2 shown]
	s_branch .LBB152_997
.LBB152_996:                            ;   in Loop: Header=BB152_997 Depth=1
	s_or_b64 exec, exec, s[24:25]
	s_add_i32 s20, s20, 1
	s_cmp_eq_u32 s20, s8
	s_cbranch_scc1 .LBB152_1013
.LBB152_997:                            ; =>This Loop Header: Depth=1
                                        ;     Child Loop BB152_999 Depth 2
	v_cmp_gt_i32_e32 vcc, s20, v15
	s_and_b64 s[24:25], s[4:5], vcc
	s_and_saveexec_b64 s[14:15], s[24:25]
	s_cbranch_execz .LBB152_1000
; %bb.998:                              ;   in Loop: Header=BB152_997 Depth=1
	global_load_dword v15, v4, s[22:23]
	s_waitcnt vmcnt(0)
	v_cmp_le_i32_e32 vcc, s20, v15
	s_cbranch_vccnz .LBB152_1000
.LBB152_999:                            ;   Parent Loop BB152_997 Depth=1
                                        ; =>  This Inner Loop Header: Depth=2
	buffer_wbinvl1_vol
	global_load_dword v15, v4, s[22:23]
	s_waitcnt vmcnt(0)
	v_cmp_gt_i32_e32 vcc, s20, v15
	s_cbranch_vccnz .LBB152_999
.LBB152_1000:                           ;   in Loop: Header=BB152_997 Depth=1
	s_or_b64 exec, exec, s[14:15]
	s_sub_i32 s39, s9, s20
	s_lshl_b32 s40, s39, 6
	buffer_wbinvl1_vol
	s_barrier
	s_and_saveexec_b64 s[14:15], s[10:11]
	s_cbranch_execz .LBB152_1005
; %bb.1001:                             ;   in Loop: Header=BB152_997 Depth=1
	s_ashr_i32 s24, s40, 31
	v_mov_b32_e32 v6, s24
	v_or_b32_e32 v5, s40, v8
	v_cmp_le_i64_e32 vcc, s[36:37], v[5:6]
	s_and_saveexec_b64 s[24:25], vcc
	s_xor_b64 s[24:25], exec, s[24:25]
; %bb.1002:                             ;   in Loop: Header=BB152_997 Depth=1
	v_mov_b32_e32 v5, v4
	ds_write_b64 v9, v[4:5]
                                        ; implicit-def: $vgpr5_vgpr6
; %bb.1003:                             ;   in Loop: Header=BB152_997 Depth=1
	s_andn2_saveexec_b64 s[24:25], s[24:25]
	s_cbranch_execz .LBB152_1005
; %bb.1004:                             ;   in Loop: Header=BB152_997 Depth=1
	v_mul_lo_u32 v18, v6, s30
	v_mul_lo_u32 v19, v5, s31
	v_mad_u64_u32 v[5:6], s[24:25], v5, s30, 0
	v_add3_u32 v6, v6, v19, v18
	v_lshlrev_b64 v[5:6], 3, v[5:6]
	v_mov_b32_e32 v18, s29
	v_add_co_u32_e32 v5, vcc, s28, v5
	v_addc_co_u32_e32 v6, vcc, v18, v6, vcc
	flat_load_dwordx2 v[5:6], v[5:6]
	s_waitcnt vmcnt(0) lgkmcnt(0)
	ds_write_b64 v9, v[5:6]
.LBB152_1005:                           ;   in Loop: Header=BB152_997 Depth=1
	s_or_b64 exec, exec, s[14:15]
	v_add_u32_e32 v5, s40, v1
	v_ashrrev_i32_e32 v6, 31, v5
	v_lshlrev_b64 v[18:19], 3, v[5:6]
	s_cmp_eq_u32 s39, s38
	v_add_co_u32_e32 v18, vcc, v11, v18
	v_addc_co_u32_e32 v6, vcc, v12, v19, vcc
	v_cmp_gt_i32_e32 vcc, s36, v5
	s_cselect_b64 s[14:15], -1, 0
	s_and_b64 s[40:41], vcc, s[12:13]
	s_waitcnt lgkmcnt(0)
	s_barrier
	s_and_saveexec_b64 s[24:25], s[40:41]
	s_cbranch_execz .LBB152_1007
; %bb.1006:                             ;   in Loop: Header=BB152_997 Depth=1
	v_mov_b32_e32 v19, s21
	v_cndmask_b32_e64 v20, v6, v19, s[14:15]
	v_cndmask_b32_e64 v19, v18, v13, s[14:15]
	flat_load_dwordx2 v[19:20], v[19:20]
	ds_read_b64 v[21:22], v10
	s_waitcnt vmcnt(0) lgkmcnt(0)
	v_mul_f32_e32 v23, v22, v20
	v_mul_f32_e32 v20, v21, v20
	v_fma_f32 v21, v21, v19, -v23
	v_fmac_f32_e32 v20, v22, v19
	v_add_f32_e32 v2, v2, v21
	v_add_f32_e32 v3, v3, v20
.LBB152_1007:                           ;   in Loop: Header=BB152_997 Depth=1
	s_or_b64 exec, exec, s[24:25]
	v_add_u32_e32 v19, 16, v5
	v_cmp_gt_i32_e32 vcc, s36, v19
	s_and_b64 s[40:41], vcc, s[12:13]
	s_and_saveexec_b64 s[24:25], s[40:41]
	s_cbranch_execz .LBB152_1009
; %bb.1008:                             ;   in Loop: Header=BB152_997 Depth=1
	v_add_co_u32_e32 v19, vcc, 0x80, v18
	v_addc_co_u32_e32 v20, vcc, 0, v6, vcc
	v_mov_b32_e32 v21, s21
	v_cndmask_b32_e64 v20, v20, v21, s[14:15]
	v_cndmask_b32_e64 v19, v19, v14, s[14:15]
	flat_load_dwordx2 v[19:20], v[19:20]
	ds_read_b64 v[21:22], v10 offset:128
	s_waitcnt vmcnt(0) lgkmcnt(0)
	v_mul_f32_e32 v23, v22, v20
	v_mul_f32_e32 v20, v21, v20
	v_fma_f32 v21, v21, v19, -v23
	v_fmac_f32_e32 v20, v22, v19
	v_add_f32_e32 v2, v2, v21
	v_add_f32_e32 v3, v3, v20
.LBB152_1009:                           ;   in Loop: Header=BB152_997 Depth=1
	s_or_b64 exec, exec, s[24:25]
	v_add_u32_e32 v19, 32, v5
	v_cmp_gt_i32_e32 vcc, s36, v19
	s_and_b64 s[40:41], vcc, s[12:13]
	s_and_saveexec_b64 s[24:25], s[40:41]
	s_cbranch_execz .LBB152_1011
; %bb.1010:                             ;   in Loop: Header=BB152_997 Depth=1
	v_add_co_u32_e32 v19, vcc, 0x100, v18
	v_addc_co_u32_e32 v20, vcc, 0, v6, vcc
	v_mov_b32_e32 v21, s21
	v_cndmask_b32_e64 v20, v20, v21, s[14:15]
	v_cndmask_b32_e64 v19, v19, v16, s[14:15]
	flat_load_dwordx2 v[19:20], v[19:20]
	ds_read_b64 v[21:22], v10 offset:256
	s_waitcnt vmcnt(0) lgkmcnt(0)
	v_mul_f32_e32 v23, v22, v20
	v_mul_f32_e32 v20, v21, v20
	v_fma_f32 v21, v21, v19, -v23
	v_fmac_f32_e32 v20, v22, v19
	v_add_f32_e32 v2, v2, v21
	v_add_f32_e32 v3, v3, v20
.LBB152_1011:                           ;   in Loop: Header=BB152_997 Depth=1
	s_or_b64 exec, exec, s[24:25]
	v_add_u32_e32 v5, 48, v5
	v_cmp_gt_i32_e32 vcc, s36, v5
	s_and_b64 s[40:41], vcc, s[12:13]
	s_and_saveexec_b64 s[24:25], s[40:41]
	s_cbranch_execz .LBB152_996
; %bb.1012:                             ;   in Loop: Header=BB152_997 Depth=1
	v_add_co_u32_e32 v5, vcc, 0x180, v18
	v_addc_co_u32_e32 v6, vcc, 0, v6, vcc
	v_mov_b32_e32 v18, s21
	v_cndmask_b32_e64 v6, v6, v18, s[14:15]
	v_cndmask_b32_e64 v5, v5, v17, s[14:15]
	flat_load_dwordx2 v[5:6], v[5:6]
	ds_read_b64 v[18:19], v10 offset:384
	s_waitcnt vmcnt(0) lgkmcnt(0)
	v_mul_f32_e32 v20, v19, v6
	v_mul_f32_e32 v6, v18, v6
	v_fma_f32 v18, v18, v5, -v20
	v_fmac_f32_e32 v6, v19, v5
	v_add_f32_e32 v2, v2, v18
	v_add_f32_e32 v3, v3, v6
	s_branch .LBB152_996
.LBB152_1013:
	s_xor_b64 s[4:5], s[26:27], -1
	v_lshlrev_b32_e32 v6, 3, v7
	ds_write_b64 v6, v[2:3] offset:32768
	s_waitcnt lgkmcnt(0)
	s_barrier
	s_and_saveexec_b64 s[8:9], s[16:17]
	s_cbranch_execz .LBB152_1015
; %bb.1014:
	v_lshlrev_b32_e32 v7, 3, v0
	ds_read2st64_b64 v[9:12], v7 offset0:65 offset1:66
	ds_read2st64_b64 v[13:16], v7 offset0:67 offset1:68
	ds_read_b64 v[17:18], v7 offset:40448
	s_waitcnt lgkmcnt(2)
	v_add_f32_e32 v2, v2, v9
	v_add_f32_e32 v3, v3, v10
	;; [unrolled: 1-line block ×4, first 2 shown]
	ds_read2st64_b64 v[2:5], v7 offset0:69 offset1:70
	s_waitcnt lgkmcnt(2)
	v_add_f32_e32 v9, v9, v13
	v_add_f32_e32 v10, v10, v14
	;; [unrolled: 1-line block ×4, first 2 shown]
	s_waitcnt lgkmcnt(0)
	v_add_f32_e32 v2, v9, v2
	ds_read2st64_b64 v[9:12], v7 offset0:71 offset1:72
	v_add_f32_e32 v3, v13, v3
	v_add_f32_e32 v13, v2, v4
	;; [unrolled: 1-line block ×3, first 2 shown]
	ds_read2st64_b64 v[2:5], v7 offset0:73 offset1:74
	s_waitcnt lgkmcnt(1)
	v_add_f32_e32 v9, v13, v9
	v_add_f32_e32 v10, v14, v10
	;; [unrolled: 1-line block ×4, first 2 shown]
	s_waitcnt lgkmcnt(0)
	v_add_f32_e32 v2, v9, v2
	ds_read2st64_b64 v[9:12], v7 offset0:75 offset1:76
	v_add_f32_e32 v3, v13, v3
	v_add_f32_e32 v13, v2, v4
	;; [unrolled: 1-line block ×3, first 2 shown]
	ds_read2st64_b64 v[2:5], v7 offset0:77 offset1:78
	s_waitcnt lgkmcnt(1)
	v_add_f32_e32 v7, v13, v9
	v_add_f32_e32 v9, v14, v10
	;; [unrolled: 1-line block ×4, first 2 shown]
	s_waitcnt lgkmcnt(0)
	v_add_f32_e32 v2, v7, v2
	v_add_f32_e32 v3, v9, v3
	;; [unrolled: 1-line block ×6, first 2 shown]
	v_cndmask_b32_e64 v2, -v2, 0, s[18:19]
	v_cndmask_b32_e64 v3, -v3, 0, s[18:19]
.LBB152_1015:
	s_or_b64 exec, exec, s[8:9]
	s_and_b64 vcc, exec, s[46:47]
	s_cbranch_vccnz .LBB152_1028
; %bb.1016:
	v_mov_b32_e32 v4, 0xa000
	v_lshl_or_b32 v7, v1, 3, v4
	s_and_saveexec_b64 s[8:9], s[16:17]
; %bb.1017:
	v_lshl_add_u32 v4, v0, 3, v7
	ds_write_b64 v4, v[2:3]
; %bb.1018:
	s_or_b64 exec, exec, s[8:9]
	v_cmp_le_u32_e32 vcc, v0, v1
	v_mov_b32_e32 v4, 0
	v_mov_b32_e32 v5, 0
	s_waitcnt lgkmcnt(0)
	s_barrier
	s_and_saveexec_b64 s[8:9], vcc
	s_cbranch_execz .LBB152_1020
; %bb.1019:
	ds_read_b64 v[4:5], v6
	ds_read_b64 v[9:10], v7
	s_waitcnt lgkmcnt(0)
	v_mul_f32_e32 v11, v10, v5
	v_mul_f32_e32 v5, v9, v5
	v_fma_f32 v9, v9, v4, -v11
	v_fmac_f32_e32 v5, v10, v4
	v_add_f32_e32 v4, 0, v9
	v_add_f32_e32 v5, 0, v5
.LBB152_1020:
	s_or_b64 exec, exec, s[8:9]
	v_add_u32_e32 v9, 16, v1
	v_cmp_le_u32_e32 vcc, v0, v9
	s_and_saveexec_b64 s[8:9], vcc
	s_cbranch_execz .LBB152_1022
; %bb.1021:
	ds_read_b64 v[9:10], v6 offset:8192
	ds_read_b64 v[11:12], v7 offset:128
	s_waitcnt lgkmcnt(0)
	v_mul_f32_e32 v13, v12, v10
	v_mul_f32_e32 v10, v11, v10
	v_fma_f32 v11, v11, v9, -v13
	v_fmac_f32_e32 v10, v12, v9
	v_add_f32_e32 v4, v4, v11
	v_add_f32_e32 v5, v5, v10
.LBB152_1022:
	s_or_b64 exec, exec, s[8:9]
	v_add_u32_e32 v9, 32, v1
	v_cmp_le_u32_e32 vcc, v0, v9
	s_and_saveexec_b64 s[8:9], vcc
	s_cbranch_execz .LBB152_1024
; %bb.1023:
	ds_read_b64 v[9:10], v6 offset:16384
	ds_read_b64 v[11:12], v7 offset:256
	s_waitcnt lgkmcnt(0)
	v_mul_f32_e32 v13, v12, v10
	v_mul_f32_e32 v10, v11, v10
	v_fma_f32 v11, v11, v9, -v13
	v_fmac_f32_e32 v10, v12, v9
	v_add_f32_e32 v4, v4, v11
	v_add_f32_e32 v5, v5, v10
.LBB152_1024:
	s_or_b64 exec, exec, s[8:9]
	v_add_u32_e32 v1, 48, v1
	v_add_u32_e32 v9, 0x8000, v6
	v_cmp_le_u32_e32 vcc, v0, v1
	s_and_saveexec_b64 s[8:9], vcc
	s_cbranch_execz .LBB152_1026
; %bb.1025:
	ds_read_b64 v[10:11], v6 offset:24576
	ds_read_b64 v[6:7], v7 offset:384
	s_waitcnt lgkmcnt(0)
	v_mul_f32_e32 v1, v7, v11
	v_mul_f32_e32 v11, v6, v11
	v_fma_f32 v1, v6, v10, -v1
	v_fmac_f32_e32 v11, v7, v10
	v_add_f32_e32 v4, v4, v1
	v_add_f32_e32 v5, v5, v11
.LBB152_1026:
	s_or_b64 exec, exec, s[8:9]
	s_mov_b64 s[10:11], 0
	s_mov_b64 s[8:9], 0
	ds_write_b64 v9, v[4:5]
	s_waitcnt lgkmcnt(0)
	s_barrier
                                        ; implicit-def: $vgpr1
                                        ; implicit-def: $vgpr6
	s_and_saveexec_b64 s[12:13], s[16:17]
	s_cbranch_execz .LBB152_1046
; %bb.1027:
	v_lshlrev_b32_e32 v1, 3, v0
	ds_read2st64_b64 v[9:12], v1 offset0:65 offset1:66
	ds_read2st64_b64 v[13:16], v1 offset0:67 offset1:68
	ds_read_b64 v[17:18], v1 offset:40448
	s_mov_b64 s[8:9], exec
	s_waitcnt lgkmcnt(2)
	v_add_f32_e32 v4, v4, v9
	v_add_f32_e32 v5, v5, v10
	;; [unrolled: 1-line block ×4, first 2 shown]
	ds_read2st64_b64 v[4:7], v1 offset0:69 offset1:70
	s_waitcnt lgkmcnt(2)
	v_add_f32_e32 v9, v9, v13
	v_add_f32_e32 v10, v10, v14
	;; [unrolled: 1-line block ×4, first 2 shown]
	s_waitcnt lgkmcnt(0)
	v_add_f32_e32 v4, v9, v4
	ds_read2st64_b64 v[9:12], v1 offset0:71 offset1:72
	v_add_f32_e32 v5, v13, v5
	v_add_f32_e32 v13, v4, v6
	;; [unrolled: 1-line block ×3, first 2 shown]
	ds_read2st64_b64 v[4:7], v1 offset0:73 offset1:74
	s_waitcnt lgkmcnt(1)
	v_add_f32_e32 v9, v13, v9
	v_add_f32_e32 v10, v14, v10
	;; [unrolled: 1-line block ×4, first 2 shown]
	s_waitcnt lgkmcnt(0)
	v_add_f32_e32 v4, v9, v4
	ds_read2st64_b64 v[9:12], v1 offset0:75 offset1:76
	v_add_f32_e32 v5, v13, v5
	v_add_f32_e32 v13, v4, v6
	;; [unrolled: 1-line block ×3, first 2 shown]
	ds_read2st64_b64 v[4:7], v1 offset0:77 offset1:78
	s_waitcnt lgkmcnt(1)
	v_add_f32_e32 v1, v13, v9
	v_add_f32_e32 v9, v14, v10
	;; [unrolled: 1-line block ×4, first 2 shown]
	s_waitcnt lgkmcnt(0)
	v_add_f32_e32 v1, v1, v4
	v_add_f32_e32 v4, v9, v5
	;; [unrolled: 1-line block ×6, first 2 shown]
	s_or_b64 exec, exec, s[12:13]
	s_and_b64 vcc, exec, s[10:11]
	s_cbranch_vccnz .LBB152_1029
	s_branch .LBB152_1047
.LBB152_1028:
	s_mov_b64 s[8:9], 0
                                        ; implicit-def: $vgpr1
                                        ; implicit-def: $vgpr6
	s_cbranch_execz .LBB152_1047
.LBB152_1029:
	v_mov_b32_e32 v1, 0x7c00
	v_lshl_add_u32 v1, v0, 3, v1
	v_mov_b32_e32 v5, 63
	v_mov_b32_e32 v4, 0
	s_branch .LBB152_1031
.LBB152_1030:                           ;   in Loop: Header=BB152_1031 Depth=1
	s_or_b64 exec, exec, s[10:11]
	v_subrev_co_u32_e32 v5, vcc, 1, v5
	s_andn2_b64 vcc, exec, vcc
	v_add_u32_e32 v1, 0xfffffc00, v1
	s_barrier
	s_cbranch_vccz .LBB152_1039
.LBB152_1031:                           ; =>This Inner Loop Header: Depth=1
	v_cmp_eq_u32_e32 vcc, v0, v5
	s_and_b64 s[12:13], s[16:17], vcc
	s_and_saveexec_b64 s[10:11], s[12:13]
; %bb.1032:                             ;   in Loop: Header=BB152_1031 Depth=1
	ds_write_b64 v4, v[2:3] offset:41472
; %bb.1033:                             ;   in Loop: Header=BB152_1031 Depth=1
	s_or_b64 exec, exec, s[10:11]
	v_cmp_lt_u32_e32 vcc, v0, v5
	s_and_b64 s[12:13], s[16:17], vcc
	s_waitcnt lgkmcnt(0)
	s_barrier
	s_and_saveexec_b64 s[10:11], s[12:13]
	s_cbranch_execz .LBB152_1035
; %bb.1034:                             ;   in Loop: Header=BB152_1031 Depth=1
	ds_read_b64 v[6:7], v1 offset:512
	ds_read_b64 v[9:10], v4 offset:41472
	s_waitcnt lgkmcnt(0)
	v_mul_f32_e32 v11, v10, v7
	v_mul_f32_e32 v7, v9, v7
	v_fma_f32 v9, v9, v6, -v11
	v_fmac_f32_e32 v7, v10, v6
	v_add_f32_e32 v2, v2, v9
	v_add_f32_e32 v3, v3, v7
.LBB152_1035:                           ;   in Loop: Header=BB152_1031 Depth=1
	s_or_b64 exec, exec, s[10:11]
	v_add_u32_e32 v5, -1, v5
	v_cmp_eq_u32_e32 vcc, v0, v5
	s_and_b64 s[12:13], s[16:17], vcc
	s_barrier
	s_and_saveexec_b64 s[10:11], s[12:13]
; %bb.1036:                             ;   in Loop: Header=BB152_1031 Depth=1
	ds_write_b64 v4, v[2:3] offset:41472
; %bb.1037:                             ;   in Loop: Header=BB152_1031 Depth=1
	s_or_b64 exec, exec, s[10:11]
	v_cmp_lt_u32_e32 vcc, v0, v5
	s_and_b64 s[12:13], s[16:17], vcc
	s_waitcnt lgkmcnt(0)
	s_barrier
	s_and_saveexec_b64 s[10:11], s[12:13]
	s_cbranch_execz .LBB152_1030
; %bb.1038:                             ;   in Loop: Header=BB152_1031 Depth=1
	ds_read_b64 v[6:7], v1
	ds_read_b64 v[9:10], v4 offset:41472
	s_waitcnt lgkmcnt(0)
	v_mul_f32_e32 v11, v10, v7
	v_mul_f32_e32 v7, v9, v7
	v_fma_f32 v9, v9, v6, -v11
	v_fmac_f32_e32 v7, v10, v6
	v_add_f32_e32 v2, v2, v9
	v_add_f32_e32 v3, v3, v7
	s_branch .LBB152_1030
.LBB152_1039:
	s_mov_b64 s[10:11], -1
	s_and_b64 vcc, exec, s[4:5]
	s_cbranch_vccnz .LBB152_1048
; %bb.1040:
	s_andn2_b64 vcc, exec, s[10:11]
	s_cbranch_vccz .LBB152_1049
.LBB152_1041:
	s_and_saveexec_b64 s[4:5], s[8:9]
	s_cbranch_execz .LBB152_1043
.LBB152_1042:
	s_lshl_b32 s8, s33, 6
	s_ashr_i32 s9, s8, 31
	v_mov_b32_e32 v0, s9
	v_add_co_u32_e32 v1, vcc, s8, v8
	v_addc_co_u32_e32 v0, vcc, 0, v0, vcc
	v_mul_lo_u32 v4, v0, s30
	v_mul_lo_u32 v5, v1, s31
	v_mad_u64_u32 v[0:1], s[8:9], v1, s30, 0
	v_add3_u32 v1, v1, v5, v4
	v_lshlrev_b64 v[0:1], 3, v[0:1]
	v_mov_b32_e32 v4, s29
	v_add_co_u32_e32 v0, vcc, s28, v0
	v_addc_co_u32_e32 v1, vcc, v4, v1, vcc
	flat_store_dwordx2 v[0:1], v[2:3]
.LBB152_1043:
	s_or_b64 exec, exec, s[4:5]
	v_cmp_eq_u32_e32 vcc, 0, v8
	s_waitcnt vmcnt(0) lgkmcnt(0)
	buffer_wbinvl1_vol
	s_barrier
	s_and_saveexec_b64 s[4:5], vcc
	s_cbranch_execz .LBB152_1045
; %bb.1044:
	s_lshl_b64 s[8:9], s[34:35], 2
	s_add_u32 s6, s6, s8
	s_addc_u32 s7, s7, s9
	v_mov_b32_e32 v0, 0
	global_load_dword v1, v0, s[6:7]
	s_waitcnt vmcnt(0)
	v_add_u32_e32 v1, 1, v1
	global_store_dword v0, v1, s[6:7]
.LBB152_1045:
	s_or_b64 exec, exec, s[4:5]
	s_waitcnt vmcnt(0)
	buffer_wbinvl1_vol
	s_endpgm
.LBB152_1046:
	s_or_b64 exec, exec, s[12:13]
	s_and_b64 vcc, exec, s[10:11]
	s_cbranch_vccnz .LBB152_1029
.LBB152_1047:
	v_mov_b32_e32 v3, v1
	v_mov_b32_e32 v2, v6
	s_and_saveexec_b64 s[4:5], s[8:9]
	s_cbranch_execnz .LBB152_1042
	s_branch .LBB152_1043
.LBB152_1048:
	s_andn2_b64 s[4:5], s[8:9], exec
	s_and_b64 s[8:9], s[16:17], exec
	s_or_b64 s[8:9], s[4:5], s[8:9]
	s_cbranch_execnz .LBB152_1041
.LBB152_1049:
	v_cmp_gt_i32_e32 vcc, s94, v0
	s_and_b64 s[4:5], s[16:17], vcc
	s_andn2_b64 s[8:9], s[8:9], exec
	s_and_b64 s[4:5], s[4:5], exec
	s_or_b64 s[8:9], s[8:9], s[4:5]
	s_and_saveexec_b64 s[4:5], s[8:9]
	s_cbranch_execnz .LBB152_1042
	s_branch .LBB152_1043
.LBB152_1050:
	v_lshlrev_b32_e32 v13, 3, v12
	v_sub_u32_e32 v13, v10, v13
	v_lshl_add_u32 v13, v11, 3, v13
	ds_read_b64 v[13:14], v13 offset:544
	ds_read_b64 v[15:16], v10 offset:8
	s_waitcnt lgkmcnt(0)
	v_mul_f32_e32 v17, v16, v14
	v_mul_f32_e32 v14, v15, v14
	v_fma_f32 v15, v15, v13, -v17
	v_fmac_f32_e32 v14, v16, v13
	v_add_f32_e32 v2, v2, v15
	v_add_f32_e32 v3, v3, v14
	s_or_b64 exec, exec, s[18:19]
	v_cmp_gt_u32_e64 s[14:15], 8, v7
	s_and_saveexec_b64 s[18:19], s[14:15]
	s_cbranch_execz .LBB152_92
.LBB152_1051:
	ds_read_b64 v[13:14], v8 offset:1056
	ds_read_b64 v[15:16], v10 offset:16
	s_waitcnt lgkmcnt(0)
	v_mul_f32_e32 v10, v16, v14
	v_mul_f32_e32 v14, v15, v14
	v_fma_f32 v10, v15, v13, -v10
	v_fmac_f32_e32 v14, v16, v13
	v_add_f32_e32 v2, v2, v10
	v_add_f32_e32 v3, v3, v14
	s_or_b64 exec, exec, s[18:19]
	v_cmp_gt_u32_e64 s[14:15], 4, v7
	s_and_saveexec_b64 s[18:19], s[14:15]
	s_cbranch_execnz .LBB152_93
	s_branch .LBB152_94
.LBB152_1052:
	v_lshlrev_b32_e32 v18, 3, v17
	v_sub_u32_e32 v18, v15, v18
	v_lshl_add_u32 v18, v16, 3, v18
	ds_read_b64 v[18:19], v18 offset:576
	ds_read_b64 v[20:21], v15 offset:8
	s_waitcnt lgkmcnt(0)
	v_mul_f32_e32 v22, v21, v19
	v_mul_f32_e32 v19, v20, v19
	v_fma_f32 v20, v20, v18, -v22
	v_fmac_f32_e32 v19, v21, v18
	v_add_f32_e32 v2, v2, v20
	v_add_f32_e32 v3, v3, v19
	s_or_b64 exec, exec, s[20:21]
	v_cmp_gt_u32_e64 s[18:19], 48, v7
	s_and_saveexec_b64 s[20:21], s[18:19]
	s_cbranch_execz .LBB152_134
.LBB152_1053:
	v_lshlrev_b32_e32 v18, 3, v17
	v_sub_u32_e32 v18, v15, v18
	v_lshl_add_u32 v18, v16, 3, v18
	ds_read_b64 v[18:19], v18 offset:1088
	ds_read_b64 v[20:21], v15 offset:16
	s_waitcnt lgkmcnt(0)
	v_mul_f32_e32 v22, v21, v19
	v_mul_f32_e32 v19, v20, v19
	v_fma_f32 v20, v20, v18, -v22
	v_fmac_f32_e32 v19, v21, v18
	v_add_f32_e32 v2, v2, v20
	v_add_f32_e32 v3, v3, v19
	s_or_b64 exec, exec, s[20:21]
	v_cmp_gt_u32_e64 s[18:19], 40, v7
	s_and_saveexec_b64 s[20:21], s[18:19]
	s_cbranch_execz .LBB152_135
.LBB152_1054:
	v_lshlrev_b32_e32 v18, 3, v17
	v_sub_u32_e32 v18, v15, v18
	v_lshl_add_u32 v18, v16, 3, v18
	ds_read_b64 v[18:19], v18 offset:1600
	ds_read_b64 v[20:21], v15 offset:24
	s_waitcnt lgkmcnt(0)
	v_mul_f32_e32 v22, v21, v19
	v_mul_f32_e32 v19, v20, v19
	v_fma_f32 v20, v20, v18, -v22
	v_fmac_f32_e32 v19, v21, v18
	v_add_f32_e32 v2, v2, v20
	v_add_f32_e32 v3, v3, v19
	s_or_b64 exec, exec, s[20:21]
	v_cmp_gt_u32_e64 s[18:19], 32, v7
	s_and_saveexec_b64 s[20:21], s[18:19]
	s_cbranch_execz .LBB152_136
.LBB152_1055:
	ds_read_b64 v[18:19], v13 offset:2112
	ds_read_b64 v[20:21], v15 offset:32
	s_waitcnt lgkmcnt(0)
	v_mul_f32_e32 v22, v21, v19
	v_mul_f32_e32 v19, v20, v19
	v_fma_f32 v20, v20, v18, -v22
	v_fmac_f32_e32 v19, v21, v18
	v_add_f32_e32 v2, v2, v20
	v_add_f32_e32 v3, v3, v19
	s_or_b64 exec, exec, s[20:21]
	v_cmp_gt_u32_e64 s[18:19], 24, v7
	s_and_saveexec_b64 s[20:21], s[18:19]
	s_cbranch_execz .LBB152_137
.LBB152_1056:
	v_lshlrev_b32_e32 v18, 3, v17
	v_sub_u32_e32 v18, v15, v18
	v_lshl_add_u32 v18, v16, 3, v18
	ds_read_b64 v[18:19], v18 offset:2624
	ds_read_b64 v[20:21], v15 offset:40
	s_waitcnt lgkmcnt(0)
	v_mul_f32_e32 v22, v21, v19
	v_mul_f32_e32 v19, v20, v19
	v_fma_f32 v20, v20, v18, -v22
	v_fmac_f32_e32 v19, v21, v18
	v_add_f32_e32 v2, v2, v20
	v_add_f32_e32 v3, v3, v19
	s_or_b64 exec, exec, s[20:21]
	v_cmp_gt_u32_e64 s[18:19], 16, v7
	s_and_saveexec_b64 s[20:21], s[18:19]
	s_cbranch_execz .LBB152_138
.LBB152_1057:
	ds_read_b64 v[18:19], v13 offset:3136
	ds_read_b64 v[20:21], v15 offset:48
	s_waitcnt lgkmcnt(0)
	v_mul_f32_e32 v15, v21, v19
	v_mul_f32_e32 v19, v20, v19
	v_fma_f32 v15, v20, v18, -v15
	v_fmac_f32_e32 v19, v21, v18
	v_add_f32_e32 v2, v2, v15
	v_add_f32_e32 v3, v3, v19
	s_or_b64 exec, exec, s[20:21]
	v_cmp_gt_u32_e64 s[18:19], 8, v7
	s_and_saveexec_b64 s[20:21], s[18:19]
	s_cbranch_execnz .LBB152_139
	s_branch .LBB152_140
.LBB152_1058:
	v_lshlrev_b32_e32 v19, 3, v12
	v_sub_u32_e32 v19, v18, v19
	v_lshl_add_u32 v19, v11, 3, v19
	ds_read_b64 v[19:20], v19 offset:4704
	ds_read_b64 v[21:22], v18 offset:4168
	s_waitcnt lgkmcnt(0)
	v_mul_f32_e32 v23, v22, v20
	v_mul_f32_e32 v20, v21, v20
	v_fma_f32 v21, v21, v19, -v23
	v_fmac_f32_e32 v20, v22, v19
	v_add_f32_e32 v2, v2, v21
	v_add_f32_e32 v3, v3, v20
	s_or_b64 exec, exec, s[18:19]
	v_cmp_gt_u32_e64 s[14:15], 8, v7
	s_and_saveexec_b64 s[18:19], s[14:15]
	s_cbranch_execz .LBB152_196
.LBB152_1059:
	ds_read_b64 v[19:20], v8 offset:5216
	ds_read_b64 v[21:22], v18 offset:4176
	s_waitcnt lgkmcnt(0)
	v_mul_f32_e32 v18, v22, v20
	v_mul_f32_e32 v20, v21, v20
	v_fma_f32 v18, v21, v19, -v18
	v_fmac_f32_e32 v20, v22, v19
	v_add_f32_e32 v2, v2, v18
	v_add_f32_e32 v3, v3, v20
	s_or_b64 exec, exec, s[18:19]
	v_cmp_gt_u32_e64 s[14:15], 4, v7
	s_and_saveexec_b64 s[18:19], s[14:15]
	s_cbranch_execnz .LBB152_197
	s_branch .LBB152_198
.LBB152_1060:
	v_lshlrev_b32_e32 v23, 3, v19
	v_lshl_add_u32 v23, v21, 3, v23
	ds_read_b64 v[23:24], v23 offset:5760
	ds_read_b64 v[25:26], v20 offset:88
	s_waitcnt lgkmcnt(0)
	v_mul_f32_e32 v27, v26, v24
	v_mul_f32_e32 v24, v25, v24
	v_fma_f32 v25, v25, v23, -v27
	v_fmac_f32_e32 v24, v26, v23
	v_add_f32_e32 v2, v2, v25
	v_add_f32_e32 v3, v3, v24
	s_or_b64 exec, exec, s[24:25]
	v_cmp_gt_u32_e64 s[20:21], 64, v7
	s_and_saveexec_b64 s[24:25], s[20:21]
	s_cbranch_execz .LBB152_258
.LBB152_1061:
	ds_read_b64 v[23:24], v18 offset:6272
	ds_read_b64 v[25:26], v20 offset:96
	s_waitcnt lgkmcnt(0)
	v_mul_f32_e32 v27, v26, v24
	v_mul_f32_e32 v24, v25, v24
	v_fma_f32 v25, v25, v23, -v27
	v_fmac_f32_e32 v24, v26, v23
	v_add_f32_e32 v2, v2, v25
	v_add_f32_e32 v3, v3, v24
	s_or_b64 exec, exec, s[24:25]
	v_cmp_gt_u32_e64 s[20:21], 48, v7
	s_and_saveexec_b64 s[24:25], s[20:21]
	s_cbranch_execz .LBB152_259
.LBB152_1062:
	v_lshlrev_b32_e32 v23, 3, v19
	v_lshl_add_u32 v23, v21, 3, v23
	ds_read_b64 v[23:24], v23 offset:6784
	ds_read_b64 v[25:26], v20 offset:104
	s_waitcnt lgkmcnt(0)
	v_mul_f32_e32 v27, v26, v24
	v_mul_f32_e32 v24, v25, v24
	v_fma_f32 v25, v25, v23, -v27
	v_fmac_f32_e32 v24, v26, v23
	v_add_f32_e32 v2, v2, v25
	v_add_f32_e32 v3, v3, v24
	s_or_b64 exec, exec, s[24:25]
	v_cmp_gt_u32_e64 s[20:21], 32, v7
	s_and_saveexec_b64 s[24:25], s[20:21]
	s_cbranch_execz .LBB152_260
.LBB152_1063:
	ds_read_b64 v[23:24], v18 offset:7296
	ds_read_b64 v[25:26], v20 offset:112
	s_waitcnt lgkmcnt(0)
	v_mul_f32_e32 v20, v26, v24
	v_mul_f32_e32 v24, v25, v24
	v_fma_f32 v20, v25, v23, -v20
	v_fmac_f32_e32 v24, v26, v23
	v_add_f32_e32 v2, v2, v20
	v_add_f32_e32 v3, v3, v24
	s_or_b64 exec, exec, s[24:25]
	v_cmp_gt_u32_e64 s[20:21], 16, v7
	s_and_saveexec_b64 s[24:25], s[20:21]
	s_cbranch_execnz .LBB152_261
	s_branch .LBB152_262
.LBB152_1064:
	v_lshlrev_b32_e32 v24, 3, v12
	v_sub_u32_e32 v24, v23, v24
	v_lshl_add_u32 v24, v11, 3, v24
	ds_read_b64 v[24:25], v24 offset:8864
	ds_read_b64 v[26:27], v23 offset:8328
	s_waitcnt lgkmcnt(0)
	v_mul_f32_e32 v28, v27, v25
	v_mul_f32_e32 v25, v26, v25
	v_fma_f32 v26, v26, v24, -v28
	v_fmac_f32_e32 v25, v27, v24
	v_add_f32_e32 v2, v2, v26
	v_add_f32_e32 v3, v3, v25
	s_or_b64 exec, exec, s[24:25]
	v_cmp_gt_u32_e64 s[18:19], 8, v7
	s_and_saveexec_b64 s[24:25], s[18:19]
	s_cbranch_execz .LBB152_350
.LBB152_1065:
	ds_read_b64 v[24:25], v8 offset:9376
	ds_read_b64 v[26:27], v23 offset:8336
	s_waitcnt lgkmcnt(0)
	v_mul_f32_e32 v23, v27, v25
	v_mul_f32_e32 v25, v26, v25
	v_fma_f32 v23, v26, v24, -v23
	v_fmac_f32_e32 v25, v27, v24
	v_add_f32_e32 v2, v2, v23
	v_add_f32_e32 v3, v3, v25
	s_or_b64 exec, exec, s[24:25]
	v_cmp_gt_u32_e64 s[18:19], 4, v7
	s_and_saveexec_b64 s[24:25], s[18:19]
	s_cbranch_execnz .LBB152_351
	s_branch .LBB152_352
.LBB152_1066:
	v_lshlrev_b32_e32 v24, 3, v17
	v_sub_u32_e32 v24, v23, v24
	v_lshl_add_u32 v24, v16, 3, v24
	ds_read_b64 v[24:25], v24 offset:8896
	ds_read_b64 v[26:27], v23 offset:8328
	s_waitcnt lgkmcnt(0)
	v_mul_f32_e32 v28, v27, v25
	v_mul_f32_e32 v25, v26, v25
	v_fma_f32 v26, v26, v24, -v28
	v_fmac_f32_e32 v25, v27, v24
	v_add_f32_e32 v2, v2, v26
	v_add_f32_e32 v3, v3, v25
	s_or_b64 exec, exec, s[24:25]
	v_cmp_gt_u32_e64 s[18:19], 48, v7
	s_and_saveexec_b64 s[24:25], s[18:19]
	s_cbranch_execz .LBB152_392
.LBB152_1067:
	v_lshlrev_b32_e32 v24, 3, v17
	v_sub_u32_e32 v24, v23, v24
	v_lshl_add_u32 v24, v16, 3, v24
	ds_read_b64 v[24:25], v24 offset:9408
	ds_read_b64 v[26:27], v23 offset:8336
	s_waitcnt lgkmcnt(0)
	v_mul_f32_e32 v28, v27, v25
	v_mul_f32_e32 v25, v26, v25
	v_fma_f32 v26, v26, v24, -v28
	v_fmac_f32_e32 v25, v27, v24
	v_add_f32_e32 v2, v2, v26
	v_add_f32_e32 v3, v3, v25
	s_or_b64 exec, exec, s[24:25]
	v_cmp_gt_u32_e64 s[18:19], 40, v7
	s_and_saveexec_b64 s[24:25], s[18:19]
	s_cbranch_execz .LBB152_393
.LBB152_1068:
	v_lshlrev_b32_e32 v24, 3, v17
	v_sub_u32_e32 v24, v23, v24
	v_lshl_add_u32 v24, v16, 3, v24
	ds_read_b64 v[24:25], v24 offset:9920
	ds_read_b64 v[26:27], v23 offset:8344
	s_waitcnt lgkmcnt(0)
	v_mul_f32_e32 v28, v27, v25
	v_mul_f32_e32 v25, v26, v25
	v_fma_f32 v26, v26, v24, -v28
	v_fmac_f32_e32 v25, v27, v24
	v_add_f32_e32 v2, v2, v26
	v_add_f32_e32 v3, v3, v25
	s_or_b64 exec, exec, s[24:25]
	v_cmp_gt_u32_e64 s[18:19], 32, v7
	s_and_saveexec_b64 s[24:25], s[18:19]
	s_cbranch_execz .LBB152_394
.LBB152_1069:
	ds_read_b64 v[24:25], v13 offset:10432
	ds_read_b64 v[26:27], v23 offset:8352
	s_waitcnt lgkmcnt(0)
	v_mul_f32_e32 v28, v27, v25
	v_mul_f32_e32 v25, v26, v25
	v_fma_f32 v26, v26, v24, -v28
	v_fmac_f32_e32 v25, v27, v24
	v_add_f32_e32 v2, v2, v26
	v_add_f32_e32 v3, v3, v25
	s_or_b64 exec, exec, s[24:25]
	v_cmp_gt_u32_e64 s[18:19], 24, v7
	s_and_saveexec_b64 s[24:25], s[18:19]
	s_cbranch_execz .LBB152_395
.LBB152_1070:
	v_lshlrev_b32_e32 v24, 3, v17
	v_sub_u32_e32 v24, v23, v24
	v_lshl_add_u32 v24, v16, 3, v24
	ds_read_b64 v[24:25], v24 offset:10944
	ds_read_b64 v[26:27], v23 offset:8360
	s_waitcnt lgkmcnt(0)
	v_mul_f32_e32 v28, v27, v25
	v_mul_f32_e32 v25, v26, v25
	v_fma_f32 v26, v26, v24, -v28
	v_fmac_f32_e32 v25, v27, v24
	v_add_f32_e32 v2, v2, v26
	v_add_f32_e32 v3, v3, v25
	s_or_b64 exec, exec, s[24:25]
	v_cmp_gt_u32_e64 s[18:19], 16, v7
	s_and_saveexec_b64 s[24:25], s[18:19]
	s_cbranch_execz .LBB152_396
.LBB152_1071:
	ds_read_b64 v[24:25], v13 offset:11456
	ds_read_b64 v[26:27], v23 offset:8368
	s_waitcnt lgkmcnt(0)
	v_mul_f32_e32 v23, v27, v25
	v_mul_f32_e32 v25, v26, v25
	v_fma_f32 v23, v26, v24, -v23
	v_fmac_f32_e32 v25, v27, v24
	v_add_f32_e32 v2, v2, v23
	v_add_f32_e32 v3, v3, v25
	s_or_b64 exec, exec, s[24:25]
	v_cmp_gt_u32_e64 s[18:19], 8, v7
	s_and_saveexec_b64 s[24:25], s[18:19]
	s_cbranch_execnz .LBB152_397
	s_branch .LBB152_398
.LBB152_1072:
	v_lshlrev_b32_e32 v24, 3, v12
	v_sub_u32_e32 v24, v23, v24
	v_lshl_add_u32 v24, v11, 3, v24
	ds_read_b64 v[24:25], v24 offset:13024
	ds_read_b64 v[26:27], v23 offset:12488
	s_waitcnt lgkmcnt(0)
	v_mul_f32_e32 v28, v27, v25
	v_mul_f32_e32 v25, v26, v25
	v_fma_f32 v26, v26, v24, -v28
	v_fmac_f32_e32 v25, v27, v24
	v_add_f32_e32 v2, v2, v26
	v_add_f32_e32 v3, v3, v25
	s_or_b64 exec, exec, s[24:25]
	v_cmp_gt_u32_e64 s[18:19], 8, v7
	s_and_saveexec_b64 s[24:25], s[18:19]
	s_cbranch_execz .LBB152_454
.LBB152_1073:
	ds_read_b64 v[24:25], v8 offset:13536
	ds_read_b64 v[26:27], v23 offset:12496
	s_waitcnt lgkmcnt(0)
	v_mul_f32_e32 v23, v27, v25
	v_mul_f32_e32 v25, v26, v25
	v_fma_f32 v23, v26, v24, -v23
	v_fmac_f32_e32 v25, v27, v24
	v_add_f32_e32 v2, v2, v23
	v_add_f32_e32 v3, v3, v25
	s_or_b64 exec, exec, s[24:25]
	v_cmp_gt_u32_e64 s[18:19], 4, v7
	s_and_saveexec_b64 s[24:25], s[18:19]
	s_cbranch_execnz .LBB152_455
	s_branch .LBB152_456
.LBB152_1074:
	ds_read_b64 v[29:30], v28 offset:15104
	ds_read_b64 v[31:32], v27 offset:232
	s_waitcnt lgkmcnt(0)
	v_mul_f32_e32 v33, v32, v30
	v_mul_f32_e32 v30, v31, v30
	v_fma_f32 v31, v31, v29, -v33
	v_fmac_f32_e32 v30, v32, v29
	v_add_f32_e32 v2, v2, v31
	v_add_f32_e32 v3, v3, v30
	s_or_b64 exec, exec, s[96:97]
	v_cmp_gt_u32_e64 s[24:25], 64, v7
	s_and_saveexec_b64 s[96:97], s[24:25]
	s_cbranch_execz .LBB152_552
.LBB152_1075:
	ds_read_b64 v[28:29], v28 offset:15616
	ds_read_b64 v[30:31], v27 offset:240
	s_waitcnt lgkmcnt(0)
	v_mul_f32_e32 v32, v31, v29
	v_mul_f32_e32 v29, v30, v29
	v_fma_f32 v30, v30, v28, -v32
	v_fmac_f32_e32 v29, v31, v28
	v_add_f32_e32 v2, v2, v30
	v_add_f32_e32 v3, v3, v29
	s_or_b64 exec, exec, s[96:97]
	v_cmp_gt_u32_e64 s[24:25], 32, v7
	s_and_saveexec_b64 s[96:97], s[24:25]
	s_cbranch_execnz .LBB152_553
	s_branch .LBB152_554
.LBB152_1076:
	v_lshlrev_b32_e32 v24, 3, v12
	v_sub_u32_e32 v24, v23, v24
	v_lshl_add_u32 v24, v11, 3, v24
	ds_read_b64 v[24:25], v24 offset:17184
	ds_read_b64 v[26:27], v23 offset:16648
	s_waitcnt lgkmcnt(0)
	v_mul_f32_e32 v28, v27, v25
	v_mul_f32_e32 v25, v26, v25
	v_fma_f32 v26, v26, v24, -v28
	v_fmac_f32_e32 v25, v27, v24
	v_add_f32_e32 v2, v2, v26
	v_add_f32_e32 v3, v3, v25
	s_or_b64 exec, exec, s[20:21]
	v_cmp_gt_u32_e64 s[16:17], 8, v7
	s_and_saveexec_b64 s[20:21], s[16:17]
	s_cbranch_execz .LBB152_590
.LBB152_1077:
	ds_read_b64 v[24:25], v8 offset:17696
	ds_read_b64 v[26:27], v23 offset:16656
	s_waitcnt lgkmcnt(0)
	v_mul_f32_e32 v23, v27, v25
	v_mul_f32_e32 v25, v26, v25
	v_fma_f32 v23, v26, v24, -v23
	v_fmac_f32_e32 v25, v27, v24
	v_add_f32_e32 v2, v2, v23
	v_add_f32_e32 v3, v3, v25
	s_or_b64 exec, exec, s[20:21]
	v_cmp_gt_u32_e64 s[16:17], 4, v7
	s_and_saveexec_b64 s[20:21], s[16:17]
	s_cbranch_execnz .LBB152_591
	s_branch .LBB152_592
.LBB152_1078:
	v_lshlrev_b32_e32 v24, 3, v17
	v_sub_u32_e32 v24, v23, v24
	v_lshl_add_u32 v24, v16, 3, v24
	ds_read_b64 v[24:25], v24 offset:17216
	ds_read_b64 v[26:27], v23 offset:16648
	s_waitcnt lgkmcnt(0)
	v_mul_f32_e32 v28, v27, v25
	v_mul_f32_e32 v25, v26, v25
	v_fma_f32 v26, v26, v24, -v28
	v_fmac_f32_e32 v25, v27, v24
	v_add_f32_e32 v2, v2, v26
	v_add_f32_e32 v3, v3, v25
	s_or_b64 exec, exec, s[20:21]
	v_cmp_gt_u32_e64 s[16:17], 48, v7
	s_and_saveexec_b64 s[20:21], s[16:17]
	s_cbranch_execz .LBB152_632
.LBB152_1079:
	v_lshlrev_b32_e32 v24, 3, v17
	v_sub_u32_e32 v24, v23, v24
	v_lshl_add_u32 v24, v16, 3, v24
	ds_read_b64 v[24:25], v24 offset:17728
	ds_read_b64 v[26:27], v23 offset:16656
	s_waitcnt lgkmcnt(0)
	v_mul_f32_e32 v28, v27, v25
	v_mul_f32_e32 v25, v26, v25
	v_fma_f32 v26, v26, v24, -v28
	v_fmac_f32_e32 v25, v27, v24
	v_add_f32_e32 v2, v2, v26
	v_add_f32_e32 v3, v3, v25
	s_or_b64 exec, exec, s[20:21]
	v_cmp_gt_u32_e64 s[16:17], 40, v7
	s_and_saveexec_b64 s[20:21], s[16:17]
	s_cbranch_execz .LBB152_633
.LBB152_1080:
	v_lshlrev_b32_e32 v24, 3, v17
	v_sub_u32_e32 v24, v23, v24
	v_lshl_add_u32 v24, v16, 3, v24
	ds_read_b64 v[24:25], v24 offset:18240
	ds_read_b64 v[26:27], v23 offset:16664
	s_waitcnt lgkmcnt(0)
	v_mul_f32_e32 v28, v27, v25
	v_mul_f32_e32 v25, v26, v25
	v_fma_f32 v26, v26, v24, -v28
	v_fmac_f32_e32 v25, v27, v24
	v_add_f32_e32 v2, v2, v26
	v_add_f32_e32 v3, v3, v25
	s_or_b64 exec, exec, s[20:21]
	v_cmp_gt_u32_e64 s[16:17], 32, v7
	s_and_saveexec_b64 s[20:21], s[16:17]
	s_cbranch_execz .LBB152_634
.LBB152_1081:
	ds_read_b64 v[24:25], v13 offset:18752
	ds_read_b64 v[26:27], v23 offset:16672
	s_waitcnt lgkmcnt(0)
	v_mul_f32_e32 v28, v27, v25
	v_mul_f32_e32 v25, v26, v25
	v_fma_f32 v26, v26, v24, -v28
	v_fmac_f32_e32 v25, v27, v24
	v_add_f32_e32 v2, v2, v26
	v_add_f32_e32 v3, v3, v25
	s_or_b64 exec, exec, s[20:21]
	v_cmp_gt_u32_e64 s[16:17], 24, v7
	s_and_saveexec_b64 s[20:21], s[16:17]
	s_cbranch_execz .LBB152_635
.LBB152_1082:
	v_lshlrev_b32_e32 v24, 3, v17
	v_sub_u32_e32 v24, v23, v24
	v_lshl_add_u32 v24, v16, 3, v24
	ds_read_b64 v[24:25], v24 offset:19264
	ds_read_b64 v[26:27], v23 offset:16680
	s_waitcnt lgkmcnt(0)
	v_mul_f32_e32 v28, v27, v25
	v_mul_f32_e32 v25, v26, v25
	v_fma_f32 v26, v26, v24, -v28
	v_fmac_f32_e32 v25, v27, v24
	v_add_f32_e32 v2, v2, v26
	v_add_f32_e32 v3, v3, v25
	s_or_b64 exec, exec, s[20:21]
	v_cmp_gt_u32_e64 s[16:17], 16, v7
	s_and_saveexec_b64 s[20:21], s[16:17]
	s_cbranch_execz .LBB152_636
.LBB152_1083:
	ds_read_b64 v[24:25], v13 offset:19776
	ds_read_b64 v[26:27], v23 offset:16688
	s_waitcnt lgkmcnt(0)
	v_mul_f32_e32 v23, v27, v25
	v_mul_f32_e32 v25, v26, v25
	v_fma_f32 v23, v26, v24, -v23
	v_fmac_f32_e32 v25, v27, v24
	v_add_f32_e32 v2, v2, v23
	v_add_f32_e32 v3, v3, v25
	s_or_b64 exec, exec, s[20:21]
	v_cmp_gt_u32_e64 s[16:17], 8, v7
	s_and_saveexec_b64 s[20:21], s[16:17]
	s_cbranch_execnz .LBB152_637
	s_branch .LBB152_638
.LBB152_1084:
	v_lshlrev_b32_e32 v24, 3, v12
	v_sub_u32_e32 v24, v23, v24
	v_lshl_add_u32 v24, v11, 3, v24
	ds_read_b64 v[24:25], v24 offset:21344
	ds_read_b64 v[26:27], v23 offset:20808
	s_waitcnt lgkmcnt(0)
	v_mul_f32_e32 v28, v27, v25
	v_mul_f32_e32 v25, v26, v25
	v_fma_f32 v26, v26, v24, -v28
	v_fmac_f32_e32 v25, v27, v24
	v_add_f32_e32 v2, v2, v26
	v_add_f32_e32 v3, v3, v25
	s_or_b64 exec, exec, s[20:21]
	v_cmp_gt_u32_e64 s[16:17], 8, v7
	s_and_saveexec_b64 s[20:21], s[16:17]
	s_cbranch_execz .LBB152_694
.LBB152_1085:
	ds_read_b64 v[24:25], v8 offset:21856
	ds_read_b64 v[26:27], v23 offset:20816
	s_waitcnt lgkmcnt(0)
	v_mul_f32_e32 v23, v27, v25
	v_mul_f32_e32 v25, v26, v25
	v_fma_f32 v23, v26, v24, -v23
	v_fmac_f32_e32 v25, v27, v24
	v_add_f32_e32 v2, v2, v23
	v_add_f32_e32 v3, v3, v25
	s_or_b64 exec, exec, s[20:21]
	v_cmp_gt_u32_e64 s[16:17], 4, v7
	s_and_saveexec_b64 s[20:21], s[16:17]
	s_cbranch_execnz .LBB152_695
	s_branch .LBB152_696
.LBB152_1086:
	v_lshlrev_b32_e32 v22, 3, v19
	v_lshl_add_u32 v22, v21, 3, v22
	ds_read_b64 v[24:25], v22 offset:22400
	ds_read_b64 v[26:27], v23 offset:16728
	s_waitcnt lgkmcnt(0)
	v_mul_f32_e32 v22, v27, v25
	v_mul_f32_e32 v25, v26, v25
	v_fma_f32 v22, v26, v24, -v22
	v_fmac_f32_e32 v25, v27, v24
	v_add_f32_e32 v2, v2, v22
	v_add_f32_e32 v3, v3, v25
	s_or_b64 exec, exec, s[20:21]
	v_cmp_gt_u32_e64 s[16:17], 64, v7
	s_and_saveexec_b64 s[20:21], s[16:17]
	s_cbranch_execz .LBB152_756
.LBB152_1087:
	ds_read_b64 v[24:25], v18 offset:22912
	ds_read_b64 v[26:27], v23 offset:16736
	s_waitcnt lgkmcnt(0)
	v_mul_f32_e32 v22, v27, v25
	v_mul_f32_e32 v25, v26, v25
	v_fma_f32 v22, v26, v24, -v22
	v_fmac_f32_e32 v25, v27, v24
	v_add_f32_e32 v2, v2, v22
	v_add_f32_e32 v3, v3, v25
	s_or_b64 exec, exec, s[20:21]
	v_cmp_gt_u32_e64 s[16:17], 48, v7
	s_and_saveexec_b64 s[20:21], s[16:17]
	s_cbranch_execz .LBB152_757
.LBB152_1088:
	v_lshlrev_b32_e32 v22, 3, v19
	v_lshl_add_u32 v21, v21, 3, v22
	ds_read_b64 v[21:22], v21 offset:23424
	ds_read_b64 v[24:25], v23 offset:16744
	s_waitcnt lgkmcnt(0)
	v_mul_f32_e32 v26, v25, v22
	v_mul_f32_e32 v22, v24, v22
	v_fma_f32 v24, v24, v21, -v26
	v_fmac_f32_e32 v22, v25, v21
	v_add_f32_e32 v2, v2, v24
	v_add_f32_e32 v3, v3, v22
	s_or_b64 exec, exec, s[20:21]
	v_cmp_gt_u32_e64 s[16:17], 32, v7
	s_and_saveexec_b64 s[20:21], s[16:17]
	s_cbranch_execz .LBB152_758
.LBB152_1089:
	ds_read_b64 v[21:22], v18 offset:23936
	ds_read_b64 v[23:24], v23 offset:16752
	s_waitcnt lgkmcnt(0)
	v_mul_f32_e32 v25, v24, v22
	v_mul_f32_e32 v22, v23, v22
	v_fma_f32 v23, v23, v21, -v25
	v_fmac_f32_e32 v22, v24, v21
	v_add_f32_e32 v2, v2, v23
	v_add_f32_e32 v3, v3, v22
	s_or_b64 exec, exec, s[20:21]
	v_cmp_gt_u32_e64 s[16:17], 16, v7
	s_and_saveexec_b64 s[20:21], s[16:17]
	s_cbranch_execnz .LBB152_759
	s_branch .LBB152_760
.LBB152_1090:
	v_lshlrev_b32_e32 v19, 3, v12
	v_sub_u32_e32 v19, v18, v19
	v_lshl_add_u32 v19, v11, 3, v19
	ds_read_b64 v[19:20], v19 offset:25504
	ds_read_b64 v[21:22], v18 offset:24968
	s_waitcnt lgkmcnt(0)
	v_mul_f32_e32 v23, v22, v20
	v_mul_f32_e32 v20, v21, v20
	v_fma_f32 v21, v21, v19, -v23
	v_fmac_f32_e32 v20, v22, v19
	v_add_f32_e32 v2, v2, v21
	v_add_f32_e32 v3, v3, v20
	s_or_b64 exec, exec, s[16:17]
	v_cmp_gt_u32_e64 s[14:15], 8, v7
	s_and_saveexec_b64 s[16:17], s[14:15]
	s_cbranch_execz .LBB152_848
.LBB152_1091:
	ds_read_b64 v[19:20], v8 offset:26016
	ds_read_b64 v[21:22], v18 offset:24976
	s_waitcnt lgkmcnt(0)
	v_mul_f32_e32 v18, v22, v20
	v_mul_f32_e32 v20, v21, v20
	v_fma_f32 v18, v21, v19, -v18
	v_fmac_f32_e32 v20, v22, v19
	v_add_f32_e32 v2, v2, v18
	v_add_f32_e32 v3, v3, v20
	s_or_b64 exec, exec, s[16:17]
	v_cmp_gt_u32_e64 s[14:15], 4, v7
	s_and_saveexec_b64 s[16:17], s[14:15]
	s_cbranch_execnz .LBB152_849
	s_branch .LBB152_850
.LBB152_1092:
	v_lshlrev_b32_e32 v19, 3, v17
	v_sub_u32_e32 v19, v18, v19
	v_lshl_add_u32 v19, v16, 3, v19
	ds_read_b64 v[19:20], v19 offset:25536
	ds_read_b64 v[21:22], v18 offset:24968
	s_waitcnt lgkmcnt(0)
	v_mul_f32_e32 v23, v22, v20
	v_mul_f32_e32 v20, v21, v20
	v_fma_f32 v21, v21, v19, -v23
	v_fmac_f32_e32 v20, v22, v19
	v_add_f32_e32 v2, v2, v21
	v_add_f32_e32 v3, v3, v20
	s_or_b64 exec, exec, s[16:17]
	v_cmp_gt_u32_e64 s[14:15], 48, v7
	s_and_saveexec_b64 s[16:17], s[14:15]
	s_cbranch_execz .LBB152_890
.LBB152_1093:
	v_lshlrev_b32_e32 v19, 3, v17
	v_sub_u32_e32 v19, v18, v19
	v_lshl_add_u32 v19, v16, 3, v19
	ds_read_b64 v[19:20], v19 offset:26048
	ds_read_b64 v[21:22], v18 offset:24976
	s_waitcnt lgkmcnt(0)
	v_mul_f32_e32 v23, v22, v20
	v_mul_f32_e32 v20, v21, v20
	v_fma_f32 v21, v21, v19, -v23
	v_fmac_f32_e32 v20, v22, v19
	v_add_f32_e32 v2, v2, v21
	v_add_f32_e32 v3, v3, v20
	s_or_b64 exec, exec, s[16:17]
	v_cmp_gt_u32_e64 s[14:15], 40, v7
	s_and_saveexec_b64 s[16:17], s[14:15]
	s_cbranch_execz .LBB152_891
.LBB152_1094:
	v_lshlrev_b32_e32 v19, 3, v17
	v_sub_u32_e32 v19, v18, v19
	v_lshl_add_u32 v19, v16, 3, v19
	ds_read_b64 v[19:20], v19 offset:26560
	ds_read_b64 v[21:22], v18 offset:24984
	s_waitcnt lgkmcnt(0)
	v_mul_f32_e32 v23, v22, v20
	v_mul_f32_e32 v20, v21, v20
	v_fma_f32 v21, v21, v19, -v23
	v_fmac_f32_e32 v20, v22, v19
	v_add_f32_e32 v2, v2, v21
	v_add_f32_e32 v3, v3, v20
	s_or_b64 exec, exec, s[16:17]
	v_cmp_gt_u32_e64 s[14:15], 32, v7
	s_and_saveexec_b64 s[16:17], s[14:15]
	s_cbranch_execz .LBB152_892
.LBB152_1095:
	ds_read_b64 v[19:20], v13 offset:27072
	ds_read_b64 v[21:22], v18 offset:24992
	s_waitcnt lgkmcnt(0)
	v_mul_f32_e32 v23, v22, v20
	v_mul_f32_e32 v20, v21, v20
	v_fma_f32 v21, v21, v19, -v23
	v_fmac_f32_e32 v20, v22, v19
	v_add_f32_e32 v2, v2, v21
	v_add_f32_e32 v3, v3, v20
	s_or_b64 exec, exec, s[16:17]
	v_cmp_gt_u32_e64 s[14:15], 24, v7
	s_and_saveexec_b64 s[16:17], s[14:15]
	s_cbranch_execz .LBB152_893
.LBB152_1096:
	v_lshlrev_b32_e32 v17, 3, v17
	v_sub_u32_e32 v17, v18, v17
	v_lshl_add_u32 v16, v16, 3, v17
	ds_read_b64 v[16:17], v16 offset:27584
	ds_read_b64 v[19:20], v18 offset:25000
	s_waitcnt lgkmcnt(0)
	v_mul_f32_e32 v21, v20, v17
	v_mul_f32_e32 v17, v19, v17
	v_fma_f32 v19, v19, v16, -v21
	v_fmac_f32_e32 v17, v20, v16
	v_add_f32_e32 v2, v2, v19
	v_add_f32_e32 v3, v3, v17
	s_or_b64 exec, exec, s[16:17]
	v_cmp_gt_u32_e64 s[14:15], 16, v7
	s_and_saveexec_b64 s[16:17], s[14:15]
	s_cbranch_execz .LBB152_894
.LBB152_1097:
	ds_read_b64 v[16:17], v13 offset:28096
	ds_read_b64 v[18:19], v18 offset:25008
	s_waitcnt lgkmcnt(0)
	v_mul_f32_e32 v20, v19, v17
	v_mul_f32_e32 v17, v18, v17
	v_fma_f32 v18, v18, v16, -v20
	v_fmac_f32_e32 v17, v19, v16
	v_add_f32_e32 v2, v2, v18
	v_add_f32_e32 v3, v3, v17
	s_or_b64 exec, exec, s[16:17]
	v_cmp_gt_u32_e64 s[14:15], 8, v7
	s_and_saveexec_b64 s[16:17], s[14:15]
	s_cbranch_execnz .LBB152_895
	s_branch .LBB152_896
.LBB152_1098:
	v_lshlrev_b32_e32 v12, 3, v12
	v_sub_u32_e32 v12, v13, v12
	v_lshl_add_u32 v11, v11, 3, v12
	ds_read_b64 v[11:12], v11 offset:29664
	ds_read_b64 v[14:15], v13 offset:29128
	s_waitcnt lgkmcnt(0)
	v_mul_f32_e32 v16, v15, v12
	v_mul_f32_e32 v12, v14, v12
	v_fma_f32 v14, v14, v11, -v16
	v_fmac_f32_e32 v12, v15, v11
	v_add_f32_e32 v2, v2, v14
	v_add_f32_e32 v3, v3, v12
	s_or_b64 exec, exec, s[14:15]
	v_cmp_gt_u32_e64 s[12:13], 8, v7
	s_and_saveexec_b64 s[14:15], s[12:13]
	s_cbranch_execz .LBB152_952
.LBB152_1099:
	ds_read_b64 v[11:12], v8 offset:30176
	ds_read_b64 v[13:14], v13 offset:29136
	s_waitcnt lgkmcnt(0)
	v_mul_f32_e32 v15, v14, v12
	v_mul_f32_e32 v12, v13, v12
	v_fma_f32 v13, v13, v11, -v15
	v_fmac_f32_e32 v12, v14, v11
	v_add_f32_e32 v2, v2, v13
	v_add_f32_e32 v3, v3, v12
	s_or_b64 exec, exec, s[14:15]
	v_cmp_gt_u32_e64 s[12:13], 4, v7
	s_and_saveexec_b64 s[14:15], s[12:13]
	s_cbranch_execnz .LBB152_953
	s_branch .LBB152_954
	.section	.rodata,"a",@progbits
	.p2align	6, 0x0
	.amdhsa_kernel _ZL19rocblas_trsv_deviceILi64ELi16ELb1ELb1ELb0ELb1E19rocblas_complex_numIfEPKS1_PKS3_PKPS1_EviT7_lllT6_T8_lllPii
		.amdhsa_group_segment_fixed_size 41480
		.amdhsa_private_segment_fixed_size 48
		.amdhsa_kernarg_size 352
		.amdhsa_user_sgpr_count 8
		.amdhsa_user_sgpr_private_segment_buffer 1
		.amdhsa_user_sgpr_dispatch_ptr 0
		.amdhsa_user_sgpr_queue_ptr 0
		.amdhsa_user_sgpr_kernarg_segment_ptr 1
		.amdhsa_user_sgpr_dispatch_id 0
		.amdhsa_user_sgpr_flat_scratch_init 1
		.amdhsa_user_sgpr_private_segment_size 0
		.amdhsa_uses_dynamic_stack 0
		.amdhsa_system_sgpr_private_segment_wavefront_offset 1
		.amdhsa_system_sgpr_workgroup_id_x 1
		.amdhsa_system_sgpr_workgroup_id_y 0
		.amdhsa_system_sgpr_workgroup_id_z 1
		.amdhsa_system_sgpr_workgroup_info 0
		.amdhsa_system_vgpr_workitem_id 1
		.amdhsa_next_free_vgpr 49
		.amdhsa_next_free_sgpr 100
		.amdhsa_reserve_vcc 1
		.amdhsa_reserve_flat_scratch 1
		.amdhsa_float_round_mode_32 0
		.amdhsa_float_round_mode_16_64 0
		.amdhsa_float_denorm_mode_32 3
		.amdhsa_float_denorm_mode_16_64 3
		.amdhsa_dx10_clamp 1
		.amdhsa_ieee_mode 1
		.amdhsa_fp16_overflow 0
		.amdhsa_exception_fp_ieee_invalid_op 0
		.amdhsa_exception_fp_denorm_src 0
		.amdhsa_exception_fp_ieee_div_zero 0
		.amdhsa_exception_fp_ieee_overflow 0
		.amdhsa_exception_fp_ieee_underflow 0
		.amdhsa_exception_fp_ieee_inexact 0
		.amdhsa_exception_int_div_zero 0
	.end_amdhsa_kernel
	.section	.text._ZL19rocblas_trsv_deviceILi64ELi16ELb1ELb1ELb0ELb1E19rocblas_complex_numIfEPKS1_PKS3_PKPS1_EviT7_lllT6_T8_lllPii,"axG",@progbits,_ZL19rocblas_trsv_deviceILi64ELi16ELb1ELb1ELb0ELb1E19rocblas_complex_numIfEPKS1_PKS3_PKPS1_EviT7_lllT6_T8_lllPii,comdat
.Lfunc_end152:
	.size	_ZL19rocblas_trsv_deviceILi64ELi16ELb1ELb1ELb0ELb1E19rocblas_complex_numIfEPKS1_PKS3_PKPS1_EviT7_lllT6_T8_lllPii, .Lfunc_end152-_ZL19rocblas_trsv_deviceILi64ELi16ELb1ELb1ELb0ELb1E19rocblas_complex_numIfEPKS1_PKS3_PKPS1_EviT7_lllT6_T8_lllPii
                                        ; -- End function
	.set _ZL19rocblas_trsv_deviceILi64ELi16ELb1ELb1ELb0ELb1E19rocblas_complex_numIfEPKS1_PKS3_PKPS1_EviT7_lllT6_T8_lllPii.num_vgpr, 35
	.set _ZL19rocblas_trsv_deviceILi64ELi16ELb1ELb1ELb0ELb1E19rocblas_complex_numIfEPKS1_PKS3_PKPS1_EviT7_lllT6_T8_lllPii.num_agpr, 0
	.set _ZL19rocblas_trsv_deviceILi64ELi16ELb1ELb1ELb0ELb1E19rocblas_complex_numIfEPKS1_PKS3_PKPS1_EviT7_lllT6_T8_lllPii.numbered_sgpr, 100
	.set _ZL19rocblas_trsv_deviceILi64ELi16ELb1ELb1ELb0ELb1E19rocblas_complex_numIfEPKS1_PKS3_PKPS1_EviT7_lllT6_T8_lllPii.num_named_barrier, 0
	.set _ZL19rocblas_trsv_deviceILi64ELi16ELb1ELb1ELb0ELb1E19rocblas_complex_numIfEPKS1_PKS3_PKPS1_EviT7_lllT6_T8_lllPii.private_seg_size, 48
	.set _ZL19rocblas_trsv_deviceILi64ELi16ELb1ELb1ELb0ELb1E19rocblas_complex_numIfEPKS1_PKS3_PKPS1_EviT7_lllT6_T8_lllPii.uses_vcc, 1
	.set _ZL19rocblas_trsv_deviceILi64ELi16ELb1ELb1ELb0ELb1E19rocblas_complex_numIfEPKS1_PKS3_PKPS1_EviT7_lllT6_T8_lllPii.uses_flat_scratch, 1
	.set _ZL19rocblas_trsv_deviceILi64ELi16ELb1ELb1ELb0ELb1E19rocblas_complex_numIfEPKS1_PKS3_PKPS1_EviT7_lllT6_T8_lllPii.has_dyn_sized_stack, 0
	.set _ZL19rocblas_trsv_deviceILi64ELi16ELb1ELb1ELb0ELb1E19rocblas_complex_numIfEPKS1_PKS3_PKPS1_EviT7_lllT6_T8_lllPii.has_recursion, 0
	.set _ZL19rocblas_trsv_deviceILi64ELi16ELb1ELb1ELb0ELb1E19rocblas_complex_numIfEPKS1_PKS3_PKPS1_EviT7_lllT6_T8_lllPii.has_indirect_call, 0
	.section	.AMDGPU.csdata,"",@progbits
; Kernel info:
; codeLenInByte = 39284
; TotalNumSgprs: 106
; NumVgprs: 35
; ScratchSize: 48
; MemoryBound: 1
; FloatMode: 240
; IeeeMode: 1
; LDSByteSize: 41480 bytes/workgroup (compile time only)
; SGPRBlocks: 13
; VGPRBlocks: 12
; NumSGPRsForWavesPerEU: 106
; NumVGPRsForWavesPerEU: 49
; Occupancy: 4
; WaveLimiterHint : 1
; COMPUTE_PGM_RSRC2:SCRATCH_EN: 1
; COMPUTE_PGM_RSRC2:USER_SGPR: 8
; COMPUTE_PGM_RSRC2:TRAP_HANDLER: 0
; COMPUTE_PGM_RSRC2:TGID_X_EN: 1
; COMPUTE_PGM_RSRC2:TGID_Y_EN: 0
; COMPUTE_PGM_RSRC2:TGID_Z_EN: 1
; COMPUTE_PGM_RSRC2:TIDIG_COMP_CNT: 1
	.section	.text._ZL19rocblas_trsv_deviceILi64ELi16ELb1ELb1ELb1ELb1E19rocblas_complex_numIfEPKS1_PKS3_PKPS1_EviT7_lllT6_T8_lllPii,"axG",@progbits,_ZL19rocblas_trsv_deviceILi64ELi16ELb1ELb1ELb1ELb1E19rocblas_complex_numIfEPKS1_PKS3_PKPS1_EviT7_lllT6_T8_lllPii,comdat
	.globl	_ZL19rocblas_trsv_deviceILi64ELi16ELb1ELb1ELb1ELb1E19rocblas_complex_numIfEPKS1_PKS3_PKPS1_EviT7_lllT6_T8_lllPii ; -- Begin function _ZL19rocblas_trsv_deviceILi64ELi16ELb1ELb1ELb1ELb1E19rocblas_complex_numIfEPKS1_PKS3_PKPS1_EviT7_lllT6_T8_lllPii
	.p2align	8
	.type	_ZL19rocblas_trsv_deviceILi64ELi16ELb1ELb1ELb1ELb1E19rocblas_complex_numIfEPKS1_PKS3_PKPS1_EviT7_lllT6_T8_lllPii,@function
_ZL19rocblas_trsv_deviceILi64ELi16ELb1ELb1ELb1ELb1E19rocblas_complex_numIfEPKS1_PKS3_PKPS1_EviT7_lllT6_T8_lllPii: ; @_ZL19rocblas_trsv_deviceILi64ELi16ELb1ELb1ELb1ELb1E19rocblas_complex_numIfEPKS1_PKS3_PKPS1_EviT7_lllT6_T8_lllPii
; %bb.0:
	s_load_dwordx4 s[0:3], s[4:5], 0x8
	s_mov_b32 s28, s7
	s_mov_b32 s29, 0
	s_lshl_b64 s[8:9], s[28:29], 3
	s_waitcnt lgkmcnt(0)
	s_add_u32 s0, s0, s8
	s_addc_u32 s1, s1, s9
	s_load_dwordx2 s[10:11], s[0:1], 0x0
	s_load_dword s30, s[4:5], 0x0
	s_load_dwordx8 s[20:27], s[4:5], 0x28
	s_load_dwordx2 s[34:35], s[4:5], 0x18
	s_lshl_b64 s[0:1], s[2:3], 3
	s_waitcnt lgkmcnt(0)
	s_add_u32 s91, s10, s0
	s_addc_u32 s36, s11, s1
	s_add_u32 s0, s22, s8
	s_load_dword s7, s[4:5], 0x60
	s_addc_u32 s1, s23, s9
	s_load_dwordx2 s[38:39], s[0:1], 0x0
	s_load_dwordx2 s[16:17], s[20:21], 0x0
	s_load_dword s37, s[4:5], 0x6c
	s_waitcnt lgkmcnt(0)
	s_add_i32 s7, s7, -1
	s_sub_i32 s33, s7, s6
	s_cmp_eq_u32 s6, 0
	s_cbranch_scc1 .LBB153_10
; %bb.1:
	s_lshl_b32 s2, s33, 6
	v_add_u32_e32 v4, s2, v0
	v_ashrrev_i32_e32 v2, 31, v4
	v_mul_lo_u32 v5, s34, v2
	v_mul_lo_u32 v8, s35, v4
	v_mad_u64_u32 v[2:3], s[0:1], s34, v4, 0
	v_add3_u32 v6, v1, s2, 64
	v_ashrrev_i32_e32 v7, 31, v6
	v_add3_u32 v3, v3, v5, v8
	v_lshlrev_b64 v[2:3], 3, v[2:3]
	v_cmp_gt_i32_e32 vcc, s30, v4
	v_mov_b32_e32 v4, s36
	v_add_co_u32_e64 v5, s[0:1], s91, v2
	v_addc_co_u32_e64 v4, s[0:1], v4, v3, s[0:1]
	v_lshlrev_b64 v[2:3], 3, v[6:7]
	v_add_co_u32_e64 v10, s[0:1], v5, v2
	v_addc_co_u32_e64 v11, s[0:1], v4, v3, s[0:1]
	v_cmp_gt_i32_e64 s[0:1], s30, v6
	s_and_b64 s[2:3], s[0:1], vcc
	v_mov_b32_e32 v2, 0
	v_mov_b32_e32 v4, 0
	v_mov_b32_e32 v5, 0
	s_barrier
	s_and_saveexec_b64 s[0:1], s[2:3]
	s_cbranch_execz .LBB153_3
; %bb.2:
	flat_load_dwordx2 v[4:5], v[10:11]
.LBB153_3:
	s_or_b64 exec, exec, s[0:1]
	v_add_u32_e32 v3, 16, v6
	v_cmp_gt_i32_e64 s[0:1], s30, v3
	s_and_b64 s[2:3], s[0:1], vcc
	v_mov_b32_e32 v3, 0
	s_waitcnt vmcnt(0) lgkmcnt(0)
	s_barrier
	s_and_saveexec_b64 s[0:1], s[2:3]
	s_cbranch_execz .LBB153_5
; %bb.4:
	flat_load_dwordx2 v[2:3], v[10:11] offset:128
.LBB153_5:
	s_or_b64 exec, exec, s[0:1]
	v_add_u32_e32 v7, 32, v6
	v_cmp_gt_i32_e64 s[0:1], s30, v7
	s_and_b64 s[2:3], s[0:1], vcc
	v_mov_b32_e32 v7, 0
	v_mov_b32_e32 v8, 0
	;; [unrolled: 1-line block ×3, first 2 shown]
	s_waitcnt vmcnt(0) lgkmcnt(0)
	s_barrier
	s_and_saveexec_b64 s[0:1], s[2:3]
	s_cbranch_execz .LBB153_7
; %bb.6:
	flat_load_dwordx2 v[8:9], v[10:11] offset:256
.LBB153_7:
	s_or_b64 exec, exec, s[0:1]
	v_add_u32_e32 v6, 48, v6
	v_cmp_gt_i32_e64 s[0:1], s30, v6
	s_and_b64 s[2:3], s[0:1], vcc
	v_mov_b32_e32 v6, 0
	s_waitcnt vmcnt(0) lgkmcnt(0)
	s_barrier
	s_and_saveexec_b64 s[0:1], s[2:3]
	s_cbranch_execz .LBB153_9
; %bb.8:
	flat_load_dwordx2 v[6:7], v[10:11] offset:384
.LBB153_9:
	s_or_b64 exec, exec, s[0:1]
	s_branch .LBB153_11
.LBB153_10:
                                        ; implicit-def: $vgpr7
                                        ; implicit-def: $vgpr9
                                        ; implicit-def: $vgpr3
                                        ; implicit-def: $vgpr5
.LBB153_11:
	s_ashr_i32 s31, s30, 31
	s_lshr_b32 s0, s31, 26
	s_add_i32 s0, s30, s0
	s_andn2_b32 s0, s0, 63
	s_sub_i32 s90, s30, s0
	s_add_i32 s0, s30, -1
	s_ashr_i32 s1, s0, 31
	s_lshr_b32 s1, s1, 26
	s_add_i32 s0, s0, s1
	s_ashr_i32 s0, s0, 6
	s_cmp_eq_u32 s0, s33
	s_cselect_b64 s[0:1], -1, 0
	s_cmp_lg_u32 s90, 0
	s_cselect_b64 s[2:3], -1, 0
	s_and_b64 s[22:23], s[2:3], s[0:1]
	s_cmp_lt_i32 s6, 5
	s_cselect_b64 s[2:3], -1, 0
	v_lshlrev_b32_e32 v10, 6, v0
	s_mov_b64 s[12:13], -1
	s_or_b64 s[0:1], s[2:3], s[22:23]
	s_and_b64 vcc, exec, s[22:23]
	v_add_u32_e32 v11, v1, v10
	v_cmp_le_u32_e64 s[8:9], v0, v1
	v_lshl_add_u32 v17, v1, 6, v0
	s_cbranch_vccnz .LBB153_37
; %bb.12:
	s_add_u32 s10, s34, 1
	s_addc_u32 s11, s35, 0
	s_lshl_b32 s12, s33, 6
	s_ashr_i32 s13, s12, 31
	s_mul_hi_u32 s14, s10, s12
	s_mul_i32 s13, s10, s13
	s_add_i32 s13, s14, s13
	s_mul_i32 s11, s11, s12
	s_add_i32 s11, s13, s11
	s_mul_i32 s10, s10, s12
	s_lshl_b64 s[10:11], s[10:11], 3
	s_add_u32 s10, s91, s10
	s_addc_u32 s11, s36, s11
	v_lshlrev_b32_e32 v12, 3, v0
	v_mov_b32_e32 v13, s11
	v_add_co_u32_e32 v12, vcc, s10, v12
	v_addc_co_u32_e32 v13, vcc, 0, v13, vcc
	v_cndmask_b32_e64 v14, v17, v11, s[2:3]
	s_and_saveexec_b64 s[2:3], s[8:9]
	s_xor_b64 s[2:3], exec, s[2:3]
	s_cbranch_execz .LBB153_16
; %bb.13:
	v_or_b32_e32 v15, v1, v0
	v_cmp_gt_u32_e32 vcc, 64, v15
	s_and_saveexec_b64 s[8:9], vcc
; %bb.14:
	v_lshlrev_b32_e32 v16, 3, v14
	v_mov_b32_e32 v14, 0
	v_mov_b32_e32 v15, v14
	ds_write_b64 v16, v[14:15]
; %bb.15:
	s_or_b64 exec, exec, s[8:9]
                                        ; implicit-def: $vgpr14
.LBB153_16:
	s_andn2_saveexec_b64 s[2:3], s[2:3]
	s_cbranch_execz .LBB153_18
; %bb.17:
	v_mad_u64_u32 v[15:16], s[8:9], s34, v1, 0
	v_lshlrev_b32_e32 v14, 3, v14
	v_mad_u64_u32 v[18:19], s[8:9], s35, v1, v[16:17]
	v_mov_b32_e32 v16, v18
	v_lshlrev_b64 v[15:16], 3, v[15:16]
	v_add_co_u32_e32 v15, vcc, v12, v15
	v_addc_co_u32_e32 v16, vcc, v13, v16, vcc
	flat_load_dwordx2 v[15:16], v[15:16]
	s_waitcnt vmcnt(0) lgkmcnt(0)
	v_xor_b32_e32 v15, 0x80000000, v15
	ds_write_b64 v14, v[15:16]
.LBB153_18:
	s_or_b64 exec, exec, s[2:3]
	v_add_u32_e32 v15, 16, v1
	v_add_u32_e32 v14, v15, v10
	v_lshl_add_u32 v16, v15, 6, v0
	v_cndmask_b32_e64 v14, v16, v14, s[0:1]
	v_cmp_le_u32_e32 vcc, v0, v15
	s_and_saveexec_b64 s[2:3], vcc
	s_xor_b64 s[2:3], exec, s[2:3]
	s_cbranch_execz .LBB153_22
; %bb.19:
	v_or_b32_e32 v15, v15, v0
	v_cmp_gt_u32_e32 vcc, 64, v15
	s_and_saveexec_b64 s[8:9], vcc
; %bb.20:
	v_lshlrev_b32_e32 v16, 3, v14
	v_mov_b32_e32 v14, 0
	v_mov_b32_e32 v15, v14
	ds_write_b64 v16, v[14:15]
; %bb.21:
	s_or_b64 exec, exec, s[8:9]
                                        ; implicit-def: $vgpr15
                                        ; implicit-def: $vgpr14
.LBB153_22:
	s_andn2_saveexec_b64 s[2:3], s[2:3]
	s_cbranch_execz .LBB153_24
; %bb.23:
	v_mad_u64_u32 v[18:19], s[8:9], s34, v15, 0
	v_lshlrev_b32_e32 v14, 3, v14
	v_mov_b32_e32 v16, v19
	v_mad_u64_u32 v[15:16], s[8:9], s35, v15, v[16:17]
	v_mov_b32_e32 v19, v15
	v_lshlrev_b64 v[15:16], 3, v[18:19]
	v_add_co_u32_e32 v15, vcc, v12, v15
	v_addc_co_u32_e32 v16, vcc, v13, v16, vcc
	flat_load_dwordx2 v[15:16], v[15:16]
	s_waitcnt vmcnt(0) lgkmcnt(0)
	v_xor_b32_e32 v15, 0x80000000, v15
	ds_write_b64 v14, v[15:16]
.LBB153_24:
	s_or_b64 exec, exec, s[2:3]
	v_add_u32_e32 v15, 32, v1
	v_add_u32_e32 v14, v15, v10
	v_lshl_add_u32 v16, v15, 6, v0
	v_cndmask_b32_e64 v14, v16, v14, s[0:1]
	v_cmp_le_u32_e32 vcc, v0, v15
	s_and_saveexec_b64 s[2:3], vcc
	s_xor_b64 s[2:3], exec, s[2:3]
	s_cbranch_execz .LBB153_28
; %bb.25:
	v_or_b32_e32 v15, v15, v0
	v_cmp_gt_u32_e32 vcc, 64, v15
	s_and_saveexec_b64 s[8:9], vcc
; %bb.26:
	v_lshlrev_b32_e32 v16, 3, v14
	v_mov_b32_e32 v14, 0
	v_mov_b32_e32 v15, v14
	ds_write_b64 v16, v[14:15]
; %bb.27:
	s_or_b64 exec, exec, s[8:9]
                                        ; implicit-def: $vgpr15
                                        ; implicit-def: $vgpr14
.LBB153_28:
	s_andn2_saveexec_b64 s[2:3], s[2:3]
	s_cbranch_execz .LBB153_30
; %bb.29:
	v_mad_u64_u32 v[18:19], s[8:9], s34, v15, 0
	v_lshlrev_b32_e32 v14, 3, v14
	v_mov_b32_e32 v16, v19
	v_mad_u64_u32 v[15:16], s[8:9], s35, v15, v[16:17]
	v_mov_b32_e32 v19, v15
	v_lshlrev_b64 v[15:16], 3, v[18:19]
	v_add_co_u32_e32 v15, vcc, v12, v15
	v_addc_co_u32_e32 v16, vcc, v13, v16, vcc
	flat_load_dwordx2 v[15:16], v[15:16]
	s_waitcnt vmcnt(0) lgkmcnt(0)
	v_xor_b32_e32 v15, 0x80000000, v15
	ds_write_b64 v14, v[15:16]
.LBB153_30:
	s_or_b64 exec, exec, s[2:3]
	v_add_u32_e32 v15, 48, v1
	v_add_u32_e32 v14, v15, v10
	v_lshl_add_u32 v16, v15, 6, v0
	v_cndmask_b32_e64 v14, v16, v14, s[0:1]
	v_cmp_le_u32_e32 vcc, v0, v15
	s_and_saveexec_b64 s[2:3], vcc
	s_xor_b64 s[2:3], exec, s[2:3]
	s_cbranch_execz .LBB153_34
; %bb.31:
	v_or_b32_e32 v12, v15, v0
	v_cmp_gt_u32_e32 vcc, 64, v12
	s_and_saveexec_b64 s[8:9], vcc
; %bb.32:
	v_mov_b32_e32 v12, 0
	v_lshlrev_b32_e32 v14, 3, v14
	v_mov_b32_e32 v13, v12
	ds_write_b64 v14, v[12:13]
; %bb.33:
	s_or_b64 exec, exec, s[8:9]
                                        ; implicit-def: $vgpr15
                                        ; implicit-def: $vgpr12
                                        ; implicit-def: $vgpr13
                                        ; implicit-def: $vgpr14
.LBB153_34:
	s_andn2_saveexec_b64 s[2:3], s[2:3]
	s_cbranch_execz .LBB153_36
; %bb.35:
	v_mad_u64_u32 v[18:19], s[8:9], s34, v15, 0
	v_lshlrev_b32_e32 v14, 3, v14
	v_mov_b32_e32 v16, v19
	v_mad_u64_u32 v[15:16], s[8:9], s35, v15, v[16:17]
	v_mov_b32_e32 v19, v15
	v_lshlrev_b64 v[15:16], 3, v[18:19]
	v_add_co_u32_e32 v12, vcc, v12, v15
	v_addc_co_u32_e32 v13, vcc, v13, v16, vcc
	flat_load_dwordx2 v[12:13], v[12:13]
	s_waitcnt vmcnt(0) lgkmcnt(0)
	v_xor_b32_e32 v12, 0x80000000, v12
	ds_write_b64 v14, v[12:13]
.LBB153_36:
	s_or_b64 exec, exec, s[2:3]
	s_mov_b64 s[12:13], 0
.LBB153_37:
	s_xor_b64 s[10:11], s[0:1], -1
	s_and_b64 vcc, exec, s[12:13]
	s_cbranch_vccz .LBB153_63
; %bb.38:
	s_add_u32 s2, s34, 1
	s_addc_u32 s3, s35, 0
	s_lshl_b32 s8, s33, 6
	s_ashr_i32 s9, s8, 31
	s_mul_hi_u32 s12, s2, s8
	s_mul_i32 s9, s2, s9
	s_add_i32 s9, s12, s9
	s_mul_i32 s3, s3, s8
	s_add_i32 s3, s9, s3
	s_mul_i32 s2, s2, s8
	s_lshl_b64 s[2:3], s[2:3], 3
	s_add_u32 s2, s91, s2
	s_addc_u32 s3, s36, s3
	v_lshlrev_b32_e32 v12, 3, v0
	v_mov_b32_e32 v13, s3
	v_add_co_u32_e64 v12, s[2:3], s2, v12
	v_addc_co_u32_e64 v13, s[2:3], 0, v13, s[2:3]
	v_max_i32_e32 v14, v1, v0
	v_cmp_le_u32_e64 s[2:3], v0, v1
	v_cmp_le_i32_e64 s[8:9], s90, v14
	v_cmp_gt_i32_e32 vcc, s90, v0
	s_or_b64 s[2:3], s[8:9], s[2:3]
	s_and_saveexec_b64 s[8:9], s[2:3]
	s_xor_b64 s[8:9], exec, s[8:9]
	s_cbranch_execz .LBB153_42
; %bb.39:
	v_or_b32_e32 v14, v1, v0
	v_cmp_gt_u32_e64 s[2:3], 64, v14
	s_and_saveexec_b64 s[12:13], s[2:3]
; %bb.40:
	v_mov_b32_e32 v14, 0
	v_lshlrev_b32_e32 v11, 3, v11
	v_mov_b32_e32 v15, v14
	ds_write_b64 v11, v[14:15]
; %bb.41:
	s_or_b64 exec, exec, s[12:13]
                                        ; implicit-def: $vgpr11
.LBB153_42:
	s_andn2_saveexec_b64 s[8:9], s[8:9]
	s_cbranch_execz .LBB153_44
; %bb.43:
	v_mad_u64_u32 v[14:15], s[2:3], s34, v1, 0
	v_lshlrev_b32_e32 v11, 3, v11
	v_mad_u64_u32 v[15:16], s[2:3], s35, v1, v[15:16]
	v_lshlrev_b64 v[14:15], 3, v[14:15]
	v_add_co_u32_e64 v14, s[2:3], v12, v14
	v_addc_co_u32_e64 v15, s[2:3], v13, v15, s[2:3]
	flat_load_dwordx2 v[14:15], v[14:15]
	s_waitcnt vmcnt(0) lgkmcnt(0)
	v_xor_b32_e32 v14, 0x80000000, v14
	ds_write_b64 v11, v[14:15]
.LBB153_44:
	s_or_b64 exec, exec, s[8:9]
	v_add_u32_e32 v14, 16, v1
	v_cmp_gt_u32_e64 s[2:3], v0, v14
	v_cmp_gt_i32_e64 s[8:9], s90, v14
	s_and_b64 s[2:3], s[2:3], s[8:9]
	v_add_u32_e32 v11, v14, v10
	v_lshl_add_u32 v15, v14, 6, v0
	s_and_b64 s[2:3], s[2:3], vcc
	v_cndmask_b32_e64 v11, v15, v11, s[0:1]
	s_xor_b64 s[2:3], s[2:3], -1
	s_and_saveexec_b64 s[8:9], s[2:3]
	s_xor_b64 s[8:9], exec, s[8:9]
	s_cbranch_execz .LBB153_48
; %bb.45:
	v_or_b32_e32 v14, v14, v0
	v_cmp_gt_u32_e64 s[2:3], 64, v14
	s_and_saveexec_b64 s[12:13], s[2:3]
; %bb.46:
	v_mov_b32_e32 v14, 0
	v_lshlrev_b32_e32 v11, 3, v11
	v_mov_b32_e32 v15, v14
	ds_write_b64 v11, v[14:15]
; %bb.47:
	s_or_b64 exec, exec, s[12:13]
                                        ; implicit-def: $vgpr14
                                        ; implicit-def: $vgpr11
.LBB153_48:
	s_andn2_saveexec_b64 s[8:9], s[8:9]
	s_cbranch_execz .LBB153_50
; %bb.49:
	v_mad_u64_u32 v[15:16], s[2:3], s34, v14, 0
	v_lshlrev_b32_e32 v11, 3, v11
	v_mad_u64_u32 v[18:19], s[2:3], s35, v14, v[16:17]
	v_mov_b32_e32 v16, v18
	v_lshlrev_b64 v[14:15], 3, v[15:16]
	v_add_co_u32_e64 v14, s[2:3], v12, v14
	v_addc_co_u32_e64 v15, s[2:3], v13, v15, s[2:3]
	flat_load_dwordx2 v[14:15], v[14:15]
	s_waitcnt vmcnt(0) lgkmcnt(0)
	v_xor_b32_e32 v14, 0x80000000, v14
	ds_write_b64 v11, v[14:15]
.LBB153_50:
	s_or_b64 exec, exec, s[8:9]
	v_add_u32_e32 v14, 32, v1
	v_cmp_gt_u32_e64 s[2:3], v0, v14
	v_cmp_gt_i32_e64 s[8:9], s90, v14
	s_and_b64 s[2:3], s[2:3], s[8:9]
	v_add_u32_e32 v11, v14, v10
	v_lshl_add_u32 v15, v14, 6, v0
	s_and_b64 s[2:3], s[2:3], vcc
	v_cndmask_b32_e64 v11, v15, v11, s[0:1]
	s_xor_b64 s[2:3], s[2:3], -1
	s_and_saveexec_b64 s[8:9], s[2:3]
	s_xor_b64 s[8:9], exec, s[8:9]
	s_cbranch_execz .LBB153_54
; %bb.51:
	v_or_b32_e32 v14, v14, v0
	v_cmp_gt_u32_e64 s[2:3], 64, v14
	s_and_saveexec_b64 s[12:13], s[2:3]
; %bb.52:
	v_mov_b32_e32 v14, 0
	v_lshlrev_b32_e32 v11, 3, v11
	v_mov_b32_e32 v15, v14
	ds_write_b64 v11, v[14:15]
; %bb.53:
	s_or_b64 exec, exec, s[12:13]
                                        ; implicit-def: $vgpr14
                                        ; implicit-def: $vgpr11
.LBB153_54:
	s_andn2_saveexec_b64 s[8:9], s[8:9]
	s_cbranch_execz .LBB153_56
; %bb.55:
	v_mad_u64_u32 v[15:16], s[2:3], s34, v14, 0
	v_lshlrev_b32_e32 v11, 3, v11
	v_mad_u64_u32 v[18:19], s[2:3], s35, v14, v[16:17]
	v_mov_b32_e32 v16, v18
	v_lshlrev_b64 v[14:15], 3, v[15:16]
	v_add_co_u32_e64 v14, s[2:3], v12, v14
	v_addc_co_u32_e64 v15, s[2:3], v13, v15, s[2:3]
	flat_load_dwordx2 v[14:15], v[14:15]
	s_waitcnt vmcnt(0) lgkmcnt(0)
	v_xor_b32_e32 v14, 0x80000000, v14
	ds_write_b64 v11, v[14:15]
.LBB153_56:
	s_or_b64 exec, exec, s[8:9]
	v_add_u32_e32 v11, 48, v1
	v_add_u32_e32 v10, v11, v10
	v_lshl_add_u32 v14, v11, 6, v0
	v_cndmask_b32_e64 v10, v14, v10, s[0:1]
	v_cmp_gt_u32_e64 s[0:1], v0, v11
	v_cmp_gt_i32_e64 s[2:3], s90, v11
	s_and_b64 s[0:1], s[0:1], s[2:3]
	s_and_b64 s[0:1], s[0:1], vcc
	s_xor_b64 s[0:1], s[0:1], -1
	s_and_saveexec_b64 s[2:3], s[0:1]
	s_xor_b64 s[0:1], exec, s[2:3]
	s_cbranch_execz .LBB153_60
; %bb.57:
	v_or_b32_e32 v11, v11, v0
	v_cmp_gt_u32_e32 vcc, 64, v11
	s_and_saveexec_b64 s[2:3], vcc
; %bb.58:
	v_lshlrev_b32_e32 v12, 3, v10
	v_mov_b32_e32 v10, 0
	v_mov_b32_e32 v11, v10
	ds_write_b64 v12, v[10:11]
; %bb.59:
	s_or_b64 exec, exec, s[2:3]
                                        ; implicit-def: $vgpr11
                                        ; implicit-def: $vgpr12
                                        ; implicit-def: $vgpr13
                                        ; implicit-def: $vgpr10
.LBB153_60:
	s_andn2_saveexec_b64 s[0:1], s[0:1]
	s_cbranch_execz .LBB153_62
; %bb.61:
	v_mad_u64_u32 v[14:15], s[2:3], s34, v11, 0
	v_lshlrev_b32_e32 v10, 3, v10
	v_mad_u64_u32 v[15:16], s[2:3], s35, v11, v[15:16]
	v_lshlrev_b64 v[14:15], 3, v[14:15]
	v_add_co_u32_e32 v11, vcc, v12, v14
	v_addc_co_u32_e32 v12, vcc, v13, v15, vcc
	flat_load_dwordx2 v[11:12], v[11:12]
	s_waitcnt vmcnt(0) lgkmcnt(0)
	v_xor_b32_e32 v11, 0x80000000, v11
	ds_write_b64 v10, v[11:12]
.LBB153_62:
	s_or_b64 exec, exec, s[0:1]
.LBB153_63:
	v_cndmask_b32_e64 v10, 0, 1, s[10:11]
	v_cmp_ne_u32_e64 s[42:43], 1, v10
	s_andn2_b64 vcc, exec, s[10:11]
	s_waitcnt vmcnt(0) lgkmcnt(0)
	s_barrier
	s_cbranch_vccnz .LBB153_985
; %bb.64:
	v_or_b32_e32 v10, v0, v1
	s_mov_b32 s3, 0
	v_cmp_eq_u32_e32 vcc, 0, v10
	s_and_saveexec_b64 s[0:1], vcc
	s_cbranch_execz .LBB153_66
; %bb.65:
	v_mov_b32_e32 v14, 0
	ds_read_b64 v[10:11], v14 offset:8
	s_mov_b32 s2, 1.0
	v_mov_b32_e32 v13, s3
	v_mov_b32_e32 v12, s2
	ds_write_b64 v14, v[12:13] offset:520
	s_waitcnt lgkmcnt(1)
	ds_write2st64_b64 v14, v[12:13], v[10:11] offset1:1
.LBB153_66:
	s_or_b64 exec, exec, s[0:1]
	v_and_b32_e32 v15, 1, v0
	v_lshrrev_b32_e32 v14, 1, v17
	v_lshlrev_b32_e32 v10, 3, v15
	v_cmp_lt_u32_e64 s[8:9], 3, v17
	v_cmp_gt_u32_e64 s[2:3], 4, v17
	v_lshl_or_b32 v12, v14, 9, v10
	v_mov_b32_e32 v11, 0
	v_mov_b32_e32 v10, 0
	s_waitcnt lgkmcnt(0)
	s_barrier
	s_and_saveexec_b64 s[0:1], s[2:3]
	s_cbranch_execz .LBB153_70
; %bb.67:
	v_mul_u32_u24_e32 v13, 0x208, v14
	ds_read_b64 v[10:11], v12 offset:16
	ds_read_b64 v[18:19], v13
	v_cmp_gt_u32_e64 s[10:11], 2, v17
	s_waitcnt lgkmcnt(0)
	v_mul_f32_e32 v13, v19, v11
	v_mul_f32_e32 v11, v18, v11
	v_fma_f32 v13, v18, v10, -v13
	v_fmac_f32_e32 v11, v19, v10
	v_add_f32_e32 v10, 0, v13
	v_add_f32_e32 v11, 0, v11
	s_and_saveexec_b64 s[12:13], s[10:11]
	s_cbranch_execz .LBB153_69
; %bb.68:
	v_lshlrev_b32_e32 v13, 3, v0
	v_mov_b32_e32 v16, 0
	ds_read_b64 v[18:19], v13 offset:528
	ds_read_b64 v[20:21], v16 offset:8
	s_waitcnt lgkmcnt(0)
	v_mul_f32_e32 v13, v21, v19
	v_mul_f32_e32 v16, v20, v19
	v_fma_f32 v13, v20, v18, -v13
	v_fmac_f32_e32 v16, v21, v18
	v_add_f32_e32 v10, v10, v13
	v_add_f32_e32 v11, v11, v16
.LBB153_69:
	s_or_b64 exec, exec, s[12:13]
	v_xor_b32_e32 v10, 0x80000000, v10
	v_xor_b32_e32 v11, 0x80000000, v11
.LBB153_70:
                                        ; implicit-def: $vgpr42 : SGPR spill to VGPR lane
	v_writelane_b32 v42, s42, 0
	v_writelane_b32 v42, s43, 1
	;; [unrolled: 1-line block ×4, first 2 shown]
	s_or_b64 exec, exec, s[0:1]
	v_mov_b32_e32 v13, 0x8000
	v_cmp_eq_u32_e64 s[10:11], 0, v15
	s_xor_b64 s[0:1], s[8:9], -1
	v_lshl_add_u32 v13, v14, 3, v13
	s_and_b64 s[42:43], s[10:11], s[0:1]
	s_and_saveexec_b64 s[8:9], s[42:43]
; %bb.71:
	ds_write_b64 v13, v[10:11]
; %bb.72:
	s_or_b64 exec, exec, s[8:9]
	v_cmp_ne_u32_e64 s[8:9], 0, v15
	s_and_b64 s[40:41], s[8:9], s[0:1]
	s_waitcnt lgkmcnt(0)
	s_barrier
	s_and_saveexec_b64 s[0:1], s[40:41]
	s_cbranch_execz .LBB153_74
; %bb.73:
	v_mov_b32_e32 v15, 0
	ds_read_b64 v[15:16], v15 offset:1048
	ds_read_b64 v[18:19], v13
	s_waitcnt lgkmcnt(0)
	v_mul_f32_e32 v20, v19, v16
	v_mul_f32_e32 v16, v18, v16
	v_fma_f32 v18, v18, v15, -v20
	v_fmac_f32_e32 v16, v19, v15
	v_add_f32_e32 v10, v10, v18
	v_add_f32_e32 v11, v11, v16
.LBB153_74:
	s_or_b64 exec, exec, s[0:1]
	s_barrier
	s_and_saveexec_b64 s[0:1], s[40:41]
; %bb.75:
	ds_write_b64 v13, v[10:11]
; %bb.76:
	s_or_b64 exec, exec, s[0:1]
	s_waitcnt lgkmcnt(0)
	s_barrier
	s_barrier
	s_and_saveexec_b64 s[0:1], s[2:3]
; %bb.77:
	v_xor_b32_e32 v11, 0x80000000, v11
	v_xor_b32_e32 v10, 0x80000000, v10
	ds_write_b64 v12, v[10:11] offset:16
; %bb.78:
	s_or_b64 exec, exec, s[0:1]
	v_cmp_eq_u32_e64 s[12:13], 0, v1
	v_cmp_gt_u32_e64 s[8:9], 2, v0
	s_and_b64 s[44:45], s[12:13], s[8:9]
	s_waitcnt lgkmcnt(0)
	s_barrier
	s_barrier
	s_and_saveexec_b64 s[0:1], s[44:45]
	s_cbranch_execz .LBB153_80
; %bb.79:
	v_lshlrev_b32_e32 v15, 3, v0
	s_movk_i32 s8, 0x1f8
	v_mad_u32_u24 v16, v0, s8, v15
	ds_read_b64 v[10:11], v16 offset:16
	s_waitcnt lgkmcnt(0)
	ds_write_b64 v15, v[10:11] offset:1024
	ds_read_b64 v[10:11], v16 offset:24
	s_waitcnt lgkmcnt(0)
	ds_write_b64 v15, v[10:11] offset:1536
.LBB153_80:
	s_or_b64 exec, exec, s[0:1]
	s_waitcnt lgkmcnt(0)
	s_barrier
	s_and_saveexec_b64 s[0:1], vcc
	s_cbranch_execz .LBB153_82
; %bb.81:
	v_mov_b32_e32 v18, 0
	ds_read_b64 v[10:11], v18 offset:1048
	s_mov_b64 s[8:9], 0x3f800000
	v_mov_b32_e32 v16, s9
	v_mov_b32_e32 v15, s8
	ds_write_b64 v18, v[15:16] offset:1560
	s_waitcnt lgkmcnt(1)
	ds_write2_b64 v18, v[15:16], v[10:11] offset0:130 offset1:194
.LBB153_82:
	s_or_b64 exec, exec, s[0:1]
	v_and_b32_e32 v19, 3, v0
	v_lshrrev_b32_e32 v20, 2, v17
	v_lshlrev_b32_e32 v16, 3, v19
	v_cmp_lt_u32_e64 s[8:9], 15, v17
	v_cmp_gt_u32_e64 s[18:19], 16, v17
	v_lshl_or_b32 v15, v20, 9, v16
	v_mov_b32_e32 v11, 0
	v_mov_b32_e32 v10, 0
	s_waitcnt lgkmcnt(0)
	s_barrier
	s_and_saveexec_b64 s[0:1], s[18:19]
	s_cbranch_execz .LBB153_88
; %bb.83:
	v_mul_u32_u24_e32 v18, 0x208, v20
	ds_read_b64 v[10:11], v15 offset:32
	ds_read_b64 v[21:22], v18
	v_cmp_gt_u32_e64 s[10:11], 12, v17
	s_waitcnt lgkmcnt(0)
	v_mul_f32_e32 v23, v22, v11
	v_mul_f32_e32 v11, v21, v11
	v_fma_f32 v21, v21, v10, -v23
	v_fmac_f32_e32 v11, v22, v10
	v_add_f32_e32 v10, 0, v21
	v_add_f32_e32 v11, 0, v11
	s_and_saveexec_b64 s[14:15], s[10:11]
	s_cbranch_execnz .LBB153_1059
; %bb.84:
	s_or_b64 exec, exec, s[14:15]
	v_cmp_gt_u32_e64 s[10:11], 8, v17
	s_and_saveexec_b64 s[14:15], s[10:11]
	s_cbranch_execnz .LBB153_1060
.LBB153_85:
	s_or_b64 exec, exec, s[14:15]
	v_cmp_gt_u32_e64 s[10:11], 4, v17
	s_and_saveexec_b64 s[14:15], s[10:11]
	s_cbranch_execz .LBB153_87
.LBB153_86:
	v_lshlrev_b32_e32 v18, 3, v0
	v_mov_b32_e32 v23, 0
	ds_read_b64 v[21:22], v18 offset:1568
	ds_read_b64 v[23:24], v23 offset:24
	s_waitcnt lgkmcnt(0)
	v_mul_f32_e32 v18, v24, v22
	v_mul_f32_e32 v22, v23, v22
	v_fma_f32 v18, v23, v21, -v18
	v_fmac_f32_e32 v22, v24, v21
	v_add_f32_e32 v10, v10, v18
	v_add_f32_e32 v11, v11, v22
.LBB153_87:
	s_or_b64 exec, exec, s[14:15]
	v_xor_b32_e32 v10, 0x80000000, v10
	v_xor_b32_e32 v11, 0x80000000, v11
.LBB153_88:
	s_or_b64 exec, exec, s[0:1]
	v_mov_b32_e32 v18, 0x8000
	v_cmp_eq_u32_e64 s[10:11], 0, v19
	s_xor_b64 s[0:1], s[8:9], -1
	v_lshl_add_u32 v18, v20, 3, v18
	s_and_b64 s[48:49], s[10:11], s[0:1]
	s_and_saveexec_b64 s[8:9], s[48:49]
; %bb.89:
	ds_write_b64 v18, v[10:11]
; %bb.90:
	s_or_b64 exec, exec, s[8:9]
	v_cmp_ne_u32_e64 s[8:9], 0, v19
	s_and_b64 s[50:51], s[8:9], s[0:1]
	s_waitcnt lgkmcnt(0)
	s_barrier
	s_and_saveexec_b64 s[8:9], s[50:51]
	s_cbranch_execz .LBB153_92
; %bb.91:
	ds_read_b64 v[21:22], v16 offset:2080
	ds_read_b64 v[23:24], v18
	s_waitcnt lgkmcnt(0)
	v_mul_f32_e32 v25, v24, v22
	v_mul_f32_e32 v22, v23, v22
	v_fma_f32 v23, v23, v21, -v25
	v_fmac_f32_e32 v22, v24, v21
	v_add_f32_e32 v10, v10, v23
	v_add_f32_e32 v11, v11, v22
.LBB153_92:
	s_or_b64 exec, exec, s[8:9]
	v_cmp_eq_u32_e64 s[8:9], 1, v19
	s_and_b64 s[52:53], s[8:9], s[0:1]
	s_barrier
	s_and_saveexec_b64 s[8:9], s[52:53]
; %bb.93:
	ds_write_b64 v18, v[10:11]
; %bb.94:
	s_or_b64 exec, exec, s[8:9]
	v_cmp_lt_u32_e64 s[8:9], 1, v19
	s_and_b64 s[54:55], s[8:9], s[0:1]
	s_waitcnt lgkmcnt(0)
	s_barrier
	s_and_saveexec_b64 s[8:9], s[54:55]
	s_cbranch_execz .LBB153_96
; %bb.95:
	ds_read_b64 v[21:22], v16 offset:2592
	ds_read_b64 v[23:24], v18
	s_waitcnt lgkmcnt(0)
	v_mul_f32_e32 v25, v24, v22
	v_mul_f32_e32 v22, v23, v22
	v_fma_f32 v23, v23, v21, -v25
	v_fmac_f32_e32 v22, v24, v21
	v_add_f32_e32 v10, v10, v23
	v_add_f32_e32 v11, v11, v22
.LBB153_96:
	s_or_b64 exec, exec, s[8:9]
	v_cmp_eq_u32_e64 s[8:9], 2, v19
	s_and_b64 s[56:57], s[8:9], s[0:1]
	s_barrier
	s_and_saveexec_b64 s[8:9], s[56:57]
; %bb.97:
	ds_write_b64 v18, v[10:11]
; %bb.98:
	s_or_b64 exec, exec, s[8:9]
	v_cmp_eq_u32_e64 s[8:9], 3, v19
	s_and_b64 s[46:47], s[8:9], s[0:1]
	s_waitcnt lgkmcnt(0)
	s_barrier
	s_and_saveexec_b64 s[0:1], s[46:47]
	s_cbranch_execz .LBB153_100
; %bb.99:
	v_mov_b32_e32 v21, 0
	ds_read_b64 v[21:22], v21 offset:3128
	ds_read_b64 v[23:24], v18
	s_waitcnt lgkmcnt(0)
	v_mul_f32_e32 v25, v24, v22
	v_mul_f32_e32 v22, v23, v22
	v_fma_f32 v23, v23, v21, -v25
	v_fmac_f32_e32 v22, v24, v21
	v_add_f32_e32 v10, v10, v23
	v_add_f32_e32 v11, v11, v22
.LBB153_100:
	s_or_b64 exec, exec, s[0:1]
	s_barrier
	s_and_saveexec_b64 s[0:1], s[46:47]
; %bb.101:
	ds_write_b64 v18, v[10:11]
; %bb.102:
	s_or_b64 exec, exec, s[0:1]
	s_waitcnt lgkmcnt(0)
	s_barrier
	s_barrier
	s_and_saveexec_b64 s[0:1], s[18:19]
; %bb.103:
	v_xor_b32_e32 v10, 0x80000000, v10
	v_xor_b32_e32 v11, 0x80000000, v11
	ds_write_b64 v15, v[10:11] offset:32
; %bb.104:
	s_or_b64 exec, exec, s[0:1]
	v_cmp_gt_u32_e64 s[8:9], 4, v0
	s_and_b64 s[58:59], s[12:13], s[8:9]
	s_waitcnt lgkmcnt(0)
	s_barrier
	s_barrier
	s_and_saveexec_b64 s[0:1], s[58:59]
	s_cbranch_execz .LBB153_106
; %bb.105:
	v_lshlrev_b32_e32 v21, 9, v0
	ds_read_b64 v[10:11], v21 offset:32
	s_movk_i32 s8, 0xfe08
	v_mad_i32_i24 v22, v0, s8, v21
	s_waitcnt lgkmcnt(0)
	ds_write_b64 v22, v[10:11] offset:2048
	ds_read_b64 v[10:11], v21 offset:40
	s_waitcnt lgkmcnt(0)
	ds_write_b64 v22, v[10:11] offset:2560
	ds_read_b64 v[10:11], v21 offset:48
	;; [unrolled: 3-line block ×3, first 2 shown]
	s_waitcnt lgkmcnt(0)
	ds_write_b64 v22, v[10:11] offset:3584
.LBB153_106:
	s_or_b64 exec, exec, s[0:1]
	s_waitcnt lgkmcnt(0)
	s_barrier
	s_and_saveexec_b64 s[0:1], vcc
	s_cbranch_execz .LBB153_108
; %bb.107:
	v_mov_b32_e32 v23, 0
	ds_read_b64 v[10:11], v23 offset:2088
	s_mov_b64 s[8:9], 0x3f800000
	v_mov_b32_e32 v22, s9
	v_mov_b32_e32 v21, s8
	ds_write_b64 v23, v[21:22] offset:2600
	v_add_u32_e64 v23, 32, 0
	s_waitcnt lgkmcnt(1)
	ds_write2st64_b64 v23, v[21:22], v[10:11] offset0:4 offset1:5
.LBB153_108:
	s_or_b64 exec, exec, s[0:1]
	v_mov_b32_e32 v11, 0
	v_mov_b32_e32 v10, 0
	s_waitcnt lgkmcnt(0)
	s_barrier
	s_and_saveexec_b64 s[0:1], s[2:3]
	s_cbranch_execz .LBB153_112
; %bb.109:
	v_mul_u32_u24_e32 v21, 0x208, v14
	ds_read_b64 v[10:11], v12 offset:2096
	ds_read_b64 v[21:22], v21 offset:2080
	v_cmp_gt_u32_e64 s[8:9], 2, v17
	s_waitcnt lgkmcnt(0)
	v_mul_f32_e32 v23, v22, v11
	v_mul_f32_e32 v11, v21, v11
	v_fma_f32 v21, v21, v10, -v23
	v_fmac_f32_e32 v11, v22, v10
	v_add_f32_e32 v10, 0, v21
	v_add_f32_e32 v11, 0, v11
	s_and_saveexec_b64 s[10:11], s[8:9]
	s_cbranch_execz .LBB153_111
; %bb.110:
	v_lshlrev_b32_e32 v21, 3, v0
	v_mov_b32_e32 v23, 0
	ds_read_b64 v[21:22], v21 offset:2608
	ds_read_b64 v[23:24], v23 offset:2088
	s_waitcnt lgkmcnt(0)
	v_mul_f32_e32 v25, v24, v22
	v_mul_f32_e32 v22, v23, v22
	v_fma_f32 v23, v23, v21, -v25
	v_fmac_f32_e32 v22, v24, v21
	v_add_f32_e32 v10, v10, v23
	v_add_f32_e32 v11, v11, v22
.LBB153_111:
	s_or_b64 exec, exec, s[10:11]
	v_xor_b32_e32 v10, 0x80000000, v10
	v_xor_b32_e32 v11, 0x80000000, v11
.LBB153_112:
	s_or_b64 exec, exec, s[0:1]
	s_and_saveexec_b64 s[0:1], s[42:43]
; %bb.113:
	ds_write_b64 v13, v[10:11]
; %bb.114:
	s_or_b64 exec, exec, s[0:1]
	s_waitcnt lgkmcnt(0)
	s_barrier
	s_and_saveexec_b64 s[0:1], s[40:41]
	s_cbranch_execz .LBB153_116
; %bb.115:
	v_mov_b32_e32 v21, 0
	ds_read_b64 v[21:22], v21 offset:3128
	ds_read_b64 v[23:24], v13
	s_waitcnt lgkmcnt(0)
	v_mul_f32_e32 v25, v24, v22
	v_mul_f32_e32 v22, v23, v22
	v_fma_f32 v23, v23, v21, -v25
	v_fmac_f32_e32 v22, v24, v21
	v_add_f32_e32 v10, v10, v23
	v_add_f32_e32 v11, v11, v22
.LBB153_116:
	s_or_b64 exec, exec, s[0:1]
	s_barrier
	s_and_saveexec_b64 s[0:1], s[40:41]
; %bb.117:
	ds_write_b64 v13, v[10:11]
; %bb.118:
	s_or_b64 exec, exec, s[0:1]
	s_waitcnt lgkmcnt(0)
	s_barrier
	s_barrier
	s_and_saveexec_b64 s[0:1], s[2:3]
; %bb.119:
	v_xor_b32_e32 v11, 0x80000000, v11
	v_xor_b32_e32 v10, 0x80000000, v10
	ds_write_b64 v12, v[10:11] offset:2096
; %bb.120:
	s_or_b64 exec, exec, s[0:1]
	s_waitcnt lgkmcnt(0)
	s_barrier
	s_barrier
	s_and_saveexec_b64 s[0:1], s[44:45]
	s_cbranch_execz .LBB153_122
; %bb.121:
	v_lshlrev_b32_e32 v21, 3, v0
	s_movk_i32 s8, 0x1f8
	v_mad_u32_u24 v22, v0, s8, v21
	ds_read_b64 v[10:11], v22 offset:2096
	s_waitcnt lgkmcnt(0)
	ds_write_b64 v21, v[10:11] offset:3104
	ds_read_b64 v[10:11], v22 offset:2104
	s_waitcnt lgkmcnt(0)
	ds_write_b64 v21, v[10:11] offset:3616
.LBB153_122:
	s_or_b64 exec, exec, s[0:1]
	s_waitcnt lgkmcnt(0)
	s_barrier
	s_and_saveexec_b64 s[0:1], vcc
	s_cbranch_execz .LBB153_124
; %bb.123:
	v_mov_b32_e32 v23, 0
	ds_read_b64 v[10:11], v23 offset:3128
	s_mov_b64 s[8:9], 0x3f800000
	v_mov_b32_e32 v22, s9
	v_mov_b32_e32 v21, s8
	ds_write_b64 v23, v[21:22] offset:3640
	v_add_u32_e64 v23, 48, 0
	s_waitcnt lgkmcnt(1)
	ds_write2st64_b64 v23, v[21:22], v[10:11] offset0:6 offset1:7
.LBB153_124:
	s_or_b64 exec, exec, s[0:1]
	v_and_b32_e32 v24, 7, v0
	v_lshrrev_b32_e32 v25, 3, v17
	v_lshlrev_b32_e32 v22, 3, v24
	v_cmp_lt_u32_e64 s[10:11], 63, v17
	v_cmp_gt_u32_e64 s[8:9], 64, v17
	v_lshl_or_b32 v21, v25, 9, v22
	v_mov_b32_e32 v11, 0
	v_mov_b32_e32 v10, 0
	s_waitcnt lgkmcnt(0)
	s_barrier
	s_and_saveexec_b64 s[0:1], s[8:9]
	s_cbranch_execz .LBB153_134
; %bb.125:
	v_mul_u32_u24_e32 v23, 0x208, v25
	ds_read_b64 v[10:11], v21 offset:64
	ds_read_b64 v[26:27], v23
	v_cmp_gt_u32_e64 s[14:15], 56, v17
	s_waitcnt lgkmcnt(0)
	v_mul_f32_e32 v28, v27, v11
	v_mul_f32_e32 v11, v26, v11
	v_fma_f32 v26, v26, v10, -v28
	v_fmac_f32_e32 v11, v27, v10
	v_add_f32_e32 v10, 0, v26
	v_add_f32_e32 v11, 0, v11
	s_and_saveexec_b64 s[16:17], s[14:15]
	s_cbranch_execnz .LBB153_1061
; %bb.126:
	s_or_b64 exec, exec, s[16:17]
	v_cmp_gt_u32_e64 s[14:15], 48, v17
	s_and_saveexec_b64 s[16:17], s[14:15]
	s_cbranch_execnz .LBB153_1062
.LBB153_127:
	s_or_b64 exec, exec, s[16:17]
	v_cmp_gt_u32_e64 s[14:15], 40, v17
	s_and_saveexec_b64 s[16:17], s[14:15]
	s_cbranch_execnz .LBB153_1063
.LBB153_128:
	s_or_b64 exec, exec, s[16:17]
	v_cmp_gt_u32_e64 s[14:15], 32, v17
	s_and_saveexec_b64 s[16:17], s[14:15]
	s_cbranch_execnz .LBB153_1064
.LBB153_129:
	s_or_b64 exec, exec, s[16:17]
	v_cmp_gt_u32_e64 s[14:15], 24, v17
	s_and_saveexec_b64 s[16:17], s[14:15]
	s_cbranch_execnz .LBB153_1065
.LBB153_130:
	s_or_b64 exec, exec, s[16:17]
	v_cmp_gt_u32_e64 s[14:15], 16, v17
	s_and_saveexec_b64 s[16:17], s[14:15]
	s_cbranch_execnz .LBB153_1066
.LBB153_131:
	s_or_b64 exec, exec, s[16:17]
	v_cmp_gt_u32_e64 s[14:15], 8, v17
	s_and_saveexec_b64 s[16:17], s[14:15]
	s_cbranch_execz .LBB153_133
.LBB153_132:
	v_lshlrev_b32_e32 v23, 3, v0
	v_mov_b32_e32 v28, 0
	ds_read_b64 v[26:27], v23 offset:3648
	ds_read_b64 v[28:29], v28 offset:56
	s_waitcnt lgkmcnt(0)
	v_mul_f32_e32 v23, v29, v27
	v_mul_f32_e32 v27, v28, v27
	v_fma_f32 v23, v28, v26, -v23
	v_fmac_f32_e32 v27, v29, v26
	v_add_f32_e32 v10, v10, v23
	v_add_f32_e32 v11, v11, v27
.LBB153_133:
	s_or_b64 exec, exec, s[16:17]
	v_xor_b32_e32 v10, 0x80000000, v10
	v_xor_b32_e32 v11, 0x80000000, v11
.LBB153_134:
	s_or_b64 exec, exec, s[0:1]
	v_mov_b32_e32 v23, 0x8000
	v_cmp_eq_u32_e64 s[14:15], 0, v24
	s_xor_b64 s[0:1], s[10:11], -1
	v_lshl_add_u32 v23, v25, 3, v23
	s_and_b64 s[62:63], s[14:15], s[0:1]
	s_and_saveexec_b64 s[10:11], s[62:63]
; %bb.135:
	ds_write_b64 v23, v[10:11]
; %bb.136:
	s_or_b64 exec, exec, s[10:11]
	v_cmp_ne_u32_e64 s[10:11], 0, v24
	s_and_b64 s[64:65], s[10:11], s[0:1]
	s_waitcnt lgkmcnt(0)
	s_barrier
	s_and_saveexec_b64 s[10:11], s[64:65]
	s_cbranch_execz .LBB153_138
; %bb.137:
	ds_read_b64 v[26:27], v22 offset:4160
	ds_read_b64 v[28:29], v23
	s_waitcnt lgkmcnt(0)
	v_mul_f32_e32 v30, v29, v27
	v_mul_f32_e32 v27, v28, v27
	v_fma_f32 v28, v28, v26, -v30
	v_fmac_f32_e32 v27, v29, v26
	v_add_f32_e32 v10, v10, v28
	v_add_f32_e32 v11, v11, v27
.LBB153_138:
	s_or_b64 exec, exec, s[10:11]
	v_cmp_eq_u32_e64 s[10:11], 1, v24
	s_and_b64 s[66:67], s[10:11], s[0:1]
	s_barrier
	s_and_saveexec_b64 s[10:11], s[66:67]
; %bb.139:
	ds_write_b64 v23, v[10:11]
; %bb.140:
	s_or_b64 exec, exec, s[10:11]
	v_cmp_lt_u32_e64 s[10:11], 1, v24
	s_and_b64 s[68:69], s[10:11], s[0:1]
	s_waitcnt lgkmcnt(0)
	s_barrier
	s_and_saveexec_b64 s[10:11], s[68:69]
	s_cbranch_execz .LBB153_142
; %bb.141:
	ds_read_b64 v[26:27], v22 offset:4672
	ds_read_b64 v[28:29], v23
	s_waitcnt lgkmcnt(0)
	v_mul_f32_e32 v30, v29, v27
	v_mul_f32_e32 v27, v28, v27
	v_fma_f32 v28, v28, v26, -v30
	v_fmac_f32_e32 v27, v29, v26
	v_add_f32_e32 v10, v10, v28
	v_add_f32_e32 v11, v11, v27
.LBB153_142:
	s_or_b64 exec, exec, s[10:11]
	v_cmp_eq_u32_e64 s[10:11], 2, v24
	s_and_b64 s[70:71], s[10:11], s[0:1]
	s_barrier
	s_and_saveexec_b64 s[10:11], s[70:71]
; %bb.143:
	ds_write_b64 v23, v[10:11]
; %bb.144:
	s_or_b64 exec, exec, s[10:11]
	v_cmp_lt_u32_e64 s[10:11], 2, v24
	;; [unrolled: 26-line block ×5, first 2 shown]
	s_and_b64 s[84:85], s[10:11], s[0:1]
	s_waitcnt lgkmcnt(0)
	s_barrier
	s_and_saveexec_b64 s[10:11], s[84:85]
	s_cbranch_execz .LBB153_158
; %bb.157:
	ds_read_b64 v[26:27], v22 offset:6720
	ds_read_b64 v[28:29], v23
	s_waitcnt lgkmcnt(0)
	v_mul_f32_e32 v30, v29, v27
	v_mul_f32_e32 v27, v28, v27
	v_fma_f32 v28, v28, v26, -v30
	v_fmac_f32_e32 v27, v29, v26
	v_add_f32_e32 v10, v10, v28
	v_add_f32_e32 v11, v11, v27
.LBB153_158:
	s_or_b64 exec, exec, s[10:11]
	v_cmp_eq_u32_e64 s[10:11], 6, v24
	s_and_b64 s[86:87], s[10:11], s[0:1]
	s_barrier
	s_and_saveexec_b64 s[10:11], s[86:87]
; %bb.159:
	ds_write_b64 v23, v[10:11]
; %bb.160:
	s_or_b64 exec, exec, s[10:11]
	v_cmp_eq_u32_e64 s[10:11], 7, v24
	s_and_b64 s[60:61], s[10:11], s[0:1]
	s_waitcnt lgkmcnt(0)
	s_barrier
	s_and_saveexec_b64 s[0:1], s[60:61]
	s_cbranch_execz .LBB153_162
; %bb.161:
	v_mov_b32_e32 v26, 0
	ds_read_b64 v[26:27], v26 offset:7288
	ds_read_b64 v[28:29], v23
	s_waitcnt lgkmcnt(0)
	v_mul_f32_e32 v30, v29, v27
	v_mul_f32_e32 v27, v28, v27
	v_fma_f32 v28, v28, v26, -v30
	v_fmac_f32_e32 v27, v29, v26
	v_add_f32_e32 v10, v10, v28
	v_add_f32_e32 v11, v11, v27
.LBB153_162:
	s_or_b64 exec, exec, s[0:1]
	s_barrier
	s_and_saveexec_b64 s[0:1], s[60:61]
; %bb.163:
	ds_write_b64 v23, v[10:11]
; %bb.164:
	s_or_b64 exec, exec, s[0:1]
	s_waitcnt lgkmcnt(0)
	s_barrier
	s_barrier
	s_and_saveexec_b64 s[0:1], s[8:9]
; %bb.165:
	v_xor_b32_e32 v11, 0x80000000, v11
	v_xor_b32_e32 v10, 0x80000000, v10
	ds_write_b64 v21, v[10:11] offset:64
; %bb.166:
	s_or_b64 exec, exec, s[0:1]
	v_cmp_gt_u32_e64 s[10:11], 8, v0
	s_and_b64 s[88:89], s[12:13], s[10:11]
	s_waitcnt lgkmcnt(0)
	s_barrier
	s_barrier
	s_and_saveexec_b64 s[0:1], s[88:89]
	s_cbranch_execz .LBB153_168
; %bb.167:
	v_lshlrev_b32_e32 v26, 9, v0
	ds_read_b64 v[10:11], v26 offset:64
	s_movk_i32 s10, 0xfe08
	v_mad_i32_i24 v27, v0, s10, v26
	s_waitcnt lgkmcnt(0)
	ds_write_b64 v27, v[10:11] offset:4096
	ds_read_b64 v[10:11], v26 offset:72
	s_waitcnt lgkmcnt(0)
	ds_write_b64 v27, v[10:11] offset:4608
	ds_read_b64 v[10:11], v26 offset:80
	s_waitcnt lgkmcnt(0)
	ds_write_b64 v27, v[10:11] offset:5120
	ds_read_b64 v[10:11], v26 offset:88
	s_waitcnt lgkmcnt(0)
	ds_write_b64 v27, v[10:11] offset:5632
	ds_read_b64 v[10:11], v26 offset:96
	s_waitcnt lgkmcnt(0)
	ds_write_b64 v27, v[10:11] offset:6144
	ds_read_b64 v[10:11], v26 offset:104
	s_waitcnt lgkmcnt(0)
	ds_write_b64 v27, v[10:11] offset:6656
	ds_read_b64 v[10:11], v26 offset:112
	s_waitcnt lgkmcnt(0)
	ds_write_b64 v27, v[10:11] offset:7168
	ds_read_b64 v[10:11], v26 offset:120
	s_waitcnt lgkmcnt(0)
	ds_write_b64 v27, v[10:11] offset:7680
.LBB153_168:
	s_or_b64 exec, exec, s[0:1]
	s_waitcnt lgkmcnt(0)
	s_barrier
	s_and_saveexec_b64 s[0:1], vcc
	s_cbranch_execz .LBB153_170
; %bb.169:
	v_mov_b32_e32 v28, 0
	ds_read_b64 v[10:11], v28 offset:4168
	s_mov_b64 s[10:11], 0x3f800000
	v_mov_b32_e32 v27, s11
	v_mov_b32_e32 v26, s10
	ds_write_b64 v28, v[26:27] offset:4680
	v_add_u32_e64 v28, 64, 0
	s_waitcnt lgkmcnt(1)
	ds_write2st64_b64 v28, v[26:27], v[10:11] offset0:8 offset1:9
.LBB153_170:
	s_or_b64 exec, exec, s[0:1]
	v_mov_b32_e32 v11, 0
	v_mov_b32_e32 v10, 0
	s_waitcnt lgkmcnt(0)
	s_barrier
	s_and_saveexec_b64 s[0:1], s[2:3]
	s_cbranch_execz .LBB153_174
; %bb.171:
	v_mul_u32_u24_e32 v26, 0x208, v14
	ds_read_b64 v[10:11], v12 offset:4176
	ds_read_b64 v[26:27], v26 offset:4160
	v_cmp_gt_u32_e64 s[10:11], 2, v17
	s_waitcnt lgkmcnt(0)
	v_mul_f32_e32 v28, v27, v11
	v_mul_f32_e32 v11, v26, v11
	v_fma_f32 v26, v26, v10, -v28
	v_fmac_f32_e32 v11, v27, v10
	v_add_f32_e32 v10, 0, v26
	v_add_f32_e32 v11, 0, v11
	s_and_saveexec_b64 s[14:15], s[10:11]
	s_cbranch_execz .LBB153_173
; %bb.172:
	v_lshlrev_b32_e32 v26, 3, v0
	v_mov_b32_e32 v28, 0
	ds_read_b64 v[26:27], v26 offset:4688
	ds_read_b64 v[28:29], v28 offset:4168
	s_waitcnt lgkmcnt(0)
	v_mul_f32_e32 v30, v29, v27
	v_mul_f32_e32 v27, v28, v27
	v_fma_f32 v28, v28, v26, -v30
	v_fmac_f32_e32 v27, v29, v26
	v_add_f32_e32 v10, v10, v28
	v_add_f32_e32 v11, v11, v27
.LBB153_173:
	s_or_b64 exec, exec, s[14:15]
	v_xor_b32_e32 v10, 0x80000000, v10
	v_xor_b32_e32 v11, 0x80000000, v11
.LBB153_174:
	s_or_b64 exec, exec, s[0:1]
	s_and_saveexec_b64 s[0:1], s[42:43]
; %bb.175:
	ds_write_b64 v13, v[10:11]
; %bb.176:
	s_or_b64 exec, exec, s[0:1]
	s_waitcnt lgkmcnt(0)
	s_barrier
	s_and_saveexec_b64 s[0:1], s[40:41]
	s_cbranch_execz .LBB153_178
; %bb.177:
	v_mov_b32_e32 v26, 0
	ds_read_b64 v[26:27], v26 offset:5208
	ds_read_b64 v[28:29], v13
	s_waitcnt lgkmcnt(0)
	v_mul_f32_e32 v30, v29, v27
	v_mul_f32_e32 v27, v28, v27
	v_fma_f32 v28, v28, v26, -v30
	v_fmac_f32_e32 v27, v29, v26
	v_add_f32_e32 v10, v10, v28
	v_add_f32_e32 v11, v11, v27
.LBB153_178:
	s_or_b64 exec, exec, s[0:1]
	s_barrier
	s_and_saveexec_b64 s[0:1], s[40:41]
; %bb.179:
	ds_write_b64 v13, v[10:11]
; %bb.180:
	s_or_b64 exec, exec, s[0:1]
	s_waitcnt lgkmcnt(0)
	s_barrier
	s_barrier
	s_and_saveexec_b64 s[0:1], s[2:3]
; %bb.181:
	v_xor_b32_e32 v11, 0x80000000, v11
	v_xor_b32_e32 v10, 0x80000000, v10
	ds_write_b64 v12, v[10:11] offset:4176
; %bb.182:
	s_or_b64 exec, exec, s[0:1]
	s_waitcnt lgkmcnt(0)
	s_barrier
	s_barrier
	s_and_saveexec_b64 s[0:1], s[44:45]
	s_cbranch_execz .LBB153_184
; %bb.183:
	v_lshlrev_b32_e32 v26, 3, v0
	s_movk_i32 s10, 0x1f8
	v_mad_u32_u24 v27, v0, s10, v26
	ds_read_b64 v[10:11], v27 offset:4176
	s_waitcnt lgkmcnt(0)
	ds_write_b64 v26, v[10:11] offset:5184
	ds_read_b64 v[10:11], v27 offset:4184
	s_waitcnt lgkmcnt(0)
	ds_write_b64 v26, v[10:11] offset:5696
.LBB153_184:
	s_or_b64 exec, exec, s[0:1]
	s_waitcnt lgkmcnt(0)
	s_barrier
	s_and_saveexec_b64 s[0:1], vcc
	s_cbranch_execz .LBB153_186
; %bb.185:
	v_mov_b32_e32 v28, 0
	ds_read_b64 v[10:11], v28 offset:5208
	s_mov_b64 s[10:11], 0x3f800000
	v_mov_b32_e32 v27, s11
	v_mov_b32_e32 v26, s10
	s_movk_i32 s10, 0x50
	ds_write_b64 v28, v[26:27] offset:5720
	v_add_u32_e64 v28, s10, 0
	s_waitcnt lgkmcnt(1)
	ds_write2st64_b64 v28, v[26:27], v[10:11] offset0:10 offset1:11
.LBB153_186:
	s_or_b64 exec, exec, s[0:1]
	v_mov_b32_e32 v11, 0
	v_mov_b32_e32 v10, 0
	s_waitcnt lgkmcnt(0)
	s_barrier
	s_and_saveexec_b64 s[0:1], s[18:19]
	s_cbranch_execz .LBB153_192
; %bb.187:
	v_mul_u32_u24_e32 v26, 0x208, v20
	ds_read_b64 v[10:11], v15 offset:4192
	ds_read_b64 v[27:28], v26 offset:4160
	v_cmp_gt_u32_e64 s[10:11], 12, v17
	s_waitcnt lgkmcnt(0)
	v_mul_f32_e32 v29, v28, v11
	v_mul_f32_e32 v11, v27, v11
	v_fma_f32 v27, v27, v10, -v29
	v_fmac_f32_e32 v11, v28, v10
	v_add_f32_e32 v10, 0, v27
	v_add_f32_e32 v11, 0, v11
	s_and_saveexec_b64 s[14:15], s[10:11]
	s_cbranch_execnz .LBB153_1067
; %bb.188:
	s_or_b64 exec, exec, s[14:15]
	v_cmp_gt_u32_e64 s[10:11], 8, v17
	s_and_saveexec_b64 s[14:15], s[10:11]
	s_cbranch_execnz .LBB153_1068
.LBB153_189:
	s_or_b64 exec, exec, s[14:15]
	v_cmp_gt_u32_e64 s[10:11], 4, v17
	s_and_saveexec_b64 s[14:15], s[10:11]
	s_cbranch_execz .LBB153_191
.LBB153_190:
	v_lshlrev_b32_e32 v26, 3, v0
	v_mov_b32_e32 v28, 0
	ds_read_b64 v[26:27], v26 offset:5728
	ds_read_b64 v[28:29], v28 offset:4184
	s_waitcnt lgkmcnt(0)
	v_mul_f32_e32 v30, v29, v27
	v_mul_f32_e32 v27, v28, v27
	v_fma_f32 v28, v28, v26, -v30
	v_fmac_f32_e32 v27, v29, v26
	v_add_f32_e32 v10, v10, v28
	v_add_f32_e32 v11, v11, v27
.LBB153_191:
	s_or_b64 exec, exec, s[14:15]
	v_xor_b32_e32 v10, 0x80000000, v10
	v_xor_b32_e32 v11, 0x80000000, v11
.LBB153_192:
	s_or_b64 exec, exec, s[0:1]
	s_and_saveexec_b64 s[0:1], s[48:49]
; %bb.193:
	ds_write_b64 v18, v[10:11]
; %bb.194:
	s_or_b64 exec, exec, s[0:1]
	s_waitcnt lgkmcnt(0)
	s_barrier
	s_and_saveexec_b64 s[0:1], s[50:51]
	s_cbranch_execz .LBB153_196
; %bb.195:
	ds_read_b64 v[26:27], v16 offset:6240
	ds_read_b64 v[28:29], v18
	s_waitcnt lgkmcnt(0)
	v_mul_f32_e32 v30, v29, v27
	v_mul_f32_e32 v27, v28, v27
	v_fma_f32 v28, v28, v26, -v30
	v_fmac_f32_e32 v27, v29, v26
	v_add_f32_e32 v10, v10, v28
	v_add_f32_e32 v11, v11, v27
.LBB153_196:
	s_or_b64 exec, exec, s[0:1]
	s_barrier
	s_and_saveexec_b64 s[0:1], s[52:53]
; %bb.197:
	ds_write_b64 v18, v[10:11]
; %bb.198:
	s_or_b64 exec, exec, s[0:1]
	s_waitcnt lgkmcnt(0)
	s_barrier
	s_and_saveexec_b64 s[0:1], s[54:55]
	s_cbranch_execz .LBB153_200
; %bb.199:
	ds_read_b64 v[26:27], v16 offset:6752
	ds_read_b64 v[28:29], v18
	s_waitcnt lgkmcnt(0)
	v_mul_f32_e32 v30, v29, v27
	v_mul_f32_e32 v27, v28, v27
	v_fma_f32 v28, v28, v26, -v30
	v_fmac_f32_e32 v27, v29, v26
	v_add_f32_e32 v10, v10, v28
	v_add_f32_e32 v11, v11, v27
.LBB153_200:
	s_or_b64 exec, exec, s[0:1]
	s_barrier
	s_and_saveexec_b64 s[0:1], s[56:57]
; %bb.201:
	ds_write_b64 v18, v[10:11]
; %bb.202:
	s_or_b64 exec, exec, s[0:1]
	s_waitcnt lgkmcnt(0)
	s_barrier
	s_and_saveexec_b64 s[0:1], s[46:47]
	s_cbranch_execz .LBB153_204
; %bb.203:
	v_mov_b32_e32 v26, 0
	ds_read_b64 v[26:27], v26 offset:7288
	ds_read_b64 v[28:29], v18
	s_waitcnt lgkmcnt(0)
	v_mul_f32_e32 v30, v29, v27
	v_mul_f32_e32 v27, v28, v27
	v_fma_f32 v28, v28, v26, -v30
	v_fmac_f32_e32 v27, v29, v26
	v_add_f32_e32 v10, v10, v28
	v_add_f32_e32 v11, v11, v27
.LBB153_204:
	s_or_b64 exec, exec, s[0:1]
	s_barrier
	s_and_saveexec_b64 s[0:1], s[46:47]
; %bb.205:
	ds_write_b64 v18, v[10:11]
; %bb.206:
	s_or_b64 exec, exec, s[0:1]
	s_waitcnt lgkmcnt(0)
	s_barrier
	s_barrier
	s_and_saveexec_b64 s[0:1], s[18:19]
; %bb.207:
	v_xor_b32_e32 v10, 0x80000000, v10
	v_xor_b32_e32 v11, 0x80000000, v11
	ds_write_b64 v15, v[10:11] offset:4192
; %bb.208:
	s_or_b64 exec, exec, s[0:1]
	s_waitcnt lgkmcnt(0)
	s_barrier
	s_barrier
	s_and_saveexec_b64 s[0:1], s[58:59]
	s_cbranch_execz .LBB153_210
; %bb.209:
	v_lshlrev_b32_e32 v26, 9, v0
	ds_read_b64 v[10:11], v26 offset:4192
	s_movk_i32 s10, 0xfe08
	v_mad_i32_i24 v27, v0, s10, v26
	s_waitcnt lgkmcnt(0)
	ds_write_b64 v27, v[10:11] offset:6208
	ds_read_b64 v[10:11], v26 offset:4200
	s_waitcnt lgkmcnt(0)
	ds_write_b64 v27, v[10:11] offset:6720
	ds_read_b64 v[10:11], v26 offset:4208
	;; [unrolled: 3-line block ×3, first 2 shown]
	s_waitcnt lgkmcnt(0)
	ds_write_b64 v27, v[10:11] offset:7744
.LBB153_210:
	s_or_b64 exec, exec, s[0:1]
	s_waitcnt lgkmcnt(0)
	s_barrier
	s_and_saveexec_b64 s[0:1], vcc
	s_cbranch_execz .LBB153_212
; %bb.211:
	v_mov_b32_e32 v28, 0
	ds_read_b64 v[10:11], v28 offset:6248
	s_mov_b64 s[10:11], 0x3f800000
	v_mov_b32_e32 v27, s11
	v_mov_b32_e32 v26, s10
	s_movk_i32 s10, 0x60
	ds_write_b64 v28, v[26:27] offset:6760
	v_add_u32_e64 v28, s10, 0
	s_waitcnt lgkmcnt(1)
	ds_write2st64_b64 v28, v[26:27], v[10:11] offset0:12 offset1:13
.LBB153_212:
	s_or_b64 exec, exec, s[0:1]
	v_mov_b32_e32 v11, 0
	v_mov_b32_e32 v10, 0
	s_waitcnt lgkmcnt(0)
	s_barrier
	s_and_saveexec_b64 s[0:1], s[2:3]
	s_cbranch_execz .LBB153_216
; %bb.213:
	v_mul_u32_u24_e32 v26, 0x208, v14
	ds_read_b64 v[10:11], v12 offset:6256
	ds_read_b64 v[26:27], v26 offset:6240
	v_cmp_gt_u32_e64 s[10:11], 2, v17
	s_waitcnt lgkmcnt(0)
	v_mul_f32_e32 v28, v27, v11
	v_mul_f32_e32 v11, v26, v11
	v_fma_f32 v26, v26, v10, -v28
	v_fmac_f32_e32 v11, v27, v10
	v_add_f32_e32 v10, 0, v26
	v_add_f32_e32 v11, 0, v11
	s_and_saveexec_b64 s[14:15], s[10:11]
	s_cbranch_execz .LBB153_215
; %bb.214:
	v_lshlrev_b32_e32 v26, 3, v0
	v_mov_b32_e32 v28, 0
	ds_read_b64 v[26:27], v26 offset:6768
	ds_read_b64 v[28:29], v28 offset:6248
	s_waitcnt lgkmcnt(0)
	v_mul_f32_e32 v30, v29, v27
	v_mul_f32_e32 v27, v28, v27
	v_fma_f32 v28, v28, v26, -v30
	v_fmac_f32_e32 v27, v29, v26
	v_add_f32_e32 v10, v10, v28
	v_add_f32_e32 v11, v11, v27
.LBB153_215:
	s_or_b64 exec, exec, s[14:15]
	v_xor_b32_e32 v10, 0x80000000, v10
	v_xor_b32_e32 v11, 0x80000000, v11
.LBB153_216:
	s_or_b64 exec, exec, s[0:1]
	s_and_saveexec_b64 s[0:1], s[42:43]
; %bb.217:
	ds_write_b64 v13, v[10:11]
; %bb.218:
	s_or_b64 exec, exec, s[0:1]
	s_waitcnt lgkmcnt(0)
	s_barrier
	s_and_saveexec_b64 s[0:1], s[40:41]
	s_cbranch_execz .LBB153_220
; %bb.219:
	v_mov_b32_e32 v26, 0
	ds_read_b64 v[26:27], v26 offset:7288
	ds_read_b64 v[28:29], v13
	s_waitcnt lgkmcnt(0)
	v_mul_f32_e32 v30, v29, v27
	v_mul_f32_e32 v27, v28, v27
	v_fma_f32 v28, v28, v26, -v30
	v_fmac_f32_e32 v27, v29, v26
	v_add_f32_e32 v10, v10, v28
	v_add_f32_e32 v11, v11, v27
.LBB153_220:
	s_or_b64 exec, exec, s[0:1]
	s_barrier
	s_and_saveexec_b64 s[0:1], s[40:41]
; %bb.221:
	ds_write_b64 v13, v[10:11]
; %bb.222:
	s_or_b64 exec, exec, s[0:1]
	s_waitcnt lgkmcnt(0)
	s_barrier
	s_barrier
	s_and_saveexec_b64 s[0:1], s[2:3]
; %bb.223:
	v_xor_b32_e32 v11, 0x80000000, v11
	v_xor_b32_e32 v10, 0x80000000, v10
	ds_write_b64 v12, v[10:11] offset:6256
; %bb.224:
	s_or_b64 exec, exec, s[0:1]
	s_waitcnt lgkmcnt(0)
	s_barrier
	s_barrier
	s_and_saveexec_b64 s[0:1], s[44:45]
	s_cbranch_execz .LBB153_226
; %bb.225:
	v_lshlrev_b32_e32 v26, 3, v0
	s_movk_i32 s10, 0x1f8
	v_mad_u32_u24 v27, v0, s10, v26
	ds_read_b64 v[10:11], v27 offset:6256
	s_waitcnt lgkmcnt(0)
	ds_write_b64 v26, v[10:11] offset:7264
	ds_read_b64 v[10:11], v27 offset:6264
	s_waitcnt lgkmcnt(0)
	ds_write_b64 v26, v[10:11] offset:7776
.LBB153_226:
	s_or_b64 exec, exec, s[0:1]
	s_waitcnt lgkmcnt(0)
	s_barrier
	s_and_saveexec_b64 s[0:1], vcc
	s_cbranch_execz .LBB153_228
; %bb.227:
	v_mov_b32_e32 v28, 0
	ds_read_b64 v[10:11], v28 offset:7288
	s_mov_b64 s[10:11], 0x3f800000
	v_mov_b32_e32 v27, s11
	v_mov_b32_e32 v26, s10
	s_movk_i32 s10, 0x70
	ds_write_b64 v28, v[26:27] offset:7800
	v_add_u32_e64 v28, s10, 0
	s_waitcnt lgkmcnt(1)
	ds_write2st64_b64 v28, v[26:27], v[10:11] offset0:14 offset1:15
.LBB153_228:
	s_or_b64 exec, exec, s[0:1]
	v_lshrrev_b32_e32 v30, 4, v17
	v_and_b32_e32 v27, 15, v0
	s_movk_i32 s0, 0xff
	v_lshlrev_b32_e32 v29, 6, v30
	v_cmp_lt_u32_e64 s[14:15], s0, v17
	s_movk_i32 s0, 0x100
	v_or_b32_e32 v10, v29, v27
	v_cmp_gt_u32_e64 s[10:11], s0, v17
	v_lshlrev_b32_e32 v26, 3, v10
	v_mov_b32_e32 v11, 0
	v_mov_b32_e32 v10, 0
	s_waitcnt lgkmcnt(0)
	s_barrier
	s_and_saveexec_b64 s[0:1], s[10:11]
	s_cbranch_execz .LBB153_256
; %bb.229:
	v_mul_u32_u24_e32 v28, 0x208, v30
	ds_read_b64 v[10:11], v26 offset:128
	ds_read_b64 v[31:32], v28
	s_movk_i32 s16, 0xf0
	v_cmp_gt_u32_e64 s[16:17], s16, v17
	s_waitcnt lgkmcnt(0)
	v_mul_f32_e32 v33, v32, v11
	v_mul_f32_e32 v11, v31, v11
	v_fma_f32 v31, v31, v10, -v33
	v_fmac_f32_e32 v11, v32, v10
	v_add_f32_e32 v10, 0, v31
	v_add_f32_e32 v11, 0, v11
	s_and_saveexec_b64 s[20:21], s[16:17]
	s_cbranch_execz .LBB153_231
; %bb.230:
	v_lshlrev_b32_e32 v31, 3, v30
	v_sub_u32_e32 v31, v28, v31
	v_lshl_add_u32 v31, v27, 3, v31
	ds_read_b64 v[31:32], v31 offset:640
	ds_read_b64 v[33:34], v28 offset:8
	s_waitcnt lgkmcnt(0)
	v_mul_f32_e32 v35, v34, v32
	v_mul_f32_e32 v32, v33, v32
	v_fma_f32 v33, v33, v31, -v35
	v_fmac_f32_e32 v32, v34, v31
	v_add_f32_e32 v10, v10, v33
	v_add_f32_e32 v11, v11, v32
.LBB153_231:
	s_or_b64 exec, exec, s[20:21]
	s_movk_i32 s16, 0xe0
	v_cmp_gt_u32_e64 s[16:17], s16, v17
	s_and_saveexec_b64 s[20:21], s[16:17]
	s_cbranch_execz .LBB153_233
; %bb.232:
	v_lshlrev_b32_e32 v31, 3, v30
	v_sub_u32_e32 v31, v28, v31
	v_lshl_add_u32 v31, v27, 3, v31
	ds_read_b64 v[31:32], v31 offset:1152
	ds_read_b64 v[33:34], v28 offset:16
	s_waitcnt lgkmcnt(0)
	v_mul_f32_e32 v35, v34, v32
	v_mul_f32_e32 v32, v33, v32
	v_fma_f32 v33, v33, v31, -v35
	v_fmac_f32_e32 v32, v34, v31
	v_add_f32_e32 v10, v10, v33
	v_add_f32_e32 v11, v11, v32
.LBB153_233:
	s_or_b64 exec, exec, s[20:21]
	s_movk_i32 s16, 0xd0
	v_cmp_gt_u32_e64 s[16:17], s16, v17
	;; [unrolled: 19-line block ×7, first 2 shown]
	s_and_saveexec_b64 s[20:21], s[16:17]
	s_cbranch_execz .LBB153_245
; %bb.244:
	ds_read_b64 v[31:32], v26 offset:4224
	ds_read_b64 v[33:34], v28 offset:64
	s_waitcnt lgkmcnt(0)
	v_mul_f32_e32 v35, v34, v32
	v_mul_f32_e32 v32, v33, v32
	v_fma_f32 v33, v33, v31, -v35
	v_fmac_f32_e32 v32, v34, v31
	v_add_f32_e32 v10, v10, v33
	v_add_f32_e32 v11, v11, v32
.LBB153_245:
	s_or_b64 exec, exec, s[20:21]
	s_movk_i32 s16, 0x70
	v_cmp_gt_u32_e64 s[16:17], s16, v17
	s_and_saveexec_b64 s[20:21], s[16:17]
	s_cbranch_execz .LBB153_247
; %bb.246:
	v_lshlrev_b32_e32 v31, 3, v27
	v_lshl_add_u32 v31, v29, 3, v31
	ds_read_b64 v[31:32], v31 offset:4736
	ds_read_b64 v[33:34], v28 offset:72
	s_waitcnt lgkmcnt(0)
	v_mul_f32_e32 v35, v34, v32
	v_mul_f32_e32 v32, v33, v32
	v_fma_f32 v33, v33, v31, -v35
	v_fmac_f32_e32 v32, v34, v31
	v_add_f32_e32 v10, v10, v33
	v_add_f32_e32 v11, v11, v32
.LBB153_247:
	s_or_b64 exec, exec, s[20:21]
	s_movk_i32 s16, 0x60
	v_cmp_gt_u32_e64 s[16:17], s16, v17
	s_and_saveexec_b64 s[20:21], s[16:17]
	s_cbranch_execz .LBB153_249
; %bb.248:
	v_lshlrev_b32_e32 v31, 3, v27
	v_lshl_add_u32 v31, v29, 3, v31
	ds_read_b64 v[31:32], v31 offset:5248
	ds_read_b64 v[33:34], v28 offset:80
	s_waitcnt lgkmcnt(0)
	v_mul_f32_e32 v35, v34, v32
	v_mul_f32_e32 v32, v33, v32
	v_fma_f32 v33, v33, v31, -v35
	v_fmac_f32_e32 v32, v34, v31
	v_add_f32_e32 v10, v10, v33
	v_add_f32_e32 v11, v11, v32
.LBB153_249:
	s_or_b64 exec, exec, s[20:21]
	s_movk_i32 s16, 0x50
	v_cmp_gt_u32_e64 s[16:17], s16, v17
	s_and_saveexec_b64 s[20:21], s[16:17]
	s_cbranch_execnz .LBB153_1069
; %bb.250:
	s_or_b64 exec, exec, s[20:21]
	v_cmp_gt_u32_e64 s[16:17], 64, v17
	s_and_saveexec_b64 s[20:21], s[16:17]
	s_cbranch_execnz .LBB153_1070
.LBB153_251:
	s_or_b64 exec, exec, s[20:21]
	v_cmp_gt_u32_e64 s[16:17], 48, v17
	s_and_saveexec_b64 s[20:21], s[16:17]
	s_cbranch_execnz .LBB153_1071
.LBB153_252:
	s_or_b64 exec, exec, s[20:21]
	v_cmp_gt_u32_e64 s[16:17], 32, v17
	s_and_saveexec_b64 s[20:21], s[16:17]
	s_cbranch_execnz .LBB153_1072
.LBB153_253:
	s_or_b64 exec, exec, s[20:21]
	v_cmp_gt_u32_e64 s[16:17], 16, v17
	s_and_saveexec_b64 s[20:21], s[16:17]
	s_cbranch_execz .LBB153_255
.LBB153_254:
	v_lshlrev_b32_e32 v28, 3, v0
	v_mov_b32_e32 v33, 0
	ds_read_b64 v[31:32], v28 offset:7808
	ds_read_b64 v[33:34], v33 offset:120
	s_waitcnt lgkmcnt(0)
	v_mul_f32_e32 v28, v34, v32
	v_mul_f32_e32 v32, v33, v32
	v_fma_f32 v28, v33, v31, -v28
	v_fmac_f32_e32 v32, v34, v31
	v_add_f32_e32 v10, v10, v28
	v_add_f32_e32 v11, v11, v32
.LBB153_255:
	s_or_b64 exec, exec, s[20:21]
	v_xor_b32_e32 v10, 0x80000000, v10
	v_xor_b32_e32 v11, 0x80000000, v11
.LBB153_256:
	s_or_b64 exec, exec, s[0:1]
	v_mov_b32_e32 v28, 0x8000
	v_lshl_add_u32 v28, v30, 3, v28
	v_cmp_eq_u32_e64 s[16:17], 0, v27
	s_xor_b64 s[0:1], s[14:15], -1
	s_and_b64 s[16:17], s[16:17], s[0:1]
	s_mov_b64 s[14:15], exec
	v_writelane_b32 v42, s16, 4
	v_writelane_b32 v42, s17, 5
	s_and_b64 s[16:17], s[14:15], s[16:17]
	s_mov_b64 exec, s[16:17]
; %bb.257:
	ds_write_b64 v28, v[10:11]
; %bb.258:
	s_or_b64 exec, exec, s[14:15]
	v_cmp_ne_u32_e64 s[14:15], 0, v27
	s_waitcnt lgkmcnt(0)
	s_barrier
	s_and_b64 s[16:17], s[14:15], s[0:1]
	s_mov_b64 s[14:15], exec
	v_writelane_b32 v42, s16, 6
	v_writelane_b32 v42, s17, 7
	s_and_b64 s[16:17], s[14:15], s[16:17]
	s_mov_b64 exec, s[16:17]
	s_cbranch_execz .LBB153_260
; %bb.259:
	v_lshlrev_b32_e32 v31, 3, v27
	ds_read_b64 v[31:32], v31 offset:8320
	ds_read_b64 v[33:34], v28
	s_waitcnt lgkmcnt(0)
	v_mul_f32_e32 v35, v34, v32
	v_mul_f32_e32 v32, v33, v32
	v_fma_f32 v33, v33, v31, -v35
	v_fmac_f32_e32 v32, v34, v31
	v_add_f32_e32 v10, v10, v33
	v_add_f32_e32 v11, v11, v32
.LBB153_260:
	s_or_b64 exec, exec, s[14:15]
	v_cmp_eq_u32_e64 s[14:15], 1, v27
	s_barrier
	s_and_b64 s[16:17], s[14:15], s[0:1]
	s_mov_b64 s[14:15], exec
	v_writelane_b32 v42, s16, 8
	v_writelane_b32 v42, s17, 9
	s_and_b64 s[16:17], s[14:15], s[16:17]
	s_mov_b64 exec, s[16:17]
; %bb.261:
	ds_write_b64 v28, v[10:11]
; %bb.262:
	s_or_b64 exec, exec, s[14:15]
	v_cmp_lt_u32_e64 s[14:15], 1, v27
	s_waitcnt lgkmcnt(0)
	s_barrier
	s_and_b64 s[16:17], s[14:15], s[0:1]
	s_mov_b64 s[14:15], exec
	v_writelane_b32 v42, s16, 10
	v_writelane_b32 v42, s17, 11
	s_and_b64 s[16:17], s[14:15], s[16:17]
	s_mov_b64 exec, s[16:17]
	s_cbranch_execz .LBB153_264
; %bb.263:
	v_lshlrev_b32_e32 v31, 3, v27
	ds_read_b64 v[31:32], v31 offset:8832
	ds_read_b64 v[33:34], v28
	s_waitcnt lgkmcnt(0)
	v_mul_f32_e32 v35, v34, v32
	v_mul_f32_e32 v32, v33, v32
	v_fma_f32 v33, v33, v31, -v35
	v_fmac_f32_e32 v32, v34, v31
	v_add_f32_e32 v10, v10, v33
	v_add_f32_e32 v11, v11, v32
.LBB153_264:
	s_or_b64 exec, exec, s[14:15]
	v_cmp_eq_u32_e64 s[14:15], 2, v27
	s_barrier
	s_and_b64 s[16:17], s[14:15], s[0:1]
	s_mov_b64 s[14:15], exec
	v_writelane_b32 v42, s16, 12
	v_writelane_b32 v42, s17, 13
	s_and_b64 s[16:17], s[14:15], s[16:17]
	s_mov_b64 exec, s[16:17]
; %bb.265:
	ds_write_b64 v28, v[10:11]
; %bb.266:
	s_or_b64 exec, exec, s[14:15]
	v_cmp_lt_u32_e64 s[14:15], 2, v27
	;; [unrolled: 35-line block ×13, first 2 shown]
	s_waitcnt lgkmcnt(0)
	s_barrier
	s_and_b64 s[16:17], s[14:15], s[0:1]
	s_mov_b64 s[14:15], exec
	v_writelane_b32 v42, s16, 58
	v_writelane_b32 v42, s17, 59
	s_and_b64 s[16:17], s[14:15], s[16:17]
	s_mov_b64 exec, s[16:17]
	s_cbranch_execz .LBB153_312
; %bb.311:
	v_lshlrev_b32_e32 v31, 3, v27
	ds_read_b64 v[31:32], v31 offset:14976
	ds_read_b64 v[33:34], v28
	s_waitcnt lgkmcnt(0)
	v_mul_f32_e32 v35, v34, v32
	v_mul_f32_e32 v32, v33, v32
	v_fma_f32 v33, v33, v31, -v35
	v_fmac_f32_e32 v32, v34, v31
	v_add_f32_e32 v10, v10, v33
	v_add_f32_e32 v11, v11, v32
.LBB153_312:
	s_or_b64 exec, exec, s[14:15]
	v_cmp_eq_u32_e64 s[14:15], 14, v27
	s_barrier
	s_and_b64 s[16:17], s[14:15], s[0:1]
	s_mov_b64 s[14:15], exec
	v_writelane_b32 v42, s16, 60
	v_writelane_b32 v42, s17, 61
	s_and_b64 s[16:17], s[14:15], s[16:17]
	s_mov_b64 exec, s[16:17]
; %bb.313:
	ds_write_b64 v28, v[10:11]
; %bb.314:
	s_or_b64 exec, exec, s[14:15]
	v_cmp_eq_u32_e64 s[14:15], 15, v27
	s_and_b64 s[0:1], s[14:15], s[0:1]
	s_waitcnt lgkmcnt(0)
	s_barrier
	s_and_saveexec_b64 s[14:15], s[0:1]
	s_cbranch_execz .LBB153_316
; %bb.315:
	v_mov_b32_e32 v31, 0
	ds_read_b64 v[31:32], v31 offset:15608
	ds_read_b64 v[33:34], v28
	s_waitcnt lgkmcnt(0)
	v_mul_f32_e32 v35, v34, v32
	v_mul_f32_e32 v32, v33, v32
	v_fma_f32 v33, v33, v31, -v35
	v_fmac_f32_e32 v32, v34, v31
	v_add_f32_e32 v10, v10, v33
	v_add_f32_e32 v11, v11, v32
.LBB153_316:
	s_or_b64 exec, exec, s[14:15]
	s_barrier
	s_and_saveexec_b64 s[14:15], s[0:1]
; %bb.317:
	ds_write_b64 v28, v[10:11]
; %bb.318:
	s_or_b64 exec, exec, s[14:15]
	s_waitcnt lgkmcnt(0)
	s_barrier
	s_barrier
	s_and_saveexec_b64 s[14:15], s[10:11]
; %bb.319:
	v_xor_b32_e32 v10, 0x80000000, v10
	v_xor_b32_e32 v11, 0x80000000, v11
	ds_write_b64 v26, v[10:11] offset:128
; %bb.320:
	s_or_b64 exec, exec, s[14:15]
	v_cmp_gt_u32_e64 s[14:15], 16, v0
	s_waitcnt lgkmcnt(0)
	s_barrier
	s_barrier
	s_and_b64 s[16:17], s[12:13], s[14:15]
	s_mov_b64 s[14:15], exec
	v_writelane_b32 v42, s16, 62
	v_writelane_b32 v42, s17, 63
	s_and_b64 s[16:17], s[14:15], s[16:17]
	s_mov_b64 exec, s[16:17]
	s_cbranch_execz .LBB153_322
; %bb.321:
	v_lshlrev_b32_e32 v31, 9, v0
	ds_read_b64 v[10:11], v31 offset:128
	s_movk_i32 s16, 0xfe08
	v_mad_i32_i24 v32, v0, s16, v31
	s_waitcnt lgkmcnt(0)
	ds_write_b64 v32, v[10:11] offset:8192
	ds_read_b64 v[10:11], v31 offset:136
	s_waitcnt lgkmcnt(0)
	ds_write_b64 v32, v[10:11] offset:8704
	ds_read_b64 v[10:11], v31 offset:144
	;; [unrolled: 3-line block ×15, first 2 shown]
	s_waitcnt lgkmcnt(0)
	ds_write_b64 v32, v[10:11] offset:15872
.LBB153_322:
	s_or_b64 exec, exec, s[14:15]
	s_waitcnt lgkmcnt(0)
	s_barrier
	s_and_saveexec_b64 s[14:15], vcc
	s_cbranch_execz .LBB153_324
; %bb.323:
	v_mov_b32_e32 v33, 0
	ds_read_b64 v[10:11], v33 offset:8328
	s_mov_b64 s[16:17], 0x3f800000
	v_mov_b32_e32 v32, s17
	v_mov_b32_e32 v31, s16
	s_movk_i32 s16, 0x80
	ds_write_b64 v33, v[31:32] offset:8840
	v_add_u32_e64 v33, s16, 0
	s_waitcnt lgkmcnt(1)
	ds_write2st64_b64 v33, v[31:32], v[10:11] offset0:16 offset1:17
.LBB153_324:
	s_or_b64 exec, exec, s[14:15]
	v_mov_b32_e32 v11, 0
	v_mov_b32_e32 v10, 0
	s_waitcnt lgkmcnt(0)
	s_barrier
	s_and_saveexec_b64 s[16:17], s[2:3]
	s_cbranch_execz .LBB153_328
; %bb.325:
	v_mul_u32_u24_e32 v31, 0x208, v14
	ds_read_b64 v[10:11], v12 offset:8336
	ds_read_b64 v[31:32], v31 offset:8320
	v_cmp_gt_u32_e64 s[14:15], 2, v17
	s_waitcnt lgkmcnt(0)
	v_mul_f32_e32 v33, v32, v11
	v_mul_f32_e32 v11, v31, v11
	v_fma_f32 v31, v31, v10, -v33
	v_fmac_f32_e32 v11, v32, v10
	v_add_f32_e32 v10, 0, v31
	v_add_f32_e32 v11, 0, v11
	s_and_saveexec_b64 s[20:21], s[14:15]
	s_cbranch_execz .LBB153_327
; %bb.326:
	v_lshlrev_b32_e32 v31, 3, v0
	v_mov_b32_e32 v33, 0
	ds_read_b64 v[31:32], v31 offset:8848
	ds_read_b64 v[33:34], v33 offset:8328
	s_waitcnt lgkmcnt(0)
	v_mul_f32_e32 v35, v34, v32
	v_mul_f32_e32 v32, v33, v32
	v_fma_f32 v33, v33, v31, -v35
	v_fmac_f32_e32 v32, v34, v31
	v_add_f32_e32 v10, v10, v33
	v_add_f32_e32 v11, v11, v32
.LBB153_327:
	s_or_b64 exec, exec, s[20:21]
	v_xor_b32_e32 v10, 0x80000000, v10
	v_xor_b32_e32 v11, 0x80000000, v11
.LBB153_328:
	s_or_b64 exec, exec, s[16:17]
	s_and_saveexec_b64 s[14:15], s[42:43]
; %bb.329:
	ds_write_b64 v13, v[10:11]
; %bb.330:
	s_or_b64 exec, exec, s[14:15]
	s_waitcnt lgkmcnt(0)
	s_barrier
	s_and_saveexec_b64 s[14:15], s[40:41]
	s_cbranch_execz .LBB153_332
; %bb.331:
	v_mov_b32_e32 v31, 0
	ds_read_b64 v[31:32], v31 offset:9368
	ds_read_b64 v[33:34], v13
	s_waitcnt lgkmcnt(0)
	v_mul_f32_e32 v35, v34, v32
	v_mul_f32_e32 v32, v33, v32
	v_fma_f32 v33, v33, v31, -v35
	v_fmac_f32_e32 v32, v34, v31
	v_add_f32_e32 v10, v10, v33
	v_add_f32_e32 v11, v11, v32
.LBB153_332:
	s_or_b64 exec, exec, s[14:15]
	s_barrier
	s_and_saveexec_b64 s[14:15], s[40:41]
; %bb.333:
	ds_write_b64 v13, v[10:11]
; %bb.334:
	s_or_b64 exec, exec, s[14:15]
	s_waitcnt lgkmcnt(0)
	s_barrier
	s_barrier
	s_and_saveexec_b64 s[14:15], s[2:3]
; %bb.335:
	v_xor_b32_e32 v11, 0x80000000, v11
	v_xor_b32_e32 v10, 0x80000000, v10
	ds_write_b64 v12, v[10:11] offset:8336
; %bb.336:
	s_or_b64 exec, exec, s[14:15]
	s_waitcnt lgkmcnt(0)
	s_barrier
	s_barrier
	s_and_saveexec_b64 s[14:15], s[44:45]
	s_cbranch_execz .LBB153_338
; %bb.337:
	v_lshlrev_b32_e32 v31, 3, v0
	s_movk_i32 s16, 0x1f8
	v_mad_u32_u24 v32, v0, s16, v31
	ds_read_b64 v[10:11], v32 offset:8336
	s_waitcnt lgkmcnt(0)
	ds_write_b64 v31, v[10:11] offset:9344
	ds_read_b64 v[10:11], v32 offset:8344
	s_waitcnt lgkmcnt(0)
	ds_write_b64 v31, v[10:11] offset:9856
.LBB153_338:
	s_or_b64 exec, exec, s[14:15]
	s_waitcnt lgkmcnt(0)
	s_barrier
	s_and_saveexec_b64 s[14:15], vcc
	s_cbranch_execz .LBB153_340
; %bb.339:
	v_mov_b32_e32 v33, 0
	ds_read_b64 v[10:11], v33 offset:9368
	s_mov_b64 s[16:17], 0x3f800000
	v_mov_b32_e32 v32, s17
	v_mov_b32_e32 v31, s16
	s_movk_i32 s16, 0x90
	ds_write_b64 v33, v[31:32] offset:9880
	v_add_u32_e64 v33, s16, 0
	s_waitcnt lgkmcnt(1)
	ds_write2st64_b64 v33, v[31:32], v[10:11] offset0:18 offset1:19
.LBB153_340:
	s_or_b64 exec, exec, s[14:15]
	v_mov_b32_e32 v11, 0
	v_mov_b32_e32 v10, 0
	s_waitcnt lgkmcnt(0)
	s_barrier
	s_and_saveexec_b64 s[16:17], s[18:19]
	s_cbranch_execz .LBB153_346
; %bb.341:
	v_mul_u32_u24_e32 v31, 0x208, v20
	ds_read_b64 v[10:11], v15 offset:8352
	ds_read_b64 v[32:33], v31 offset:8320
	v_cmp_gt_u32_e64 s[14:15], 12, v17
	s_waitcnt lgkmcnt(0)
	v_mul_f32_e32 v34, v33, v11
	v_mul_f32_e32 v11, v32, v11
	v_fma_f32 v32, v32, v10, -v34
	v_fmac_f32_e32 v11, v33, v10
	v_add_f32_e32 v10, 0, v32
	v_add_f32_e32 v11, 0, v11
	s_and_saveexec_b64 s[20:21], s[14:15]
	s_cbranch_execnz .LBB153_1073
; %bb.342:
	s_or_b64 exec, exec, s[20:21]
	v_cmp_gt_u32_e64 s[14:15], 8, v17
	s_and_saveexec_b64 s[20:21], s[14:15]
	s_cbranch_execnz .LBB153_1074
.LBB153_343:
	s_or_b64 exec, exec, s[20:21]
	v_cmp_gt_u32_e64 s[14:15], 4, v17
	s_and_saveexec_b64 s[20:21], s[14:15]
	s_cbranch_execz .LBB153_345
.LBB153_344:
	v_lshlrev_b32_e32 v31, 3, v0
	v_mov_b32_e32 v33, 0
	ds_read_b64 v[31:32], v31 offset:9888
	ds_read_b64 v[33:34], v33 offset:8344
	s_waitcnt lgkmcnt(0)
	v_mul_f32_e32 v35, v34, v32
	v_mul_f32_e32 v32, v33, v32
	v_fma_f32 v33, v33, v31, -v35
	v_fmac_f32_e32 v32, v34, v31
	v_add_f32_e32 v10, v10, v33
	v_add_f32_e32 v11, v11, v32
.LBB153_345:
	s_or_b64 exec, exec, s[20:21]
	v_xor_b32_e32 v10, 0x80000000, v10
	v_xor_b32_e32 v11, 0x80000000, v11
.LBB153_346:
	s_or_b64 exec, exec, s[16:17]
	s_and_saveexec_b64 s[14:15], s[48:49]
; %bb.347:
	ds_write_b64 v18, v[10:11]
; %bb.348:
	s_or_b64 exec, exec, s[14:15]
	s_waitcnt lgkmcnt(0)
	s_barrier
	s_and_saveexec_b64 s[14:15], s[50:51]
	s_cbranch_execz .LBB153_350
; %bb.349:
	ds_read_b64 v[31:32], v16 offset:10400
	ds_read_b64 v[33:34], v18
	s_waitcnt lgkmcnt(0)
	v_mul_f32_e32 v35, v34, v32
	v_mul_f32_e32 v32, v33, v32
	v_fma_f32 v33, v33, v31, -v35
	v_fmac_f32_e32 v32, v34, v31
	v_add_f32_e32 v10, v10, v33
	v_add_f32_e32 v11, v11, v32
.LBB153_350:
	s_or_b64 exec, exec, s[14:15]
	s_barrier
	s_and_saveexec_b64 s[14:15], s[52:53]
; %bb.351:
	ds_write_b64 v18, v[10:11]
; %bb.352:
	s_or_b64 exec, exec, s[14:15]
	s_waitcnt lgkmcnt(0)
	s_barrier
	s_and_saveexec_b64 s[14:15], s[54:55]
	s_cbranch_execz .LBB153_354
; %bb.353:
	ds_read_b64 v[31:32], v16 offset:10912
	ds_read_b64 v[33:34], v18
	s_waitcnt lgkmcnt(0)
	v_mul_f32_e32 v35, v34, v32
	v_mul_f32_e32 v32, v33, v32
	v_fma_f32 v33, v33, v31, -v35
	v_fmac_f32_e32 v32, v34, v31
	v_add_f32_e32 v10, v10, v33
	v_add_f32_e32 v11, v11, v32
.LBB153_354:
	s_or_b64 exec, exec, s[14:15]
	s_barrier
	s_and_saveexec_b64 s[14:15], s[56:57]
; %bb.355:
	ds_write_b64 v18, v[10:11]
; %bb.356:
	s_or_b64 exec, exec, s[14:15]
	s_waitcnt lgkmcnt(0)
	s_barrier
	s_and_saveexec_b64 s[14:15], s[46:47]
	s_cbranch_execz .LBB153_358
; %bb.357:
	v_mov_b32_e32 v31, 0
	ds_read_b64 v[31:32], v31 offset:11448
	ds_read_b64 v[33:34], v18
	s_waitcnt lgkmcnt(0)
	v_mul_f32_e32 v35, v34, v32
	v_mul_f32_e32 v32, v33, v32
	v_fma_f32 v33, v33, v31, -v35
	v_fmac_f32_e32 v32, v34, v31
	v_add_f32_e32 v10, v10, v33
	v_add_f32_e32 v11, v11, v32
.LBB153_358:
	s_or_b64 exec, exec, s[14:15]
	s_barrier
	s_and_saveexec_b64 s[14:15], s[46:47]
; %bb.359:
	ds_write_b64 v18, v[10:11]
; %bb.360:
	s_or_b64 exec, exec, s[14:15]
	s_waitcnt lgkmcnt(0)
	s_barrier
	s_barrier
	s_and_saveexec_b64 s[14:15], s[18:19]
; %bb.361:
	v_xor_b32_e32 v10, 0x80000000, v10
	v_xor_b32_e32 v11, 0x80000000, v11
	ds_write_b64 v15, v[10:11] offset:8352
; %bb.362:
	s_or_b64 exec, exec, s[14:15]
	s_waitcnt lgkmcnt(0)
	s_barrier
	s_barrier
	s_and_saveexec_b64 s[14:15], s[58:59]
	s_cbranch_execz .LBB153_364
; %bb.363:
	v_lshlrev_b32_e32 v31, 9, v0
	ds_read_b64 v[10:11], v31 offset:8352
	s_movk_i32 s16, 0xfe08
	v_mad_i32_i24 v32, v0, s16, v31
	s_waitcnt lgkmcnt(0)
	ds_write_b64 v32, v[10:11] offset:10368
	ds_read_b64 v[10:11], v31 offset:8360
	s_waitcnt lgkmcnt(0)
	ds_write_b64 v32, v[10:11] offset:10880
	ds_read_b64 v[10:11], v31 offset:8368
	;; [unrolled: 3-line block ×3, first 2 shown]
	s_waitcnt lgkmcnt(0)
	ds_write_b64 v32, v[10:11] offset:11904
.LBB153_364:
	s_or_b64 exec, exec, s[14:15]
	s_waitcnt lgkmcnt(0)
	s_barrier
	s_and_saveexec_b64 s[14:15], vcc
	s_cbranch_execz .LBB153_366
; %bb.365:
	v_mov_b32_e32 v33, 0
	ds_read_b64 v[10:11], v33 offset:10408
	s_mov_b64 s[16:17], 0x3f800000
	v_mov_b32_e32 v32, s17
	v_mov_b32_e32 v31, s16
	s_movk_i32 s16, 0xa0
	ds_write_b64 v33, v[31:32] offset:10920
	v_add_u32_e64 v33, s16, 0
	s_waitcnt lgkmcnt(1)
	ds_write2st64_b64 v33, v[31:32], v[10:11] offset0:20 offset1:21
.LBB153_366:
	s_or_b64 exec, exec, s[14:15]
	v_mov_b32_e32 v11, 0
	v_mov_b32_e32 v10, 0
	s_waitcnt lgkmcnt(0)
	s_barrier
	s_and_saveexec_b64 s[16:17], s[2:3]
	s_cbranch_execz .LBB153_370
; %bb.367:
	v_mul_u32_u24_e32 v31, 0x208, v14
	ds_read_b64 v[10:11], v12 offset:10416
	ds_read_b64 v[31:32], v31 offset:10400
	v_cmp_gt_u32_e64 s[14:15], 2, v17
	s_waitcnt lgkmcnt(0)
	v_mul_f32_e32 v33, v32, v11
	v_mul_f32_e32 v11, v31, v11
	v_fma_f32 v31, v31, v10, -v33
	v_fmac_f32_e32 v11, v32, v10
	v_add_f32_e32 v10, 0, v31
	v_add_f32_e32 v11, 0, v11
	s_and_saveexec_b64 s[20:21], s[14:15]
	s_cbranch_execz .LBB153_369
; %bb.368:
	v_lshlrev_b32_e32 v31, 3, v0
	v_mov_b32_e32 v33, 0
	ds_read_b64 v[31:32], v31 offset:10928
	ds_read_b64 v[33:34], v33 offset:10408
	s_waitcnt lgkmcnt(0)
	v_mul_f32_e32 v35, v34, v32
	v_mul_f32_e32 v32, v33, v32
	v_fma_f32 v33, v33, v31, -v35
	v_fmac_f32_e32 v32, v34, v31
	v_add_f32_e32 v10, v10, v33
	v_add_f32_e32 v11, v11, v32
.LBB153_369:
	s_or_b64 exec, exec, s[20:21]
	v_xor_b32_e32 v10, 0x80000000, v10
	v_xor_b32_e32 v11, 0x80000000, v11
.LBB153_370:
	s_or_b64 exec, exec, s[16:17]
	s_and_saveexec_b64 s[14:15], s[42:43]
; %bb.371:
	ds_write_b64 v13, v[10:11]
; %bb.372:
	s_or_b64 exec, exec, s[14:15]
	s_waitcnt lgkmcnt(0)
	s_barrier
	s_and_saveexec_b64 s[14:15], s[40:41]
	s_cbranch_execz .LBB153_374
; %bb.373:
	v_mov_b32_e32 v31, 0
	ds_read_b64 v[31:32], v31 offset:11448
	ds_read_b64 v[33:34], v13
	s_waitcnt lgkmcnt(0)
	v_mul_f32_e32 v35, v34, v32
	v_mul_f32_e32 v32, v33, v32
	v_fma_f32 v33, v33, v31, -v35
	v_fmac_f32_e32 v32, v34, v31
	v_add_f32_e32 v10, v10, v33
	v_add_f32_e32 v11, v11, v32
.LBB153_374:
	s_or_b64 exec, exec, s[14:15]
	s_barrier
	s_and_saveexec_b64 s[14:15], s[40:41]
; %bb.375:
	ds_write_b64 v13, v[10:11]
; %bb.376:
	s_or_b64 exec, exec, s[14:15]
	s_waitcnt lgkmcnt(0)
	s_barrier
	s_barrier
	s_and_saveexec_b64 s[14:15], s[2:3]
; %bb.377:
	v_xor_b32_e32 v11, 0x80000000, v11
	v_xor_b32_e32 v10, 0x80000000, v10
	ds_write_b64 v12, v[10:11] offset:10416
; %bb.378:
	s_or_b64 exec, exec, s[14:15]
	s_waitcnt lgkmcnt(0)
	s_barrier
	s_barrier
	s_and_saveexec_b64 s[14:15], s[44:45]
	s_cbranch_execz .LBB153_380
; %bb.379:
	v_lshlrev_b32_e32 v31, 3, v0
	s_movk_i32 s16, 0x1f8
	v_mad_u32_u24 v32, v0, s16, v31
	ds_read_b64 v[10:11], v32 offset:10416
	s_waitcnt lgkmcnt(0)
	ds_write_b64 v31, v[10:11] offset:11424
	ds_read_b64 v[10:11], v32 offset:10424
	s_waitcnt lgkmcnt(0)
	ds_write_b64 v31, v[10:11] offset:11936
.LBB153_380:
	s_or_b64 exec, exec, s[14:15]
	s_waitcnt lgkmcnt(0)
	s_barrier
	s_and_saveexec_b64 s[14:15], vcc
	s_cbranch_execz .LBB153_382
; %bb.381:
	v_mov_b32_e32 v33, 0
	ds_read_b64 v[10:11], v33 offset:11448
	s_mov_b64 s[16:17], 0x3f800000
	v_mov_b32_e32 v32, s17
	v_mov_b32_e32 v31, s16
	s_movk_i32 s16, 0xb0
	ds_write_b64 v33, v[31:32] offset:11960
	v_add_u32_e64 v33, s16, 0
	s_waitcnt lgkmcnt(1)
	ds_write2st64_b64 v33, v[31:32], v[10:11] offset0:22 offset1:23
.LBB153_382:
	s_or_b64 exec, exec, s[14:15]
	v_mov_b32_e32 v11, 0
	v_mov_b32_e32 v10, 0
	s_waitcnt lgkmcnt(0)
	s_barrier
	s_and_saveexec_b64 s[16:17], s[8:9]
	s_cbranch_execz .LBB153_392
; %bb.383:
	v_mul_u32_u24_e32 v31, 0x208, v25
	ds_read_b64 v[10:11], v21 offset:8384
	ds_read_b64 v[32:33], v31 offset:8320
	v_cmp_gt_u32_e64 s[14:15], 56, v17
	s_waitcnt lgkmcnt(0)
	v_mul_f32_e32 v34, v33, v11
	v_mul_f32_e32 v11, v32, v11
	v_fma_f32 v32, v32, v10, -v34
	v_fmac_f32_e32 v11, v33, v10
	v_add_f32_e32 v10, 0, v32
	v_add_f32_e32 v11, 0, v11
	s_and_saveexec_b64 s[20:21], s[14:15]
	s_cbranch_execnz .LBB153_1075
; %bb.384:
	s_or_b64 exec, exec, s[20:21]
	v_cmp_gt_u32_e64 s[14:15], 48, v17
	s_and_saveexec_b64 s[20:21], s[14:15]
	s_cbranch_execnz .LBB153_1076
.LBB153_385:
	s_or_b64 exec, exec, s[20:21]
	v_cmp_gt_u32_e64 s[14:15], 40, v17
	s_and_saveexec_b64 s[20:21], s[14:15]
	s_cbranch_execnz .LBB153_1077
.LBB153_386:
	s_or_b64 exec, exec, s[20:21]
	v_cmp_gt_u32_e64 s[14:15], 32, v17
	s_and_saveexec_b64 s[20:21], s[14:15]
	s_cbranch_execnz .LBB153_1078
.LBB153_387:
	s_or_b64 exec, exec, s[20:21]
	v_cmp_gt_u32_e64 s[14:15], 24, v17
	s_and_saveexec_b64 s[20:21], s[14:15]
	s_cbranch_execnz .LBB153_1079
.LBB153_388:
	s_or_b64 exec, exec, s[20:21]
	v_cmp_gt_u32_e64 s[14:15], 16, v17
	s_and_saveexec_b64 s[20:21], s[14:15]
	s_cbranch_execnz .LBB153_1080
.LBB153_389:
	s_or_b64 exec, exec, s[20:21]
	v_cmp_gt_u32_e64 s[14:15], 8, v17
	s_and_saveexec_b64 s[20:21], s[14:15]
	s_cbranch_execz .LBB153_391
.LBB153_390:
	v_lshlrev_b32_e32 v31, 3, v0
	v_mov_b32_e32 v33, 0
	ds_read_b64 v[31:32], v31 offset:11968
	ds_read_b64 v[33:34], v33 offset:8376
	s_waitcnt lgkmcnt(0)
	v_mul_f32_e32 v35, v34, v32
	v_mul_f32_e32 v32, v33, v32
	v_fma_f32 v33, v33, v31, -v35
	v_fmac_f32_e32 v32, v34, v31
	v_add_f32_e32 v10, v10, v33
	v_add_f32_e32 v11, v11, v32
.LBB153_391:
	s_or_b64 exec, exec, s[20:21]
	v_xor_b32_e32 v10, 0x80000000, v10
	v_xor_b32_e32 v11, 0x80000000, v11
.LBB153_392:
	s_or_b64 exec, exec, s[16:17]
	s_and_saveexec_b64 s[14:15], s[62:63]
; %bb.393:
	ds_write_b64 v23, v[10:11]
; %bb.394:
	s_or_b64 exec, exec, s[14:15]
	s_waitcnt lgkmcnt(0)
	s_barrier
	s_and_saveexec_b64 s[14:15], s[64:65]
	s_cbranch_execz .LBB153_396
; %bb.395:
	ds_read_b64 v[31:32], v22 offset:12480
	ds_read_b64 v[33:34], v23
	s_waitcnt lgkmcnt(0)
	v_mul_f32_e32 v35, v34, v32
	v_mul_f32_e32 v32, v33, v32
	v_fma_f32 v33, v33, v31, -v35
	v_fmac_f32_e32 v32, v34, v31
	v_add_f32_e32 v10, v10, v33
	v_add_f32_e32 v11, v11, v32
.LBB153_396:
	s_or_b64 exec, exec, s[14:15]
	s_barrier
	s_and_saveexec_b64 s[14:15], s[66:67]
; %bb.397:
	ds_write_b64 v23, v[10:11]
; %bb.398:
	s_or_b64 exec, exec, s[14:15]
	s_waitcnt lgkmcnt(0)
	s_barrier
	s_and_saveexec_b64 s[14:15], s[68:69]
	s_cbranch_execz .LBB153_400
; %bb.399:
	ds_read_b64 v[31:32], v22 offset:12992
	ds_read_b64 v[33:34], v23
	s_waitcnt lgkmcnt(0)
	v_mul_f32_e32 v35, v34, v32
	v_mul_f32_e32 v32, v33, v32
	v_fma_f32 v33, v33, v31, -v35
	v_fmac_f32_e32 v32, v34, v31
	v_add_f32_e32 v10, v10, v33
	v_add_f32_e32 v11, v11, v32
.LBB153_400:
	s_or_b64 exec, exec, s[14:15]
	s_barrier
	;; [unrolled: 22-line block ×6, first 2 shown]
	s_and_saveexec_b64 s[14:15], s[86:87]
; %bb.417:
	ds_write_b64 v23, v[10:11]
; %bb.418:
	s_or_b64 exec, exec, s[14:15]
	s_waitcnt lgkmcnt(0)
	s_barrier
	s_and_saveexec_b64 s[14:15], s[60:61]
	s_cbranch_execz .LBB153_420
; %bb.419:
	v_mov_b32_e32 v31, 0
	ds_read_b64 v[31:32], v31 offset:15608
	ds_read_b64 v[33:34], v23
	s_waitcnt lgkmcnt(0)
	v_mul_f32_e32 v35, v34, v32
	v_mul_f32_e32 v32, v33, v32
	v_fma_f32 v33, v33, v31, -v35
	v_fmac_f32_e32 v32, v34, v31
	v_add_f32_e32 v10, v10, v33
	v_add_f32_e32 v11, v11, v32
.LBB153_420:
	s_or_b64 exec, exec, s[14:15]
	s_barrier
	s_and_saveexec_b64 s[14:15], s[60:61]
; %bb.421:
	ds_write_b64 v23, v[10:11]
; %bb.422:
	s_or_b64 exec, exec, s[14:15]
	s_waitcnt lgkmcnt(0)
	s_barrier
	s_barrier
	s_and_saveexec_b64 s[14:15], s[8:9]
; %bb.423:
	v_xor_b32_e32 v11, 0x80000000, v11
	v_xor_b32_e32 v10, 0x80000000, v10
	ds_write_b64 v21, v[10:11] offset:8384
; %bb.424:
	s_or_b64 exec, exec, s[14:15]
	s_waitcnt lgkmcnt(0)
	s_barrier
	s_barrier
	s_and_saveexec_b64 s[14:15], s[88:89]
	s_cbranch_execz .LBB153_426
; %bb.425:
	v_lshlrev_b32_e32 v31, 9, v0
	ds_read_b64 v[10:11], v31 offset:8384
	s_movk_i32 s16, 0xfe08
	v_mad_i32_i24 v32, v0, s16, v31
	s_waitcnt lgkmcnt(0)
	ds_write_b64 v32, v[10:11] offset:12416
	ds_read_b64 v[10:11], v31 offset:8392
	s_waitcnt lgkmcnt(0)
	ds_write_b64 v32, v[10:11] offset:12928
	ds_read_b64 v[10:11], v31 offset:8400
	s_waitcnt lgkmcnt(0)
	ds_write_b64 v32, v[10:11] offset:13440
	ds_read_b64 v[10:11], v31 offset:8408
	s_waitcnt lgkmcnt(0)
	ds_write_b64 v32, v[10:11] offset:13952
	ds_read_b64 v[10:11], v31 offset:8416
	s_waitcnt lgkmcnt(0)
	ds_write_b64 v32, v[10:11] offset:14464
	ds_read_b64 v[10:11], v31 offset:8424
	s_waitcnt lgkmcnt(0)
	ds_write_b64 v32, v[10:11] offset:14976
	ds_read_b64 v[10:11], v31 offset:8432
	s_waitcnt lgkmcnt(0)
	ds_write_b64 v32, v[10:11] offset:15488
	ds_read_b64 v[10:11], v31 offset:8440
	s_waitcnt lgkmcnt(0)
	ds_write_b64 v32, v[10:11] offset:16000
.LBB153_426:
	s_or_b64 exec, exec, s[14:15]
	s_waitcnt lgkmcnt(0)
	s_barrier
	s_and_saveexec_b64 s[14:15], vcc
	s_cbranch_execz .LBB153_428
; %bb.427:
	v_mov_b32_e32 v33, 0
	ds_read_b64 v[10:11], v33 offset:12488
	s_mov_b64 s[16:17], 0x3f800000
	v_mov_b32_e32 v32, s17
	v_mov_b32_e32 v31, s16
	s_movk_i32 s16, 0xc0
	ds_write_b64 v33, v[31:32] offset:13000
	v_add_u32_e64 v33, s16, 0
	s_waitcnt lgkmcnt(1)
	ds_write2st64_b64 v33, v[31:32], v[10:11] offset0:24 offset1:25
.LBB153_428:
	s_or_b64 exec, exec, s[14:15]
	v_mov_b32_e32 v11, 0
	v_mov_b32_e32 v10, 0
	s_waitcnt lgkmcnt(0)
	s_barrier
	s_and_saveexec_b64 s[16:17], s[2:3]
	s_cbranch_execz .LBB153_432
; %bb.429:
	v_mul_u32_u24_e32 v31, 0x208, v14
	ds_read_b64 v[10:11], v12 offset:12496
	ds_read_b64 v[31:32], v31 offset:12480
	v_cmp_gt_u32_e64 s[14:15], 2, v17
	s_waitcnt lgkmcnt(0)
	v_mul_f32_e32 v33, v32, v11
	v_mul_f32_e32 v11, v31, v11
	v_fma_f32 v31, v31, v10, -v33
	v_fmac_f32_e32 v11, v32, v10
	v_add_f32_e32 v10, 0, v31
	v_add_f32_e32 v11, 0, v11
	s_and_saveexec_b64 s[20:21], s[14:15]
	s_cbranch_execz .LBB153_431
; %bb.430:
	v_lshlrev_b32_e32 v31, 3, v0
	v_mov_b32_e32 v33, 0
	ds_read_b64 v[31:32], v31 offset:13008
	ds_read_b64 v[33:34], v33 offset:12488
	s_waitcnt lgkmcnt(0)
	v_mul_f32_e32 v35, v34, v32
	v_mul_f32_e32 v32, v33, v32
	v_fma_f32 v33, v33, v31, -v35
	v_fmac_f32_e32 v32, v34, v31
	v_add_f32_e32 v10, v10, v33
	v_add_f32_e32 v11, v11, v32
.LBB153_431:
	s_or_b64 exec, exec, s[20:21]
	v_xor_b32_e32 v10, 0x80000000, v10
	v_xor_b32_e32 v11, 0x80000000, v11
.LBB153_432:
	s_or_b64 exec, exec, s[16:17]
	s_and_saveexec_b64 s[14:15], s[42:43]
; %bb.433:
	ds_write_b64 v13, v[10:11]
; %bb.434:
	s_or_b64 exec, exec, s[14:15]
	s_waitcnt lgkmcnt(0)
	s_barrier
	s_and_saveexec_b64 s[14:15], s[40:41]
	s_cbranch_execz .LBB153_436
; %bb.435:
	v_mov_b32_e32 v31, 0
	ds_read_b64 v[31:32], v31 offset:13528
	ds_read_b64 v[33:34], v13
	s_waitcnt lgkmcnt(0)
	v_mul_f32_e32 v35, v34, v32
	v_mul_f32_e32 v32, v33, v32
	v_fma_f32 v33, v33, v31, -v35
	v_fmac_f32_e32 v32, v34, v31
	v_add_f32_e32 v10, v10, v33
	v_add_f32_e32 v11, v11, v32
.LBB153_436:
	s_or_b64 exec, exec, s[14:15]
	s_barrier
	s_and_saveexec_b64 s[14:15], s[40:41]
; %bb.437:
	ds_write_b64 v13, v[10:11]
; %bb.438:
	s_or_b64 exec, exec, s[14:15]
	s_waitcnt lgkmcnt(0)
	s_barrier
	s_barrier
	s_and_saveexec_b64 s[14:15], s[2:3]
; %bb.439:
	v_xor_b32_e32 v11, 0x80000000, v11
	v_xor_b32_e32 v10, 0x80000000, v10
	ds_write_b64 v12, v[10:11] offset:12496
; %bb.440:
	s_or_b64 exec, exec, s[14:15]
	s_waitcnt lgkmcnt(0)
	s_barrier
	s_barrier
	s_and_saveexec_b64 s[14:15], s[44:45]
	s_cbranch_execz .LBB153_442
; %bb.441:
	v_lshlrev_b32_e32 v31, 3, v0
	s_movk_i32 s16, 0x1f8
	v_mad_u32_u24 v32, v0, s16, v31
	ds_read_b64 v[10:11], v32 offset:12496
	s_waitcnt lgkmcnt(0)
	ds_write_b64 v31, v[10:11] offset:13504
	ds_read_b64 v[10:11], v32 offset:12504
	s_waitcnt lgkmcnt(0)
	ds_write_b64 v31, v[10:11] offset:14016
.LBB153_442:
	s_or_b64 exec, exec, s[14:15]
	s_waitcnt lgkmcnt(0)
	s_barrier
	s_and_saveexec_b64 s[14:15], vcc
	s_cbranch_execz .LBB153_444
; %bb.443:
	v_mov_b32_e32 v33, 0
	ds_read_b64 v[10:11], v33 offset:13528
	s_mov_b64 s[16:17], 0x3f800000
	v_mov_b32_e32 v32, s17
	v_mov_b32_e32 v31, s16
	s_movk_i32 s16, 0xd0
	ds_write_b64 v33, v[31:32] offset:14040
	v_add_u32_e64 v33, s16, 0
	s_waitcnt lgkmcnt(1)
	ds_write2st64_b64 v33, v[31:32], v[10:11] offset0:26 offset1:27
.LBB153_444:
	s_or_b64 exec, exec, s[14:15]
	v_mov_b32_e32 v11, 0
	v_mov_b32_e32 v10, 0
	s_waitcnt lgkmcnt(0)
	s_barrier
	s_and_saveexec_b64 s[16:17], s[18:19]
	s_cbranch_execz .LBB153_450
; %bb.445:
	v_mul_u32_u24_e32 v31, 0x208, v20
	ds_read_b64 v[10:11], v15 offset:12512
	ds_read_b64 v[32:33], v31 offset:12480
	v_cmp_gt_u32_e64 s[14:15], 12, v17
	s_waitcnt lgkmcnt(0)
	v_mul_f32_e32 v34, v33, v11
	v_mul_f32_e32 v11, v32, v11
	v_fma_f32 v32, v32, v10, -v34
	v_fmac_f32_e32 v11, v33, v10
	v_add_f32_e32 v10, 0, v32
	v_add_f32_e32 v11, 0, v11
	s_and_saveexec_b64 s[20:21], s[14:15]
	s_cbranch_execnz .LBB153_1081
; %bb.446:
	s_or_b64 exec, exec, s[20:21]
	v_cmp_gt_u32_e64 s[14:15], 8, v17
	s_and_saveexec_b64 s[20:21], s[14:15]
	s_cbranch_execnz .LBB153_1082
.LBB153_447:
	s_or_b64 exec, exec, s[20:21]
	v_cmp_gt_u32_e64 s[14:15], 4, v17
	s_and_saveexec_b64 s[20:21], s[14:15]
	s_cbranch_execz .LBB153_449
.LBB153_448:
	v_lshlrev_b32_e32 v31, 3, v0
	v_mov_b32_e32 v33, 0
	ds_read_b64 v[31:32], v31 offset:14048
	ds_read_b64 v[33:34], v33 offset:12504
	s_waitcnt lgkmcnt(0)
	v_mul_f32_e32 v35, v34, v32
	v_mul_f32_e32 v32, v33, v32
	v_fma_f32 v33, v33, v31, -v35
	v_fmac_f32_e32 v32, v34, v31
	v_add_f32_e32 v10, v10, v33
	v_add_f32_e32 v11, v11, v32
.LBB153_449:
	s_or_b64 exec, exec, s[20:21]
	v_xor_b32_e32 v10, 0x80000000, v10
	v_xor_b32_e32 v11, 0x80000000, v11
.LBB153_450:
	s_or_b64 exec, exec, s[16:17]
	s_and_saveexec_b64 s[14:15], s[48:49]
; %bb.451:
	ds_write_b64 v18, v[10:11]
; %bb.452:
	s_or_b64 exec, exec, s[14:15]
	s_waitcnt lgkmcnt(0)
	s_barrier
	s_and_saveexec_b64 s[14:15], s[50:51]
	s_cbranch_execz .LBB153_454
; %bb.453:
	ds_read_b64 v[31:32], v16 offset:14560
	ds_read_b64 v[33:34], v18
	s_waitcnt lgkmcnt(0)
	v_mul_f32_e32 v35, v34, v32
	v_mul_f32_e32 v32, v33, v32
	v_fma_f32 v33, v33, v31, -v35
	v_fmac_f32_e32 v32, v34, v31
	v_add_f32_e32 v10, v10, v33
	v_add_f32_e32 v11, v11, v32
.LBB153_454:
	s_or_b64 exec, exec, s[14:15]
	s_barrier
	s_and_saveexec_b64 s[14:15], s[52:53]
; %bb.455:
	ds_write_b64 v18, v[10:11]
; %bb.456:
	s_or_b64 exec, exec, s[14:15]
	s_waitcnt lgkmcnt(0)
	s_barrier
	s_and_saveexec_b64 s[14:15], s[54:55]
	s_cbranch_execz .LBB153_458
; %bb.457:
	ds_read_b64 v[31:32], v16 offset:15072
	ds_read_b64 v[33:34], v18
	s_waitcnt lgkmcnt(0)
	v_mul_f32_e32 v35, v34, v32
	v_mul_f32_e32 v32, v33, v32
	v_fma_f32 v33, v33, v31, -v35
	v_fmac_f32_e32 v32, v34, v31
	v_add_f32_e32 v10, v10, v33
	v_add_f32_e32 v11, v11, v32
.LBB153_458:
	s_or_b64 exec, exec, s[14:15]
	s_barrier
	s_and_saveexec_b64 s[14:15], s[56:57]
; %bb.459:
	ds_write_b64 v18, v[10:11]
; %bb.460:
	s_or_b64 exec, exec, s[14:15]
	s_waitcnt lgkmcnt(0)
	s_barrier
	s_and_saveexec_b64 s[14:15], s[46:47]
	s_cbranch_execz .LBB153_462
; %bb.461:
	v_mov_b32_e32 v31, 0
	ds_read_b64 v[31:32], v31 offset:15608
	ds_read_b64 v[33:34], v18
	s_waitcnt lgkmcnt(0)
	v_mul_f32_e32 v35, v34, v32
	v_mul_f32_e32 v32, v33, v32
	v_fma_f32 v33, v33, v31, -v35
	v_fmac_f32_e32 v32, v34, v31
	v_add_f32_e32 v10, v10, v33
	v_add_f32_e32 v11, v11, v32
.LBB153_462:
	s_or_b64 exec, exec, s[14:15]
	s_barrier
	s_and_saveexec_b64 s[14:15], s[46:47]
; %bb.463:
	ds_write_b64 v18, v[10:11]
; %bb.464:
	s_or_b64 exec, exec, s[14:15]
	s_waitcnt lgkmcnt(0)
	s_barrier
	s_barrier
	s_and_saveexec_b64 s[14:15], s[18:19]
; %bb.465:
	v_xor_b32_e32 v10, 0x80000000, v10
	v_xor_b32_e32 v11, 0x80000000, v11
	ds_write_b64 v15, v[10:11] offset:12512
; %bb.466:
	s_or_b64 exec, exec, s[14:15]
	s_waitcnt lgkmcnt(0)
	s_barrier
	s_barrier
	s_and_saveexec_b64 s[14:15], s[58:59]
	s_cbranch_execz .LBB153_468
; %bb.467:
	v_lshlrev_b32_e32 v31, 9, v0
	ds_read_b64 v[10:11], v31 offset:12512
	s_movk_i32 s16, 0xfe08
	v_mad_i32_i24 v32, v0, s16, v31
	s_waitcnt lgkmcnt(0)
	ds_write_b64 v32, v[10:11] offset:14528
	ds_read_b64 v[10:11], v31 offset:12520
	s_waitcnt lgkmcnt(0)
	ds_write_b64 v32, v[10:11] offset:15040
	ds_read_b64 v[10:11], v31 offset:12528
	;; [unrolled: 3-line block ×3, first 2 shown]
	s_waitcnt lgkmcnt(0)
	ds_write_b64 v32, v[10:11] offset:16064
.LBB153_468:
	s_or_b64 exec, exec, s[14:15]
	s_waitcnt lgkmcnt(0)
	s_barrier
	s_and_saveexec_b64 s[14:15], vcc
	s_cbranch_execz .LBB153_470
; %bb.469:
	v_mov_b32_e32 v33, 0
	ds_read_b64 v[10:11], v33 offset:14568
	s_mov_b64 s[16:17], 0x3f800000
	v_mov_b32_e32 v32, s17
	v_mov_b32_e32 v31, s16
	s_movk_i32 s16, 0xe0
	ds_write_b64 v33, v[31:32] offset:15080
	v_add_u32_e64 v33, s16, 0
	s_waitcnt lgkmcnt(1)
	ds_write2st64_b64 v33, v[31:32], v[10:11] offset0:28 offset1:29
.LBB153_470:
	s_or_b64 exec, exec, s[14:15]
	v_mov_b32_e32 v11, 0
	v_mov_b32_e32 v10, 0
	s_waitcnt lgkmcnt(0)
	s_barrier
	s_and_saveexec_b64 s[16:17], s[2:3]
	s_cbranch_execz .LBB153_474
; %bb.471:
	v_mul_u32_u24_e32 v31, 0x208, v14
	ds_read_b64 v[10:11], v12 offset:14576
	ds_read_b64 v[31:32], v31 offset:14560
	v_cmp_gt_u32_e64 s[14:15], 2, v17
	s_waitcnt lgkmcnt(0)
	v_mul_f32_e32 v33, v32, v11
	v_mul_f32_e32 v11, v31, v11
	v_fma_f32 v31, v31, v10, -v33
	v_fmac_f32_e32 v11, v32, v10
	v_add_f32_e32 v10, 0, v31
	v_add_f32_e32 v11, 0, v11
	s_and_saveexec_b64 s[20:21], s[14:15]
	s_cbranch_execz .LBB153_473
; %bb.472:
	v_lshlrev_b32_e32 v31, 3, v0
	v_mov_b32_e32 v33, 0
	ds_read_b64 v[31:32], v31 offset:15088
	ds_read_b64 v[33:34], v33 offset:14568
	s_waitcnt lgkmcnt(0)
	v_mul_f32_e32 v35, v34, v32
	v_mul_f32_e32 v32, v33, v32
	v_fma_f32 v33, v33, v31, -v35
	v_fmac_f32_e32 v32, v34, v31
	v_add_f32_e32 v10, v10, v33
	v_add_f32_e32 v11, v11, v32
.LBB153_473:
	s_or_b64 exec, exec, s[20:21]
	v_xor_b32_e32 v10, 0x80000000, v10
	v_xor_b32_e32 v11, 0x80000000, v11
.LBB153_474:
	s_or_b64 exec, exec, s[16:17]
	s_and_saveexec_b64 s[14:15], s[42:43]
; %bb.475:
	ds_write_b64 v13, v[10:11]
; %bb.476:
	s_or_b64 exec, exec, s[14:15]
	s_waitcnt lgkmcnt(0)
	s_barrier
	s_and_saveexec_b64 s[14:15], s[40:41]
	s_cbranch_execz .LBB153_478
; %bb.477:
	v_mov_b32_e32 v31, 0
	ds_read_b64 v[31:32], v31 offset:15608
	ds_read_b64 v[33:34], v13
	s_waitcnt lgkmcnt(0)
	v_mul_f32_e32 v35, v34, v32
	v_mul_f32_e32 v32, v33, v32
	v_fma_f32 v33, v33, v31, -v35
	v_fmac_f32_e32 v32, v34, v31
	v_add_f32_e32 v10, v10, v33
	v_add_f32_e32 v11, v11, v32
.LBB153_478:
	s_or_b64 exec, exec, s[14:15]
	s_barrier
	s_and_saveexec_b64 s[14:15], s[40:41]
; %bb.479:
	ds_write_b64 v13, v[10:11]
; %bb.480:
	s_or_b64 exec, exec, s[14:15]
	s_waitcnt lgkmcnt(0)
	s_barrier
	s_barrier
	s_and_saveexec_b64 s[14:15], s[2:3]
; %bb.481:
	v_xor_b32_e32 v11, 0x80000000, v11
	v_xor_b32_e32 v10, 0x80000000, v10
	ds_write_b64 v12, v[10:11] offset:14576
; %bb.482:
	s_or_b64 exec, exec, s[14:15]
	s_waitcnt lgkmcnt(0)
	s_barrier
	s_barrier
	s_and_saveexec_b64 s[14:15], s[44:45]
	s_cbranch_execz .LBB153_484
; %bb.483:
	v_lshlrev_b32_e32 v31, 3, v0
	s_movk_i32 s16, 0x1f8
	v_mad_u32_u24 v32, v0, s16, v31
	ds_read_b64 v[10:11], v32 offset:14576
	s_waitcnt lgkmcnt(0)
	ds_write_b64 v31, v[10:11] offset:15584
	ds_read_b64 v[10:11], v32 offset:14584
	s_waitcnt lgkmcnt(0)
	ds_write_b64 v31, v[10:11] offset:16096
.LBB153_484:
	s_or_b64 exec, exec, s[14:15]
	s_waitcnt lgkmcnt(0)
	s_barrier
	s_and_saveexec_b64 s[14:15], vcc
	s_cbranch_execz .LBB153_486
; %bb.485:
	v_mov_b32_e32 v33, 0
	ds_read_b64 v[10:11], v33 offset:15608
	s_mov_b64 s[16:17], 0x3f800000
	v_mov_b32_e32 v32, s17
	v_mov_b32_e32 v31, s16
	s_movk_i32 s16, 0xf0
	ds_write_b64 v33, v[31:32] offset:16120
	v_add_u32_e64 v33, s16, 0
	s_waitcnt lgkmcnt(1)
	ds_write2st64_b64 v33, v[31:32], v[10:11] offset0:30 offset1:31
.LBB153_486:
	s_or_b64 exec, exec, s[14:15]
	s_movk_i32 s14, 0x3ff
	v_lshrrev_b32_e32 v33, 5, v17
	v_cmp_lt_u32_e64 s[16:17], s14, v17
	s_movk_i32 s14, 0x400
	v_mov_b32_e32 v11, 0
	v_and_b32_e32 v31, 31, v0
	v_cmp_gt_u32_e64 s[14:15], s14, v17
	v_lshlrev_b32_e32 v32, 9, v33
	v_mov_b32_e32 v10, v11
	s_waitcnt lgkmcnt(0)
	s_barrier
	s_and_saveexec_b64 s[94:95], s[14:15]
	s_cbranch_execz .LBB153_548
; %bb.487:
	v_lshlrev_b32_e32 v34, 3, v31
	v_add_u32_e32 v36, v34, v32
	v_mul_u32_u24_e32 v35, 0x208, v33
	ds_read_b64 v[10:11], v36 offset:256
	ds_read_b64 v[37:38], v35
	s_movk_i32 s20, 0x3e0
	v_cmp_gt_u32_e64 s[20:21], s20, v17
	s_waitcnt lgkmcnt(0)
	v_mul_f32_e32 v39, v38, v11
	v_mul_f32_e32 v11, v37, v11
	v_fma_f32 v37, v37, v10, -v39
	v_fmac_f32_e32 v11, v38, v10
	v_add_f32_e32 v10, 0, v37
	v_add_f32_e32 v11, 0, v11
	s_and_saveexec_b64 s[92:93], s[20:21]
	s_cbranch_execz .LBB153_489
; %bb.488:
	ds_read_b64 v[37:38], v36 offset:768
	ds_read_b64 v[39:40], v35 offset:8
	s_waitcnt lgkmcnt(0)
	v_mul_f32_e32 v41, v40, v38
	v_mul_f32_e32 v38, v39, v38
	v_fma_f32 v39, v39, v37, -v41
	v_fmac_f32_e32 v38, v40, v37
	v_add_f32_e32 v10, v10, v39
	v_add_f32_e32 v11, v11, v38
.LBB153_489:
	s_or_b64 exec, exec, s[92:93]
	s_movk_i32 s20, 0x3c0
	v_cmp_gt_u32_e64 s[20:21], s20, v17
	s_and_saveexec_b64 s[92:93], s[20:21]
	s_cbranch_execz .LBB153_491
; %bb.490:
	ds_read_b64 v[37:38], v36 offset:1280
	ds_read_b64 v[39:40], v35 offset:16
	s_waitcnt lgkmcnt(0)
	v_mul_f32_e32 v41, v40, v38
	v_mul_f32_e32 v38, v39, v38
	v_fma_f32 v39, v39, v37, -v41
	v_fmac_f32_e32 v38, v40, v37
	v_add_f32_e32 v10, v10, v39
	v_add_f32_e32 v11, v11, v38
.LBB153_491:
	s_or_b64 exec, exec, s[92:93]
	s_movk_i32 s20, 0x3a0
	v_cmp_gt_u32_e64 s[20:21], s20, v17
	;; [unrolled: 16-line block ×28, first 2 shown]
	s_and_saveexec_b64 s[92:93], s[20:21]
	s_cbranch_execnz .LBB153_1083
; %bb.544:
	s_or_b64 exec, exec, s[92:93]
	v_cmp_gt_u32_e64 s[20:21], 64, v17
	s_and_saveexec_b64 s[92:93], s[20:21]
	s_cbranch_execnz .LBB153_1084
.LBB153_545:
	s_or_b64 exec, exec, s[92:93]
	v_cmp_gt_u32_e64 s[20:21], 32, v17
	s_and_saveexec_b64 s[92:93], s[20:21]
	s_cbranch_execz .LBB153_547
.LBB153_546:
	ds_read_b64 v[36:37], v34 offset:16128
	ds_read_b64 v[34:35], v35 offset:248
	s_waitcnt lgkmcnt(0)
	v_mul_f32_e32 v38, v35, v37
	v_mul_f32_e32 v37, v34, v37
	v_fma_f32 v34, v34, v36, -v38
	v_fmac_f32_e32 v37, v35, v36
	v_add_f32_e32 v10, v10, v34
	v_add_f32_e32 v11, v11, v37
.LBB153_547:
	s_or_b64 exec, exec, s[92:93]
	v_xor_b32_e32 v10, 0x80000000, v10
	v_xor_b32_e32 v11, 0x80000000, v11
.LBB153_548:
	s_or_b64 exec, exec, s[94:95]
	v_mov_b32_e32 v34, 0x8000
	v_lshl_or_b32 v33, v33, 3, v34
	v_mov_b32_e32 v34, 0x4100
	v_lshl_or_b32 v34, v31, 3, v34
	s_mov_b32 s92, 0
	s_xor_b64 s[20:21], s[16:17], -1
	v_mov_b32_e32 v35, v31
	s_branch .LBB153_550
.LBB153_549:                            ;   in Loop: Header=BB153_550 Depth=1
	s_or_b64 exec, exec, s[16:17]
	s_add_i32 s92, s92, 2
	v_add_u32_e32 v34, 0x400, v34
	s_cmp_eq_u32 s92, 32
	v_add_u32_e32 v35, -2, v35
	s_barrier
	s_cbranch_scc1 .LBB153_558
.LBB153_550:                            ; =>This Inner Loop Header: Depth=1
	v_cmp_eq_u32_e64 s[16:17], 0, v35
	s_and_b64 s[94:95], s[20:21], s[16:17]
	s_and_saveexec_b64 s[16:17], s[94:95]
; %bb.551:                              ;   in Loop: Header=BB153_550 Depth=1
	ds_write_b64 v33, v[10:11]
; %bb.552:                              ;   in Loop: Header=BB153_550 Depth=1
	s_or_b64 exec, exec, s[16:17]
	v_cmp_lt_u32_e64 s[16:17], s92, v31
	s_and_b64 s[94:95], s[20:21], s[16:17]
	s_waitcnt lgkmcnt(0)
	s_barrier
	s_and_saveexec_b64 s[16:17], s[94:95]
	s_cbranch_execz .LBB153_554
; %bb.553:                              ;   in Loop: Header=BB153_550 Depth=1
	ds_read_b64 v[36:37], v34
	ds_read_b64 v[38:39], v33
	s_waitcnt lgkmcnt(0)
	v_mul_f32_e32 v40, v39, v37
	v_mul_f32_e32 v37, v38, v37
	v_fma_f32 v38, v38, v36, -v40
	v_fmac_f32_e32 v37, v39, v36
	v_add_f32_e32 v10, v10, v38
	v_add_f32_e32 v11, v11, v37
.LBB153_554:                            ;   in Loop: Header=BB153_550 Depth=1
	s_or_b64 exec, exec, s[16:17]
	s_or_b32 s93, s92, 1
	v_cmp_eq_u32_e64 s[16:17], s93, v31
	s_and_b64 s[94:95], s[20:21], s[16:17]
	s_barrier
	s_and_saveexec_b64 s[16:17], s[94:95]
; %bb.555:                              ;   in Loop: Header=BB153_550 Depth=1
	ds_write_b64 v33, v[10:11]
; %bb.556:                              ;   in Loop: Header=BB153_550 Depth=1
	s_or_b64 exec, exec, s[16:17]
	v_cmp_lt_u32_e64 s[16:17], s93, v31
	s_and_b64 s[94:95], s[20:21], s[16:17]
	s_waitcnt lgkmcnt(0)
	s_barrier
	s_and_saveexec_b64 s[16:17], s[94:95]
	s_cbranch_execz .LBB153_549
; %bb.557:                              ;   in Loop: Header=BB153_550 Depth=1
	ds_read_b64 v[36:37], v34 offset:512
	ds_read_b64 v[38:39], v33
	s_waitcnt lgkmcnt(0)
	v_mul_f32_e32 v40, v39, v37
	v_mul_f32_e32 v37, v38, v37
	v_fma_f32 v38, v38, v36, -v40
	v_fmac_f32_e32 v37, v39, v36
	v_add_f32_e32 v10, v10, v38
	v_add_f32_e32 v11, v11, v37
	s_branch .LBB153_549
.LBB153_558:
	s_and_saveexec_b64 s[16:17], s[14:15]
; %bb.559:
	v_lshl_add_u32 v31, v31, 3, v32
	v_xor_b32_e32 v11, 0x80000000, v11
	v_xor_b32_e32 v10, 0x80000000, v10
	ds_write_b64 v31, v[10:11] offset:256
; %bb.560:
	s_or_b64 exec, exec, s[16:17]
	v_cmp_gt_u32_e64 s[14:15], 32, v0
	s_and_b64 s[14:15], s[12:13], s[14:15]
	s_waitcnt lgkmcnt(0)
	s_barrier
	s_barrier
	s_and_saveexec_b64 s[12:13], s[14:15]
	s_cbranch_execz .LBB153_562
; %bb.561:
	v_lshlrev_b32_e32 v31, 9, v0
	ds_read_b64 v[10:11], v31 offset:256
	s_movk_i32 s14, 0xfe08
	v_mad_i32_i24 v32, v0, s14, v31
	s_waitcnt lgkmcnt(0)
	ds_write_b64 v32, v[10:11] offset:16384
	ds_read_b64 v[10:11], v31 offset:264
	s_waitcnt lgkmcnt(0)
	ds_write_b64 v32, v[10:11] offset:16896
	ds_read_b64 v[10:11], v31 offset:272
	;; [unrolled: 3-line block ×31, first 2 shown]
	s_waitcnt lgkmcnt(0)
	ds_write_b64 v32, v[10:11] offset:32256
.LBB153_562:
	s_or_b64 exec, exec, s[12:13]
	s_waitcnt lgkmcnt(0)
	s_barrier
	s_and_saveexec_b64 s[12:13], vcc
	s_cbranch_execz .LBB153_564
; %bb.563:
	v_mov_b32_e32 v33, 0
	ds_read_b64 v[10:11], v33 offset:16648
	s_mov_b64 s[14:15], 0x3f800000
	v_mov_b32_e32 v32, s15
	v_mov_b32_e32 v31, s14
	s_movk_i32 s14, 0x100
	ds_write_b64 v33, v[31:32] offset:17160
	v_add_u32_e64 v33, s14, 0
	s_waitcnt lgkmcnt(1)
	ds_write2st64_b64 v33, v[31:32], v[10:11] offset0:32 offset1:33
.LBB153_564:
	s_or_b64 exec, exec, s[12:13]
	v_mov_b32_e32 v11, 0
	v_mov_b32_e32 v10, 0
	s_waitcnt lgkmcnt(0)
	s_barrier
	s_and_saveexec_b64 s[14:15], s[2:3]
	s_cbranch_execz .LBB153_568
; %bb.565:
	v_mul_u32_u24_e32 v31, 0x208, v14
	ds_read_b64 v[10:11], v12 offset:16656
	ds_read_b64 v[31:32], v31 offset:16640
	v_cmp_gt_u32_e64 s[12:13], 2, v17
	s_waitcnt lgkmcnt(0)
	v_mul_f32_e32 v33, v32, v11
	v_mul_f32_e32 v11, v31, v11
	v_fma_f32 v31, v31, v10, -v33
	v_fmac_f32_e32 v11, v32, v10
	v_add_f32_e32 v10, 0, v31
	v_add_f32_e32 v11, 0, v11
	s_and_saveexec_b64 s[16:17], s[12:13]
	s_cbranch_execz .LBB153_567
; %bb.566:
	v_lshlrev_b32_e32 v31, 3, v0
	v_mov_b32_e32 v33, 0
	ds_read_b64 v[31:32], v31 offset:17168
	ds_read_b64 v[33:34], v33 offset:16648
	s_waitcnt lgkmcnt(0)
	v_mul_f32_e32 v35, v34, v32
	v_mul_f32_e32 v32, v33, v32
	v_fma_f32 v33, v33, v31, -v35
	v_fmac_f32_e32 v32, v34, v31
	v_add_f32_e32 v10, v10, v33
	v_add_f32_e32 v11, v11, v32
.LBB153_567:
	s_or_b64 exec, exec, s[16:17]
	v_xor_b32_e32 v10, 0x80000000, v10
	v_xor_b32_e32 v11, 0x80000000, v11
.LBB153_568:
	s_or_b64 exec, exec, s[14:15]
	s_and_saveexec_b64 s[12:13], s[42:43]
; %bb.569:
	ds_write_b64 v13, v[10:11]
; %bb.570:
	s_or_b64 exec, exec, s[12:13]
	s_waitcnt lgkmcnt(0)
	s_barrier
	s_and_saveexec_b64 s[12:13], s[40:41]
	s_cbranch_execz .LBB153_572
; %bb.571:
	v_mov_b32_e32 v31, 0
	ds_read_b64 v[31:32], v31 offset:17688
	ds_read_b64 v[33:34], v13
	s_waitcnt lgkmcnt(0)
	v_mul_f32_e32 v35, v34, v32
	v_mul_f32_e32 v32, v33, v32
	v_fma_f32 v33, v33, v31, -v35
	v_fmac_f32_e32 v32, v34, v31
	v_add_f32_e32 v10, v10, v33
	v_add_f32_e32 v11, v11, v32
.LBB153_572:
	s_or_b64 exec, exec, s[12:13]
	s_barrier
	s_and_saveexec_b64 s[12:13], s[40:41]
; %bb.573:
	ds_write_b64 v13, v[10:11]
; %bb.574:
	s_or_b64 exec, exec, s[12:13]
	s_waitcnt lgkmcnt(0)
	s_barrier
	s_barrier
	s_and_saveexec_b64 s[12:13], s[2:3]
; %bb.575:
	v_xor_b32_e32 v11, 0x80000000, v11
	v_xor_b32_e32 v10, 0x80000000, v10
	ds_write_b64 v12, v[10:11] offset:16656
; %bb.576:
	s_or_b64 exec, exec, s[12:13]
	s_waitcnt lgkmcnt(0)
	s_barrier
	s_barrier
	s_and_saveexec_b64 s[12:13], s[44:45]
	s_cbranch_execz .LBB153_578
; %bb.577:
	v_lshlrev_b32_e32 v31, 3, v0
	s_movk_i32 s14, 0x1f8
	v_mad_u32_u24 v32, v0, s14, v31
	ds_read_b64 v[10:11], v32 offset:16656
	s_waitcnt lgkmcnt(0)
	ds_write_b64 v31, v[10:11] offset:17664
	ds_read_b64 v[10:11], v32 offset:16664
	s_waitcnt lgkmcnt(0)
	ds_write_b64 v31, v[10:11] offset:18176
.LBB153_578:
	s_or_b64 exec, exec, s[12:13]
	s_waitcnt lgkmcnt(0)
	s_barrier
	s_and_saveexec_b64 s[12:13], vcc
	s_cbranch_execz .LBB153_580
; %bb.579:
	v_mov_b32_e32 v33, 0
	ds_read_b64 v[10:11], v33 offset:17688
	s_mov_b64 s[14:15], 0x3f800000
	v_mov_b32_e32 v32, s15
	v_mov_b32_e32 v31, s14
	s_movk_i32 s14, 0x110
	ds_write_b64 v33, v[31:32] offset:18200
	v_add_u32_e64 v33, s14, 0
	s_waitcnt lgkmcnt(1)
	ds_write2st64_b64 v33, v[31:32], v[10:11] offset0:34 offset1:35
.LBB153_580:
	s_or_b64 exec, exec, s[12:13]
	v_mov_b32_e32 v11, 0
	v_mov_b32_e32 v10, 0
	s_waitcnt lgkmcnt(0)
	s_barrier
	s_and_saveexec_b64 s[14:15], s[18:19]
	s_cbranch_execz .LBB153_586
; %bb.581:
	v_mul_u32_u24_e32 v31, 0x208, v20
	ds_read_b64 v[10:11], v15 offset:16672
	ds_read_b64 v[32:33], v31 offset:16640
	v_cmp_gt_u32_e64 s[12:13], 12, v17
	s_waitcnt lgkmcnt(0)
	v_mul_f32_e32 v34, v33, v11
	v_mul_f32_e32 v11, v32, v11
	v_fma_f32 v32, v32, v10, -v34
	v_fmac_f32_e32 v11, v33, v10
	v_add_f32_e32 v10, 0, v32
	v_add_f32_e32 v11, 0, v11
	s_and_saveexec_b64 s[16:17], s[12:13]
	s_cbranch_execnz .LBB153_1085
; %bb.582:
	s_or_b64 exec, exec, s[16:17]
	v_cmp_gt_u32_e64 s[12:13], 8, v17
	s_and_saveexec_b64 s[16:17], s[12:13]
	s_cbranch_execnz .LBB153_1086
.LBB153_583:
	s_or_b64 exec, exec, s[16:17]
	v_cmp_gt_u32_e64 s[12:13], 4, v17
	s_and_saveexec_b64 s[16:17], s[12:13]
	s_cbranch_execz .LBB153_585
.LBB153_584:
	v_lshlrev_b32_e32 v31, 3, v0
	v_mov_b32_e32 v33, 0
	ds_read_b64 v[31:32], v31 offset:18208
	ds_read_b64 v[33:34], v33 offset:16664
	s_waitcnt lgkmcnt(0)
	v_mul_f32_e32 v35, v34, v32
	v_mul_f32_e32 v32, v33, v32
	v_fma_f32 v33, v33, v31, -v35
	v_fmac_f32_e32 v32, v34, v31
	v_add_f32_e32 v10, v10, v33
	v_add_f32_e32 v11, v11, v32
.LBB153_585:
	s_or_b64 exec, exec, s[16:17]
	v_xor_b32_e32 v10, 0x80000000, v10
	v_xor_b32_e32 v11, 0x80000000, v11
.LBB153_586:
	s_or_b64 exec, exec, s[14:15]
	s_and_saveexec_b64 s[12:13], s[48:49]
; %bb.587:
	ds_write_b64 v18, v[10:11]
; %bb.588:
	s_or_b64 exec, exec, s[12:13]
	s_waitcnt lgkmcnt(0)
	s_barrier
	s_and_saveexec_b64 s[12:13], s[50:51]
	s_cbranch_execz .LBB153_590
; %bb.589:
	ds_read_b64 v[31:32], v16 offset:18720
	ds_read_b64 v[33:34], v18
	s_waitcnt lgkmcnt(0)
	v_mul_f32_e32 v35, v34, v32
	v_mul_f32_e32 v32, v33, v32
	v_fma_f32 v33, v33, v31, -v35
	v_fmac_f32_e32 v32, v34, v31
	v_add_f32_e32 v10, v10, v33
	v_add_f32_e32 v11, v11, v32
.LBB153_590:
	s_or_b64 exec, exec, s[12:13]
	s_barrier
	s_and_saveexec_b64 s[12:13], s[52:53]
; %bb.591:
	ds_write_b64 v18, v[10:11]
; %bb.592:
	s_or_b64 exec, exec, s[12:13]
	s_waitcnt lgkmcnt(0)
	s_barrier
	s_and_saveexec_b64 s[12:13], s[54:55]
	s_cbranch_execz .LBB153_594
; %bb.593:
	ds_read_b64 v[31:32], v16 offset:19232
	ds_read_b64 v[33:34], v18
	s_waitcnt lgkmcnt(0)
	v_mul_f32_e32 v35, v34, v32
	v_mul_f32_e32 v32, v33, v32
	v_fma_f32 v33, v33, v31, -v35
	v_fmac_f32_e32 v32, v34, v31
	v_add_f32_e32 v10, v10, v33
	v_add_f32_e32 v11, v11, v32
.LBB153_594:
	s_or_b64 exec, exec, s[12:13]
	s_barrier
	s_and_saveexec_b64 s[12:13], s[56:57]
; %bb.595:
	ds_write_b64 v18, v[10:11]
; %bb.596:
	s_or_b64 exec, exec, s[12:13]
	s_waitcnt lgkmcnt(0)
	s_barrier
	s_and_saveexec_b64 s[12:13], s[46:47]
	s_cbranch_execz .LBB153_598
; %bb.597:
	v_mov_b32_e32 v31, 0
	ds_read_b64 v[31:32], v31 offset:19768
	ds_read_b64 v[33:34], v18
	s_waitcnt lgkmcnt(0)
	v_mul_f32_e32 v35, v34, v32
	v_mul_f32_e32 v32, v33, v32
	v_fma_f32 v33, v33, v31, -v35
	v_fmac_f32_e32 v32, v34, v31
	v_add_f32_e32 v10, v10, v33
	v_add_f32_e32 v11, v11, v32
.LBB153_598:
	s_or_b64 exec, exec, s[12:13]
	s_barrier
	s_and_saveexec_b64 s[12:13], s[46:47]
; %bb.599:
	ds_write_b64 v18, v[10:11]
; %bb.600:
	s_or_b64 exec, exec, s[12:13]
	s_waitcnt lgkmcnt(0)
	s_barrier
	s_barrier
	s_and_saveexec_b64 s[12:13], s[18:19]
; %bb.601:
	v_xor_b32_e32 v10, 0x80000000, v10
	v_xor_b32_e32 v11, 0x80000000, v11
	ds_write_b64 v15, v[10:11] offset:16672
; %bb.602:
	s_or_b64 exec, exec, s[12:13]
	s_waitcnt lgkmcnt(0)
	s_barrier
	s_barrier
	s_and_saveexec_b64 s[12:13], s[58:59]
	s_cbranch_execz .LBB153_604
; %bb.603:
	v_lshlrev_b32_e32 v31, 9, v0
	ds_read_b64 v[10:11], v31 offset:16672
	s_movk_i32 s14, 0xfe08
	v_mad_i32_i24 v32, v0, s14, v31
	s_waitcnt lgkmcnt(0)
	ds_write_b64 v32, v[10:11] offset:18688
	ds_read_b64 v[10:11], v31 offset:16680
	s_waitcnt lgkmcnt(0)
	ds_write_b64 v32, v[10:11] offset:19200
	ds_read_b64 v[10:11], v31 offset:16688
	;; [unrolled: 3-line block ×3, first 2 shown]
	s_waitcnt lgkmcnt(0)
	ds_write_b64 v32, v[10:11] offset:20224
.LBB153_604:
	s_or_b64 exec, exec, s[12:13]
	s_waitcnt lgkmcnt(0)
	s_barrier
	s_and_saveexec_b64 s[12:13], vcc
	s_cbranch_execz .LBB153_606
; %bb.605:
	v_mov_b32_e32 v33, 0
	ds_read_b64 v[10:11], v33 offset:18728
	s_mov_b64 s[14:15], 0x3f800000
	v_mov_b32_e32 v32, s15
	v_mov_b32_e32 v31, s14
	s_movk_i32 s14, 0x120
	ds_write_b64 v33, v[31:32] offset:19240
	v_add_u32_e64 v33, s14, 0
	s_waitcnt lgkmcnt(1)
	ds_write2st64_b64 v33, v[31:32], v[10:11] offset0:36 offset1:37
.LBB153_606:
	s_or_b64 exec, exec, s[12:13]
	v_mov_b32_e32 v11, 0
	v_mov_b32_e32 v10, 0
	s_waitcnt lgkmcnt(0)
	s_barrier
	s_and_saveexec_b64 s[14:15], s[2:3]
	s_cbranch_execz .LBB153_610
; %bb.607:
	v_mul_u32_u24_e32 v31, 0x208, v14
	ds_read_b64 v[10:11], v12 offset:18736
	ds_read_b64 v[31:32], v31 offset:18720
	v_cmp_gt_u32_e64 s[12:13], 2, v17
	s_waitcnt lgkmcnt(0)
	v_mul_f32_e32 v33, v32, v11
	v_mul_f32_e32 v11, v31, v11
	v_fma_f32 v31, v31, v10, -v33
	v_fmac_f32_e32 v11, v32, v10
	v_add_f32_e32 v10, 0, v31
	v_add_f32_e32 v11, 0, v11
	s_and_saveexec_b64 s[16:17], s[12:13]
	s_cbranch_execz .LBB153_609
; %bb.608:
	v_lshlrev_b32_e32 v31, 3, v0
	v_mov_b32_e32 v33, 0
	ds_read_b64 v[31:32], v31 offset:19248
	ds_read_b64 v[33:34], v33 offset:18728
	s_waitcnt lgkmcnt(0)
	v_mul_f32_e32 v35, v34, v32
	v_mul_f32_e32 v32, v33, v32
	v_fma_f32 v33, v33, v31, -v35
	v_fmac_f32_e32 v32, v34, v31
	v_add_f32_e32 v10, v10, v33
	v_add_f32_e32 v11, v11, v32
.LBB153_609:
	s_or_b64 exec, exec, s[16:17]
	v_xor_b32_e32 v10, 0x80000000, v10
	v_xor_b32_e32 v11, 0x80000000, v11
.LBB153_610:
	s_or_b64 exec, exec, s[14:15]
	s_and_saveexec_b64 s[12:13], s[42:43]
; %bb.611:
	ds_write_b64 v13, v[10:11]
; %bb.612:
	s_or_b64 exec, exec, s[12:13]
	s_waitcnt lgkmcnt(0)
	s_barrier
	s_and_saveexec_b64 s[12:13], s[40:41]
	s_cbranch_execz .LBB153_614
; %bb.613:
	v_mov_b32_e32 v31, 0
	ds_read_b64 v[31:32], v31 offset:19768
	ds_read_b64 v[33:34], v13
	s_waitcnt lgkmcnt(0)
	v_mul_f32_e32 v35, v34, v32
	v_mul_f32_e32 v32, v33, v32
	v_fma_f32 v33, v33, v31, -v35
	v_fmac_f32_e32 v32, v34, v31
	v_add_f32_e32 v10, v10, v33
	v_add_f32_e32 v11, v11, v32
.LBB153_614:
	s_or_b64 exec, exec, s[12:13]
	s_barrier
	s_and_saveexec_b64 s[12:13], s[40:41]
; %bb.615:
	ds_write_b64 v13, v[10:11]
; %bb.616:
	s_or_b64 exec, exec, s[12:13]
	s_waitcnt lgkmcnt(0)
	s_barrier
	s_barrier
	s_and_saveexec_b64 s[12:13], s[2:3]
; %bb.617:
	v_xor_b32_e32 v11, 0x80000000, v11
	v_xor_b32_e32 v10, 0x80000000, v10
	ds_write_b64 v12, v[10:11] offset:18736
; %bb.618:
	s_or_b64 exec, exec, s[12:13]
	s_waitcnt lgkmcnt(0)
	s_barrier
	s_barrier
	s_and_saveexec_b64 s[12:13], s[44:45]
	s_cbranch_execz .LBB153_620
; %bb.619:
	v_lshlrev_b32_e32 v31, 3, v0
	s_movk_i32 s14, 0x1f8
	v_mad_u32_u24 v32, v0, s14, v31
	ds_read_b64 v[10:11], v32 offset:18736
	s_waitcnt lgkmcnt(0)
	ds_write_b64 v31, v[10:11] offset:19744
	ds_read_b64 v[10:11], v32 offset:18744
	s_waitcnt lgkmcnt(0)
	ds_write_b64 v31, v[10:11] offset:20256
.LBB153_620:
	s_or_b64 exec, exec, s[12:13]
	s_waitcnt lgkmcnt(0)
	s_barrier
	s_and_saveexec_b64 s[12:13], vcc
	s_cbranch_execz .LBB153_622
; %bb.621:
	v_mov_b32_e32 v33, 0
	ds_read_b64 v[10:11], v33 offset:19768
	s_mov_b64 s[14:15], 0x3f800000
	v_mov_b32_e32 v32, s15
	v_mov_b32_e32 v31, s14
	s_movk_i32 s14, 0x130
	ds_write_b64 v33, v[31:32] offset:20280
	v_add_u32_e64 v33, s14, 0
	s_waitcnt lgkmcnt(1)
	ds_write2st64_b64 v33, v[31:32], v[10:11] offset0:38 offset1:39
.LBB153_622:
	s_or_b64 exec, exec, s[12:13]
	v_mov_b32_e32 v11, 0
	v_mov_b32_e32 v10, 0
	s_waitcnt lgkmcnt(0)
	s_barrier
	s_and_saveexec_b64 s[14:15], s[8:9]
	s_cbranch_execz .LBB153_632
; %bb.623:
	v_mul_u32_u24_e32 v31, 0x208, v25
	ds_read_b64 v[10:11], v21 offset:16704
	ds_read_b64 v[32:33], v31 offset:16640
	v_cmp_gt_u32_e64 s[12:13], 56, v17
	s_waitcnt lgkmcnt(0)
	v_mul_f32_e32 v34, v33, v11
	v_mul_f32_e32 v11, v32, v11
	v_fma_f32 v32, v32, v10, -v34
	v_fmac_f32_e32 v11, v33, v10
	v_add_f32_e32 v10, 0, v32
	v_add_f32_e32 v11, 0, v11
	s_and_saveexec_b64 s[16:17], s[12:13]
	s_cbranch_execnz .LBB153_1087
; %bb.624:
	s_or_b64 exec, exec, s[16:17]
	v_cmp_gt_u32_e64 s[12:13], 48, v17
	s_and_saveexec_b64 s[16:17], s[12:13]
	s_cbranch_execnz .LBB153_1088
.LBB153_625:
	s_or_b64 exec, exec, s[16:17]
	v_cmp_gt_u32_e64 s[12:13], 40, v17
	s_and_saveexec_b64 s[16:17], s[12:13]
	s_cbranch_execnz .LBB153_1089
.LBB153_626:
	s_or_b64 exec, exec, s[16:17]
	v_cmp_gt_u32_e64 s[12:13], 32, v17
	s_and_saveexec_b64 s[16:17], s[12:13]
	s_cbranch_execnz .LBB153_1090
.LBB153_627:
	s_or_b64 exec, exec, s[16:17]
	v_cmp_gt_u32_e64 s[12:13], 24, v17
	s_and_saveexec_b64 s[16:17], s[12:13]
	s_cbranch_execnz .LBB153_1091
.LBB153_628:
	s_or_b64 exec, exec, s[16:17]
	v_cmp_gt_u32_e64 s[12:13], 16, v17
	s_and_saveexec_b64 s[16:17], s[12:13]
	s_cbranch_execnz .LBB153_1092
.LBB153_629:
	s_or_b64 exec, exec, s[16:17]
	v_cmp_gt_u32_e64 s[12:13], 8, v17
	s_and_saveexec_b64 s[16:17], s[12:13]
	s_cbranch_execz .LBB153_631
.LBB153_630:
	v_lshlrev_b32_e32 v31, 3, v0
	v_mov_b32_e32 v33, 0
	ds_read_b64 v[31:32], v31 offset:20288
	ds_read_b64 v[33:34], v33 offset:16696
	s_waitcnt lgkmcnt(0)
	v_mul_f32_e32 v35, v34, v32
	v_mul_f32_e32 v32, v33, v32
	v_fma_f32 v33, v33, v31, -v35
	v_fmac_f32_e32 v32, v34, v31
	v_add_f32_e32 v10, v10, v33
	v_add_f32_e32 v11, v11, v32
.LBB153_631:
	s_or_b64 exec, exec, s[16:17]
	v_xor_b32_e32 v10, 0x80000000, v10
	v_xor_b32_e32 v11, 0x80000000, v11
.LBB153_632:
	s_or_b64 exec, exec, s[14:15]
	s_and_saveexec_b64 s[12:13], s[62:63]
; %bb.633:
	ds_write_b64 v23, v[10:11]
; %bb.634:
	s_or_b64 exec, exec, s[12:13]
	s_waitcnt lgkmcnt(0)
	s_barrier
	s_and_saveexec_b64 s[12:13], s[64:65]
	s_cbranch_execz .LBB153_636
; %bb.635:
	ds_read_b64 v[31:32], v22 offset:20800
	ds_read_b64 v[33:34], v23
	s_waitcnt lgkmcnt(0)
	v_mul_f32_e32 v35, v34, v32
	v_mul_f32_e32 v32, v33, v32
	v_fma_f32 v33, v33, v31, -v35
	v_fmac_f32_e32 v32, v34, v31
	v_add_f32_e32 v10, v10, v33
	v_add_f32_e32 v11, v11, v32
.LBB153_636:
	s_or_b64 exec, exec, s[12:13]
	s_barrier
	s_and_saveexec_b64 s[12:13], s[66:67]
; %bb.637:
	ds_write_b64 v23, v[10:11]
; %bb.638:
	s_or_b64 exec, exec, s[12:13]
	s_waitcnt lgkmcnt(0)
	s_barrier
	s_and_saveexec_b64 s[12:13], s[68:69]
	s_cbranch_execz .LBB153_640
; %bb.639:
	ds_read_b64 v[31:32], v22 offset:21312
	ds_read_b64 v[33:34], v23
	s_waitcnt lgkmcnt(0)
	v_mul_f32_e32 v35, v34, v32
	v_mul_f32_e32 v32, v33, v32
	v_fma_f32 v33, v33, v31, -v35
	v_fmac_f32_e32 v32, v34, v31
	v_add_f32_e32 v10, v10, v33
	v_add_f32_e32 v11, v11, v32
.LBB153_640:
	s_or_b64 exec, exec, s[12:13]
	s_barrier
	;; [unrolled: 22-line block ×6, first 2 shown]
	s_and_saveexec_b64 s[12:13], s[86:87]
; %bb.657:
	ds_write_b64 v23, v[10:11]
; %bb.658:
	s_or_b64 exec, exec, s[12:13]
	s_waitcnt lgkmcnt(0)
	s_barrier
	s_and_saveexec_b64 s[12:13], s[60:61]
	s_cbranch_execz .LBB153_660
; %bb.659:
	v_mov_b32_e32 v31, 0
	ds_read_b64 v[31:32], v31 offset:23928
	ds_read_b64 v[33:34], v23
	s_waitcnt lgkmcnt(0)
	v_mul_f32_e32 v35, v34, v32
	v_mul_f32_e32 v32, v33, v32
	v_fma_f32 v33, v33, v31, -v35
	v_fmac_f32_e32 v32, v34, v31
	v_add_f32_e32 v10, v10, v33
	v_add_f32_e32 v11, v11, v32
.LBB153_660:
	s_or_b64 exec, exec, s[12:13]
	s_barrier
	s_and_saveexec_b64 s[12:13], s[60:61]
; %bb.661:
	ds_write_b64 v23, v[10:11]
; %bb.662:
	s_or_b64 exec, exec, s[12:13]
	s_waitcnt lgkmcnt(0)
	s_barrier
	s_barrier
	s_and_saveexec_b64 s[12:13], s[8:9]
; %bb.663:
	v_xor_b32_e32 v11, 0x80000000, v11
	v_xor_b32_e32 v10, 0x80000000, v10
	ds_write_b64 v21, v[10:11] offset:16704
; %bb.664:
	s_or_b64 exec, exec, s[12:13]
	s_waitcnt lgkmcnt(0)
	s_barrier
	s_barrier
	s_and_saveexec_b64 s[12:13], s[88:89]
	s_cbranch_execz .LBB153_666
; %bb.665:
	v_lshlrev_b32_e32 v31, 9, v0
	ds_read_b64 v[10:11], v31 offset:16704
	s_movk_i32 s14, 0xfe08
	v_mad_i32_i24 v32, v0, s14, v31
	s_waitcnt lgkmcnt(0)
	ds_write_b64 v32, v[10:11] offset:20736
	ds_read_b64 v[10:11], v31 offset:16712
	s_waitcnt lgkmcnt(0)
	ds_write_b64 v32, v[10:11] offset:21248
	ds_read_b64 v[10:11], v31 offset:16720
	;; [unrolled: 3-line block ×7, first 2 shown]
	s_waitcnt lgkmcnt(0)
	ds_write_b64 v32, v[10:11] offset:24320
.LBB153_666:
	s_or_b64 exec, exec, s[12:13]
	s_waitcnt lgkmcnt(0)
	s_barrier
	s_and_saveexec_b64 s[12:13], vcc
	s_cbranch_execz .LBB153_668
; %bb.667:
	v_mov_b32_e32 v33, 0
	ds_read_b64 v[10:11], v33 offset:20808
	s_mov_b64 s[14:15], 0x3f800000
	v_mov_b32_e32 v32, s15
	v_mov_b32_e32 v31, s14
	s_movk_i32 s14, 0x140
	ds_write_b64 v33, v[31:32] offset:21320
	v_add_u32_e64 v33, s14, 0
	s_waitcnt lgkmcnt(1)
	ds_write2st64_b64 v33, v[31:32], v[10:11] offset0:40 offset1:41
.LBB153_668:
	s_or_b64 exec, exec, s[12:13]
	v_mov_b32_e32 v11, 0
	v_mov_b32_e32 v10, 0
	s_waitcnt lgkmcnt(0)
	s_barrier
	s_and_saveexec_b64 s[14:15], s[2:3]
	s_cbranch_execz .LBB153_672
; %bb.669:
	v_mul_u32_u24_e32 v31, 0x208, v14
	ds_read_b64 v[10:11], v12 offset:20816
	ds_read_b64 v[31:32], v31 offset:20800
	v_cmp_gt_u32_e64 s[12:13], 2, v17
	s_waitcnt lgkmcnt(0)
	v_mul_f32_e32 v33, v32, v11
	v_mul_f32_e32 v11, v31, v11
	v_fma_f32 v31, v31, v10, -v33
	v_fmac_f32_e32 v11, v32, v10
	v_add_f32_e32 v10, 0, v31
	v_add_f32_e32 v11, 0, v11
	s_and_saveexec_b64 s[16:17], s[12:13]
	s_cbranch_execz .LBB153_671
; %bb.670:
	v_lshlrev_b32_e32 v31, 3, v0
	v_mov_b32_e32 v33, 0
	ds_read_b64 v[31:32], v31 offset:21328
	ds_read_b64 v[33:34], v33 offset:20808
	s_waitcnt lgkmcnt(0)
	v_mul_f32_e32 v35, v34, v32
	v_mul_f32_e32 v32, v33, v32
	v_fma_f32 v33, v33, v31, -v35
	v_fmac_f32_e32 v32, v34, v31
	v_add_f32_e32 v10, v10, v33
	v_add_f32_e32 v11, v11, v32
.LBB153_671:
	s_or_b64 exec, exec, s[16:17]
	v_xor_b32_e32 v10, 0x80000000, v10
	v_xor_b32_e32 v11, 0x80000000, v11
.LBB153_672:
	s_or_b64 exec, exec, s[14:15]
	s_and_saveexec_b64 s[12:13], s[42:43]
; %bb.673:
	ds_write_b64 v13, v[10:11]
; %bb.674:
	s_or_b64 exec, exec, s[12:13]
	s_waitcnt lgkmcnt(0)
	s_barrier
	s_and_saveexec_b64 s[12:13], s[40:41]
	s_cbranch_execz .LBB153_676
; %bb.675:
	v_mov_b32_e32 v31, 0
	ds_read_b64 v[31:32], v31 offset:21848
	ds_read_b64 v[33:34], v13
	s_waitcnt lgkmcnt(0)
	v_mul_f32_e32 v35, v34, v32
	v_mul_f32_e32 v32, v33, v32
	v_fma_f32 v33, v33, v31, -v35
	v_fmac_f32_e32 v32, v34, v31
	v_add_f32_e32 v10, v10, v33
	v_add_f32_e32 v11, v11, v32
.LBB153_676:
	s_or_b64 exec, exec, s[12:13]
	s_barrier
	s_and_saveexec_b64 s[12:13], s[40:41]
; %bb.677:
	ds_write_b64 v13, v[10:11]
; %bb.678:
	s_or_b64 exec, exec, s[12:13]
	s_waitcnt lgkmcnt(0)
	s_barrier
	s_barrier
	s_and_saveexec_b64 s[12:13], s[2:3]
; %bb.679:
	v_xor_b32_e32 v11, 0x80000000, v11
	v_xor_b32_e32 v10, 0x80000000, v10
	ds_write_b64 v12, v[10:11] offset:20816
; %bb.680:
	s_or_b64 exec, exec, s[12:13]
	s_waitcnt lgkmcnt(0)
	s_barrier
	s_barrier
	s_and_saveexec_b64 s[12:13], s[44:45]
	s_cbranch_execz .LBB153_682
; %bb.681:
	v_lshlrev_b32_e32 v31, 3, v0
	s_movk_i32 s14, 0x1f8
	v_mad_u32_u24 v32, v0, s14, v31
	ds_read_b64 v[10:11], v32 offset:20816
	s_waitcnt lgkmcnt(0)
	ds_write_b64 v31, v[10:11] offset:21824
	ds_read_b64 v[10:11], v32 offset:20824
	s_waitcnt lgkmcnt(0)
	ds_write_b64 v31, v[10:11] offset:22336
.LBB153_682:
	s_or_b64 exec, exec, s[12:13]
	s_waitcnt lgkmcnt(0)
	s_barrier
	s_and_saveexec_b64 s[12:13], vcc
	s_cbranch_execz .LBB153_684
; %bb.683:
	v_mov_b32_e32 v33, 0
	ds_read_b64 v[10:11], v33 offset:21848
	s_mov_b64 s[14:15], 0x3f800000
	v_mov_b32_e32 v32, s15
	v_mov_b32_e32 v31, s14
	s_movk_i32 s14, 0x150
	ds_write_b64 v33, v[31:32] offset:22360
	v_add_u32_e64 v33, s14, 0
	s_waitcnt lgkmcnt(1)
	ds_write2st64_b64 v33, v[31:32], v[10:11] offset0:42 offset1:43
.LBB153_684:
	s_or_b64 exec, exec, s[12:13]
	v_mov_b32_e32 v11, 0
	v_mov_b32_e32 v10, 0
	s_waitcnt lgkmcnt(0)
	s_barrier
	s_and_saveexec_b64 s[14:15], s[18:19]
	s_cbranch_execz .LBB153_690
; %bb.685:
	v_mul_u32_u24_e32 v31, 0x208, v20
	ds_read_b64 v[10:11], v15 offset:20832
	ds_read_b64 v[32:33], v31 offset:20800
	v_cmp_gt_u32_e64 s[12:13], 12, v17
	s_waitcnt lgkmcnt(0)
	v_mul_f32_e32 v34, v33, v11
	v_mul_f32_e32 v11, v32, v11
	v_fma_f32 v32, v32, v10, -v34
	v_fmac_f32_e32 v11, v33, v10
	v_add_f32_e32 v10, 0, v32
	v_add_f32_e32 v11, 0, v11
	s_and_saveexec_b64 s[16:17], s[12:13]
	s_cbranch_execnz .LBB153_1093
; %bb.686:
	s_or_b64 exec, exec, s[16:17]
	v_cmp_gt_u32_e64 s[12:13], 8, v17
	s_and_saveexec_b64 s[16:17], s[12:13]
	s_cbranch_execnz .LBB153_1094
.LBB153_687:
	s_or_b64 exec, exec, s[16:17]
	v_cmp_gt_u32_e64 s[12:13], 4, v17
	s_and_saveexec_b64 s[16:17], s[12:13]
	s_cbranch_execz .LBB153_689
.LBB153_688:
	v_lshlrev_b32_e32 v31, 3, v0
	v_mov_b32_e32 v33, 0
	ds_read_b64 v[31:32], v31 offset:22368
	ds_read_b64 v[33:34], v33 offset:20824
	s_waitcnt lgkmcnt(0)
	v_mul_f32_e32 v35, v34, v32
	v_mul_f32_e32 v32, v33, v32
	v_fma_f32 v33, v33, v31, -v35
	v_fmac_f32_e32 v32, v34, v31
	v_add_f32_e32 v10, v10, v33
	v_add_f32_e32 v11, v11, v32
.LBB153_689:
	s_or_b64 exec, exec, s[16:17]
	v_xor_b32_e32 v10, 0x80000000, v10
	v_xor_b32_e32 v11, 0x80000000, v11
.LBB153_690:
	s_or_b64 exec, exec, s[14:15]
	s_and_saveexec_b64 s[12:13], s[48:49]
; %bb.691:
	ds_write_b64 v18, v[10:11]
; %bb.692:
	s_or_b64 exec, exec, s[12:13]
	s_waitcnt lgkmcnt(0)
	s_barrier
	s_and_saveexec_b64 s[12:13], s[50:51]
	s_cbranch_execz .LBB153_694
; %bb.693:
	ds_read_b64 v[31:32], v16 offset:22880
	ds_read_b64 v[33:34], v18
	s_waitcnt lgkmcnt(0)
	v_mul_f32_e32 v35, v34, v32
	v_mul_f32_e32 v32, v33, v32
	v_fma_f32 v33, v33, v31, -v35
	v_fmac_f32_e32 v32, v34, v31
	v_add_f32_e32 v10, v10, v33
	v_add_f32_e32 v11, v11, v32
.LBB153_694:
	s_or_b64 exec, exec, s[12:13]
	s_barrier
	s_and_saveexec_b64 s[12:13], s[52:53]
; %bb.695:
	ds_write_b64 v18, v[10:11]
; %bb.696:
	s_or_b64 exec, exec, s[12:13]
	s_waitcnt lgkmcnt(0)
	s_barrier
	s_and_saveexec_b64 s[12:13], s[54:55]
	s_cbranch_execz .LBB153_698
; %bb.697:
	ds_read_b64 v[31:32], v16 offset:23392
	ds_read_b64 v[33:34], v18
	s_waitcnt lgkmcnt(0)
	v_mul_f32_e32 v35, v34, v32
	v_mul_f32_e32 v32, v33, v32
	v_fma_f32 v33, v33, v31, -v35
	v_fmac_f32_e32 v32, v34, v31
	v_add_f32_e32 v10, v10, v33
	v_add_f32_e32 v11, v11, v32
.LBB153_698:
	s_or_b64 exec, exec, s[12:13]
	s_barrier
	s_and_saveexec_b64 s[12:13], s[56:57]
; %bb.699:
	ds_write_b64 v18, v[10:11]
; %bb.700:
	s_or_b64 exec, exec, s[12:13]
	s_waitcnt lgkmcnt(0)
	s_barrier
	s_and_saveexec_b64 s[12:13], s[46:47]
	s_cbranch_execz .LBB153_702
; %bb.701:
	v_mov_b32_e32 v31, 0
	ds_read_b64 v[31:32], v31 offset:23928
	ds_read_b64 v[33:34], v18
	s_waitcnt lgkmcnt(0)
	v_mul_f32_e32 v35, v34, v32
	v_mul_f32_e32 v32, v33, v32
	v_fma_f32 v33, v33, v31, -v35
	v_fmac_f32_e32 v32, v34, v31
	v_add_f32_e32 v10, v10, v33
	v_add_f32_e32 v11, v11, v32
.LBB153_702:
	s_or_b64 exec, exec, s[12:13]
	s_barrier
	s_and_saveexec_b64 s[12:13], s[46:47]
; %bb.703:
	ds_write_b64 v18, v[10:11]
; %bb.704:
	s_or_b64 exec, exec, s[12:13]
	s_waitcnt lgkmcnt(0)
	s_barrier
	s_barrier
	s_and_saveexec_b64 s[12:13], s[18:19]
; %bb.705:
	v_xor_b32_e32 v10, 0x80000000, v10
	v_xor_b32_e32 v11, 0x80000000, v11
	ds_write_b64 v15, v[10:11] offset:20832
; %bb.706:
	s_or_b64 exec, exec, s[12:13]
	s_waitcnt lgkmcnt(0)
	s_barrier
	s_barrier
	s_and_saveexec_b64 s[12:13], s[58:59]
	s_cbranch_execz .LBB153_708
; %bb.707:
	v_lshlrev_b32_e32 v31, 9, v0
	ds_read_b64 v[10:11], v31 offset:20832
	s_movk_i32 s14, 0xfe08
	v_mad_i32_i24 v32, v0, s14, v31
	s_waitcnt lgkmcnt(0)
	ds_write_b64 v32, v[10:11] offset:22848
	ds_read_b64 v[10:11], v31 offset:20840
	s_waitcnt lgkmcnt(0)
	ds_write_b64 v32, v[10:11] offset:23360
	ds_read_b64 v[10:11], v31 offset:20848
	;; [unrolled: 3-line block ×3, first 2 shown]
	s_waitcnt lgkmcnt(0)
	ds_write_b64 v32, v[10:11] offset:24384
.LBB153_708:
	s_or_b64 exec, exec, s[12:13]
	s_waitcnt lgkmcnt(0)
	s_barrier
	s_and_saveexec_b64 s[12:13], vcc
	s_cbranch_execz .LBB153_710
; %bb.709:
	v_mov_b32_e32 v33, 0
	ds_read_b64 v[10:11], v33 offset:22888
	s_mov_b64 s[14:15], 0x3f800000
	v_mov_b32_e32 v32, s15
	v_mov_b32_e32 v31, s14
	s_movk_i32 s14, 0x160
	ds_write_b64 v33, v[31:32] offset:23400
	v_add_u32_e64 v33, s14, 0
	s_waitcnt lgkmcnt(1)
	ds_write2st64_b64 v33, v[31:32], v[10:11] offset0:44 offset1:45
.LBB153_710:
	s_or_b64 exec, exec, s[12:13]
	v_mov_b32_e32 v11, 0
	v_mov_b32_e32 v10, 0
	s_waitcnt lgkmcnt(0)
	s_barrier
	s_and_saveexec_b64 s[14:15], s[2:3]
	s_cbranch_execz .LBB153_714
; %bb.711:
	v_mul_u32_u24_e32 v31, 0x208, v14
	ds_read_b64 v[10:11], v12 offset:22896
	ds_read_b64 v[31:32], v31 offset:22880
	v_cmp_gt_u32_e64 s[12:13], 2, v17
	s_waitcnt lgkmcnt(0)
	v_mul_f32_e32 v33, v32, v11
	v_mul_f32_e32 v11, v31, v11
	v_fma_f32 v31, v31, v10, -v33
	v_fmac_f32_e32 v11, v32, v10
	v_add_f32_e32 v10, 0, v31
	v_add_f32_e32 v11, 0, v11
	s_and_saveexec_b64 s[16:17], s[12:13]
	s_cbranch_execz .LBB153_713
; %bb.712:
	v_lshlrev_b32_e32 v31, 3, v0
	v_mov_b32_e32 v33, 0
	ds_read_b64 v[31:32], v31 offset:23408
	ds_read_b64 v[33:34], v33 offset:22888
	s_waitcnt lgkmcnt(0)
	v_mul_f32_e32 v35, v34, v32
	v_mul_f32_e32 v32, v33, v32
	v_fma_f32 v33, v33, v31, -v35
	v_fmac_f32_e32 v32, v34, v31
	v_add_f32_e32 v10, v10, v33
	v_add_f32_e32 v11, v11, v32
.LBB153_713:
	s_or_b64 exec, exec, s[16:17]
	v_xor_b32_e32 v10, 0x80000000, v10
	v_xor_b32_e32 v11, 0x80000000, v11
.LBB153_714:
	s_or_b64 exec, exec, s[14:15]
	s_and_saveexec_b64 s[12:13], s[42:43]
; %bb.715:
	ds_write_b64 v13, v[10:11]
; %bb.716:
	s_or_b64 exec, exec, s[12:13]
	s_waitcnt lgkmcnt(0)
	s_barrier
	s_and_saveexec_b64 s[12:13], s[40:41]
	s_cbranch_execz .LBB153_718
; %bb.717:
	v_mov_b32_e32 v31, 0
	ds_read_b64 v[31:32], v31 offset:23928
	ds_read_b64 v[33:34], v13
	s_waitcnt lgkmcnt(0)
	v_mul_f32_e32 v35, v34, v32
	v_mul_f32_e32 v32, v33, v32
	v_fma_f32 v33, v33, v31, -v35
	v_fmac_f32_e32 v32, v34, v31
	v_add_f32_e32 v10, v10, v33
	v_add_f32_e32 v11, v11, v32
.LBB153_718:
	s_or_b64 exec, exec, s[12:13]
	s_barrier
	s_and_saveexec_b64 s[12:13], s[40:41]
; %bb.719:
	ds_write_b64 v13, v[10:11]
; %bb.720:
	s_or_b64 exec, exec, s[12:13]
	s_waitcnt lgkmcnt(0)
	s_barrier
	s_barrier
	s_and_saveexec_b64 s[12:13], s[2:3]
; %bb.721:
	v_xor_b32_e32 v11, 0x80000000, v11
	v_xor_b32_e32 v10, 0x80000000, v10
	ds_write_b64 v12, v[10:11] offset:22896
; %bb.722:
	s_or_b64 exec, exec, s[12:13]
	s_waitcnt lgkmcnt(0)
	s_barrier
	s_barrier
	s_and_saveexec_b64 s[12:13], s[44:45]
	s_cbranch_execz .LBB153_724
; %bb.723:
	v_lshlrev_b32_e32 v31, 3, v0
	s_movk_i32 s14, 0x1f8
	v_mad_u32_u24 v32, v0, s14, v31
	ds_read_b64 v[10:11], v32 offset:22896
	s_waitcnt lgkmcnt(0)
	ds_write_b64 v31, v[10:11] offset:23904
	ds_read_b64 v[10:11], v32 offset:22904
	s_waitcnt lgkmcnt(0)
	ds_write_b64 v31, v[10:11] offset:24416
.LBB153_724:
	s_or_b64 exec, exec, s[12:13]
	s_waitcnt lgkmcnt(0)
	s_barrier
	s_and_saveexec_b64 s[12:13], vcc
	s_cbranch_execz .LBB153_726
; %bb.725:
	v_mov_b32_e32 v33, 0
	ds_read_b64 v[10:11], v33 offset:23928
	s_mov_b64 s[14:15], 0x3f800000
	v_mov_b32_e32 v32, s15
	v_mov_b32_e32 v31, s14
	s_movk_i32 s14, 0x170
	ds_write_b64 v33, v[31:32] offset:24440
	v_add_u32_e64 v33, s14, 0
	s_waitcnt lgkmcnt(1)
	ds_write2st64_b64 v33, v[31:32], v[10:11] offset0:46 offset1:47
.LBB153_726:
	s_or_b64 exec, exec, s[12:13]
	v_mov_b32_e32 v11, 0
	v_mov_b32_e32 v10, 0
	s_waitcnt lgkmcnt(0)
	s_barrier
	s_and_saveexec_b64 s[14:15], s[10:11]
	s_cbranch_execz .LBB153_754
; %bb.727:
	v_mul_u32_u24_e32 v31, 0x208, v30
	ds_read_b64 v[10:11], v26 offset:16768
	ds_read_b64 v[32:33], v31 offset:16640
	s_movk_i32 s12, 0xf0
	v_cmp_gt_u32_e64 s[12:13], s12, v17
	s_waitcnt lgkmcnt(0)
	v_mul_f32_e32 v34, v33, v11
	v_mul_f32_e32 v11, v32, v11
	v_fma_f32 v32, v32, v10, -v34
	v_fmac_f32_e32 v11, v33, v10
	v_add_f32_e32 v10, 0, v32
	v_add_f32_e32 v11, 0, v11
	s_and_saveexec_b64 s[16:17], s[12:13]
	s_cbranch_execz .LBB153_729
; %bb.728:
	v_lshlrev_b32_e32 v32, 3, v30
	v_sub_u32_e32 v32, v31, v32
	v_lshl_add_u32 v32, v27, 3, v32
	ds_read_b64 v[32:33], v32 offset:17280
	ds_read_b64 v[34:35], v31 offset:16648
	s_waitcnt lgkmcnt(0)
	v_mul_f32_e32 v36, v35, v33
	v_mul_f32_e32 v33, v34, v33
	v_fma_f32 v34, v34, v32, -v36
	v_fmac_f32_e32 v33, v35, v32
	v_add_f32_e32 v10, v10, v34
	v_add_f32_e32 v11, v11, v33
.LBB153_729:
	s_or_b64 exec, exec, s[16:17]
	s_movk_i32 s12, 0xe0
	v_cmp_gt_u32_e64 s[12:13], s12, v17
	s_and_saveexec_b64 s[16:17], s[12:13]
	s_cbranch_execz .LBB153_731
; %bb.730:
	v_lshlrev_b32_e32 v32, 3, v30
	v_sub_u32_e32 v32, v31, v32
	v_lshl_add_u32 v32, v27, 3, v32
	ds_read_b64 v[32:33], v32 offset:17792
	ds_read_b64 v[34:35], v31 offset:16656
	s_waitcnt lgkmcnt(0)
	v_mul_f32_e32 v36, v35, v33
	v_mul_f32_e32 v33, v34, v33
	v_fma_f32 v34, v34, v32, -v36
	v_fmac_f32_e32 v33, v35, v32
	v_add_f32_e32 v10, v10, v34
	v_add_f32_e32 v11, v11, v33
.LBB153_731:
	s_or_b64 exec, exec, s[16:17]
	s_movk_i32 s12, 0xd0
	v_cmp_gt_u32_e64 s[12:13], s12, v17
	;; [unrolled: 19-line block ×6, first 2 shown]
	s_and_saveexec_b64 s[16:17], s[12:13]
	s_cbranch_execz .LBB153_741
; %bb.740:
	v_lshlrev_b32_e32 v30, 3, v27
	v_lshl_add_u32 v30, v29, 3, v30
	ds_read_b64 v[32:33], v30 offset:20352
	ds_read_b64 v[34:35], v31 offset:16696
	s_waitcnt lgkmcnt(0)
	v_mul_f32_e32 v30, v35, v33
	v_mul_f32_e32 v33, v34, v33
	v_fma_f32 v30, v34, v32, -v30
	v_fmac_f32_e32 v33, v35, v32
	v_add_f32_e32 v10, v10, v30
	v_add_f32_e32 v11, v11, v33
.LBB153_741:
	s_or_b64 exec, exec, s[16:17]
	s_movk_i32 s12, 0x80
	v_cmp_gt_u32_e64 s[12:13], s12, v17
	s_and_saveexec_b64 s[16:17], s[12:13]
	s_cbranch_execz .LBB153_743
; %bb.742:
	ds_read_b64 v[32:33], v26 offset:20864
	ds_read_b64 v[34:35], v31 offset:16704
	s_waitcnt lgkmcnt(0)
	v_mul_f32_e32 v30, v35, v33
	v_mul_f32_e32 v33, v34, v33
	v_fma_f32 v30, v34, v32, -v30
	v_fmac_f32_e32 v33, v35, v32
	v_add_f32_e32 v10, v10, v30
	v_add_f32_e32 v11, v11, v33
.LBB153_743:
	s_or_b64 exec, exec, s[16:17]
	s_movk_i32 s12, 0x70
	v_cmp_gt_u32_e64 s[12:13], s12, v17
	s_and_saveexec_b64 s[16:17], s[12:13]
	s_cbranch_execz .LBB153_745
; %bb.744:
	v_lshlrev_b32_e32 v30, 3, v27
	v_lshl_add_u32 v30, v29, 3, v30
	ds_read_b64 v[32:33], v30 offset:21376
	ds_read_b64 v[34:35], v31 offset:16712
	s_waitcnt lgkmcnt(0)
	v_mul_f32_e32 v30, v35, v33
	v_mul_f32_e32 v33, v34, v33
	v_fma_f32 v30, v34, v32, -v30
	v_fmac_f32_e32 v33, v35, v32
	v_add_f32_e32 v10, v10, v30
	v_add_f32_e32 v11, v11, v33
.LBB153_745:
	s_or_b64 exec, exec, s[16:17]
	s_movk_i32 s12, 0x60
	v_cmp_gt_u32_e64 s[12:13], s12, v17
	s_and_saveexec_b64 s[16:17], s[12:13]
	s_cbranch_execz .LBB153_747
; %bb.746:
	v_lshlrev_b32_e32 v30, 3, v27
	v_lshl_add_u32 v30, v29, 3, v30
	ds_read_b64 v[32:33], v30 offset:21888
	ds_read_b64 v[34:35], v31 offset:16720
	s_waitcnt lgkmcnt(0)
	v_mul_f32_e32 v30, v35, v33
	v_mul_f32_e32 v33, v34, v33
	v_fma_f32 v30, v34, v32, -v30
	v_fmac_f32_e32 v33, v35, v32
	v_add_f32_e32 v10, v10, v30
	v_add_f32_e32 v11, v11, v33
.LBB153_747:
	s_or_b64 exec, exec, s[16:17]
	s_movk_i32 s12, 0x50
	v_cmp_gt_u32_e64 s[12:13], s12, v17
	s_and_saveexec_b64 s[16:17], s[12:13]
	s_cbranch_execnz .LBB153_1095
; %bb.748:
	s_or_b64 exec, exec, s[16:17]
	v_cmp_gt_u32_e64 s[12:13], 64, v17
	s_and_saveexec_b64 s[16:17], s[12:13]
	s_cbranch_execnz .LBB153_1096
.LBB153_749:
	s_or_b64 exec, exec, s[16:17]
	v_cmp_gt_u32_e64 s[12:13], 48, v17
	s_and_saveexec_b64 s[16:17], s[12:13]
	s_cbranch_execnz .LBB153_1097
.LBB153_750:
	s_or_b64 exec, exec, s[16:17]
	v_cmp_gt_u32_e64 s[12:13], 32, v17
	s_and_saveexec_b64 s[16:17], s[12:13]
	s_cbranch_execnz .LBB153_1098
.LBB153_751:
	s_or_b64 exec, exec, s[16:17]
	v_cmp_gt_u32_e64 s[12:13], 16, v17
	s_and_saveexec_b64 s[16:17], s[12:13]
	s_cbranch_execz .LBB153_753
.LBB153_752:
	v_lshlrev_b32_e32 v29, 3, v0
	v_mov_b32_e32 v31, 0
	ds_read_b64 v[29:30], v29 offset:24448
	ds_read_b64 v[31:32], v31 offset:16760
	s_waitcnt lgkmcnt(0)
	v_mul_f32_e32 v33, v32, v30
	v_mul_f32_e32 v30, v31, v30
	v_fma_f32 v31, v31, v29, -v33
	v_fmac_f32_e32 v30, v32, v29
	v_add_f32_e32 v10, v10, v31
	v_add_f32_e32 v11, v11, v30
.LBB153_753:
	s_or_b64 exec, exec, s[16:17]
	v_xor_b32_e32 v10, 0x80000000, v10
	v_xor_b32_e32 v11, 0x80000000, v11
.LBB153_754:
	s_or_b64 exec, exec, s[14:15]
	s_mov_b64 s[12:13], exec
	v_readlane_b32 s14, v42, 4
	v_readlane_b32 s15, v42, 5
	s_and_b64 s[14:15], s[12:13], s[14:15]
	s_mov_b64 exec, s[14:15]
; %bb.755:
	ds_write_b64 v28, v[10:11]
; %bb.756:
	s_or_b64 exec, exec, s[12:13]
	s_waitcnt lgkmcnt(0)
	s_barrier
	s_mov_b64 s[12:13], exec
	v_readlane_b32 s14, v42, 6
	v_readlane_b32 s15, v42, 7
	s_and_b64 s[14:15], s[12:13], s[14:15]
	s_mov_b64 exec, s[14:15]
	s_cbranch_execz .LBB153_758
; %bb.757:
	v_lshlrev_b32_e32 v29, 3, v27
	ds_read_b64 v[29:30], v29 offset:24960
	ds_read_b64 v[31:32], v28
	s_waitcnt lgkmcnt(0)
	v_mul_f32_e32 v33, v32, v30
	v_mul_f32_e32 v30, v31, v30
	v_fma_f32 v31, v31, v29, -v33
	v_fmac_f32_e32 v30, v32, v29
	v_add_f32_e32 v10, v10, v31
	v_add_f32_e32 v11, v11, v30
.LBB153_758:
	s_or_b64 exec, exec, s[12:13]
	s_barrier
	s_mov_b64 s[12:13], exec
	v_readlane_b32 s14, v42, 8
	v_readlane_b32 s15, v42, 9
	s_and_b64 s[14:15], s[12:13], s[14:15]
	s_mov_b64 exec, s[14:15]
; %bb.759:
	ds_write_b64 v28, v[10:11]
; %bb.760:
	s_or_b64 exec, exec, s[12:13]
	s_waitcnt lgkmcnt(0)
	s_barrier
	s_mov_b64 s[12:13], exec
	v_readlane_b32 s14, v42, 10
	v_readlane_b32 s15, v42, 11
	s_and_b64 s[14:15], s[12:13], s[14:15]
	s_mov_b64 exec, s[14:15]
	s_cbranch_execz .LBB153_762
; %bb.761:
	v_lshlrev_b32_e32 v29, 3, v27
	ds_read_b64 v[29:30], v29 offset:25472
	ds_read_b64 v[31:32], v28
	s_waitcnt lgkmcnt(0)
	v_mul_f32_e32 v33, v32, v30
	v_mul_f32_e32 v30, v31, v30
	v_fma_f32 v31, v31, v29, -v33
	v_fmac_f32_e32 v30, v32, v29
	v_add_f32_e32 v10, v10, v31
	v_add_f32_e32 v11, v11, v30
.LBB153_762:
	s_or_b64 exec, exec, s[12:13]
	s_barrier
	;; [unrolled: 31-line block ×14, first 2 shown]
	s_mov_b64 s[12:13], exec
	v_readlane_b32 s14, v42, 60
	v_readlane_b32 s15, v42, 61
	s_and_b64 s[14:15], s[12:13], s[14:15]
	s_mov_b64 exec, s[14:15]
; %bb.811:
	ds_write_b64 v28, v[10:11]
; %bb.812:
	s_or_b64 exec, exec, s[12:13]
	s_waitcnt lgkmcnt(0)
	s_barrier
	s_and_saveexec_b64 s[12:13], s[0:1]
	s_cbranch_execz .LBB153_814
; %bb.813:
	v_mov_b32_e32 v27, 0
	ds_read_b64 v[29:30], v27 offset:32248
	ds_read_b64 v[31:32], v28
	s_waitcnt lgkmcnt(0)
	v_mul_f32_e32 v27, v32, v30
	v_mul_f32_e32 v30, v31, v30
	v_fma_f32 v27, v31, v29, -v27
	v_fmac_f32_e32 v30, v32, v29
	v_add_f32_e32 v10, v10, v27
	v_add_f32_e32 v11, v11, v30
.LBB153_814:
	s_or_b64 exec, exec, s[12:13]
	s_barrier
	s_and_saveexec_b64 s[12:13], s[0:1]
; %bb.815:
	ds_write_b64 v28, v[10:11]
; %bb.816:
	s_or_b64 exec, exec, s[12:13]
	s_waitcnt lgkmcnt(0)
	s_barrier
	s_barrier
	s_and_saveexec_b64 s[0:1], s[10:11]
; %bb.817:
	v_xor_b32_e32 v10, 0x80000000, v10
	v_xor_b32_e32 v11, 0x80000000, v11
	ds_write_b64 v26, v[10:11] offset:16768
; %bb.818:
	s_or_b64 exec, exec, s[0:1]
	s_waitcnt lgkmcnt(0)
	s_barrier
	s_barrier
	s_mov_b64 s[0:1], exec
	v_readlane_b32 s10, v42, 62
	v_readlane_b32 s11, v42, 63
	s_and_b64 s[10:11], s[0:1], s[10:11]
	s_mov_b64 exec, s[10:11]
	s_cbranch_execz .LBB153_820
; %bb.819:
	v_lshlrev_b32_e32 v26, 9, v0
	ds_read_b64 v[10:11], v26 offset:16768
	s_movk_i32 s10, 0xfe08
	v_mad_i32_i24 v27, v0, s10, v26
	s_waitcnt lgkmcnt(0)
	ds_write_b64 v27, v[10:11] offset:24832
	ds_read_b64 v[10:11], v26 offset:16776
	s_waitcnt lgkmcnt(0)
	ds_write_b64 v27, v[10:11] offset:25344
	ds_read_b64 v[10:11], v26 offset:16784
	;; [unrolled: 3-line block ×15, first 2 shown]
	s_waitcnt lgkmcnt(0)
	ds_write_b64 v27, v[10:11] offset:32512
.LBB153_820:
	s_or_b64 exec, exec, s[0:1]
	s_waitcnt lgkmcnt(0)
	s_barrier
	s_and_saveexec_b64 s[0:1], vcc
	s_cbranch_execz .LBB153_822
; %bb.821:
	v_mov_b32_e32 v28, 0
	ds_read_b64 v[10:11], v28 offset:24968
	s_mov_b64 s[10:11], 0x3f800000
	v_mov_b32_e32 v27, s11
	v_mov_b32_e32 v26, s10
	s_movk_i32 s10, 0x180
	ds_write_b64 v28, v[26:27] offset:25480
	v_add_u32_e64 v28, s10, 0
	s_waitcnt lgkmcnt(1)
	ds_write2st64_b64 v28, v[26:27], v[10:11] offset0:48 offset1:49
.LBB153_822:
	s_or_b64 exec, exec, s[0:1]
	v_mov_b32_e32 v11, 0
	v_mov_b32_e32 v10, 0
	s_waitcnt lgkmcnt(0)
	s_barrier
	s_and_saveexec_b64 s[0:1], s[2:3]
	s_cbranch_execz .LBB153_826
; %bb.823:
	v_mul_u32_u24_e32 v26, 0x208, v14
	ds_read_b64 v[10:11], v12 offset:24976
	ds_read_b64 v[26:27], v26 offset:24960
	v_cmp_gt_u32_e64 s[10:11], 2, v17
	s_waitcnt lgkmcnt(0)
	v_mul_f32_e32 v28, v27, v11
	v_mul_f32_e32 v11, v26, v11
	v_fma_f32 v26, v26, v10, -v28
	v_fmac_f32_e32 v11, v27, v10
	v_add_f32_e32 v10, 0, v26
	v_add_f32_e32 v11, 0, v11
	s_and_saveexec_b64 s[12:13], s[10:11]
	s_cbranch_execz .LBB153_825
; %bb.824:
	v_lshlrev_b32_e32 v26, 3, v0
	v_mov_b32_e32 v28, 0
	ds_read_b64 v[26:27], v26 offset:25488
	ds_read_b64 v[28:29], v28 offset:24968
	s_waitcnt lgkmcnt(0)
	v_mul_f32_e32 v30, v29, v27
	v_mul_f32_e32 v27, v28, v27
	v_fma_f32 v28, v28, v26, -v30
	v_fmac_f32_e32 v27, v29, v26
	v_add_f32_e32 v10, v10, v28
	v_add_f32_e32 v11, v11, v27
.LBB153_825:
	s_or_b64 exec, exec, s[12:13]
	v_xor_b32_e32 v10, 0x80000000, v10
	v_xor_b32_e32 v11, 0x80000000, v11
.LBB153_826:
	s_or_b64 exec, exec, s[0:1]
	s_and_saveexec_b64 s[0:1], s[42:43]
; %bb.827:
	ds_write_b64 v13, v[10:11]
; %bb.828:
	s_or_b64 exec, exec, s[0:1]
	s_waitcnt lgkmcnt(0)
	s_barrier
	s_and_saveexec_b64 s[0:1], s[40:41]
	s_cbranch_execz .LBB153_830
; %bb.829:
	v_mov_b32_e32 v26, 0
	ds_read_b64 v[26:27], v26 offset:26008
	ds_read_b64 v[28:29], v13
	s_waitcnt lgkmcnt(0)
	v_mul_f32_e32 v30, v29, v27
	v_mul_f32_e32 v27, v28, v27
	v_fma_f32 v28, v28, v26, -v30
	v_fmac_f32_e32 v27, v29, v26
	v_add_f32_e32 v10, v10, v28
	v_add_f32_e32 v11, v11, v27
.LBB153_830:
	s_or_b64 exec, exec, s[0:1]
	s_barrier
	s_and_saveexec_b64 s[0:1], s[40:41]
; %bb.831:
	ds_write_b64 v13, v[10:11]
; %bb.832:
	s_or_b64 exec, exec, s[0:1]
	s_waitcnt lgkmcnt(0)
	s_barrier
	s_barrier
	s_and_saveexec_b64 s[0:1], s[2:3]
; %bb.833:
	v_xor_b32_e32 v11, 0x80000000, v11
	v_xor_b32_e32 v10, 0x80000000, v10
	ds_write_b64 v12, v[10:11] offset:24976
; %bb.834:
	s_or_b64 exec, exec, s[0:1]
	s_waitcnt lgkmcnt(0)
	s_barrier
	s_barrier
	s_and_saveexec_b64 s[0:1], s[44:45]
	s_cbranch_execz .LBB153_836
; %bb.835:
	v_lshlrev_b32_e32 v26, 3, v0
	s_movk_i32 s10, 0x1f8
	v_mad_u32_u24 v27, v0, s10, v26
	ds_read_b64 v[10:11], v27 offset:24976
	s_waitcnt lgkmcnt(0)
	ds_write_b64 v26, v[10:11] offset:25984
	ds_read_b64 v[10:11], v27 offset:24984
	s_waitcnt lgkmcnt(0)
	ds_write_b64 v26, v[10:11] offset:26496
.LBB153_836:
	s_or_b64 exec, exec, s[0:1]
	s_waitcnt lgkmcnt(0)
	s_barrier
	s_and_saveexec_b64 s[0:1], vcc
	s_cbranch_execz .LBB153_838
; %bb.837:
	v_mov_b32_e32 v28, 0
	ds_read_b64 v[10:11], v28 offset:26008
	s_mov_b64 s[10:11], 0x3f800000
	v_mov_b32_e32 v27, s11
	v_mov_b32_e32 v26, s10
	s_movk_i32 s10, 0x190
	ds_write_b64 v28, v[26:27] offset:26520
	v_add_u32_e64 v28, s10, 0
	s_waitcnt lgkmcnt(1)
	ds_write2st64_b64 v28, v[26:27], v[10:11] offset0:50 offset1:51
.LBB153_838:
	s_or_b64 exec, exec, s[0:1]
	v_mov_b32_e32 v11, 0
	v_mov_b32_e32 v10, 0
	s_waitcnt lgkmcnt(0)
	s_barrier
	s_and_saveexec_b64 s[0:1], s[18:19]
	s_cbranch_execz .LBB153_844
; %bb.839:
	v_mul_u32_u24_e32 v26, 0x208, v20
	ds_read_b64 v[10:11], v15 offset:24992
	ds_read_b64 v[27:28], v26 offset:24960
	v_cmp_gt_u32_e64 s[10:11], 12, v17
	s_waitcnt lgkmcnt(0)
	v_mul_f32_e32 v29, v28, v11
	v_mul_f32_e32 v11, v27, v11
	v_fma_f32 v27, v27, v10, -v29
	v_fmac_f32_e32 v11, v28, v10
	v_add_f32_e32 v10, 0, v27
	v_add_f32_e32 v11, 0, v11
	s_and_saveexec_b64 s[12:13], s[10:11]
	s_cbranch_execnz .LBB153_1099
; %bb.840:
	s_or_b64 exec, exec, s[12:13]
	v_cmp_gt_u32_e64 s[10:11], 8, v17
	s_and_saveexec_b64 s[12:13], s[10:11]
	s_cbranch_execnz .LBB153_1100
.LBB153_841:
	s_or_b64 exec, exec, s[12:13]
	v_cmp_gt_u32_e64 s[10:11], 4, v17
	s_and_saveexec_b64 s[12:13], s[10:11]
	s_cbranch_execz .LBB153_843
.LBB153_842:
	v_lshlrev_b32_e32 v26, 3, v0
	v_mov_b32_e32 v28, 0
	ds_read_b64 v[26:27], v26 offset:26528
	ds_read_b64 v[28:29], v28 offset:24984
	s_waitcnt lgkmcnt(0)
	v_mul_f32_e32 v30, v29, v27
	v_mul_f32_e32 v27, v28, v27
	v_fma_f32 v28, v28, v26, -v30
	v_fmac_f32_e32 v27, v29, v26
	v_add_f32_e32 v10, v10, v28
	v_add_f32_e32 v11, v11, v27
.LBB153_843:
	s_or_b64 exec, exec, s[12:13]
	v_xor_b32_e32 v10, 0x80000000, v10
	v_xor_b32_e32 v11, 0x80000000, v11
.LBB153_844:
	s_or_b64 exec, exec, s[0:1]
	s_and_saveexec_b64 s[0:1], s[48:49]
; %bb.845:
	ds_write_b64 v18, v[10:11]
; %bb.846:
	s_or_b64 exec, exec, s[0:1]
	s_waitcnt lgkmcnt(0)
	s_barrier
	s_and_saveexec_b64 s[0:1], s[50:51]
	s_cbranch_execz .LBB153_848
; %bb.847:
	ds_read_b64 v[26:27], v16 offset:27040
	ds_read_b64 v[28:29], v18
	s_waitcnt lgkmcnt(0)
	v_mul_f32_e32 v30, v29, v27
	v_mul_f32_e32 v27, v28, v27
	v_fma_f32 v28, v28, v26, -v30
	v_fmac_f32_e32 v27, v29, v26
	v_add_f32_e32 v10, v10, v28
	v_add_f32_e32 v11, v11, v27
.LBB153_848:
	s_or_b64 exec, exec, s[0:1]
	s_barrier
	s_and_saveexec_b64 s[0:1], s[52:53]
; %bb.849:
	ds_write_b64 v18, v[10:11]
; %bb.850:
	s_or_b64 exec, exec, s[0:1]
	s_waitcnt lgkmcnt(0)
	s_barrier
	s_and_saveexec_b64 s[0:1], s[54:55]
	s_cbranch_execz .LBB153_852
; %bb.851:
	ds_read_b64 v[26:27], v16 offset:27552
	ds_read_b64 v[28:29], v18
	s_waitcnt lgkmcnt(0)
	v_mul_f32_e32 v30, v29, v27
	v_mul_f32_e32 v27, v28, v27
	v_fma_f32 v28, v28, v26, -v30
	v_fmac_f32_e32 v27, v29, v26
	v_add_f32_e32 v10, v10, v28
	v_add_f32_e32 v11, v11, v27
.LBB153_852:
	s_or_b64 exec, exec, s[0:1]
	s_barrier
	s_and_saveexec_b64 s[0:1], s[56:57]
; %bb.853:
	ds_write_b64 v18, v[10:11]
; %bb.854:
	s_or_b64 exec, exec, s[0:1]
	s_waitcnt lgkmcnt(0)
	s_barrier
	s_and_saveexec_b64 s[0:1], s[46:47]
	s_cbranch_execz .LBB153_856
; %bb.855:
	v_mov_b32_e32 v26, 0
	ds_read_b64 v[26:27], v26 offset:28088
	ds_read_b64 v[28:29], v18
	s_waitcnt lgkmcnt(0)
	v_mul_f32_e32 v30, v29, v27
	v_mul_f32_e32 v27, v28, v27
	v_fma_f32 v28, v28, v26, -v30
	v_fmac_f32_e32 v27, v29, v26
	v_add_f32_e32 v10, v10, v28
	v_add_f32_e32 v11, v11, v27
.LBB153_856:
	s_or_b64 exec, exec, s[0:1]
	s_barrier
	s_and_saveexec_b64 s[0:1], s[46:47]
; %bb.857:
	ds_write_b64 v18, v[10:11]
; %bb.858:
	s_or_b64 exec, exec, s[0:1]
	s_waitcnt lgkmcnt(0)
	s_barrier
	s_barrier
	s_and_saveexec_b64 s[0:1], s[18:19]
; %bb.859:
	v_xor_b32_e32 v10, 0x80000000, v10
	v_xor_b32_e32 v11, 0x80000000, v11
	ds_write_b64 v15, v[10:11] offset:24992
; %bb.860:
	s_or_b64 exec, exec, s[0:1]
	s_waitcnt lgkmcnt(0)
	s_barrier
	s_barrier
	s_and_saveexec_b64 s[0:1], s[58:59]
	s_cbranch_execz .LBB153_862
; %bb.861:
	v_lshlrev_b32_e32 v26, 9, v0
	ds_read_b64 v[10:11], v26 offset:24992
	s_movk_i32 s10, 0xfe08
	v_mad_i32_i24 v27, v0, s10, v26
	s_waitcnt lgkmcnt(0)
	ds_write_b64 v27, v[10:11] offset:27008
	ds_read_b64 v[10:11], v26 offset:25000
	s_waitcnt lgkmcnt(0)
	ds_write_b64 v27, v[10:11] offset:27520
	ds_read_b64 v[10:11], v26 offset:25008
	;; [unrolled: 3-line block ×3, first 2 shown]
	s_waitcnt lgkmcnt(0)
	ds_write_b64 v27, v[10:11] offset:28544
.LBB153_862:
	s_or_b64 exec, exec, s[0:1]
	s_waitcnt lgkmcnt(0)
	s_barrier
	s_and_saveexec_b64 s[0:1], vcc
	s_cbranch_execz .LBB153_864
; %bb.863:
	v_mov_b32_e32 v28, 0
	ds_read_b64 v[10:11], v28 offset:27048
	s_mov_b64 s[10:11], 0x3f800000
	v_mov_b32_e32 v27, s11
	v_mov_b32_e32 v26, s10
	s_movk_i32 s10, 0x1a0
	ds_write_b64 v28, v[26:27] offset:27560
	v_add_u32_e64 v28, s10, 0
	s_waitcnt lgkmcnt(1)
	ds_write2st64_b64 v28, v[26:27], v[10:11] offset0:52 offset1:53
.LBB153_864:
	s_or_b64 exec, exec, s[0:1]
	v_mov_b32_e32 v11, 0
	v_mov_b32_e32 v10, 0
	s_waitcnt lgkmcnt(0)
	s_barrier
	s_and_saveexec_b64 s[0:1], s[2:3]
	s_cbranch_execz .LBB153_868
; %bb.865:
	v_mul_u32_u24_e32 v26, 0x208, v14
	ds_read_b64 v[10:11], v12 offset:27056
	ds_read_b64 v[26:27], v26 offset:27040
	v_cmp_gt_u32_e64 s[10:11], 2, v17
	s_waitcnt lgkmcnt(0)
	v_mul_f32_e32 v28, v27, v11
	v_mul_f32_e32 v11, v26, v11
	v_fma_f32 v26, v26, v10, -v28
	v_fmac_f32_e32 v11, v27, v10
	v_add_f32_e32 v10, 0, v26
	v_add_f32_e32 v11, 0, v11
	s_and_saveexec_b64 s[12:13], s[10:11]
	s_cbranch_execz .LBB153_867
; %bb.866:
	v_lshlrev_b32_e32 v26, 3, v0
	v_mov_b32_e32 v28, 0
	ds_read_b64 v[26:27], v26 offset:27568
	ds_read_b64 v[28:29], v28 offset:27048
	s_waitcnt lgkmcnt(0)
	v_mul_f32_e32 v30, v29, v27
	v_mul_f32_e32 v27, v28, v27
	v_fma_f32 v28, v28, v26, -v30
	v_fmac_f32_e32 v27, v29, v26
	v_add_f32_e32 v10, v10, v28
	v_add_f32_e32 v11, v11, v27
.LBB153_867:
	s_or_b64 exec, exec, s[12:13]
	v_xor_b32_e32 v10, 0x80000000, v10
	v_xor_b32_e32 v11, 0x80000000, v11
.LBB153_868:
	s_or_b64 exec, exec, s[0:1]
	s_and_saveexec_b64 s[0:1], s[42:43]
; %bb.869:
	ds_write_b64 v13, v[10:11]
; %bb.870:
	s_or_b64 exec, exec, s[0:1]
	s_waitcnt lgkmcnt(0)
	s_barrier
	s_and_saveexec_b64 s[0:1], s[40:41]
	s_cbranch_execz .LBB153_872
; %bb.871:
	v_mov_b32_e32 v26, 0
	ds_read_b64 v[26:27], v26 offset:28088
	ds_read_b64 v[28:29], v13
	s_waitcnt lgkmcnt(0)
	v_mul_f32_e32 v30, v29, v27
	v_mul_f32_e32 v27, v28, v27
	v_fma_f32 v28, v28, v26, -v30
	v_fmac_f32_e32 v27, v29, v26
	v_add_f32_e32 v10, v10, v28
	v_add_f32_e32 v11, v11, v27
.LBB153_872:
	s_or_b64 exec, exec, s[0:1]
	s_barrier
	s_and_saveexec_b64 s[0:1], s[40:41]
; %bb.873:
	ds_write_b64 v13, v[10:11]
; %bb.874:
	s_or_b64 exec, exec, s[0:1]
	s_waitcnt lgkmcnt(0)
	s_barrier
	s_barrier
	s_and_saveexec_b64 s[0:1], s[2:3]
; %bb.875:
	v_xor_b32_e32 v11, 0x80000000, v11
	v_xor_b32_e32 v10, 0x80000000, v10
	ds_write_b64 v12, v[10:11] offset:27056
; %bb.876:
	s_or_b64 exec, exec, s[0:1]
	s_waitcnt lgkmcnt(0)
	s_barrier
	s_barrier
	s_and_saveexec_b64 s[0:1], s[44:45]
	s_cbranch_execz .LBB153_878
; %bb.877:
	v_lshlrev_b32_e32 v26, 3, v0
	s_movk_i32 s10, 0x1f8
	v_mad_u32_u24 v27, v0, s10, v26
	ds_read_b64 v[10:11], v27 offset:27056
	s_waitcnt lgkmcnt(0)
	ds_write_b64 v26, v[10:11] offset:28064
	ds_read_b64 v[10:11], v27 offset:27064
	s_waitcnt lgkmcnt(0)
	ds_write_b64 v26, v[10:11] offset:28576
.LBB153_878:
	s_or_b64 exec, exec, s[0:1]
	s_waitcnt lgkmcnt(0)
	s_barrier
	s_and_saveexec_b64 s[0:1], vcc
	s_cbranch_execz .LBB153_880
; %bb.879:
	v_mov_b32_e32 v28, 0
	ds_read_b64 v[10:11], v28 offset:28088
	s_mov_b64 s[10:11], 0x3f800000
	v_mov_b32_e32 v27, s11
	v_mov_b32_e32 v26, s10
	s_movk_i32 s10, 0x1b0
	ds_write_b64 v28, v[26:27] offset:28600
	v_add_u32_e64 v28, s10, 0
	s_waitcnt lgkmcnt(1)
	ds_write2st64_b64 v28, v[26:27], v[10:11] offset0:54 offset1:55
.LBB153_880:
	s_or_b64 exec, exec, s[0:1]
	v_mov_b32_e32 v11, 0
	v_mov_b32_e32 v10, 0
	s_waitcnt lgkmcnt(0)
	s_barrier
	s_and_saveexec_b64 s[0:1], s[8:9]
	s_cbranch_execz .LBB153_890
; %bb.881:
	v_mul_u32_u24_e32 v26, 0x208, v25
	ds_read_b64 v[10:11], v21 offset:25024
	ds_read_b64 v[27:28], v26 offset:24960
	v_cmp_gt_u32_e64 s[10:11], 56, v17
	s_waitcnt lgkmcnt(0)
	v_mul_f32_e32 v29, v28, v11
	v_mul_f32_e32 v11, v27, v11
	v_fma_f32 v27, v27, v10, -v29
	v_fmac_f32_e32 v11, v28, v10
	v_add_f32_e32 v10, 0, v27
	v_add_f32_e32 v11, 0, v11
	s_and_saveexec_b64 s[12:13], s[10:11]
	s_cbranch_execnz .LBB153_1101
; %bb.882:
	s_or_b64 exec, exec, s[12:13]
	v_cmp_gt_u32_e64 s[10:11], 48, v17
	s_and_saveexec_b64 s[12:13], s[10:11]
	s_cbranch_execnz .LBB153_1102
.LBB153_883:
	s_or_b64 exec, exec, s[12:13]
	v_cmp_gt_u32_e64 s[10:11], 40, v17
	s_and_saveexec_b64 s[12:13], s[10:11]
	s_cbranch_execnz .LBB153_1103
.LBB153_884:
	s_or_b64 exec, exec, s[12:13]
	v_cmp_gt_u32_e64 s[10:11], 32, v17
	s_and_saveexec_b64 s[12:13], s[10:11]
	s_cbranch_execnz .LBB153_1104
.LBB153_885:
	s_or_b64 exec, exec, s[12:13]
	v_cmp_gt_u32_e64 s[10:11], 24, v17
	s_and_saveexec_b64 s[12:13], s[10:11]
	s_cbranch_execnz .LBB153_1105
.LBB153_886:
	s_or_b64 exec, exec, s[12:13]
	v_cmp_gt_u32_e64 s[10:11], 16, v17
	s_and_saveexec_b64 s[12:13], s[10:11]
	s_cbranch_execnz .LBB153_1106
.LBB153_887:
	s_or_b64 exec, exec, s[12:13]
	v_cmp_gt_u32_e64 s[10:11], 8, v17
	s_and_saveexec_b64 s[12:13], s[10:11]
	s_cbranch_execz .LBB153_889
.LBB153_888:
	v_lshlrev_b32_e32 v24, 3, v0
	v_mov_b32_e32 v26, 0
	ds_read_b64 v[24:25], v24 offset:28608
	ds_read_b64 v[26:27], v26 offset:25016
	s_waitcnt lgkmcnt(0)
	v_mul_f32_e32 v28, v27, v25
	v_mul_f32_e32 v25, v26, v25
	v_fma_f32 v26, v26, v24, -v28
	v_fmac_f32_e32 v25, v27, v24
	v_add_f32_e32 v10, v10, v26
	v_add_f32_e32 v11, v11, v25
.LBB153_889:
	s_or_b64 exec, exec, s[12:13]
	v_xor_b32_e32 v10, 0x80000000, v10
	v_xor_b32_e32 v11, 0x80000000, v11
.LBB153_890:
	s_or_b64 exec, exec, s[0:1]
	s_and_saveexec_b64 s[0:1], s[62:63]
; %bb.891:
	ds_write_b64 v23, v[10:11]
; %bb.892:
	s_or_b64 exec, exec, s[0:1]
	s_waitcnt lgkmcnt(0)
	s_barrier
	s_and_saveexec_b64 s[0:1], s[64:65]
	s_cbranch_execz .LBB153_894
; %bb.893:
	ds_read_b64 v[24:25], v22 offset:29120
	ds_read_b64 v[26:27], v23
	s_waitcnt lgkmcnt(0)
	v_mul_f32_e32 v28, v27, v25
	v_mul_f32_e32 v25, v26, v25
	v_fma_f32 v26, v26, v24, -v28
	v_fmac_f32_e32 v25, v27, v24
	v_add_f32_e32 v10, v10, v26
	v_add_f32_e32 v11, v11, v25
.LBB153_894:
	s_or_b64 exec, exec, s[0:1]
	s_barrier
	s_and_saveexec_b64 s[0:1], s[66:67]
; %bb.895:
	ds_write_b64 v23, v[10:11]
; %bb.896:
	s_or_b64 exec, exec, s[0:1]
	s_waitcnt lgkmcnt(0)
	s_barrier
	s_and_saveexec_b64 s[0:1], s[68:69]
	s_cbranch_execz .LBB153_898
; %bb.897:
	ds_read_b64 v[24:25], v22 offset:29632
	ds_read_b64 v[26:27], v23
	s_waitcnt lgkmcnt(0)
	v_mul_f32_e32 v28, v27, v25
	v_mul_f32_e32 v25, v26, v25
	v_fma_f32 v26, v26, v24, -v28
	v_fmac_f32_e32 v25, v27, v24
	v_add_f32_e32 v10, v10, v26
	v_add_f32_e32 v11, v11, v25
.LBB153_898:
	s_or_b64 exec, exec, s[0:1]
	s_barrier
	;; [unrolled: 22-line block ×6, first 2 shown]
	s_and_saveexec_b64 s[0:1], s[86:87]
; %bb.915:
	ds_write_b64 v23, v[10:11]
; %bb.916:
	s_or_b64 exec, exec, s[0:1]
	s_waitcnt lgkmcnt(0)
	s_barrier
	s_and_saveexec_b64 s[0:1], s[60:61]
	s_cbranch_execz .LBB153_918
; %bb.917:
	v_mov_b32_e32 v22, 0
	ds_read_b64 v[24:25], v22 offset:32248
	ds_read_b64 v[26:27], v23
	s_waitcnt lgkmcnt(0)
	v_mul_f32_e32 v22, v27, v25
	v_mul_f32_e32 v25, v26, v25
	v_fma_f32 v22, v26, v24, -v22
	v_fmac_f32_e32 v25, v27, v24
	v_add_f32_e32 v10, v10, v22
	v_add_f32_e32 v11, v11, v25
.LBB153_918:
	s_or_b64 exec, exec, s[0:1]
	s_barrier
	s_and_saveexec_b64 s[0:1], s[60:61]
; %bb.919:
	ds_write_b64 v23, v[10:11]
; %bb.920:
	s_or_b64 exec, exec, s[0:1]
	s_waitcnt lgkmcnt(0)
	s_barrier
	s_barrier
	s_and_saveexec_b64 s[0:1], s[8:9]
; %bb.921:
	v_xor_b32_e32 v11, 0x80000000, v11
	v_xor_b32_e32 v10, 0x80000000, v10
	ds_write_b64 v21, v[10:11] offset:25024
; %bb.922:
	s_or_b64 exec, exec, s[0:1]
	s_waitcnt lgkmcnt(0)
	s_barrier
	s_barrier
	s_and_saveexec_b64 s[0:1], s[88:89]
	s_cbranch_execz .LBB153_924
; %bb.923:
	v_lshlrev_b32_e32 v21, 9, v0
	ds_read_b64 v[10:11], v21 offset:25024
	s_movk_i32 s8, 0xfe08
	v_mad_i32_i24 v22, v0, s8, v21
	s_waitcnt lgkmcnt(0)
	ds_write_b64 v22, v[10:11] offset:29056
	ds_read_b64 v[10:11], v21 offset:25032
	s_waitcnt lgkmcnt(0)
	ds_write_b64 v22, v[10:11] offset:29568
	ds_read_b64 v[10:11], v21 offset:25040
	s_waitcnt lgkmcnt(0)
	ds_write_b64 v22, v[10:11] offset:30080
	ds_read_b64 v[10:11], v21 offset:25048
	s_waitcnt lgkmcnt(0)
	ds_write_b64 v22, v[10:11] offset:30592
	ds_read_b64 v[10:11], v21 offset:25056
	s_waitcnt lgkmcnt(0)
	ds_write_b64 v22, v[10:11] offset:31104
	ds_read_b64 v[10:11], v21 offset:25064
	s_waitcnt lgkmcnt(0)
	ds_write_b64 v22, v[10:11] offset:31616
	ds_read_b64 v[10:11], v21 offset:25072
	s_waitcnt lgkmcnt(0)
	ds_write_b64 v22, v[10:11] offset:32128
	ds_read_b64 v[10:11], v21 offset:25080
	s_waitcnt lgkmcnt(0)
	ds_write_b64 v22, v[10:11] offset:32640
.LBB153_924:
	s_or_b64 exec, exec, s[0:1]
	s_waitcnt lgkmcnt(0)
	s_barrier
	s_and_saveexec_b64 s[0:1], vcc
	s_cbranch_execz .LBB153_926
; %bb.925:
	v_mov_b32_e32 v23, 0
	ds_read_b64 v[10:11], v23 offset:29128
	s_mov_b64 s[8:9], 0x3f800000
	v_mov_b32_e32 v22, s9
	v_mov_b32_e32 v21, s8
	s_movk_i32 s8, 0x1c0
	ds_write_b64 v23, v[21:22] offset:29640
	v_add_u32_e64 v23, s8, 0
	s_waitcnt lgkmcnt(1)
	ds_write2st64_b64 v23, v[21:22], v[10:11] offset0:56 offset1:57
.LBB153_926:
	s_or_b64 exec, exec, s[0:1]
	v_mov_b32_e32 v11, 0
	v_mov_b32_e32 v10, 0
	s_waitcnt lgkmcnt(0)
	s_barrier
	s_and_saveexec_b64 s[0:1], s[2:3]
	s_cbranch_execz .LBB153_930
; %bb.927:
	v_mul_u32_u24_e32 v21, 0x208, v14
	ds_read_b64 v[10:11], v12 offset:29136
	ds_read_b64 v[21:22], v21 offset:29120
	v_cmp_gt_u32_e64 s[8:9], 2, v17
	s_waitcnt lgkmcnt(0)
	v_mul_f32_e32 v23, v22, v11
	v_mul_f32_e32 v11, v21, v11
	v_fma_f32 v21, v21, v10, -v23
	v_fmac_f32_e32 v11, v22, v10
	v_add_f32_e32 v10, 0, v21
	v_add_f32_e32 v11, 0, v11
	s_and_saveexec_b64 s[10:11], s[8:9]
	s_cbranch_execz .LBB153_929
; %bb.928:
	v_lshlrev_b32_e32 v21, 3, v0
	v_mov_b32_e32 v23, 0
	ds_read_b64 v[21:22], v21 offset:29648
	ds_read_b64 v[23:24], v23 offset:29128
	s_waitcnt lgkmcnt(0)
	v_mul_f32_e32 v25, v24, v22
	v_mul_f32_e32 v22, v23, v22
	v_fma_f32 v23, v23, v21, -v25
	v_fmac_f32_e32 v22, v24, v21
	v_add_f32_e32 v10, v10, v23
	v_add_f32_e32 v11, v11, v22
.LBB153_929:
	s_or_b64 exec, exec, s[10:11]
	v_xor_b32_e32 v10, 0x80000000, v10
	v_xor_b32_e32 v11, 0x80000000, v11
.LBB153_930:
	s_or_b64 exec, exec, s[0:1]
	s_and_saveexec_b64 s[0:1], s[42:43]
; %bb.931:
	ds_write_b64 v13, v[10:11]
; %bb.932:
	s_or_b64 exec, exec, s[0:1]
	s_waitcnt lgkmcnt(0)
	s_barrier
	s_and_saveexec_b64 s[0:1], s[40:41]
	s_cbranch_execz .LBB153_934
; %bb.933:
	v_mov_b32_e32 v21, 0
	ds_read_b64 v[21:22], v21 offset:30168
	ds_read_b64 v[23:24], v13
	s_waitcnt lgkmcnt(0)
	v_mul_f32_e32 v25, v24, v22
	v_mul_f32_e32 v22, v23, v22
	v_fma_f32 v23, v23, v21, -v25
	v_fmac_f32_e32 v22, v24, v21
	v_add_f32_e32 v10, v10, v23
	v_add_f32_e32 v11, v11, v22
.LBB153_934:
	s_or_b64 exec, exec, s[0:1]
	s_barrier
	s_and_saveexec_b64 s[0:1], s[40:41]
; %bb.935:
	ds_write_b64 v13, v[10:11]
; %bb.936:
	s_or_b64 exec, exec, s[0:1]
	s_waitcnt lgkmcnt(0)
	s_barrier
	s_barrier
	s_and_saveexec_b64 s[0:1], s[2:3]
; %bb.937:
	v_xor_b32_e32 v11, 0x80000000, v11
	v_xor_b32_e32 v10, 0x80000000, v10
	ds_write_b64 v12, v[10:11] offset:29136
; %bb.938:
	s_or_b64 exec, exec, s[0:1]
	s_waitcnt lgkmcnt(0)
	s_barrier
	s_barrier
	s_and_saveexec_b64 s[0:1], s[44:45]
	s_cbranch_execz .LBB153_940
; %bb.939:
	v_lshlrev_b32_e32 v21, 3, v0
	s_movk_i32 s8, 0x1f8
	v_mad_u32_u24 v22, v0, s8, v21
	ds_read_b64 v[10:11], v22 offset:29136
	s_waitcnt lgkmcnt(0)
	ds_write_b64 v21, v[10:11] offset:30144
	ds_read_b64 v[10:11], v22 offset:29144
	s_waitcnt lgkmcnt(0)
	ds_write_b64 v21, v[10:11] offset:30656
.LBB153_940:
	s_or_b64 exec, exec, s[0:1]
	s_waitcnt lgkmcnt(0)
	s_barrier
	s_and_saveexec_b64 s[0:1], vcc
	s_cbranch_execz .LBB153_942
; %bb.941:
	v_mov_b32_e32 v23, 0
	ds_read_b64 v[10:11], v23 offset:30168
	s_mov_b64 s[8:9], 0x3f800000
	v_mov_b32_e32 v22, s9
	v_mov_b32_e32 v21, s8
	s_movk_i32 s8, 0x1d0
	ds_write_b64 v23, v[21:22] offset:30680
	v_add_u32_e64 v23, s8, 0
	s_waitcnt lgkmcnt(1)
	ds_write2st64_b64 v23, v[21:22], v[10:11] offset0:58 offset1:59
.LBB153_942:
	s_or_b64 exec, exec, s[0:1]
	v_mov_b32_e32 v11, 0
	v_mov_b32_e32 v10, 0
	s_waitcnt lgkmcnt(0)
	s_barrier
	s_and_saveexec_b64 s[0:1], s[18:19]
	s_cbranch_execz .LBB153_948
; %bb.943:
	v_mul_u32_u24_e32 v21, 0x208, v20
	ds_read_b64 v[10:11], v15 offset:29152
	ds_read_b64 v[22:23], v21 offset:29120
	v_cmp_gt_u32_e64 s[8:9], 12, v17
	s_waitcnt lgkmcnt(0)
	v_mul_f32_e32 v24, v23, v11
	v_mul_f32_e32 v11, v22, v11
	v_fma_f32 v22, v22, v10, -v24
	v_fmac_f32_e32 v11, v23, v10
	v_add_f32_e32 v10, 0, v22
	v_add_f32_e32 v11, 0, v11
	s_and_saveexec_b64 s[10:11], s[8:9]
	s_cbranch_execnz .LBB153_1107
; %bb.944:
	s_or_b64 exec, exec, s[10:11]
	v_cmp_gt_u32_e64 s[8:9], 8, v17
	s_and_saveexec_b64 s[10:11], s[8:9]
	s_cbranch_execnz .LBB153_1108
.LBB153_945:
	s_or_b64 exec, exec, s[10:11]
	v_cmp_gt_u32_e64 s[8:9], 4, v17
	s_and_saveexec_b64 s[10:11], s[8:9]
	s_cbranch_execz .LBB153_947
.LBB153_946:
	v_lshlrev_b32_e32 v19, 3, v0
	v_mov_b32_e32 v21, 0
	ds_read_b64 v[19:20], v19 offset:30688
	ds_read_b64 v[21:22], v21 offset:29144
	s_waitcnt lgkmcnt(0)
	v_mul_f32_e32 v23, v22, v20
	v_mul_f32_e32 v20, v21, v20
	v_fma_f32 v21, v21, v19, -v23
	v_fmac_f32_e32 v20, v22, v19
	v_add_f32_e32 v10, v10, v21
	v_add_f32_e32 v11, v11, v20
.LBB153_947:
	s_or_b64 exec, exec, s[10:11]
	v_xor_b32_e32 v10, 0x80000000, v10
	v_xor_b32_e32 v11, 0x80000000, v11
.LBB153_948:
	s_or_b64 exec, exec, s[0:1]
	s_and_saveexec_b64 s[0:1], s[48:49]
; %bb.949:
	ds_write_b64 v18, v[10:11]
; %bb.950:
	s_or_b64 exec, exec, s[0:1]
	s_waitcnt lgkmcnt(0)
	s_barrier
	s_and_saveexec_b64 s[0:1], s[50:51]
	s_cbranch_execz .LBB153_952
; %bb.951:
	ds_read_b64 v[19:20], v16 offset:31200
	ds_read_b64 v[21:22], v18
	s_waitcnt lgkmcnt(0)
	v_mul_f32_e32 v23, v22, v20
	v_mul_f32_e32 v20, v21, v20
	v_fma_f32 v21, v21, v19, -v23
	v_fmac_f32_e32 v20, v22, v19
	v_add_f32_e32 v10, v10, v21
	v_add_f32_e32 v11, v11, v20
.LBB153_952:
	s_or_b64 exec, exec, s[0:1]
	s_barrier
	s_and_saveexec_b64 s[0:1], s[52:53]
; %bb.953:
	ds_write_b64 v18, v[10:11]
; %bb.954:
	s_or_b64 exec, exec, s[0:1]
	s_waitcnt lgkmcnt(0)
	s_barrier
	s_and_saveexec_b64 s[0:1], s[54:55]
	s_cbranch_execz .LBB153_956
; %bb.955:
	ds_read_b64 v[19:20], v16 offset:31712
	ds_read_b64 v[21:22], v18
	s_waitcnt lgkmcnt(0)
	v_mul_f32_e32 v16, v22, v20
	v_mul_f32_e32 v20, v21, v20
	v_fma_f32 v16, v21, v19, -v16
	v_fmac_f32_e32 v20, v22, v19
	v_add_f32_e32 v10, v10, v16
	v_add_f32_e32 v11, v11, v20
.LBB153_956:
	s_or_b64 exec, exec, s[0:1]
	s_barrier
	s_and_saveexec_b64 s[0:1], s[56:57]
; %bb.957:
	ds_write_b64 v18, v[10:11]
; %bb.958:
	s_or_b64 exec, exec, s[0:1]
	s_waitcnt lgkmcnt(0)
	s_barrier
	s_and_saveexec_b64 s[0:1], s[46:47]
	s_cbranch_execz .LBB153_960
; %bb.959:
	v_mov_b32_e32 v16, 0
	ds_read_b64 v[19:20], v16 offset:32248
	ds_read_b64 v[21:22], v18
	s_waitcnt lgkmcnt(0)
	v_mul_f32_e32 v16, v22, v20
	v_mul_f32_e32 v20, v21, v20
	v_fma_f32 v16, v21, v19, -v16
	v_fmac_f32_e32 v20, v22, v19
	v_add_f32_e32 v10, v10, v16
	v_add_f32_e32 v11, v11, v20
.LBB153_960:
	s_or_b64 exec, exec, s[0:1]
	s_barrier
	s_and_saveexec_b64 s[0:1], s[46:47]
; %bb.961:
	ds_write_b64 v18, v[10:11]
; %bb.962:
	s_or_b64 exec, exec, s[0:1]
	s_waitcnt lgkmcnt(0)
	s_barrier
	s_barrier
	s_and_saveexec_b64 s[0:1], s[18:19]
; %bb.963:
	v_xor_b32_e32 v10, 0x80000000, v10
	v_xor_b32_e32 v11, 0x80000000, v11
	ds_write_b64 v15, v[10:11] offset:29152
; %bb.964:
	s_or_b64 exec, exec, s[0:1]
	s_waitcnt lgkmcnt(0)
	s_barrier
	s_barrier
	s_and_saveexec_b64 s[0:1], s[58:59]
	s_cbranch_execz .LBB153_966
; %bb.965:
	v_lshlrev_b32_e32 v15, 9, v0
	ds_read_b64 v[10:11], v15 offset:29152
	s_movk_i32 s8, 0xfe08
	v_mad_i32_i24 v16, v0, s8, v15
	s_waitcnt lgkmcnt(0)
	ds_write_b64 v16, v[10:11] offset:31168
	ds_read_b64 v[10:11], v15 offset:29160
	s_waitcnt lgkmcnt(0)
	ds_write_b64 v16, v[10:11] offset:31680
	ds_read_b64 v[10:11], v15 offset:29168
	s_waitcnt lgkmcnt(0)
	ds_write_b64 v16, v[10:11] offset:32192
	ds_read_b64 v[10:11], v15 offset:29176
	s_waitcnt lgkmcnt(0)
	ds_write_b64 v16, v[10:11] offset:32704
.LBB153_966:
	s_or_b64 exec, exec, s[0:1]
	s_waitcnt lgkmcnt(0)
	s_barrier
	s_and_saveexec_b64 s[0:1], vcc
	s_cbranch_execz .LBB153_968
; %bb.967:
	v_mov_b32_e32 v18, 0
	ds_read_b64 v[10:11], v18 offset:31208
	s_mov_b64 s[8:9], 0x3f800000
	v_mov_b32_e32 v16, s9
	v_mov_b32_e32 v15, s8
	s_movk_i32 s8, 0x1e0
	ds_write_b64 v18, v[15:16] offset:31720
	v_add_u32_e64 v18, s8, 0
	s_waitcnt lgkmcnt(1)
	ds_write2st64_b64 v18, v[15:16], v[10:11] offset0:60 offset1:61
.LBB153_968:
	s_or_b64 exec, exec, s[0:1]
	v_mov_b32_e32 v11, 0
	v_mov_b32_e32 v10, 0
	s_waitcnt lgkmcnt(0)
	s_barrier
	s_and_saveexec_b64 s[0:1], s[2:3]
	s_cbranch_execz .LBB153_972
; %bb.969:
	v_mul_u32_u24_e32 v14, 0x208, v14
	ds_read_b64 v[10:11], v12 offset:31216
	ds_read_b64 v[14:15], v14 offset:31200
	v_cmp_gt_u32_e64 s[8:9], 2, v17
	s_waitcnt lgkmcnt(0)
	v_mul_f32_e32 v16, v15, v11
	v_mul_f32_e32 v11, v14, v11
	v_fma_f32 v14, v14, v10, -v16
	v_fmac_f32_e32 v11, v15, v10
	v_add_f32_e32 v10, 0, v14
	v_add_f32_e32 v11, 0, v11
	s_and_saveexec_b64 s[10:11], s[8:9]
	s_cbranch_execz .LBB153_971
; %bb.970:
	v_lshlrev_b32_e32 v14, 3, v0
	v_mov_b32_e32 v16, 0
	ds_read_b64 v[14:15], v14 offset:31728
	ds_read_b64 v[18:19], v16 offset:31208
	s_waitcnt lgkmcnt(0)
	v_mul_f32_e32 v16, v19, v15
	v_mul_f32_e32 v15, v18, v15
	v_fma_f32 v16, v18, v14, -v16
	v_fmac_f32_e32 v15, v19, v14
	v_add_f32_e32 v10, v10, v16
	v_add_f32_e32 v11, v11, v15
.LBB153_971:
	s_or_b64 exec, exec, s[10:11]
	v_xor_b32_e32 v10, 0x80000000, v10
	v_xor_b32_e32 v11, 0x80000000, v11
.LBB153_972:
	s_or_b64 exec, exec, s[0:1]
	s_and_saveexec_b64 s[0:1], s[42:43]
; %bb.973:
	ds_write_b64 v13, v[10:11]
; %bb.974:
	s_or_b64 exec, exec, s[0:1]
	s_waitcnt lgkmcnt(0)
	s_barrier
	s_and_saveexec_b64 s[0:1], s[40:41]
	v_readlane_b32 s16, v42, 2
	v_readlane_b32 s42, v42, 0
	;; [unrolled: 1-line block ×4, first 2 shown]
	s_cbranch_execz .LBB153_976
; %bb.975:
	v_mov_b32_e32 v14, 0
	ds_read_b64 v[14:15], v14 offset:32248
	ds_read_b64 v[18:19], v13
	s_waitcnt lgkmcnt(0)
	v_mul_f32_e32 v16, v19, v15
	v_mul_f32_e32 v15, v18, v15
	v_fma_f32 v16, v18, v14, -v16
	v_fmac_f32_e32 v15, v19, v14
	v_add_f32_e32 v10, v10, v16
	v_add_f32_e32 v11, v11, v15
.LBB153_976:
	s_or_b64 exec, exec, s[0:1]
	s_barrier
	s_and_saveexec_b64 s[0:1], s[40:41]
; %bb.977:
	ds_write_b64 v13, v[10:11]
; %bb.978:
	s_or_b64 exec, exec, s[0:1]
	s_waitcnt lgkmcnt(0)
	s_barrier
	s_barrier
	s_and_saveexec_b64 s[0:1], s[2:3]
; %bb.979:
	v_xor_b32_e32 v11, 0x80000000, v11
	v_xor_b32_e32 v10, 0x80000000, v10
	ds_write_b64 v12, v[10:11] offset:31216
; %bb.980:
	s_or_b64 exec, exec, s[0:1]
	s_waitcnt lgkmcnt(0)
	s_barrier
	s_barrier
	s_and_saveexec_b64 s[0:1], s[44:45]
	s_cbranch_execz .LBB153_982
; %bb.981:
	v_lshlrev_b32_e32 v12, 3, v0
	s_movk_i32 s2, 0x1f8
	v_mad_u32_u24 v13, v0, s2, v12
	ds_read_b64 v[10:11], v13 offset:31216
	s_waitcnt lgkmcnt(0)
	ds_write_b64 v12, v[10:11] offset:32224
	ds_read_b64 v[10:11], v13 offset:31224
	s_waitcnt lgkmcnt(0)
	ds_write_b64 v12, v[10:11] offset:32736
.LBB153_982:
	s_or_b64 exec, exec, s[0:1]
	s_waitcnt lgkmcnt(0)
	s_barrier
	s_and_saveexec_b64 s[0:1], vcc
	s_cbranch_execz .LBB153_984
; %bb.983:
	v_mov_b32_e32 v14, 0
	ds_read_b64 v[10:11], v14 offset:32248
	s_mov_b64 s[2:3], 0x3f800000
	v_mov_b32_e32 v13, s3
	v_mov_b32_e32 v12, s2
	s_movk_i32 s2, 0x1f0
	ds_write_b64 v14, v[12:13] offset:32760
	v_add_u32_e64 v14, s2, 0
	s_waitcnt lgkmcnt(1)
	ds_write2st64_b64 v14, v[12:13], v[10:11] offset0:62 offset1:63
.LBB153_984:
	s_or_b64 exec, exec, s[0:1]
.LBB153_985:
	s_lshl_b64 s[0:1], s[24:25], 3
	s_add_u32 s20, s38, s0
	v_cmp_le_i32_e32 vcc, s90, v0
	s_addc_u32 s21, s39, s1
	s_and_b64 s[14:15], vcc, s[22:23]
	v_cmp_eq_u32_e64 s[2:3], 0, v1
	s_xor_b64 s[0:1], s[14:15], -1
	v_mov_b32_e32 v10, 0
	s_and_b64 s[8:9], s[2:3], s[0:1]
	v_lshl_add_u32 v12, s33, 6, v0
	v_mov_b32_e32 v11, v10
	s_waitcnt lgkmcnt(0)
	s_barrier
	s_and_saveexec_b64 s[0:1], s[8:9]
	s_cbranch_execz .LBB153_987
; %bb.986:
	v_ashrrev_i32_e32 v13, 31, v12
	v_mul_lo_u32 v14, s27, v12
	v_mad_u64_u32 v[10:11], s[8:9], s26, v12, 0
	v_mul_lo_u32 v13, s26, v13
	v_add3_u32 v11, v11, v13, v14
	v_lshlrev_b64 v[10:11], 3, v[10:11]
	v_mov_b32_e32 v13, s21
	v_add_co_u32_e32 v10, vcc, s20, v10
	v_addc_co_u32_e32 v11, vcc, v13, v11, vcc
	flat_load_dwordx2 v[13:14], v[10:11]
	s_waitcnt vmcnt(0) lgkmcnt(0)
	v_mul_f32_e32 v10, s16, v13
	v_mul_f32_e32 v11, s16, v14
	v_fma_f32 v10, s17, v14, -v10
	v_fma_f32 v11, v13, -s17, -v11
.LBB153_987:
	s_or_b64 exec, exec, s[0:1]
	s_load_dwordx2 s[0:1], s[4:5], 0x50
	s_and_b32 s4, 0xffff, s37
	v_mad_u32_u24 v18, v1, s4, v0
	s_cmp_lt_i32 s6, 1
	v_cmp_eq_u32_e64 s[4:5], 0, v18
	s_cbranch_scc1 .LBB153_1022
; %bb.988:
	v_ashrrev_i32_e32 v15, 31, v12
	v_mul_lo_u32 v16, s35, v12
	v_mad_u64_u32 v[13:14], s[8:9], s34, v12, 0
	v_mul_lo_u32 v15, s34, v15
	s_lshl_b64 s[8:9], s[28:29], 2
	s_waitcnt lgkmcnt(0)
	s_add_u32 s16, s0, s8
	s_addc_u32 s17, s1, s9
	v_add3_u32 v14, v14, v15, v16
	v_cmp_gt_i32_e64 s[8:9], s30, v12
	v_lshlrev_b64 v[12:13], 3, v[13:14]
	v_mov_b32_e32 v15, 0xa000
	v_mov_b32_e32 v14, s36
	v_add_co_u32_e32 v21, vcc, s91, v12
	s_mov_b32 s24, 0
	v_cmp_gt_u32_e64 s[12:13], 64, v18
	v_lshl_add_u32 v19, v18, 3, v15
	v_lshl_or_b32 v20, v1, 3, v15
	s_add_i32 s25, s33, 1
	v_addc_co_u32_e32 v22, vcc, v14, v13, vcc
	v_mov_b32_e32 v23, -1
	v_mov_b32_e32 v12, 0
	s_branch .LBB153_991
.LBB153_989:                            ;   in Loop: Header=BB153_991 Depth=1
	ds_read_b64 v[13:14], v20 offset:384
	s_waitcnt vmcnt(0) lgkmcnt(0)
	v_mul_f32_e32 v24, v16, v14
	v_mul_f32_e32 v16, v16, v13
	v_fmac_f32_e32 v24, v15, v13
	v_fma_f32 v13, v15, v14, -v16
	v_add_f32_e32 v10, v10, v24
	v_add_f32_e32 v11, v11, v13
.LBB153_990:                            ;   in Loop: Header=BB153_991 Depth=1
	s_or_b64 exec, exec, s[18:19]
	s_add_i32 s24, s24, 1
	s_cmp_eq_u32 s24, s6
	s_cbranch_scc1 .LBB153_1022
.LBB153_991:                            ; =>This Loop Header: Depth=1
                                        ;     Child Loop BB153_993 Depth 2
	v_cmp_gt_i32_e32 vcc, s24, v23
	s_and_b64 s[18:19], s[4:5], vcc
	s_and_saveexec_b64 s[10:11], s[18:19]
	s_cbranch_execz .LBB153_994
; %bb.992:                              ;   in Loop: Header=BB153_991 Depth=1
	global_load_dword v23, v12, s[16:17]
	s_waitcnt vmcnt(0)
	v_cmp_le_i32_e32 vcc, s24, v23
	s_cbranch_vccnz .LBB153_994
.LBB153_993:                            ;   Parent Loop BB153_991 Depth=1
                                        ; =>  This Inner Loop Header: Depth=2
	buffer_wbinvl1_vol
	global_load_dword v23, v12, s[16:17]
	s_waitcnt vmcnt(0)
	v_cmp_gt_i32_e32 vcc, s24, v23
	s_cbranch_vccnz .LBB153_993
.LBB153_994:                            ;   in Loop: Header=BB153_991 Depth=1
	s_or_b64 exec, exec, s[10:11]
	s_sub_i32 s34, s7, s24
	s_lshl_b32 s35, s34, 6
	buffer_wbinvl1_vol
	s_barrier
	s_and_saveexec_b64 s[10:11], s[12:13]
	s_cbranch_execz .LBB153_999
; %bb.995:                              ;   in Loop: Header=BB153_991 Depth=1
	s_ashr_i32 s18, s35, 31
	v_mov_b32_e32 v14, s18
	v_or_b32_e32 v13, s35, v18
	v_cmp_le_i64_e32 vcc, s[30:31], v[13:14]
	s_and_saveexec_b64 s[18:19], vcc
	s_xor_b64 s[18:19], exec, s[18:19]
; %bb.996:                              ;   in Loop: Header=BB153_991 Depth=1
	v_mov_b32_e32 v13, v12
	ds_write_b64 v19, v[12:13]
                                        ; implicit-def: $vgpr13_vgpr14
; %bb.997:                              ;   in Loop: Header=BB153_991 Depth=1
	s_andn2_saveexec_b64 s[18:19], s[18:19]
	s_cbranch_execz .LBB153_999
; %bb.998:                              ;   in Loop: Header=BB153_991 Depth=1
	v_mul_lo_u32 v15, v14, s26
	v_mul_lo_u32 v16, v13, s27
	v_mad_u64_u32 v[13:14], s[18:19], v13, s26, 0
	v_add3_u32 v14, v14, v16, v15
	v_lshlrev_b64 v[13:14], 3, v[13:14]
	v_mov_b32_e32 v15, s21
	v_add_co_u32_e32 v13, vcc, s20, v13
	v_addc_co_u32_e32 v14, vcc, v15, v14, vcc
	flat_load_dwordx2 v[13:14], v[13:14]
	s_waitcnt vmcnt(0) lgkmcnt(0)
	ds_write_b64 v19, v[13:14]
.LBB153_999:                            ;   in Loop: Header=BB153_991 Depth=1
	s_or_b64 exec, exec, s[10:11]
	v_add_u32_e32 v15, s35, v1
	v_ashrrev_i32_e32 v16, 31, v15
	v_lshlrev_b64 v[13:14], 3, v[15:16]
	s_cmp_lg_u32 s34, s25
	v_add_co_u32_e32 v13, vcc, v21, v13
	s_cselect_b64 s[10:11], -1, 0
	v_addc_co_u32_e32 v14, vcc, v22, v14, vcc
	v_cmp_gt_i32_e32 vcc, s30, v15
	v_cndmask_b32_e64 v16, 0, 1, s[10:11]
	s_and_b64 s[34:35], vcc, s[8:9]
	v_cmp_ne_u32_e64 s[10:11], 1, v16
	s_waitcnt lgkmcnt(0)
	s_barrier
	s_and_saveexec_b64 s[18:19], s[34:35]
	s_cbranch_execz .LBB153_1005
; %bb.1000:                             ;   in Loop: Header=BB153_991 Depth=1
	s_and_b64 vcc, exec, s[10:11]
	v_mov_b32_e32 v16, v4
	s_cbranch_vccnz .LBB153_1002
; %bb.1001:                             ;   in Loop: Header=BB153_991 Depth=1
	flat_load_dword v16, v[13:14]
.LBB153_1002:                           ;   in Loop: Header=BB153_991 Depth=1
	s_and_b64 vcc, exec, s[10:11]
	v_mov_b32_e32 v24, v5
	s_cbranch_vccnz .LBB153_1004
; %bb.1003:                             ;   in Loop: Header=BB153_991 Depth=1
	flat_load_dword v24, v[13:14] offset:4
.LBB153_1004:                           ;   in Loop: Header=BB153_991 Depth=1
	ds_read_b64 v[25:26], v20
	s_waitcnt vmcnt(0) lgkmcnt(0)
	v_mul_f32_e32 v27, v24, v26
	v_mul_f32_e32 v24, v24, v25
	v_fmac_f32_e32 v27, v16, v25
	v_fma_f32 v16, v16, v26, -v24
	v_add_f32_e32 v10, v10, v27
	v_add_f32_e32 v11, v11, v16
.LBB153_1005:                           ;   in Loop: Header=BB153_991 Depth=1
	s_or_b64 exec, exec, s[18:19]
	v_add_u32_e32 v16, 16, v15
	v_cmp_gt_i32_e32 vcc, s30, v16
	s_and_b64 s[34:35], vcc, s[8:9]
	s_and_saveexec_b64 s[18:19], s[34:35]
	s_cbranch_execz .LBB153_1011
; %bb.1006:                             ;   in Loop: Header=BB153_991 Depth=1
	s_and_b64 vcc, exec, s[10:11]
	v_mov_b32_e32 v16, v2
	s_cbranch_vccnz .LBB153_1008
; %bb.1007:                             ;   in Loop: Header=BB153_991 Depth=1
	flat_load_dword v16, v[13:14] offset:128
.LBB153_1008:                           ;   in Loop: Header=BB153_991 Depth=1
	s_and_b64 vcc, exec, s[10:11]
	v_mov_b32_e32 v24, v3
	s_cbranch_vccnz .LBB153_1010
; %bb.1009:                             ;   in Loop: Header=BB153_991 Depth=1
	flat_load_dword v24, v[13:14] offset:132
.LBB153_1010:                           ;   in Loop: Header=BB153_991 Depth=1
	ds_read_b64 v[25:26], v20 offset:128
	s_waitcnt vmcnt(0) lgkmcnt(0)
	v_mul_f32_e32 v27, v24, v26
	v_mul_f32_e32 v24, v24, v25
	v_fmac_f32_e32 v27, v16, v25
	v_fma_f32 v16, v16, v26, -v24
	v_add_f32_e32 v10, v10, v27
	v_add_f32_e32 v11, v11, v16
.LBB153_1011:                           ;   in Loop: Header=BB153_991 Depth=1
	s_or_b64 exec, exec, s[18:19]
	v_add_u32_e32 v16, 32, v15
	v_cmp_gt_i32_e32 vcc, s30, v16
	s_and_b64 s[34:35], vcc, s[8:9]
	s_and_saveexec_b64 s[18:19], s[34:35]
	s_cbranch_execz .LBB153_1017
; %bb.1012:                             ;   in Loop: Header=BB153_991 Depth=1
	s_and_b64 vcc, exec, s[10:11]
	v_mov_b32_e32 v16, v8
	s_cbranch_vccnz .LBB153_1014
; %bb.1013:                             ;   in Loop: Header=BB153_991 Depth=1
	flat_load_dword v16, v[13:14] offset:256
.LBB153_1014:                           ;   in Loop: Header=BB153_991 Depth=1
	s_and_b64 vcc, exec, s[10:11]
	v_mov_b32_e32 v24, v9
	s_cbranch_vccnz .LBB153_1016
; %bb.1015:                             ;   in Loop: Header=BB153_991 Depth=1
	flat_load_dword v24, v[13:14] offset:260
.LBB153_1016:                           ;   in Loop: Header=BB153_991 Depth=1
	ds_read_b64 v[25:26], v20 offset:256
	s_waitcnt vmcnt(0) lgkmcnt(0)
	v_mul_f32_e32 v27, v24, v26
	v_mul_f32_e32 v24, v24, v25
	v_fmac_f32_e32 v27, v16, v25
	v_fma_f32 v16, v16, v26, -v24
	v_add_f32_e32 v10, v10, v27
	v_add_f32_e32 v11, v11, v16
.LBB153_1017:                           ;   in Loop: Header=BB153_991 Depth=1
	s_or_b64 exec, exec, s[18:19]
	v_add_u32_e32 v15, 48, v15
	v_cmp_gt_i32_e32 vcc, s30, v15
	s_and_b64 s[34:35], vcc, s[8:9]
	s_and_saveexec_b64 s[18:19], s[34:35]
	s_cbranch_execz .LBB153_990
; %bb.1018:                             ;   in Loop: Header=BB153_991 Depth=1
	s_and_b64 vcc, exec, s[10:11]
	v_mov_b32_e32 v15, v6
	s_cbranch_vccnz .LBB153_1020
; %bb.1019:                             ;   in Loop: Header=BB153_991 Depth=1
	flat_load_dword v15, v[13:14] offset:384
.LBB153_1020:                           ;   in Loop: Header=BB153_991 Depth=1
	s_and_b64 vcc, exec, s[10:11]
	v_mov_b32_e32 v16, v7
	s_cbranch_vccnz .LBB153_989
; %bb.1021:                             ;   in Loop: Header=BB153_991 Depth=1
	flat_load_dword v16, v[13:14] offset:388
	s_branch .LBB153_989
.LBB153_1022:
	s_xor_b64 s[4:5], s[22:23], -1
	v_lshlrev_b32_e32 v4, 3, v17
	ds_write_b64 v4, v[10:11] offset:32768
	s_waitcnt lgkmcnt(0)
	s_barrier
	s_and_saveexec_b64 s[6:7], s[2:3]
	s_cbranch_execz .LBB153_1024
; %bb.1023:
	v_lshlrev_b32_e32 v16, 3, v0
	ds_read2st64_b64 v[5:8], v16 offset0:65 offset1:66
	ds_read2st64_b64 v[12:15], v16 offset0:67 offset1:68
	ds_read_b64 v[2:3], v16 offset:40448
	s_waitcnt lgkmcnt(2)
	v_add_f32_e32 v5, v10, v5
	v_add_f32_e32 v6, v11, v6
	;; [unrolled: 1-line block ×4, first 2 shown]
	ds_read2st64_b64 v[5:8], v16 offset0:69 offset1:70
	s_waitcnt lgkmcnt(2)
	v_add_f32_e32 v9, v9, v12
	v_add_f32_e32 v10, v10, v13
	;; [unrolled: 1-line block ×4, first 2 shown]
	s_waitcnt lgkmcnt(0)
	v_add_f32_e32 v5, v9, v5
	ds_read2st64_b64 v[9:12], v16 offset0:71 offset1:72
	v_add_f32_e32 v6, v13, v6
	v_add_f32_e32 v13, v5, v7
	;; [unrolled: 1-line block ×3, first 2 shown]
	ds_read2st64_b64 v[5:8], v16 offset0:73 offset1:74
	s_waitcnt lgkmcnt(1)
	v_add_f32_e32 v9, v13, v9
	v_add_f32_e32 v10, v14, v10
	v_add_f32_e32 v9, v9, v11
	v_add_f32_e32 v13, v10, v12
	s_waitcnt lgkmcnt(0)
	v_add_f32_e32 v5, v9, v5
	ds_read2st64_b64 v[9:12], v16 offset0:75 offset1:76
	v_add_f32_e32 v6, v13, v6
	v_add_f32_e32 v13, v5, v7
	;; [unrolled: 1-line block ×3, first 2 shown]
	ds_read2st64_b64 v[5:8], v16 offset0:77 offset1:78
	s_waitcnt lgkmcnt(1)
	v_add_f32_e32 v9, v13, v9
	v_add_f32_e32 v10, v14, v10
	;; [unrolled: 1-line block ×4, first 2 shown]
	s_waitcnt lgkmcnt(0)
	v_add_f32_e32 v5, v9, v5
	v_add_f32_e32 v6, v10, v6
	;; [unrolled: 1-line block ×6, first 2 shown]
	v_cndmask_b32_e64 v10, -v2, 0, s[14:15]
	v_cndmask_b32_e64 v11, -v3, 0, s[14:15]
.LBB153_1024:
	s_or_b64 exec, exec, s[6:7]
	s_and_b64 vcc, exec, s[42:43]
	s_cbranch_vccnz .LBB153_1037
; %bb.1025:
	v_mov_b32_e32 v2, 0xa000
	v_lshl_or_b32 v5, v1, 3, v2
	s_and_saveexec_b64 s[6:7], s[2:3]
; %bb.1026:
	v_lshl_add_u32 v2, v0, 3, v5
	ds_write_b64 v2, v[10:11]
; %bb.1027:
	s_or_b64 exec, exec, s[6:7]
	v_cmp_le_u32_e32 vcc, v0, v1
	v_mov_b32_e32 v2, 0
	v_mov_b32_e32 v3, 0
	s_waitcnt lgkmcnt(0)
	s_barrier
	s_and_saveexec_b64 s[6:7], vcc
	s_cbranch_execz .LBB153_1029
; %bb.1028:
	ds_read_b64 v[2:3], v4
	ds_read_b64 v[6:7], v5
	s_waitcnt lgkmcnt(0)
	v_mul_f32_e32 v8, v7, v3
	v_mul_f32_e32 v3, v6, v3
	v_fma_f32 v6, v6, v2, -v8
	v_fmac_f32_e32 v3, v7, v2
	v_add_f32_e32 v2, 0, v6
	v_add_f32_e32 v3, 0, v3
.LBB153_1029:
	s_or_b64 exec, exec, s[6:7]
	v_add_u32_e32 v6, 16, v1
	v_cmp_le_u32_e32 vcc, v0, v6
	s_and_saveexec_b64 s[6:7], vcc
	s_cbranch_execz .LBB153_1031
; %bb.1030:
	ds_read_b64 v[6:7], v4 offset:8192
	ds_read_b64 v[8:9], v5 offset:128
	s_waitcnt lgkmcnt(0)
	v_mul_f32_e32 v12, v9, v7
	v_mul_f32_e32 v7, v8, v7
	v_fma_f32 v8, v8, v6, -v12
	v_fmac_f32_e32 v7, v9, v6
	v_add_f32_e32 v2, v2, v8
	v_add_f32_e32 v3, v3, v7
.LBB153_1031:
	s_or_b64 exec, exec, s[6:7]
	v_add_u32_e32 v6, 32, v1
	v_cmp_le_u32_e32 vcc, v0, v6
	s_and_saveexec_b64 s[6:7], vcc
	s_cbranch_execz .LBB153_1033
; %bb.1032:
	ds_read_b64 v[6:7], v4 offset:16384
	ds_read_b64 v[8:9], v5 offset:256
	s_waitcnt lgkmcnt(0)
	v_mul_f32_e32 v12, v9, v7
	v_mul_f32_e32 v7, v8, v7
	v_fma_f32 v8, v8, v6, -v12
	v_fmac_f32_e32 v7, v9, v6
	v_add_f32_e32 v2, v2, v8
	v_add_f32_e32 v3, v3, v7
.LBB153_1033:
	s_or_b64 exec, exec, s[6:7]
	v_add_u32_e32 v1, 48, v1
	v_add_u32_e32 v6, 0x8000, v4
	v_cmp_le_u32_e32 vcc, v0, v1
	s_and_saveexec_b64 s[6:7], vcc
	s_cbranch_execz .LBB153_1035
; %bb.1034:
	ds_read_b64 v[7:8], v4 offset:24576
	ds_read_b64 v[4:5], v5 offset:384
	s_waitcnt lgkmcnt(0)
	v_mul_f32_e32 v1, v5, v8
	v_mul_f32_e32 v8, v4, v8
	v_fma_f32 v1, v4, v7, -v1
	v_fmac_f32_e32 v8, v5, v7
	v_add_f32_e32 v2, v2, v1
	v_add_f32_e32 v3, v3, v8
.LBB153_1035:
	s_or_b64 exec, exec, s[6:7]
	s_mov_b64 s[8:9], 0
	s_mov_b64 s[6:7], 0
	ds_write_b64 v6, v[2:3]
	s_waitcnt lgkmcnt(0)
	s_barrier
                                        ; implicit-def: $vgpr1
                                        ; implicit-def: $vgpr4
	s_and_saveexec_b64 s[10:11], s[2:3]
	s_cbranch_execz .LBB153_1055
; %bb.1036:
	v_lshlrev_b32_e32 v9, 3, v0
	ds_read2st64_b64 v[4:7], v9 offset0:65 offset1:66
	ds_read2st64_b64 v[12:15], v9 offset0:67 offset1:68
	ds_read_b64 v[16:17], v9 offset:40448
	s_mov_b64 s[6:7], exec
	s_waitcnt lgkmcnt(2)
	v_add_f32_e32 v1, v2, v4
	v_add_f32_e32 v2, v3, v5
	;; [unrolled: 1-line block ×4, first 2 shown]
	ds_read2st64_b64 v[1:4], v9 offset0:69 offset1:70
	s_waitcnt lgkmcnt(2)
	v_add_f32_e32 v5, v5, v12
	v_add_f32_e32 v6, v6, v13
	;; [unrolled: 1-line block ×4, first 2 shown]
	s_waitcnt lgkmcnt(0)
	v_add_f32_e32 v1, v5, v1
	ds_read2st64_b64 v[5:8], v9 offset0:71 offset1:72
	v_add_f32_e32 v2, v12, v2
	v_add_f32_e32 v12, v1, v3
	;; [unrolled: 1-line block ×3, first 2 shown]
	ds_read2st64_b64 v[1:4], v9 offset0:73 offset1:74
	s_waitcnt lgkmcnt(1)
	v_add_f32_e32 v5, v12, v5
	v_add_f32_e32 v6, v13, v6
	;; [unrolled: 1-line block ×4, first 2 shown]
	s_waitcnt lgkmcnt(0)
	v_add_f32_e32 v1, v5, v1
	ds_read2st64_b64 v[5:8], v9 offset0:75 offset1:76
	v_add_f32_e32 v2, v12, v2
	v_add_f32_e32 v12, v1, v3
	v_add_f32_e32 v13, v2, v4
	ds_read2st64_b64 v[1:4], v9 offset0:77 offset1:78
	s_waitcnt lgkmcnt(1)
	v_add_f32_e32 v5, v12, v5
	v_add_f32_e32 v6, v13, v6
	;; [unrolled: 1-line block ×4, first 2 shown]
	s_waitcnt lgkmcnt(0)
	v_add_f32_e32 v1, v5, v1
	v_add_f32_e32 v2, v6, v2
	;; [unrolled: 1-line block ×6, first 2 shown]
	s_or_b64 exec, exec, s[10:11]
	s_and_b64 vcc, exec, s[8:9]
	s_cbranch_vccnz .LBB153_1038
	s_branch .LBB153_1056
.LBB153_1037:
	s_mov_b64 s[6:7], 0
                                        ; implicit-def: $vgpr1
                                        ; implicit-def: $vgpr4
	s_cbranch_execz .LBB153_1056
.LBB153_1038:
	v_mov_b32_e32 v1, 0x7c00
	v_lshl_add_u32 v1, v0, 3, v1
	v_mov_b32_e32 v3, 63
	v_mov_b32_e32 v2, 0
	s_branch .LBB153_1040
.LBB153_1039:                           ;   in Loop: Header=BB153_1040 Depth=1
	s_or_b64 exec, exec, s[8:9]
	v_subrev_co_u32_e32 v3, vcc, 1, v3
	s_andn2_b64 vcc, exec, vcc
	v_add_u32_e32 v1, 0xfffffc00, v1
	s_barrier
	s_cbranch_vccz .LBB153_1048
.LBB153_1040:                           ; =>This Inner Loop Header: Depth=1
	v_cmp_eq_u32_e32 vcc, v0, v3
	s_and_b64 s[10:11], s[2:3], vcc
	s_and_saveexec_b64 s[8:9], s[10:11]
; %bb.1041:                             ;   in Loop: Header=BB153_1040 Depth=1
	ds_write_b64 v2, v[10:11] offset:41472
; %bb.1042:                             ;   in Loop: Header=BB153_1040 Depth=1
	s_or_b64 exec, exec, s[8:9]
	v_cmp_lt_u32_e32 vcc, v0, v3
	s_and_b64 s[10:11], s[2:3], vcc
	s_waitcnt lgkmcnt(0)
	s_barrier
	s_and_saveexec_b64 s[8:9], s[10:11]
	s_cbranch_execz .LBB153_1044
; %bb.1043:                             ;   in Loop: Header=BB153_1040 Depth=1
	ds_read_b64 v[4:5], v1 offset:512
	ds_read_b64 v[6:7], v2 offset:41472
	s_waitcnt lgkmcnt(0)
	v_mul_f32_e32 v8, v7, v5
	v_mul_f32_e32 v5, v6, v5
	v_fma_f32 v6, v6, v4, -v8
	v_fmac_f32_e32 v5, v7, v4
	v_add_f32_e32 v10, v10, v6
	v_add_f32_e32 v11, v11, v5
.LBB153_1044:                           ;   in Loop: Header=BB153_1040 Depth=1
	s_or_b64 exec, exec, s[8:9]
	v_add_u32_e32 v3, -1, v3
	v_cmp_eq_u32_e32 vcc, v0, v3
	s_and_b64 s[10:11], s[2:3], vcc
	s_barrier
	s_and_saveexec_b64 s[8:9], s[10:11]
; %bb.1045:                             ;   in Loop: Header=BB153_1040 Depth=1
	ds_write_b64 v2, v[10:11] offset:41472
; %bb.1046:                             ;   in Loop: Header=BB153_1040 Depth=1
	s_or_b64 exec, exec, s[8:9]
	v_cmp_lt_u32_e32 vcc, v0, v3
	s_and_b64 s[10:11], s[2:3], vcc
	s_waitcnt lgkmcnt(0)
	s_barrier
	s_and_saveexec_b64 s[8:9], s[10:11]
	s_cbranch_execz .LBB153_1039
; %bb.1047:                             ;   in Loop: Header=BB153_1040 Depth=1
	ds_read_b64 v[4:5], v1
	ds_read_b64 v[6:7], v2 offset:41472
	s_waitcnt lgkmcnt(0)
	v_mul_f32_e32 v8, v7, v5
	v_mul_f32_e32 v5, v6, v5
	v_fma_f32 v6, v6, v4, -v8
	v_fmac_f32_e32 v5, v7, v4
	v_add_f32_e32 v10, v10, v6
	v_add_f32_e32 v11, v11, v5
	s_branch .LBB153_1039
.LBB153_1048:
	s_mov_b64 s[8:9], -1
	s_and_b64 vcc, exec, s[4:5]
	s_cbranch_vccnz .LBB153_1057
; %bb.1049:
	s_andn2_b64 vcc, exec, s[8:9]
	s_cbranch_vccz .LBB153_1058
.LBB153_1050:
	s_and_saveexec_b64 s[2:3], s[6:7]
	s_cbranch_execz .LBB153_1052
.LBB153_1051:
	s_lshl_b32 s4, s33, 6
	s_ashr_i32 s5, s4, 31
	v_mov_b32_e32 v0, s5
	v_add_co_u32_e32 v1, vcc, s4, v18
	v_addc_co_u32_e32 v0, vcc, 0, v0, vcc
	v_mul_lo_u32 v2, v0, s26
	v_mul_lo_u32 v3, v1, s27
	v_mad_u64_u32 v[0:1], s[4:5], v1, s26, 0
	v_add3_u32 v1, v1, v3, v2
	v_lshlrev_b64 v[0:1], 3, v[0:1]
	v_mov_b32_e32 v2, s21
	v_add_co_u32_e32 v0, vcc, s20, v0
	v_addc_co_u32_e32 v1, vcc, v2, v1, vcc
	flat_store_dwordx2 v[0:1], v[10:11]
.LBB153_1052:
	s_or_b64 exec, exec, s[2:3]
	v_cmp_eq_u32_e32 vcc, 0, v18
	s_waitcnt vmcnt(0) lgkmcnt(0)
	buffer_wbinvl1_vol
	s_barrier
	s_and_saveexec_b64 s[2:3], vcc
	s_cbranch_execz .LBB153_1054
; %bb.1053:
	s_lshl_b64 s[4:5], s[28:29], 2
	s_add_u32 s0, s0, s4
	s_addc_u32 s1, s1, s5
	v_mov_b32_e32 v0, 0
	global_load_dword v1, v0, s[0:1]
	s_waitcnt vmcnt(0)
	v_add_u32_e32 v1, 1, v1
	global_store_dword v0, v1, s[0:1]
.LBB153_1054:
	s_or_b64 exec, exec, s[2:3]
	s_waitcnt vmcnt(0)
	buffer_wbinvl1_vol
	s_endpgm
.LBB153_1055:
	s_or_b64 exec, exec, s[10:11]
	s_and_b64 vcc, exec, s[8:9]
	s_cbranch_vccnz .LBB153_1038
.LBB153_1056:
	v_mov_b32_e32 v11, v1
	v_mov_b32_e32 v10, v4
	s_and_saveexec_b64 s[2:3], s[6:7]
	s_cbranch_execnz .LBB153_1051
	s_branch .LBB153_1052
.LBB153_1057:
	s_andn2_b64 s[4:5], s[6:7], exec
	s_and_b64 s[6:7], s[2:3], exec
	s_or_b64 s[6:7], s[4:5], s[6:7]
	s_cbranch_execnz .LBB153_1050
.LBB153_1058:
	v_cmp_gt_i32_e32 vcc, s90, v0
	s_and_b64 s[2:3], s[2:3], vcc
	s_andn2_b64 s[4:5], s[6:7], exec
	s_and_b64 s[2:3], s[2:3], exec
	s_or_b64 s[6:7], s[4:5], s[2:3]
	s_and_saveexec_b64 s[2:3], s[6:7]
	s_cbranch_execnz .LBB153_1051
	s_branch .LBB153_1052
.LBB153_1059:
	v_lshlrev_b32_e32 v21, 3, v20
	v_sub_u32_e32 v21, v18, v21
	v_lshl_add_u32 v21, v19, 3, v21
	ds_read_b64 v[21:22], v21 offset:544
	ds_read_b64 v[23:24], v18 offset:8
	s_waitcnt lgkmcnt(0)
	v_mul_f32_e32 v25, v24, v22
	v_mul_f32_e32 v22, v23, v22
	v_fma_f32 v23, v23, v21, -v25
	v_fmac_f32_e32 v22, v24, v21
	v_add_f32_e32 v10, v10, v23
	v_add_f32_e32 v11, v11, v22
	s_or_b64 exec, exec, s[14:15]
	v_cmp_gt_u32_e64 s[10:11], 8, v17
	s_and_saveexec_b64 s[14:15], s[10:11]
	s_cbranch_execz .LBB153_85
.LBB153_1060:
	ds_read_b64 v[21:22], v15 offset:1056
	ds_read_b64 v[23:24], v18 offset:16
	s_waitcnt lgkmcnt(0)
	v_mul_f32_e32 v18, v24, v22
	v_mul_f32_e32 v22, v23, v22
	v_fma_f32 v18, v23, v21, -v18
	v_fmac_f32_e32 v22, v24, v21
	v_add_f32_e32 v10, v10, v18
	v_add_f32_e32 v11, v11, v22
	s_or_b64 exec, exec, s[14:15]
	v_cmp_gt_u32_e64 s[10:11], 4, v17
	s_and_saveexec_b64 s[14:15], s[10:11]
	s_cbranch_execnz .LBB153_86
	s_branch .LBB153_87
.LBB153_1061:
	v_lshlrev_b32_e32 v26, 3, v25
	v_sub_u32_e32 v26, v23, v26
	v_lshl_add_u32 v26, v24, 3, v26
	ds_read_b64 v[26:27], v26 offset:576
	ds_read_b64 v[28:29], v23 offset:8
	s_waitcnt lgkmcnt(0)
	v_mul_f32_e32 v30, v29, v27
	v_mul_f32_e32 v27, v28, v27
	v_fma_f32 v28, v28, v26, -v30
	v_fmac_f32_e32 v27, v29, v26
	v_add_f32_e32 v10, v10, v28
	v_add_f32_e32 v11, v11, v27
	s_or_b64 exec, exec, s[16:17]
	v_cmp_gt_u32_e64 s[14:15], 48, v17
	s_and_saveexec_b64 s[16:17], s[14:15]
	s_cbranch_execz .LBB153_127
.LBB153_1062:
	v_lshlrev_b32_e32 v26, 3, v25
	v_sub_u32_e32 v26, v23, v26
	v_lshl_add_u32 v26, v24, 3, v26
	ds_read_b64 v[26:27], v26 offset:1088
	ds_read_b64 v[28:29], v23 offset:16
	s_waitcnt lgkmcnt(0)
	v_mul_f32_e32 v30, v29, v27
	v_mul_f32_e32 v27, v28, v27
	v_fma_f32 v28, v28, v26, -v30
	v_fmac_f32_e32 v27, v29, v26
	v_add_f32_e32 v10, v10, v28
	v_add_f32_e32 v11, v11, v27
	s_or_b64 exec, exec, s[16:17]
	v_cmp_gt_u32_e64 s[14:15], 40, v17
	s_and_saveexec_b64 s[16:17], s[14:15]
	s_cbranch_execz .LBB153_128
.LBB153_1063:
	v_lshlrev_b32_e32 v26, 3, v25
	v_sub_u32_e32 v26, v23, v26
	v_lshl_add_u32 v26, v24, 3, v26
	ds_read_b64 v[26:27], v26 offset:1600
	ds_read_b64 v[28:29], v23 offset:24
	s_waitcnt lgkmcnt(0)
	v_mul_f32_e32 v30, v29, v27
	v_mul_f32_e32 v27, v28, v27
	v_fma_f32 v28, v28, v26, -v30
	v_fmac_f32_e32 v27, v29, v26
	v_add_f32_e32 v10, v10, v28
	v_add_f32_e32 v11, v11, v27
	s_or_b64 exec, exec, s[16:17]
	v_cmp_gt_u32_e64 s[14:15], 32, v17
	s_and_saveexec_b64 s[16:17], s[14:15]
	s_cbranch_execz .LBB153_129
.LBB153_1064:
	ds_read_b64 v[26:27], v21 offset:2112
	ds_read_b64 v[28:29], v23 offset:32
	s_waitcnt lgkmcnt(0)
	v_mul_f32_e32 v30, v29, v27
	v_mul_f32_e32 v27, v28, v27
	v_fma_f32 v28, v28, v26, -v30
	v_fmac_f32_e32 v27, v29, v26
	v_add_f32_e32 v10, v10, v28
	v_add_f32_e32 v11, v11, v27
	s_or_b64 exec, exec, s[16:17]
	v_cmp_gt_u32_e64 s[14:15], 24, v17
	s_and_saveexec_b64 s[16:17], s[14:15]
	s_cbranch_execz .LBB153_130
.LBB153_1065:
	v_lshlrev_b32_e32 v26, 3, v25
	v_sub_u32_e32 v26, v23, v26
	v_lshl_add_u32 v26, v24, 3, v26
	ds_read_b64 v[26:27], v26 offset:2624
	ds_read_b64 v[28:29], v23 offset:40
	s_waitcnt lgkmcnt(0)
	v_mul_f32_e32 v30, v29, v27
	v_mul_f32_e32 v27, v28, v27
	v_fma_f32 v28, v28, v26, -v30
	v_fmac_f32_e32 v27, v29, v26
	v_add_f32_e32 v10, v10, v28
	v_add_f32_e32 v11, v11, v27
	s_or_b64 exec, exec, s[16:17]
	v_cmp_gt_u32_e64 s[14:15], 16, v17
	s_and_saveexec_b64 s[16:17], s[14:15]
	s_cbranch_execz .LBB153_131
.LBB153_1066:
	ds_read_b64 v[26:27], v21 offset:3136
	ds_read_b64 v[28:29], v23 offset:48
	s_waitcnt lgkmcnt(0)
	v_mul_f32_e32 v23, v29, v27
	v_mul_f32_e32 v27, v28, v27
	v_fma_f32 v23, v28, v26, -v23
	v_fmac_f32_e32 v27, v29, v26
	v_add_f32_e32 v10, v10, v23
	v_add_f32_e32 v11, v11, v27
	s_or_b64 exec, exec, s[16:17]
	v_cmp_gt_u32_e64 s[14:15], 8, v17
	s_and_saveexec_b64 s[16:17], s[14:15]
	s_cbranch_execnz .LBB153_132
	s_branch .LBB153_133
.LBB153_1067:
	v_lshlrev_b32_e32 v27, 3, v20
	v_sub_u32_e32 v27, v26, v27
	v_lshl_add_u32 v27, v19, 3, v27
	ds_read_b64 v[27:28], v27 offset:4704
	ds_read_b64 v[29:30], v26 offset:4168
	s_waitcnt lgkmcnt(0)
	v_mul_f32_e32 v31, v30, v28
	v_mul_f32_e32 v28, v29, v28
	v_fma_f32 v29, v29, v27, -v31
	v_fmac_f32_e32 v28, v30, v27
	v_add_f32_e32 v10, v10, v29
	v_add_f32_e32 v11, v11, v28
	s_or_b64 exec, exec, s[14:15]
	v_cmp_gt_u32_e64 s[10:11], 8, v17
	s_and_saveexec_b64 s[14:15], s[10:11]
	s_cbranch_execz .LBB153_189
.LBB153_1068:
	ds_read_b64 v[27:28], v15 offset:5216
	ds_read_b64 v[29:30], v26 offset:4176
	s_waitcnt lgkmcnt(0)
	v_mul_f32_e32 v26, v30, v28
	v_mul_f32_e32 v28, v29, v28
	v_fma_f32 v26, v29, v27, -v26
	v_fmac_f32_e32 v28, v30, v27
	v_add_f32_e32 v10, v10, v26
	v_add_f32_e32 v11, v11, v28
	s_or_b64 exec, exec, s[14:15]
	v_cmp_gt_u32_e64 s[10:11], 4, v17
	s_and_saveexec_b64 s[14:15], s[10:11]
	s_cbranch_execnz .LBB153_190
	s_branch .LBB153_191
.LBB153_1069:
	v_lshlrev_b32_e32 v31, 3, v27
	v_lshl_add_u32 v31, v29, 3, v31
	ds_read_b64 v[31:32], v31 offset:5760
	ds_read_b64 v[33:34], v28 offset:88
	s_waitcnt lgkmcnt(0)
	v_mul_f32_e32 v35, v34, v32
	v_mul_f32_e32 v32, v33, v32
	v_fma_f32 v33, v33, v31, -v35
	v_fmac_f32_e32 v32, v34, v31
	v_add_f32_e32 v10, v10, v33
	v_add_f32_e32 v11, v11, v32
	s_or_b64 exec, exec, s[20:21]
	v_cmp_gt_u32_e64 s[16:17], 64, v17
	s_and_saveexec_b64 s[20:21], s[16:17]
	s_cbranch_execz .LBB153_251
.LBB153_1070:
	ds_read_b64 v[31:32], v26 offset:6272
	ds_read_b64 v[33:34], v28 offset:96
	s_waitcnt lgkmcnt(0)
	v_mul_f32_e32 v35, v34, v32
	v_mul_f32_e32 v32, v33, v32
	v_fma_f32 v33, v33, v31, -v35
	v_fmac_f32_e32 v32, v34, v31
	v_add_f32_e32 v10, v10, v33
	v_add_f32_e32 v11, v11, v32
	s_or_b64 exec, exec, s[20:21]
	v_cmp_gt_u32_e64 s[16:17], 48, v17
	s_and_saveexec_b64 s[20:21], s[16:17]
	s_cbranch_execz .LBB153_252
.LBB153_1071:
	v_lshlrev_b32_e32 v31, 3, v27
	v_lshl_add_u32 v31, v29, 3, v31
	ds_read_b64 v[31:32], v31 offset:6784
	ds_read_b64 v[33:34], v28 offset:104
	s_waitcnt lgkmcnt(0)
	v_mul_f32_e32 v35, v34, v32
	v_mul_f32_e32 v32, v33, v32
	v_fma_f32 v33, v33, v31, -v35
	v_fmac_f32_e32 v32, v34, v31
	v_add_f32_e32 v10, v10, v33
	v_add_f32_e32 v11, v11, v32
	s_or_b64 exec, exec, s[20:21]
	v_cmp_gt_u32_e64 s[16:17], 32, v17
	s_and_saveexec_b64 s[20:21], s[16:17]
	s_cbranch_execz .LBB153_253
.LBB153_1072:
	ds_read_b64 v[31:32], v26 offset:7296
	ds_read_b64 v[33:34], v28 offset:112
	s_waitcnt lgkmcnt(0)
	v_mul_f32_e32 v28, v34, v32
	v_mul_f32_e32 v32, v33, v32
	v_fma_f32 v28, v33, v31, -v28
	v_fmac_f32_e32 v32, v34, v31
	v_add_f32_e32 v10, v10, v28
	v_add_f32_e32 v11, v11, v32
	s_or_b64 exec, exec, s[20:21]
	v_cmp_gt_u32_e64 s[16:17], 16, v17
	s_and_saveexec_b64 s[20:21], s[16:17]
	s_cbranch_execnz .LBB153_254
	s_branch .LBB153_255
.LBB153_1073:
	v_lshlrev_b32_e32 v32, 3, v20
	v_sub_u32_e32 v32, v31, v32
	v_lshl_add_u32 v32, v19, 3, v32
	ds_read_b64 v[32:33], v32 offset:8864
	ds_read_b64 v[34:35], v31 offset:8328
	s_waitcnt lgkmcnt(0)
	v_mul_f32_e32 v36, v35, v33
	v_mul_f32_e32 v33, v34, v33
	v_fma_f32 v34, v34, v32, -v36
	v_fmac_f32_e32 v33, v35, v32
	v_add_f32_e32 v10, v10, v34
	v_add_f32_e32 v11, v11, v33
	s_or_b64 exec, exec, s[20:21]
	v_cmp_gt_u32_e64 s[14:15], 8, v17
	s_and_saveexec_b64 s[20:21], s[14:15]
	s_cbranch_execz .LBB153_343
.LBB153_1074:
	ds_read_b64 v[32:33], v15 offset:9376
	ds_read_b64 v[34:35], v31 offset:8336
	s_waitcnt lgkmcnt(0)
	v_mul_f32_e32 v31, v35, v33
	v_mul_f32_e32 v33, v34, v33
	v_fma_f32 v31, v34, v32, -v31
	v_fmac_f32_e32 v33, v35, v32
	v_add_f32_e32 v10, v10, v31
	v_add_f32_e32 v11, v11, v33
	s_or_b64 exec, exec, s[20:21]
	v_cmp_gt_u32_e64 s[14:15], 4, v17
	s_and_saveexec_b64 s[20:21], s[14:15]
	s_cbranch_execnz .LBB153_344
	s_branch .LBB153_345
.LBB153_1075:
	v_lshlrev_b32_e32 v32, 3, v25
	v_sub_u32_e32 v32, v31, v32
	v_lshl_add_u32 v32, v24, 3, v32
	ds_read_b64 v[32:33], v32 offset:8896
	ds_read_b64 v[34:35], v31 offset:8328
	s_waitcnt lgkmcnt(0)
	v_mul_f32_e32 v36, v35, v33
	v_mul_f32_e32 v33, v34, v33
	v_fma_f32 v34, v34, v32, -v36
	v_fmac_f32_e32 v33, v35, v32
	v_add_f32_e32 v10, v10, v34
	v_add_f32_e32 v11, v11, v33
	s_or_b64 exec, exec, s[20:21]
	v_cmp_gt_u32_e64 s[14:15], 48, v17
	s_and_saveexec_b64 s[20:21], s[14:15]
	s_cbranch_execz .LBB153_385
.LBB153_1076:
	v_lshlrev_b32_e32 v32, 3, v25
	v_sub_u32_e32 v32, v31, v32
	v_lshl_add_u32 v32, v24, 3, v32
	ds_read_b64 v[32:33], v32 offset:9408
	ds_read_b64 v[34:35], v31 offset:8336
	s_waitcnt lgkmcnt(0)
	v_mul_f32_e32 v36, v35, v33
	v_mul_f32_e32 v33, v34, v33
	v_fma_f32 v34, v34, v32, -v36
	v_fmac_f32_e32 v33, v35, v32
	v_add_f32_e32 v10, v10, v34
	v_add_f32_e32 v11, v11, v33
	s_or_b64 exec, exec, s[20:21]
	v_cmp_gt_u32_e64 s[14:15], 40, v17
	s_and_saveexec_b64 s[20:21], s[14:15]
	s_cbranch_execz .LBB153_386
.LBB153_1077:
	v_lshlrev_b32_e32 v32, 3, v25
	v_sub_u32_e32 v32, v31, v32
	v_lshl_add_u32 v32, v24, 3, v32
	ds_read_b64 v[32:33], v32 offset:9920
	ds_read_b64 v[34:35], v31 offset:8344
	s_waitcnt lgkmcnt(0)
	v_mul_f32_e32 v36, v35, v33
	v_mul_f32_e32 v33, v34, v33
	v_fma_f32 v34, v34, v32, -v36
	v_fmac_f32_e32 v33, v35, v32
	v_add_f32_e32 v10, v10, v34
	v_add_f32_e32 v11, v11, v33
	s_or_b64 exec, exec, s[20:21]
	v_cmp_gt_u32_e64 s[14:15], 32, v17
	s_and_saveexec_b64 s[20:21], s[14:15]
	s_cbranch_execz .LBB153_387
.LBB153_1078:
	ds_read_b64 v[32:33], v21 offset:10432
	ds_read_b64 v[34:35], v31 offset:8352
	s_waitcnt lgkmcnt(0)
	v_mul_f32_e32 v36, v35, v33
	v_mul_f32_e32 v33, v34, v33
	v_fma_f32 v34, v34, v32, -v36
	v_fmac_f32_e32 v33, v35, v32
	v_add_f32_e32 v10, v10, v34
	v_add_f32_e32 v11, v11, v33
	s_or_b64 exec, exec, s[20:21]
	v_cmp_gt_u32_e64 s[14:15], 24, v17
	s_and_saveexec_b64 s[20:21], s[14:15]
	s_cbranch_execz .LBB153_388
.LBB153_1079:
	v_lshlrev_b32_e32 v32, 3, v25
	v_sub_u32_e32 v32, v31, v32
	v_lshl_add_u32 v32, v24, 3, v32
	ds_read_b64 v[32:33], v32 offset:10944
	ds_read_b64 v[34:35], v31 offset:8360
	s_waitcnt lgkmcnt(0)
	v_mul_f32_e32 v36, v35, v33
	v_mul_f32_e32 v33, v34, v33
	v_fma_f32 v34, v34, v32, -v36
	v_fmac_f32_e32 v33, v35, v32
	v_add_f32_e32 v10, v10, v34
	v_add_f32_e32 v11, v11, v33
	s_or_b64 exec, exec, s[20:21]
	v_cmp_gt_u32_e64 s[14:15], 16, v17
	s_and_saveexec_b64 s[20:21], s[14:15]
	s_cbranch_execz .LBB153_389
.LBB153_1080:
	ds_read_b64 v[32:33], v21 offset:11456
	ds_read_b64 v[34:35], v31 offset:8368
	s_waitcnt lgkmcnt(0)
	v_mul_f32_e32 v31, v35, v33
	v_mul_f32_e32 v33, v34, v33
	v_fma_f32 v31, v34, v32, -v31
	v_fmac_f32_e32 v33, v35, v32
	v_add_f32_e32 v10, v10, v31
	v_add_f32_e32 v11, v11, v33
	s_or_b64 exec, exec, s[20:21]
	v_cmp_gt_u32_e64 s[14:15], 8, v17
	s_and_saveexec_b64 s[20:21], s[14:15]
	s_cbranch_execnz .LBB153_390
	s_branch .LBB153_391
.LBB153_1081:
	v_lshlrev_b32_e32 v32, 3, v20
	v_sub_u32_e32 v32, v31, v32
	v_lshl_add_u32 v32, v19, 3, v32
	ds_read_b64 v[32:33], v32 offset:13024
	ds_read_b64 v[34:35], v31 offset:12488
	s_waitcnt lgkmcnt(0)
	v_mul_f32_e32 v36, v35, v33
	v_mul_f32_e32 v33, v34, v33
	v_fma_f32 v34, v34, v32, -v36
	v_fmac_f32_e32 v33, v35, v32
	v_add_f32_e32 v10, v10, v34
	v_add_f32_e32 v11, v11, v33
	s_or_b64 exec, exec, s[20:21]
	v_cmp_gt_u32_e64 s[14:15], 8, v17
	s_and_saveexec_b64 s[20:21], s[14:15]
	s_cbranch_execz .LBB153_447
.LBB153_1082:
	ds_read_b64 v[32:33], v15 offset:13536
	ds_read_b64 v[34:35], v31 offset:12496
	s_waitcnt lgkmcnt(0)
	v_mul_f32_e32 v31, v35, v33
	v_mul_f32_e32 v33, v34, v33
	v_fma_f32 v31, v34, v32, -v31
	v_fmac_f32_e32 v33, v35, v32
	v_add_f32_e32 v10, v10, v31
	v_add_f32_e32 v11, v11, v33
	s_or_b64 exec, exec, s[20:21]
	v_cmp_gt_u32_e64 s[14:15], 4, v17
	s_and_saveexec_b64 s[20:21], s[14:15]
	s_cbranch_execnz .LBB153_448
	s_branch .LBB153_449
.LBB153_1083:
	ds_read_b64 v[37:38], v36 offset:15104
	ds_read_b64 v[39:40], v35 offset:232
	s_waitcnt lgkmcnt(0)
	v_mul_f32_e32 v41, v40, v38
	v_mul_f32_e32 v38, v39, v38
	v_fma_f32 v39, v39, v37, -v41
	v_fmac_f32_e32 v38, v40, v37
	v_add_f32_e32 v10, v10, v39
	v_add_f32_e32 v11, v11, v38
	s_or_b64 exec, exec, s[92:93]
	v_cmp_gt_u32_e64 s[20:21], 64, v17
	s_and_saveexec_b64 s[92:93], s[20:21]
	s_cbranch_execz .LBB153_545
.LBB153_1084:
	ds_read_b64 v[36:37], v36 offset:15616
	ds_read_b64 v[38:39], v35 offset:240
	s_waitcnt lgkmcnt(0)
	v_mul_f32_e32 v40, v39, v37
	v_mul_f32_e32 v37, v38, v37
	v_fma_f32 v38, v38, v36, -v40
	v_fmac_f32_e32 v37, v39, v36
	v_add_f32_e32 v10, v10, v38
	v_add_f32_e32 v11, v11, v37
	s_or_b64 exec, exec, s[92:93]
	v_cmp_gt_u32_e64 s[20:21], 32, v17
	s_and_saveexec_b64 s[92:93], s[20:21]
	s_cbranch_execnz .LBB153_546
	s_branch .LBB153_547
.LBB153_1085:
	v_lshlrev_b32_e32 v32, 3, v20
	v_sub_u32_e32 v32, v31, v32
	v_lshl_add_u32 v32, v19, 3, v32
	ds_read_b64 v[32:33], v32 offset:17184
	ds_read_b64 v[34:35], v31 offset:16648
	s_waitcnt lgkmcnt(0)
	v_mul_f32_e32 v36, v35, v33
	v_mul_f32_e32 v33, v34, v33
	v_fma_f32 v34, v34, v32, -v36
	v_fmac_f32_e32 v33, v35, v32
	v_add_f32_e32 v10, v10, v34
	v_add_f32_e32 v11, v11, v33
	s_or_b64 exec, exec, s[16:17]
	v_cmp_gt_u32_e64 s[12:13], 8, v17
	s_and_saveexec_b64 s[16:17], s[12:13]
	s_cbranch_execz .LBB153_583
.LBB153_1086:
	ds_read_b64 v[32:33], v15 offset:17696
	ds_read_b64 v[34:35], v31 offset:16656
	s_waitcnt lgkmcnt(0)
	v_mul_f32_e32 v31, v35, v33
	v_mul_f32_e32 v33, v34, v33
	v_fma_f32 v31, v34, v32, -v31
	v_fmac_f32_e32 v33, v35, v32
	v_add_f32_e32 v10, v10, v31
	v_add_f32_e32 v11, v11, v33
	s_or_b64 exec, exec, s[16:17]
	v_cmp_gt_u32_e64 s[12:13], 4, v17
	s_and_saveexec_b64 s[16:17], s[12:13]
	s_cbranch_execnz .LBB153_584
	s_branch .LBB153_585
.LBB153_1087:
	v_lshlrev_b32_e32 v32, 3, v25
	v_sub_u32_e32 v32, v31, v32
	v_lshl_add_u32 v32, v24, 3, v32
	ds_read_b64 v[32:33], v32 offset:17216
	ds_read_b64 v[34:35], v31 offset:16648
	s_waitcnt lgkmcnt(0)
	v_mul_f32_e32 v36, v35, v33
	v_mul_f32_e32 v33, v34, v33
	v_fma_f32 v34, v34, v32, -v36
	v_fmac_f32_e32 v33, v35, v32
	v_add_f32_e32 v10, v10, v34
	v_add_f32_e32 v11, v11, v33
	s_or_b64 exec, exec, s[16:17]
	v_cmp_gt_u32_e64 s[12:13], 48, v17
	s_and_saveexec_b64 s[16:17], s[12:13]
	s_cbranch_execz .LBB153_625
.LBB153_1088:
	v_lshlrev_b32_e32 v32, 3, v25
	v_sub_u32_e32 v32, v31, v32
	v_lshl_add_u32 v32, v24, 3, v32
	ds_read_b64 v[32:33], v32 offset:17728
	ds_read_b64 v[34:35], v31 offset:16656
	s_waitcnt lgkmcnt(0)
	v_mul_f32_e32 v36, v35, v33
	v_mul_f32_e32 v33, v34, v33
	v_fma_f32 v34, v34, v32, -v36
	v_fmac_f32_e32 v33, v35, v32
	v_add_f32_e32 v10, v10, v34
	v_add_f32_e32 v11, v11, v33
	s_or_b64 exec, exec, s[16:17]
	v_cmp_gt_u32_e64 s[12:13], 40, v17
	s_and_saveexec_b64 s[16:17], s[12:13]
	s_cbranch_execz .LBB153_626
.LBB153_1089:
	v_lshlrev_b32_e32 v32, 3, v25
	v_sub_u32_e32 v32, v31, v32
	v_lshl_add_u32 v32, v24, 3, v32
	ds_read_b64 v[32:33], v32 offset:18240
	ds_read_b64 v[34:35], v31 offset:16664
	s_waitcnt lgkmcnt(0)
	v_mul_f32_e32 v36, v35, v33
	v_mul_f32_e32 v33, v34, v33
	v_fma_f32 v34, v34, v32, -v36
	v_fmac_f32_e32 v33, v35, v32
	v_add_f32_e32 v10, v10, v34
	v_add_f32_e32 v11, v11, v33
	s_or_b64 exec, exec, s[16:17]
	v_cmp_gt_u32_e64 s[12:13], 32, v17
	s_and_saveexec_b64 s[16:17], s[12:13]
	s_cbranch_execz .LBB153_627
.LBB153_1090:
	ds_read_b64 v[32:33], v21 offset:18752
	ds_read_b64 v[34:35], v31 offset:16672
	s_waitcnt lgkmcnt(0)
	v_mul_f32_e32 v36, v35, v33
	v_mul_f32_e32 v33, v34, v33
	v_fma_f32 v34, v34, v32, -v36
	v_fmac_f32_e32 v33, v35, v32
	v_add_f32_e32 v10, v10, v34
	v_add_f32_e32 v11, v11, v33
	s_or_b64 exec, exec, s[16:17]
	v_cmp_gt_u32_e64 s[12:13], 24, v17
	s_and_saveexec_b64 s[16:17], s[12:13]
	s_cbranch_execz .LBB153_628
.LBB153_1091:
	v_lshlrev_b32_e32 v32, 3, v25
	v_sub_u32_e32 v32, v31, v32
	v_lshl_add_u32 v32, v24, 3, v32
	ds_read_b64 v[32:33], v32 offset:19264
	ds_read_b64 v[34:35], v31 offset:16680
	s_waitcnt lgkmcnt(0)
	v_mul_f32_e32 v36, v35, v33
	v_mul_f32_e32 v33, v34, v33
	v_fma_f32 v34, v34, v32, -v36
	v_fmac_f32_e32 v33, v35, v32
	v_add_f32_e32 v10, v10, v34
	v_add_f32_e32 v11, v11, v33
	s_or_b64 exec, exec, s[16:17]
	v_cmp_gt_u32_e64 s[12:13], 16, v17
	s_and_saveexec_b64 s[16:17], s[12:13]
	s_cbranch_execz .LBB153_629
.LBB153_1092:
	ds_read_b64 v[32:33], v21 offset:19776
	ds_read_b64 v[34:35], v31 offset:16688
	s_waitcnt lgkmcnt(0)
	v_mul_f32_e32 v31, v35, v33
	v_mul_f32_e32 v33, v34, v33
	v_fma_f32 v31, v34, v32, -v31
	v_fmac_f32_e32 v33, v35, v32
	v_add_f32_e32 v10, v10, v31
	v_add_f32_e32 v11, v11, v33
	s_or_b64 exec, exec, s[16:17]
	v_cmp_gt_u32_e64 s[12:13], 8, v17
	s_and_saveexec_b64 s[16:17], s[12:13]
	s_cbranch_execnz .LBB153_630
	s_branch .LBB153_631
.LBB153_1093:
	v_lshlrev_b32_e32 v32, 3, v20
	v_sub_u32_e32 v32, v31, v32
	v_lshl_add_u32 v32, v19, 3, v32
	ds_read_b64 v[32:33], v32 offset:21344
	ds_read_b64 v[34:35], v31 offset:20808
	s_waitcnt lgkmcnt(0)
	v_mul_f32_e32 v36, v35, v33
	v_mul_f32_e32 v33, v34, v33
	v_fma_f32 v34, v34, v32, -v36
	v_fmac_f32_e32 v33, v35, v32
	v_add_f32_e32 v10, v10, v34
	v_add_f32_e32 v11, v11, v33
	s_or_b64 exec, exec, s[16:17]
	v_cmp_gt_u32_e64 s[12:13], 8, v17
	s_and_saveexec_b64 s[16:17], s[12:13]
	s_cbranch_execz .LBB153_687
.LBB153_1094:
	ds_read_b64 v[32:33], v15 offset:21856
	ds_read_b64 v[34:35], v31 offset:20816
	s_waitcnt lgkmcnt(0)
	v_mul_f32_e32 v31, v35, v33
	v_mul_f32_e32 v33, v34, v33
	v_fma_f32 v31, v34, v32, -v31
	v_fmac_f32_e32 v33, v35, v32
	v_add_f32_e32 v10, v10, v31
	v_add_f32_e32 v11, v11, v33
	s_or_b64 exec, exec, s[16:17]
	v_cmp_gt_u32_e64 s[12:13], 4, v17
	s_and_saveexec_b64 s[16:17], s[12:13]
	s_cbranch_execnz .LBB153_688
	s_branch .LBB153_689
.LBB153_1095:
	v_lshlrev_b32_e32 v30, 3, v27
	v_lshl_add_u32 v30, v29, 3, v30
	ds_read_b64 v[32:33], v30 offset:22400
	ds_read_b64 v[34:35], v31 offset:16728
	s_waitcnt lgkmcnt(0)
	v_mul_f32_e32 v30, v35, v33
	v_mul_f32_e32 v33, v34, v33
	v_fma_f32 v30, v34, v32, -v30
	v_fmac_f32_e32 v33, v35, v32
	v_add_f32_e32 v10, v10, v30
	v_add_f32_e32 v11, v11, v33
	s_or_b64 exec, exec, s[16:17]
	v_cmp_gt_u32_e64 s[12:13], 64, v17
	s_and_saveexec_b64 s[16:17], s[12:13]
	s_cbranch_execz .LBB153_749
.LBB153_1096:
	ds_read_b64 v[32:33], v26 offset:22912
	ds_read_b64 v[34:35], v31 offset:16736
	s_waitcnt lgkmcnt(0)
	v_mul_f32_e32 v30, v35, v33
	v_mul_f32_e32 v33, v34, v33
	v_fma_f32 v30, v34, v32, -v30
	v_fmac_f32_e32 v33, v35, v32
	v_add_f32_e32 v10, v10, v30
	v_add_f32_e32 v11, v11, v33
	s_or_b64 exec, exec, s[16:17]
	v_cmp_gt_u32_e64 s[12:13], 48, v17
	s_and_saveexec_b64 s[16:17], s[12:13]
	s_cbranch_execz .LBB153_750
.LBB153_1097:
	v_lshlrev_b32_e32 v30, 3, v27
	v_lshl_add_u32 v29, v29, 3, v30
	ds_read_b64 v[29:30], v29 offset:23424
	ds_read_b64 v[32:33], v31 offset:16744
	s_waitcnt lgkmcnt(0)
	v_mul_f32_e32 v34, v33, v30
	v_mul_f32_e32 v30, v32, v30
	v_fma_f32 v32, v32, v29, -v34
	v_fmac_f32_e32 v30, v33, v29
	v_add_f32_e32 v10, v10, v32
	v_add_f32_e32 v11, v11, v30
	s_or_b64 exec, exec, s[16:17]
	v_cmp_gt_u32_e64 s[12:13], 32, v17
	s_and_saveexec_b64 s[16:17], s[12:13]
	s_cbranch_execz .LBB153_751
.LBB153_1098:
	ds_read_b64 v[29:30], v26 offset:23936
	ds_read_b64 v[31:32], v31 offset:16752
	s_waitcnt lgkmcnt(0)
	v_mul_f32_e32 v33, v32, v30
	v_mul_f32_e32 v30, v31, v30
	v_fma_f32 v31, v31, v29, -v33
	v_fmac_f32_e32 v30, v32, v29
	v_add_f32_e32 v10, v10, v31
	v_add_f32_e32 v11, v11, v30
	s_or_b64 exec, exec, s[16:17]
	v_cmp_gt_u32_e64 s[12:13], 16, v17
	s_and_saveexec_b64 s[16:17], s[12:13]
	s_cbranch_execnz .LBB153_752
	s_branch .LBB153_753
.LBB153_1099:
	v_lshlrev_b32_e32 v27, 3, v20
	v_sub_u32_e32 v27, v26, v27
	v_lshl_add_u32 v27, v19, 3, v27
	ds_read_b64 v[27:28], v27 offset:25504
	ds_read_b64 v[29:30], v26 offset:24968
	s_waitcnt lgkmcnt(0)
	v_mul_f32_e32 v31, v30, v28
	v_mul_f32_e32 v28, v29, v28
	v_fma_f32 v29, v29, v27, -v31
	v_fmac_f32_e32 v28, v30, v27
	v_add_f32_e32 v10, v10, v29
	v_add_f32_e32 v11, v11, v28
	s_or_b64 exec, exec, s[12:13]
	v_cmp_gt_u32_e64 s[10:11], 8, v17
	s_and_saveexec_b64 s[12:13], s[10:11]
	s_cbranch_execz .LBB153_841
.LBB153_1100:
	ds_read_b64 v[27:28], v15 offset:26016
	ds_read_b64 v[29:30], v26 offset:24976
	s_waitcnt lgkmcnt(0)
	v_mul_f32_e32 v26, v30, v28
	v_mul_f32_e32 v28, v29, v28
	v_fma_f32 v26, v29, v27, -v26
	v_fmac_f32_e32 v28, v30, v27
	v_add_f32_e32 v10, v10, v26
	v_add_f32_e32 v11, v11, v28
	s_or_b64 exec, exec, s[12:13]
	v_cmp_gt_u32_e64 s[10:11], 4, v17
	s_and_saveexec_b64 s[12:13], s[10:11]
	s_cbranch_execnz .LBB153_842
	s_branch .LBB153_843
.LBB153_1101:
	v_lshlrev_b32_e32 v27, 3, v25
	v_sub_u32_e32 v27, v26, v27
	v_lshl_add_u32 v27, v24, 3, v27
	ds_read_b64 v[27:28], v27 offset:25536
	ds_read_b64 v[29:30], v26 offset:24968
	s_waitcnt lgkmcnt(0)
	v_mul_f32_e32 v31, v30, v28
	v_mul_f32_e32 v28, v29, v28
	v_fma_f32 v29, v29, v27, -v31
	v_fmac_f32_e32 v28, v30, v27
	v_add_f32_e32 v10, v10, v29
	v_add_f32_e32 v11, v11, v28
	s_or_b64 exec, exec, s[12:13]
	v_cmp_gt_u32_e64 s[10:11], 48, v17
	s_and_saveexec_b64 s[12:13], s[10:11]
	s_cbranch_execz .LBB153_883
.LBB153_1102:
	v_lshlrev_b32_e32 v27, 3, v25
	v_sub_u32_e32 v27, v26, v27
	v_lshl_add_u32 v27, v24, 3, v27
	ds_read_b64 v[27:28], v27 offset:26048
	ds_read_b64 v[29:30], v26 offset:24976
	s_waitcnt lgkmcnt(0)
	v_mul_f32_e32 v31, v30, v28
	v_mul_f32_e32 v28, v29, v28
	v_fma_f32 v29, v29, v27, -v31
	v_fmac_f32_e32 v28, v30, v27
	v_add_f32_e32 v10, v10, v29
	v_add_f32_e32 v11, v11, v28
	s_or_b64 exec, exec, s[12:13]
	v_cmp_gt_u32_e64 s[10:11], 40, v17
	s_and_saveexec_b64 s[12:13], s[10:11]
	s_cbranch_execz .LBB153_884
.LBB153_1103:
	v_lshlrev_b32_e32 v27, 3, v25
	v_sub_u32_e32 v27, v26, v27
	v_lshl_add_u32 v27, v24, 3, v27
	ds_read_b64 v[27:28], v27 offset:26560
	ds_read_b64 v[29:30], v26 offset:24984
	s_waitcnt lgkmcnt(0)
	v_mul_f32_e32 v31, v30, v28
	v_mul_f32_e32 v28, v29, v28
	v_fma_f32 v29, v29, v27, -v31
	v_fmac_f32_e32 v28, v30, v27
	v_add_f32_e32 v10, v10, v29
	v_add_f32_e32 v11, v11, v28
	s_or_b64 exec, exec, s[12:13]
	v_cmp_gt_u32_e64 s[10:11], 32, v17
	s_and_saveexec_b64 s[12:13], s[10:11]
	s_cbranch_execz .LBB153_885
.LBB153_1104:
	ds_read_b64 v[27:28], v21 offset:27072
	ds_read_b64 v[29:30], v26 offset:24992
	s_waitcnt lgkmcnt(0)
	v_mul_f32_e32 v31, v30, v28
	v_mul_f32_e32 v28, v29, v28
	v_fma_f32 v29, v29, v27, -v31
	v_fmac_f32_e32 v28, v30, v27
	v_add_f32_e32 v10, v10, v29
	v_add_f32_e32 v11, v11, v28
	s_or_b64 exec, exec, s[12:13]
	v_cmp_gt_u32_e64 s[10:11], 24, v17
	s_and_saveexec_b64 s[12:13], s[10:11]
	s_cbranch_execz .LBB153_886
.LBB153_1105:
	v_lshlrev_b32_e32 v25, 3, v25
	v_sub_u32_e32 v25, v26, v25
	v_lshl_add_u32 v24, v24, 3, v25
	ds_read_b64 v[24:25], v24 offset:27584
	ds_read_b64 v[27:28], v26 offset:25000
	s_waitcnt lgkmcnt(0)
	v_mul_f32_e32 v29, v28, v25
	v_mul_f32_e32 v25, v27, v25
	v_fma_f32 v27, v27, v24, -v29
	v_fmac_f32_e32 v25, v28, v24
	v_add_f32_e32 v10, v10, v27
	v_add_f32_e32 v11, v11, v25
	s_or_b64 exec, exec, s[12:13]
	v_cmp_gt_u32_e64 s[10:11], 16, v17
	s_and_saveexec_b64 s[12:13], s[10:11]
	s_cbranch_execz .LBB153_887
.LBB153_1106:
	ds_read_b64 v[24:25], v21 offset:28096
	ds_read_b64 v[26:27], v26 offset:25008
	s_waitcnt lgkmcnt(0)
	v_mul_f32_e32 v28, v27, v25
	v_mul_f32_e32 v25, v26, v25
	v_fma_f32 v26, v26, v24, -v28
	v_fmac_f32_e32 v25, v27, v24
	v_add_f32_e32 v10, v10, v26
	v_add_f32_e32 v11, v11, v25
	s_or_b64 exec, exec, s[12:13]
	v_cmp_gt_u32_e64 s[10:11], 8, v17
	s_and_saveexec_b64 s[12:13], s[10:11]
	s_cbranch_execnz .LBB153_888
	s_branch .LBB153_889
.LBB153_1107:
	v_lshlrev_b32_e32 v20, 3, v20
	v_sub_u32_e32 v20, v21, v20
	v_lshl_add_u32 v19, v19, 3, v20
	ds_read_b64 v[19:20], v19 offset:29664
	ds_read_b64 v[22:23], v21 offset:29128
	s_waitcnt lgkmcnt(0)
	v_mul_f32_e32 v24, v23, v20
	v_mul_f32_e32 v20, v22, v20
	v_fma_f32 v22, v22, v19, -v24
	v_fmac_f32_e32 v20, v23, v19
	v_add_f32_e32 v10, v10, v22
	v_add_f32_e32 v11, v11, v20
	s_or_b64 exec, exec, s[10:11]
	v_cmp_gt_u32_e64 s[8:9], 8, v17
	s_and_saveexec_b64 s[10:11], s[8:9]
	s_cbranch_execz .LBB153_945
.LBB153_1108:
	ds_read_b64 v[19:20], v15 offset:30176
	ds_read_b64 v[21:22], v21 offset:29136
	s_waitcnt lgkmcnt(0)
	v_mul_f32_e32 v23, v22, v20
	v_mul_f32_e32 v20, v21, v20
	v_fma_f32 v21, v21, v19, -v23
	v_fmac_f32_e32 v20, v22, v19
	v_add_f32_e32 v10, v10, v21
	v_add_f32_e32 v11, v11, v20
	s_or_b64 exec, exec, s[10:11]
	v_cmp_gt_u32_e64 s[8:9], 4, v17
	s_and_saveexec_b64 s[10:11], s[8:9]
	s_cbranch_execnz .LBB153_946
	s_branch .LBB153_947
	.section	.rodata,"a",@progbits
	.p2align	6, 0x0
	.amdhsa_kernel _ZL19rocblas_trsv_deviceILi64ELi16ELb1ELb1ELb1ELb1E19rocblas_complex_numIfEPKS1_PKS3_PKPS1_EviT7_lllT6_T8_lllPii
		.amdhsa_group_segment_fixed_size 41480
		.amdhsa_private_segment_fixed_size 0
		.amdhsa_kernarg_size 352
		.amdhsa_user_sgpr_count 6
		.amdhsa_user_sgpr_private_segment_buffer 1
		.amdhsa_user_sgpr_dispatch_ptr 0
		.amdhsa_user_sgpr_queue_ptr 0
		.amdhsa_user_sgpr_kernarg_segment_ptr 1
		.amdhsa_user_sgpr_dispatch_id 0
		.amdhsa_user_sgpr_flat_scratch_init 0
		.amdhsa_user_sgpr_private_segment_size 0
		.amdhsa_uses_dynamic_stack 0
		.amdhsa_system_sgpr_private_segment_wavefront_offset 0
		.amdhsa_system_sgpr_workgroup_id_x 1
		.amdhsa_system_sgpr_workgroup_id_y 0
		.amdhsa_system_sgpr_workgroup_id_z 1
		.amdhsa_system_sgpr_workgroup_info 0
		.amdhsa_system_vgpr_workitem_id 1
		.amdhsa_next_free_vgpr 49
		.amdhsa_next_free_sgpr 98
		.amdhsa_reserve_vcc 1
		.amdhsa_reserve_flat_scratch 0
		.amdhsa_float_round_mode_32 0
		.amdhsa_float_round_mode_16_64 0
		.amdhsa_float_denorm_mode_32 3
		.amdhsa_float_denorm_mode_16_64 3
		.amdhsa_dx10_clamp 1
		.amdhsa_ieee_mode 1
		.amdhsa_fp16_overflow 0
		.amdhsa_exception_fp_ieee_invalid_op 0
		.amdhsa_exception_fp_denorm_src 0
		.amdhsa_exception_fp_ieee_div_zero 0
		.amdhsa_exception_fp_ieee_overflow 0
		.amdhsa_exception_fp_ieee_underflow 0
		.amdhsa_exception_fp_ieee_inexact 0
		.amdhsa_exception_int_div_zero 0
	.end_amdhsa_kernel
	.section	.text._ZL19rocblas_trsv_deviceILi64ELi16ELb1ELb1ELb1ELb1E19rocblas_complex_numIfEPKS1_PKS3_PKPS1_EviT7_lllT6_T8_lllPii,"axG",@progbits,_ZL19rocblas_trsv_deviceILi64ELi16ELb1ELb1ELb1ELb1E19rocblas_complex_numIfEPKS1_PKS3_PKPS1_EviT7_lllT6_T8_lllPii,comdat
.Lfunc_end153:
	.size	_ZL19rocblas_trsv_deviceILi64ELi16ELb1ELb1ELb1ELb1E19rocblas_complex_numIfEPKS1_PKS3_PKPS1_EviT7_lllT6_T8_lllPii, .Lfunc_end153-_ZL19rocblas_trsv_deviceILi64ELi16ELb1ELb1ELb1ELb1E19rocblas_complex_numIfEPKS1_PKS3_PKPS1_EviT7_lllT6_T8_lllPii
                                        ; -- End function
	.set _ZL19rocblas_trsv_deviceILi64ELi16ELb1ELb1ELb1ELb1E19rocblas_complex_numIfEPKS1_PKS3_PKPS1_EviT7_lllT6_T8_lllPii.num_vgpr, 43
	.set _ZL19rocblas_trsv_deviceILi64ELi16ELb1ELb1ELb1ELb1E19rocblas_complex_numIfEPKS1_PKS3_PKPS1_EviT7_lllT6_T8_lllPii.num_agpr, 0
	.set _ZL19rocblas_trsv_deviceILi64ELi16ELb1ELb1ELb1ELb1E19rocblas_complex_numIfEPKS1_PKS3_PKPS1_EviT7_lllT6_T8_lllPii.numbered_sgpr, 96
	.set _ZL19rocblas_trsv_deviceILi64ELi16ELb1ELb1ELb1ELb1E19rocblas_complex_numIfEPKS1_PKS3_PKPS1_EviT7_lllT6_T8_lllPii.num_named_barrier, 0
	.set _ZL19rocblas_trsv_deviceILi64ELi16ELb1ELb1ELb1ELb1E19rocblas_complex_numIfEPKS1_PKS3_PKPS1_EviT7_lllT6_T8_lllPii.private_seg_size, 0
	.set _ZL19rocblas_trsv_deviceILi64ELi16ELb1ELb1ELb1ELb1E19rocblas_complex_numIfEPKS1_PKS3_PKPS1_EviT7_lllT6_T8_lllPii.uses_vcc, 1
	.set _ZL19rocblas_trsv_deviceILi64ELi16ELb1ELb1ELb1ELb1E19rocblas_complex_numIfEPKS1_PKS3_PKPS1_EviT7_lllT6_T8_lllPii.uses_flat_scratch, 0
	.set _ZL19rocblas_trsv_deviceILi64ELi16ELb1ELb1ELb1ELb1E19rocblas_complex_numIfEPKS1_PKS3_PKPS1_EviT7_lllT6_T8_lllPii.has_dyn_sized_stack, 0
	.set _ZL19rocblas_trsv_deviceILi64ELi16ELb1ELb1ELb1ELb1E19rocblas_complex_numIfEPKS1_PKS3_PKPS1_EviT7_lllT6_T8_lllPii.has_recursion, 0
	.set _ZL19rocblas_trsv_deviceILi64ELi16ELb1ELb1ELb1ELb1E19rocblas_complex_numIfEPKS1_PKS3_PKPS1_EviT7_lllT6_T8_lllPii.has_indirect_call, 0
	.section	.AMDGPU.csdata,"",@progbits
; Kernel info:
; codeLenInByte = 39072
; TotalNumSgprs: 100
; NumVgprs: 43
; ScratchSize: 0
; MemoryBound: 0
; FloatMode: 240
; IeeeMode: 1
; LDSByteSize: 41480 bytes/workgroup (compile time only)
; SGPRBlocks: 12
; VGPRBlocks: 12
; NumSGPRsForWavesPerEU: 102
; NumVGPRsForWavesPerEU: 49
; Occupancy: 4
; WaveLimiterHint : 1
; COMPUTE_PGM_RSRC2:SCRATCH_EN: 0
; COMPUTE_PGM_RSRC2:USER_SGPR: 6
; COMPUTE_PGM_RSRC2:TRAP_HANDLER: 0
; COMPUTE_PGM_RSRC2:TGID_X_EN: 1
; COMPUTE_PGM_RSRC2:TGID_Y_EN: 0
; COMPUTE_PGM_RSRC2:TGID_Z_EN: 1
; COMPUTE_PGM_RSRC2:TIDIG_COMP_CNT: 1
	.section	.text._ZL19rocblas_trsv_deviceILi64ELi16ELb1ELb0ELb0ELb0E19rocblas_complex_numIfEPKS1_PKS3_PKPS1_EviT7_lllT6_T8_lllPii,"axG",@progbits,_ZL19rocblas_trsv_deviceILi64ELi16ELb1ELb0ELb0ELb0E19rocblas_complex_numIfEPKS1_PKS3_PKPS1_EviT7_lllT6_T8_lllPii,comdat
	.globl	_ZL19rocblas_trsv_deviceILi64ELi16ELb1ELb0ELb0ELb0E19rocblas_complex_numIfEPKS1_PKS3_PKPS1_EviT7_lllT6_T8_lllPii ; -- Begin function _ZL19rocblas_trsv_deviceILi64ELi16ELb1ELb0ELb0ELb0E19rocblas_complex_numIfEPKS1_PKS3_PKPS1_EviT7_lllT6_T8_lllPii
	.p2align	8
	.type	_ZL19rocblas_trsv_deviceILi64ELi16ELb1ELb0ELb0ELb0E19rocblas_complex_numIfEPKS1_PKS3_PKPS1_EviT7_lllT6_T8_lllPii,@function
_ZL19rocblas_trsv_deviceILi64ELi16ELb1ELb0ELb0ELb0E19rocblas_complex_numIfEPKS1_PKS3_PKPS1_EviT7_lllT6_T8_lllPii: ; @_ZL19rocblas_trsv_deviceILi64ELi16ELb1ELb0ELb0ELb0E19rocblas_complex_numIfEPKS1_PKS3_PKPS1_EviT7_lllT6_T8_lllPii
; %bb.0:
	s_load_dwordx4 s[12:15], s[4:5], 0x8
	s_add_u32 flat_scratch_lo, s6, s10
	s_addc_u32 flat_scratch_hi, s7, 0
	s_add_u32 s0, s0, s10
	s_mov_b32 s28, s9
	s_mov_b32 s29, 0
	s_addc_u32 s1, s1, 0
	s_lshl_b64 s[6:7], s[28:29], 3
	s_waitcnt lgkmcnt(0)
	s_add_u32 s10, s12, s6
	s_addc_u32 s11, s13, s7
	s_load_dwordx2 s[12:13], s[10:11], 0x0
	s_load_dword s9, s[4:5], 0x0
	s_load_dwordx8 s[20:27], s[4:5], 0x28
	s_load_dwordx2 s[30:31], s[4:5], 0x18
	s_lshl_b64 s[10:11], s[14:15], 3
	s_waitcnt lgkmcnt(0)
	s_add_u32 s91, s12, s10
	s_addc_u32 s92, s13, s11
	s_add_u32 s6, s22, s6
	s_addc_u32 s7, s23, s7
	s_load_dwordx2 s[36:37], s[6:7], 0x0
	s_load_dwordx2 s[34:35], s[20:21], 0x0
	s_load_dword s93, s[4:5], 0x6c
	v_mov_b32_e32 v2, v1
	s_cmp_eq_u32 s8, 0
	s_mov_b32 s33, s29
	s_cbranch_scc1 .LBB154_18
; %bb.1:
	s_lshl_b32 s33, s8, 6
	v_add_u32_e32 v1, s33, v2
	v_subrev_u32_e32 v1, 64, v1
	v_ashrrev_i32_e32 v3, 31, v1
	v_mul_lo_u32 v7, s30, v3
	v_mul_lo_u32 v8, s31, v1
	v_mad_u64_u32 v[3:4], s[6:7], s30, v1, 0
	v_add_u32_e32 v5, s33, v0
	v_ashrrev_i32_e32 v6, 31, v5
	v_add3_u32 v4, v4, v7, v8
	v_lshlrev_b64 v[3:4], 3, v[3:4]
	v_mov_b32_e32 v7, s92
	v_add_co_u32_e64 v8, s[6:7], s91, v3
	v_addc_co_u32_e64 v7, s[6:7], v7, v4, s[6:7]
	v_lshlrev_b64 v[3:4], 3, v[5:6]
	v_cmp_gt_i32_e32 vcc, s9, v5
	v_add_co_u32_e64 v3, s[6:7], v8, v3
	v_addc_co_u32_e64 v4, s[6:7], v7, v4, s[6:7]
	v_max_i32_e32 v5, v5, v1
	v_cmp_le_i32_e64 s[6:7], s9, v5
	s_waitcnt lgkmcnt(0)
	s_barrier
	s_and_saveexec_b64 s[10:11], s[6:7]
	s_xor_b64 s[6:7], exec, s[10:11]
	s_cbranch_execz .LBB154_3
; %bb.2:
	v_mov_b32_e32 v5, 0
	buffer_store_dword v5, off, s[0:3], 0
	buffer_store_dword v5, off, s[0:3], 0 offset:4
.LBB154_3:
	s_andn2_saveexec_b64 s[6:7], s[6:7]
	s_cbranch_execz .LBB154_5
; %bb.4:
	flat_load_dwordx2 v[5:6], v[3:4]
	s_waitcnt vmcnt(0) lgkmcnt(0)
	buffer_store_dword v6, off, s[0:3], 0 offset:4
	buffer_store_dword v5, off, s[0:3], 0
.LBB154_5:
	s_or_b64 exec, exec, s[6:7]
	v_add_u32_e32 v5, 16, v1
	v_cmp_le_i32_e64 s[6:7], s9, v5
	s_xor_b64 s[10:11], vcc, -1
	s_or_b64 s[6:7], s[10:11], s[6:7]
	s_waitcnt vmcnt(0)
	s_barrier
	s_and_saveexec_b64 s[12:13], s[6:7]
	s_xor_b64 s[6:7], exec, s[12:13]
	s_cbranch_execz .LBB154_7
; %bb.6:
	v_mov_b32_e32 v5, 0
	buffer_store_dword v5, off, s[0:3], 0 offset:8
	buffer_store_dword v5, off, s[0:3], 0 offset:12
.LBB154_7:
	s_andn2_saveexec_b64 s[6:7], s[6:7]
	s_cbranch_execz .LBB154_9
; %bb.8:
	s_lshl_b64 s[12:13], s[30:31], 7
	v_mov_b32_e32 v6, s13
	v_add_co_u32_e32 v5, vcc, s12, v3
	v_addc_co_u32_e32 v6, vcc, v4, v6, vcc
	flat_load_dwordx2 v[5:6], v[5:6]
	s_waitcnt vmcnt(0) lgkmcnt(0)
	buffer_store_dword v6, off, s[0:3], 0 offset:12
	buffer_store_dword v5, off, s[0:3], 0 offset:8
.LBB154_9:
	s_or_b64 exec, exec, s[6:7]
	v_add_u32_e32 v5, 32, v1
	v_cmp_le_i32_e32 vcc, s9, v5
	s_or_b64 s[6:7], s[10:11], vcc
	s_waitcnt vmcnt(0)
	s_barrier
	s_and_saveexec_b64 s[12:13], s[6:7]
	s_xor_b64 s[6:7], exec, s[12:13]
	s_cbranch_execz .LBB154_11
; %bb.10:
	v_mov_b32_e32 v5, 0
	buffer_store_dword v5, off, s[0:3], 0 offset:16
	buffer_store_dword v5, off, s[0:3], 0 offset:20
.LBB154_11:
	s_andn2_saveexec_b64 s[6:7], s[6:7]
	s_cbranch_execz .LBB154_13
; %bb.12:
	s_lshl_b64 s[12:13], s[30:31], 8
	v_mov_b32_e32 v6, s13
	v_add_co_u32_e32 v5, vcc, s12, v3
	v_addc_co_u32_e32 v6, vcc, v4, v6, vcc
	flat_load_dwordx2 v[5:6], v[5:6]
	s_waitcnt vmcnt(0) lgkmcnt(0)
	buffer_store_dword v6, off, s[0:3], 0 offset:20
	buffer_store_dword v5, off, s[0:3], 0 offset:16
.LBB154_13:
	s_or_b64 exec, exec, s[6:7]
	v_add_u32_e32 v1, 48, v1
	v_cmp_le_i32_e32 vcc, s9, v1
	s_or_b64 s[6:7], s[10:11], vcc
	s_waitcnt vmcnt(0)
	s_barrier
	s_and_saveexec_b64 s[10:11], s[6:7]
	s_xor_b64 s[6:7], exec, s[10:11]
	s_cbranch_execz .LBB154_15
; %bb.14:
	v_mov_b32_e32 v1, 0
	buffer_store_dword v1, off, s[0:3], 0 offset:24
	buffer_store_dword v1, off, s[0:3], 0 offset:28
                                        ; implicit-def: $vgpr3_vgpr4
.LBB154_15:
	s_andn2_saveexec_b64 s[6:7], s[6:7]
	s_cbranch_execz .LBB154_17
; %bb.16:
	v_mov_b32_e32 v1, 0x180
	v_mad_u64_u32 v[3:4], s[10:11], s30, v1, v[3:4]
	s_mul_i32 s10, s31, 0x180
	v_add_u32_e32 v4, s10, v4
	flat_load_dwordx2 v[3:4], v[3:4]
	s_waitcnt vmcnt(0) lgkmcnt(0)
	buffer_store_dword v4, off, s[0:3], 0 offset:28
	buffer_store_dword v3, off, s[0:3], 0 offset:24
.LBB154_17:
	s_or_b64 exec, exec, s[6:7]
.LBB154_18:
	s_ashr_i32 s6, s9, 31
	s_lshr_b32 s6, s6, 26
	s_add_i32 s6, s9, s6
	s_andn2_b32 s6, s6, 63
	s_sub_i32 s90, s9, s6
	s_add_i32 s6, s9, -1
	s_ashr_i32 s7, s6, 31
	s_lshr_b32 s7, s7, 26
	s_add_i32 s6, s6, s7
	s_ashr_i32 s6, s6, 6
	s_cmp_eq_u32 s6, s8
	s_cselect_b64 s[6:7], -1, 0
	s_cmp_lg_u32 s90, 0
	s_cselect_b64 s[10:11], -1, 0
	s_and_b64 s[22:23], s[10:11], s[6:7]
	s_ashr_i32 s58, s33, 31
	s_add_u32 s12, s30, 1
	v_mov_b32_e32 v1, 0
	v_mov_b32_e32 v3, s33
	v_mad_u64_u32 v[3:4], s[6:7], s12, v3, v[0:1]
	s_addc_u32 s13, s31, 0
	s_mul_i32 s6, s12, s58
	s_mul_i32 s13, s13, s33
	s_add_i32 s6, s6, s13
	s_mov_b64 s[10:11], -1
	v_add_u32_e32 v4, s6, v4
	s_and_b64 vcc, exec, s[22:23]
	v_cmp_le_u32_e64 s[6:7], v0, v2
	v_lshl_add_u32 v1, v2, 6, v0
	s_cbranch_vccnz .LBB154_76
; %bb.19:
	v_mad_u64_u32 v[5:6], s[10:11], s30, v2, v[3:4]
	v_mad_u64_u32 v[6:7], s[10:11], s31, v2, v[6:7]
	s_and_saveexec_b64 s[10:11], s[6:7]
	s_xor_b64 s[6:7], exec, s[10:11]
	s_cbranch_execz .LBB154_31
; %bb.20:
	v_cmp_ne_u32_e32 vcc, v0, v2
	s_and_saveexec_b64 s[10:11], vcc
	s_xor_b64 s[10:11], exec, s[10:11]
	s_cbranch_execz .LBB154_24
; %bb.21:
	v_or_b32_e32 v5, v2, v0
	v_cmp_gt_u32_e32 vcc, 64, v5
	s_and_saveexec_b64 s[12:13], vcc
; %bb.22:
	v_mov_b32_e32 v5, 0
	v_lshlrev_b32_e32 v7, 3, v1
	v_mov_b32_e32 v6, v5
	ds_write_b64 v7, v[5:6]
; %bb.23:
	s_or_b64 exec, exec, s[12:13]
                                        ; implicit-def: $vgpr5_vgpr6
.LBB154_24:
	s_andn2_saveexec_b64 s[10:11], s[10:11]
	s_cbranch_execz .LBB154_30
; %bb.25:
	v_lshlrev_b64 v[5:6], 3, v[5:6]
	v_mov_b32_e32 v7, s92
	v_add_co_u32_e32 v5, vcc, s91, v5
	v_addc_co_u32_e32 v6, vcc, v7, v6, vcc
	flat_load_dwordx2 v[5:6], v[5:6]
                                        ; implicit-def: $vgpr7
	s_waitcnt vmcnt(0) lgkmcnt(0)
	v_cmp_ngt_f32_e64 s[12:13], |v5|, |v6|
	s_and_saveexec_b64 s[14:15], s[12:13]
	s_xor_b64 s[12:13], exec, s[14:15]
	s_cbranch_execz .LBB154_27
; %bb.26:
	v_div_scale_f32 v7, s[14:15], v6, v6, v5
	v_div_scale_f32 v8, vcc, v5, v6, v5
	v_rcp_f32_e32 v9, v7
	v_fma_f32 v10, -v7, v9, 1.0
	v_fmac_f32_e32 v9, v10, v9
	v_mul_f32_e32 v10, v8, v9
	v_fma_f32 v11, -v7, v10, v8
	v_fmac_f32_e32 v10, v11, v9
	v_fma_f32 v7, -v7, v10, v8
	v_div_fmas_f32 v7, v7, v9, v10
	v_div_fixup_f32 v7, v7, v6, v5
	v_fmac_f32_e32 v6, v5, v7
	v_div_scale_f32 v5, s[14:15], v6, v6, 1.0
	v_div_scale_f32 v8, vcc, 1.0, v6, 1.0
	v_rcp_f32_e32 v9, v5
	v_fma_f32 v10, -v5, v9, 1.0
	v_fmac_f32_e32 v9, v10, v9
	v_mul_f32_e32 v10, v8, v9
	v_fma_f32 v11, -v5, v10, v8
	v_fmac_f32_e32 v10, v11, v9
	v_fma_f32 v5, -v5, v10, v8
	v_div_fmas_f32 v5, v5, v9, v10
	v_div_fixup_f32 v5, v5, v6, 1.0
	v_mul_f32_e32 v7, v7, v5
	v_xor_b32_e32 v8, 0x80000000, v5
                                        ; implicit-def: $vgpr5_vgpr6
.LBB154_27:
	s_andn2_saveexec_b64 s[12:13], s[12:13]
	s_cbranch_execz .LBB154_29
; %bb.28:
	v_div_scale_f32 v7, s[14:15], v5, v5, v6
	v_div_scale_f32 v8, vcc, v6, v5, v6
	v_rcp_f32_e32 v9, v7
	v_fma_f32 v10, -v7, v9, 1.0
	v_fmac_f32_e32 v9, v10, v9
	v_mul_f32_e32 v10, v8, v9
	v_fma_f32 v11, -v7, v10, v8
	v_fmac_f32_e32 v10, v11, v9
	v_fma_f32 v7, -v7, v10, v8
	v_div_fmas_f32 v7, v7, v9, v10
	v_div_fixup_f32 v8, v7, v5, v6
	v_fmac_f32_e32 v5, v6, v8
	v_div_scale_f32 v6, s[14:15], v5, v5, 1.0
	v_div_scale_f32 v7, vcc, 1.0, v5, 1.0
	v_rcp_f32_e32 v9, v6
	v_fma_f32 v10, -v6, v9, 1.0
	v_fmac_f32_e32 v9, v10, v9
	v_mul_f32_e32 v10, v7, v9
	v_fma_f32 v11, -v6, v10, v7
	v_fmac_f32_e32 v10, v11, v9
	v_fma_f32 v6, -v6, v10, v7
	v_div_fmas_f32 v6, v6, v9, v10
	v_div_fixup_f32 v7, v6, v5, 1.0
	v_mul_f32_e64 v8, v8, -v7
.LBB154_29:
	s_or_b64 exec, exec, s[12:13]
	v_lshlrev_b32_e32 v5, 3, v1
	ds_write_b64 v5, v[7:8]
.LBB154_30:
	s_or_b64 exec, exec, s[10:11]
                                        ; implicit-def: $vgpr5_vgpr6
.LBB154_31:
	s_andn2_saveexec_b64 s[6:7], s[6:7]
	s_cbranch_execz .LBB154_33
; %bb.32:
	v_lshlrev_b64 v[5:6], 3, v[5:6]
	v_mov_b32_e32 v7, s92
	v_add_co_u32_e32 v5, vcc, s91, v5
	v_addc_co_u32_e32 v6, vcc, v7, v6, vcc
	flat_load_dwordx2 v[5:6], v[5:6]
	v_lshlrev_b32_e32 v7, 3, v1
	s_waitcnt vmcnt(0) lgkmcnt(0)
	v_xor_b32_e32 v5, 0x80000000, v5
	v_xor_b32_e32 v6, 0x80000000, v6
	ds_write_b64 v7, v[5:6]
.LBB154_33:
	s_or_b64 exec, exec, s[6:7]
	v_add_u32_e32 v7, 16, v2
	v_mad_u64_u32 v[5:6], s[6:7], s30, v7, v[3:4]
	v_cmp_le_u32_e32 vcc, v0, v7
	v_mad_u64_u32 v[8:9], s[6:7], s31, v7, v[6:7]
	v_lshl_add_u32 v9, v7, 6, v0
	v_mov_b32_e32 v6, v8
	s_and_saveexec_b64 s[6:7], vcc
	s_xor_b64 s[6:7], exec, s[6:7]
	s_cbranch_execz .LBB154_45
; %bb.34:
	v_cmp_ne_u32_e32 vcc, v0, v7
	s_and_saveexec_b64 s[10:11], vcc
	s_xor_b64 s[10:11], exec, s[10:11]
	s_cbranch_execz .LBB154_38
; %bb.35:
	v_or_b32_e32 v5, v7, v0
	v_cmp_gt_u32_e32 vcc, 64, v5
	s_and_saveexec_b64 s[12:13], vcc
; %bb.36:
	v_mov_b32_e32 v5, 0
	v_lshlrev_b32_e32 v7, 3, v9
	v_mov_b32_e32 v6, v5
	ds_write_b64 v7, v[5:6]
; %bb.37:
	s_or_b64 exec, exec, s[12:13]
                                        ; implicit-def: $vgpr9
                                        ; implicit-def: $vgpr5_vgpr6
.LBB154_38:
	s_andn2_saveexec_b64 s[10:11], s[10:11]
	s_cbranch_execz .LBB154_44
; %bb.39:
	v_lshlrev_b64 v[5:6], 3, v[5:6]
	v_mov_b32_e32 v7, s92
	v_add_co_u32_e32 v5, vcc, s91, v5
	v_addc_co_u32_e32 v6, vcc, v7, v6, vcc
	flat_load_dwordx2 v[5:6], v[5:6]
                                        ; implicit-def: $vgpr7
	s_waitcnt vmcnt(0) lgkmcnt(0)
	v_cmp_ngt_f32_e64 s[12:13], |v5|, |v6|
	s_and_saveexec_b64 s[14:15], s[12:13]
	s_xor_b64 s[12:13], exec, s[14:15]
	s_cbranch_execz .LBB154_41
; %bb.40:
	v_div_scale_f32 v7, s[14:15], v6, v6, v5
	v_div_scale_f32 v8, vcc, v5, v6, v5
	v_rcp_f32_e32 v10, v7
	v_fma_f32 v11, -v7, v10, 1.0
	v_fmac_f32_e32 v10, v11, v10
	v_mul_f32_e32 v11, v8, v10
	v_fma_f32 v12, -v7, v11, v8
	v_fmac_f32_e32 v11, v12, v10
	v_fma_f32 v7, -v7, v11, v8
	v_div_fmas_f32 v7, v7, v10, v11
	v_div_fixup_f32 v7, v7, v6, v5
	v_fmac_f32_e32 v6, v5, v7
	v_div_scale_f32 v5, s[14:15], v6, v6, 1.0
	v_div_scale_f32 v8, vcc, 1.0, v6, 1.0
	v_rcp_f32_e32 v10, v5
	v_fma_f32 v11, -v5, v10, 1.0
	v_fmac_f32_e32 v10, v11, v10
	v_mul_f32_e32 v11, v8, v10
	v_fma_f32 v12, -v5, v11, v8
	v_fmac_f32_e32 v11, v12, v10
	v_fma_f32 v5, -v5, v11, v8
	v_div_fmas_f32 v5, v5, v10, v11
	v_div_fixup_f32 v5, v5, v6, 1.0
	v_mul_f32_e32 v7, v7, v5
	v_xor_b32_e32 v8, 0x80000000, v5
                                        ; implicit-def: $vgpr5_vgpr6
.LBB154_41:
	s_andn2_saveexec_b64 s[12:13], s[12:13]
	s_cbranch_execz .LBB154_43
; %bb.42:
	v_div_scale_f32 v7, s[14:15], v5, v5, v6
	v_div_scale_f32 v8, vcc, v6, v5, v6
	v_rcp_f32_e32 v10, v7
	v_fma_f32 v11, -v7, v10, 1.0
	v_fmac_f32_e32 v10, v11, v10
	v_mul_f32_e32 v11, v8, v10
	v_fma_f32 v12, -v7, v11, v8
	v_fmac_f32_e32 v11, v12, v10
	v_fma_f32 v7, -v7, v11, v8
	v_div_fmas_f32 v7, v7, v10, v11
	v_div_fixup_f32 v8, v7, v5, v6
	v_fmac_f32_e32 v5, v6, v8
	v_div_scale_f32 v6, s[14:15], v5, v5, 1.0
	v_div_scale_f32 v7, vcc, 1.0, v5, 1.0
	v_rcp_f32_e32 v10, v6
	v_fma_f32 v11, -v6, v10, 1.0
	v_fmac_f32_e32 v10, v11, v10
	v_mul_f32_e32 v11, v7, v10
	v_fma_f32 v12, -v6, v11, v7
	v_fmac_f32_e32 v11, v12, v10
	v_fma_f32 v6, -v6, v11, v7
	v_div_fmas_f32 v6, v6, v10, v11
	v_div_fixup_f32 v7, v6, v5, 1.0
	v_mul_f32_e64 v8, v8, -v7
.LBB154_43:
	s_or_b64 exec, exec, s[12:13]
	v_lshlrev_b32_e32 v5, 3, v9
	ds_write_b64 v5, v[7:8]
.LBB154_44:
	s_or_b64 exec, exec, s[10:11]
                                        ; implicit-def: $vgpr5_vgpr6
                                        ; implicit-def: $vgpr9
.LBB154_45:
	s_andn2_saveexec_b64 s[6:7], s[6:7]
	s_cbranch_execz .LBB154_47
; %bb.46:
	v_lshlrev_b64 v[5:6], 3, v[5:6]
	v_mov_b32_e32 v7, s92
	v_add_co_u32_e32 v5, vcc, s91, v5
	v_addc_co_u32_e32 v6, vcc, v7, v6, vcc
	flat_load_dwordx2 v[5:6], v[5:6]
	v_lshlrev_b32_e32 v7, 3, v9
	s_waitcnt vmcnt(0) lgkmcnt(0)
	v_xor_b32_e32 v5, 0x80000000, v5
	v_xor_b32_e32 v6, 0x80000000, v6
	ds_write_b64 v7, v[5:6]
.LBB154_47:
	s_or_b64 exec, exec, s[6:7]
	v_add_u32_e32 v7, 32, v2
	v_mad_u64_u32 v[5:6], s[6:7], s30, v7, v[3:4]
	v_cmp_le_u32_e32 vcc, v0, v7
	v_mad_u64_u32 v[8:9], s[6:7], s31, v7, v[6:7]
	v_lshl_add_u32 v9, v7, 6, v0
	v_mov_b32_e32 v6, v8
	s_and_saveexec_b64 s[6:7], vcc
	s_xor_b64 s[6:7], exec, s[6:7]
	s_cbranch_execz .LBB154_59
; %bb.48:
	v_cmp_ne_u32_e32 vcc, v0, v7
	s_and_saveexec_b64 s[10:11], vcc
	s_xor_b64 s[10:11], exec, s[10:11]
	s_cbranch_execz .LBB154_52
; %bb.49:
	v_or_b32_e32 v5, v7, v0
	v_cmp_gt_u32_e32 vcc, 64, v5
	s_and_saveexec_b64 s[12:13], vcc
; %bb.50:
	v_mov_b32_e32 v5, 0
	v_lshlrev_b32_e32 v7, 3, v9
	v_mov_b32_e32 v6, v5
	ds_write_b64 v7, v[5:6]
; %bb.51:
	s_or_b64 exec, exec, s[12:13]
                                        ; implicit-def: $vgpr9
                                        ; implicit-def: $vgpr5_vgpr6
.LBB154_52:
	s_andn2_saveexec_b64 s[10:11], s[10:11]
	s_cbranch_execz .LBB154_58
; %bb.53:
	v_lshlrev_b64 v[5:6], 3, v[5:6]
	v_mov_b32_e32 v7, s92
	v_add_co_u32_e32 v5, vcc, s91, v5
	v_addc_co_u32_e32 v6, vcc, v7, v6, vcc
	flat_load_dwordx2 v[5:6], v[5:6]
                                        ; implicit-def: $vgpr7
	s_waitcnt vmcnt(0) lgkmcnt(0)
	v_cmp_ngt_f32_e64 s[12:13], |v5|, |v6|
	s_and_saveexec_b64 s[14:15], s[12:13]
	s_xor_b64 s[12:13], exec, s[14:15]
	s_cbranch_execz .LBB154_55
; %bb.54:
	v_div_scale_f32 v7, s[14:15], v6, v6, v5
	v_div_scale_f32 v8, vcc, v5, v6, v5
	v_rcp_f32_e32 v10, v7
	v_fma_f32 v11, -v7, v10, 1.0
	v_fmac_f32_e32 v10, v11, v10
	v_mul_f32_e32 v11, v8, v10
	v_fma_f32 v12, -v7, v11, v8
	v_fmac_f32_e32 v11, v12, v10
	v_fma_f32 v7, -v7, v11, v8
	v_div_fmas_f32 v7, v7, v10, v11
	v_div_fixup_f32 v7, v7, v6, v5
	v_fmac_f32_e32 v6, v5, v7
	v_div_scale_f32 v5, s[14:15], v6, v6, 1.0
	v_div_scale_f32 v8, vcc, 1.0, v6, 1.0
	v_rcp_f32_e32 v10, v5
	v_fma_f32 v11, -v5, v10, 1.0
	v_fmac_f32_e32 v10, v11, v10
	v_mul_f32_e32 v11, v8, v10
	v_fma_f32 v12, -v5, v11, v8
	v_fmac_f32_e32 v11, v12, v10
	v_fma_f32 v5, -v5, v11, v8
	v_div_fmas_f32 v5, v5, v10, v11
	v_div_fixup_f32 v5, v5, v6, 1.0
	v_mul_f32_e32 v7, v7, v5
	v_xor_b32_e32 v8, 0x80000000, v5
                                        ; implicit-def: $vgpr5_vgpr6
.LBB154_55:
	s_andn2_saveexec_b64 s[12:13], s[12:13]
	s_cbranch_execz .LBB154_57
; %bb.56:
	v_div_scale_f32 v7, s[14:15], v5, v5, v6
	v_div_scale_f32 v8, vcc, v6, v5, v6
	v_rcp_f32_e32 v10, v7
	v_fma_f32 v11, -v7, v10, 1.0
	v_fmac_f32_e32 v10, v11, v10
	v_mul_f32_e32 v11, v8, v10
	v_fma_f32 v12, -v7, v11, v8
	v_fmac_f32_e32 v11, v12, v10
	v_fma_f32 v7, -v7, v11, v8
	v_div_fmas_f32 v7, v7, v10, v11
	v_div_fixup_f32 v8, v7, v5, v6
	v_fmac_f32_e32 v5, v6, v8
	v_div_scale_f32 v6, s[14:15], v5, v5, 1.0
	v_div_scale_f32 v7, vcc, 1.0, v5, 1.0
	v_rcp_f32_e32 v10, v6
	v_fma_f32 v11, -v6, v10, 1.0
	v_fmac_f32_e32 v10, v11, v10
	v_mul_f32_e32 v11, v7, v10
	v_fma_f32 v12, -v6, v11, v7
	v_fmac_f32_e32 v11, v12, v10
	v_fma_f32 v6, -v6, v11, v7
	v_div_fmas_f32 v6, v6, v10, v11
	v_div_fixup_f32 v7, v6, v5, 1.0
	v_mul_f32_e64 v8, v8, -v7
.LBB154_57:
	s_or_b64 exec, exec, s[12:13]
	v_lshlrev_b32_e32 v5, 3, v9
	ds_write_b64 v5, v[7:8]
.LBB154_58:
	s_or_b64 exec, exec, s[10:11]
                                        ; implicit-def: $vgpr5_vgpr6
                                        ; implicit-def: $vgpr9
.LBB154_59:
	s_andn2_saveexec_b64 s[6:7], s[6:7]
	s_cbranch_execz .LBB154_61
; %bb.60:
	v_lshlrev_b64 v[5:6], 3, v[5:6]
	v_mov_b32_e32 v7, s92
	v_add_co_u32_e32 v5, vcc, s91, v5
	v_addc_co_u32_e32 v6, vcc, v7, v6, vcc
	flat_load_dwordx2 v[5:6], v[5:6]
	v_lshlrev_b32_e32 v7, 3, v9
	s_waitcnt vmcnt(0) lgkmcnt(0)
	v_xor_b32_e32 v5, 0x80000000, v5
	v_xor_b32_e32 v6, 0x80000000, v6
	ds_write_b64 v7, v[5:6]
.LBB154_61:
	s_or_b64 exec, exec, s[6:7]
	v_add_u32_e32 v7, 48, v2
	v_mad_u64_u32 v[5:6], s[6:7], s30, v7, v[3:4]
	v_cmp_le_u32_e32 vcc, v0, v7
	v_mad_u64_u32 v[8:9], s[6:7], s31, v7, v[6:7]
	v_lshl_add_u32 v9, v7, 6, v0
	v_mov_b32_e32 v6, v8
	s_and_saveexec_b64 s[6:7], vcc
	s_xor_b64 s[6:7], exec, s[6:7]
	s_cbranch_execz .LBB154_73
; %bb.62:
	v_cmp_ne_u32_e32 vcc, v0, v7
	s_and_saveexec_b64 s[10:11], vcc
	s_xor_b64 s[10:11], exec, s[10:11]
	s_cbranch_execz .LBB154_66
; %bb.63:
	v_or_b32_e32 v5, v7, v0
	v_cmp_gt_u32_e32 vcc, 64, v5
	s_and_saveexec_b64 s[12:13], vcc
; %bb.64:
	v_mov_b32_e32 v5, 0
	v_lshlrev_b32_e32 v7, 3, v9
	v_mov_b32_e32 v6, v5
	ds_write_b64 v7, v[5:6]
; %bb.65:
	s_or_b64 exec, exec, s[12:13]
                                        ; implicit-def: $vgpr9
                                        ; implicit-def: $vgpr5_vgpr6
.LBB154_66:
	s_andn2_saveexec_b64 s[10:11], s[10:11]
	s_cbranch_execz .LBB154_72
; %bb.67:
	v_lshlrev_b64 v[5:6], 3, v[5:6]
	v_mov_b32_e32 v7, s92
	v_add_co_u32_e32 v5, vcc, s91, v5
	v_addc_co_u32_e32 v6, vcc, v7, v6, vcc
	flat_load_dwordx2 v[5:6], v[5:6]
                                        ; implicit-def: $vgpr7
	s_waitcnt vmcnt(0) lgkmcnt(0)
	v_cmp_ngt_f32_e64 s[12:13], |v5|, |v6|
	s_and_saveexec_b64 s[14:15], s[12:13]
	s_xor_b64 s[12:13], exec, s[14:15]
	s_cbranch_execz .LBB154_69
; %bb.68:
	v_div_scale_f32 v7, s[14:15], v6, v6, v5
	v_div_scale_f32 v8, vcc, v5, v6, v5
	v_rcp_f32_e32 v10, v7
	v_fma_f32 v11, -v7, v10, 1.0
	v_fmac_f32_e32 v10, v11, v10
	v_mul_f32_e32 v11, v8, v10
	v_fma_f32 v12, -v7, v11, v8
	v_fmac_f32_e32 v11, v12, v10
	v_fma_f32 v7, -v7, v11, v8
	v_div_fmas_f32 v7, v7, v10, v11
	v_div_fixup_f32 v7, v7, v6, v5
	v_fmac_f32_e32 v6, v5, v7
	v_div_scale_f32 v5, s[14:15], v6, v6, 1.0
	v_div_scale_f32 v8, vcc, 1.0, v6, 1.0
	v_rcp_f32_e32 v10, v5
	v_fma_f32 v11, -v5, v10, 1.0
	v_fmac_f32_e32 v10, v11, v10
	v_mul_f32_e32 v11, v8, v10
	v_fma_f32 v12, -v5, v11, v8
	v_fmac_f32_e32 v11, v12, v10
	v_fma_f32 v5, -v5, v11, v8
	v_div_fmas_f32 v5, v5, v10, v11
	v_div_fixup_f32 v5, v5, v6, 1.0
	v_mul_f32_e32 v7, v7, v5
	v_xor_b32_e32 v8, 0x80000000, v5
                                        ; implicit-def: $vgpr5_vgpr6
.LBB154_69:
	s_andn2_saveexec_b64 s[12:13], s[12:13]
	s_cbranch_execz .LBB154_71
; %bb.70:
	v_div_scale_f32 v7, s[14:15], v5, v5, v6
	v_div_scale_f32 v8, vcc, v6, v5, v6
	v_rcp_f32_e32 v10, v7
	v_fma_f32 v11, -v7, v10, 1.0
	v_fmac_f32_e32 v10, v11, v10
	v_mul_f32_e32 v11, v8, v10
	v_fma_f32 v12, -v7, v11, v8
	v_fmac_f32_e32 v11, v12, v10
	v_fma_f32 v7, -v7, v11, v8
	v_div_fmas_f32 v7, v7, v10, v11
	v_div_fixup_f32 v8, v7, v5, v6
	v_fmac_f32_e32 v5, v6, v8
	v_div_scale_f32 v6, s[14:15], v5, v5, 1.0
	v_div_scale_f32 v7, vcc, 1.0, v5, 1.0
	v_rcp_f32_e32 v10, v6
	v_fma_f32 v11, -v6, v10, 1.0
	v_fmac_f32_e32 v10, v11, v10
	v_mul_f32_e32 v11, v7, v10
	v_fma_f32 v12, -v6, v11, v7
	v_fmac_f32_e32 v11, v12, v10
	v_fma_f32 v6, -v6, v11, v7
	v_div_fmas_f32 v6, v6, v10, v11
	v_div_fixup_f32 v7, v6, v5, 1.0
	v_mul_f32_e64 v8, v8, -v7
.LBB154_71:
	s_or_b64 exec, exec, s[12:13]
	v_lshlrev_b32_e32 v5, 3, v9
	ds_write_b64 v5, v[7:8]
.LBB154_72:
	s_or_b64 exec, exec, s[10:11]
                                        ; implicit-def: $vgpr5_vgpr6
                                        ; implicit-def: $vgpr9
.LBB154_73:
	s_andn2_saveexec_b64 s[6:7], s[6:7]
	s_cbranch_execz .LBB154_75
; %bb.74:
	v_lshlrev_b64 v[5:6], 3, v[5:6]
	v_mov_b32_e32 v7, s92
	v_add_co_u32_e32 v5, vcc, s91, v5
	v_addc_co_u32_e32 v6, vcc, v7, v6, vcc
	flat_load_dwordx2 v[5:6], v[5:6]
	v_lshlrev_b32_e32 v7, 3, v9
	s_waitcnt vmcnt(0) lgkmcnt(0)
	v_xor_b32_e32 v5, 0x80000000, v5
	v_xor_b32_e32 v6, 0x80000000, v6
	ds_write_b64 v7, v[5:6]
.LBB154_75:
	s_or_b64 exec, exec, s[6:7]
	s_mov_b64 s[10:11], 0
.LBB154_76:
	s_and_b64 vcc, exec, s[10:11]
	s_cbranch_vccz .LBB154_134
; %bb.77:
	v_mad_u64_u32 v[5:6], s[6:7], s30, v2, v[3:4]
	v_cmp_le_u32_e32 vcc, v0, v2
	v_cmp_gt_i32_e64 s[6:7], s90, v0
	v_mad_u64_u32 v[6:7], s[10:11], s31, v2, v[6:7]
	v_max_i32_e32 v7, v2, v0
	v_cmp_le_i32_e64 s[10:11], s90, v7
	s_or_b64 s[10:11], s[10:11], vcc
	s_and_saveexec_b64 s[12:13], s[10:11]
	s_xor_b64 s[10:11], exec, s[12:13]
	s_cbranch_execz .LBB154_89
; %bb.78:
	v_cmp_ne_u32_e32 vcc, v0, v2
	s_xor_b64 s[12:13], s[6:7], -1
	s_or_b64 s[12:13], s[12:13], vcc
	s_and_saveexec_b64 s[14:15], s[12:13]
	s_xor_b64 s[12:13], exec, s[14:15]
	s_cbranch_execz .LBB154_82
; %bb.79:
	v_or_b32_e32 v5, v2, v0
	v_cmp_gt_u32_e32 vcc, 64, v5
	s_and_saveexec_b64 s[14:15], vcc
; %bb.80:
	v_mov_b32_e32 v5, 0
	v_lshlrev_b32_e32 v7, 3, v1
	v_mov_b32_e32 v6, v5
	ds_write_b64 v7, v[5:6]
; %bb.81:
	s_or_b64 exec, exec, s[14:15]
                                        ; implicit-def: $vgpr5_vgpr6
.LBB154_82:
	s_andn2_saveexec_b64 s[12:13], s[12:13]
	s_cbranch_execz .LBB154_88
; %bb.83:
	v_lshlrev_b64 v[5:6], 3, v[5:6]
	v_mov_b32_e32 v7, s92
	v_add_co_u32_e32 v5, vcc, s91, v5
	v_addc_co_u32_e32 v6, vcc, v7, v6, vcc
	flat_load_dwordx2 v[5:6], v[5:6]
                                        ; implicit-def: $vgpr7
	s_waitcnt vmcnt(0) lgkmcnt(0)
	v_cmp_ngt_f32_e64 s[14:15], |v5|, |v6|
	s_and_saveexec_b64 s[16:17], s[14:15]
	s_xor_b64 s[14:15], exec, s[16:17]
	s_cbranch_execz .LBB154_85
; %bb.84:
	v_div_scale_f32 v7, s[16:17], v6, v6, v5
	v_div_scale_f32 v8, vcc, v5, v6, v5
	v_rcp_f32_e32 v9, v7
	v_fma_f32 v10, -v7, v9, 1.0
	v_fmac_f32_e32 v9, v10, v9
	v_mul_f32_e32 v10, v8, v9
	v_fma_f32 v11, -v7, v10, v8
	v_fmac_f32_e32 v10, v11, v9
	v_fma_f32 v7, -v7, v10, v8
	v_div_fmas_f32 v7, v7, v9, v10
	v_div_fixup_f32 v7, v7, v6, v5
	v_fmac_f32_e32 v6, v5, v7
	v_div_scale_f32 v5, s[16:17], v6, v6, 1.0
	v_div_scale_f32 v8, vcc, 1.0, v6, 1.0
	v_rcp_f32_e32 v9, v5
	v_fma_f32 v10, -v5, v9, 1.0
	v_fmac_f32_e32 v9, v10, v9
	v_mul_f32_e32 v10, v8, v9
	v_fma_f32 v11, -v5, v10, v8
	v_fmac_f32_e32 v10, v11, v9
	v_fma_f32 v5, -v5, v10, v8
	v_div_fmas_f32 v5, v5, v9, v10
	v_div_fixup_f32 v5, v5, v6, 1.0
	v_mul_f32_e32 v7, v7, v5
	v_xor_b32_e32 v8, 0x80000000, v5
                                        ; implicit-def: $vgpr5_vgpr6
.LBB154_85:
	s_andn2_saveexec_b64 s[14:15], s[14:15]
	s_cbranch_execz .LBB154_87
; %bb.86:
	v_div_scale_f32 v7, s[16:17], v5, v5, v6
	v_div_scale_f32 v8, vcc, v6, v5, v6
	v_rcp_f32_e32 v9, v7
	v_fma_f32 v10, -v7, v9, 1.0
	v_fmac_f32_e32 v9, v10, v9
	v_mul_f32_e32 v10, v8, v9
	v_fma_f32 v11, -v7, v10, v8
	v_fmac_f32_e32 v10, v11, v9
	v_fma_f32 v7, -v7, v10, v8
	v_div_fmas_f32 v7, v7, v9, v10
	v_div_fixup_f32 v8, v7, v5, v6
	v_fmac_f32_e32 v5, v6, v8
	v_div_scale_f32 v6, s[16:17], v5, v5, 1.0
	v_div_scale_f32 v7, vcc, 1.0, v5, 1.0
	v_rcp_f32_e32 v9, v6
	v_fma_f32 v10, -v6, v9, 1.0
	v_fmac_f32_e32 v9, v10, v9
	v_mul_f32_e32 v10, v7, v9
	v_fma_f32 v11, -v6, v10, v7
	v_fmac_f32_e32 v10, v11, v9
	v_fma_f32 v6, -v6, v10, v7
	v_div_fmas_f32 v6, v6, v9, v10
	v_div_fixup_f32 v7, v6, v5, 1.0
	v_mul_f32_e64 v8, v8, -v7
.LBB154_87:
	s_or_b64 exec, exec, s[14:15]
	v_lshlrev_b32_e32 v5, 3, v1
	ds_write_b64 v5, v[7:8]
.LBB154_88:
	s_or_b64 exec, exec, s[12:13]
                                        ; implicit-def: $vgpr5_vgpr6
.LBB154_89:
	s_andn2_saveexec_b64 s[10:11], s[10:11]
	s_cbranch_execz .LBB154_91
; %bb.90:
	v_lshlrev_b64 v[5:6], 3, v[5:6]
	v_mov_b32_e32 v7, s92
	v_add_co_u32_e32 v5, vcc, s91, v5
	v_addc_co_u32_e32 v6, vcc, v7, v6, vcc
	flat_load_dwordx2 v[5:6], v[5:6]
	v_lshlrev_b32_e32 v7, 3, v1
	s_waitcnt vmcnt(0) lgkmcnt(0)
	v_xor_b32_e32 v5, 0x80000000, v5
	v_xor_b32_e32 v6, 0x80000000, v6
	ds_write_b64 v7, v[5:6]
.LBB154_91:
	s_or_b64 exec, exec, s[10:11]
	v_add_u32_e32 v7, 16, v2
	v_mad_u64_u32 v[5:6], s[10:11], s30, v7, v[3:4]
	v_cmp_gt_u32_e32 vcc, v0, v7
	v_lshl_add_u32 v9, v7, 6, v0
	v_mad_u64_u32 v[10:11], s[10:11], s31, v7, v[6:7]
	v_cmp_gt_i32_e64 s[10:11], s90, v7
	s_and_b64 s[10:11], vcc, s[10:11]
	s_and_b64 s[10:11], s[6:7], s[10:11]
	v_mov_b32_e32 v6, v10
	s_xor_b64 s[10:11], s[10:11], -1
	s_and_saveexec_b64 s[12:13], s[10:11]
	s_xor_b64 s[10:11], exec, s[12:13]
	s_cbranch_execz .LBB154_103
; %bb.92:
	v_cmp_ne_u32_e32 vcc, v0, v7
	s_xor_b64 s[12:13], s[6:7], -1
	s_or_b64 s[12:13], s[12:13], vcc
	s_and_saveexec_b64 s[14:15], s[12:13]
	s_xor_b64 s[12:13], exec, s[14:15]
	s_cbranch_execz .LBB154_96
; %bb.93:
	v_or_b32_e32 v5, v7, v0
	v_cmp_gt_u32_e32 vcc, 64, v5
	s_and_saveexec_b64 s[14:15], vcc
; %bb.94:
	v_mov_b32_e32 v5, 0
	v_lshlrev_b32_e32 v7, 3, v9
	v_mov_b32_e32 v6, v5
	ds_write_b64 v7, v[5:6]
; %bb.95:
	s_or_b64 exec, exec, s[14:15]
                                        ; implicit-def: $vgpr9
                                        ; implicit-def: $vgpr5_vgpr6
.LBB154_96:
	s_andn2_saveexec_b64 s[12:13], s[12:13]
	s_cbranch_execz .LBB154_102
; %bb.97:
	v_lshlrev_b64 v[5:6], 3, v[5:6]
	v_mov_b32_e32 v7, s92
	v_add_co_u32_e32 v5, vcc, s91, v5
	v_addc_co_u32_e32 v6, vcc, v7, v6, vcc
	flat_load_dwordx2 v[5:6], v[5:6]
                                        ; implicit-def: $vgpr7
	s_waitcnt vmcnt(0) lgkmcnt(0)
	v_cmp_ngt_f32_e64 s[14:15], |v5|, |v6|
	s_and_saveexec_b64 s[16:17], s[14:15]
	s_xor_b64 s[14:15], exec, s[16:17]
	s_cbranch_execz .LBB154_99
; %bb.98:
	v_div_scale_f32 v7, s[16:17], v6, v6, v5
	v_div_scale_f32 v8, vcc, v5, v6, v5
	v_rcp_f32_e32 v10, v7
	v_fma_f32 v11, -v7, v10, 1.0
	v_fmac_f32_e32 v10, v11, v10
	v_mul_f32_e32 v11, v8, v10
	v_fma_f32 v12, -v7, v11, v8
	v_fmac_f32_e32 v11, v12, v10
	v_fma_f32 v7, -v7, v11, v8
	v_div_fmas_f32 v7, v7, v10, v11
	v_div_fixup_f32 v7, v7, v6, v5
	v_fmac_f32_e32 v6, v5, v7
	v_div_scale_f32 v5, s[16:17], v6, v6, 1.0
	v_div_scale_f32 v8, vcc, 1.0, v6, 1.0
	v_rcp_f32_e32 v10, v5
	v_fma_f32 v11, -v5, v10, 1.0
	v_fmac_f32_e32 v10, v11, v10
	v_mul_f32_e32 v11, v8, v10
	v_fma_f32 v12, -v5, v11, v8
	v_fmac_f32_e32 v11, v12, v10
	v_fma_f32 v5, -v5, v11, v8
	v_div_fmas_f32 v5, v5, v10, v11
	v_div_fixup_f32 v5, v5, v6, 1.0
	v_mul_f32_e32 v7, v7, v5
	v_xor_b32_e32 v8, 0x80000000, v5
                                        ; implicit-def: $vgpr5_vgpr6
.LBB154_99:
	s_andn2_saveexec_b64 s[14:15], s[14:15]
	s_cbranch_execz .LBB154_101
; %bb.100:
	v_div_scale_f32 v7, s[16:17], v5, v5, v6
	v_div_scale_f32 v8, vcc, v6, v5, v6
	v_rcp_f32_e32 v10, v7
	v_fma_f32 v11, -v7, v10, 1.0
	v_fmac_f32_e32 v10, v11, v10
	v_mul_f32_e32 v11, v8, v10
	v_fma_f32 v12, -v7, v11, v8
	v_fmac_f32_e32 v11, v12, v10
	v_fma_f32 v7, -v7, v11, v8
	v_div_fmas_f32 v7, v7, v10, v11
	v_div_fixup_f32 v8, v7, v5, v6
	v_fmac_f32_e32 v5, v6, v8
	v_div_scale_f32 v6, s[16:17], v5, v5, 1.0
	v_div_scale_f32 v7, vcc, 1.0, v5, 1.0
	v_rcp_f32_e32 v10, v6
	v_fma_f32 v11, -v6, v10, 1.0
	v_fmac_f32_e32 v10, v11, v10
	v_mul_f32_e32 v11, v7, v10
	v_fma_f32 v12, -v6, v11, v7
	v_fmac_f32_e32 v11, v12, v10
	v_fma_f32 v6, -v6, v11, v7
	v_div_fmas_f32 v6, v6, v10, v11
	v_div_fixup_f32 v7, v6, v5, 1.0
	v_mul_f32_e64 v8, v8, -v7
.LBB154_101:
	s_or_b64 exec, exec, s[14:15]
	v_lshlrev_b32_e32 v5, 3, v9
	ds_write_b64 v5, v[7:8]
.LBB154_102:
	s_or_b64 exec, exec, s[12:13]
                                        ; implicit-def: $vgpr5_vgpr6
                                        ; implicit-def: $vgpr9
.LBB154_103:
	s_andn2_saveexec_b64 s[10:11], s[10:11]
	s_cbranch_execz .LBB154_105
; %bb.104:
	v_lshlrev_b64 v[5:6], 3, v[5:6]
	v_mov_b32_e32 v7, s92
	v_add_co_u32_e32 v5, vcc, s91, v5
	v_addc_co_u32_e32 v6, vcc, v7, v6, vcc
	flat_load_dwordx2 v[5:6], v[5:6]
	v_lshlrev_b32_e32 v7, 3, v9
	s_waitcnt vmcnt(0) lgkmcnt(0)
	v_xor_b32_e32 v5, 0x80000000, v5
	v_xor_b32_e32 v6, 0x80000000, v6
	ds_write_b64 v7, v[5:6]
.LBB154_105:
	s_or_b64 exec, exec, s[10:11]
	v_add_u32_e32 v7, 32, v2
	v_mad_u64_u32 v[5:6], s[10:11], s30, v7, v[3:4]
	v_cmp_gt_u32_e32 vcc, v0, v7
	v_lshl_add_u32 v9, v7, 6, v0
	v_mad_u64_u32 v[10:11], s[10:11], s31, v7, v[6:7]
	v_cmp_gt_i32_e64 s[10:11], s90, v7
	s_and_b64 s[10:11], vcc, s[10:11]
	s_and_b64 s[10:11], s[6:7], s[10:11]
	v_mov_b32_e32 v6, v10
	s_xor_b64 s[10:11], s[10:11], -1
	s_and_saveexec_b64 s[12:13], s[10:11]
	s_xor_b64 s[10:11], exec, s[12:13]
	s_cbranch_execz .LBB154_117
; %bb.106:
	v_cmp_ne_u32_e32 vcc, v0, v7
	s_xor_b64 s[12:13], s[6:7], -1
	s_or_b64 s[12:13], s[12:13], vcc
	s_and_saveexec_b64 s[14:15], s[12:13]
	s_xor_b64 s[12:13], exec, s[14:15]
	s_cbranch_execz .LBB154_110
; %bb.107:
	v_or_b32_e32 v5, v7, v0
	v_cmp_gt_u32_e32 vcc, 64, v5
	s_and_saveexec_b64 s[14:15], vcc
; %bb.108:
	v_mov_b32_e32 v5, 0
	v_lshlrev_b32_e32 v7, 3, v9
	v_mov_b32_e32 v6, v5
	ds_write_b64 v7, v[5:6]
; %bb.109:
	s_or_b64 exec, exec, s[14:15]
                                        ; implicit-def: $vgpr9
                                        ; implicit-def: $vgpr5_vgpr6
.LBB154_110:
	s_andn2_saveexec_b64 s[12:13], s[12:13]
	s_cbranch_execz .LBB154_116
; %bb.111:
	v_lshlrev_b64 v[5:6], 3, v[5:6]
	v_mov_b32_e32 v7, s92
	v_add_co_u32_e32 v5, vcc, s91, v5
	v_addc_co_u32_e32 v6, vcc, v7, v6, vcc
	flat_load_dwordx2 v[5:6], v[5:6]
                                        ; implicit-def: $vgpr7
	s_waitcnt vmcnt(0) lgkmcnt(0)
	v_cmp_ngt_f32_e64 s[14:15], |v5|, |v6|
	s_and_saveexec_b64 s[16:17], s[14:15]
	s_xor_b64 s[14:15], exec, s[16:17]
	s_cbranch_execz .LBB154_113
; %bb.112:
	v_div_scale_f32 v7, s[16:17], v6, v6, v5
	v_div_scale_f32 v8, vcc, v5, v6, v5
	v_rcp_f32_e32 v10, v7
	v_fma_f32 v11, -v7, v10, 1.0
	v_fmac_f32_e32 v10, v11, v10
	v_mul_f32_e32 v11, v8, v10
	v_fma_f32 v12, -v7, v11, v8
	v_fmac_f32_e32 v11, v12, v10
	v_fma_f32 v7, -v7, v11, v8
	v_div_fmas_f32 v7, v7, v10, v11
	v_div_fixup_f32 v7, v7, v6, v5
	v_fmac_f32_e32 v6, v5, v7
	v_div_scale_f32 v5, s[16:17], v6, v6, 1.0
	v_div_scale_f32 v8, vcc, 1.0, v6, 1.0
	v_rcp_f32_e32 v10, v5
	v_fma_f32 v11, -v5, v10, 1.0
	v_fmac_f32_e32 v10, v11, v10
	v_mul_f32_e32 v11, v8, v10
	v_fma_f32 v12, -v5, v11, v8
	v_fmac_f32_e32 v11, v12, v10
	v_fma_f32 v5, -v5, v11, v8
	v_div_fmas_f32 v5, v5, v10, v11
	v_div_fixup_f32 v5, v5, v6, 1.0
	v_mul_f32_e32 v7, v7, v5
	v_xor_b32_e32 v8, 0x80000000, v5
                                        ; implicit-def: $vgpr5_vgpr6
.LBB154_113:
	s_andn2_saveexec_b64 s[14:15], s[14:15]
	s_cbranch_execz .LBB154_115
; %bb.114:
	v_div_scale_f32 v7, s[16:17], v5, v5, v6
	v_div_scale_f32 v8, vcc, v6, v5, v6
	v_rcp_f32_e32 v10, v7
	v_fma_f32 v11, -v7, v10, 1.0
	v_fmac_f32_e32 v10, v11, v10
	v_mul_f32_e32 v11, v8, v10
	v_fma_f32 v12, -v7, v11, v8
	v_fmac_f32_e32 v11, v12, v10
	v_fma_f32 v7, -v7, v11, v8
	v_div_fmas_f32 v7, v7, v10, v11
	v_div_fixup_f32 v8, v7, v5, v6
	v_fmac_f32_e32 v5, v6, v8
	v_div_scale_f32 v6, s[16:17], v5, v5, 1.0
	v_div_scale_f32 v7, vcc, 1.0, v5, 1.0
	v_rcp_f32_e32 v10, v6
	v_fma_f32 v11, -v6, v10, 1.0
	v_fmac_f32_e32 v10, v11, v10
	v_mul_f32_e32 v11, v7, v10
	v_fma_f32 v12, -v6, v11, v7
	v_fmac_f32_e32 v11, v12, v10
	v_fma_f32 v6, -v6, v11, v7
	v_div_fmas_f32 v6, v6, v10, v11
	v_div_fixup_f32 v7, v6, v5, 1.0
	v_mul_f32_e64 v8, v8, -v7
.LBB154_115:
	s_or_b64 exec, exec, s[14:15]
	v_lshlrev_b32_e32 v5, 3, v9
	ds_write_b64 v5, v[7:8]
.LBB154_116:
	s_or_b64 exec, exec, s[12:13]
                                        ; implicit-def: $vgpr5_vgpr6
                                        ; implicit-def: $vgpr9
.LBB154_117:
	s_andn2_saveexec_b64 s[10:11], s[10:11]
	s_cbranch_execz .LBB154_119
; %bb.118:
	v_lshlrev_b64 v[5:6], 3, v[5:6]
	v_mov_b32_e32 v7, s92
	v_add_co_u32_e32 v5, vcc, s91, v5
	v_addc_co_u32_e32 v6, vcc, v7, v6, vcc
	flat_load_dwordx2 v[5:6], v[5:6]
	v_lshlrev_b32_e32 v7, 3, v9
	s_waitcnt vmcnt(0) lgkmcnt(0)
	v_xor_b32_e32 v5, 0x80000000, v5
	v_xor_b32_e32 v6, 0x80000000, v6
	ds_write_b64 v7, v[5:6]
.LBB154_119:
	s_or_b64 exec, exec, s[10:11]
	v_add_u32_e32 v5, 48, v2
	v_mad_u64_u32 v[3:4], s[10:11], s30, v5, v[3:4]
	v_cmp_gt_u32_e32 vcc, v0, v5
	v_lshl_add_u32 v7, v5, 6, v0
	v_mad_u64_u32 v[8:9], s[10:11], s31, v5, v[4:5]
	v_cmp_gt_i32_e64 s[10:11], s90, v5
	s_and_b64 s[10:11], vcc, s[10:11]
	s_and_b64 s[10:11], s[6:7], s[10:11]
	v_mov_b32_e32 v4, v8
	s_xor_b64 s[10:11], s[10:11], -1
	s_and_saveexec_b64 s[12:13], s[10:11]
	s_xor_b64 s[10:11], exec, s[12:13]
	s_cbranch_execz .LBB154_131
; %bb.120:
	v_cmp_ne_u32_e32 vcc, v0, v5
	s_xor_b64 s[6:7], s[6:7], -1
	s_or_b64 s[6:7], s[6:7], vcc
	s_and_saveexec_b64 s[12:13], s[6:7]
	s_xor_b64 s[6:7], exec, s[12:13]
	s_cbranch_execz .LBB154_124
; %bb.121:
	v_or_b32_e32 v3, v5, v0
	v_cmp_gt_u32_e32 vcc, 64, v3
	s_and_saveexec_b64 s[12:13], vcc
; %bb.122:
	v_mov_b32_e32 v3, 0
	v_lshlrev_b32_e32 v5, 3, v7
	v_mov_b32_e32 v4, v3
	ds_write_b64 v5, v[3:4]
; %bb.123:
	s_or_b64 exec, exec, s[12:13]
                                        ; implicit-def: $vgpr7
                                        ; implicit-def: $vgpr3_vgpr4
.LBB154_124:
	s_andn2_saveexec_b64 s[6:7], s[6:7]
	s_cbranch_execz .LBB154_130
; %bb.125:
	v_lshlrev_b64 v[3:4], 3, v[3:4]
	v_mov_b32_e32 v5, s92
	v_add_co_u32_e32 v3, vcc, s91, v3
	v_addc_co_u32_e32 v4, vcc, v5, v4, vcc
	flat_load_dwordx2 v[3:4], v[3:4]
                                        ; implicit-def: $vgpr5
	s_waitcnt vmcnt(0) lgkmcnt(0)
	v_cmp_ngt_f32_e64 s[12:13], |v3|, |v4|
	s_and_saveexec_b64 s[14:15], s[12:13]
	s_xor_b64 s[12:13], exec, s[14:15]
	s_cbranch_execz .LBB154_127
; %bb.126:
	v_div_scale_f32 v5, s[14:15], v4, v4, v3
	v_div_scale_f32 v6, vcc, v3, v4, v3
	v_rcp_f32_e32 v8, v5
	v_fma_f32 v9, -v5, v8, 1.0
	v_fmac_f32_e32 v8, v9, v8
	v_mul_f32_e32 v9, v6, v8
	v_fma_f32 v10, -v5, v9, v6
	v_fmac_f32_e32 v9, v10, v8
	v_fma_f32 v5, -v5, v9, v6
	v_div_fmas_f32 v5, v5, v8, v9
	v_div_fixup_f32 v5, v5, v4, v3
	v_fmac_f32_e32 v4, v3, v5
	v_div_scale_f32 v3, s[14:15], v4, v4, 1.0
	v_div_scale_f32 v6, vcc, 1.0, v4, 1.0
	v_rcp_f32_e32 v8, v3
	v_fma_f32 v9, -v3, v8, 1.0
	v_fmac_f32_e32 v8, v9, v8
	v_mul_f32_e32 v9, v6, v8
	v_fma_f32 v10, -v3, v9, v6
	v_fmac_f32_e32 v9, v10, v8
	v_fma_f32 v3, -v3, v9, v6
	v_div_fmas_f32 v3, v3, v8, v9
	v_div_fixup_f32 v3, v3, v4, 1.0
	v_mul_f32_e32 v5, v5, v3
	v_xor_b32_e32 v6, 0x80000000, v3
                                        ; implicit-def: $vgpr3_vgpr4
.LBB154_127:
	s_andn2_saveexec_b64 s[12:13], s[12:13]
	s_cbranch_execz .LBB154_129
; %bb.128:
	v_div_scale_f32 v5, s[14:15], v3, v3, v4
	v_div_scale_f32 v6, vcc, v4, v3, v4
	v_rcp_f32_e32 v8, v5
	v_fma_f32 v9, -v5, v8, 1.0
	v_fmac_f32_e32 v8, v9, v8
	v_mul_f32_e32 v9, v6, v8
	v_fma_f32 v10, -v5, v9, v6
	v_fmac_f32_e32 v9, v10, v8
	v_fma_f32 v5, -v5, v9, v6
	v_div_fmas_f32 v5, v5, v8, v9
	v_div_fixup_f32 v6, v5, v3, v4
	v_fmac_f32_e32 v3, v4, v6
	v_div_scale_f32 v4, s[14:15], v3, v3, 1.0
	v_div_scale_f32 v5, vcc, 1.0, v3, 1.0
	v_rcp_f32_e32 v8, v4
	v_fma_f32 v9, -v4, v8, 1.0
	v_fmac_f32_e32 v8, v9, v8
	v_mul_f32_e32 v9, v5, v8
	v_fma_f32 v10, -v4, v9, v5
	v_fmac_f32_e32 v9, v10, v8
	v_fma_f32 v4, -v4, v9, v5
	v_div_fmas_f32 v4, v4, v8, v9
	v_div_fixup_f32 v5, v4, v3, 1.0
	v_mul_f32_e64 v6, v6, -v5
.LBB154_129:
	s_or_b64 exec, exec, s[12:13]
	v_lshlrev_b32_e32 v3, 3, v7
	ds_write_b64 v3, v[5:6]
.LBB154_130:
	s_or_b64 exec, exec, s[6:7]
                                        ; implicit-def: $vgpr3_vgpr4
                                        ; implicit-def: $vgpr7
.LBB154_131:
	s_andn2_saveexec_b64 s[6:7], s[10:11]
	s_cbranch_execz .LBB154_133
; %bb.132:
	v_lshlrev_b64 v[3:4], 3, v[3:4]
	v_mov_b32_e32 v5, s92
	v_add_co_u32_e32 v3, vcc, s91, v3
	v_addc_co_u32_e32 v4, vcc, v5, v4, vcc
	flat_load_dwordx2 v[3:4], v[3:4]
	v_lshlrev_b32_e32 v5, 3, v7
	s_waitcnt vmcnt(0) lgkmcnt(0)
	v_xor_b32_e32 v3, 0x80000000, v3
	v_xor_b32_e32 v4, 0x80000000, v4
	ds_write_b64 v5, v[3:4]
.LBB154_133:
	s_or_b64 exec, exec, s[6:7]
.LBB154_134:
	s_cmp_lt_i32 s8, 5
	s_cselect_b64 s[6:7], -1, 0
	s_or_b64 s[38:39], s[6:7], s[22:23]
	s_and_b64 vcc, exec, s[38:39]
	s_waitcnt vmcnt(0) lgkmcnt(0)
	s_barrier
	s_cbranch_vccnz .LBB154_994
; %bb.135:
	v_or_b32_e32 v3, v0, v2
	v_cmp_eq_u32_e32 vcc, 0, v3
	s_and_saveexec_b64 s[6:7], vcc
	s_cbranch_execz .LBB154_137
; %bb.136:
	v_mov_b32_e32 v9, 0
	ds_read_b128 v[3:6], v9
	ds_read_b64 v[7:8], v9 offset:520
	s_waitcnt lgkmcnt(0)
	v_mul_f32_e32 v10, v8, v4
	v_mul_f32_e32 v11, v7, v4
	v_fma_f32 v7, v7, v3, -v10
	v_fmac_f32_e32 v11, v8, v3
	v_mul_f32_e32 v3, v11, v6
	v_mul_f32_e32 v4, v7, v6
	v_fma_f32 v3, v7, v5, -v3
	v_fmac_f32_e32 v4, v11, v5
	ds_write_b64 v9, v[3:4] offset:8
.LBB154_137:
	s_or_b64 exec, exec, s[6:7]
	v_and_b32_e32 v8, 1, v0
	v_lshrrev_b32_e32 v5, 1, v1
	v_lshlrev_b32_e32 v3, 3, v8
	v_cmp_lt_u32_e64 s[10:11], 3, v1
	v_cmp_gt_u32_e64 s[6:7], 4, v1
	v_lshl_or_b32 v3, v5, 9, v3
	v_mov_b32_e32 v6, 0
	v_mov_b32_e32 v7, 0
	s_waitcnt lgkmcnt(0)
	s_barrier
	s_and_saveexec_b64 s[14:15], s[6:7]
	s_cbranch_execz .LBB154_141
; %bb.138:
	v_mul_u32_u24_e32 v4, 0x208, v5
	ds_read_b64 v[6:7], v3 offset:16
	ds_read_b64 v[9:10], v4
	v_cmp_gt_u32_e64 s[12:13], 2, v1
	s_waitcnt lgkmcnt(0)
	v_mul_f32_e32 v4, v10, v7
	v_mul_f32_e32 v7, v9, v7
	v_fma_f32 v4, v9, v6, -v4
	v_fmac_f32_e32 v7, v10, v6
	v_add_f32_e32 v4, 0, v4
	v_add_f32_e32 v6, 0, v7
	s_and_saveexec_b64 s[16:17], s[12:13]
	s_cbranch_execz .LBB154_140
; %bb.139:
	v_lshlrev_b32_e32 v7, 3, v0
	v_mov_b32_e32 v11, 0
	ds_read_b64 v[9:10], v7 offset:528
	ds_read_b64 v[11:12], v11 offset:8
	s_waitcnt lgkmcnt(0)
	v_mul_f32_e32 v7, v12, v10
	v_mul_f32_e32 v10, v11, v10
	v_fma_f32 v7, v11, v9, -v7
	v_fmac_f32_e32 v10, v12, v9
	v_add_f32_e32 v4, v4, v7
	v_add_f32_e32 v6, v6, v10
.LBB154_140:
	s_or_b64 exec, exec, s[16:17]
	v_xor_b32_e32 v7, 0x80000000, v4
	v_xor_b32_e32 v6, 0x80000000, v6
.LBB154_141:
	s_or_b64 exec, exec, s[14:15]
	v_mov_b32_e32 v4, 0x8000
	v_cmp_eq_u32_e64 s[12:13], 0, v8
	s_xor_b64 s[14:15], s[10:11], -1
	v_lshl_add_u32 v4, v5, 3, v4
	s_and_b64 s[42:43], s[12:13], s[14:15]
	s_and_saveexec_b64 s[10:11], s[42:43]
	s_cbranch_execz .LBB154_143
; %bb.142:
	v_mov_b32_e32 v9, 0
	ds_read_b64 v[9:10], v9 offset:1040
	s_waitcnt lgkmcnt(0)
	v_mul_f32_e32 v12, v6, v10
	v_mul_f32_e32 v11, v7, v10
	v_fma_f32 v10, v7, v9, -v12
	v_fmac_f32_e32 v11, v6, v9
	v_mov_b32_e32 v7, v10
	v_mov_b32_e32 v6, v11
	ds_write_b64 v4, v[10:11]
.LBB154_143:
	s_or_b64 exec, exec, s[10:11]
	v_cmp_ne_u32_e64 s[10:11], 0, v8
	s_and_b64 s[40:41], s[10:11], s[14:15]
	s_waitcnt lgkmcnt(0)
	s_barrier
	s_and_saveexec_b64 s[10:11], s[40:41]
	s_cbranch_execz .LBB154_145
; %bb.144:
	v_mov_b32_e32 v8, 0
	ds_read_b64 v[8:9], v8 offset:1048
	ds_read_b64 v[10:11], v4
	s_waitcnt lgkmcnt(0)
	v_mul_f32_e32 v12, v11, v9
	v_mul_f32_e32 v9, v10, v9
	v_fma_f32 v10, v10, v8, -v12
	v_fmac_f32_e32 v9, v11, v8
	v_add_f32_e32 v7, v7, v10
	v_add_f32_e32 v6, v6, v9
.LBB154_145:
	s_or_b64 exec, exec, s[10:11]
	s_barrier
	s_and_saveexec_b64 s[10:11], s[40:41]
	s_cbranch_execz .LBB154_147
; %bb.146:
	v_mov_b32_e32 v8, 0
	ds_read_b64 v[8:9], v8 offset:1560
	s_waitcnt lgkmcnt(0)
	v_mul_f32_e32 v11, v6, v9
	v_mul_f32_e32 v10, v7, v9
	v_fma_f32 v9, v7, v8, -v11
	v_fmac_f32_e32 v10, v6, v8
	v_mov_b32_e32 v7, v9
	v_mov_b32_e32 v6, v10
	ds_write_b64 v4, v[9:10]
.LBB154_147:
	s_or_b64 exec, exec, s[10:11]
	s_waitcnt lgkmcnt(0)
	s_barrier
	s_barrier
	s_and_saveexec_b64 s[10:11], s[6:7]
; %bb.148:
	v_xor_b32_e32 v8, 0x80000000, v6
	v_xor_b32_e32 v7, 0x80000000, v7
	ds_write_b64 v3, v[7:8] offset:16
; %bb.149:
	s_or_b64 exec, exec, s[10:11]
	s_waitcnt lgkmcnt(0)
	s_barrier
	s_barrier
	s_and_saveexec_b64 s[10:11], vcc
	s_cbranch_execz .LBB154_151
; %bb.150:
	v_mov_b32_e32 v12, 0
	ds_read_b128 v[6:9], v12 offset:1040
	ds_read_b64 v[10:11], v12 offset:1560
	s_waitcnt lgkmcnt(0)
	v_mul_f32_e32 v13, v11, v7
	v_mul_f32_e32 v14, v10, v7
	v_fma_f32 v10, v10, v6, -v13
	v_fmac_f32_e32 v14, v11, v6
	v_mul_f32_e32 v6, v14, v9
	v_mul_f32_e32 v7, v10, v9
	v_fma_f32 v6, v10, v8, -v6
	v_fmac_f32_e32 v7, v14, v8
	ds_write_b64 v12, v[6:7] offset:1048
.LBB154_151:
	s_or_b64 exec, exec, s[10:11]
	v_and_b32_e32 v9, 3, v0
	v_lshrrev_b32_e32 v10, 2, v1
	v_lshlrev_b32_e32 v7, 3, v9
	v_cmp_lt_u32_e64 s[10:11], 15, v1
	v_cmp_gt_u32_e64 s[18:19], 16, v1
	v_lshl_or_b32 v6, v10, 9, v7
	v_mov_b32_e32 v11, 0
	v_mov_b32_e32 v12, 0
	s_waitcnt lgkmcnt(0)
	s_barrier
	s_and_saveexec_b64 s[14:15], s[18:19]
	s_cbranch_execz .LBB154_157
; %bb.152:
	v_mul_u32_u24_e32 v12, 0x208, v10
	ds_read_b64 v[13:14], v6 offset:32
	ds_read_b64 v[15:16], v12
	v_cmp_gt_u32_e64 s[12:13], 12, v1
	s_waitcnt lgkmcnt(0)
	v_mul_f32_e32 v8, v16, v14
	v_mul_f32_e32 v11, v15, v14
	v_fma_f32 v8, v15, v13, -v8
	v_fmac_f32_e32 v11, v16, v13
	v_add_f32_e32 v8, 0, v8
	v_add_f32_e32 v11, 0, v11
	s_and_saveexec_b64 s[16:17], s[12:13]
	s_cbranch_execnz .LBB154_1054
; %bb.153:
	s_or_b64 exec, exec, s[16:17]
	v_cmp_gt_u32_e64 s[12:13], 8, v1
	s_and_saveexec_b64 s[16:17], s[12:13]
	s_cbranch_execnz .LBB154_1055
.LBB154_154:
	s_or_b64 exec, exec, s[16:17]
	v_cmp_gt_u32_e64 s[12:13], 4, v1
	s_and_saveexec_b64 s[16:17], s[12:13]
	s_cbranch_execz .LBB154_156
.LBB154_155:
	v_lshlrev_b32_e32 v12, 3, v0
	v_mov_b32_e32 v14, 0
	ds_read_b64 v[12:13], v12 offset:1568
	ds_read_b64 v[14:15], v14 offset:24
	s_waitcnt lgkmcnt(0)
	v_mul_f32_e32 v16, v15, v13
	v_mul_f32_e32 v13, v14, v13
	v_fma_f32 v14, v14, v12, -v16
	v_fmac_f32_e32 v13, v15, v12
	v_add_f32_e32 v8, v8, v14
	v_add_f32_e32 v11, v11, v13
.LBB154_156:
	s_or_b64 exec, exec, s[16:17]
	v_xor_b32_e32 v12, 0x80000000, v8
	v_xor_b32_e32 v11, 0x80000000, v11
.LBB154_157:
                                        ; implicit-def: $vgpr34 : SGPR spill to VGPR lane
	v_writelane_b32 v34, s36, 0
	v_writelane_b32 v34, s37, 1
	;; [unrolled: 1-line block ×4, first 2 shown]
	s_or_b64 exec, exec, s[14:15]
	v_mov_b32_e32 v8, 0x8000
	v_cmp_eq_u32_e64 s[12:13], 0, v9
	s_xor_b64 s[14:15], s[10:11], -1
	v_lshl_add_u32 v8, v10, 3, v8
	s_and_b64 s[46:47], s[12:13], s[14:15]
	s_and_saveexec_b64 s[10:11], s[46:47]
	s_cbranch_execz .LBB154_159
; %bb.158:
	v_mov_b32_e32 v13, 0
	ds_read_b64 v[13:14], v13 offset:2080
	s_waitcnt lgkmcnt(0)
	v_mul_f32_e32 v16, v11, v14
	v_mul_f32_e32 v15, v12, v14
	v_fma_f32 v14, v12, v13, -v16
	v_fmac_f32_e32 v15, v11, v13
	v_mov_b32_e32 v12, v14
	v_mov_b32_e32 v11, v15
	ds_write_b64 v8, v[14:15]
.LBB154_159:
	s_or_b64 exec, exec, s[10:11]
	v_cmp_ne_u32_e64 s[10:11], 0, v9
	s_and_b64 s[48:49], s[10:11], s[14:15]
	s_waitcnt lgkmcnt(0)
	s_barrier
	s_and_saveexec_b64 s[10:11], s[48:49]
	s_cbranch_execz .LBB154_161
; %bb.160:
	ds_read_b64 v[13:14], v7 offset:2080
	ds_read_b64 v[15:16], v8
	s_waitcnt lgkmcnt(0)
	v_mul_f32_e32 v17, v16, v14
	v_mul_f32_e32 v14, v15, v14
	v_fma_f32 v15, v15, v13, -v17
	v_fmac_f32_e32 v14, v16, v13
	v_add_f32_e32 v12, v12, v15
	v_add_f32_e32 v11, v11, v14
.LBB154_161:
	s_or_b64 exec, exec, s[10:11]
	v_cmp_eq_u32_e64 s[10:11], 1, v9
	s_and_b64 s[50:51], s[10:11], s[14:15]
	s_barrier
	s_and_saveexec_b64 s[10:11], s[50:51]
	s_cbranch_execz .LBB154_163
; %bb.162:
	v_mov_b32_e32 v13, 0
	ds_read_b64 v[13:14], v13 offset:2600
	s_waitcnt lgkmcnt(0)
	v_mul_f32_e32 v16, v11, v14
	v_mul_f32_e32 v15, v12, v14
	v_fma_f32 v14, v12, v13, -v16
	v_fmac_f32_e32 v15, v11, v13
	v_mov_b32_e32 v12, v14
	v_mov_b32_e32 v11, v15
	ds_write_b64 v8, v[14:15]
.LBB154_163:
	s_or_b64 exec, exec, s[10:11]
	v_cmp_lt_u32_e64 s[10:11], 1, v9
	s_and_b64 s[52:53], s[10:11], s[14:15]
	s_waitcnt lgkmcnt(0)
	s_barrier
	s_and_saveexec_b64 s[10:11], s[52:53]
	s_cbranch_execz .LBB154_165
; %bb.164:
	ds_read_b64 v[13:14], v7 offset:2592
	ds_read_b64 v[15:16], v8
	s_waitcnt lgkmcnt(0)
	v_mul_f32_e32 v17, v16, v14
	v_mul_f32_e32 v14, v15, v14
	v_fma_f32 v15, v15, v13, -v17
	v_fmac_f32_e32 v14, v16, v13
	v_add_f32_e32 v12, v12, v15
	v_add_f32_e32 v11, v11, v14
.LBB154_165:
	s_or_b64 exec, exec, s[10:11]
	v_cmp_eq_u32_e64 s[10:11], 2, v9
	s_and_b64 s[54:55], s[10:11], s[14:15]
	s_barrier
	s_and_saveexec_b64 s[10:11], s[54:55]
	s_cbranch_execz .LBB154_167
; %bb.166:
	v_mov_b32_e32 v13, 0
	ds_read_b64 v[13:14], v13 offset:3120
	s_waitcnt lgkmcnt(0)
	v_mul_f32_e32 v16, v11, v14
	v_mul_f32_e32 v15, v12, v14
	v_fma_f32 v14, v12, v13, -v16
	v_fmac_f32_e32 v15, v11, v13
	v_mov_b32_e32 v12, v14
	v_mov_b32_e32 v11, v15
	ds_write_b64 v8, v[14:15]
.LBB154_167:
	s_or_b64 exec, exec, s[10:11]
	v_cmp_eq_u32_e64 s[10:11], 3, v9
	s_and_b64 s[44:45], s[10:11], s[14:15]
	s_waitcnt lgkmcnt(0)
	s_barrier
	s_and_saveexec_b64 s[10:11], s[44:45]
	s_cbranch_execz .LBB154_169
; %bb.168:
	v_mov_b32_e32 v13, 0
	ds_read_b64 v[13:14], v13 offset:3128
	ds_read_b64 v[15:16], v8
	s_waitcnt lgkmcnt(0)
	v_mul_f32_e32 v17, v16, v14
	v_mul_f32_e32 v14, v15, v14
	v_fma_f32 v15, v15, v13, -v17
	v_fmac_f32_e32 v14, v16, v13
	v_add_f32_e32 v12, v12, v15
	v_add_f32_e32 v11, v11, v14
.LBB154_169:
	s_or_b64 exec, exec, s[10:11]
	s_barrier
	s_and_saveexec_b64 s[10:11], s[44:45]
	s_cbranch_execz .LBB154_171
; %bb.170:
	v_mov_b32_e32 v13, 0
	ds_read_b64 v[13:14], v13 offset:3640
	s_waitcnt lgkmcnt(0)
	v_mul_f32_e32 v16, v11, v14
	v_mul_f32_e32 v15, v12, v14
	v_fma_f32 v14, v12, v13, -v16
	v_fmac_f32_e32 v15, v11, v13
	v_mov_b32_e32 v12, v14
	v_mov_b32_e32 v11, v15
	ds_write_b64 v8, v[14:15]
.LBB154_171:
	s_or_b64 exec, exec, s[10:11]
	s_waitcnt lgkmcnt(0)
	s_barrier
	s_barrier
	s_and_saveexec_b64 s[10:11], s[18:19]
; %bb.172:
	v_xor_b32_e32 v12, 0x80000000, v12
	v_xor_b32_e32 v13, 0x80000000, v11
	ds_write_b64 v6, v[12:13] offset:32
; %bb.173:
	s_or_b64 exec, exec, s[10:11]
	s_waitcnt lgkmcnt(0)
	s_barrier
	s_barrier
	s_and_saveexec_b64 s[10:11], vcc
	s_cbranch_execz .LBB154_175
; %bb.174:
	v_mov_b32_e32 v17, 0
	ds_read_b128 v[11:14], v17 offset:2080
	ds_read_b64 v[15:16], v17 offset:2600
	s_waitcnt lgkmcnt(0)
	v_mul_f32_e32 v18, v16, v12
	v_mul_f32_e32 v19, v15, v12
	v_fma_f32 v15, v15, v11, -v18
	v_fmac_f32_e32 v19, v16, v11
	v_mul_f32_e32 v11, v19, v14
	v_mul_f32_e32 v12, v15, v14
	v_fma_f32 v11, v15, v13, -v11
	v_fmac_f32_e32 v12, v19, v13
	ds_write_b64 v17, v[11:12] offset:2088
.LBB154_175:
	s_or_b64 exec, exec, s[10:11]
	v_mov_b32_e32 v11, 0
	v_mov_b32_e32 v12, 0
	s_waitcnt lgkmcnt(0)
	s_barrier
	s_and_saveexec_b64 s[12:13], s[6:7]
	s_cbranch_execz .LBB154_179
; %bb.176:
	v_mul_u32_u24_e32 v13, 0x208, v5
	ds_read_b64 v[11:12], v3 offset:2096
	ds_read_b64 v[13:14], v13 offset:2080
	v_cmp_gt_u32_e64 s[10:11], 2, v1
	s_waitcnt lgkmcnt(0)
	v_mul_f32_e32 v15, v14, v12
	v_mul_f32_e32 v12, v13, v12
	v_fma_f32 v13, v13, v11, -v15
	v_fmac_f32_e32 v12, v14, v11
	v_add_f32_e32 v11, 0, v13
	v_add_f32_e32 v13, 0, v12
	s_and_saveexec_b64 s[14:15], s[10:11]
	s_cbranch_execz .LBB154_178
; %bb.177:
	v_lshlrev_b32_e32 v12, 3, v0
	v_mov_b32_e32 v16, 0
	ds_read_b64 v[14:15], v12 offset:2608
	ds_read_b64 v[16:17], v16 offset:2088
	s_waitcnt lgkmcnt(0)
	v_mul_f32_e32 v12, v17, v15
	v_mul_f32_e32 v15, v16, v15
	v_fma_f32 v12, v16, v14, -v12
	v_fmac_f32_e32 v15, v17, v14
	v_add_f32_e32 v11, v11, v12
	v_add_f32_e32 v13, v13, v15
.LBB154_178:
	s_or_b64 exec, exec, s[14:15]
	v_xor_b32_e32 v12, 0x80000000, v11
	v_xor_b32_e32 v11, 0x80000000, v13
.LBB154_179:
	s_or_b64 exec, exec, s[12:13]
	s_and_saveexec_b64 s[10:11], s[42:43]
	s_cbranch_execz .LBB154_181
; %bb.180:
	v_mov_b32_e32 v13, 0
	ds_read_b64 v[13:14], v13 offset:3120
	s_waitcnt lgkmcnt(0)
	v_mul_f32_e32 v16, v11, v14
	v_mul_f32_e32 v15, v12, v14
	v_fma_f32 v14, v12, v13, -v16
	v_fmac_f32_e32 v15, v11, v13
	v_mov_b32_e32 v12, v14
	v_mov_b32_e32 v11, v15
	ds_write_b64 v4, v[14:15]
.LBB154_181:
	s_or_b64 exec, exec, s[10:11]
	s_waitcnt lgkmcnt(0)
	s_barrier
	s_and_saveexec_b64 s[10:11], s[40:41]
	s_cbranch_execz .LBB154_183
; %bb.182:
	v_mov_b32_e32 v13, 0
	ds_read_b64 v[13:14], v13 offset:3128
	ds_read_b64 v[15:16], v4
	s_waitcnt lgkmcnt(0)
	v_mul_f32_e32 v17, v16, v14
	v_mul_f32_e32 v14, v15, v14
	v_fma_f32 v15, v15, v13, -v17
	v_fmac_f32_e32 v14, v16, v13
	v_add_f32_e32 v12, v12, v15
	v_add_f32_e32 v11, v11, v14
.LBB154_183:
	s_or_b64 exec, exec, s[10:11]
	s_barrier
	s_and_saveexec_b64 s[10:11], s[40:41]
	s_cbranch_execz .LBB154_185
; %bb.184:
	v_mov_b32_e32 v13, 0
	ds_read_b64 v[13:14], v13 offset:3640
	s_waitcnt lgkmcnt(0)
	v_mul_f32_e32 v16, v11, v14
	v_mul_f32_e32 v15, v12, v14
	v_fma_f32 v14, v12, v13, -v16
	v_fmac_f32_e32 v15, v11, v13
	v_mov_b32_e32 v12, v14
	v_mov_b32_e32 v11, v15
	ds_write_b64 v4, v[14:15]
.LBB154_185:
	s_or_b64 exec, exec, s[10:11]
	s_waitcnt lgkmcnt(0)
	s_barrier
	s_barrier
	s_and_saveexec_b64 s[10:11], s[6:7]
; %bb.186:
	v_xor_b32_e32 v13, 0x80000000, v11
	v_xor_b32_e32 v12, 0x80000000, v12
	ds_write_b64 v3, v[12:13] offset:2096
; %bb.187:
	s_or_b64 exec, exec, s[10:11]
	s_waitcnt lgkmcnt(0)
	s_barrier
	s_barrier
	s_and_saveexec_b64 s[10:11], vcc
	s_cbranch_execz .LBB154_189
; %bb.188:
	v_mov_b32_e32 v17, 0
	ds_read_b128 v[11:14], v17 offset:3120
	ds_read_b64 v[15:16], v17 offset:3640
	s_waitcnt lgkmcnt(0)
	v_mul_f32_e32 v18, v16, v12
	v_mul_f32_e32 v19, v15, v12
	v_fma_f32 v15, v15, v11, -v18
	v_fmac_f32_e32 v19, v16, v11
	v_mul_f32_e32 v11, v19, v14
	v_mul_f32_e32 v12, v15, v14
	v_fma_f32 v11, v15, v13, -v11
	v_fmac_f32_e32 v12, v19, v13
	ds_write_b64 v17, v[11:12] offset:3128
.LBB154_189:
	s_or_b64 exec, exec, s[10:11]
	v_and_b32_e32 v14, 7, v0
	v_lshrrev_b32_e32 v15, 3, v1
	v_lshlrev_b32_e32 v12, 3, v14
	v_cmp_lt_u32_e64 s[12:13], 63, v1
	v_cmp_gt_u32_e64 s[10:11], 64, v1
	v_lshl_or_b32 v11, v15, 9, v12
	v_mov_b32_e32 v16, 0
	v_mov_b32_e32 v17, 0
	s_waitcnt lgkmcnt(0)
	s_barrier
	s_and_saveexec_b64 s[16:17], s[10:11]
	s_cbranch_execz .LBB154_199
; %bb.190:
	v_mul_u32_u24_e32 v17, 0x208, v15
	ds_read_b64 v[18:19], v11 offset:64
	ds_read_b64 v[20:21], v17
	v_cmp_gt_u32_e64 s[14:15], 56, v1
	s_waitcnt lgkmcnt(0)
	v_mul_f32_e32 v13, v21, v19
	v_mul_f32_e32 v16, v20, v19
	v_fma_f32 v13, v20, v18, -v13
	v_fmac_f32_e32 v16, v21, v18
	v_add_f32_e32 v13, 0, v13
	v_add_f32_e32 v16, 0, v16
	s_and_saveexec_b64 s[20:21], s[14:15]
	s_cbranch_execnz .LBB154_1056
; %bb.191:
	s_or_b64 exec, exec, s[20:21]
	v_cmp_gt_u32_e64 s[14:15], 48, v1
	s_and_saveexec_b64 s[20:21], s[14:15]
	s_cbranch_execnz .LBB154_1057
.LBB154_192:
	s_or_b64 exec, exec, s[20:21]
	v_cmp_gt_u32_e64 s[14:15], 40, v1
	s_and_saveexec_b64 s[20:21], s[14:15]
	s_cbranch_execnz .LBB154_1058
.LBB154_193:
	s_or_b64 exec, exec, s[20:21]
	v_cmp_gt_u32_e64 s[14:15], 32, v1
	s_and_saveexec_b64 s[20:21], s[14:15]
	s_cbranch_execnz .LBB154_1059
.LBB154_194:
	s_or_b64 exec, exec, s[20:21]
	v_cmp_gt_u32_e64 s[14:15], 24, v1
	s_and_saveexec_b64 s[20:21], s[14:15]
	s_cbranch_execnz .LBB154_1060
.LBB154_195:
	s_or_b64 exec, exec, s[20:21]
	v_cmp_gt_u32_e64 s[14:15], 16, v1
	s_and_saveexec_b64 s[20:21], s[14:15]
	s_cbranch_execnz .LBB154_1061
.LBB154_196:
	s_or_b64 exec, exec, s[20:21]
	v_cmp_gt_u32_e64 s[14:15], 8, v1
	s_and_saveexec_b64 s[20:21], s[14:15]
	s_cbranch_execz .LBB154_198
.LBB154_197:
	v_lshlrev_b32_e32 v17, 3, v0
	v_mov_b32_e32 v19, 0
	ds_read_b64 v[17:18], v17 offset:3648
	ds_read_b64 v[19:20], v19 offset:56
	s_waitcnt lgkmcnt(0)
	v_mul_f32_e32 v21, v20, v18
	v_mul_f32_e32 v18, v19, v18
	v_fma_f32 v19, v19, v17, -v21
	v_fmac_f32_e32 v18, v20, v17
	v_add_f32_e32 v13, v13, v19
	v_add_f32_e32 v16, v16, v18
.LBB154_198:
	s_or_b64 exec, exec, s[20:21]
	v_xor_b32_e32 v17, 0x80000000, v13
	v_xor_b32_e32 v16, 0x80000000, v16
.LBB154_199:
	v_writelane_b32 v34, s58, 4
	s_or_b64 exec, exec, s[16:17]
	v_mov_b32_e32 v13, 0x8000
	v_cmp_eq_u32_e64 s[14:15], 0, v14
	s_xor_b64 s[16:17], s[12:13], -1
	v_lshl_add_u32 v13, v15, 3, v13
	s_and_b64 s[58:59], s[14:15], s[16:17]
	s_and_saveexec_b64 s[12:13], s[58:59]
	s_cbranch_execz .LBB154_201
; %bb.200:
	v_mov_b32_e32 v18, 0
	ds_read_b64 v[18:19], v18 offset:4160
	s_waitcnt lgkmcnt(0)
	v_mul_f32_e32 v21, v16, v19
	v_mul_f32_e32 v20, v17, v19
	v_fma_f32 v19, v17, v18, -v21
	v_fmac_f32_e32 v20, v16, v18
	v_mov_b32_e32 v17, v19
	v_mov_b32_e32 v16, v20
	ds_write_b64 v13, v[19:20]
.LBB154_201:
	s_or_b64 exec, exec, s[12:13]
	v_cmp_ne_u32_e64 s[12:13], 0, v14
	s_and_b64 s[60:61], s[12:13], s[16:17]
	s_waitcnt lgkmcnt(0)
	s_barrier
	s_and_saveexec_b64 s[12:13], s[60:61]
	s_cbranch_execz .LBB154_203
; %bb.202:
	ds_read_b64 v[18:19], v12 offset:4160
	ds_read_b64 v[20:21], v13
	s_waitcnt lgkmcnt(0)
	v_mul_f32_e32 v22, v21, v19
	v_mul_f32_e32 v19, v20, v19
	v_fma_f32 v20, v20, v18, -v22
	v_fmac_f32_e32 v19, v21, v18
	v_add_f32_e32 v17, v17, v20
	v_add_f32_e32 v16, v16, v19
.LBB154_203:
	s_or_b64 exec, exec, s[12:13]
	v_cmp_eq_u32_e64 s[12:13], 1, v14
	s_and_b64 s[62:63], s[12:13], s[16:17]
	s_barrier
	s_and_saveexec_b64 s[12:13], s[62:63]
	s_cbranch_execz .LBB154_205
; %bb.204:
	v_mov_b32_e32 v18, 0
	ds_read_b64 v[18:19], v18 offset:4680
	s_waitcnt lgkmcnt(0)
	v_mul_f32_e32 v21, v16, v19
	v_mul_f32_e32 v20, v17, v19
	v_fma_f32 v19, v17, v18, -v21
	v_fmac_f32_e32 v20, v16, v18
	v_mov_b32_e32 v17, v19
	v_mov_b32_e32 v16, v20
	ds_write_b64 v13, v[19:20]
.LBB154_205:
	s_or_b64 exec, exec, s[12:13]
	v_cmp_lt_u32_e64 s[12:13], 1, v14
	s_and_b64 s[64:65], s[12:13], s[16:17]
	s_waitcnt lgkmcnt(0)
	s_barrier
	s_and_saveexec_b64 s[12:13], s[64:65]
	s_cbranch_execz .LBB154_207
; %bb.206:
	ds_read_b64 v[18:19], v12 offset:4672
	ds_read_b64 v[20:21], v13
	s_waitcnt lgkmcnt(0)
	v_mul_f32_e32 v22, v21, v19
	v_mul_f32_e32 v19, v20, v19
	v_fma_f32 v20, v20, v18, -v22
	v_fmac_f32_e32 v19, v21, v18
	v_add_f32_e32 v17, v17, v20
	v_add_f32_e32 v16, v16, v19
.LBB154_207:
	s_or_b64 exec, exec, s[12:13]
	v_cmp_eq_u32_e64 s[12:13], 2, v14
	s_and_b64 s[66:67], s[12:13], s[16:17]
	s_barrier
	s_and_saveexec_b64 s[12:13], s[66:67]
	s_cbranch_execz .LBB154_209
; %bb.208:
	v_mov_b32_e32 v18, 0
	ds_read_b64 v[18:19], v18 offset:5200
	s_waitcnt lgkmcnt(0)
	v_mul_f32_e32 v21, v16, v19
	v_mul_f32_e32 v20, v17, v19
	v_fma_f32 v19, v17, v18, -v21
	v_fmac_f32_e32 v20, v16, v18
	v_mov_b32_e32 v17, v19
	v_mov_b32_e32 v16, v20
	ds_write_b64 v13, v[19:20]
.LBB154_209:
	s_or_b64 exec, exec, s[12:13]
	v_cmp_lt_u32_e64 s[12:13], 2, v14
	;; [unrolled: 36-line block ×5, first 2 shown]
	s_and_b64 s[80:81], s[12:13], s[16:17]
	s_waitcnt lgkmcnt(0)
	s_barrier
	s_and_saveexec_b64 s[12:13], s[80:81]
	s_cbranch_execz .LBB154_223
; %bb.222:
	ds_read_b64 v[18:19], v12 offset:6720
	ds_read_b64 v[20:21], v13
	s_waitcnt lgkmcnt(0)
	v_mul_f32_e32 v22, v21, v19
	v_mul_f32_e32 v19, v20, v19
	v_fma_f32 v20, v20, v18, -v22
	v_fmac_f32_e32 v19, v21, v18
	v_add_f32_e32 v17, v17, v20
	v_add_f32_e32 v16, v16, v19
.LBB154_223:
	s_or_b64 exec, exec, s[12:13]
	v_cmp_eq_u32_e64 s[12:13], 6, v14
	s_and_b64 s[82:83], s[12:13], s[16:17]
	s_barrier
	s_and_saveexec_b64 s[12:13], s[82:83]
	s_cbranch_execz .LBB154_225
; %bb.224:
	v_mov_b32_e32 v18, 0
	ds_read_b64 v[18:19], v18 offset:7280
	s_waitcnt lgkmcnt(0)
	v_mul_f32_e32 v21, v16, v19
	v_mul_f32_e32 v20, v17, v19
	v_fma_f32 v19, v17, v18, -v21
	v_fmac_f32_e32 v20, v16, v18
	v_mov_b32_e32 v17, v19
	v_mov_b32_e32 v16, v20
	ds_write_b64 v13, v[19:20]
.LBB154_225:
	s_or_b64 exec, exec, s[12:13]
	v_cmp_eq_u32_e64 s[12:13], 7, v14
	s_and_b64 s[56:57], s[12:13], s[16:17]
	s_waitcnt lgkmcnt(0)
	s_barrier
	s_and_saveexec_b64 s[12:13], s[56:57]
	s_cbranch_execz .LBB154_227
; %bb.226:
	v_mov_b32_e32 v18, 0
	ds_read_b64 v[18:19], v18 offset:7288
	ds_read_b64 v[20:21], v13
	s_waitcnt lgkmcnt(0)
	v_mul_f32_e32 v22, v21, v19
	v_mul_f32_e32 v19, v20, v19
	v_fma_f32 v20, v20, v18, -v22
	v_fmac_f32_e32 v19, v21, v18
	v_add_f32_e32 v17, v17, v20
	v_add_f32_e32 v16, v16, v19
.LBB154_227:
	s_or_b64 exec, exec, s[12:13]
	s_barrier
	s_and_saveexec_b64 s[12:13], s[56:57]
	s_cbranch_execz .LBB154_229
; %bb.228:
	v_mov_b32_e32 v18, 0
	ds_read_b64 v[18:19], v18 offset:7800
	s_waitcnt lgkmcnt(0)
	v_mul_f32_e32 v21, v16, v19
	v_mul_f32_e32 v20, v17, v19
	v_fma_f32 v19, v17, v18, -v21
	v_fmac_f32_e32 v20, v16, v18
	v_mov_b32_e32 v17, v19
	v_mov_b32_e32 v16, v20
	ds_write_b64 v13, v[19:20]
.LBB154_229:
	s_or_b64 exec, exec, s[12:13]
	s_waitcnt lgkmcnt(0)
	s_barrier
	s_barrier
	s_and_saveexec_b64 s[12:13], s[10:11]
; %bb.230:
	v_xor_b32_e32 v18, 0x80000000, v16
	v_xor_b32_e32 v17, 0x80000000, v17
	ds_write_b64 v11, v[17:18] offset:64
; %bb.231:
	s_or_b64 exec, exec, s[12:13]
	s_waitcnt lgkmcnt(0)
	s_barrier
	s_barrier
	s_and_saveexec_b64 s[12:13], vcc
	s_cbranch_execz .LBB154_233
; %bb.232:
	v_mov_b32_e32 v22, 0
	ds_read_b128 v[16:19], v22 offset:4160
	ds_read_b64 v[20:21], v22 offset:4680
	s_waitcnt lgkmcnt(0)
	v_mul_f32_e32 v23, v21, v17
	v_mul_f32_e32 v24, v20, v17
	v_fma_f32 v20, v20, v16, -v23
	v_fmac_f32_e32 v24, v21, v16
	v_mul_f32_e32 v16, v24, v19
	v_mul_f32_e32 v17, v20, v19
	v_fma_f32 v16, v20, v18, -v16
	v_fmac_f32_e32 v17, v24, v18
	ds_write_b64 v22, v[16:17] offset:4168
.LBB154_233:
	s_or_b64 exec, exec, s[12:13]
	v_mov_b32_e32 v16, 0
	v_mov_b32_e32 v17, 0
	s_waitcnt lgkmcnt(0)
	s_barrier
	s_and_saveexec_b64 s[14:15], s[6:7]
	s_cbranch_execz .LBB154_237
; %bb.234:
	v_mul_u32_u24_e32 v18, 0x208, v5
	ds_read_b64 v[16:17], v3 offset:4176
	ds_read_b64 v[18:19], v18 offset:4160
	v_cmp_gt_u32_e64 s[12:13], 2, v1
	s_waitcnt lgkmcnt(0)
	v_mul_f32_e32 v20, v19, v17
	v_mul_f32_e32 v17, v18, v17
	v_fma_f32 v18, v18, v16, -v20
	v_fmac_f32_e32 v17, v19, v16
	v_add_f32_e32 v16, 0, v18
	v_add_f32_e32 v18, 0, v17
	s_and_saveexec_b64 s[16:17], s[12:13]
	s_cbranch_execz .LBB154_236
; %bb.235:
	v_lshlrev_b32_e32 v17, 3, v0
	v_mov_b32_e32 v21, 0
	ds_read_b64 v[19:20], v17 offset:4688
	ds_read_b64 v[21:22], v21 offset:4168
	s_waitcnt lgkmcnt(0)
	v_mul_f32_e32 v17, v22, v20
	v_mul_f32_e32 v20, v21, v20
	v_fma_f32 v17, v21, v19, -v17
	v_fmac_f32_e32 v20, v22, v19
	v_add_f32_e32 v16, v16, v17
	v_add_f32_e32 v18, v18, v20
.LBB154_236:
	s_or_b64 exec, exec, s[16:17]
	v_xor_b32_e32 v17, 0x80000000, v16
	v_xor_b32_e32 v16, 0x80000000, v18
.LBB154_237:
	s_or_b64 exec, exec, s[14:15]
	s_and_saveexec_b64 s[12:13], s[42:43]
	s_cbranch_execz .LBB154_239
; %bb.238:
	v_mov_b32_e32 v18, 0
	ds_read_b64 v[18:19], v18 offset:5200
	s_waitcnt lgkmcnt(0)
	v_mul_f32_e32 v21, v16, v19
	v_mul_f32_e32 v20, v17, v19
	v_fma_f32 v19, v17, v18, -v21
	v_fmac_f32_e32 v20, v16, v18
	v_mov_b32_e32 v17, v19
	v_mov_b32_e32 v16, v20
	ds_write_b64 v4, v[19:20]
.LBB154_239:
	s_or_b64 exec, exec, s[12:13]
	s_waitcnt lgkmcnt(0)
	s_barrier
	s_and_saveexec_b64 s[12:13], s[40:41]
	s_cbranch_execz .LBB154_241
; %bb.240:
	v_mov_b32_e32 v18, 0
	ds_read_b64 v[18:19], v18 offset:5208
	ds_read_b64 v[20:21], v4
	s_waitcnt lgkmcnt(0)
	v_mul_f32_e32 v22, v21, v19
	v_mul_f32_e32 v19, v20, v19
	v_fma_f32 v20, v20, v18, -v22
	v_fmac_f32_e32 v19, v21, v18
	v_add_f32_e32 v17, v17, v20
	v_add_f32_e32 v16, v16, v19
.LBB154_241:
	s_or_b64 exec, exec, s[12:13]
	s_barrier
	s_and_saveexec_b64 s[12:13], s[40:41]
	s_cbranch_execz .LBB154_243
; %bb.242:
	v_mov_b32_e32 v18, 0
	ds_read_b64 v[18:19], v18 offset:5720
	s_waitcnt lgkmcnt(0)
	v_mul_f32_e32 v21, v16, v19
	v_mul_f32_e32 v20, v17, v19
	v_fma_f32 v19, v17, v18, -v21
	v_fmac_f32_e32 v20, v16, v18
	v_mov_b32_e32 v17, v19
	v_mov_b32_e32 v16, v20
	ds_write_b64 v4, v[19:20]
.LBB154_243:
	s_or_b64 exec, exec, s[12:13]
	s_waitcnt lgkmcnt(0)
	s_barrier
	s_barrier
	s_and_saveexec_b64 s[12:13], s[6:7]
; %bb.244:
	v_xor_b32_e32 v18, 0x80000000, v16
	v_xor_b32_e32 v17, 0x80000000, v17
	ds_write_b64 v3, v[17:18] offset:4176
; %bb.245:
	s_or_b64 exec, exec, s[12:13]
	s_waitcnt lgkmcnt(0)
	s_barrier
	s_barrier
	s_and_saveexec_b64 s[12:13], vcc
	s_cbranch_execz .LBB154_247
; %bb.246:
	v_mov_b32_e32 v22, 0
	ds_read_b128 v[16:19], v22 offset:5200
	ds_read_b64 v[20:21], v22 offset:5720
	s_waitcnt lgkmcnt(0)
	v_mul_f32_e32 v23, v21, v17
	v_mul_f32_e32 v24, v20, v17
	v_fma_f32 v20, v20, v16, -v23
	v_fmac_f32_e32 v24, v21, v16
	v_mul_f32_e32 v16, v24, v19
	v_mul_f32_e32 v17, v20, v19
	v_fma_f32 v16, v20, v18, -v16
	v_fmac_f32_e32 v17, v24, v18
	ds_write_b64 v22, v[16:17] offset:5208
.LBB154_247:
	s_or_b64 exec, exec, s[12:13]
	v_mov_b32_e32 v16, 0
	v_mov_b32_e32 v17, 0
	s_waitcnt lgkmcnt(0)
	s_barrier
	s_and_saveexec_b64 s[14:15], s[18:19]
	s_cbranch_execz .LBB154_253
; %bb.248:
	v_mul_u32_u24_e32 v17, 0x208, v10
	ds_read_b64 v[18:19], v6 offset:4192
	ds_read_b64 v[20:21], v17 offset:4160
	v_cmp_gt_u32_e64 s[12:13], 12, v1
	s_waitcnt lgkmcnt(0)
	v_mul_f32_e32 v16, v21, v19
	v_mul_f32_e32 v19, v20, v19
	v_fma_f32 v16, v20, v18, -v16
	v_fmac_f32_e32 v19, v21, v18
	v_add_f32_e32 v16, 0, v16
	v_add_f32_e32 v18, 0, v19
	s_and_saveexec_b64 s[16:17], s[12:13]
	s_cbranch_execnz .LBB154_1062
; %bb.249:
	s_or_b64 exec, exec, s[16:17]
	v_cmp_gt_u32_e64 s[12:13], 8, v1
	s_and_saveexec_b64 s[16:17], s[12:13]
	s_cbranch_execnz .LBB154_1063
.LBB154_250:
	s_or_b64 exec, exec, s[16:17]
	v_cmp_gt_u32_e64 s[12:13], 4, v1
	s_and_saveexec_b64 s[16:17], s[12:13]
	s_cbranch_execz .LBB154_252
.LBB154_251:
	v_lshlrev_b32_e32 v17, 3, v0
	v_mov_b32_e32 v21, 0
	ds_read_b64 v[19:20], v17 offset:5728
	ds_read_b64 v[21:22], v21 offset:4184
	s_waitcnt lgkmcnt(0)
	v_mul_f32_e32 v17, v22, v20
	v_mul_f32_e32 v20, v21, v20
	v_fma_f32 v17, v21, v19, -v17
	v_fmac_f32_e32 v20, v22, v19
	v_add_f32_e32 v16, v16, v17
	v_add_f32_e32 v18, v18, v20
.LBB154_252:
	s_or_b64 exec, exec, s[16:17]
	v_xor_b32_e32 v17, 0x80000000, v16
	v_xor_b32_e32 v16, 0x80000000, v18
.LBB154_253:
	s_or_b64 exec, exec, s[14:15]
	s_and_saveexec_b64 s[12:13], s[46:47]
	s_cbranch_execz .LBB154_255
; %bb.254:
	v_mov_b32_e32 v18, 0
	ds_read_b64 v[18:19], v18 offset:6240
	s_waitcnt lgkmcnt(0)
	v_mul_f32_e32 v21, v16, v19
	v_mul_f32_e32 v20, v17, v19
	v_fma_f32 v19, v17, v18, -v21
	v_fmac_f32_e32 v20, v16, v18
	v_mov_b32_e32 v17, v19
	v_mov_b32_e32 v16, v20
	ds_write_b64 v8, v[19:20]
.LBB154_255:
	s_or_b64 exec, exec, s[12:13]
	s_waitcnt lgkmcnt(0)
	s_barrier
	s_and_saveexec_b64 s[12:13], s[48:49]
	s_cbranch_execz .LBB154_257
; %bb.256:
	ds_read_b64 v[18:19], v7 offset:6240
	ds_read_b64 v[20:21], v8
	s_waitcnt lgkmcnt(0)
	v_mul_f32_e32 v22, v21, v19
	v_mul_f32_e32 v19, v20, v19
	v_fma_f32 v20, v20, v18, -v22
	v_fmac_f32_e32 v19, v21, v18
	v_add_f32_e32 v17, v17, v20
	v_add_f32_e32 v16, v16, v19
.LBB154_257:
	s_or_b64 exec, exec, s[12:13]
	s_barrier
	s_and_saveexec_b64 s[12:13], s[50:51]
	s_cbranch_execz .LBB154_259
; %bb.258:
	v_mov_b32_e32 v18, 0
	ds_read_b64 v[18:19], v18 offset:6760
	s_waitcnt lgkmcnt(0)
	v_mul_f32_e32 v21, v16, v19
	v_mul_f32_e32 v20, v17, v19
	v_fma_f32 v19, v17, v18, -v21
	v_fmac_f32_e32 v20, v16, v18
	v_mov_b32_e32 v17, v19
	v_mov_b32_e32 v16, v20
	ds_write_b64 v8, v[19:20]
.LBB154_259:
	s_or_b64 exec, exec, s[12:13]
	s_waitcnt lgkmcnt(0)
	s_barrier
	s_and_saveexec_b64 s[12:13], s[52:53]
	s_cbranch_execz .LBB154_261
; %bb.260:
	ds_read_b64 v[18:19], v7 offset:6752
	ds_read_b64 v[20:21], v8
	s_waitcnt lgkmcnt(0)
	v_mul_f32_e32 v22, v21, v19
	v_mul_f32_e32 v19, v20, v19
	v_fma_f32 v20, v20, v18, -v22
	v_fmac_f32_e32 v19, v21, v18
	v_add_f32_e32 v17, v17, v20
	v_add_f32_e32 v16, v16, v19
.LBB154_261:
	s_or_b64 exec, exec, s[12:13]
	s_barrier
	s_and_saveexec_b64 s[12:13], s[54:55]
	s_cbranch_execz .LBB154_263
; %bb.262:
	v_mov_b32_e32 v18, 0
	ds_read_b64 v[18:19], v18 offset:7280
	s_waitcnt lgkmcnt(0)
	v_mul_f32_e32 v21, v16, v19
	v_mul_f32_e32 v20, v17, v19
	v_fma_f32 v19, v17, v18, -v21
	v_fmac_f32_e32 v20, v16, v18
	v_mov_b32_e32 v17, v19
	v_mov_b32_e32 v16, v20
	ds_write_b64 v8, v[19:20]
.LBB154_263:
	s_or_b64 exec, exec, s[12:13]
	s_waitcnt lgkmcnt(0)
	s_barrier
	s_and_saveexec_b64 s[12:13], s[44:45]
	s_cbranch_execz .LBB154_265
; %bb.264:
	v_mov_b32_e32 v18, 0
	ds_read_b64 v[18:19], v18 offset:7288
	ds_read_b64 v[20:21], v8
	s_waitcnt lgkmcnt(0)
	v_mul_f32_e32 v22, v21, v19
	v_mul_f32_e32 v19, v20, v19
	v_fma_f32 v20, v20, v18, -v22
	v_fmac_f32_e32 v19, v21, v18
	v_add_f32_e32 v17, v17, v20
	v_add_f32_e32 v16, v16, v19
.LBB154_265:
	s_or_b64 exec, exec, s[12:13]
	s_barrier
	s_and_saveexec_b64 s[12:13], s[44:45]
	s_cbranch_execz .LBB154_267
; %bb.266:
	v_mov_b32_e32 v18, 0
	ds_read_b64 v[18:19], v18 offset:7800
	s_waitcnt lgkmcnt(0)
	v_mul_f32_e32 v21, v16, v19
	v_mul_f32_e32 v20, v17, v19
	v_fma_f32 v19, v17, v18, -v21
	v_fmac_f32_e32 v20, v16, v18
	v_mov_b32_e32 v17, v19
	v_mov_b32_e32 v16, v20
	ds_write_b64 v8, v[19:20]
.LBB154_267:
	s_or_b64 exec, exec, s[12:13]
	s_waitcnt lgkmcnt(0)
	s_barrier
	s_barrier
	s_and_saveexec_b64 s[12:13], s[18:19]
; %bb.268:
	v_xor_b32_e32 v17, 0x80000000, v17
	v_xor_b32_e32 v18, 0x80000000, v16
	ds_write_b64 v6, v[17:18] offset:4192
; %bb.269:
	s_or_b64 exec, exec, s[12:13]
	s_waitcnt lgkmcnt(0)
	s_barrier
	s_barrier
	s_and_saveexec_b64 s[12:13], vcc
	s_cbranch_execz .LBB154_271
; %bb.270:
	v_mov_b32_e32 v22, 0
	ds_read_b128 v[16:19], v22 offset:6240
	ds_read_b64 v[20:21], v22 offset:6760
	s_waitcnt lgkmcnt(0)
	v_mul_f32_e32 v23, v21, v17
	v_mul_f32_e32 v24, v20, v17
	v_fma_f32 v20, v20, v16, -v23
	v_fmac_f32_e32 v24, v21, v16
	v_mul_f32_e32 v16, v24, v19
	v_mul_f32_e32 v17, v20, v19
	v_fma_f32 v16, v20, v18, -v16
	v_fmac_f32_e32 v17, v24, v18
	ds_write_b64 v22, v[16:17] offset:6248
.LBB154_271:
	s_or_b64 exec, exec, s[12:13]
	v_mov_b32_e32 v16, 0
	v_mov_b32_e32 v17, 0
	s_waitcnt lgkmcnt(0)
	s_barrier
	s_and_saveexec_b64 s[14:15], s[6:7]
	s_cbranch_execz .LBB154_275
; %bb.272:
	v_mul_u32_u24_e32 v18, 0x208, v5
	ds_read_b64 v[16:17], v3 offset:6256
	ds_read_b64 v[18:19], v18 offset:6240
	v_cmp_gt_u32_e64 s[12:13], 2, v1
	s_waitcnt lgkmcnt(0)
	v_mul_f32_e32 v20, v19, v17
	v_mul_f32_e32 v17, v18, v17
	v_fma_f32 v18, v18, v16, -v20
	v_fmac_f32_e32 v17, v19, v16
	v_add_f32_e32 v16, 0, v18
	v_add_f32_e32 v18, 0, v17
	s_and_saveexec_b64 s[16:17], s[12:13]
	s_cbranch_execz .LBB154_274
; %bb.273:
	v_lshlrev_b32_e32 v17, 3, v0
	v_mov_b32_e32 v21, 0
	ds_read_b64 v[19:20], v17 offset:6768
	ds_read_b64 v[21:22], v21 offset:6248
	s_waitcnt lgkmcnt(0)
	v_mul_f32_e32 v17, v22, v20
	v_mul_f32_e32 v20, v21, v20
	v_fma_f32 v17, v21, v19, -v17
	v_fmac_f32_e32 v20, v22, v19
	v_add_f32_e32 v16, v16, v17
	v_add_f32_e32 v18, v18, v20
.LBB154_274:
	s_or_b64 exec, exec, s[16:17]
	v_xor_b32_e32 v17, 0x80000000, v16
	v_xor_b32_e32 v16, 0x80000000, v18
.LBB154_275:
	s_or_b64 exec, exec, s[14:15]
	s_and_saveexec_b64 s[12:13], s[42:43]
	s_cbranch_execz .LBB154_277
; %bb.276:
	v_mov_b32_e32 v18, 0
	ds_read_b64 v[18:19], v18 offset:7280
	s_waitcnt lgkmcnt(0)
	v_mul_f32_e32 v21, v16, v19
	v_mul_f32_e32 v20, v17, v19
	v_fma_f32 v19, v17, v18, -v21
	v_fmac_f32_e32 v20, v16, v18
	v_mov_b32_e32 v17, v19
	v_mov_b32_e32 v16, v20
	ds_write_b64 v4, v[19:20]
.LBB154_277:
	s_or_b64 exec, exec, s[12:13]
	s_waitcnt lgkmcnt(0)
	s_barrier
	s_and_saveexec_b64 s[12:13], s[40:41]
	s_cbranch_execz .LBB154_279
; %bb.278:
	v_mov_b32_e32 v18, 0
	ds_read_b64 v[18:19], v18 offset:7288
	ds_read_b64 v[20:21], v4
	s_waitcnt lgkmcnt(0)
	v_mul_f32_e32 v22, v21, v19
	v_mul_f32_e32 v19, v20, v19
	v_fma_f32 v20, v20, v18, -v22
	v_fmac_f32_e32 v19, v21, v18
	v_add_f32_e32 v17, v17, v20
	v_add_f32_e32 v16, v16, v19
.LBB154_279:
	s_or_b64 exec, exec, s[12:13]
	s_barrier
	s_and_saveexec_b64 s[12:13], s[40:41]
	s_cbranch_execz .LBB154_281
; %bb.280:
	v_mov_b32_e32 v18, 0
	ds_read_b64 v[18:19], v18 offset:7800
	s_waitcnt lgkmcnt(0)
	v_mul_f32_e32 v21, v16, v19
	v_mul_f32_e32 v20, v17, v19
	v_fma_f32 v19, v17, v18, -v21
	v_fmac_f32_e32 v20, v16, v18
	v_mov_b32_e32 v17, v19
	v_mov_b32_e32 v16, v20
	ds_write_b64 v4, v[19:20]
.LBB154_281:
	s_or_b64 exec, exec, s[12:13]
	s_waitcnt lgkmcnt(0)
	s_barrier
	s_barrier
	s_and_saveexec_b64 s[12:13], s[6:7]
; %bb.282:
	v_xor_b32_e32 v18, 0x80000000, v16
	v_xor_b32_e32 v17, 0x80000000, v17
	ds_write_b64 v3, v[17:18] offset:6256
; %bb.283:
	s_or_b64 exec, exec, s[12:13]
	s_waitcnt lgkmcnt(0)
	s_barrier
	s_barrier
	s_and_saveexec_b64 s[12:13], vcc
	s_cbranch_execz .LBB154_285
; %bb.284:
	v_mov_b32_e32 v22, 0
	ds_read_b128 v[16:19], v22 offset:7280
	ds_read_b64 v[20:21], v22 offset:7800
	s_waitcnt lgkmcnt(0)
	v_mul_f32_e32 v23, v21, v17
	v_mul_f32_e32 v24, v20, v17
	v_fma_f32 v20, v20, v16, -v23
	v_fmac_f32_e32 v24, v21, v16
	v_mul_f32_e32 v16, v24, v19
	v_mul_f32_e32 v17, v20, v19
	v_fma_f32 v16, v20, v18, -v16
	v_fmac_f32_e32 v17, v24, v18
	ds_write_b64 v22, v[16:17] offset:7288
.LBB154_285:
	s_or_b64 exec, exec, s[12:13]
	v_lshrrev_b32_e32 v20, 4, v1
	v_and_b32_e32 v17, 15, v0
	s_movk_i32 s12, 0xff
	v_lshlrev_b32_e32 v19, 6, v20
	v_cmp_lt_u32_e64 s[14:15], s12, v1
	s_movk_i32 s12, 0x100
	v_or_b32_e32 v16, v19, v17
	v_cmp_gt_u32_e64 s[12:13], s12, v1
	v_lshlrev_b32_e32 v16, 3, v16
	v_mov_b32_e32 v21, 0
	v_mov_b32_e32 v22, 0
	s_waitcnt lgkmcnt(0)
	s_barrier
	s_and_saveexec_b64 s[20:21], s[12:13]
	s_cbranch_execz .LBB154_313
; %bb.286:
	v_mul_u32_u24_e32 v22, 0x208, v20
	ds_read_b64 v[23:24], v16 offset:128
	ds_read_b64 v[25:26], v22
	s_movk_i32 s16, 0xf0
	v_cmp_gt_u32_e64 s[16:17], s16, v1
	s_waitcnt lgkmcnt(0)
	v_mul_f32_e32 v18, v26, v24
	v_mul_f32_e32 v21, v25, v24
	v_fma_f32 v18, v25, v23, -v18
	v_fmac_f32_e32 v21, v26, v23
	v_add_f32_e32 v18, 0, v18
	v_add_f32_e32 v21, 0, v21
	s_and_saveexec_b64 s[34:35], s[16:17]
	s_cbranch_execz .LBB154_288
; %bb.287:
	v_lshlrev_b32_e32 v23, 3, v20
	v_sub_u32_e32 v23, v22, v23
	v_lshl_add_u32 v23, v17, 3, v23
	ds_read_b64 v[23:24], v23 offset:640
	ds_read_b64 v[25:26], v22 offset:8
	s_waitcnt lgkmcnt(0)
	v_mul_f32_e32 v27, v26, v24
	v_mul_f32_e32 v24, v25, v24
	v_fma_f32 v25, v25, v23, -v27
	v_fmac_f32_e32 v24, v26, v23
	v_add_f32_e32 v18, v18, v25
	v_add_f32_e32 v21, v21, v24
.LBB154_288:
	s_or_b64 exec, exec, s[34:35]
	s_movk_i32 s16, 0xe0
	v_cmp_gt_u32_e64 s[16:17], s16, v1
	s_and_saveexec_b64 s[34:35], s[16:17]
	s_cbranch_execz .LBB154_290
; %bb.289:
	v_lshlrev_b32_e32 v23, 3, v20
	v_sub_u32_e32 v23, v22, v23
	v_lshl_add_u32 v23, v17, 3, v23
	ds_read_b64 v[23:24], v23 offset:1152
	ds_read_b64 v[25:26], v22 offset:16
	s_waitcnt lgkmcnt(0)
	v_mul_f32_e32 v27, v26, v24
	v_mul_f32_e32 v24, v25, v24
	v_fma_f32 v25, v25, v23, -v27
	v_fmac_f32_e32 v24, v26, v23
	v_add_f32_e32 v18, v18, v25
	v_add_f32_e32 v21, v21, v24
.LBB154_290:
	s_or_b64 exec, exec, s[34:35]
	s_movk_i32 s16, 0xd0
	v_cmp_gt_u32_e64 s[16:17], s16, v1
	;; [unrolled: 19-line block ×7, first 2 shown]
	s_and_saveexec_b64 s[34:35], s[16:17]
	s_cbranch_execz .LBB154_302
; %bb.301:
	ds_read_b64 v[23:24], v16 offset:4224
	ds_read_b64 v[25:26], v22 offset:64
	s_waitcnt lgkmcnt(0)
	v_mul_f32_e32 v27, v26, v24
	v_mul_f32_e32 v24, v25, v24
	v_fma_f32 v25, v25, v23, -v27
	v_fmac_f32_e32 v24, v26, v23
	v_add_f32_e32 v18, v18, v25
	v_add_f32_e32 v21, v21, v24
.LBB154_302:
	s_or_b64 exec, exec, s[34:35]
	s_movk_i32 s16, 0x70
	v_cmp_gt_u32_e64 s[16:17], s16, v1
	s_and_saveexec_b64 s[34:35], s[16:17]
	s_cbranch_execz .LBB154_304
; %bb.303:
	v_lshlrev_b32_e32 v23, 3, v17
	v_lshl_add_u32 v23, v19, 3, v23
	ds_read_b64 v[23:24], v23 offset:4736
	ds_read_b64 v[25:26], v22 offset:72
	s_waitcnt lgkmcnt(0)
	v_mul_f32_e32 v27, v26, v24
	v_mul_f32_e32 v24, v25, v24
	v_fma_f32 v25, v25, v23, -v27
	v_fmac_f32_e32 v24, v26, v23
	v_add_f32_e32 v18, v18, v25
	v_add_f32_e32 v21, v21, v24
.LBB154_304:
	s_or_b64 exec, exec, s[34:35]
	s_movk_i32 s16, 0x60
	v_cmp_gt_u32_e64 s[16:17], s16, v1
	s_and_saveexec_b64 s[34:35], s[16:17]
	s_cbranch_execz .LBB154_306
; %bb.305:
	v_lshlrev_b32_e32 v23, 3, v17
	v_lshl_add_u32 v23, v19, 3, v23
	ds_read_b64 v[23:24], v23 offset:5248
	ds_read_b64 v[25:26], v22 offset:80
	s_waitcnt lgkmcnt(0)
	v_mul_f32_e32 v27, v26, v24
	v_mul_f32_e32 v24, v25, v24
	v_fma_f32 v25, v25, v23, -v27
	v_fmac_f32_e32 v24, v26, v23
	v_add_f32_e32 v18, v18, v25
	v_add_f32_e32 v21, v21, v24
.LBB154_306:
	s_or_b64 exec, exec, s[34:35]
	s_movk_i32 s16, 0x50
	v_cmp_gt_u32_e64 s[16:17], s16, v1
	s_and_saveexec_b64 s[34:35], s[16:17]
	s_cbranch_execnz .LBB154_1064
; %bb.307:
	s_or_b64 exec, exec, s[34:35]
	v_cmp_gt_u32_e64 s[16:17], 64, v1
	s_and_saveexec_b64 s[34:35], s[16:17]
	s_cbranch_execnz .LBB154_1065
.LBB154_308:
	s_or_b64 exec, exec, s[34:35]
	v_cmp_gt_u32_e64 s[16:17], 48, v1
	s_and_saveexec_b64 s[34:35], s[16:17]
	s_cbranch_execnz .LBB154_1066
.LBB154_309:
	s_or_b64 exec, exec, s[34:35]
	v_cmp_gt_u32_e64 s[16:17], 32, v1
	s_and_saveexec_b64 s[34:35], s[16:17]
	s_cbranch_execnz .LBB154_1067
.LBB154_310:
	s_or_b64 exec, exec, s[34:35]
	v_cmp_gt_u32_e64 s[16:17], 16, v1
	s_and_saveexec_b64 s[34:35], s[16:17]
	s_cbranch_execz .LBB154_312
.LBB154_311:
	v_lshlrev_b32_e32 v22, 3, v0
	v_mov_b32_e32 v24, 0
	ds_read_b64 v[22:23], v22 offset:7808
	ds_read_b64 v[24:25], v24 offset:120
	s_waitcnt lgkmcnt(0)
	v_mul_f32_e32 v26, v25, v23
	v_mul_f32_e32 v23, v24, v23
	v_fma_f32 v24, v24, v22, -v26
	v_fmac_f32_e32 v23, v25, v22
	v_add_f32_e32 v18, v18, v24
	v_add_f32_e32 v21, v21, v23
.LBB154_312:
	s_or_b64 exec, exec, s[34:35]
	v_xor_b32_e32 v22, 0x80000000, v18
	v_xor_b32_e32 v21, 0x80000000, v21
.LBB154_313:
	s_or_b64 exec, exec, s[20:21]
	v_mov_b32_e32 v18, 0x8000
	v_lshl_add_u32 v18, v20, 3, v18
	v_cmp_eq_u32_e64 s[16:17], 0, v17
	s_xor_b64 s[20:21], s[14:15], -1
	s_and_b64 s[16:17], s[16:17], s[20:21]
	s_mov_b64 s[14:15], exec
	v_writelane_b32 v34, s16, 5
	v_writelane_b32 v34, s17, 6
	s_and_b64 s[16:17], s[14:15], s[16:17]
	s_mov_b64 exec, s[16:17]
	s_cbranch_execz .LBB154_315
; %bb.314:
	v_mov_b32_e32 v23, 0
	ds_read_b64 v[23:24], v23 offset:8320
	s_waitcnt lgkmcnt(0)
	v_mul_f32_e32 v26, v21, v24
	v_mul_f32_e32 v25, v22, v24
	v_fma_f32 v24, v22, v23, -v26
	v_fmac_f32_e32 v25, v21, v23
	v_mov_b32_e32 v22, v24
	v_mov_b32_e32 v21, v25
	ds_write_b64 v18, v[24:25]
.LBB154_315:
	s_or_b64 exec, exec, s[14:15]
	v_cmp_ne_u32_e64 s[14:15], 0, v17
	s_waitcnt lgkmcnt(0)
	s_barrier
	s_and_b64 s[16:17], s[14:15], s[20:21]
	s_mov_b64 s[14:15], exec
	v_writelane_b32 v34, s16, 7
	v_writelane_b32 v34, s17, 8
	s_and_b64 s[16:17], s[14:15], s[16:17]
	s_mov_b64 exec, s[16:17]
	s_cbranch_execz .LBB154_317
; %bb.316:
	v_lshlrev_b32_e32 v23, 3, v17
	ds_read_b64 v[23:24], v23 offset:8320
	ds_read_b64 v[25:26], v18
	s_waitcnt lgkmcnt(0)
	v_mul_f32_e32 v27, v26, v24
	v_mul_f32_e32 v24, v25, v24
	v_fma_f32 v25, v25, v23, -v27
	v_fmac_f32_e32 v24, v26, v23
	v_add_f32_e32 v22, v22, v25
	v_add_f32_e32 v21, v21, v24
.LBB154_317:
	s_or_b64 exec, exec, s[14:15]
	v_cmp_eq_u32_e64 s[14:15], 1, v17
	s_barrier
	s_and_b64 s[16:17], s[14:15], s[20:21]
	s_mov_b64 s[14:15], exec
	v_writelane_b32 v34, s16, 9
	v_writelane_b32 v34, s17, 10
	s_and_b64 s[16:17], s[14:15], s[16:17]
	s_mov_b64 exec, s[16:17]
	s_cbranch_execz .LBB154_319
; %bb.318:
	v_mov_b32_e32 v23, 0
	ds_read_b64 v[23:24], v23 offset:8840
	s_waitcnt lgkmcnt(0)
	v_mul_f32_e32 v26, v21, v24
	v_mul_f32_e32 v25, v22, v24
	v_fma_f32 v24, v22, v23, -v26
	v_fmac_f32_e32 v25, v21, v23
	v_mov_b32_e32 v22, v24
	v_mov_b32_e32 v21, v25
	ds_write_b64 v18, v[24:25]
.LBB154_319:
	s_or_b64 exec, exec, s[14:15]
	v_cmp_lt_u32_e64 s[14:15], 1, v17
	s_waitcnt lgkmcnt(0)
	s_barrier
	s_and_b64 s[16:17], s[14:15], s[20:21]
	s_mov_b64 s[14:15], exec
	v_writelane_b32 v34, s16, 11
	v_writelane_b32 v34, s17, 12
	s_and_b64 s[16:17], s[14:15], s[16:17]
	s_mov_b64 exec, s[16:17]
	s_cbranch_execz .LBB154_321
; %bb.320:
	v_lshlrev_b32_e32 v23, 3, v17
	ds_read_b64 v[23:24], v23 offset:8832
	ds_read_b64 v[25:26], v18
	s_waitcnt lgkmcnt(0)
	v_mul_f32_e32 v27, v26, v24
	v_mul_f32_e32 v24, v25, v24
	v_fma_f32 v25, v25, v23, -v27
	v_fmac_f32_e32 v24, v26, v23
	v_add_f32_e32 v22, v22, v25
	v_add_f32_e32 v21, v21, v24
.LBB154_321:
	s_or_b64 exec, exec, s[14:15]
	v_cmp_eq_u32_e64 s[14:15], 2, v17
	s_barrier
	s_and_b64 s[16:17], s[14:15], s[20:21]
	s_mov_b64 s[14:15], exec
	v_writelane_b32 v34, s16, 13
	v_writelane_b32 v34, s17, 14
	s_and_b64 s[16:17], s[14:15], s[16:17]
	s_mov_b64 exec, s[16:17]
	s_cbranch_execz .LBB154_323
; %bb.322:
	v_mov_b32_e32 v23, 0
	ds_read_b64 v[23:24], v23 offset:9360
	s_waitcnt lgkmcnt(0)
	v_mul_f32_e32 v26, v21, v24
	v_mul_f32_e32 v25, v22, v24
	v_fma_f32 v24, v22, v23, -v26
	v_fmac_f32_e32 v25, v21, v23
	v_mov_b32_e32 v22, v24
	v_mov_b32_e32 v21, v25
	ds_write_b64 v18, v[24:25]
.LBB154_323:
	s_or_b64 exec, exec, s[14:15]
	v_cmp_lt_u32_e64 s[14:15], 2, v17
	;; [unrolled: 45-line block ×11, first 2 shown]
	s_waitcnt lgkmcnt(0)
	s_barrier
	s_and_b64 s[16:17], s[14:15], s[20:21]
	s_mov_b64 s[14:15], exec
	v_writelane_b32 v34, s16, 51
	v_writelane_b32 v34, s17, 52
	s_and_b64 s[16:17], s[14:15], s[16:17]
	s_mov_b64 exec, s[16:17]
	s_cbranch_execz .LBB154_361
; %bb.360:
	v_lshlrev_b32_e32 v23, 3, v17
	ds_read_b64 v[23:24], v23 offset:13952
	ds_read_b64 v[25:26], v18
	s_waitcnt lgkmcnt(0)
	v_mul_f32_e32 v27, v26, v24
	v_mul_f32_e32 v24, v25, v24
	v_fma_f32 v25, v25, v23, -v27
	v_fmac_f32_e32 v24, v26, v23
	v_add_f32_e32 v22, v22, v25
	v_add_f32_e32 v21, v21, v24
.LBB154_361:
	s_or_b64 exec, exec, s[14:15]
	v_cmp_eq_u32_e64 s[14:15], 12, v17
	s_and_b64 s[94:95], s[14:15], s[20:21]
	s_barrier
	s_and_saveexec_b64 s[14:15], s[94:95]
	s_cbranch_execz .LBB154_363
; %bb.362:
	v_mov_b32_e32 v23, 0
	ds_read_b64 v[23:24], v23 offset:14560
	s_waitcnt lgkmcnt(0)
	v_mul_f32_e32 v26, v21, v24
	v_mul_f32_e32 v25, v22, v24
	v_fma_f32 v24, v22, v23, -v26
	v_fmac_f32_e32 v25, v21, v23
	v_mov_b32_e32 v22, v24
	v_mov_b32_e32 v21, v25
	ds_write_b64 v18, v[24:25]
.LBB154_363:
	s_or_b64 exec, exec, s[14:15]
	v_cmp_lt_u32_e64 s[14:15], 12, v17
	s_and_b64 s[96:97], s[14:15], s[20:21]
	s_waitcnt lgkmcnt(0)
	s_barrier
	s_and_saveexec_b64 s[14:15], s[96:97]
	s_cbranch_execz .LBB154_365
; %bb.364:
	v_lshlrev_b32_e32 v23, 3, v17
	ds_read_b64 v[23:24], v23 offset:14464
	ds_read_b64 v[25:26], v18
	s_waitcnt lgkmcnt(0)
	v_mul_f32_e32 v27, v26, v24
	v_mul_f32_e32 v24, v25, v24
	v_fma_f32 v25, v25, v23, -v27
	v_fmac_f32_e32 v24, v26, v23
	v_add_f32_e32 v22, v22, v25
	v_add_f32_e32 v21, v21, v24
.LBB154_365:
	s_or_b64 exec, exec, s[14:15]
	v_cmp_eq_u32_e64 s[14:15], 13, v17
	s_and_b64 s[34:35], s[14:15], s[20:21]
	s_barrier
	s_and_saveexec_b64 s[14:15], s[34:35]
	s_cbranch_execz .LBB154_367
; %bb.366:
	v_mov_b32_e32 v23, 0
	ds_read_b64 v[23:24], v23 offset:15080
	s_waitcnt lgkmcnt(0)
	v_mul_f32_e32 v26, v21, v24
	v_mul_f32_e32 v25, v22, v24
	v_fma_f32 v24, v22, v23, -v26
	v_fmac_f32_e32 v25, v21, v23
	v_mov_b32_e32 v22, v24
	v_mov_b32_e32 v21, v25
	ds_write_b64 v18, v[24:25]
.LBB154_367:
	s_or_b64 exec, exec, s[14:15]
	v_cmp_lt_u32_e64 s[14:15], 13, v17
	s_and_b64 s[98:99], s[14:15], s[20:21]
	s_waitcnt lgkmcnt(0)
	s_barrier
	s_and_saveexec_b64 s[14:15], s[98:99]
	s_cbranch_execz .LBB154_369
; %bb.368:
	v_lshlrev_b32_e32 v23, 3, v17
	ds_read_b64 v[23:24], v23 offset:14976
	ds_read_b64 v[25:26], v18
	s_waitcnt lgkmcnt(0)
	v_mul_f32_e32 v27, v26, v24
	v_mul_f32_e32 v24, v25, v24
	v_fma_f32 v25, v25, v23, -v27
	v_fmac_f32_e32 v24, v26, v23
	v_add_f32_e32 v22, v22, v25
	v_add_f32_e32 v21, v21, v24
.LBB154_369:
	s_or_b64 exec, exec, s[14:15]
	v_cmp_eq_u32_e64 s[14:15], 14, v17
	s_and_b64 s[36:37], s[14:15], s[20:21]
	s_barrier
	s_and_saveexec_b64 s[14:15], s[36:37]
	s_cbranch_execz .LBB154_371
; %bb.370:
	v_mov_b32_e32 v23, 0
	ds_read_b64 v[23:24], v23 offset:15600
	s_waitcnt lgkmcnt(0)
	v_mul_f32_e32 v26, v21, v24
	v_mul_f32_e32 v25, v22, v24
	v_fma_f32 v24, v22, v23, -v26
	v_fmac_f32_e32 v25, v21, v23
	v_mov_b32_e32 v22, v24
	v_mov_b32_e32 v21, v25
	ds_write_b64 v18, v[24:25]
.LBB154_371:
	s_or_b64 exec, exec, s[14:15]
	v_cmp_eq_u32_e64 s[14:15], 15, v17
	s_and_b64 s[84:85], s[14:15], s[20:21]
	s_waitcnt lgkmcnt(0)
	s_barrier
	s_and_saveexec_b64 s[14:15], s[84:85]
	s_cbranch_execz .LBB154_373
; %bb.372:
	v_mov_b32_e32 v23, 0
	ds_read_b64 v[23:24], v23 offset:15608
	ds_read_b64 v[25:26], v18
	s_waitcnt lgkmcnt(0)
	v_mul_f32_e32 v27, v26, v24
	v_mul_f32_e32 v24, v25, v24
	v_fma_f32 v25, v25, v23, -v27
	v_fmac_f32_e32 v24, v26, v23
	v_add_f32_e32 v22, v22, v25
	v_add_f32_e32 v21, v21, v24
.LBB154_373:
	s_or_b64 exec, exec, s[14:15]
	s_barrier
	s_and_saveexec_b64 s[14:15], s[84:85]
	s_cbranch_execz .LBB154_375
; %bb.374:
	v_mov_b32_e32 v23, 0
	ds_read_b64 v[23:24], v23 offset:16120
	s_waitcnt lgkmcnt(0)
	v_mul_f32_e32 v26, v21, v24
	v_mul_f32_e32 v25, v22, v24
	v_fma_f32 v24, v22, v23, -v26
	v_fmac_f32_e32 v25, v21, v23
	v_mov_b32_e32 v22, v24
	v_mov_b32_e32 v21, v25
	ds_write_b64 v18, v[24:25]
.LBB154_375:
	s_or_b64 exec, exec, s[14:15]
	s_waitcnt lgkmcnt(0)
	s_barrier
	s_barrier
	s_and_saveexec_b64 s[14:15], s[12:13]
; %bb.376:
	v_xor_b32_e32 v22, 0x80000000, v22
	v_xor_b32_e32 v23, 0x80000000, v21
	ds_write_b64 v16, v[22:23] offset:128
; %bb.377:
	s_or_b64 exec, exec, s[14:15]
	s_waitcnt lgkmcnt(0)
	s_barrier
	s_barrier
	s_and_saveexec_b64 s[14:15], vcc
	s_cbranch_execz .LBB154_379
; %bb.378:
	v_mov_b32_e32 v27, 0
	ds_read_b128 v[21:24], v27 offset:8320
	ds_read_b64 v[25:26], v27 offset:8840
	s_waitcnt lgkmcnt(0)
	v_mul_f32_e32 v28, v26, v22
	v_mul_f32_e32 v29, v25, v22
	v_fma_f32 v25, v25, v21, -v28
	v_fmac_f32_e32 v29, v26, v21
	v_mul_f32_e32 v21, v29, v24
	v_mul_f32_e32 v22, v25, v24
	v_fma_f32 v21, v25, v23, -v21
	v_fmac_f32_e32 v22, v29, v23
	ds_write_b64 v27, v[21:22] offset:8328
.LBB154_379:
	s_or_b64 exec, exec, s[14:15]
	v_mov_b32_e32 v21, 0
	v_mov_b32_e32 v22, 0
	s_waitcnt lgkmcnt(0)
	s_barrier
	s_and_saveexec_b64 s[16:17], s[6:7]
	s_cbranch_execz .LBB154_383
; %bb.380:
	v_mul_u32_u24_e32 v23, 0x208, v5
	ds_read_b64 v[21:22], v3 offset:8336
	ds_read_b64 v[23:24], v23 offset:8320
	v_cmp_gt_u32_e64 s[14:15], 2, v1
	s_waitcnt lgkmcnt(0)
	v_mul_f32_e32 v25, v24, v22
	v_mul_f32_e32 v22, v23, v22
	v_fma_f32 v23, v23, v21, -v25
	v_fmac_f32_e32 v22, v24, v21
	v_add_f32_e32 v21, 0, v23
	v_add_f32_e32 v23, 0, v22
	s_and_saveexec_b64 s[20:21], s[14:15]
	s_cbranch_execz .LBB154_382
; %bb.381:
	v_lshlrev_b32_e32 v22, 3, v0
	v_mov_b32_e32 v26, 0
	ds_read_b64 v[24:25], v22 offset:8848
	ds_read_b64 v[26:27], v26 offset:8328
	s_waitcnt lgkmcnt(0)
	v_mul_f32_e32 v22, v27, v25
	v_mul_f32_e32 v25, v26, v25
	v_fma_f32 v22, v26, v24, -v22
	v_fmac_f32_e32 v25, v27, v24
	v_add_f32_e32 v21, v21, v22
	v_add_f32_e32 v23, v23, v25
.LBB154_382:
	s_or_b64 exec, exec, s[20:21]
	v_xor_b32_e32 v22, 0x80000000, v21
	v_xor_b32_e32 v21, 0x80000000, v23
.LBB154_383:
	s_or_b64 exec, exec, s[16:17]
	s_and_saveexec_b64 s[14:15], s[42:43]
	s_cbranch_execz .LBB154_385
; %bb.384:
	v_mov_b32_e32 v23, 0
	ds_read_b64 v[23:24], v23 offset:9360
	s_waitcnt lgkmcnt(0)
	v_mul_f32_e32 v26, v21, v24
	v_mul_f32_e32 v25, v22, v24
	v_fma_f32 v24, v22, v23, -v26
	v_fmac_f32_e32 v25, v21, v23
	v_mov_b32_e32 v22, v24
	v_mov_b32_e32 v21, v25
	ds_write_b64 v4, v[24:25]
.LBB154_385:
	s_or_b64 exec, exec, s[14:15]
	s_waitcnt lgkmcnt(0)
	s_barrier
	s_and_saveexec_b64 s[14:15], s[40:41]
	s_cbranch_execz .LBB154_387
; %bb.386:
	v_mov_b32_e32 v23, 0
	ds_read_b64 v[23:24], v23 offset:9368
	ds_read_b64 v[25:26], v4
	s_waitcnt lgkmcnt(0)
	v_mul_f32_e32 v27, v26, v24
	v_mul_f32_e32 v24, v25, v24
	v_fma_f32 v25, v25, v23, -v27
	v_fmac_f32_e32 v24, v26, v23
	v_add_f32_e32 v22, v22, v25
	v_add_f32_e32 v21, v21, v24
.LBB154_387:
	s_or_b64 exec, exec, s[14:15]
	s_barrier
	s_and_saveexec_b64 s[14:15], s[40:41]
	s_cbranch_execz .LBB154_389
; %bb.388:
	v_mov_b32_e32 v23, 0
	ds_read_b64 v[23:24], v23 offset:9880
	s_waitcnt lgkmcnt(0)
	v_mul_f32_e32 v26, v21, v24
	v_mul_f32_e32 v25, v22, v24
	v_fma_f32 v24, v22, v23, -v26
	v_fmac_f32_e32 v25, v21, v23
	v_mov_b32_e32 v22, v24
	v_mov_b32_e32 v21, v25
	ds_write_b64 v4, v[24:25]
.LBB154_389:
	s_or_b64 exec, exec, s[14:15]
	s_waitcnt lgkmcnt(0)
	s_barrier
	s_barrier
	s_and_saveexec_b64 s[14:15], s[6:7]
; %bb.390:
	v_xor_b32_e32 v23, 0x80000000, v21
	v_xor_b32_e32 v22, 0x80000000, v22
	ds_write_b64 v3, v[22:23] offset:8336
; %bb.391:
	s_or_b64 exec, exec, s[14:15]
	s_waitcnt lgkmcnt(0)
	s_barrier
	s_barrier
	s_and_saveexec_b64 s[14:15], vcc
	s_cbranch_execz .LBB154_393
; %bb.392:
	v_mov_b32_e32 v27, 0
	ds_read_b128 v[21:24], v27 offset:9360
	ds_read_b64 v[25:26], v27 offset:9880
	s_waitcnt lgkmcnt(0)
	v_mul_f32_e32 v28, v26, v22
	v_mul_f32_e32 v29, v25, v22
	v_fma_f32 v25, v25, v21, -v28
	v_fmac_f32_e32 v29, v26, v21
	v_mul_f32_e32 v21, v29, v24
	v_mul_f32_e32 v22, v25, v24
	v_fma_f32 v21, v25, v23, -v21
	v_fmac_f32_e32 v22, v29, v23
	ds_write_b64 v27, v[21:22] offset:9368
.LBB154_393:
	s_or_b64 exec, exec, s[14:15]
	v_mov_b32_e32 v21, 0
	v_mov_b32_e32 v22, 0
	s_waitcnt lgkmcnt(0)
	s_barrier
	s_and_saveexec_b64 s[16:17], s[18:19]
	s_cbranch_execz .LBB154_399
; %bb.394:
	v_mul_u32_u24_e32 v22, 0x208, v10
	ds_read_b64 v[23:24], v6 offset:8352
	ds_read_b64 v[25:26], v22 offset:8320
	v_cmp_gt_u32_e64 s[14:15], 12, v1
	s_waitcnt lgkmcnt(0)
	v_mul_f32_e32 v21, v26, v24
	v_mul_f32_e32 v24, v25, v24
	v_fma_f32 v21, v25, v23, -v21
	v_fmac_f32_e32 v24, v26, v23
	v_add_f32_e32 v21, 0, v21
	v_add_f32_e32 v23, 0, v24
	s_and_saveexec_b64 s[20:21], s[14:15]
	s_cbranch_execnz .LBB154_1068
; %bb.395:
	s_or_b64 exec, exec, s[20:21]
	v_cmp_gt_u32_e64 s[14:15], 8, v1
	s_and_saveexec_b64 s[20:21], s[14:15]
	s_cbranch_execnz .LBB154_1069
.LBB154_396:
	s_or_b64 exec, exec, s[20:21]
	v_cmp_gt_u32_e64 s[14:15], 4, v1
	s_and_saveexec_b64 s[20:21], s[14:15]
	s_cbranch_execz .LBB154_398
.LBB154_397:
	v_lshlrev_b32_e32 v22, 3, v0
	v_mov_b32_e32 v26, 0
	ds_read_b64 v[24:25], v22 offset:9888
	ds_read_b64 v[26:27], v26 offset:8344
	s_waitcnt lgkmcnt(0)
	v_mul_f32_e32 v22, v27, v25
	v_mul_f32_e32 v25, v26, v25
	v_fma_f32 v22, v26, v24, -v22
	v_fmac_f32_e32 v25, v27, v24
	v_add_f32_e32 v21, v21, v22
	v_add_f32_e32 v23, v23, v25
.LBB154_398:
	s_or_b64 exec, exec, s[20:21]
	v_xor_b32_e32 v22, 0x80000000, v21
	v_xor_b32_e32 v21, 0x80000000, v23
.LBB154_399:
	s_or_b64 exec, exec, s[16:17]
	s_and_saveexec_b64 s[14:15], s[46:47]
	s_cbranch_execz .LBB154_401
; %bb.400:
	v_mov_b32_e32 v23, 0
	ds_read_b64 v[23:24], v23 offset:10400
	s_waitcnt lgkmcnt(0)
	v_mul_f32_e32 v26, v21, v24
	v_mul_f32_e32 v25, v22, v24
	v_fma_f32 v24, v22, v23, -v26
	v_fmac_f32_e32 v25, v21, v23
	v_mov_b32_e32 v22, v24
	v_mov_b32_e32 v21, v25
	ds_write_b64 v8, v[24:25]
.LBB154_401:
	s_or_b64 exec, exec, s[14:15]
	s_waitcnt lgkmcnt(0)
	s_barrier
	s_and_saveexec_b64 s[14:15], s[48:49]
	s_cbranch_execz .LBB154_403
; %bb.402:
	ds_read_b64 v[23:24], v7 offset:10400
	ds_read_b64 v[25:26], v8
	s_waitcnt lgkmcnt(0)
	v_mul_f32_e32 v27, v26, v24
	v_mul_f32_e32 v24, v25, v24
	v_fma_f32 v25, v25, v23, -v27
	v_fmac_f32_e32 v24, v26, v23
	v_add_f32_e32 v22, v22, v25
	v_add_f32_e32 v21, v21, v24
.LBB154_403:
	s_or_b64 exec, exec, s[14:15]
	s_barrier
	s_and_saveexec_b64 s[14:15], s[50:51]
	s_cbranch_execz .LBB154_405
; %bb.404:
	v_mov_b32_e32 v23, 0
	ds_read_b64 v[23:24], v23 offset:10920
	s_waitcnt lgkmcnt(0)
	v_mul_f32_e32 v26, v21, v24
	v_mul_f32_e32 v25, v22, v24
	v_fma_f32 v24, v22, v23, -v26
	v_fmac_f32_e32 v25, v21, v23
	v_mov_b32_e32 v22, v24
	v_mov_b32_e32 v21, v25
	ds_write_b64 v8, v[24:25]
.LBB154_405:
	s_or_b64 exec, exec, s[14:15]
	s_waitcnt lgkmcnt(0)
	s_barrier
	s_and_saveexec_b64 s[14:15], s[52:53]
	s_cbranch_execz .LBB154_407
; %bb.406:
	ds_read_b64 v[23:24], v7 offset:10912
	ds_read_b64 v[25:26], v8
	s_waitcnt lgkmcnt(0)
	v_mul_f32_e32 v27, v26, v24
	v_mul_f32_e32 v24, v25, v24
	v_fma_f32 v25, v25, v23, -v27
	v_fmac_f32_e32 v24, v26, v23
	v_add_f32_e32 v22, v22, v25
	v_add_f32_e32 v21, v21, v24
.LBB154_407:
	s_or_b64 exec, exec, s[14:15]
	s_barrier
	s_and_saveexec_b64 s[14:15], s[54:55]
	s_cbranch_execz .LBB154_409
; %bb.408:
	v_mov_b32_e32 v23, 0
	ds_read_b64 v[23:24], v23 offset:11440
	s_waitcnt lgkmcnt(0)
	v_mul_f32_e32 v26, v21, v24
	v_mul_f32_e32 v25, v22, v24
	v_fma_f32 v24, v22, v23, -v26
	v_fmac_f32_e32 v25, v21, v23
	v_mov_b32_e32 v22, v24
	v_mov_b32_e32 v21, v25
	ds_write_b64 v8, v[24:25]
.LBB154_409:
	s_or_b64 exec, exec, s[14:15]
	s_waitcnt lgkmcnt(0)
	s_barrier
	s_and_saveexec_b64 s[14:15], s[44:45]
	s_cbranch_execz .LBB154_411
; %bb.410:
	v_mov_b32_e32 v23, 0
	ds_read_b64 v[23:24], v23 offset:11448
	ds_read_b64 v[25:26], v8
	s_waitcnt lgkmcnt(0)
	v_mul_f32_e32 v27, v26, v24
	v_mul_f32_e32 v24, v25, v24
	v_fma_f32 v25, v25, v23, -v27
	v_fmac_f32_e32 v24, v26, v23
	v_add_f32_e32 v22, v22, v25
	v_add_f32_e32 v21, v21, v24
.LBB154_411:
	s_or_b64 exec, exec, s[14:15]
	s_barrier
	s_and_saveexec_b64 s[14:15], s[44:45]
	s_cbranch_execz .LBB154_413
; %bb.412:
	v_mov_b32_e32 v23, 0
	ds_read_b64 v[23:24], v23 offset:11960
	s_waitcnt lgkmcnt(0)
	v_mul_f32_e32 v26, v21, v24
	v_mul_f32_e32 v25, v22, v24
	v_fma_f32 v24, v22, v23, -v26
	v_fmac_f32_e32 v25, v21, v23
	v_mov_b32_e32 v22, v24
	v_mov_b32_e32 v21, v25
	ds_write_b64 v8, v[24:25]
.LBB154_413:
	s_or_b64 exec, exec, s[14:15]
	s_waitcnt lgkmcnt(0)
	s_barrier
	s_barrier
	s_and_saveexec_b64 s[14:15], s[18:19]
; %bb.414:
	v_xor_b32_e32 v22, 0x80000000, v22
	v_xor_b32_e32 v23, 0x80000000, v21
	ds_write_b64 v6, v[22:23] offset:8352
; %bb.415:
	s_or_b64 exec, exec, s[14:15]
	s_waitcnt lgkmcnt(0)
	s_barrier
	s_barrier
	s_and_saveexec_b64 s[14:15], vcc
	s_cbranch_execz .LBB154_417
; %bb.416:
	v_mov_b32_e32 v27, 0
	ds_read_b128 v[21:24], v27 offset:10400
	ds_read_b64 v[25:26], v27 offset:10920
	s_waitcnt lgkmcnt(0)
	v_mul_f32_e32 v28, v26, v22
	v_mul_f32_e32 v29, v25, v22
	v_fma_f32 v25, v25, v21, -v28
	v_fmac_f32_e32 v29, v26, v21
	v_mul_f32_e32 v21, v29, v24
	v_mul_f32_e32 v22, v25, v24
	v_fma_f32 v21, v25, v23, -v21
	v_fmac_f32_e32 v22, v29, v23
	ds_write_b64 v27, v[21:22] offset:10408
.LBB154_417:
	s_or_b64 exec, exec, s[14:15]
	v_mov_b32_e32 v21, 0
	v_mov_b32_e32 v22, 0
	s_waitcnt lgkmcnt(0)
	s_barrier
	s_and_saveexec_b64 s[16:17], s[6:7]
	s_cbranch_execz .LBB154_421
; %bb.418:
	v_mul_u32_u24_e32 v23, 0x208, v5
	ds_read_b64 v[21:22], v3 offset:10416
	ds_read_b64 v[23:24], v23 offset:10400
	v_cmp_gt_u32_e64 s[14:15], 2, v1
	s_waitcnt lgkmcnt(0)
	v_mul_f32_e32 v25, v24, v22
	v_mul_f32_e32 v22, v23, v22
	v_fma_f32 v23, v23, v21, -v25
	v_fmac_f32_e32 v22, v24, v21
	v_add_f32_e32 v21, 0, v23
	v_add_f32_e32 v23, 0, v22
	s_and_saveexec_b64 s[20:21], s[14:15]
	s_cbranch_execz .LBB154_420
; %bb.419:
	v_lshlrev_b32_e32 v22, 3, v0
	v_mov_b32_e32 v26, 0
	ds_read_b64 v[24:25], v22 offset:10928
	ds_read_b64 v[26:27], v26 offset:10408
	s_waitcnt lgkmcnt(0)
	v_mul_f32_e32 v22, v27, v25
	v_mul_f32_e32 v25, v26, v25
	v_fma_f32 v22, v26, v24, -v22
	v_fmac_f32_e32 v25, v27, v24
	v_add_f32_e32 v21, v21, v22
	v_add_f32_e32 v23, v23, v25
.LBB154_420:
	s_or_b64 exec, exec, s[20:21]
	v_xor_b32_e32 v22, 0x80000000, v21
	v_xor_b32_e32 v21, 0x80000000, v23
.LBB154_421:
	s_or_b64 exec, exec, s[16:17]
	s_and_saveexec_b64 s[14:15], s[42:43]
	s_cbranch_execz .LBB154_423
; %bb.422:
	v_mov_b32_e32 v23, 0
	ds_read_b64 v[23:24], v23 offset:11440
	s_waitcnt lgkmcnt(0)
	v_mul_f32_e32 v26, v21, v24
	v_mul_f32_e32 v25, v22, v24
	v_fma_f32 v24, v22, v23, -v26
	v_fmac_f32_e32 v25, v21, v23
	v_mov_b32_e32 v22, v24
	v_mov_b32_e32 v21, v25
	ds_write_b64 v4, v[24:25]
.LBB154_423:
	s_or_b64 exec, exec, s[14:15]
	s_waitcnt lgkmcnt(0)
	s_barrier
	s_and_saveexec_b64 s[14:15], s[40:41]
	s_cbranch_execz .LBB154_425
; %bb.424:
	v_mov_b32_e32 v23, 0
	ds_read_b64 v[23:24], v23 offset:11448
	ds_read_b64 v[25:26], v4
	s_waitcnt lgkmcnt(0)
	v_mul_f32_e32 v27, v26, v24
	v_mul_f32_e32 v24, v25, v24
	v_fma_f32 v25, v25, v23, -v27
	v_fmac_f32_e32 v24, v26, v23
	v_add_f32_e32 v22, v22, v25
	v_add_f32_e32 v21, v21, v24
.LBB154_425:
	s_or_b64 exec, exec, s[14:15]
	s_barrier
	s_and_saveexec_b64 s[14:15], s[40:41]
	s_cbranch_execz .LBB154_427
; %bb.426:
	v_mov_b32_e32 v23, 0
	ds_read_b64 v[23:24], v23 offset:11960
	s_waitcnt lgkmcnt(0)
	v_mul_f32_e32 v26, v21, v24
	v_mul_f32_e32 v25, v22, v24
	v_fma_f32 v24, v22, v23, -v26
	v_fmac_f32_e32 v25, v21, v23
	v_mov_b32_e32 v22, v24
	v_mov_b32_e32 v21, v25
	ds_write_b64 v4, v[24:25]
.LBB154_427:
	s_or_b64 exec, exec, s[14:15]
	s_waitcnt lgkmcnt(0)
	s_barrier
	s_barrier
	s_and_saveexec_b64 s[14:15], s[6:7]
; %bb.428:
	v_xor_b32_e32 v23, 0x80000000, v21
	v_xor_b32_e32 v22, 0x80000000, v22
	ds_write_b64 v3, v[22:23] offset:10416
; %bb.429:
	s_or_b64 exec, exec, s[14:15]
	s_waitcnt lgkmcnt(0)
	s_barrier
	s_barrier
	s_and_saveexec_b64 s[14:15], vcc
	s_cbranch_execz .LBB154_431
; %bb.430:
	v_mov_b32_e32 v27, 0
	ds_read_b128 v[21:24], v27 offset:11440
	ds_read_b64 v[25:26], v27 offset:11960
	s_waitcnt lgkmcnt(0)
	v_mul_f32_e32 v28, v26, v22
	v_mul_f32_e32 v29, v25, v22
	v_fma_f32 v25, v25, v21, -v28
	v_fmac_f32_e32 v29, v26, v21
	v_mul_f32_e32 v21, v29, v24
	v_mul_f32_e32 v22, v25, v24
	v_fma_f32 v21, v25, v23, -v21
	v_fmac_f32_e32 v22, v29, v23
	ds_write_b64 v27, v[21:22] offset:11448
.LBB154_431:
	s_or_b64 exec, exec, s[14:15]
	v_mov_b32_e32 v21, 0
	v_mov_b32_e32 v22, 0
	s_waitcnt lgkmcnt(0)
	s_barrier
	s_and_saveexec_b64 s[16:17], s[10:11]
	s_cbranch_execz .LBB154_441
; %bb.432:
	v_mul_u32_u24_e32 v22, 0x208, v15
	ds_read_b64 v[23:24], v11 offset:8384
	ds_read_b64 v[25:26], v22 offset:8320
	v_cmp_gt_u32_e64 s[14:15], 56, v1
	s_waitcnt lgkmcnt(0)
	v_mul_f32_e32 v21, v26, v24
	v_mul_f32_e32 v24, v25, v24
	v_fma_f32 v21, v25, v23, -v21
	v_fmac_f32_e32 v24, v26, v23
	v_add_f32_e32 v21, 0, v21
	v_add_f32_e32 v23, 0, v24
	s_and_saveexec_b64 s[20:21], s[14:15]
	s_cbranch_execnz .LBB154_1070
; %bb.433:
	s_or_b64 exec, exec, s[20:21]
	v_cmp_gt_u32_e64 s[14:15], 48, v1
	s_and_saveexec_b64 s[20:21], s[14:15]
	s_cbranch_execnz .LBB154_1071
.LBB154_434:
	s_or_b64 exec, exec, s[20:21]
	v_cmp_gt_u32_e64 s[14:15], 40, v1
	s_and_saveexec_b64 s[20:21], s[14:15]
	s_cbranch_execnz .LBB154_1072
.LBB154_435:
	s_or_b64 exec, exec, s[20:21]
	v_cmp_gt_u32_e64 s[14:15], 32, v1
	s_and_saveexec_b64 s[20:21], s[14:15]
	s_cbranch_execnz .LBB154_1073
.LBB154_436:
	s_or_b64 exec, exec, s[20:21]
	v_cmp_gt_u32_e64 s[14:15], 24, v1
	s_and_saveexec_b64 s[20:21], s[14:15]
	s_cbranch_execnz .LBB154_1074
.LBB154_437:
	s_or_b64 exec, exec, s[20:21]
	v_cmp_gt_u32_e64 s[14:15], 16, v1
	s_and_saveexec_b64 s[20:21], s[14:15]
	s_cbranch_execnz .LBB154_1075
.LBB154_438:
	s_or_b64 exec, exec, s[20:21]
	v_cmp_gt_u32_e64 s[14:15], 8, v1
	s_and_saveexec_b64 s[20:21], s[14:15]
	s_cbranch_execz .LBB154_440
.LBB154_439:
	v_lshlrev_b32_e32 v22, 3, v0
	v_mov_b32_e32 v26, 0
	ds_read_b64 v[24:25], v22 offset:11968
	ds_read_b64 v[26:27], v26 offset:8376
	s_waitcnt lgkmcnt(0)
	v_mul_f32_e32 v22, v27, v25
	v_mul_f32_e32 v25, v26, v25
	v_fma_f32 v22, v26, v24, -v22
	v_fmac_f32_e32 v25, v27, v24
	v_add_f32_e32 v21, v21, v22
	v_add_f32_e32 v23, v23, v25
.LBB154_440:
	s_or_b64 exec, exec, s[20:21]
	v_xor_b32_e32 v22, 0x80000000, v21
	v_xor_b32_e32 v21, 0x80000000, v23
.LBB154_441:
	s_or_b64 exec, exec, s[16:17]
	s_and_saveexec_b64 s[14:15], s[58:59]
	s_cbranch_execz .LBB154_443
; %bb.442:
	v_mov_b32_e32 v23, 0
	ds_read_b64 v[23:24], v23 offset:12480
	s_waitcnt lgkmcnt(0)
	v_mul_f32_e32 v26, v21, v24
	v_mul_f32_e32 v25, v22, v24
	v_fma_f32 v24, v22, v23, -v26
	v_fmac_f32_e32 v25, v21, v23
	v_mov_b32_e32 v22, v24
	v_mov_b32_e32 v21, v25
	ds_write_b64 v13, v[24:25]
.LBB154_443:
	s_or_b64 exec, exec, s[14:15]
	s_waitcnt lgkmcnt(0)
	s_barrier
	s_and_saveexec_b64 s[14:15], s[60:61]
	s_cbranch_execz .LBB154_445
; %bb.444:
	ds_read_b64 v[23:24], v12 offset:12480
	ds_read_b64 v[25:26], v13
	s_waitcnt lgkmcnt(0)
	v_mul_f32_e32 v27, v26, v24
	v_mul_f32_e32 v24, v25, v24
	v_fma_f32 v25, v25, v23, -v27
	v_fmac_f32_e32 v24, v26, v23
	v_add_f32_e32 v22, v22, v25
	v_add_f32_e32 v21, v21, v24
.LBB154_445:
	s_or_b64 exec, exec, s[14:15]
	s_barrier
	s_and_saveexec_b64 s[14:15], s[62:63]
	s_cbranch_execz .LBB154_447
; %bb.446:
	v_mov_b32_e32 v23, 0
	ds_read_b64 v[23:24], v23 offset:13000
	s_waitcnt lgkmcnt(0)
	v_mul_f32_e32 v26, v21, v24
	v_mul_f32_e32 v25, v22, v24
	v_fma_f32 v24, v22, v23, -v26
	v_fmac_f32_e32 v25, v21, v23
	v_mov_b32_e32 v22, v24
	v_mov_b32_e32 v21, v25
	ds_write_b64 v13, v[24:25]
.LBB154_447:
	s_or_b64 exec, exec, s[14:15]
	s_waitcnt lgkmcnt(0)
	s_barrier
	s_and_saveexec_b64 s[14:15], s[64:65]
	s_cbranch_execz .LBB154_449
; %bb.448:
	ds_read_b64 v[23:24], v12 offset:12992
	ds_read_b64 v[25:26], v13
	s_waitcnt lgkmcnt(0)
	v_mul_f32_e32 v27, v26, v24
	v_mul_f32_e32 v24, v25, v24
	v_fma_f32 v25, v25, v23, -v27
	v_fmac_f32_e32 v24, v26, v23
	v_add_f32_e32 v22, v22, v25
	v_add_f32_e32 v21, v21, v24
.LBB154_449:
	s_or_b64 exec, exec, s[14:15]
	s_barrier
	;; [unrolled: 32-line block ×6, first 2 shown]
	s_and_saveexec_b64 s[14:15], s[82:83]
	s_cbranch_execz .LBB154_467
; %bb.466:
	v_mov_b32_e32 v23, 0
	ds_read_b64 v[23:24], v23 offset:15600
	s_waitcnt lgkmcnt(0)
	v_mul_f32_e32 v26, v21, v24
	v_mul_f32_e32 v25, v22, v24
	v_fma_f32 v24, v22, v23, -v26
	v_fmac_f32_e32 v25, v21, v23
	v_mov_b32_e32 v22, v24
	v_mov_b32_e32 v21, v25
	ds_write_b64 v13, v[24:25]
.LBB154_467:
	s_or_b64 exec, exec, s[14:15]
	s_waitcnt lgkmcnt(0)
	s_barrier
	s_and_saveexec_b64 s[14:15], s[56:57]
	s_cbranch_execz .LBB154_469
; %bb.468:
	v_mov_b32_e32 v23, 0
	ds_read_b64 v[23:24], v23 offset:15608
	ds_read_b64 v[25:26], v13
	s_waitcnt lgkmcnt(0)
	v_mul_f32_e32 v27, v26, v24
	v_mul_f32_e32 v24, v25, v24
	v_fma_f32 v25, v25, v23, -v27
	v_fmac_f32_e32 v24, v26, v23
	v_add_f32_e32 v22, v22, v25
	v_add_f32_e32 v21, v21, v24
.LBB154_469:
	s_or_b64 exec, exec, s[14:15]
	s_barrier
	s_and_saveexec_b64 s[14:15], s[56:57]
	s_cbranch_execz .LBB154_471
; %bb.470:
	v_mov_b32_e32 v23, 0
	ds_read_b64 v[23:24], v23 offset:16120
	s_waitcnt lgkmcnt(0)
	v_mul_f32_e32 v26, v21, v24
	v_mul_f32_e32 v25, v22, v24
	v_fma_f32 v24, v22, v23, -v26
	v_fmac_f32_e32 v25, v21, v23
	v_mov_b32_e32 v22, v24
	v_mov_b32_e32 v21, v25
	ds_write_b64 v13, v[24:25]
.LBB154_471:
	s_or_b64 exec, exec, s[14:15]
	s_waitcnt lgkmcnt(0)
	s_barrier
	s_barrier
	s_and_saveexec_b64 s[14:15], s[10:11]
; %bb.472:
	v_xor_b32_e32 v23, 0x80000000, v21
	v_xor_b32_e32 v22, 0x80000000, v22
	ds_write_b64 v11, v[22:23] offset:8384
; %bb.473:
	s_or_b64 exec, exec, s[14:15]
	s_waitcnt lgkmcnt(0)
	s_barrier
	s_barrier
	s_and_saveexec_b64 s[14:15], vcc
	s_cbranch_execz .LBB154_475
; %bb.474:
	v_mov_b32_e32 v27, 0
	ds_read_b128 v[21:24], v27 offset:12480
	ds_read_b64 v[25:26], v27 offset:13000
	s_waitcnt lgkmcnt(0)
	v_mul_f32_e32 v28, v26, v22
	v_mul_f32_e32 v29, v25, v22
	v_fma_f32 v25, v25, v21, -v28
	v_fmac_f32_e32 v29, v26, v21
	v_mul_f32_e32 v21, v29, v24
	v_mul_f32_e32 v22, v25, v24
	v_fma_f32 v21, v25, v23, -v21
	v_fmac_f32_e32 v22, v29, v23
	ds_write_b64 v27, v[21:22] offset:12488
.LBB154_475:
	s_or_b64 exec, exec, s[14:15]
	v_mov_b32_e32 v21, 0
	v_mov_b32_e32 v22, 0
	s_waitcnt lgkmcnt(0)
	s_barrier
	s_and_saveexec_b64 s[16:17], s[6:7]
	s_cbranch_execz .LBB154_479
; %bb.476:
	v_mul_u32_u24_e32 v23, 0x208, v5
	ds_read_b64 v[21:22], v3 offset:12496
	ds_read_b64 v[23:24], v23 offset:12480
	v_cmp_gt_u32_e64 s[14:15], 2, v1
	s_waitcnt lgkmcnt(0)
	v_mul_f32_e32 v25, v24, v22
	v_mul_f32_e32 v22, v23, v22
	v_fma_f32 v23, v23, v21, -v25
	v_fmac_f32_e32 v22, v24, v21
	v_add_f32_e32 v21, 0, v23
	v_add_f32_e32 v23, 0, v22
	s_and_saveexec_b64 s[20:21], s[14:15]
	s_cbranch_execz .LBB154_478
; %bb.477:
	v_lshlrev_b32_e32 v22, 3, v0
	v_mov_b32_e32 v26, 0
	ds_read_b64 v[24:25], v22 offset:13008
	ds_read_b64 v[26:27], v26 offset:12488
	s_waitcnt lgkmcnt(0)
	v_mul_f32_e32 v22, v27, v25
	v_mul_f32_e32 v25, v26, v25
	v_fma_f32 v22, v26, v24, -v22
	v_fmac_f32_e32 v25, v27, v24
	v_add_f32_e32 v21, v21, v22
	v_add_f32_e32 v23, v23, v25
.LBB154_478:
	s_or_b64 exec, exec, s[20:21]
	v_xor_b32_e32 v22, 0x80000000, v21
	v_xor_b32_e32 v21, 0x80000000, v23
.LBB154_479:
	s_or_b64 exec, exec, s[16:17]
	s_and_saveexec_b64 s[14:15], s[42:43]
	s_cbranch_execz .LBB154_481
; %bb.480:
	v_mov_b32_e32 v23, 0
	ds_read_b64 v[23:24], v23 offset:13520
	s_waitcnt lgkmcnt(0)
	v_mul_f32_e32 v26, v21, v24
	v_mul_f32_e32 v25, v22, v24
	v_fma_f32 v24, v22, v23, -v26
	v_fmac_f32_e32 v25, v21, v23
	v_mov_b32_e32 v22, v24
	v_mov_b32_e32 v21, v25
	ds_write_b64 v4, v[24:25]
.LBB154_481:
	s_or_b64 exec, exec, s[14:15]
	s_waitcnt lgkmcnt(0)
	s_barrier
	s_and_saveexec_b64 s[14:15], s[40:41]
	s_cbranch_execz .LBB154_483
; %bb.482:
	v_mov_b32_e32 v23, 0
	ds_read_b64 v[23:24], v23 offset:13528
	ds_read_b64 v[25:26], v4
	s_waitcnt lgkmcnt(0)
	v_mul_f32_e32 v27, v26, v24
	v_mul_f32_e32 v24, v25, v24
	v_fma_f32 v25, v25, v23, -v27
	v_fmac_f32_e32 v24, v26, v23
	v_add_f32_e32 v22, v22, v25
	v_add_f32_e32 v21, v21, v24
.LBB154_483:
	s_or_b64 exec, exec, s[14:15]
	s_barrier
	s_and_saveexec_b64 s[14:15], s[40:41]
	s_cbranch_execz .LBB154_485
; %bb.484:
	v_mov_b32_e32 v23, 0
	ds_read_b64 v[23:24], v23 offset:14040
	s_waitcnt lgkmcnt(0)
	v_mul_f32_e32 v26, v21, v24
	v_mul_f32_e32 v25, v22, v24
	v_fma_f32 v24, v22, v23, -v26
	v_fmac_f32_e32 v25, v21, v23
	v_mov_b32_e32 v22, v24
	v_mov_b32_e32 v21, v25
	ds_write_b64 v4, v[24:25]
.LBB154_485:
	s_or_b64 exec, exec, s[14:15]
	s_waitcnt lgkmcnt(0)
	s_barrier
	s_barrier
	s_and_saveexec_b64 s[14:15], s[6:7]
; %bb.486:
	v_xor_b32_e32 v23, 0x80000000, v21
	v_xor_b32_e32 v22, 0x80000000, v22
	ds_write_b64 v3, v[22:23] offset:12496
; %bb.487:
	s_or_b64 exec, exec, s[14:15]
	s_waitcnt lgkmcnt(0)
	s_barrier
	s_barrier
	s_and_saveexec_b64 s[14:15], vcc
	s_cbranch_execz .LBB154_489
; %bb.488:
	v_mov_b32_e32 v27, 0
	ds_read_b128 v[21:24], v27 offset:13520
	ds_read_b64 v[25:26], v27 offset:14040
	s_waitcnt lgkmcnt(0)
	v_mul_f32_e32 v28, v26, v22
	v_mul_f32_e32 v29, v25, v22
	v_fma_f32 v25, v25, v21, -v28
	v_fmac_f32_e32 v29, v26, v21
	v_mul_f32_e32 v21, v29, v24
	v_mul_f32_e32 v22, v25, v24
	v_fma_f32 v21, v25, v23, -v21
	v_fmac_f32_e32 v22, v29, v23
	ds_write_b64 v27, v[21:22] offset:13528
.LBB154_489:
	s_or_b64 exec, exec, s[14:15]
	v_mov_b32_e32 v21, 0
	v_mov_b32_e32 v22, 0
	s_waitcnt lgkmcnt(0)
	s_barrier
	s_and_saveexec_b64 s[16:17], s[18:19]
	s_cbranch_execz .LBB154_495
; %bb.490:
	v_mul_u32_u24_e32 v22, 0x208, v10
	ds_read_b64 v[23:24], v6 offset:12512
	ds_read_b64 v[25:26], v22 offset:12480
	v_cmp_gt_u32_e64 s[14:15], 12, v1
	s_waitcnt lgkmcnt(0)
	v_mul_f32_e32 v21, v26, v24
	v_mul_f32_e32 v24, v25, v24
	v_fma_f32 v21, v25, v23, -v21
	v_fmac_f32_e32 v24, v26, v23
	v_add_f32_e32 v21, 0, v21
	v_add_f32_e32 v23, 0, v24
	s_and_saveexec_b64 s[20:21], s[14:15]
	s_cbranch_execnz .LBB154_1076
; %bb.491:
	s_or_b64 exec, exec, s[20:21]
	v_cmp_gt_u32_e64 s[14:15], 8, v1
	s_and_saveexec_b64 s[20:21], s[14:15]
	s_cbranch_execnz .LBB154_1077
.LBB154_492:
	s_or_b64 exec, exec, s[20:21]
	v_cmp_gt_u32_e64 s[14:15], 4, v1
	s_and_saveexec_b64 s[20:21], s[14:15]
	s_cbranch_execz .LBB154_494
.LBB154_493:
	v_lshlrev_b32_e32 v22, 3, v0
	v_mov_b32_e32 v26, 0
	ds_read_b64 v[24:25], v22 offset:14048
	ds_read_b64 v[26:27], v26 offset:12504
	s_waitcnt lgkmcnt(0)
	v_mul_f32_e32 v22, v27, v25
	v_mul_f32_e32 v25, v26, v25
	v_fma_f32 v22, v26, v24, -v22
	v_fmac_f32_e32 v25, v27, v24
	v_add_f32_e32 v21, v21, v22
	v_add_f32_e32 v23, v23, v25
.LBB154_494:
	s_or_b64 exec, exec, s[20:21]
	v_xor_b32_e32 v22, 0x80000000, v21
	v_xor_b32_e32 v21, 0x80000000, v23
.LBB154_495:
	s_or_b64 exec, exec, s[16:17]
	s_and_saveexec_b64 s[14:15], s[46:47]
	s_cbranch_execz .LBB154_497
; %bb.496:
	v_mov_b32_e32 v23, 0
	ds_read_b64 v[23:24], v23 offset:14560
	s_waitcnt lgkmcnt(0)
	v_mul_f32_e32 v26, v21, v24
	v_mul_f32_e32 v25, v22, v24
	v_fma_f32 v24, v22, v23, -v26
	v_fmac_f32_e32 v25, v21, v23
	v_mov_b32_e32 v22, v24
	v_mov_b32_e32 v21, v25
	ds_write_b64 v8, v[24:25]
.LBB154_497:
	s_or_b64 exec, exec, s[14:15]
	s_waitcnt lgkmcnt(0)
	s_barrier
	s_and_saveexec_b64 s[14:15], s[48:49]
	s_cbranch_execz .LBB154_499
; %bb.498:
	ds_read_b64 v[23:24], v7 offset:14560
	ds_read_b64 v[25:26], v8
	s_waitcnt lgkmcnt(0)
	v_mul_f32_e32 v27, v26, v24
	v_mul_f32_e32 v24, v25, v24
	v_fma_f32 v25, v25, v23, -v27
	v_fmac_f32_e32 v24, v26, v23
	v_add_f32_e32 v22, v22, v25
	v_add_f32_e32 v21, v21, v24
.LBB154_499:
	s_or_b64 exec, exec, s[14:15]
	s_barrier
	s_and_saveexec_b64 s[14:15], s[50:51]
	s_cbranch_execz .LBB154_501
; %bb.500:
	v_mov_b32_e32 v23, 0
	ds_read_b64 v[23:24], v23 offset:15080
	s_waitcnt lgkmcnt(0)
	v_mul_f32_e32 v26, v21, v24
	v_mul_f32_e32 v25, v22, v24
	v_fma_f32 v24, v22, v23, -v26
	v_fmac_f32_e32 v25, v21, v23
	v_mov_b32_e32 v22, v24
	v_mov_b32_e32 v21, v25
	ds_write_b64 v8, v[24:25]
.LBB154_501:
	s_or_b64 exec, exec, s[14:15]
	s_waitcnt lgkmcnt(0)
	s_barrier
	s_and_saveexec_b64 s[14:15], s[52:53]
	s_cbranch_execz .LBB154_503
; %bb.502:
	ds_read_b64 v[23:24], v7 offset:15072
	ds_read_b64 v[25:26], v8
	s_waitcnt lgkmcnt(0)
	v_mul_f32_e32 v27, v26, v24
	v_mul_f32_e32 v24, v25, v24
	v_fma_f32 v25, v25, v23, -v27
	v_fmac_f32_e32 v24, v26, v23
	v_add_f32_e32 v22, v22, v25
	v_add_f32_e32 v21, v21, v24
.LBB154_503:
	s_or_b64 exec, exec, s[14:15]
	s_barrier
	s_and_saveexec_b64 s[14:15], s[54:55]
	s_cbranch_execz .LBB154_505
; %bb.504:
	v_mov_b32_e32 v23, 0
	ds_read_b64 v[23:24], v23 offset:15600
	s_waitcnt lgkmcnt(0)
	v_mul_f32_e32 v26, v21, v24
	v_mul_f32_e32 v25, v22, v24
	v_fma_f32 v24, v22, v23, -v26
	v_fmac_f32_e32 v25, v21, v23
	v_mov_b32_e32 v22, v24
	v_mov_b32_e32 v21, v25
	ds_write_b64 v8, v[24:25]
.LBB154_505:
	s_or_b64 exec, exec, s[14:15]
	s_waitcnt lgkmcnt(0)
	s_barrier
	s_and_saveexec_b64 s[14:15], s[44:45]
	s_cbranch_execz .LBB154_507
; %bb.506:
	v_mov_b32_e32 v23, 0
	ds_read_b64 v[23:24], v23 offset:15608
	ds_read_b64 v[25:26], v8
	s_waitcnt lgkmcnt(0)
	v_mul_f32_e32 v27, v26, v24
	v_mul_f32_e32 v24, v25, v24
	v_fma_f32 v25, v25, v23, -v27
	v_fmac_f32_e32 v24, v26, v23
	v_add_f32_e32 v22, v22, v25
	v_add_f32_e32 v21, v21, v24
.LBB154_507:
	s_or_b64 exec, exec, s[14:15]
	s_barrier
	s_and_saveexec_b64 s[14:15], s[44:45]
	s_cbranch_execz .LBB154_509
; %bb.508:
	v_mov_b32_e32 v23, 0
	ds_read_b64 v[23:24], v23 offset:16120
	s_waitcnt lgkmcnt(0)
	v_mul_f32_e32 v26, v21, v24
	v_mul_f32_e32 v25, v22, v24
	v_fma_f32 v24, v22, v23, -v26
	v_fmac_f32_e32 v25, v21, v23
	v_mov_b32_e32 v22, v24
	v_mov_b32_e32 v21, v25
	ds_write_b64 v8, v[24:25]
.LBB154_509:
	s_or_b64 exec, exec, s[14:15]
	s_waitcnt lgkmcnt(0)
	s_barrier
	s_barrier
	s_and_saveexec_b64 s[14:15], s[18:19]
; %bb.510:
	v_xor_b32_e32 v22, 0x80000000, v22
	v_xor_b32_e32 v23, 0x80000000, v21
	ds_write_b64 v6, v[22:23] offset:12512
; %bb.511:
	s_or_b64 exec, exec, s[14:15]
	s_waitcnt lgkmcnt(0)
	s_barrier
	s_barrier
	s_and_saveexec_b64 s[14:15], vcc
	s_cbranch_execz .LBB154_513
; %bb.512:
	v_mov_b32_e32 v27, 0
	ds_read_b128 v[21:24], v27 offset:14560
	ds_read_b64 v[25:26], v27 offset:15080
	s_waitcnt lgkmcnt(0)
	v_mul_f32_e32 v28, v26, v22
	v_mul_f32_e32 v29, v25, v22
	v_fma_f32 v25, v25, v21, -v28
	v_fmac_f32_e32 v29, v26, v21
	v_mul_f32_e32 v21, v29, v24
	v_mul_f32_e32 v22, v25, v24
	v_fma_f32 v21, v25, v23, -v21
	v_fmac_f32_e32 v22, v29, v23
	ds_write_b64 v27, v[21:22] offset:14568
.LBB154_513:
	s_or_b64 exec, exec, s[14:15]
	v_mov_b32_e32 v21, 0
	v_mov_b32_e32 v22, 0
	s_waitcnt lgkmcnt(0)
	s_barrier
	s_and_saveexec_b64 s[16:17], s[6:7]
	s_cbranch_execz .LBB154_517
; %bb.514:
	v_mul_u32_u24_e32 v23, 0x208, v5
	ds_read_b64 v[21:22], v3 offset:14576
	ds_read_b64 v[23:24], v23 offset:14560
	v_cmp_gt_u32_e64 s[14:15], 2, v1
	s_waitcnt lgkmcnt(0)
	v_mul_f32_e32 v25, v24, v22
	v_mul_f32_e32 v22, v23, v22
	v_fma_f32 v23, v23, v21, -v25
	v_fmac_f32_e32 v22, v24, v21
	v_add_f32_e32 v21, 0, v23
	v_add_f32_e32 v23, 0, v22
	s_and_saveexec_b64 s[20:21], s[14:15]
	s_cbranch_execz .LBB154_516
; %bb.515:
	v_lshlrev_b32_e32 v22, 3, v0
	v_mov_b32_e32 v26, 0
	ds_read_b64 v[24:25], v22 offset:15088
	ds_read_b64 v[26:27], v26 offset:14568
	s_waitcnt lgkmcnt(0)
	v_mul_f32_e32 v22, v27, v25
	v_mul_f32_e32 v25, v26, v25
	v_fma_f32 v22, v26, v24, -v22
	v_fmac_f32_e32 v25, v27, v24
	v_add_f32_e32 v21, v21, v22
	v_add_f32_e32 v23, v23, v25
.LBB154_516:
	s_or_b64 exec, exec, s[20:21]
	v_xor_b32_e32 v22, 0x80000000, v21
	v_xor_b32_e32 v21, 0x80000000, v23
.LBB154_517:
	s_or_b64 exec, exec, s[16:17]
	s_and_saveexec_b64 s[14:15], s[42:43]
	s_cbranch_execz .LBB154_519
; %bb.518:
	v_mov_b32_e32 v23, 0
	ds_read_b64 v[23:24], v23 offset:15600
	s_waitcnt lgkmcnt(0)
	v_mul_f32_e32 v26, v21, v24
	v_mul_f32_e32 v25, v22, v24
	v_fma_f32 v24, v22, v23, -v26
	v_fmac_f32_e32 v25, v21, v23
	v_mov_b32_e32 v22, v24
	v_mov_b32_e32 v21, v25
	ds_write_b64 v4, v[24:25]
.LBB154_519:
	s_or_b64 exec, exec, s[14:15]
	s_waitcnt lgkmcnt(0)
	s_barrier
	s_and_saveexec_b64 s[14:15], s[40:41]
	s_cbranch_execz .LBB154_521
; %bb.520:
	v_mov_b32_e32 v23, 0
	ds_read_b64 v[23:24], v23 offset:15608
	ds_read_b64 v[25:26], v4
	s_waitcnt lgkmcnt(0)
	v_mul_f32_e32 v27, v26, v24
	v_mul_f32_e32 v24, v25, v24
	v_fma_f32 v25, v25, v23, -v27
	v_fmac_f32_e32 v24, v26, v23
	v_add_f32_e32 v22, v22, v25
	v_add_f32_e32 v21, v21, v24
.LBB154_521:
	s_or_b64 exec, exec, s[14:15]
	s_barrier
	s_and_saveexec_b64 s[14:15], s[40:41]
	s_cbranch_execz .LBB154_523
; %bb.522:
	v_mov_b32_e32 v23, 0
	ds_read_b64 v[23:24], v23 offset:16120
	s_waitcnt lgkmcnt(0)
	v_mul_f32_e32 v26, v21, v24
	v_mul_f32_e32 v25, v22, v24
	v_fma_f32 v24, v22, v23, -v26
	v_fmac_f32_e32 v25, v21, v23
	v_mov_b32_e32 v22, v24
	v_mov_b32_e32 v21, v25
	ds_write_b64 v4, v[24:25]
.LBB154_523:
	s_or_b64 exec, exec, s[14:15]
	s_waitcnt lgkmcnt(0)
	s_barrier
	s_barrier
	s_and_saveexec_b64 s[14:15], s[6:7]
; %bb.524:
	v_xor_b32_e32 v23, 0x80000000, v21
	v_xor_b32_e32 v22, 0x80000000, v22
	ds_write_b64 v3, v[22:23] offset:14576
; %bb.525:
	s_or_b64 exec, exec, s[14:15]
	s_waitcnt lgkmcnt(0)
	s_barrier
	s_barrier
	s_and_saveexec_b64 s[14:15], vcc
	s_cbranch_execz .LBB154_527
; %bb.526:
	v_mov_b32_e32 v27, 0
	ds_read_b128 v[21:24], v27 offset:15600
	ds_read_b64 v[25:26], v27 offset:16120
	s_waitcnt lgkmcnt(0)
	v_mul_f32_e32 v28, v26, v22
	v_mul_f32_e32 v29, v25, v22
	v_fma_f32 v25, v25, v21, -v28
	v_fmac_f32_e32 v29, v26, v21
	v_mul_f32_e32 v21, v29, v24
	v_mul_f32_e32 v22, v25, v24
	v_fma_f32 v21, v25, v23, -v21
	v_fmac_f32_e32 v22, v29, v23
	ds_write_b64 v27, v[21:22] offset:15608
.LBB154_527:
	s_or_b64 exec, exec, s[14:15]
	s_movk_i32 s14, 0x3ff
	v_lshrrev_b32_e32 v23, 5, v1
	v_cmp_lt_u32_e64 s[16:17], s14, v1
	s_movk_i32 s14, 0x400
	v_and_b32_e32 v21, 31, v0
	v_cmp_gt_u32_e64 s[14:15], s14, v1
	v_lshlrev_b32_e32 v22, 9, v23
	v_mov_b32_e32 v24, 0
	v_mov_b32_e32 v26, 0
	s_waitcnt lgkmcnt(0)
	s_barrier
	s_and_saveexec_b64 s[86:87], s[14:15]
	s_cbranch_execz .LBB154_589
; %bb.528:
	v_lshlrev_b32_e32 v26, 3, v21
	v_add_u32_e32 v28, v26, v22
	v_mul_u32_u24_e32 v27, 0x208, v23
	ds_read_b64 v[24:25], v28 offset:256
	ds_read_b64 v[29:30], v27
	s_movk_i32 s20, 0x3e0
	v_cmp_gt_u32_e64 s[20:21], s20, v1
	s_waitcnt lgkmcnt(0)
	v_mul_f32_e32 v31, v30, v25
	v_mul_f32_e32 v25, v29, v25
	v_fma_f32 v29, v29, v24, -v31
	v_fmac_f32_e32 v25, v30, v24
	v_add_f32_e32 v24, 0, v29
	v_add_f32_e32 v25, 0, v25
	s_and_saveexec_b64 s[88:89], s[20:21]
	s_cbranch_execz .LBB154_530
; %bb.529:
	ds_read_b64 v[29:30], v28 offset:768
	ds_read_b64 v[31:32], v27 offset:8
	s_waitcnt lgkmcnt(0)
	v_mul_f32_e32 v33, v32, v30
	v_mul_f32_e32 v30, v31, v30
	v_fma_f32 v31, v31, v29, -v33
	v_fmac_f32_e32 v30, v32, v29
	v_add_f32_e32 v24, v24, v31
	v_add_f32_e32 v25, v25, v30
.LBB154_530:
	s_or_b64 exec, exec, s[88:89]
	s_movk_i32 s20, 0x3c0
	v_cmp_gt_u32_e64 s[20:21], s20, v1
	s_and_saveexec_b64 s[88:89], s[20:21]
	s_cbranch_execz .LBB154_532
; %bb.531:
	ds_read_b64 v[29:30], v28 offset:1280
	ds_read_b64 v[31:32], v27 offset:16
	s_waitcnt lgkmcnt(0)
	v_mul_f32_e32 v33, v32, v30
	v_mul_f32_e32 v30, v31, v30
	v_fma_f32 v31, v31, v29, -v33
	v_fmac_f32_e32 v30, v32, v29
	v_add_f32_e32 v24, v24, v31
	v_add_f32_e32 v25, v25, v30
.LBB154_532:
	s_or_b64 exec, exec, s[88:89]
	s_movk_i32 s20, 0x3a0
	v_cmp_gt_u32_e64 s[20:21], s20, v1
	;; [unrolled: 16-line block ×28, first 2 shown]
	s_and_saveexec_b64 s[88:89], s[20:21]
	s_cbranch_execnz .LBB154_1078
; %bb.585:
	s_or_b64 exec, exec, s[88:89]
	v_cmp_gt_u32_e64 s[20:21], 64, v1
	s_and_saveexec_b64 s[88:89], s[20:21]
	s_cbranch_execnz .LBB154_1079
.LBB154_586:
	s_or_b64 exec, exec, s[88:89]
	v_cmp_gt_u32_e64 s[20:21], 32, v1
	s_and_saveexec_b64 s[88:89], s[20:21]
	s_cbranch_execz .LBB154_588
.LBB154_587:
	ds_read_b64 v[28:29], v26 offset:16128
	ds_read_b64 v[26:27], v27 offset:248
	s_waitcnt lgkmcnt(0)
	v_mul_f32_e32 v30, v27, v29
	v_mul_f32_e32 v29, v26, v29
	v_fma_f32 v26, v26, v28, -v30
	v_fmac_f32_e32 v29, v27, v28
	v_add_f32_e32 v24, v24, v26
	v_add_f32_e32 v25, v25, v29
.LBB154_588:
	s_or_b64 exec, exec, s[88:89]
	v_xor_b32_e32 v26, 0x80000000, v24
	v_xor_b32_e32 v24, 0x80000000, v25
.LBB154_589:
	s_or_b64 exec, exec, s[86:87]
	v_mov_b32_e32 v25, 0x8000
	v_lshl_or_b32 v23, v23, 3, v25
	v_mul_u32_u24_e32 v25, 0x208, v21
	v_lshlrev_b32_e32 v27, 9, v21
	v_sub_u32_e32 v27, v25, v27
	v_add_u32_e32 v27, 0x4100, v27
	s_mov_b32 s86, 0
	s_xor_b64 s[20:21], s[16:17], -1
	v_mov_b32_e32 v28, v21
	s_branch .LBB154_591
.LBB154_590:                            ;   in Loop: Header=BB154_591 Depth=1
	s_or_b64 exec, exec, s[16:17]
	s_add_i32 s86, s86, 2
	v_add_u32_e32 v27, 0x400, v27
	s_cmp_eq_u32 s86, 32
	v_add_u32_e32 v28, -2, v28
	s_barrier
	s_cbranch_scc1 .LBB154_599
.LBB154_591:                            ; =>This Inner Loop Header: Depth=1
	v_cmp_eq_u32_e64 s[16:17], 0, v28
	s_and_b64 s[88:89], s[20:21], s[16:17]
	s_and_saveexec_b64 s[16:17], s[88:89]
	s_cbranch_execz .LBB154_593
; %bb.592:                              ;   in Loop: Header=BB154_591 Depth=1
	ds_read_b64 v[29:30], v25 offset:16640
	s_waitcnt lgkmcnt(0)
	v_mul_f32_e32 v32, v24, v30
	v_mul_f32_e32 v31, v26, v30
	v_fma_f32 v30, v26, v29, -v32
	v_fmac_f32_e32 v31, v24, v29
	v_mov_b32_e32 v26, v30
	v_mov_b32_e32 v24, v31
	ds_write_b64 v23, v[30:31]
.LBB154_593:                            ;   in Loop: Header=BB154_591 Depth=1
	s_or_b64 exec, exec, s[16:17]
	v_cmp_lt_u32_e64 s[16:17], s86, v21
	s_and_b64 s[88:89], s[20:21], s[16:17]
	s_waitcnt lgkmcnt(0)
	s_barrier
	s_and_saveexec_b64 s[16:17], s[88:89]
	s_cbranch_execz .LBB154_595
; %bb.594:                              ;   in Loop: Header=BB154_591 Depth=1
	ds_read_b64 v[29:30], v27
	ds_read_b64 v[31:32], v23
	s_waitcnt lgkmcnt(0)
	v_mul_f32_e32 v33, v32, v30
	v_mul_f32_e32 v30, v31, v30
	v_fma_f32 v31, v31, v29, -v33
	v_fmac_f32_e32 v30, v32, v29
	v_add_f32_e32 v26, v26, v31
	v_add_f32_e32 v24, v24, v30
.LBB154_595:                            ;   in Loop: Header=BB154_591 Depth=1
	s_or_b64 exec, exec, s[16:17]
	s_or_b32 s87, s86, 1
	v_cmp_eq_u32_e64 s[16:17], s87, v21
	s_and_b64 s[88:89], s[20:21], s[16:17]
	s_barrier
	s_and_saveexec_b64 s[16:17], s[88:89]
	s_cbranch_execz .LBB154_597
; %bb.596:                              ;   in Loop: Header=BB154_591 Depth=1
	ds_read_b64 v[29:30], v25 offset:16640
	s_waitcnt lgkmcnt(0)
	v_mul_f32_e32 v32, v24, v30
	v_mul_f32_e32 v31, v26, v30
	v_fma_f32 v30, v26, v29, -v32
	v_fmac_f32_e32 v31, v24, v29
	v_mov_b32_e32 v26, v30
	v_mov_b32_e32 v24, v31
	ds_write_b64 v23, v[30:31]
.LBB154_597:                            ;   in Loop: Header=BB154_591 Depth=1
	s_or_b64 exec, exec, s[16:17]
	v_cmp_lt_u32_e64 s[16:17], s87, v21
	s_and_b64 s[88:89], s[20:21], s[16:17]
	s_waitcnt lgkmcnt(0)
	s_barrier
	s_and_saveexec_b64 s[16:17], s[88:89]
	s_cbranch_execz .LBB154_590
; %bb.598:                              ;   in Loop: Header=BB154_591 Depth=1
	ds_read_b64 v[29:30], v27 offset:512
	ds_read_b64 v[31:32], v23
	s_waitcnt lgkmcnt(0)
	v_mul_f32_e32 v33, v32, v30
	v_mul_f32_e32 v30, v31, v30
	v_fma_f32 v31, v31, v29, -v33
	v_fmac_f32_e32 v30, v32, v29
	v_add_f32_e32 v26, v26, v31
	v_add_f32_e32 v24, v24, v30
	s_branch .LBB154_590
.LBB154_599:
	s_and_saveexec_b64 s[16:17], s[14:15]
; %bb.600:
	v_lshl_add_u32 v23, v21, 3, v22
	v_xor_b32_e32 v22, 0x80000000, v24
	v_xor_b32_e32 v21, 0x80000000, v26
	ds_write_b64 v23, v[21:22] offset:256
; %bb.601:
	s_or_b64 exec, exec, s[16:17]
	s_waitcnt lgkmcnt(0)
	s_barrier
	s_barrier
	s_and_saveexec_b64 s[14:15], vcc
	s_cbranch_execz .LBB154_603
; %bb.602:
	v_mov_b32_e32 v27, 0
	ds_read_b128 v[21:24], v27 offset:16640
	ds_read_b64 v[25:26], v27 offset:17160
	s_waitcnt lgkmcnt(0)
	v_mul_f32_e32 v28, v26, v22
	v_mul_f32_e32 v29, v25, v22
	v_fma_f32 v25, v25, v21, -v28
	v_fmac_f32_e32 v29, v26, v21
	v_mul_f32_e32 v21, v29, v24
	v_mul_f32_e32 v22, v25, v24
	v_fma_f32 v21, v25, v23, -v21
	v_fmac_f32_e32 v22, v29, v23
	ds_write_b64 v27, v[21:22] offset:16648
.LBB154_603:
	s_or_b64 exec, exec, s[14:15]
	v_mov_b32_e32 v21, 0
	v_mov_b32_e32 v22, 0
	s_waitcnt lgkmcnt(0)
	s_barrier
	s_and_saveexec_b64 s[16:17], s[6:7]
	s_cbranch_execz .LBB154_607
; %bb.604:
	v_mul_u32_u24_e32 v23, 0x208, v5
	ds_read_b64 v[21:22], v3 offset:16656
	ds_read_b64 v[23:24], v23 offset:16640
	v_cmp_gt_u32_e64 s[14:15], 2, v1
	s_waitcnt lgkmcnt(0)
	v_mul_f32_e32 v25, v24, v22
	v_mul_f32_e32 v22, v23, v22
	v_fma_f32 v23, v23, v21, -v25
	v_fmac_f32_e32 v22, v24, v21
	v_add_f32_e32 v21, 0, v23
	v_add_f32_e32 v23, 0, v22
	s_and_saveexec_b64 s[20:21], s[14:15]
	s_cbranch_execz .LBB154_606
; %bb.605:
	v_lshlrev_b32_e32 v22, 3, v0
	v_mov_b32_e32 v26, 0
	ds_read_b64 v[24:25], v22 offset:17168
	ds_read_b64 v[26:27], v26 offset:16648
	s_waitcnt lgkmcnt(0)
	v_mul_f32_e32 v22, v27, v25
	v_mul_f32_e32 v25, v26, v25
	v_fma_f32 v22, v26, v24, -v22
	v_fmac_f32_e32 v25, v27, v24
	v_add_f32_e32 v21, v21, v22
	v_add_f32_e32 v23, v23, v25
.LBB154_606:
	s_or_b64 exec, exec, s[20:21]
	v_xor_b32_e32 v22, 0x80000000, v21
	v_xor_b32_e32 v21, 0x80000000, v23
.LBB154_607:
	s_or_b64 exec, exec, s[16:17]
	s_and_saveexec_b64 s[14:15], s[42:43]
	s_cbranch_execz .LBB154_609
; %bb.608:
	v_mov_b32_e32 v23, 0
	ds_read_b64 v[23:24], v23 offset:17680
	s_waitcnt lgkmcnt(0)
	v_mul_f32_e32 v26, v21, v24
	v_mul_f32_e32 v25, v22, v24
	v_fma_f32 v24, v22, v23, -v26
	v_fmac_f32_e32 v25, v21, v23
	v_mov_b32_e32 v22, v24
	v_mov_b32_e32 v21, v25
	ds_write_b64 v4, v[24:25]
.LBB154_609:
	s_or_b64 exec, exec, s[14:15]
	s_waitcnt lgkmcnt(0)
	s_barrier
	s_and_saveexec_b64 s[14:15], s[40:41]
	s_cbranch_execz .LBB154_611
; %bb.610:
	v_mov_b32_e32 v23, 0
	ds_read_b64 v[23:24], v23 offset:17688
	ds_read_b64 v[25:26], v4
	s_waitcnt lgkmcnt(0)
	v_mul_f32_e32 v27, v26, v24
	v_mul_f32_e32 v24, v25, v24
	v_fma_f32 v25, v25, v23, -v27
	v_fmac_f32_e32 v24, v26, v23
	v_add_f32_e32 v22, v22, v25
	v_add_f32_e32 v21, v21, v24
.LBB154_611:
	s_or_b64 exec, exec, s[14:15]
	s_barrier
	s_and_saveexec_b64 s[14:15], s[40:41]
	s_cbranch_execz .LBB154_613
; %bb.612:
	v_mov_b32_e32 v23, 0
	ds_read_b64 v[23:24], v23 offset:18200
	s_waitcnt lgkmcnt(0)
	v_mul_f32_e32 v26, v21, v24
	v_mul_f32_e32 v25, v22, v24
	v_fma_f32 v24, v22, v23, -v26
	v_fmac_f32_e32 v25, v21, v23
	v_mov_b32_e32 v22, v24
	v_mov_b32_e32 v21, v25
	ds_write_b64 v4, v[24:25]
.LBB154_613:
	s_or_b64 exec, exec, s[14:15]
	s_waitcnt lgkmcnt(0)
	s_barrier
	s_barrier
	s_and_saveexec_b64 s[14:15], s[6:7]
; %bb.614:
	v_xor_b32_e32 v23, 0x80000000, v21
	v_xor_b32_e32 v22, 0x80000000, v22
	ds_write_b64 v3, v[22:23] offset:16656
; %bb.615:
	s_or_b64 exec, exec, s[14:15]
	s_waitcnt lgkmcnt(0)
	s_barrier
	s_barrier
	s_and_saveexec_b64 s[14:15], vcc
	s_cbranch_execz .LBB154_617
; %bb.616:
	v_mov_b32_e32 v27, 0
	ds_read_b128 v[21:24], v27 offset:17680
	ds_read_b64 v[25:26], v27 offset:18200
	s_waitcnt lgkmcnt(0)
	v_mul_f32_e32 v28, v26, v22
	v_mul_f32_e32 v29, v25, v22
	v_fma_f32 v25, v25, v21, -v28
	v_fmac_f32_e32 v29, v26, v21
	v_mul_f32_e32 v21, v29, v24
	v_mul_f32_e32 v22, v25, v24
	v_fma_f32 v21, v25, v23, -v21
	v_fmac_f32_e32 v22, v29, v23
	ds_write_b64 v27, v[21:22] offset:17688
.LBB154_617:
	s_or_b64 exec, exec, s[14:15]
	v_mov_b32_e32 v21, 0
	v_mov_b32_e32 v22, 0
	s_waitcnt lgkmcnt(0)
	s_barrier
	s_and_saveexec_b64 s[16:17], s[18:19]
	s_cbranch_execz .LBB154_623
; %bb.618:
	v_mul_u32_u24_e32 v22, 0x208, v10
	ds_read_b64 v[23:24], v6 offset:16672
	ds_read_b64 v[25:26], v22 offset:16640
	v_cmp_gt_u32_e64 s[14:15], 12, v1
	s_waitcnt lgkmcnt(0)
	v_mul_f32_e32 v21, v26, v24
	v_mul_f32_e32 v24, v25, v24
	v_fma_f32 v21, v25, v23, -v21
	v_fmac_f32_e32 v24, v26, v23
	v_add_f32_e32 v21, 0, v21
	v_add_f32_e32 v23, 0, v24
	s_and_saveexec_b64 s[20:21], s[14:15]
	s_cbranch_execnz .LBB154_1080
; %bb.619:
	s_or_b64 exec, exec, s[20:21]
	v_cmp_gt_u32_e64 s[14:15], 8, v1
	s_and_saveexec_b64 s[20:21], s[14:15]
	s_cbranch_execnz .LBB154_1081
.LBB154_620:
	s_or_b64 exec, exec, s[20:21]
	v_cmp_gt_u32_e64 s[14:15], 4, v1
	s_and_saveexec_b64 s[20:21], s[14:15]
	s_cbranch_execz .LBB154_622
.LBB154_621:
	v_lshlrev_b32_e32 v22, 3, v0
	v_mov_b32_e32 v26, 0
	ds_read_b64 v[24:25], v22 offset:18208
	ds_read_b64 v[26:27], v26 offset:16664
	s_waitcnt lgkmcnt(0)
	v_mul_f32_e32 v22, v27, v25
	v_mul_f32_e32 v25, v26, v25
	v_fma_f32 v22, v26, v24, -v22
	v_fmac_f32_e32 v25, v27, v24
	v_add_f32_e32 v21, v21, v22
	v_add_f32_e32 v23, v23, v25
.LBB154_622:
	s_or_b64 exec, exec, s[20:21]
	v_xor_b32_e32 v22, 0x80000000, v21
	v_xor_b32_e32 v21, 0x80000000, v23
.LBB154_623:
	s_or_b64 exec, exec, s[16:17]
	s_and_saveexec_b64 s[14:15], s[46:47]
	s_cbranch_execz .LBB154_625
; %bb.624:
	v_mov_b32_e32 v23, 0
	ds_read_b64 v[23:24], v23 offset:18720
	s_waitcnt lgkmcnt(0)
	v_mul_f32_e32 v26, v21, v24
	v_mul_f32_e32 v25, v22, v24
	v_fma_f32 v24, v22, v23, -v26
	v_fmac_f32_e32 v25, v21, v23
	v_mov_b32_e32 v22, v24
	v_mov_b32_e32 v21, v25
	ds_write_b64 v8, v[24:25]
.LBB154_625:
	s_or_b64 exec, exec, s[14:15]
	s_waitcnt lgkmcnt(0)
	s_barrier
	s_and_saveexec_b64 s[14:15], s[48:49]
	s_cbranch_execz .LBB154_627
; %bb.626:
	ds_read_b64 v[23:24], v7 offset:18720
	ds_read_b64 v[25:26], v8
	s_waitcnt lgkmcnt(0)
	v_mul_f32_e32 v27, v26, v24
	v_mul_f32_e32 v24, v25, v24
	v_fma_f32 v25, v25, v23, -v27
	v_fmac_f32_e32 v24, v26, v23
	v_add_f32_e32 v22, v22, v25
	v_add_f32_e32 v21, v21, v24
.LBB154_627:
	s_or_b64 exec, exec, s[14:15]
	s_barrier
	s_and_saveexec_b64 s[14:15], s[50:51]
	s_cbranch_execz .LBB154_629
; %bb.628:
	v_mov_b32_e32 v23, 0
	ds_read_b64 v[23:24], v23 offset:19240
	s_waitcnt lgkmcnt(0)
	v_mul_f32_e32 v26, v21, v24
	v_mul_f32_e32 v25, v22, v24
	v_fma_f32 v24, v22, v23, -v26
	v_fmac_f32_e32 v25, v21, v23
	v_mov_b32_e32 v22, v24
	v_mov_b32_e32 v21, v25
	ds_write_b64 v8, v[24:25]
.LBB154_629:
	s_or_b64 exec, exec, s[14:15]
	s_waitcnt lgkmcnt(0)
	s_barrier
	s_and_saveexec_b64 s[14:15], s[52:53]
	s_cbranch_execz .LBB154_631
; %bb.630:
	ds_read_b64 v[23:24], v7 offset:19232
	ds_read_b64 v[25:26], v8
	s_waitcnt lgkmcnt(0)
	v_mul_f32_e32 v27, v26, v24
	v_mul_f32_e32 v24, v25, v24
	v_fma_f32 v25, v25, v23, -v27
	v_fmac_f32_e32 v24, v26, v23
	v_add_f32_e32 v22, v22, v25
	v_add_f32_e32 v21, v21, v24
.LBB154_631:
	s_or_b64 exec, exec, s[14:15]
	s_barrier
	s_and_saveexec_b64 s[14:15], s[54:55]
	s_cbranch_execz .LBB154_633
; %bb.632:
	v_mov_b32_e32 v23, 0
	ds_read_b64 v[23:24], v23 offset:19760
	s_waitcnt lgkmcnt(0)
	v_mul_f32_e32 v26, v21, v24
	v_mul_f32_e32 v25, v22, v24
	v_fma_f32 v24, v22, v23, -v26
	v_fmac_f32_e32 v25, v21, v23
	v_mov_b32_e32 v22, v24
	v_mov_b32_e32 v21, v25
	ds_write_b64 v8, v[24:25]
.LBB154_633:
	s_or_b64 exec, exec, s[14:15]
	s_waitcnt lgkmcnt(0)
	s_barrier
	s_and_saveexec_b64 s[14:15], s[44:45]
	s_cbranch_execz .LBB154_635
; %bb.634:
	v_mov_b32_e32 v23, 0
	ds_read_b64 v[23:24], v23 offset:19768
	ds_read_b64 v[25:26], v8
	s_waitcnt lgkmcnt(0)
	v_mul_f32_e32 v27, v26, v24
	v_mul_f32_e32 v24, v25, v24
	v_fma_f32 v25, v25, v23, -v27
	v_fmac_f32_e32 v24, v26, v23
	v_add_f32_e32 v22, v22, v25
	v_add_f32_e32 v21, v21, v24
.LBB154_635:
	s_or_b64 exec, exec, s[14:15]
	s_barrier
	s_and_saveexec_b64 s[14:15], s[44:45]
	s_cbranch_execz .LBB154_637
; %bb.636:
	v_mov_b32_e32 v23, 0
	ds_read_b64 v[23:24], v23 offset:20280
	s_waitcnt lgkmcnt(0)
	v_mul_f32_e32 v26, v21, v24
	v_mul_f32_e32 v25, v22, v24
	v_fma_f32 v24, v22, v23, -v26
	v_fmac_f32_e32 v25, v21, v23
	v_mov_b32_e32 v22, v24
	v_mov_b32_e32 v21, v25
	ds_write_b64 v8, v[24:25]
.LBB154_637:
	s_or_b64 exec, exec, s[14:15]
	s_waitcnt lgkmcnt(0)
	s_barrier
	s_barrier
	s_and_saveexec_b64 s[14:15], s[18:19]
; %bb.638:
	v_xor_b32_e32 v22, 0x80000000, v22
	v_xor_b32_e32 v23, 0x80000000, v21
	ds_write_b64 v6, v[22:23] offset:16672
; %bb.639:
	s_or_b64 exec, exec, s[14:15]
	s_waitcnt lgkmcnt(0)
	s_barrier
	s_barrier
	s_and_saveexec_b64 s[14:15], vcc
	s_cbranch_execz .LBB154_641
; %bb.640:
	v_mov_b32_e32 v27, 0
	ds_read_b128 v[21:24], v27 offset:18720
	ds_read_b64 v[25:26], v27 offset:19240
	s_waitcnt lgkmcnt(0)
	v_mul_f32_e32 v28, v26, v22
	v_mul_f32_e32 v29, v25, v22
	v_fma_f32 v25, v25, v21, -v28
	v_fmac_f32_e32 v29, v26, v21
	v_mul_f32_e32 v21, v29, v24
	v_mul_f32_e32 v22, v25, v24
	v_fma_f32 v21, v25, v23, -v21
	v_fmac_f32_e32 v22, v29, v23
	ds_write_b64 v27, v[21:22] offset:18728
.LBB154_641:
	s_or_b64 exec, exec, s[14:15]
	v_mov_b32_e32 v21, 0
	v_mov_b32_e32 v22, 0
	s_waitcnt lgkmcnt(0)
	s_barrier
	s_and_saveexec_b64 s[16:17], s[6:7]
	s_cbranch_execz .LBB154_645
; %bb.642:
	v_mul_u32_u24_e32 v23, 0x208, v5
	ds_read_b64 v[21:22], v3 offset:18736
	ds_read_b64 v[23:24], v23 offset:18720
	v_cmp_gt_u32_e64 s[14:15], 2, v1
	s_waitcnt lgkmcnt(0)
	v_mul_f32_e32 v25, v24, v22
	v_mul_f32_e32 v22, v23, v22
	v_fma_f32 v23, v23, v21, -v25
	v_fmac_f32_e32 v22, v24, v21
	v_add_f32_e32 v21, 0, v23
	v_add_f32_e32 v23, 0, v22
	s_and_saveexec_b64 s[20:21], s[14:15]
	s_cbranch_execz .LBB154_644
; %bb.643:
	v_lshlrev_b32_e32 v22, 3, v0
	v_mov_b32_e32 v26, 0
	ds_read_b64 v[24:25], v22 offset:19248
	ds_read_b64 v[26:27], v26 offset:18728
	s_waitcnt lgkmcnt(0)
	v_mul_f32_e32 v22, v27, v25
	v_mul_f32_e32 v25, v26, v25
	v_fma_f32 v22, v26, v24, -v22
	v_fmac_f32_e32 v25, v27, v24
	v_add_f32_e32 v21, v21, v22
	v_add_f32_e32 v23, v23, v25
.LBB154_644:
	s_or_b64 exec, exec, s[20:21]
	v_xor_b32_e32 v22, 0x80000000, v21
	v_xor_b32_e32 v21, 0x80000000, v23
.LBB154_645:
	s_or_b64 exec, exec, s[16:17]
	s_and_saveexec_b64 s[14:15], s[42:43]
	s_cbranch_execz .LBB154_647
; %bb.646:
	v_mov_b32_e32 v23, 0
	ds_read_b64 v[23:24], v23 offset:19760
	s_waitcnt lgkmcnt(0)
	v_mul_f32_e32 v26, v21, v24
	v_mul_f32_e32 v25, v22, v24
	v_fma_f32 v24, v22, v23, -v26
	v_fmac_f32_e32 v25, v21, v23
	v_mov_b32_e32 v22, v24
	v_mov_b32_e32 v21, v25
	ds_write_b64 v4, v[24:25]
.LBB154_647:
	s_or_b64 exec, exec, s[14:15]
	s_waitcnt lgkmcnt(0)
	s_barrier
	s_and_saveexec_b64 s[14:15], s[40:41]
	s_cbranch_execz .LBB154_649
; %bb.648:
	v_mov_b32_e32 v23, 0
	ds_read_b64 v[23:24], v23 offset:19768
	ds_read_b64 v[25:26], v4
	s_waitcnt lgkmcnt(0)
	v_mul_f32_e32 v27, v26, v24
	v_mul_f32_e32 v24, v25, v24
	v_fma_f32 v25, v25, v23, -v27
	v_fmac_f32_e32 v24, v26, v23
	v_add_f32_e32 v22, v22, v25
	v_add_f32_e32 v21, v21, v24
.LBB154_649:
	s_or_b64 exec, exec, s[14:15]
	s_barrier
	s_and_saveexec_b64 s[14:15], s[40:41]
	s_cbranch_execz .LBB154_651
; %bb.650:
	v_mov_b32_e32 v23, 0
	ds_read_b64 v[23:24], v23 offset:20280
	s_waitcnt lgkmcnt(0)
	v_mul_f32_e32 v26, v21, v24
	v_mul_f32_e32 v25, v22, v24
	v_fma_f32 v24, v22, v23, -v26
	v_fmac_f32_e32 v25, v21, v23
	v_mov_b32_e32 v22, v24
	v_mov_b32_e32 v21, v25
	ds_write_b64 v4, v[24:25]
.LBB154_651:
	s_or_b64 exec, exec, s[14:15]
	s_waitcnt lgkmcnt(0)
	s_barrier
	s_barrier
	s_and_saveexec_b64 s[14:15], s[6:7]
; %bb.652:
	v_xor_b32_e32 v23, 0x80000000, v21
	v_xor_b32_e32 v22, 0x80000000, v22
	ds_write_b64 v3, v[22:23] offset:18736
; %bb.653:
	s_or_b64 exec, exec, s[14:15]
	s_waitcnt lgkmcnt(0)
	s_barrier
	s_barrier
	s_and_saveexec_b64 s[14:15], vcc
	s_cbranch_execz .LBB154_655
; %bb.654:
	v_mov_b32_e32 v27, 0
	ds_read_b128 v[21:24], v27 offset:19760
	ds_read_b64 v[25:26], v27 offset:20280
	s_waitcnt lgkmcnt(0)
	v_mul_f32_e32 v28, v26, v22
	v_mul_f32_e32 v29, v25, v22
	v_fma_f32 v25, v25, v21, -v28
	v_fmac_f32_e32 v29, v26, v21
	v_mul_f32_e32 v21, v29, v24
	v_mul_f32_e32 v22, v25, v24
	v_fma_f32 v21, v25, v23, -v21
	v_fmac_f32_e32 v22, v29, v23
	ds_write_b64 v27, v[21:22] offset:19768
.LBB154_655:
	s_or_b64 exec, exec, s[14:15]
	v_mov_b32_e32 v21, 0
	v_mov_b32_e32 v22, 0
	s_waitcnt lgkmcnt(0)
	s_barrier
	s_and_saveexec_b64 s[16:17], s[10:11]
	s_cbranch_execz .LBB154_665
; %bb.656:
	v_mul_u32_u24_e32 v22, 0x208, v15
	ds_read_b64 v[23:24], v11 offset:16704
	ds_read_b64 v[25:26], v22 offset:16640
	v_cmp_gt_u32_e64 s[14:15], 56, v1
	s_waitcnt lgkmcnt(0)
	v_mul_f32_e32 v21, v26, v24
	v_mul_f32_e32 v24, v25, v24
	v_fma_f32 v21, v25, v23, -v21
	v_fmac_f32_e32 v24, v26, v23
	v_add_f32_e32 v21, 0, v21
	v_add_f32_e32 v23, 0, v24
	s_and_saveexec_b64 s[20:21], s[14:15]
	s_cbranch_execnz .LBB154_1082
; %bb.657:
	s_or_b64 exec, exec, s[20:21]
	v_cmp_gt_u32_e64 s[14:15], 48, v1
	s_and_saveexec_b64 s[20:21], s[14:15]
	s_cbranch_execnz .LBB154_1083
.LBB154_658:
	s_or_b64 exec, exec, s[20:21]
	v_cmp_gt_u32_e64 s[14:15], 40, v1
	s_and_saveexec_b64 s[20:21], s[14:15]
	s_cbranch_execnz .LBB154_1084
.LBB154_659:
	s_or_b64 exec, exec, s[20:21]
	v_cmp_gt_u32_e64 s[14:15], 32, v1
	s_and_saveexec_b64 s[20:21], s[14:15]
	s_cbranch_execnz .LBB154_1085
.LBB154_660:
	s_or_b64 exec, exec, s[20:21]
	v_cmp_gt_u32_e64 s[14:15], 24, v1
	s_and_saveexec_b64 s[20:21], s[14:15]
	s_cbranch_execnz .LBB154_1086
.LBB154_661:
	s_or_b64 exec, exec, s[20:21]
	v_cmp_gt_u32_e64 s[14:15], 16, v1
	s_and_saveexec_b64 s[20:21], s[14:15]
	s_cbranch_execnz .LBB154_1087
.LBB154_662:
	s_or_b64 exec, exec, s[20:21]
	v_cmp_gt_u32_e64 s[14:15], 8, v1
	s_and_saveexec_b64 s[20:21], s[14:15]
	s_cbranch_execz .LBB154_664
.LBB154_663:
	v_lshlrev_b32_e32 v22, 3, v0
	v_mov_b32_e32 v26, 0
	ds_read_b64 v[24:25], v22 offset:20288
	ds_read_b64 v[26:27], v26 offset:16696
	s_waitcnt lgkmcnt(0)
	v_mul_f32_e32 v22, v27, v25
	v_mul_f32_e32 v25, v26, v25
	v_fma_f32 v22, v26, v24, -v22
	v_fmac_f32_e32 v25, v27, v24
	v_add_f32_e32 v21, v21, v22
	v_add_f32_e32 v23, v23, v25
.LBB154_664:
	s_or_b64 exec, exec, s[20:21]
	v_xor_b32_e32 v22, 0x80000000, v21
	v_xor_b32_e32 v21, 0x80000000, v23
.LBB154_665:
	s_or_b64 exec, exec, s[16:17]
	s_and_saveexec_b64 s[14:15], s[58:59]
	s_cbranch_execz .LBB154_667
; %bb.666:
	v_mov_b32_e32 v23, 0
	ds_read_b64 v[23:24], v23 offset:20800
	s_waitcnt lgkmcnt(0)
	v_mul_f32_e32 v26, v21, v24
	v_mul_f32_e32 v25, v22, v24
	v_fma_f32 v24, v22, v23, -v26
	v_fmac_f32_e32 v25, v21, v23
	v_mov_b32_e32 v22, v24
	v_mov_b32_e32 v21, v25
	ds_write_b64 v13, v[24:25]
.LBB154_667:
	s_or_b64 exec, exec, s[14:15]
	s_waitcnt lgkmcnt(0)
	s_barrier
	s_and_saveexec_b64 s[14:15], s[60:61]
	s_cbranch_execz .LBB154_669
; %bb.668:
	ds_read_b64 v[23:24], v12 offset:20800
	ds_read_b64 v[25:26], v13
	s_waitcnt lgkmcnt(0)
	v_mul_f32_e32 v27, v26, v24
	v_mul_f32_e32 v24, v25, v24
	v_fma_f32 v25, v25, v23, -v27
	v_fmac_f32_e32 v24, v26, v23
	v_add_f32_e32 v22, v22, v25
	v_add_f32_e32 v21, v21, v24
.LBB154_669:
	s_or_b64 exec, exec, s[14:15]
	s_barrier
	s_and_saveexec_b64 s[14:15], s[62:63]
	s_cbranch_execz .LBB154_671
; %bb.670:
	v_mov_b32_e32 v23, 0
	ds_read_b64 v[23:24], v23 offset:21320
	s_waitcnt lgkmcnt(0)
	v_mul_f32_e32 v26, v21, v24
	v_mul_f32_e32 v25, v22, v24
	v_fma_f32 v24, v22, v23, -v26
	v_fmac_f32_e32 v25, v21, v23
	v_mov_b32_e32 v22, v24
	v_mov_b32_e32 v21, v25
	ds_write_b64 v13, v[24:25]
.LBB154_671:
	s_or_b64 exec, exec, s[14:15]
	s_waitcnt lgkmcnt(0)
	s_barrier
	s_and_saveexec_b64 s[14:15], s[64:65]
	s_cbranch_execz .LBB154_673
; %bb.672:
	ds_read_b64 v[23:24], v12 offset:21312
	ds_read_b64 v[25:26], v13
	s_waitcnt lgkmcnt(0)
	v_mul_f32_e32 v27, v26, v24
	v_mul_f32_e32 v24, v25, v24
	v_fma_f32 v25, v25, v23, -v27
	v_fmac_f32_e32 v24, v26, v23
	v_add_f32_e32 v22, v22, v25
	v_add_f32_e32 v21, v21, v24
.LBB154_673:
	s_or_b64 exec, exec, s[14:15]
	s_barrier
	;; [unrolled: 32-line block ×6, first 2 shown]
	s_and_saveexec_b64 s[14:15], s[82:83]
	s_cbranch_execz .LBB154_691
; %bb.690:
	v_mov_b32_e32 v23, 0
	ds_read_b64 v[23:24], v23 offset:23920
	s_waitcnt lgkmcnt(0)
	v_mul_f32_e32 v26, v21, v24
	v_mul_f32_e32 v25, v22, v24
	v_fma_f32 v24, v22, v23, -v26
	v_fmac_f32_e32 v25, v21, v23
	v_mov_b32_e32 v22, v24
	v_mov_b32_e32 v21, v25
	ds_write_b64 v13, v[24:25]
.LBB154_691:
	s_or_b64 exec, exec, s[14:15]
	s_waitcnt lgkmcnt(0)
	s_barrier
	s_and_saveexec_b64 s[14:15], s[56:57]
	s_cbranch_execz .LBB154_693
; %bb.692:
	v_mov_b32_e32 v23, 0
	ds_read_b64 v[23:24], v23 offset:23928
	ds_read_b64 v[25:26], v13
	s_waitcnt lgkmcnt(0)
	v_mul_f32_e32 v27, v26, v24
	v_mul_f32_e32 v24, v25, v24
	v_fma_f32 v25, v25, v23, -v27
	v_fmac_f32_e32 v24, v26, v23
	v_add_f32_e32 v22, v22, v25
	v_add_f32_e32 v21, v21, v24
.LBB154_693:
	s_or_b64 exec, exec, s[14:15]
	s_barrier
	s_and_saveexec_b64 s[14:15], s[56:57]
	s_cbranch_execz .LBB154_695
; %bb.694:
	v_mov_b32_e32 v23, 0
	ds_read_b64 v[23:24], v23 offset:24440
	s_waitcnt lgkmcnt(0)
	v_mul_f32_e32 v26, v21, v24
	v_mul_f32_e32 v25, v22, v24
	v_fma_f32 v24, v22, v23, -v26
	v_fmac_f32_e32 v25, v21, v23
	v_mov_b32_e32 v22, v24
	v_mov_b32_e32 v21, v25
	ds_write_b64 v13, v[24:25]
.LBB154_695:
	s_or_b64 exec, exec, s[14:15]
	s_waitcnt lgkmcnt(0)
	s_barrier
	s_barrier
	s_and_saveexec_b64 s[14:15], s[10:11]
; %bb.696:
	v_xor_b32_e32 v23, 0x80000000, v21
	v_xor_b32_e32 v22, 0x80000000, v22
	ds_write_b64 v11, v[22:23] offset:16704
; %bb.697:
	s_or_b64 exec, exec, s[14:15]
	s_waitcnt lgkmcnt(0)
	s_barrier
	s_barrier
	s_and_saveexec_b64 s[14:15], vcc
	s_cbranch_execz .LBB154_699
; %bb.698:
	v_mov_b32_e32 v27, 0
	ds_read_b128 v[21:24], v27 offset:20800
	ds_read_b64 v[25:26], v27 offset:21320
	s_waitcnt lgkmcnt(0)
	v_mul_f32_e32 v28, v26, v22
	v_mul_f32_e32 v29, v25, v22
	v_fma_f32 v25, v25, v21, -v28
	v_fmac_f32_e32 v29, v26, v21
	v_mul_f32_e32 v21, v29, v24
	v_mul_f32_e32 v22, v25, v24
	v_fma_f32 v21, v25, v23, -v21
	v_fmac_f32_e32 v22, v29, v23
	ds_write_b64 v27, v[21:22] offset:20808
.LBB154_699:
	s_or_b64 exec, exec, s[14:15]
	v_mov_b32_e32 v21, 0
	v_mov_b32_e32 v22, 0
	s_waitcnt lgkmcnt(0)
	s_barrier
	s_and_saveexec_b64 s[16:17], s[6:7]
	s_cbranch_execz .LBB154_703
; %bb.700:
	v_mul_u32_u24_e32 v23, 0x208, v5
	ds_read_b64 v[21:22], v3 offset:20816
	ds_read_b64 v[23:24], v23 offset:20800
	v_cmp_gt_u32_e64 s[14:15], 2, v1
	s_waitcnt lgkmcnt(0)
	v_mul_f32_e32 v25, v24, v22
	v_mul_f32_e32 v22, v23, v22
	v_fma_f32 v23, v23, v21, -v25
	v_fmac_f32_e32 v22, v24, v21
	v_add_f32_e32 v21, 0, v23
	v_add_f32_e32 v23, 0, v22
	s_and_saveexec_b64 s[20:21], s[14:15]
	s_cbranch_execz .LBB154_702
; %bb.701:
	v_lshlrev_b32_e32 v22, 3, v0
	v_mov_b32_e32 v26, 0
	ds_read_b64 v[24:25], v22 offset:21328
	ds_read_b64 v[26:27], v26 offset:20808
	s_waitcnt lgkmcnt(0)
	v_mul_f32_e32 v22, v27, v25
	v_mul_f32_e32 v25, v26, v25
	v_fma_f32 v22, v26, v24, -v22
	v_fmac_f32_e32 v25, v27, v24
	v_add_f32_e32 v21, v21, v22
	v_add_f32_e32 v23, v23, v25
.LBB154_702:
	s_or_b64 exec, exec, s[20:21]
	v_xor_b32_e32 v22, 0x80000000, v21
	v_xor_b32_e32 v21, 0x80000000, v23
.LBB154_703:
	s_or_b64 exec, exec, s[16:17]
	s_and_saveexec_b64 s[14:15], s[42:43]
	s_cbranch_execz .LBB154_705
; %bb.704:
	v_mov_b32_e32 v23, 0
	ds_read_b64 v[23:24], v23 offset:21840
	s_waitcnt lgkmcnt(0)
	v_mul_f32_e32 v26, v21, v24
	v_mul_f32_e32 v25, v22, v24
	v_fma_f32 v24, v22, v23, -v26
	v_fmac_f32_e32 v25, v21, v23
	v_mov_b32_e32 v22, v24
	v_mov_b32_e32 v21, v25
	ds_write_b64 v4, v[24:25]
.LBB154_705:
	s_or_b64 exec, exec, s[14:15]
	s_waitcnt lgkmcnt(0)
	s_barrier
	s_and_saveexec_b64 s[14:15], s[40:41]
	s_cbranch_execz .LBB154_707
; %bb.706:
	v_mov_b32_e32 v23, 0
	ds_read_b64 v[23:24], v23 offset:21848
	ds_read_b64 v[25:26], v4
	s_waitcnt lgkmcnt(0)
	v_mul_f32_e32 v27, v26, v24
	v_mul_f32_e32 v24, v25, v24
	v_fma_f32 v25, v25, v23, -v27
	v_fmac_f32_e32 v24, v26, v23
	v_add_f32_e32 v22, v22, v25
	v_add_f32_e32 v21, v21, v24
.LBB154_707:
	s_or_b64 exec, exec, s[14:15]
	s_barrier
	s_and_saveexec_b64 s[14:15], s[40:41]
	s_cbranch_execz .LBB154_709
; %bb.708:
	v_mov_b32_e32 v23, 0
	ds_read_b64 v[23:24], v23 offset:22360
	s_waitcnt lgkmcnt(0)
	v_mul_f32_e32 v26, v21, v24
	v_mul_f32_e32 v25, v22, v24
	v_fma_f32 v24, v22, v23, -v26
	v_fmac_f32_e32 v25, v21, v23
	v_mov_b32_e32 v22, v24
	v_mov_b32_e32 v21, v25
	ds_write_b64 v4, v[24:25]
.LBB154_709:
	s_or_b64 exec, exec, s[14:15]
	s_waitcnt lgkmcnt(0)
	s_barrier
	s_barrier
	s_and_saveexec_b64 s[14:15], s[6:7]
; %bb.710:
	v_xor_b32_e32 v23, 0x80000000, v21
	v_xor_b32_e32 v22, 0x80000000, v22
	ds_write_b64 v3, v[22:23] offset:20816
; %bb.711:
	s_or_b64 exec, exec, s[14:15]
	s_waitcnt lgkmcnt(0)
	s_barrier
	s_barrier
	s_and_saveexec_b64 s[14:15], vcc
	s_cbranch_execz .LBB154_713
; %bb.712:
	v_mov_b32_e32 v27, 0
	ds_read_b128 v[21:24], v27 offset:21840
	ds_read_b64 v[25:26], v27 offset:22360
	s_waitcnt lgkmcnt(0)
	v_mul_f32_e32 v28, v26, v22
	v_mul_f32_e32 v29, v25, v22
	v_fma_f32 v25, v25, v21, -v28
	v_fmac_f32_e32 v29, v26, v21
	v_mul_f32_e32 v21, v29, v24
	v_mul_f32_e32 v22, v25, v24
	v_fma_f32 v21, v25, v23, -v21
	v_fmac_f32_e32 v22, v29, v23
	ds_write_b64 v27, v[21:22] offset:21848
.LBB154_713:
	s_or_b64 exec, exec, s[14:15]
	v_mov_b32_e32 v21, 0
	v_mov_b32_e32 v22, 0
	s_waitcnt lgkmcnt(0)
	s_barrier
	s_and_saveexec_b64 s[16:17], s[18:19]
	s_cbranch_execz .LBB154_719
; %bb.714:
	v_mul_u32_u24_e32 v22, 0x208, v10
	ds_read_b64 v[23:24], v6 offset:20832
	ds_read_b64 v[25:26], v22 offset:20800
	v_cmp_gt_u32_e64 s[14:15], 12, v1
	s_waitcnt lgkmcnt(0)
	v_mul_f32_e32 v21, v26, v24
	v_mul_f32_e32 v24, v25, v24
	v_fma_f32 v21, v25, v23, -v21
	v_fmac_f32_e32 v24, v26, v23
	v_add_f32_e32 v21, 0, v21
	v_add_f32_e32 v23, 0, v24
	s_and_saveexec_b64 s[20:21], s[14:15]
	s_cbranch_execnz .LBB154_1088
; %bb.715:
	s_or_b64 exec, exec, s[20:21]
	v_cmp_gt_u32_e64 s[14:15], 8, v1
	s_and_saveexec_b64 s[20:21], s[14:15]
	s_cbranch_execnz .LBB154_1089
.LBB154_716:
	s_or_b64 exec, exec, s[20:21]
	v_cmp_gt_u32_e64 s[14:15], 4, v1
	s_and_saveexec_b64 s[20:21], s[14:15]
	s_cbranch_execz .LBB154_718
.LBB154_717:
	v_lshlrev_b32_e32 v22, 3, v0
	v_mov_b32_e32 v26, 0
	ds_read_b64 v[24:25], v22 offset:22368
	ds_read_b64 v[26:27], v26 offset:20824
	s_waitcnt lgkmcnt(0)
	v_mul_f32_e32 v22, v27, v25
	v_mul_f32_e32 v25, v26, v25
	v_fma_f32 v22, v26, v24, -v22
	v_fmac_f32_e32 v25, v27, v24
	v_add_f32_e32 v21, v21, v22
	v_add_f32_e32 v23, v23, v25
.LBB154_718:
	s_or_b64 exec, exec, s[20:21]
	v_xor_b32_e32 v22, 0x80000000, v21
	v_xor_b32_e32 v21, 0x80000000, v23
.LBB154_719:
	s_or_b64 exec, exec, s[16:17]
	s_and_saveexec_b64 s[14:15], s[46:47]
	s_cbranch_execz .LBB154_721
; %bb.720:
	v_mov_b32_e32 v23, 0
	ds_read_b64 v[23:24], v23 offset:22880
	s_waitcnt lgkmcnt(0)
	v_mul_f32_e32 v26, v21, v24
	v_mul_f32_e32 v25, v22, v24
	v_fma_f32 v24, v22, v23, -v26
	v_fmac_f32_e32 v25, v21, v23
	v_mov_b32_e32 v22, v24
	v_mov_b32_e32 v21, v25
	ds_write_b64 v8, v[24:25]
.LBB154_721:
	s_or_b64 exec, exec, s[14:15]
	s_waitcnt lgkmcnt(0)
	s_barrier
	s_and_saveexec_b64 s[14:15], s[48:49]
	s_cbranch_execz .LBB154_723
; %bb.722:
	ds_read_b64 v[23:24], v7 offset:22880
	ds_read_b64 v[25:26], v8
	s_waitcnt lgkmcnt(0)
	v_mul_f32_e32 v27, v26, v24
	v_mul_f32_e32 v24, v25, v24
	v_fma_f32 v25, v25, v23, -v27
	v_fmac_f32_e32 v24, v26, v23
	v_add_f32_e32 v22, v22, v25
	v_add_f32_e32 v21, v21, v24
.LBB154_723:
	s_or_b64 exec, exec, s[14:15]
	s_barrier
	s_and_saveexec_b64 s[14:15], s[50:51]
	s_cbranch_execz .LBB154_725
; %bb.724:
	v_mov_b32_e32 v23, 0
	ds_read_b64 v[23:24], v23 offset:23400
	s_waitcnt lgkmcnt(0)
	v_mul_f32_e32 v26, v21, v24
	v_mul_f32_e32 v25, v22, v24
	v_fma_f32 v24, v22, v23, -v26
	v_fmac_f32_e32 v25, v21, v23
	v_mov_b32_e32 v22, v24
	v_mov_b32_e32 v21, v25
	ds_write_b64 v8, v[24:25]
.LBB154_725:
	s_or_b64 exec, exec, s[14:15]
	s_waitcnt lgkmcnt(0)
	s_barrier
	s_and_saveexec_b64 s[14:15], s[52:53]
	s_cbranch_execz .LBB154_727
; %bb.726:
	ds_read_b64 v[23:24], v7 offset:23392
	ds_read_b64 v[25:26], v8
	s_waitcnt lgkmcnt(0)
	v_mul_f32_e32 v27, v26, v24
	v_mul_f32_e32 v24, v25, v24
	v_fma_f32 v25, v25, v23, -v27
	v_fmac_f32_e32 v24, v26, v23
	v_add_f32_e32 v22, v22, v25
	v_add_f32_e32 v21, v21, v24
.LBB154_727:
	s_or_b64 exec, exec, s[14:15]
	s_barrier
	s_and_saveexec_b64 s[14:15], s[54:55]
	s_cbranch_execz .LBB154_729
; %bb.728:
	v_mov_b32_e32 v23, 0
	ds_read_b64 v[23:24], v23 offset:23920
	s_waitcnt lgkmcnt(0)
	v_mul_f32_e32 v26, v21, v24
	v_mul_f32_e32 v25, v22, v24
	v_fma_f32 v24, v22, v23, -v26
	v_fmac_f32_e32 v25, v21, v23
	v_mov_b32_e32 v22, v24
	v_mov_b32_e32 v21, v25
	ds_write_b64 v8, v[24:25]
.LBB154_729:
	s_or_b64 exec, exec, s[14:15]
	s_waitcnt lgkmcnt(0)
	s_barrier
	s_and_saveexec_b64 s[14:15], s[44:45]
	s_cbranch_execz .LBB154_731
; %bb.730:
	v_mov_b32_e32 v23, 0
	ds_read_b64 v[23:24], v23 offset:23928
	ds_read_b64 v[25:26], v8
	s_waitcnt lgkmcnt(0)
	v_mul_f32_e32 v27, v26, v24
	v_mul_f32_e32 v24, v25, v24
	v_fma_f32 v25, v25, v23, -v27
	v_fmac_f32_e32 v24, v26, v23
	v_add_f32_e32 v22, v22, v25
	v_add_f32_e32 v21, v21, v24
.LBB154_731:
	s_or_b64 exec, exec, s[14:15]
	s_barrier
	s_and_saveexec_b64 s[14:15], s[44:45]
	s_cbranch_execz .LBB154_733
; %bb.732:
	v_mov_b32_e32 v23, 0
	ds_read_b64 v[23:24], v23 offset:24440
	s_waitcnt lgkmcnt(0)
	v_mul_f32_e32 v26, v21, v24
	v_mul_f32_e32 v25, v22, v24
	v_fma_f32 v24, v22, v23, -v26
	v_fmac_f32_e32 v25, v21, v23
	v_mov_b32_e32 v22, v24
	v_mov_b32_e32 v21, v25
	ds_write_b64 v8, v[24:25]
.LBB154_733:
	s_or_b64 exec, exec, s[14:15]
	s_waitcnt lgkmcnt(0)
	s_barrier
	s_barrier
	s_and_saveexec_b64 s[14:15], s[18:19]
; %bb.734:
	v_xor_b32_e32 v22, 0x80000000, v22
	v_xor_b32_e32 v23, 0x80000000, v21
	ds_write_b64 v6, v[22:23] offset:20832
; %bb.735:
	s_or_b64 exec, exec, s[14:15]
	s_waitcnt lgkmcnt(0)
	s_barrier
	s_barrier
	s_and_saveexec_b64 s[14:15], vcc
	s_cbranch_execz .LBB154_737
; %bb.736:
	v_mov_b32_e32 v27, 0
	ds_read_b128 v[21:24], v27 offset:22880
	ds_read_b64 v[25:26], v27 offset:23400
	s_waitcnt lgkmcnt(0)
	v_mul_f32_e32 v28, v26, v22
	v_mul_f32_e32 v29, v25, v22
	v_fma_f32 v25, v25, v21, -v28
	v_fmac_f32_e32 v29, v26, v21
	v_mul_f32_e32 v21, v29, v24
	v_mul_f32_e32 v22, v25, v24
	v_fma_f32 v21, v25, v23, -v21
	v_fmac_f32_e32 v22, v29, v23
	ds_write_b64 v27, v[21:22] offset:22888
.LBB154_737:
	s_or_b64 exec, exec, s[14:15]
	v_mov_b32_e32 v21, 0
	v_mov_b32_e32 v22, 0
	s_waitcnt lgkmcnt(0)
	s_barrier
	s_and_saveexec_b64 s[16:17], s[6:7]
	s_cbranch_execz .LBB154_741
; %bb.738:
	v_mul_u32_u24_e32 v23, 0x208, v5
	ds_read_b64 v[21:22], v3 offset:22896
	ds_read_b64 v[23:24], v23 offset:22880
	v_cmp_gt_u32_e64 s[14:15], 2, v1
	s_waitcnt lgkmcnt(0)
	v_mul_f32_e32 v25, v24, v22
	v_mul_f32_e32 v22, v23, v22
	v_fma_f32 v23, v23, v21, -v25
	v_fmac_f32_e32 v22, v24, v21
	v_add_f32_e32 v21, 0, v23
	v_add_f32_e32 v23, 0, v22
	s_and_saveexec_b64 s[20:21], s[14:15]
	s_cbranch_execz .LBB154_740
; %bb.739:
	v_lshlrev_b32_e32 v22, 3, v0
	v_mov_b32_e32 v26, 0
	ds_read_b64 v[24:25], v22 offset:23408
	ds_read_b64 v[26:27], v26 offset:22888
	s_waitcnt lgkmcnt(0)
	v_mul_f32_e32 v22, v27, v25
	v_mul_f32_e32 v25, v26, v25
	v_fma_f32 v22, v26, v24, -v22
	v_fmac_f32_e32 v25, v27, v24
	v_add_f32_e32 v21, v21, v22
	v_add_f32_e32 v23, v23, v25
.LBB154_740:
	s_or_b64 exec, exec, s[20:21]
	v_xor_b32_e32 v22, 0x80000000, v21
	v_xor_b32_e32 v21, 0x80000000, v23
.LBB154_741:
	s_or_b64 exec, exec, s[16:17]
	s_and_saveexec_b64 s[14:15], s[42:43]
	s_cbranch_execz .LBB154_743
; %bb.742:
	v_mov_b32_e32 v23, 0
	ds_read_b64 v[23:24], v23 offset:23920
	s_waitcnt lgkmcnt(0)
	v_mul_f32_e32 v26, v21, v24
	v_mul_f32_e32 v25, v22, v24
	v_fma_f32 v24, v22, v23, -v26
	v_fmac_f32_e32 v25, v21, v23
	v_mov_b32_e32 v22, v24
	v_mov_b32_e32 v21, v25
	ds_write_b64 v4, v[24:25]
.LBB154_743:
	s_or_b64 exec, exec, s[14:15]
	s_waitcnt lgkmcnt(0)
	s_barrier
	s_and_saveexec_b64 s[14:15], s[40:41]
	s_cbranch_execz .LBB154_745
; %bb.744:
	v_mov_b32_e32 v23, 0
	ds_read_b64 v[23:24], v23 offset:23928
	ds_read_b64 v[25:26], v4
	s_waitcnt lgkmcnt(0)
	v_mul_f32_e32 v27, v26, v24
	v_mul_f32_e32 v24, v25, v24
	v_fma_f32 v25, v25, v23, -v27
	v_fmac_f32_e32 v24, v26, v23
	v_add_f32_e32 v22, v22, v25
	v_add_f32_e32 v21, v21, v24
.LBB154_745:
	s_or_b64 exec, exec, s[14:15]
	s_barrier
	s_and_saveexec_b64 s[14:15], s[40:41]
	s_cbranch_execz .LBB154_747
; %bb.746:
	v_mov_b32_e32 v23, 0
	ds_read_b64 v[23:24], v23 offset:24440
	s_waitcnt lgkmcnt(0)
	v_mul_f32_e32 v26, v21, v24
	v_mul_f32_e32 v25, v22, v24
	v_fma_f32 v24, v22, v23, -v26
	v_fmac_f32_e32 v25, v21, v23
	v_mov_b32_e32 v22, v24
	v_mov_b32_e32 v21, v25
	ds_write_b64 v4, v[24:25]
.LBB154_747:
	s_or_b64 exec, exec, s[14:15]
	s_waitcnt lgkmcnt(0)
	s_barrier
	s_barrier
	s_and_saveexec_b64 s[14:15], s[6:7]
; %bb.748:
	v_xor_b32_e32 v23, 0x80000000, v21
	v_xor_b32_e32 v22, 0x80000000, v22
	ds_write_b64 v3, v[22:23] offset:22896
; %bb.749:
	s_or_b64 exec, exec, s[14:15]
	s_waitcnt lgkmcnt(0)
	s_barrier
	s_barrier
	s_and_saveexec_b64 s[14:15], vcc
	s_cbranch_execz .LBB154_751
; %bb.750:
	v_mov_b32_e32 v27, 0
	ds_read_b128 v[21:24], v27 offset:23920
	ds_read_b64 v[25:26], v27 offset:24440
	s_waitcnt lgkmcnt(0)
	v_mul_f32_e32 v28, v26, v22
	v_mul_f32_e32 v29, v25, v22
	v_fma_f32 v25, v25, v21, -v28
	v_fmac_f32_e32 v29, v26, v21
	v_mul_f32_e32 v21, v29, v24
	v_mul_f32_e32 v22, v25, v24
	v_fma_f32 v21, v25, v23, -v21
	v_fmac_f32_e32 v22, v29, v23
	ds_write_b64 v27, v[21:22] offset:23928
.LBB154_751:
	s_or_b64 exec, exec, s[14:15]
	v_mov_b32_e32 v21, 0
	v_mov_b32_e32 v22, 0
	s_waitcnt lgkmcnt(0)
	s_barrier
	s_and_saveexec_b64 s[16:17], s[12:13]
	s_cbranch_execz .LBB154_779
; %bb.752:
	v_mul_u32_u24_e32 v22, 0x208, v20
	ds_read_b64 v[23:24], v16 offset:16768
	ds_read_b64 v[25:26], v22 offset:16640
	s_movk_i32 s14, 0xf0
	v_cmp_gt_u32_e64 s[14:15], s14, v1
	s_waitcnt lgkmcnt(0)
	v_mul_f32_e32 v21, v26, v24
	v_mul_f32_e32 v24, v25, v24
	v_fma_f32 v21, v25, v23, -v21
	v_fmac_f32_e32 v24, v26, v23
	v_add_f32_e32 v21, 0, v21
	v_add_f32_e32 v23, 0, v24
	s_and_saveexec_b64 s[20:21], s[14:15]
	s_cbranch_execz .LBB154_754
; %bb.753:
	v_lshlrev_b32_e32 v24, 3, v20
	v_sub_u32_e32 v24, v22, v24
	v_lshl_add_u32 v24, v17, 3, v24
	ds_read_b64 v[24:25], v24 offset:17280
	ds_read_b64 v[26:27], v22 offset:16648
	s_waitcnt lgkmcnt(0)
	v_mul_f32_e32 v28, v27, v25
	v_mul_f32_e32 v25, v26, v25
	v_fma_f32 v26, v26, v24, -v28
	v_fmac_f32_e32 v25, v27, v24
	v_add_f32_e32 v21, v21, v26
	v_add_f32_e32 v23, v23, v25
.LBB154_754:
	s_or_b64 exec, exec, s[20:21]
	s_movk_i32 s14, 0xe0
	v_cmp_gt_u32_e64 s[14:15], s14, v1
	s_and_saveexec_b64 s[20:21], s[14:15]
	s_cbranch_execz .LBB154_756
; %bb.755:
	v_lshlrev_b32_e32 v24, 3, v20
	v_sub_u32_e32 v24, v22, v24
	v_lshl_add_u32 v24, v17, 3, v24
	ds_read_b64 v[24:25], v24 offset:17792
	ds_read_b64 v[26:27], v22 offset:16656
	s_waitcnt lgkmcnt(0)
	v_mul_f32_e32 v28, v27, v25
	v_mul_f32_e32 v25, v26, v25
	v_fma_f32 v26, v26, v24, -v28
	v_fmac_f32_e32 v25, v27, v24
	v_add_f32_e32 v21, v21, v26
	v_add_f32_e32 v23, v23, v25
.LBB154_756:
	s_or_b64 exec, exec, s[20:21]
	s_movk_i32 s14, 0xd0
	v_cmp_gt_u32_e64 s[14:15], s14, v1
	;; [unrolled: 19-line block ×6, first 2 shown]
	s_and_saveexec_b64 s[20:21], s[14:15]
	s_cbranch_execz .LBB154_766
; %bb.765:
	v_lshlrev_b32_e32 v20, 3, v17
	v_lshl_add_u32 v20, v19, 3, v20
	ds_read_b64 v[24:25], v20 offset:20352
	ds_read_b64 v[26:27], v22 offset:16696
	s_waitcnt lgkmcnt(0)
	v_mul_f32_e32 v20, v27, v25
	v_mul_f32_e32 v25, v26, v25
	v_fma_f32 v20, v26, v24, -v20
	v_fmac_f32_e32 v25, v27, v24
	v_add_f32_e32 v21, v21, v20
	v_add_f32_e32 v23, v23, v25
.LBB154_766:
	s_or_b64 exec, exec, s[20:21]
	s_movk_i32 s14, 0x80
	v_cmp_gt_u32_e64 s[14:15], s14, v1
	s_and_saveexec_b64 s[20:21], s[14:15]
	s_cbranch_execz .LBB154_768
; %bb.767:
	ds_read_b64 v[24:25], v16 offset:20864
	ds_read_b64 v[26:27], v22 offset:16704
	s_waitcnt lgkmcnt(0)
	v_mul_f32_e32 v20, v27, v25
	v_mul_f32_e32 v25, v26, v25
	v_fma_f32 v20, v26, v24, -v20
	v_fmac_f32_e32 v25, v27, v24
	v_add_f32_e32 v21, v21, v20
	v_add_f32_e32 v23, v23, v25
.LBB154_768:
	s_or_b64 exec, exec, s[20:21]
	s_movk_i32 s14, 0x70
	v_cmp_gt_u32_e64 s[14:15], s14, v1
	s_and_saveexec_b64 s[20:21], s[14:15]
	s_cbranch_execz .LBB154_770
; %bb.769:
	v_lshlrev_b32_e32 v20, 3, v17
	v_lshl_add_u32 v20, v19, 3, v20
	ds_read_b64 v[24:25], v20 offset:21376
	ds_read_b64 v[26:27], v22 offset:16712
	s_waitcnt lgkmcnt(0)
	v_mul_f32_e32 v20, v27, v25
	v_mul_f32_e32 v25, v26, v25
	v_fma_f32 v20, v26, v24, -v20
	v_fmac_f32_e32 v25, v27, v24
	v_add_f32_e32 v21, v21, v20
	v_add_f32_e32 v23, v23, v25
.LBB154_770:
	s_or_b64 exec, exec, s[20:21]
	s_movk_i32 s14, 0x60
	v_cmp_gt_u32_e64 s[14:15], s14, v1
	s_and_saveexec_b64 s[20:21], s[14:15]
	s_cbranch_execz .LBB154_772
; %bb.771:
	v_lshlrev_b32_e32 v20, 3, v17
	v_lshl_add_u32 v20, v19, 3, v20
	ds_read_b64 v[24:25], v20 offset:21888
	ds_read_b64 v[26:27], v22 offset:16720
	s_waitcnt lgkmcnt(0)
	v_mul_f32_e32 v20, v27, v25
	v_mul_f32_e32 v25, v26, v25
	v_fma_f32 v20, v26, v24, -v20
	v_fmac_f32_e32 v25, v27, v24
	v_add_f32_e32 v21, v21, v20
	v_add_f32_e32 v23, v23, v25
.LBB154_772:
	s_or_b64 exec, exec, s[20:21]
	s_movk_i32 s14, 0x50
	v_cmp_gt_u32_e64 s[14:15], s14, v1
	s_and_saveexec_b64 s[20:21], s[14:15]
	s_cbranch_execnz .LBB154_1090
; %bb.773:
	s_or_b64 exec, exec, s[20:21]
	v_cmp_gt_u32_e64 s[14:15], 64, v1
	s_and_saveexec_b64 s[20:21], s[14:15]
	s_cbranch_execnz .LBB154_1091
.LBB154_774:
	s_or_b64 exec, exec, s[20:21]
	v_cmp_gt_u32_e64 s[14:15], 48, v1
	s_and_saveexec_b64 s[20:21], s[14:15]
	s_cbranch_execnz .LBB154_1092
.LBB154_775:
	s_or_b64 exec, exec, s[20:21]
	v_cmp_gt_u32_e64 s[14:15], 32, v1
	s_and_saveexec_b64 s[20:21], s[14:15]
	s_cbranch_execnz .LBB154_1093
.LBB154_776:
	s_or_b64 exec, exec, s[20:21]
	v_cmp_gt_u32_e64 s[14:15], 16, v1
	s_and_saveexec_b64 s[20:21], s[14:15]
	s_cbranch_execz .LBB154_778
.LBB154_777:
	v_lshlrev_b32_e32 v19, 3, v0
	v_mov_b32_e32 v22, 0
	ds_read_b64 v[19:20], v19 offset:24448
	ds_read_b64 v[24:25], v22 offset:16760
	s_waitcnt lgkmcnt(0)
	v_mul_f32_e32 v22, v25, v20
	v_mul_f32_e32 v20, v24, v20
	v_fma_f32 v22, v24, v19, -v22
	v_fmac_f32_e32 v20, v25, v19
	v_add_f32_e32 v21, v21, v22
	v_add_f32_e32 v23, v23, v20
.LBB154_778:
	s_or_b64 exec, exec, s[20:21]
	v_xor_b32_e32 v22, 0x80000000, v21
	v_xor_b32_e32 v21, 0x80000000, v23
.LBB154_779:
	s_or_b64 exec, exec, s[16:17]
	s_mov_b64 s[14:15], exec
	v_readlane_b32 s16, v34, 5
	v_readlane_b32 s17, v34, 6
	s_and_b64 s[16:17], s[14:15], s[16:17]
	s_mov_b64 exec, s[16:17]
	s_cbranch_execz .LBB154_781
; %bb.780:
	v_mov_b32_e32 v19, 0
	ds_read_b64 v[19:20], v19 offset:24960
	s_waitcnt lgkmcnt(0)
	v_mul_f32_e32 v23, v22, v20
	v_mul_f32_e32 v24, v21, v20
	v_fmac_f32_e32 v23, v21, v19
	v_fma_f32 v22, v22, v19, -v24
	v_mov_b32_e32 v21, v23
	ds_write_b64 v18, v[22:23]
.LBB154_781:
	s_or_b64 exec, exec, s[14:15]
	s_waitcnt lgkmcnt(0)
	s_barrier
	s_mov_b64 s[14:15], exec
	v_readlane_b32 s16, v34, 7
	v_readlane_b32 s17, v34, 8
	s_and_b64 s[16:17], s[14:15], s[16:17]
	s_mov_b64 exec, s[16:17]
	s_cbranch_execz .LBB154_783
; %bb.782:
	v_lshlrev_b32_e32 v19, 3, v17
	ds_read_b64 v[19:20], v19 offset:24960
	ds_read_b64 v[23:24], v18
	s_waitcnt lgkmcnt(0)
	v_mul_f32_e32 v25, v24, v20
	v_mul_f32_e32 v20, v23, v20
	v_fma_f32 v23, v23, v19, -v25
	v_fmac_f32_e32 v20, v24, v19
	v_add_f32_e32 v22, v22, v23
	v_add_f32_e32 v21, v21, v20
.LBB154_783:
	s_or_b64 exec, exec, s[14:15]
	s_barrier
	s_mov_b64 s[14:15], exec
	v_readlane_b32 s16, v34, 9
	v_readlane_b32 s17, v34, 10
	s_and_b64 s[16:17], s[14:15], s[16:17]
	s_mov_b64 exec, s[16:17]
	s_cbranch_execz .LBB154_785
; %bb.784:
	v_mov_b32_e32 v19, 0
	ds_read_b64 v[19:20], v19 offset:25480
	s_waitcnt lgkmcnt(0)
	v_mul_f32_e32 v23, v22, v20
	v_mul_f32_e32 v24, v21, v20
	v_fmac_f32_e32 v23, v21, v19
	v_fma_f32 v22, v22, v19, -v24
	v_mov_b32_e32 v21, v23
	ds_write_b64 v18, v[22:23]
.LBB154_785:
	s_or_b64 exec, exec, s[14:15]
	s_waitcnt lgkmcnt(0)
	s_barrier
	s_mov_b64 s[14:15], exec
	v_readlane_b32 s16, v34, 11
	v_readlane_b32 s17, v34, 12
	s_and_b64 s[16:17], s[14:15], s[16:17]
	s_mov_b64 exec, s[16:17]
	s_cbranch_execz .LBB154_787
; %bb.786:
	v_lshlrev_b32_e32 v19, 3, v17
	ds_read_b64 v[19:20], v19 offset:25472
	ds_read_b64 v[23:24], v18
	s_waitcnt lgkmcnt(0)
	v_mul_f32_e32 v25, v24, v20
	v_mul_f32_e32 v20, v23, v20
	v_fma_f32 v23, v23, v19, -v25
	v_fmac_f32_e32 v20, v24, v19
	v_add_f32_e32 v22, v22, v23
	v_add_f32_e32 v21, v21, v20
.LBB154_787:
	s_or_b64 exec, exec, s[14:15]
	s_barrier
	s_mov_b64 s[14:15], exec
	v_readlane_b32 s16, v34, 13
	v_readlane_b32 s17, v34, 14
	s_and_b64 s[16:17], s[14:15], s[16:17]
	s_mov_b64 exec, s[16:17]
	s_cbranch_execz .LBB154_789
; %bb.788:
	v_mov_b32_e32 v19, 0
	ds_read_b64 v[19:20], v19 offset:26000
	s_waitcnt lgkmcnt(0)
	v_mul_f32_e32 v23, v22, v20
	v_mul_f32_e32 v24, v21, v20
	v_fmac_f32_e32 v23, v21, v19
	v_fma_f32 v22, v22, v19, -v24
	v_mov_b32_e32 v21, v23
	ds_write_b64 v18, v[22:23]
.LBB154_789:
	s_or_b64 exec, exec, s[14:15]
	s_waitcnt lgkmcnt(0)
	s_barrier
	s_mov_b64 s[14:15], exec
	v_readlane_b32 s16, v34, 15
	v_readlane_b32 s17, v34, 16
	s_and_b64 s[16:17], s[14:15], s[16:17]
	s_mov_b64 exec, s[16:17]
	s_cbranch_execz .LBB154_791
; %bb.790:
	v_lshlrev_b32_e32 v19, 3, v17
	ds_read_b64 v[19:20], v19 offset:25984
	ds_read_b64 v[23:24], v18
	s_waitcnt lgkmcnt(0)
	v_mul_f32_e32 v25, v24, v20
	v_mul_f32_e32 v20, v23, v20
	v_fma_f32 v23, v23, v19, -v25
	v_fmac_f32_e32 v20, v24, v19
	v_add_f32_e32 v22, v22, v23
	v_add_f32_e32 v21, v21, v20
.LBB154_791:
	s_or_b64 exec, exec, s[14:15]
	s_barrier
	s_mov_b64 s[14:15], exec
	v_readlane_b32 s16, v34, 17
	v_readlane_b32 s17, v34, 18
	s_and_b64 s[16:17], s[14:15], s[16:17]
	s_mov_b64 exec, s[16:17]
	s_cbranch_execz .LBB154_793
; %bb.792:
	v_mov_b32_e32 v19, 0
	ds_read_b64 v[19:20], v19 offset:26520
	s_waitcnt lgkmcnt(0)
	v_mul_f32_e32 v23, v22, v20
	v_mul_f32_e32 v24, v21, v20
	v_fmac_f32_e32 v23, v21, v19
	v_fma_f32 v22, v22, v19, -v24
	v_mov_b32_e32 v21, v23
	ds_write_b64 v18, v[22:23]
.LBB154_793:
	s_or_b64 exec, exec, s[14:15]
	s_waitcnt lgkmcnt(0)
	s_barrier
	s_mov_b64 s[14:15], exec
	v_readlane_b32 s16, v34, 19
	v_readlane_b32 s17, v34, 20
	s_and_b64 s[16:17], s[14:15], s[16:17]
	s_mov_b64 exec, s[16:17]
	s_cbranch_execz .LBB154_795
; %bb.794:
	v_lshlrev_b32_e32 v19, 3, v17
	ds_read_b64 v[19:20], v19 offset:26496
	ds_read_b64 v[23:24], v18
	s_waitcnt lgkmcnt(0)
	v_mul_f32_e32 v25, v24, v20
	v_mul_f32_e32 v20, v23, v20
	v_fma_f32 v23, v23, v19, -v25
	v_fmac_f32_e32 v20, v24, v19
	v_add_f32_e32 v22, v22, v23
	v_add_f32_e32 v21, v21, v20
.LBB154_795:
	s_or_b64 exec, exec, s[14:15]
	s_barrier
	s_mov_b64 s[14:15], exec
	v_readlane_b32 s16, v34, 21
	v_readlane_b32 s17, v34, 22
	s_and_b64 s[16:17], s[14:15], s[16:17]
	s_mov_b64 exec, s[16:17]
	s_cbranch_execz .LBB154_797
; %bb.796:
	v_mov_b32_e32 v19, 0
	ds_read_b64 v[19:20], v19 offset:27040
	s_waitcnt lgkmcnt(0)
	v_mul_f32_e32 v23, v22, v20
	v_mul_f32_e32 v24, v21, v20
	v_fmac_f32_e32 v23, v21, v19
	v_fma_f32 v22, v22, v19, -v24
	v_mov_b32_e32 v21, v23
	ds_write_b64 v18, v[22:23]
.LBB154_797:
	s_or_b64 exec, exec, s[14:15]
	s_waitcnt lgkmcnt(0)
	s_barrier
	s_mov_b64 s[14:15], exec
	v_readlane_b32 s16, v34, 23
	v_readlane_b32 s17, v34, 24
	s_and_b64 s[16:17], s[14:15], s[16:17]
	s_mov_b64 exec, s[16:17]
	s_cbranch_execz .LBB154_799
; %bb.798:
	v_lshlrev_b32_e32 v19, 3, v17
	ds_read_b64 v[19:20], v19 offset:27008
	ds_read_b64 v[23:24], v18
	s_waitcnt lgkmcnt(0)
	v_mul_f32_e32 v25, v24, v20
	v_mul_f32_e32 v20, v23, v20
	v_fma_f32 v23, v23, v19, -v25
	v_fmac_f32_e32 v20, v24, v19
	v_add_f32_e32 v22, v22, v23
	v_add_f32_e32 v21, v21, v20
.LBB154_799:
	s_or_b64 exec, exec, s[14:15]
	s_barrier
	s_mov_b64 s[14:15], exec
	v_readlane_b32 s16, v34, 25
	v_readlane_b32 s17, v34, 26
	s_and_b64 s[16:17], s[14:15], s[16:17]
	s_mov_b64 exec, s[16:17]
	s_cbranch_execz .LBB154_801
; %bb.800:
	v_mov_b32_e32 v19, 0
	ds_read_b64 v[19:20], v19 offset:27560
	s_waitcnt lgkmcnt(0)
	v_mul_f32_e32 v23, v22, v20
	v_mul_f32_e32 v24, v21, v20
	v_fmac_f32_e32 v23, v21, v19
	v_fma_f32 v22, v22, v19, -v24
	v_mov_b32_e32 v21, v23
	ds_write_b64 v18, v[22:23]
.LBB154_801:
	s_or_b64 exec, exec, s[14:15]
	s_waitcnt lgkmcnt(0)
	s_barrier
	s_mov_b64 s[14:15], exec
	v_readlane_b32 s16, v34, 27
	v_readlane_b32 s17, v34, 28
	s_and_b64 s[16:17], s[14:15], s[16:17]
	s_mov_b64 exec, s[16:17]
	s_cbranch_execz .LBB154_803
; %bb.802:
	v_lshlrev_b32_e32 v19, 3, v17
	ds_read_b64 v[19:20], v19 offset:27520
	ds_read_b64 v[23:24], v18
	s_waitcnt lgkmcnt(0)
	v_mul_f32_e32 v25, v24, v20
	v_mul_f32_e32 v20, v23, v20
	v_fma_f32 v23, v23, v19, -v25
	v_fmac_f32_e32 v20, v24, v19
	v_add_f32_e32 v22, v22, v23
	v_add_f32_e32 v21, v21, v20
.LBB154_803:
	s_or_b64 exec, exec, s[14:15]
	s_barrier
	s_mov_b64 s[14:15], exec
	v_readlane_b32 s16, v34, 29
	v_readlane_b32 s17, v34, 30
	s_and_b64 s[16:17], s[14:15], s[16:17]
	s_mov_b64 exec, s[16:17]
	s_cbranch_execz .LBB154_805
; %bb.804:
	v_mov_b32_e32 v19, 0
	ds_read_b64 v[19:20], v19 offset:28080
	s_waitcnt lgkmcnt(0)
	v_mul_f32_e32 v23, v22, v20
	v_mul_f32_e32 v24, v21, v20
	v_fmac_f32_e32 v23, v21, v19
	v_fma_f32 v22, v22, v19, -v24
	v_mov_b32_e32 v21, v23
	ds_write_b64 v18, v[22:23]
.LBB154_805:
	s_or_b64 exec, exec, s[14:15]
	s_waitcnt lgkmcnt(0)
	s_barrier
	s_mov_b64 s[14:15], exec
	v_readlane_b32 s16, v34, 31
	v_readlane_b32 s17, v34, 32
	s_and_b64 s[16:17], s[14:15], s[16:17]
	s_mov_b64 exec, s[16:17]
	s_cbranch_execz .LBB154_807
; %bb.806:
	v_lshlrev_b32_e32 v19, 3, v17
	ds_read_b64 v[19:20], v19 offset:28032
	ds_read_b64 v[23:24], v18
	s_waitcnt lgkmcnt(0)
	v_mul_f32_e32 v25, v24, v20
	v_mul_f32_e32 v20, v23, v20
	v_fma_f32 v23, v23, v19, -v25
	v_fmac_f32_e32 v20, v24, v19
	v_add_f32_e32 v22, v22, v23
	v_add_f32_e32 v21, v21, v20
.LBB154_807:
	s_or_b64 exec, exec, s[14:15]
	s_barrier
	s_mov_b64 s[14:15], exec
	v_readlane_b32 s16, v34, 33
	v_readlane_b32 s17, v34, 34
	s_and_b64 s[16:17], s[14:15], s[16:17]
	s_mov_b64 exec, s[16:17]
	s_cbranch_execz .LBB154_809
; %bb.808:
	v_mov_b32_e32 v19, 0
	ds_read_b64 v[19:20], v19 offset:28600
	s_waitcnt lgkmcnt(0)
	v_mul_f32_e32 v23, v22, v20
	v_mul_f32_e32 v24, v21, v20
	v_fmac_f32_e32 v23, v21, v19
	v_fma_f32 v22, v22, v19, -v24
	v_mov_b32_e32 v21, v23
	ds_write_b64 v18, v[22:23]
.LBB154_809:
	s_or_b64 exec, exec, s[14:15]
	s_waitcnt lgkmcnt(0)
	s_barrier
	s_mov_b64 s[14:15], exec
	v_readlane_b32 s16, v34, 35
	v_readlane_b32 s17, v34, 36
	s_and_b64 s[16:17], s[14:15], s[16:17]
	s_mov_b64 exec, s[16:17]
	s_cbranch_execz .LBB154_811
; %bb.810:
	v_lshlrev_b32_e32 v19, 3, v17
	ds_read_b64 v[19:20], v19 offset:28544
	ds_read_b64 v[23:24], v18
	s_waitcnt lgkmcnt(0)
	v_mul_f32_e32 v25, v24, v20
	v_mul_f32_e32 v20, v23, v20
	v_fma_f32 v23, v23, v19, -v25
	v_fmac_f32_e32 v20, v24, v19
	v_add_f32_e32 v22, v22, v23
	v_add_f32_e32 v21, v21, v20
.LBB154_811:
	s_or_b64 exec, exec, s[14:15]
	s_barrier
	s_mov_b64 s[14:15], exec
	v_readlane_b32 s16, v34, 37
	v_readlane_b32 s17, v34, 38
	s_and_b64 s[16:17], s[14:15], s[16:17]
	s_mov_b64 exec, s[16:17]
	s_cbranch_execz .LBB154_813
; %bb.812:
	v_mov_b32_e32 v19, 0
	ds_read_b64 v[19:20], v19 offset:29120
	s_waitcnt lgkmcnt(0)
	v_mul_f32_e32 v23, v22, v20
	v_mul_f32_e32 v24, v21, v20
	v_fmac_f32_e32 v23, v21, v19
	v_fma_f32 v22, v22, v19, -v24
	v_mov_b32_e32 v21, v23
	ds_write_b64 v18, v[22:23]
.LBB154_813:
	s_or_b64 exec, exec, s[14:15]
	s_waitcnt lgkmcnt(0)
	s_barrier
	s_mov_b64 s[14:15], exec
	v_readlane_b32 s16, v34, 39
	v_readlane_b32 s17, v34, 40
	s_and_b64 s[16:17], s[14:15], s[16:17]
	s_mov_b64 exec, s[16:17]
	s_cbranch_execz .LBB154_815
; %bb.814:
	v_lshlrev_b32_e32 v19, 3, v17
	ds_read_b64 v[19:20], v19 offset:29056
	ds_read_b64 v[23:24], v18
	s_waitcnt lgkmcnt(0)
	v_mul_f32_e32 v25, v24, v20
	v_mul_f32_e32 v20, v23, v20
	v_fma_f32 v23, v23, v19, -v25
	v_fmac_f32_e32 v20, v24, v19
	v_add_f32_e32 v22, v22, v23
	v_add_f32_e32 v21, v21, v20
.LBB154_815:
	s_or_b64 exec, exec, s[14:15]
	s_barrier
	s_mov_b64 s[14:15], exec
	v_readlane_b32 s16, v34, 41
	v_readlane_b32 s17, v34, 42
	s_and_b64 s[16:17], s[14:15], s[16:17]
	s_mov_b64 exec, s[16:17]
	s_cbranch_execz .LBB154_817
; %bb.816:
	v_mov_b32_e32 v19, 0
	ds_read_b64 v[19:20], v19 offset:29640
	s_waitcnt lgkmcnt(0)
	v_mul_f32_e32 v23, v22, v20
	v_mul_f32_e32 v24, v21, v20
	v_fmac_f32_e32 v23, v21, v19
	v_fma_f32 v22, v22, v19, -v24
	v_mov_b32_e32 v21, v23
	ds_write_b64 v18, v[22:23]
.LBB154_817:
	s_or_b64 exec, exec, s[14:15]
	s_waitcnt lgkmcnt(0)
	s_barrier
	s_mov_b64 s[14:15], exec
	v_readlane_b32 s16, v34, 43
	v_readlane_b32 s17, v34, 44
	s_and_b64 s[16:17], s[14:15], s[16:17]
	s_mov_b64 exec, s[16:17]
	s_cbranch_execz .LBB154_819
; %bb.818:
	v_lshlrev_b32_e32 v19, 3, v17
	ds_read_b64 v[19:20], v19 offset:29568
	ds_read_b64 v[23:24], v18
	s_waitcnt lgkmcnt(0)
	v_mul_f32_e32 v25, v24, v20
	v_mul_f32_e32 v20, v23, v20
	v_fma_f32 v23, v23, v19, -v25
	v_fmac_f32_e32 v20, v24, v19
	v_add_f32_e32 v22, v22, v23
	v_add_f32_e32 v21, v21, v20
.LBB154_819:
	s_or_b64 exec, exec, s[14:15]
	s_barrier
	s_mov_b64 s[14:15], exec
	v_readlane_b32 s16, v34, 45
	v_readlane_b32 s17, v34, 46
	s_and_b64 s[16:17], s[14:15], s[16:17]
	s_mov_b64 exec, s[16:17]
	s_cbranch_execz .LBB154_821
; %bb.820:
	v_mov_b32_e32 v19, 0
	ds_read_b64 v[19:20], v19 offset:30160
	s_waitcnt lgkmcnt(0)
	v_mul_f32_e32 v23, v22, v20
	v_mul_f32_e32 v24, v21, v20
	v_fmac_f32_e32 v23, v21, v19
	v_fma_f32 v22, v22, v19, -v24
	v_mov_b32_e32 v21, v23
	ds_write_b64 v18, v[22:23]
.LBB154_821:
	s_or_b64 exec, exec, s[14:15]
	s_waitcnt lgkmcnt(0)
	s_barrier
	s_mov_b64 s[14:15], exec
	v_readlane_b32 s16, v34, 47
	v_readlane_b32 s17, v34, 48
	s_and_b64 s[16:17], s[14:15], s[16:17]
	s_mov_b64 exec, s[16:17]
	s_cbranch_execz .LBB154_823
; %bb.822:
	v_lshlrev_b32_e32 v19, 3, v17
	ds_read_b64 v[19:20], v19 offset:30080
	ds_read_b64 v[23:24], v18
	s_waitcnt lgkmcnt(0)
	v_mul_f32_e32 v25, v24, v20
	v_mul_f32_e32 v20, v23, v20
	v_fma_f32 v23, v23, v19, -v25
	v_fmac_f32_e32 v20, v24, v19
	v_add_f32_e32 v22, v22, v23
	v_add_f32_e32 v21, v21, v20
.LBB154_823:
	s_or_b64 exec, exec, s[14:15]
	s_barrier
	s_mov_b64 s[14:15], exec
	v_readlane_b32 s16, v34, 49
	v_readlane_b32 s17, v34, 50
	s_and_b64 s[16:17], s[14:15], s[16:17]
	s_mov_b64 exec, s[16:17]
	s_cbranch_execz .LBB154_825
; %bb.824:
	v_mov_b32_e32 v19, 0
	ds_read_b64 v[19:20], v19 offset:30680
	s_waitcnt lgkmcnt(0)
	v_mul_f32_e32 v23, v22, v20
	v_mul_f32_e32 v24, v21, v20
	v_fmac_f32_e32 v23, v21, v19
	v_fma_f32 v22, v22, v19, -v24
	v_mov_b32_e32 v21, v23
	ds_write_b64 v18, v[22:23]
.LBB154_825:
	s_or_b64 exec, exec, s[14:15]
	s_waitcnt lgkmcnt(0)
	s_barrier
	s_mov_b64 s[14:15], exec
	v_readlane_b32 s16, v34, 51
	v_readlane_b32 s17, v34, 52
	s_and_b64 s[16:17], s[14:15], s[16:17]
	s_mov_b64 exec, s[16:17]
	s_cbranch_execz .LBB154_827
; %bb.826:
	v_lshlrev_b32_e32 v19, 3, v17
	ds_read_b64 v[19:20], v19 offset:30592
	ds_read_b64 v[23:24], v18
	s_waitcnt lgkmcnt(0)
	v_mul_f32_e32 v25, v24, v20
	v_mul_f32_e32 v20, v23, v20
	v_fma_f32 v23, v23, v19, -v25
	v_fmac_f32_e32 v20, v24, v19
	v_add_f32_e32 v22, v22, v23
	v_add_f32_e32 v21, v21, v20
.LBB154_827:
	s_or_b64 exec, exec, s[14:15]
	s_barrier
	s_and_saveexec_b64 s[14:15], s[94:95]
	s_cbranch_execz .LBB154_829
; %bb.828:
	v_mov_b32_e32 v19, 0
	ds_read_b64 v[19:20], v19 offset:31200
	s_waitcnt lgkmcnt(0)
	v_mul_f32_e32 v23, v22, v20
	v_mul_f32_e32 v24, v21, v20
	v_fmac_f32_e32 v23, v21, v19
	v_fma_f32 v22, v22, v19, -v24
	v_mov_b32_e32 v21, v23
	ds_write_b64 v18, v[22:23]
.LBB154_829:
	s_or_b64 exec, exec, s[14:15]
	s_waitcnt lgkmcnt(0)
	s_barrier
	s_and_saveexec_b64 s[14:15], s[96:97]
	s_cbranch_execz .LBB154_831
; %bb.830:
	v_lshlrev_b32_e32 v19, 3, v17
	ds_read_b64 v[19:20], v19 offset:31104
	ds_read_b64 v[23:24], v18
	s_waitcnt lgkmcnt(0)
	v_mul_f32_e32 v25, v24, v20
	v_mul_f32_e32 v20, v23, v20
	v_fma_f32 v23, v23, v19, -v25
	v_fmac_f32_e32 v20, v24, v19
	v_add_f32_e32 v22, v22, v23
	v_add_f32_e32 v21, v21, v20
.LBB154_831:
	s_or_b64 exec, exec, s[14:15]
	s_barrier
	s_and_saveexec_b64 s[14:15], s[34:35]
	s_cbranch_execz .LBB154_833
; %bb.832:
	v_mov_b32_e32 v19, 0
	ds_read_b64 v[19:20], v19 offset:31720
	s_waitcnt lgkmcnt(0)
	v_mul_f32_e32 v23, v22, v20
	v_mul_f32_e32 v24, v21, v20
	v_fmac_f32_e32 v23, v21, v19
	v_fma_f32 v22, v22, v19, -v24
	v_mov_b32_e32 v21, v23
	ds_write_b64 v18, v[22:23]
.LBB154_833:
	s_or_b64 exec, exec, s[14:15]
	s_waitcnt lgkmcnt(0)
	s_barrier
	s_and_saveexec_b64 s[14:15], s[98:99]
	s_cbranch_execz .LBB154_835
; %bb.834:
	v_lshlrev_b32_e32 v17, 3, v17
	ds_read_b64 v[19:20], v17 offset:31616
	ds_read_b64 v[23:24], v18
	s_waitcnt lgkmcnt(0)
	v_mul_f32_e32 v17, v24, v20
	v_mul_f32_e32 v20, v23, v20
	v_fma_f32 v17, v23, v19, -v17
	v_fmac_f32_e32 v20, v24, v19
	v_add_f32_e32 v22, v22, v17
	v_add_f32_e32 v21, v21, v20
.LBB154_835:
	s_or_b64 exec, exec, s[14:15]
	s_barrier
	s_and_saveexec_b64 s[14:15], s[36:37]
	s_cbranch_execz .LBB154_837
; %bb.836:
	v_mov_b32_e32 v17, 0
	ds_read_b64 v[19:20], v17 offset:32240
	s_waitcnt lgkmcnt(0)
	v_mul_f32_e32 v23, v22, v20
	v_mul_f32_e32 v17, v21, v20
	v_fmac_f32_e32 v23, v21, v19
	v_fma_f32 v22, v22, v19, -v17
	v_mov_b32_e32 v21, v23
	ds_write_b64 v18, v[22:23]
.LBB154_837:
	s_or_b64 exec, exec, s[14:15]
	s_waitcnt lgkmcnt(0)
	s_barrier
	s_and_saveexec_b64 s[14:15], s[84:85]
	s_cbranch_execz .LBB154_839
; %bb.838:
	v_mov_b32_e32 v17, 0
	ds_read_b64 v[19:20], v17 offset:32248
	ds_read_b64 v[23:24], v18
	s_waitcnt lgkmcnt(0)
	v_mul_f32_e32 v17, v24, v20
	v_mul_f32_e32 v20, v23, v20
	v_fma_f32 v17, v23, v19, -v17
	v_fmac_f32_e32 v20, v24, v19
	v_add_f32_e32 v22, v22, v17
	v_add_f32_e32 v21, v21, v20
.LBB154_839:
	s_or_b64 exec, exec, s[14:15]
	s_barrier
	s_and_saveexec_b64 s[14:15], s[84:85]
	s_cbranch_execz .LBB154_841
; %bb.840:
	v_mov_b32_e32 v17, 0
	ds_read_b64 v[19:20], v17 offset:32760
	s_waitcnt lgkmcnt(0)
	v_mul_f32_e32 v23, v22, v20
	v_mul_f32_e32 v17, v21, v20
	v_fmac_f32_e32 v23, v21, v19
	v_fma_f32 v22, v22, v19, -v17
	v_mov_b32_e32 v21, v23
	ds_write_b64 v18, v[22:23]
.LBB154_841:
	s_or_b64 exec, exec, s[14:15]
	s_waitcnt lgkmcnt(0)
	s_barrier
	s_barrier
	s_and_saveexec_b64 s[14:15], s[12:13]
; %bb.842:
	v_xor_b32_e32 v17, 0x80000000, v22
	v_xor_b32_e32 v18, 0x80000000, v21
	ds_write_b64 v16, v[17:18] offset:16768
; %bb.843:
	s_or_b64 exec, exec, s[14:15]
	s_waitcnt lgkmcnt(0)
	s_barrier
	s_barrier
	s_and_saveexec_b64 s[12:13], vcc
	s_cbranch_execz .LBB154_845
; %bb.844:
	v_mov_b32_e32 v22, 0
	ds_read_b128 v[16:19], v22 offset:24960
	ds_read_b64 v[20:21], v22 offset:25480
	s_waitcnt lgkmcnt(0)
	v_mul_f32_e32 v23, v21, v17
	v_mul_f32_e32 v24, v20, v17
	v_fma_f32 v20, v20, v16, -v23
	v_fmac_f32_e32 v24, v21, v16
	v_mul_f32_e32 v16, v24, v19
	v_mul_f32_e32 v17, v20, v19
	v_fma_f32 v16, v20, v18, -v16
	v_fmac_f32_e32 v17, v24, v18
	ds_write_b64 v22, v[16:17] offset:24968
.LBB154_845:
	s_or_b64 exec, exec, s[12:13]
	v_mov_b32_e32 v16, 0
	v_mov_b32_e32 v17, 0
	s_waitcnt lgkmcnt(0)
	s_barrier
	s_and_saveexec_b64 s[14:15], s[6:7]
	s_cbranch_execz .LBB154_849
; %bb.846:
	v_mul_u32_u24_e32 v18, 0x208, v5
	ds_read_b64 v[16:17], v3 offset:24976
	ds_read_b64 v[18:19], v18 offset:24960
	v_cmp_gt_u32_e64 s[12:13], 2, v1
	s_waitcnt lgkmcnt(0)
	v_mul_f32_e32 v20, v19, v17
	v_mul_f32_e32 v17, v18, v17
	v_fma_f32 v18, v18, v16, -v20
	v_fmac_f32_e32 v17, v19, v16
	v_add_f32_e32 v16, 0, v18
	v_add_f32_e32 v18, 0, v17
	s_and_saveexec_b64 s[16:17], s[12:13]
	s_cbranch_execz .LBB154_848
; %bb.847:
	v_lshlrev_b32_e32 v17, 3, v0
	v_mov_b32_e32 v21, 0
	ds_read_b64 v[19:20], v17 offset:25488
	ds_read_b64 v[21:22], v21 offset:24968
	s_waitcnt lgkmcnt(0)
	v_mul_f32_e32 v17, v22, v20
	v_mul_f32_e32 v20, v21, v20
	v_fma_f32 v17, v21, v19, -v17
	v_fmac_f32_e32 v20, v22, v19
	v_add_f32_e32 v16, v16, v17
	v_add_f32_e32 v18, v18, v20
.LBB154_848:
	s_or_b64 exec, exec, s[16:17]
	v_xor_b32_e32 v17, 0x80000000, v16
	v_xor_b32_e32 v16, 0x80000000, v18
.LBB154_849:
	s_or_b64 exec, exec, s[14:15]
	s_and_saveexec_b64 s[12:13], s[42:43]
	s_cbranch_execz .LBB154_851
; %bb.850:
	v_mov_b32_e32 v18, 0
	ds_read_b64 v[18:19], v18 offset:26000
	s_waitcnt lgkmcnt(0)
	v_mul_f32_e32 v21, v16, v19
	v_mul_f32_e32 v20, v17, v19
	v_fma_f32 v19, v17, v18, -v21
	v_fmac_f32_e32 v20, v16, v18
	v_mov_b32_e32 v17, v19
	v_mov_b32_e32 v16, v20
	ds_write_b64 v4, v[19:20]
.LBB154_851:
	s_or_b64 exec, exec, s[12:13]
	s_waitcnt lgkmcnt(0)
	s_barrier
	s_and_saveexec_b64 s[12:13], s[40:41]
	s_cbranch_execz .LBB154_853
; %bb.852:
	v_mov_b32_e32 v18, 0
	ds_read_b64 v[18:19], v18 offset:26008
	ds_read_b64 v[20:21], v4
	s_waitcnt lgkmcnt(0)
	v_mul_f32_e32 v22, v21, v19
	v_mul_f32_e32 v19, v20, v19
	v_fma_f32 v20, v20, v18, -v22
	v_fmac_f32_e32 v19, v21, v18
	v_add_f32_e32 v17, v17, v20
	v_add_f32_e32 v16, v16, v19
.LBB154_853:
	s_or_b64 exec, exec, s[12:13]
	s_barrier
	s_and_saveexec_b64 s[12:13], s[40:41]
	s_cbranch_execz .LBB154_855
; %bb.854:
	v_mov_b32_e32 v18, 0
	ds_read_b64 v[18:19], v18 offset:26520
	s_waitcnt lgkmcnt(0)
	v_mul_f32_e32 v21, v16, v19
	v_mul_f32_e32 v20, v17, v19
	v_fma_f32 v19, v17, v18, -v21
	v_fmac_f32_e32 v20, v16, v18
	v_mov_b32_e32 v17, v19
	v_mov_b32_e32 v16, v20
	ds_write_b64 v4, v[19:20]
.LBB154_855:
	s_or_b64 exec, exec, s[12:13]
	s_waitcnt lgkmcnt(0)
	s_barrier
	s_barrier
	s_and_saveexec_b64 s[12:13], s[6:7]
; %bb.856:
	v_xor_b32_e32 v18, 0x80000000, v16
	v_xor_b32_e32 v17, 0x80000000, v17
	ds_write_b64 v3, v[17:18] offset:24976
; %bb.857:
	s_or_b64 exec, exec, s[12:13]
	s_waitcnt lgkmcnt(0)
	s_barrier
	s_barrier
	s_and_saveexec_b64 s[12:13], vcc
	s_cbranch_execz .LBB154_859
; %bb.858:
	v_mov_b32_e32 v22, 0
	ds_read_b128 v[16:19], v22 offset:26000
	ds_read_b64 v[20:21], v22 offset:26520
	s_waitcnt lgkmcnt(0)
	v_mul_f32_e32 v23, v21, v17
	v_mul_f32_e32 v24, v20, v17
	v_fma_f32 v20, v20, v16, -v23
	v_fmac_f32_e32 v24, v21, v16
	v_mul_f32_e32 v16, v24, v19
	v_mul_f32_e32 v17, v20, v19
	v_fma_f32 v16, v20, v18, -v16
	v_fmac_f32_e32 v17, v24, v18
	ds_write_b64 v22, v[16:17] offset:26008
.LBB154_859:
	s_or_b64 exec, exec, s[12:13]
	v_mov_b32_e32 v16, 0
	v_mov_b32_e32 v17, 0
	s_waitcnt lgkmcnt(0)
	s_barrier
	s_and_saveexec_b64 s[14:15], s[18:19]
	s_cbranch_execz .LBB154_865
; %bb.860:
	v_mul_u32_u24_e32 v17, 0x208, v10
	ds_read_b64 v[18:19], v6 offset:24992
	ds_read_b64 v[20:21], v17 offset:24960
	v_cmp_gt_u32_e64 s[12:13], 12, v1
	s_waitcnt lgkmcnt(0)
	v_mul_f32_e32 v16, v21, v19
	v_mul_f32_e32 v19, v20, v19
	v_fma_f32 v16, v20, v18, -v16
	v_fmac_f32_e32 v19, v21, v18
	v_add_f32_e32 v16, 0, v16
	v_add_f32_e32 v18, 0, v19
	s_and_saveexec_b64 s[16:17], s[12:13]
	s_cbranch_execnz .LBB154_1094
; %bb.861:
	s_or_b64 exec, exec, s[16:17]
	v_cmp_gt_u32_e64 s[12:13], 8, v1
	s_and_saveexec_b64 s[16:17], s[12:13]
	s_cbranch_execnz .LBB154_1095
.LBB154_862:
	s_or_b64 exec, exec, s[16:17]
	v_cmp_gt_u32_e64 s[12:13], 4, v1
	s_and_saveexec_b64 s[16:17], s[12:13]
	s_cbranch_execz .LBB154_864
.LBB154_863:
	v_lshlrev_b32_e32 v17, 3, v0
	v_mov_b32_e32 v21, 0
	ds_read_b64 v[19:20], v17 offset:26528
	ds_read_b64 v[21:22], v21 offset:24984
	s_waitcnt lgkmcnt(0)
	v_mul_f32_e32 v17, v22, v20
	v_mul_f32_e32 v20, v21, v20
	v_fma_f32 v17, v21, v19, -v17
	v_fmac_f32_e32 v20, v22, v19
	v_add_f32_e32 v16, v16, v17
	v_add_f32_e32 v18, v18, v20
.LBB154_864:
	s_or_b64 exec, exec, s[16:17]
	v_xor_b32_e32 v17, 0x80000000, v16
	v_xor_b32_e32 v16, 0x80000000, v18
.LBB154_865:
	s_or_b64 exec, exec, s[14:15]
	s_and_saveexec_b64 s[12:13], s[46:47]
	s_cbranch_execz .LBB154_867
; %bb.866:
	v_mov_b32_e32 v18, 0
	ds_read_b64 v[18:19], v18 offset:27040
	s_waitcnt lgkmcnt(0)
	v_mul_f32_e32 v21, v16, v19
	v_mul_f32_e32 v20, v17, v19
	v_fma_f32 v19, v17, v18, -v21
	v_fmac_f32_e32 v20, v16, v18
	v_mov_b32_e32 v17, v19
	v_mov_b32_e32 v16, v20
	ds_write_b64 v8, v[19:20]
.LBB154_867:
	s_or_b64 exec, exec, s[12:13]
	s_waitcnt lgkmcnt(0)
	s_barrier
	s_and_saveexec_b64 s[12:13], s[48:49]
	s_cbranch_execz .LBB154_869
; %bb.868:
	ds_read_b64 v[18:19], v7 offset:27040
	ds_read_b64 v[20:21], v8
	s_waitcnt lgkmcnt(0)
	v_mul_f32_e32 v22, v21, v19
	v_mul_f32_e32 v19, v20, v19
	v_fma_f32 v20, v20, v18, -v22
	v_fmac_f32_e32 v19, v21, v18
	v_add_f32_e32 v17, v17, v20
	v_add_f32_e32 v16, v16, v19
.LBB154_869:
	s_or_b64 exec, exec, s[12:13]
	s_barrier
	s_and_saveexec_b64 s[12:13], s[50:51]
	s_cbranch_execz .LBB154_871
; %bb.870:
	v_mov_b32_e32 v18, 0
	ds_read_b64 v[18:19], v18 offset:27560
	s_waitcnt lgkmcnt(0)
	v_mul_f32_e32 v21, v16, v19
	v_mul_f32_e32 v20, v17, v19
	v_fma_f32 v19, v17, v18, -v21
	v_fmac_f32_e32 v20, v16, v18
	v_mov_b32_e32 v17, v19
	v_mov_b32_e32 v16, v20
	ds_write_b64 v8, v[19:20]
.LBB154_871:
	s_or_b64 exec, exec, s[12:13]
	s_waitcnt lgkmcnt(0)
	s_barrier
	s_and_saveexec_b64 s[12:13], s[52:53]
	s_cbranch_execz .LBB154_873
; %bb.872:
	ds_read_b64 v[18:19], v7 offset:27552
	ds_read_b64 v[20:21], v8
	s_waitcnt lgkmcnt(0)
	v_mul_f32_e32 v22, v21, v19
	v_mul_f32_e32 v19, v20, v19
	v_fma_f32 v20, v20, v18, -v22
	v_fmac_f32_e32 v19, v21, v18
	v_add_f32_e32 v17, v17, v20
	v_add_f32_e32 v16, v16, v19
.LBB154_873:
	s_or_b64 exec, exec, s[12:13]
	s_barrier
	s_and_saveexec_b64 s[12:13], s[54:55]
	s_cbranch_execz .LBB154_875
; %bb.874:
	v_mov_b32_e32 v18, 0
	ds_read_b64 v[18:19], v18 offset:28080
	s_waitcnt lgkmcnt(0)
	v_mul_f32_e32 v21, v16, v19
	v_mul_f32_e32 v20, v17, v19
	v_fma_f32 v19, v17, v18, -v21
	v_fmac_f32_e32 v20, v16, v18
	v_mov_b32_e32 v17, v19
	v_mov_b32_e32 v16, v20
	ds_write_b64 v8, v[19:20]
.LBB154_875:
	s_or_b64 exec, exec, s[12:13]
	s_waitcnt lgkmcnt(0)
	s_barrier
	s_and_saveexec_b64 s[12:13], s[44:45]
	s_cbranch_execz .LBB154_877
; %bb.876:
	v_mov_b32_e32 v18, 0
	ds_read_b64 v[18:19], v18 offset:28088
	ds_read_b64 v[20:21], v8
	s_waitcnt lgkmcnt(0)
	v_mul_f32_e32 v22, v21, v19
	v_mul_f32_e32 v19, v20, v19
	v_fma_f32 v20, v20, v18, -v22
	v_fmac_f32_e32 v19, v21, v18
	v_add_f32_e32 v17, v17, v20
	v_add_f32_e32 v16, v16, v19
.LBB154_877:
	s_or_b64 exec, exec, s[12:13]
	s_barrier
	s_and_saveexec_b64 s[12:13], s[44:45]
	s_cbranch_execz .LBB154_879
; %bb.878:
	v_mov_b32_e32 v18, 0
	ds_read_b64 v[18:19], v18 offset:28600
	s_waitcnt lgkmcnt(0)
	v_mul_f32_e32 v21, v16, v19
	v_mul_f32_e32 v20, v17, v19
	v_fma_f32 v19, v17, v18, -v21
	v_fmac_f32_e32 v20, v16, v18
	v_mov_b32_e32 v17, v19
	v_mov_b32_e32 v16, v20
	ds_write_b64 v8, v[19:20]
.LBB154_879:
	s_or_b64 exec, exec, s[12:13]
	s_waitcnt lgkmcnt(0)
	s_barrier
	s_barrier
	s_and_saveexec_b64 s[12:13], s[18:19]
; %bb.880:
	v_xor_b32_e32 v17, 0x80000000, v17
	v_xor_b32_e32 v18, 0x80000000, v16
	ds_write_b64 v6, v[17:18] offset:24992
; %bb.881:
	s_or_b64 exec, exec, s[12:13]
	s_waitcnt lgkmcnt(0)
	s_barrier
	s_barrier
	s_and_saveexec_b64 s[12:13], vcc
	s_cbranch_execz .LBB154_883
; %bb.882:
	v_mov_b32_e32 v22, 0
	ds_read_b128 v[16:19], v22 offset:27040
	ds_read_b64 v[20:21], v22 offset:27560
	s_waitcnt lgkmcnt(0)
	v_mul_f32_e32 v23, v21, v17
	v_mul_f32_e32 v24, v20, v17
	v_fma_f32 v20, v20, v16, -v23
	v_fmac_f32_e32 v24, v21, v16
	v_mul_f32_e32 v16, v24, v19
	v_mul_f32_e32 v17, v20, v19
	v_fma_f32 v16, v20, v18, -v16
	v_fmac_f32_e32 v17, v24, v18
	ds_write_b64 v22, v[16:17] offset:27048
.LBB154_883:
	s_or_b64 exec, exec, s[12:13]
	v_mov_b32_e32 v16, 0
	v_mov_b32_e32 v17, 0
	s_waitcnt lgkmcnt(0)
	s_barrier
	s_and_saveexec_b64 s[14:15], s[6:7]
	s_cbranch_execz .LBB154_887
; %bb.884:
	v_mul_u32_u24_e32 v18, 0x208, v5
	ds_read_b64 v[16:17], v3 offset:27056
	ds_read_b64 v[18:19], v18 offset:27040
	v_cmp_gt_u32_e64 s[12:13], 2, v1
	s_waitcnt lgkmcnt(0)
	v_mul_f32_e32 v20, v19, v17
	v_mul_f32_e32 v17, v18, v17
	v_fma_f32 v18, v18, v16, -v20
	v_fmac_f32_e32 v17, v19, v16
	v_add_f32_e32 v16, 0, v18
	v_add_f32_e32 v18, 0, v17
	s_and_saveexec_b64 s[16:17], s[12:13]
	s_cbranch_execz .LBB154_886
; %bb.885:
	v_lshlrev_b32_e32 v17, 3, v0
	v_mov_b32_e32 v21, 0
	ds_read_b64 v[19:20], v17 offset:27568
	ds_read_b64 v[21:22], v21 offset:27048
	s_waitcnt lgkmcnt(0)
	v_mul_f32_e32 v17, v22, v20
	v_mul_f32_e32 v20, v21, v20
	v_fma_f32 v17, v21, v19, -v17
	v_fmac_f32_e32 v20, v22, v19
	v_add_f32_e32 v16, v16, v17
	v_add_f32_e32 v18, v18, v20
.LBB154_886:
	s_or_b64 exec, exec, s[16:17]
	v_xor_b32_e32 v17, 0x80000000, v16
	v_xor_b32_e32 v16, 0x80000000, v18
.LBB154_887:
	s_or_b64 exec, exec, s[14:15]
	s_and_saveexec_b64 s[12:13], s[42:43]
	s_cbranch_execz .LBB154_889
; %bb.888:
	v_mov_b32_e32 v18, 0
	ds_read_b64 v[18:19], v18 offset:28080
	s_waitcnt lgkmcnt(0)
	v_mul_f32_e32 v21, v16, v19
	v_mul_f32_e32 v20, v17, v19
	v_fma_f32 v19, v17, v18, -v21
	v_fmac_f32_e32 v20, v16, v18
	v_mov_b32_e32 v17, v19
	v_mov_b32_e32 v16, v20
	ds_write_b64 v4, v[19:20]
.LBB154_889:
	s_or_b64 exec, exec, s[12:13]
	s_waitcnt lgkmcnt(0)
	s_barrier
	s_and_saveexec_b64 s[12:13], s[40:41]
	s_cbranch_execz .LBB154_891
; %bb.890:
	v_mov_b32_e32 v18, 0
	ds_read_b64 v[18:19], v18 offset:28088
	ds_read_b64 v[20:21], v4
	s_waitcnt lgkmcnt(0)
	v_mul_f32_e32 v22, v21, v19
	v_mul_f32_e32 v19, v20, v19
	v_fma_f32 v20, v20, v18, -v22
	v_fmac_f32_e32 v19, v21, v18
	v_add_f32_e32 v17, v17, v20
	v_add_f32_e32 v16, v16, v19
.LBB154_891:
	s_or_b64 exec, exec, s[12:13]
	s_barrier
	s_and_saveexec_b64 s[12:13], s[40:41]
	s_cbranch_execz .LBB154_893
; %bb.892:
	v_mov_b32_e32 v18, 0
	ds_read_b64 v[18:19], v18 offset:28600
	s_waitcnt lgkmcnt(0)
	v_mul_f32_e32 v21, v16, v19
	v_mul_f32_e32 v20, v17, v19
	v_fma_f32 v19, v17, v18, -v21
	v_fmac_f32_e32 v20, v16, v18
	v_mov_b32_e32 v17, v19
	v_mov_b32_e32 v16, v20
	ds_write_b64 v4, v[19:20]
.LBB154_893:
	s_or_b64 exec, exec, s[12:13]
	s_waitcnt lgkmcnt(0)
	s_barrier
	s_barrier
	s_and_saveexec_b64 s[12:13], s[6:7]
; %bb.894:
	v_xor_b32_e32 v18, 0x80000000, v16
	v_xor_b32_e32 v17, 0x80000000, v17
	ds_write_b64 v3, v[17:18] offset:27056
; %bb.895:
	s_or_b64 exec, exec, s[12:13]
	s_waitcnt lgkmcnt(0)
	s_barrier
	s_barrier
	s_and_saveexec_b64 s[12:13], vcc
	s_cbranch_execz .LBB154_897
; %bb.896:
	v_mov_b32_e32 v22, 0
	ds_read_b128 v[16:19], v22 offset:28080
	ds_read_b64 v[20:21], v22 offset:28600
	s_waitcnt lgkmcnt(0)
	v_mul_f32_e32 v23, v21, v17
	v_mul_f32_e32 v24, v20, v17
	v_fma_f32 v20, v20, v16, -v23
	v_fmac_f32_e32 v24, v21, v16
	v_mul_f32_e32 v16, v24, v19
	v_mul_f32_e32 v17, v20, v19
	v_fma_f32 v16, v20, v18, -v16
	v_fmac_f32_e32 v17, v24, v18
	ds_write_b64 v22, v[16:17] offset:28088
.LBB154_897:
	s_or_b64 exec, exec, s[12:13]
	v_mov_b32_e32 v16, 0
	v_mov_b32_e32 v17, 0
	s_waitcnt lgkmcnt(0)
	s_barrier
	s_and_saveexec_b64 s[14:15], s[10:11]
	s_cbranch_execz .LBB154_907
; %bb.898:
	v_mul_u32_u24_e32 v17, 0x208, v15
	ds_read_b64 v[18:19], v11 offset:25024
	ds_read_b64 v[20:21], v17 offset:24960
	v_cmp_gt_u32_e64 s[12:13], 56, v1
	s_waitcnt lgkmcnt(0)
	v_mul_f32_e32 v16, v21, v19
	v_mul_f32_e32 v19, v20, v19
	v_fma_f32 v16, v20, v18, -v16
	v_fmac_f32_e32 v19, v21, v18
	v_add_f32_e32 v16, 0, v16
	v_add_f32_e32 v18, 0, v19
	s_and_saveexec_b64 s[16:17], s[12:13]
	s_cbranch_execnz .LBB154_1096
; %bb.899:
	s_or_b64 exec, exec, s[16:17]
	v_cmp_gt_u32_e64 s[12:13], 48, v1
	s_and_saveexec_b64 s[16:17], s[12:13]
	s_cbranch_execnz .LBB154_1097
.LBB154_900:
	s_or_b64 exec, exec, s[16:17]
	v_cmp_gt_u32_e64 s[12:13], 40, v1
	s_and_saveexec_b64 s[16:17], s[12:13]
	s_cbranch_execnz .LBB154_1098
.LBB154_901:
	s_or_b64 exec, exec, s[16:17]
	v_cmp_gt_u32_e64 s[12:13], 32, v1
	s_and_saveexec_b64 s[16:17], s[12:13]
	s_cbranch_execnz .LBB154_1099
.LBB154_902:
	s_or_b64 exec, exec, s[16:17]
	v_cmp_gt_u32_e64 s[12:13], 24, v1
	s_and_saveexec_b64 s[16:17], s[12:13]
	s_cbranch_execnz .LBB154_1100
.LBB154_903:
	s_or_b64 exec, exec, s[16:17]
	v_cmp_gt_u32_e64 s[12:13], 16, v1
	s_and_saveexec_b64 s[16:17], s[12:13]
	s_cbranch_execnz .LBB154_1101
.LBB154_904:
	s_or_b64 exec, exec, s[16:17]
	v_cmp_gt_u32_e64 s[12:13], 8, v1
	s_and_saveexec_b64 s[16:17], s[12:13]
	s_cbranch_execz .LBB154_906
.LBB154_905:
	v_lshlrev_b32_e32 v14, 3, v0
	v_mov_b32_e32 v17, 0
	ds_read_b64 v[14:15], v14 offset:28608
	ds_read_b64 v[19:20], v17 offset:25016
	s_waitcnt lgkmcnt(0)
	v_mul_f32_e32 v17, v20, v15
	v_mul_f32_e32 v15, v19, v15
	v_fma_f32 v17, v19, v14, -v17
	v_fmac_f32_e32 v15, v20, v14
	v_add_f32_e32 v16, v16, v17
	v_add_f32_e32 v18, v18, v15
.LBB154_906:
	s_or_b64 exec, exec, s[16:17]
	v_xor_b32_e32 v17, 0x80000000, v16
	v_xor_b32_e32 v16, 0x80000000, v18
.LBB154_907:
	s_or_b64 exec, exec, s[14:15]
	s_and_saveexec_b64 s[12:13], s[58:59]
	s_cbranch_execz .LBB154_909
; %bb.908:
	v_mov_b32_e32 v14, 0
	ds_read_b64 v[14:15], v14 offset:29120
	s_waitcnt lgkmcnt(0)
	v_mul_f32_e32 v18, v17, v15
	v_mul_f32_e32 v19, v16, v15
	v_fmac_f32_e32 v18, v16, v14
	v_fma_f32 v17, v17, v14, -v19
	v_mov_b32_e32 v16, v18
	ds_write_b64 v13, v[17:18]
.LBB154_909:
	s_or_b64 exec, exec, s[12:13]
	s_waitcnt lgkmcnt(0)
	s_barrier
	s_and_saveexec_b64 s[12:13], s[60:61]
	v_readlane_b32 s58, v34, 4
	s_cbranch_execz .LBB154_911
; %bb.910:
	ds_read_b64 v[14:15], v12 offset:29120
	ds_read_b64 v[18:19], v13
	s_waitcnt lgkmcnt(0)
	v_mul_f32_e32 v20, v19, v15
	v_mul_f32_e32 v15, v18, v15
	v_fma_f32 v18, v18, v14, -v20
	v_fmac_f32_e32 v15, v19, v14
	v_add_f32_e32 v17, v17, v18
	v_add_f32_e32 v16, v16, v15
.LBB154_911:
	s_or_b64 exec, exec, s[12:13]
	s_barrier
	s_and_saveexec_b64 s[12:13], s[62:63]
	s_cbranch_execz .LBB154_913
; %bb.912:
	v_mov_b32_e32 v14, 0
	ds_read_b64 v[14:15], v14 offset:29640
	s_waitcnt lgkmcnt(0)
	v_mul_f32_e32 v18, v17, v15
	v_mul_f32_e32 v19, v16, v15
	v_fmac_f32_e32 v18, v16, v14
	v_fma_f32 v17, v17, v14, -v19
	v_mov_b32_e32 v16, v18
	ds_write_b64 v13, v[17:18]
.LBB154_913:
	s_or_b64 exec, exec, s[12:13]
	s_waitcnt lgkmcnt(0)
	s_barrier
	s_and_saveexec_b64 s[12:13], s[64:65]
	s_cbranch_execz .LBB154_915
; %bb.914:
	ds_read_b64 v[14:15], v12 offset:29632
	ds_read_b64 v[18:19], v13
	s_waitcnt lgkmcnt(0)
	v_mul_f32_e32 v20, v19, v15
	v_mul_f32_e32 v15, v18, v15
	v_fma_f32 v18, v18, v14, -v20
	v_fmac_f32_e32 v15, v19, v14
	v_add_f32_e32 v17, v17, v18
	v_add_f32_e32 v16, v16, v15
.LBB154_915:
	s_or_b64 exec, exec, s[12:13]
	s_barrier
	s_and_saveexec_b64 s[12:13], s[66:67]
	s_cbranch_execz .LBB154_917
; %bb.916:
	v_mov_b32_e32 v14, 0
	ds_read_b64 v[14:15], v14 offset:30160
	s_waitcnt lgkmcnt(0)
	v_mul_f32_e32 v18, v17, v15
	v_mul_f32_e32 v19, v16, v15
	v_fmac_f32_e32 v18, v16, v14
	v_fma_f32 v17, v17, v14, -v19
	v_mov_b32_e32 v16, v18
	ds_write_b64 v13, v[17:18]
.LBB154_917:
	s_or_b64 exec, exec, s[12:13]
	s_waitcnt lgkmcnt(0)
	s_barrier
	s_and_saveexec_b64 s[12:13], s[68:69]
	;; [unrolled: 31-line block ×6, first 2 shown]
	s_cbranch_execz .LBB154_935
; %bb.934:
	v_mov_b32_e32 v12, 0
	ds_read_b64 v[14:15], v12 offset:32248
	ds_read_b64 v[18:19], v13
	s_waitcnt lgkmcnt(0)
	v_mul_f32_e32 v12, v19, v15
	v_mul_f32_e32 v15, v18, v15
	v_fma_f32 v12, v18, v14, -v12
	v_fmac_f32_e32 v15, v19, v14
	v_add_f32_e32 v17, v17, v12
	v_add_f32_e32 v16, v16, v15
.LBB154_935:
	s_or_b64 exec, exec, s[12:13]
	s_barrier
	s_and_saveexec_b64 s[12:13], s[56:57]
	s_cbranch_execz .LBB154_937
; %bb.936:
	v_mov_b32_e32 v12, 0
	ds_read_b64 v[14:15], v12 offset:32760
	s_waitcnt lgkmcnt(0)
	v_mul_f32_e32 v18, v17, v15
	v_mul_f32_e32 v12, v16, v15
	v_fmac_f32_e32 v18, v16, v14
	v_fma_f32 v17, v17, v14, -v12
	v_mov_b32_e32 v16, v18
	ds_write_b64 v13, v[17:18]
.LBB154_937:
	s_or_b64 exec, exec, s[12:13]
	s_waitcnt lgkmcnt(0)
	s_barrier
	s_barrier
	s_and_saveexec_b64 s[12:13], s[10:11]
; %bb.938:
	v_xor_b32_e32 v13, 0x80000000, v16
	v_xor_b32_e32 v12, 0x80000000, v17
	ds_write_b64 v11, v[12:13] offset:25024
; %bb.939:
	s_or_b64 exec, exec, s[12:13]
	s_waitcnt lgkmcnt(0)
	s_barrier
	s_barrier
	s_and_saveexec_b64 s[10:11], vcc
	s_cbranch_execz .LBB154_941
; %bb.940:
	v_mov_b32_e32 v17, 0
	ds_read_b128 v[11:14], v17 offset:29120
	ds_read_b64 v[15:16], v17 offset:29640
	s_waitcnt lgkmcnt(0)
	v_mul_f32_e32 v18, v16, v12
	v_mul_f32_e32 v19, v15, v12
	v_fma_f32 v15, v15, v11, -v18
	v_fmac_f32_e32 v19, v16, v11
	v_mul_f32_e32 v11, v19, v14
	v_mul_f32_e32 v12, v15, v14
	v_fma_f32 v11, v15, v13, -v11
	v_fmac_f32_e32 v12, v19, v13
	ds_write_b64 v17, v[11:12] offset:29128
.LBB154_941:
	s_or_b64 exec, exec, s[10:11]
	v_mov_b32_e32 v11, 0
	v_mov_b32_e32 v12, 0
	s_waitcnt lgkmcnt(0)
	s_barrier
	s_and_saveexec_b64 s[12:13], s[6:7]
	s_cbranch_execz .LBB154_945
; %bb.942:
	v_mul_u32_u24_e32 v13, 0x208, v5
	ds_read_b64 v[11:12], v3 offset:29136
	ds_read_b64 v[13:14], v13 offset:29120
	v_cmp_gt_u32_e64 s[10:11], 2, v1
	s_waitcnt lgkmcnt(0)
	v_mul_f32_e32 v15, v14, v12
	v_mul_f32_e32 v12, v13, v12
	v_fma_f32 v13, v13, v11, -v15
	v_fmac_f32_e32 v12, v14, v11
	v_add_f32_e32 v11, 0, v13
	v_add_f32_e32 v13, 0, v12
	s_and_saveexec_b64 s[14:15], s[10:11]
	s_cbranch_execz .LBB154_944
; %bb.943:
	v_lshlrev_b32_e32 v12, 3, v0
	v_mov_b32_e32 v16, 0
	ds_read_b64 v[14:15], v12 offset:29648
	ds_read_b64 v[16:17], v16 offset:29128
	s_waitcnt lgkmcnt(0)
	v_mul_f32_e32 v12, v17, v15
	v_mul_f32_e32 v15, v16, v15
	v_fma_f32 v12, v16, v14, -v12
	v_fmac_f32_e32 v15, v17, v14
	v_add_f32_e32 v11, v11, v12
	v_add_f32_e32 v13, v13, v15
.LBB154_944:
	s_or_b64 exec, exec, s[14:15]
	v_xor_b32_e32 v12, 0x80000000, v11
	v_xor_b32_e32 v11, 0x80000000, v13
.LBB154_945:
	s_or_b64 exec, exec, s[12:13]
	s_and_saveexec_b64 s[10:11], s[42:43]
	s_cbranch_execz .LBB154_947
; %bb.946:
	v_mov_b32_e32 v13, 0
	ds_read_b64 v[13:14], v13 offset:30160
	s_waitcnt lgkmcnt(0)
	v_mul_f32_e32 v16, v11, v14
	v_mul_f32_e32 v15, v12, v14
	v_fma_f32 v14, v12, v13, -v16
	v_fmac_f32_e32 v15, v11, v13
	v_mov_b32_e32 v12, v14
	v_mov_b32_e32 v11, v15
	ds_write_b64 v4, v[14:15]
.LBB154_947:
	s_or_b64 exec, exec, s[10:11]
	s_waitcnt lgkmcnt(0)
	s_barrier
	s_and_saveexec_b64 s[10:11], s[40:41]
	s_cbranch_execz .LBB154_949
; %bb.948:
	v_mov_b32_e32 v13, 0
	ds_read_b64 v[13:14], v13 offset:30168
	ds_read_b64 v[15:16], v4
	s_waitcnt lgkmcnt(0)
	v_mul_f32_e32 v17, v16, v14
	v_mul_f32_e32 v14, v15, v14
	v_fma_f32 v15, v15, v13, -v17
	v_fmac_f32_e32 v14, v16, v13
	v_add_f32_e32 v12, v12, v15
	v_add_f32_e32 v11, v11, v14
.LBB154_949:
	s_or_b64 exec, exec, s[10:11]
	s_barrier
	s_and_saveexec_b64 s[10:11], s[40:41]
	s_cbranch_execz .LBB154_951
; %bb.950:
	v_mov_b32_e32 v13, 0
	ds_read_b64 v[13:14], v13 offset:30680
	s_waitcnt lgkmcnt(0)
	v_mul_f32_e32 v16, v11, v14
	v_mul_f32_e32 v15, v12, v14
	v_fma_f32 v14, v12, v13, -v16
	v_fmac_f32_e32 v15, v11, v13
	v_mov_b32_e32 v12, v14
	v_mov_b32_e32 v11, v15
	ds_write_b64 v4, v[14:15]
.LBB154_951:
	s_or_b64 exec, exec, s[10:11]
	s_waitcnt lgkmcnt(0)
	s_barrier
	s_barrier
	s_and_saveexec_b64 s[10:11], s[6:7]
; %bb.952:
	v_xor_b32_e32 v13, 0x80000000, v11
	v_xor_b32_e32 v12, 0x80000000, v12
	ds_write_b64 v3, v[12:13] offset:29136
; %bb.953:
	s_or_b64 exec, exec, s[10:11]
	s_waitcnt lgkmcnt(0)
	s_barrier
	s_barrier
	s_and_saveexec_b64 s[10:11], vcc
	s_cbranch_execz .LBB154_955
; %bb.954:
	v_mov_b32_e32 v17, 0
	ds_read_b128 v[11:14], v17 offset:30160
	ds_read_b64 v[15:16], v17 offset:30680
	s_waitcnt lgkmcnt(0)
	v_mul_f32_e32 v18, v16, v12
	v_mul_f32_e32 v19, v15, v12
	v_fma_f32 v15, v15, v11, -v18
	v_fmac_f32_e32 v19, v16, v11
	v_mul_f32_e32 v11, v19, v14
	v_mul_f32_e32 v12, v15, v14
	v_fma_f32 v11, v15, v13, -v11
	v_fmac_f32_e32 v12, v19, v13
	ds_write_b64 v17, v[11:12] offset:30168
.LBB154_955:
	s_or_b64 exec, exec, s[10:11]
	v_mov_b32_e32 v11, 0
	v_mov_b32_e32 v12, 0
	s_waitcnt lgkmcnt(0)
	s_barrier
	s_and_saveexec_b64 s[12:13], s[18:19]
	s_cbranch_execz .LBB154_961
; %bb.956:
	v_mul_u32_u24_e32 v12, 0x208, v10
	ds_read_b64 v[13:14], v6 offset:29152
	ds_read_b64 v[15:16], v12 offset:29120
	v_cmp_gt_u32_e64 s[10:11], 12, v1
	s_waitcnt lgkmcnt(0)
	v_mul_f32_e32 v11, v16, v14
	v_mul_f32_e32 v14, v15, v14
	v_fma_f32 v11, v15, v13, -v11
	v_fmac_f32_e32 v14, v16, v13
	v_add_f32_e32 v11, 0, v11
	v_add_f32_e32 v13, 0, v14
	s_and_saveexec_b64 s[14:15], s[10:11]
	s_cbranch_execnz .LBB154_1102
; %bb.957:
	s_or_b64 exec, exec, s[14:15]
	v_cmp_gt_u32_e64 s[10:11], 8, v1
	s_and_saveexec_b64 s[14:15], s[10:11]
	s_cbranch_execnz .LBB154_1103
.LBB154_958:
	s_or_b64 exec, exec, s[14:15]
	v_cmp_gt_u32_e64 s[10:11], 4, v1
	s_and_saveexec_b64 s[14:15], s[10:11]
	s_cbranch_execz .LBB154_960
.LBB154_959:
	v_lshlrev_b32_e32 v9, 3, v0
	v_mov_b32_e32 v12, 0
	ds_read_b64 v[9:10], v9 offset:30688
	ds_read_b64 v[14:15], v12 offset:29144
	s_waitcnt lgkmcnt(0)
	v_mul_f32_e32 v12, v15, v10
	v_mul_f32_e32 v10, v14, v10
	v_fma_f32 v12, v14, v9, -v12
	v_fmac_f32_e32 v10, v15, v9
	v_add_f32_e32 v11, v11, v12
	v_add_f32_e32 v13, v13, v10
.LBB154_960:
	s_or_b64 exec, exec, s[14:15]
	v_xor_b32_e32 v12, 0x80000000, v11
	v_xor_b32_e32 v11, 0x80000000, v13
.LBB154_961:
	s_or_b64 exec, exec, s[12:13]
	s_and_saveexec_b64 s[10:11], s[46:47]
	s_cbranch_execz .LBB154_963
; %bb.962:
	v_mov_b32_e32 v9, 0
	ds_read_b64 v[9:10], v9 offset:31200
	s_waitcnt lgkmcnt(0)
	v_mul_f32_e32 v13, v12, v10
	v_mul_f32_e32 v14, v11, v10
	v_fmac_f32_e32 v13, v11, v9
	v_fma_f32 v12, v12, v9, -v14
	v_mov_b32_e32 v11, v13
	ds_write_b64 v8, v[12:13]
.LBB154_963:
	s_or_b64 exec, exec, s[10:11]
	s_waitcnt lgkmcnt(0)
	s_barrier
	s_and_saveexec_b64 s[10:11], s[48:49]
	v_readlane_b32 s34, v34, 2
	v_readlane_b32 s36, v34, 0
	;; [unrolled: 1-line block ×4, first 2 shown]
	s_cbranch_execz .LBB154_965
; %bb.964:
	ds_read_b64 v[9:10], v7 offset:31200
	ds_read_b64 v[13:14], v8
	s_waitcnt lgkmcnt(0)
	v_mul_f32_e32 v15, v14, v10
	v_mul_f32_e32 v10, v13, v10
	v_fma_f32 v13, v13, v9, -v15
	v_fmac_f32_e32 v10, v14, v9
	v_add_f32_e32 v12, v12, v13
	v_add_f32_e32 v11, v11, v10
.LBB154_965:
	s_or_b64 exec, exec, s[10:11]
	s_barrier
	s_and_saveexec_b64 s[10:11], s[50:51]
	s_cbranch_execz .LBB154_967
; %bb.966:
	v_mov_b32_e32 v9, 0
	ds_read_b64 v[9:10], v9 offset:31720
	s_waitcnt lgkmcnt(0)
	v_mul_f32_e32 v13, v12, v10
	v_mul_f32_e32 v14, v11, v10
	v_fmac_f32_e32 v13, v11, v9
	v_fma_f32 v12, v12, v9, -v14
	v_mov_b32_e32 v11, v13
	ds_write_b64 v8, v[12:13]
.LBB154_967:
	s_or_b64 exec, exec, s[10:11]
	s_waitcnt lgkmcnt(0)
	s_barrier
	s_and_saveexec_b64 s[10:11], s[52:53]
	s_cbranch_execz .LBB154_969
; %bb.968:
	ds_read_b64 v[9:10], v7 offset:31712
	ds_read_b64 v[13:14], v8
	s_waitcnt lgkmcnt(0)
	v_mul_f32_e32 v7, v14, v10
	v_mul_f32_e32 v10, v13, v10
	v_fma_f32 v7, v13, v9, -v7
	v_fmac_f32_e32 v10, v14, v9
	v_add_f32_e32 v12, v12, v7
	v_add_f32_e32 v11, v11, v10
.LBB154_969:
	s_or_b64 exec, exec, s[10:11]
	s_barrier
	s_and_saveexec_b64 s[10:11], s[54:55]
	s_cbranch_execz .LBB154_971
; %bb.970:
	v_mov_b32_e32 v7, 0
	ds_read_b64 v[9:10], v7 offset:32240
	s_waitcnt lgkmcnt(0)
	v_mul_f32_e32 v13, v12, v10
	v_mul_f32_e32 v7, v11, v10
	v_fmac_f32_e32 v13, v11, v9
	v_fma_f32 v12, v12, v9, -v7
	v_mov_b32_e32 v11, v13
	ds_write_b64 v8, v[12:13]
.LBB154_971:
	s_or_b64 exec, exec, s[10:11]
	s_waitcnt lgkmcnt(0)
	s_barrier
	s_and_saveexec_b64 s[10:11], s[44:45]
	s_cbranch_execz .LBB154_973
; %bb.972:
	v_mov_b32_e32 v7, 0
	ds_read_b64 v[9:10], v7 offset:32248
	ds_read_b64 v[13:14], v8
	s_waitcnt lgkmcnt(0)
	v_mul_f32_e32 v7, v14, v10
	v_mul_f32_e32 v10, v13, v10
	v_fma_f32 v7, v13, v9, -v7
	v_fmac_f32_e32 v10, v14, v9
	v_add_f32_e32 v12, v12, v7
	v_add_f32_e32 v11, v11, v10
.LBB154_973:
	s_or_b64 exec, exec, s[10:11]
	s_barrier
	s_and_saveexec_b64 s[10:11], s[44:45]
	s_cbranch_execz .LBB154_975
; %bb.974:
	v_mov_b32_e32 v7, 0
	ds_read_b64 v[9:10], v7 offset:32760
	s_waitcnt lgkmcnt(0)
	v_mul_f32_e32 v13, v12, v10
	v_mul_f32_e32 v7, v11, v10
	v_fmac_f32_e32 v13, v11, v9
	v_fma_f32 v12, v12, v9, -v7
	v_mov_b32_e32 v11, v13
	ds_write_b64 v8, v[12:13]
.LBB154_975:
	s_or_b64 exec, exec, s[10:11]
	s_waitcnt lgkmcnt(0)
	s_barrier
	s_barrier
	s_and_saveexec_b64 s[10:11], s[18:19]
; %bb.976:
	v_xor_b32_e32 v7, 0x80000000, v12
	v_xor_b32_e32 v8, 0x80000000, v11
	ds_write_b64 v6, v[7:8] offset:29152
; %bb.977:
	s_or_b64 exec, exec, s[10:11]
	s_waitcnt lgkmcnt(0)
	s_barrier
	s_barrier
	s_and_saveexec_b64 s[10:11], vcc
	s_cbranch_execz .LBB154_979
; %bb.978:
	v_mov_b32_e32 v12, 0
	ds_read_b128 v[6:9], v12 offset:31200
	ds_read_b64 v[10:11], v12 offset:31720
	s_waitcnt lgkmcnt(0)
	v_mul_f32_e32 v13, v11, v7
	v_mul_f32_e32 v14, v10, v7
	v_fma_f32 v10, v10, v6, -v13
	v_fmac_f32_e32 v14, v11, v6
	v_mul_f32_e32 v6, v14, v9
	v_mul_f32_e32 v7, v10, v9
	v_fma_f32 v6, v10, v8, -v6
	v_fmac_f32_e32 v7, v14, v8
	ds_write_b64 v12, v[6:7] offset:31208
.LBB154_979:
	s_or_b64 exec, exec, s[10:11]
	v_mov_b32_e32 v6, 0
	v_mov_b32_e32 v7, 0
	s_waitcnt lgkmcnt(0)
	s_barrier
	s_and_saveexec_b64 s[12:13], s[6:7]
	s_cbranch_execz .LBB154_983
; %bb.980:
	v_mul_u32_u24_e32 v7, 0x208, v5
	ds_read_b64 v[5:6], v3 offset:31216
	ds_read_b64 v[7:8], v7 offset:31200
	v_cmp_gt_u32_e64 s[10:11], 2, v1
	s_waitcnt lgkmcnt(0)
	v_mul_f32_e32 v9, v8, v6
	v_mul_f32_e32 v6, v7, v6
	v_fma_f32 v7, v7, v5, -v9
	v_fmac_f32_e32 v6, v8, v5
	v_add_f32_e32 v5, 0, v7
	v_add_f32_e32 v6, 0, v6
	s_and_saveexec_b64 s[14:15], s[10:11]
	s_cbranch_execz .LBB154_982
; %bb.981:
	v_lshlrev_b32_e32 v7, 3, v0
	v_mov_b32_e32 v9, 0
	ds_read_b64 v[7:8], v7 offset:31728
	ds_read_b64 v[9:10], v9 offset:31208
	s_waitcnt lgkmcnt(0)
	v_mul_f32_e32 v11, v10, v8
	v_mul_f32_e32 v8, v9, v8
	v_fma_f32 v9, v9, v7, -v11
	v_fmac_f32_e32 v8, v10, v7
	v_add_f32_e32 v5, v5, v9
	v_add_f32_e32 v6, v6, v8
.LBB154_982:
	s_or_b64 exec, exec, s[14:15]
	v_xor_b32_e32 v7, 0x80000000, v5
	v_xor_b32_e32 v6, 0x80000000, v6
.LBB154_983:
	s_or_b64 exec, exec, s[12:13]
	s_and_saveexec_b64 s[10:11], s[42:43]
	s_cbranch_execz .LBB154_985
; %bb.984:
	v_mov_b32_e32 v5, 0
	ds_read_b64 v[8:9], v5 offset:32240
	s_waitcnt lgkmcnt(0)
	v_mul_f32_e32 v5, v6, v9
	v_mul_f32_e32 v10, v7, v9
	v_fma_f32 v9, v7, v8, -v5
	v_fmac_f32_e32 v10, v6, v8
	v_mov_b32_e32 v7, v9
	v_mov_b32_e32 v6, v10
	ds_write_b64 v4, v[9:10]
.LBB154_985:
	s_or_b64 exec, exec, s[10:11]
	s_waitcnt lgkmcnt(0)
	s_barrier
	s_and_saveexec_b64 s[10:11], s[40:41]
	s_cbranch_execz .LBB154_987
; %bb.986:
	v_mov_b32_e32 v5, 0
	ds_read_b64 v[8:9], v5 offset:32248
	ds_read_b64 v[10:11], v4
	s_waitcnt lgkmcnt(0)
	v_mul_f32_e32 v5, v11, v9
	v_mul_f32_e32 v9, v10, v9
	v_fma_f32 v5, v10, v8, -v5
	v_fmac_f32_e32 v9, v11, v8
	v_add_f32_e32 v7, v7, v5
	v_add_f32_e32 v6, v6, v9
.LBB154_987:
	s_or_b64 exec, exec, s[10:11]
	s_barrier
	s_and_saveexec_b64 s[10:11], s[40:41]
	s_cbranch_execz .LBB154_989
; %bb.988:
	v_mov_b32_e32 v5, 0
	ds_read_b64 v[8:9], v5 offset:32760
	s_waitcnt lgkmcnt(0)
	v_mul_f32_e32 v5, v6, v9
	v_mul_f32_e32 v10, v7, v9
	v_fma_f32 v9, v7, v8, -v5
	v_fmac_f32_e32 v10, v6, v8
	v_mov_b32_e32 v7, v9
	v_mov_b32_e32 v6, v10
	ds_write_b64 v4, v[9:10]
.LBB154_989:
	s_or_b64 exec, exec, s[10:11]
	s_waitcnt lgkmcnt(0)
	s_barrier
	s_barrier
	s_and_saveexec_b64 s[10:11], s[6:7]
; %bb.990:
	v_xor_b32_e32 v5, 0x80000000, v6
	v_xor_b32_e32 v4, 0x80000000, v7
	ds_write_b64 v3, v[4:5] offset:31216
; %bb.991:
	s_or_b64 exec, exec, s[10:11]
	s_waitcnt lgkmcnt(0)
	s_barrier
	s_barrier
	s_and_saveexec_b64 s[6:7], vcc
	s_cbranch_execz .LBB154_993
; %bb.992:
	v_mov_b32_e32 v9, 0
	ds_read_b128 v[3:6], v9 offset:32240
	ds_read_b64 v[7:8], v9 offset:32760
	s_waitcnt lgkmcnt(0)
	v_mul_f32_e32 v10, v8, v4
	v_mul_f32_e32 v11, v7, v4
	v_fma_f32 v7, v7, v3, -v10
	v_fmac_f32_e32 v11, v8, v3
	v_mul_f32_e32 v3, v11, v6
	v_mul_f32_e32 v4, v7, v6
	v_fma_f32 v3, v7, v5, -v3
	v_fmac_f32_e32 v4, v11, v5
	ds_write_b64 v9, v[3:4] offset:32248
.LBB154_993:
	s_or_b64 exec, exec, s[6:7]
.LBB154_994:
	s_lshl_b64 s[6:7], s[24:25], 3
	s_add_u32 s42, s36, s6
	v_cmp_le_i32_e32 vcc, s90, v0
	s_addc_u32 s43, s37, s7
	s_and_b64 s[18:19], vcc, s[22:23]
	v_cmp_eq_u32_e64 s[6:7], 0, v2
	s_xor_b64 s[10:11], s[18:19], -1
	s_and_b64 s[12:13], s[6:7], s[10:11]
	v_mov_b32_e32 v3, 0
	v_add_u32_e32 v6, s33, v0
	v_mov_b32_e32 v4, 0
	s_waitcnt lgkmcnt(0)
	s_barrier
	s_and_saveexec_b64 s[10:11], s[12:13]
	s_cbranch_execz .LBB154_996
; %bb.995:
	v_ashrrev_i32_e32 v5, 31, v6
	v_mul_lo_u32 v7, s27, v6
	v_mad_u64_u32 v[3:4], s[12:13], s26, v6, 0
	v_mul_lo_u32 v5, s26, v5
	v_add3_u32 v4, v4, v5, v7
	v_lshlrev_b64 v[3:4], 3, v[3:4]
	v_mov_b32_e32 v5, s43
	v_add_co_u32_e32 v3, vcc, s42, v3
	v_addc_co_u32_e32 v4, vcc, v5, v4, vcc
	flat_load_dwordx2 v[4:5], v[3:4]
	s_waitcnt vmcnt(0) lgkmcnt(0)
	v_mul_f32_e32 v3, s34, v4
	v_mul_f32_e32 v7, s34, v5
	v_fma_f32 v3, s35, v5, -v3
	v_fma_f32 v4, v4, -s35, -v7
.LBB154_996:
	s_or_b64 exec, exec, s[10:11]
	s_load_dwordx2 s[16:17], s[4:5], 0x50
	s_and_b32 s4, 0xffff, s93
	v_mad_u32_u24 v8, v2, s4, v0
	s_cmp_lt_i32 s8, 1
	v_cmp_eq_u32_e64 s[4:5], 0, v8
	s_cbranch_scc1 .LBB154_1015
; %bb.997:
	v_mov_b32_e32 v5, 0
	v_mov_b32_e32 v7, v5
	s_lshl_b64 s[10:11], s[28:29], 2
	v_lshlrev_b64 v[11:12], 3, v[6:7]
	s_waitcnt lgkmcnt(0)
	s_add_u32 s24, s16, s10
	s_mov_b64 s[20:21], src_private_base
	s_addc_u32 s25, s17, s11
	v_mov_b32_e32 v10, 0xa000
	v_cmp_gt_i32_e64 s[10:11], s9, v6
	v_mov_b32_e32 v6, s92
	v_add_co_u32_e32 v7, vcc, s91, v11
	s_mul_i32 s14, s31, 0x180
	s_mul_hi_u32 s15, s30, 0x180
	s_mov_b32 s20, 0
	v_cmp_gt_u32_e64 s[12:13], 64, v8
	v_lshl_add_u32 v9, v8, 3, v10
	v_lshl_or_b32 v10, v2, 3, v10
	s_add_i32 s44, s8, -1
	v_addc_co_u32_e32 v11, vcc, v6, v12, vcc
	s_lshl_b64 s[34:35], s[30:31], 7
	s_lshl_b64 s[36:37], s[30:31], 8
	s_add_i32 s45, s15, s14
	s_mul_i32 s46, s30, 0x180
	v_mov_b32_e32 v15, -1
	v_mov_b32_e32 v12, 0
	v_mov_b32_e32 v13, 8
	v_mov_b32_e32 v14, 16
	v_mov_b32_e32 v16, 24
	s_branch .LBB154_999
.LBB154_998:                            ;   in Loop: Header=BB154_999 Depth=1
	s_or_b64 exec, exec, s[40:41]
	s_add_i32 s20, s20, 1
	s_cmp_eq_u32 s20, s8
	s_cbranch_scc1 .LBB154_1015
.LBB154_999:                            ; =>This Loop Header: Depth=1
                                        ;     Child Loop BB154_1001 Depth 2
	v_cmp_gt_i32_e32 vcc, s20, v15
	s_and_b64 s[40:41], s[4:5], vcc
	s_and_saveexec_b64 s[14:15], s[40:41]
	s_cbranch_execz .LBB154_1002
; %bb.1000:                             ;   in Loop: Header=BB154_999 Depth=1
	global_load_dword v15, v5, s[24:25]
	s_waitcnt vmcnt(0)
	v_cmp_le_i32_e32 vcc, s20, v15
	s_cbranch_vccnz .LBB154_1002
.LBB154_1001:                           ;   Parent Loop BB154_999 Depth=1
                                        ; =>  This Inner Loop Header: Depth=2
	buffer_wbinvl1_vol
	global_load_dword v15, v5, s[24:25]
	s_waitcnt vmcnt(0)
	v_cmp_gt_i32_e32 vcc, s20, v15
	s_cbranch_vccnz .LBB154_1001
.LBB154_1002:                           ;   in Loop: Header=BB154_999 Depth=1
	s_or_b64 exec, exec, s[14:15]
	s_lshl_b32 s47, s20, 6
	buffer_wbinvl1_vol
	s_barrier
	s_and_saveexec_b64 s[14:15], s[12:13]
	s_cbranch_execz .LBB154_1007
; %bb.1003:                             ;   in Loop: Header=BB154_999 Depth=1
	v_or_b32_e32 v6, s47, v8
	v_cmp_le_i32_e32 vcc, s9, v6
	s_and_saveexec_b64 s[40:41], vcc
	s_xor_b64 s[40:41], exec, s[40:41]
; %bb.1004:                             ;   in Loop: Header=BB154_999 Depth=1
	v_mov_b32_e32 v6, v5
	ds_write_b64 v9, v[5:6]
                                        ; implicit-def: $vgpr6
; %bb.1005:                             ;   in Loop: Header=BB154_999 Depth=1
	s_andn2_saveexec_b64 s[40:41], s[40:41]
	s_cbranch_execz .LBB154_1007
; %bb.1006:                             ;   in Loop: Header=BB154_999 Depth=1
	v_mad_u64_u32 v[17:18], s[40:41], s26, v6, 0
	v_mad_u64_u32 v[18:19], s[40:41], s27, v6, v[18:19]
	v_mov_b32_e32 v6, s43
	v_lshlrev_b64 v[17:18], 3, v[17:18]
	v_add_co_u32_e32 v17, vcc, s42, v17
	v_addc_co_u32_e32 v18, vcc, v6, v18, vcc
	flat_load_dwordx2 v[17:18], v[17:18]
	s_waitcnt vmcnt(0) lgkmcnt(0)
	ds_write_b64 v9, v[17:18]
.LBB154_1007:                           ;   in Loop: Header=BB154_999 Depth=1
	s_or_b64 exec, exec, s[14:15]
	v_add_u32_e32 v6, s47, v2
	v_mad_u64_u32 v[17:18], s[14:15], s30, v6, 0
	s_cmp_eq_u32 s20, s44
	s_cselect_b64 vcc, -1, 0
	v_mad_u64_u32 v[18:19], s[14:15], s31, v6, v[18:19]
	s_waitcnt lgkmcnt(0)
	s_barrier
	v_lshlrev_b64 v[17:18], 3, v[17:18]
	v_add_co_u32_e64 v17, s[14:15], v7, v17
	v_addc_co_u32_e64 v18, s[14:15], v11, v18, s[14:15]
	v_cmp_gt_i32_e64 s[14:15], s9, v6
	s_and_b64 s[40:41], s[10:11], s[14:15]
	s_and_saveexec_b64 s[14:15], s[40:41]
	s_cbranch_execz .LBB154_1009
; %bb.1008:                             ;   in Loop: Header=BB154_999 Depth=1
	v_mov_b32_e32 v19, s21
	v_cndmask_b32_e32 v20, v18, v19, vcc
	v_cndmask_b32_e32 v19, v17, v12, vcc
	flat_load_dwordx2 v[19:20], v[19:20]
	ds_read_b64 v[21:22], v10
	s_waitcnt vmcnt(0) lgkmcnt(0)
	v_mul_f32_e32 v23, v22, v20
	v_mul_f32_e32 v20, v21, v20
	v_fma_f32 v21, v21, v19, -v23
	v_fmac_f32_e32 v20, v22, v19
	v_add_f32_e32 v3, v3, v21
	v_add_f32_e32 v4, v4, v20
.LBB154_1009:                           ;   in Loop: Header=BB154_999 Depth=1
	s_or_b64 exec, exec, s[14:15]
	v_add_u32_e32 v19, 16, v6
	v_cmp_gt_i32_e64 s[14:15], s9, v19
	s_and_b64 s[14:15], s[10:11], s[14:15]
	s_and_saveexec_b64 s[40:41], s[14:15]
	s_cbranch_execz .LBB154_1011
; %bb.1010:                             ;   in Loop: Header=BB154_999 Depth=1
	v_mov_b32_e32 v19, s35
	v_add_co_u32_e64 v21, s[14:15], s34, v17
	v_addc_co_u32_e64 v19, s[14:15], v18, v19, s[14:15]
	v_mov_b32_e32 v20, s21
	v_cndmask_b32_e32 v20, v19, v20, vcc
	v_cndmask_b32_e32 v19, v21, v13, vcc
	flat_load_dwordx2 v[19:20], v[19:20]
	ds_read_b64 v[21:22], v10 offset:128
	s_waitcnt vmcnt(0) lgkmcnt(0)
	v_mul_f32_e32 v23, v22, v20
	v_mul_f32_e32 v20, v21, v20
	v_fma_f32 v21, v21, v19, -v23
	v_fmac_f32_e32 v20, v22, v19
	v_add_f32_e32 v3, v3, v21
	v_add_f32_e32 v4, v4, v20
.LBB154_1011:                           ;   in Loop: Header=BB154_999 Depth=1
	s_or_b64 exec, exec, s[40:41]
	v_add_u32_e32 v19, 32, v6
	v_cmp_gt_i32_e64 s[14:15], s9, v19
	s_and_b64 s[14:15], s[10:11], s[14:15]
	s_and_saveexec_b64 s[40:41], s[14:15]
	s_cbranch_execz .LBB154_1013
; %bb.1012:                             ;   in Loop: Header=BB154_999 Depth=1
	v_mov_b32_e32 v19, s37
	v_add_co_u32_e64 v21, s[14:15], s36, v17
	v_addc_co_u32_e64 v19, s[14:15], v18, v19, s[14:15]
	v_mov_b32_e32 v20, s21
	v_cndmask_b32_e32 v20, v19, v20, vcc
	v_cndmask_b32_e32 v19, v21, v14, vcc
	flat_load_dwordx2 v[19:20], v[19:20]
	ds_read_b64 v[21:22], v10 offset:256
	s_waitcnt vmcnt(0) lgkmcnt(0)
	v_mul_f32_e32 v23, v22, v20
	v_mul_f32_e32 v20, v21, v20
	v_fma_f32 v21, v21, v19, -v23
	v_fmac_f32_e32 v20, v22, v19
	v_add_f32_e32 v3, v3, v21
	v_add_f32_e32 v4, v4, v20
.LBB154_1013:                           ;   in Loop: Header=BB154_999 Depth=1
	s_or_b64 exec, exec, s[40:41]
	v_add_u32_e32 v6, 48, v6
	v_cmp_gt_i32_e64 s[14:15], s9, v6
	s_and_b64 s[14:15], s[10:11], s[14:15]
	s_and_saveexec_b64 s[40:41], s[14:15]
	s_cbranch_execz .LBB154_998
; %bb.1014:                             ;   in Loop: Header=BB154_999 Depth=1
	v_mov_b32_e32 v6, s45
	v_add_co_u32_e64 v17, s[14:15], s46, v17
	v_addc_co_u32_e64 v6, s[14:15], v18, v6, s[14:15]
	v_mov_b32_e32 v18, s21
	v_cndmask_b32_e32 v18, v6, v18, vcc
	v_cndmask_b32_e32 v17, v17, v16, vcc
	flat_load_dwordx2 v[17:18], v[17:18]
	ds_read_b64 v[19:20], v10 offset:384
	s_waitcnt vmcnt(0) lgkmcnt(0)
	v_mul_f32_e32 v6, v20, v18
	v_mul_f32_e32 v18, v19, v18
	v_fma_f32 v6, v19, v17, -v6
	v_fmac_f32_e32 v18, v20, v17
	v_add_f32_e32 v3, v3, v6
	v_add_f32_e32 v4, v4, v18
	s_branch .LBB154_998
.LBB154_1015:
	s_xor_b64 s[4:5], s[22:23], -1
	s_xor_b64 s[8:9], s[38:39], -1
	v_lshlrev_b32_e32 v1, 3, v1
	ds_write_b64 v1, v[3:4] offset:32768
	s_waitcnt lgkmcnt(0)
	s_barrier
	s_and_saveexec_b64 s[10:11], s[6:7]
	s_cbranch_execz .LBB154_1017
; %bb.1016:
	v_lshlrev_b32_e32 v7, 3, v0
	ds_read2st64_b64 v[9:12], v7 offset0:65 offset1:66
	ds_read2st64_b64 v[13:16], v7 offset0:67 offset1:68
	ds_read_b64 v[17:18], v7 offset:40448
	s_waitcnt lgkmcnt(2)
	v_add_f32_e32 v3, v3, v9
	v_add_f32_e32 v4, v4, v10
	;; [unrolled: 1-line block ×4, first 2 shown]
	ds_read2st64_b64 v[3:6], v7 offset0:69 offset1:70
	s_waitcnt lgkmcnt(2)
	v_add_f32_e32 v9, v9, v13
	v_add_f32_e32 v10, v10, v14
	;; [unrolled: 1-line block ×4, first 2 shown]
	s_waitcnt lgkmcnt(0)
	v_add_f32_e32 v3, v9, v3
	ds_read2st64_b64 v[9:12], v7 offset0:71 offset1:72
	v_add_f32_e32 v4, v13, v4
	v_add_f32_e32 v13, v3, v5
	;; [unrolled: 1-line block ×3, first 2 shown]
	ds_read2st64_b64 v[3:6], v7 offset0:73 offset1:74
	s_waitcnt lgkmcnt(1)
	v_add_f32_e32 v9, v13, v9
	v_add_f32_e32 v10, v14, v10
	;; [unrolled: 1-line block ×4, first 2 shown]
	s_waitcnt lgkmcnt(0)
	v_add_f32_e32 v3, v9, v3
	ds_read2st64_b64 v[9:12], v7 offset0:75 offset1:76
	v_add_f32_e32 v4, v13, v4
	v_add_f32_e32 v13, v3, v5
	;; [unrolled: 1-line block ×3, first 2 shown]
	ds_read2st64_b64 v[3:6], v7 offset0:77 offset1:78
	s_waitcnt lgkmcnt(1)
	v_add_f32_e32 v7, v13, v9
	v_add_f32_e32 v9, v14, v10
	;; [unrolled: 1-line block ×4, first 2 shown]
	s_waitcnt lgkmcnt(0)
	v_add_f32_e32 v3, v7, v3
	v_add_f32_e32 v4, v9, v4
	;; [unrolled: 1-line block ×6, first 2 shown]
	v_cndmask_b32_e64 v3, -v3, 0, s[18:19]
	v_cndmask_b32_e64 v4, -v4, 0, s[18:19]
.LBB154_1017:
	s_or_b64 exec, exec, s[10:11]
	s_andn2_b64 vcc, exec, s[8:9]
	s_cbranch_vccnz .LBB154_1030
; %bb.1018:
	v_mov_b32_e32 v5, 0xa000
	v_lshl_or_b32 v7, v2, 3, v5
	s_and_saveexec_b64 s[8:9], s[6:7]
; %bb.1019:
	v_lshl_add_u32 v5, v0, 3, v7
	ds_write_b64 v5, v[3:4]
; %bb.1020:
	s_or_b64 exec, exec, s[8:9]
	v_cmp_ge_u32_e32 vcc, v0, v2
	v_mov_b32_e32 v5, 0
	v_mov_b32_e32 v6, 0
	s_waitcnt lgkmcnt(0)
	s_barrier
	s_and_saveexec_b64 s[8:9], vcc
	s_cbranch_execz .LBB154_1022
; %bb.1021:
	ds_read_b64 v[5:6], v1
	ds_read_b64 v[9:10], v7
	s_waitcnt lgkmcnt(0)
	v_mul_f32_e32 v11, v10, v6
	v_mul_f32_e32 v6, v9, v6
	v_fma_f32 v9, v9, v5, -v11
	v_fmac_f32_e32 v6, v10, v5
	v_add_f32_e32 v5, 0, v9
	v_add_f32_e32 v6, 0, v6
.LBB154_1022:
	s_or_b64 exec, exec, s[8:9]
	v_add_u32_e32 v9, 16, v2
	v_cmp_ge_u32_e32 vcc, v0, v9
	s_and_saveexec_b64 s[8:9], vcc
	s_cbranch_execz .LBB154_1024
; %bb.1023:
	ds_read_b64 v[9:10], v1 offset:8192
	ds_read_b64 v[11:12], v7 offset:128
	s_waitcnt lgkmcnt(0)
	v_mul_f32_e32 v13, v12, v10
	v_mul_f32_e32 v10, v11, v10
	v_fma_f32 v11, v11, v9, -v13
	v_fmac_f32_e32 v10, v12, v9
	v_add_f32_e32 v5, v5, v11
	v_add_f32_e32 v6, v6, v10
.LBB154_1024:
	s_or_b64 exec, exec, s[8:9]
	v_add_u32_e32 v9, 32, v2
	v_cmp_ge_u32_e32 vcc, v0, v9
	s_and_saveexec_b64 s[8:9], vcc
	s_cbranch_execz .LBB154_1026
; %bb.1025:
	ds_read_b64 v[9:10], v1 offset:16384
	ds_read_b64 v[11:12], v7 offset:256
	s_waitcnt lgkmcnt(0)
	v_mul_f32_e32 v13, v12, v10
	v_mul_f32_e32 v10, v11, v10
	v_fma_f32 v11, v11, v9, -v13
	v_fmac_f32_e32 v10, v12, v9
	v_add_f32_e32 v5, v5, v11
	v_add_f32_e32 v6, v6, v10
.LBB154_1026:
	s_or_b64 exec, exec, s[8:9]
	v_add_u32_e32 v2, 48, v2
	v_add_u32_e32 v9, 0x8000, v1
	v_cmp_ge_u32_e32 vcc, v0, v2
	s_and_saveexec_b64 s[8:9], vcc
	s_cbranch_execz .LBB154_1028
; %bb.1027:
	ds_read_b64 v[1:2], v1 offset:24576
	ds_read_b64 v[10:11], v7 offset:384
	s_waitcnt lgkmcnt(0)
	v_mul_f32_e32 v7, v11, v2
	v_mul_f32_e32 v2, v10, v2
	v_fma_f32 v7, v10, v1, -v7
	v_fmac_f32_e32 v2, v11, v1
	v_add_f32_e32 v5, v5, v7
	v_add_f32_e32 v6, v6, v2
.LBB154_1028:
	s_or_b64 exec, exec, s[8:9]
	s_mov_b64 s[10:11], 0
	s_mov_b64 s[8:9], 0
	ds_write_b64 v9, v[5:6]
	s_waitcnt lgkmcnt(0)
	s_barrier
                                        ; implicit-def: $vgpr7
                                        ; implicit-def: $vgpr9
                                        ; implicit-def: $vgpr1_vgpr2
	s_and_saveexec_b64 s[12:13], s[6:7]
	s_cbranch_execz .LBB154_1043
; %bb.1029:
	v_lshlrev_b32_e32 v1, 3, v0
	ds_read2st64_b64 v[9:12], v1 offset0:65 offset1:66
	ds_read2st64_b64 v[13:16], v1 offset0:67 offset1:68
	ds_read_b64 v[17:18], v1 offset:40448
	v_add_u32_e32 v7, s33, v8
	s_mov_b64 s[8:9], exec
	s_waitcnt lgkmcnt(2)
	v_add_f32_e32 v2, v5, v9
	v_add_f32_e32 v5, v6, v10
	v_add_f32_e32 v2, v2, v11
	v_add_f32_e32 v5, v5, v12
	ds_read2st64_b64 v[9:12], v1 offset0:69 offset1:70
	s_waitcnt lgkmcnt(2)
	v_add_f32_e32 v2, v2, v13
	v_add_f32_e32 v5, v5, v14
	v_add_f32_e32 v2, v2, v15
	v_add_f32_e32 v5, v5, v16
	ds_read2st64_b64 v[13:16], v1 offset0:71 offset1:72
	;; [unrolled: 6-line block ×5, first 2 shown]
	s_waitcnt lgkmcnt(1)
	v_add_f32_e32 v1, v2, v13
	v_add_f32_e32 v2, v5, v14
	;; [unrolled: 1-line block ×4, first 2 shown]
	v_mad_u64_u32 v[1:2], s[14:15], s26, v7, 0
	s_waitcnt lgkmcnt(0)
	v_add_f32_e32 v5, v5, v9
	v_add_f32_e32 v9, v6, v10
	;; [unrolled: 1-line block ×3, first 2 shown]
	v_mad_u64_u32 v[5:6], s[14:15], s27, v7, v[2:3]
	v_add_f32_e32 v2, v9, v12
	v_add_f32_e32 v9, v10, v17
	;; [unrolled: 1-line block ×3, first 2 shown]
	v_mov_b32_e32 v2, v5
	s_or_b64 exec, exec, s[12:13]
	s_and_b64 vcc, exec, s[10:11]
	s_cbranch_vccnz .LBB154_1031
	s_branch .LBB154_1044
.LBB154_1030:
	s_mov_b64 s[8:9], 0
                                        ; implicit-def: $vgpr7
                                        ; implicit-def: $vgpr9
                                        ; implicit-def: $vgpr1_vgpr2
	s_cbranch_execz .LBB154_1044
.LBB154_1031:
	v_mul_u32_u24_e32 v1, 0x208, v0
	v_lshlrev_b32_e32 v2, 9, v0
	v_sub_u32_e32 v2, v1, v2
	s_mov_b32 s12, 0
	v_mov_b32_e32 v5, 0
	v_mov_b32_e32 v6, v0
	s_branch .LBB154_1033
.LBB154_1032:                           ;   in Loop: Header=BB154_1033 Depth=1
	s_or_b64 exec, exec, s[10:11]
	s_add_i32 s12, s12, 2
	v_add_u32_e32 v2, 0x400, v2
	s_cmp_lg_u32 s12, 64
	v_add_u32_e32 v6, -2, v6
	s_barrier
	s_cbranch_scc0 .LBB154_1041
.LBB154_1033:                           ; =>This Inner Loop Header: Depth=1
	v_cmp_eq_u32_e32 vcc, 0, v6
	s_and_b64 s[14:15], s[6:7], vcc
	s_and_saveexec_b64 s[10:11], s[14:15]
	s_cbranch_execz .LBB154_1035
; %bb.1034:                             ;   in Loop: Header=BB154_1033 Depth=1
	ds_read_b64 v[9:10], v1
	s_waitcnt lgkmcnt(0)
	v_mul_f32_e32 v7, v4, v10
	v_mul_f32_e32 v11, v3, v10
	v_fma_f32 v10, v3, v9, -v7
	v_fmac_f32_e32 v11, v4, v9
	v_mov_b32_e32 v3, v10
	v_mov_b32_e32 v4, v11
	ds_write_b64 v5, v[10:11] offset:41472
.LBB154_1035:                           ;   in Loop: Header=BB154_1033 Depth=1
	s_or_b64 exec, exec, s[10:11]
	v_cmp_lt_u32_e32 vcc, s12, v0
	s_and_b64 s[14:15], s[6:7], vcc
	s_waitcnt lgkmcnt(0)
	s_barrier
	s_and_saveexec_b64 s[10:11], s[14:15]
	s_cbranch_execz .LBB154_1037
; %bb.1036:                             ;   in Loop: Header=BB154_1033 Depth=1
	ds_read_b64 v[9:10], v2
	ds_read_b64 v[11:12], v5 offset:41472
	s_waitcnt lgkmcnt(0)
	v_mul_f32_e32 v7, v12, v10
	v_mul_f32_e32 v10, v11, v10
	v_fma_f32 v7, v11, v9, -v7
	v_fmac_f32_e32 v10, v12, v9
	v_add_f32_e32 v3, v3, v7
	v_add_f32_e32 v4, v4, v10
.LBB154_1037:                           ;   in Loop: Header=BB154_1033 Depth=1
	s_or_b64 exec, exec, s[10:11]
	s_or_b32 s13, s12, 1
	v_cmp_eq_u32_e32 vcc, s13, v0
	s_and_b64 s[14:15], s[6:7], vcc
	s_barrier
	s_and_saveexec_b64 s[10:11], s[14:15]
	s_cbranch_execz .LBB154_1039
; %bb.1038:                             ;   in Loop: Header=BB154_1033 Depth=1
	ds_read_b64 v[9:10], v1
	s_waitcnt lgkmcnt(0)
	v_mul_f32_e32 v7, v4, v10
	v_mul_f32_e32 v11, v3, v10
	v_fma_f32 v10, v3, v9, -v7
	v_fmac_f32_e32 v11, v4, v9
	v_mov_b32_e32 v3, v10
	v_mov_b32_e32 v4, v11
	ds_write_b64 v5, v[10:11] offset:41472
.LBB154_1039:                           ;   in Loop: Header=BB154_1033 Depth=1
	s_or_b64 exec, exec, s[10:11]
	v_cmp_lt_u32_e32 vcc, s13, v0
	s_and_b64 s[14:15], s[6:7], vcc
	s_waitcnt lgkmcnt(0)
	s_barrier
	s_and_saveexec_b64 s[10:11], s[14:15]
	s_cbranch_execz .LBB154_1032
; %bb.1040:                             ;   in Loop: Header=BB154_1033 Depth=1
	ds_read_b64 v[9:10], v2 offset:512
	ds_read_b64 v[11:12], v5 offset:41472
	s_waitcnt lgkmcnt(0)
	v_mul_f32_e32 v7, v12, v10
	v_mul_f32_e32 v10, v11, v10
	v_fma_f32 v7, v11, v9, -v7
	v_fmac_f32_e32 v10, v12, v9
	v_add_f32_e32 v3, v3, v7
	v_add_f32_e32 v4, v4, v10
	s_branch .LBB154_1032
.LBB154_1041:
	s_and_b64 vcc, exec, s[4:5]
	s_cbranch_vccz .LBB154_1045
; %bb.1042:
	s_and_b64 s[4:5], s[6:7], exec
	s_cbranch_execz .LBB154_1046
	s_branch .LBB154_1047
.LBB154_1043:
	s_or_b64 exec, exec, s[12:13]
	s_and_b64 vcc, exec, s[10:11]
	s_cbranch_vccnz .LBB154_1031
.LBB154_1044:
	v_mov_b32_e32 v4, v7
	v_mov_b32_e32 v3, v9
	s_and_saveexec_b64 s[4:5], s[8:9]
	s_cbranch_execnz .LBB154_1050
	s_branch .LBB154_1051
.LBB154_1045:
	s_mov_b64 s[4:5], 0
.LBB154_1046:
	v_cmp_gt_i32_e32 vcc, s90, v0
	s_and_b64 s[6:7], s[6:7], vcc
	s_andn2_b64 s[4:5], s[4:5], exec
	s_and_b64 s[6:7], s[6:7], exec
	s_or_b64 s[4:5], s[4:5], s[6:7]
.LBB154_1047:
                                        ; implicit-def: $vgpr1_vgpr2
	s_and_saveexec_b64 s[6:7], s[4:5]
	s_cbranch_execz .LBB154_1049
; %bb.1048:
	v_mov_b32_e32 v0, s58
	v_add_co_u32_e32 v1, vcc, s33, v8
	v_addc_co_u32_e32 v0, vcc, 0, v0, vcc
	v_mul_lo_u32 v0, v0, s26
	v_mul_lo_u32 v5, v1, s27
	v_mad_u64_u32 v[1:2], s[4:5], v1, s26, 0
	s_or_b64 s[8:9], s[8:9], exec
	v_add3_u32 v2, v2, v5, v0
.LBB154_1049:
	s_or_b64 exec, exec, s[6:7]
	s_and_saveexec_b64 s[4:5], s[8:9]
	s_cbranch_execz .LBB154_1051
.LBB154_1050:
	v_lshlrev_b64 v[0:1], 3, v[1:2]
	v_mov_b32_e32 v2, s43
	v_add_co_u32_e32 v0, vcc, s42, v0
	v_addc_co_u32_e32 v1, vcc, v2, v1, vcc
	flat_store_dwordx2 v[0:1], v[3:4]
.LBB154_1051:
	s_or_b64 exec, exec, s[4:5]
	v_cmp_eq_u32_e32 vcc, 0, v8
	s_waitcnt vmcnt(0) lgkmcnt(0)
	buffer_wbinvl1_vol
	s_barrier
	s_and_saveexec_b64 s[4:5], vcc
	s_cbranch_execz .LBB154_1053
; %bb.1052:
	s_lshl_b64 s[6:7], s[28:29], 2
	s_add_u32 s6, s16, s6
	s_addc_u32 s7, s17, s7
	v_mov_b32_e32 v0, 0
	global_load_dword v1, v0, s[6:7]
	s_waitcnt vmcnt(0)
	v_add_u32_e32 v1, 1, v1
	global_store_dword v0, v1, s[6:7]
.LBB154_1053:
	s_or_b64 exec, exec, s[4:5]
	s_waitcnt vmcnt(0)
	buffer_wbinvl1_vol
	s_endpgm
.LBB154_1054:
	v_lshlrev_b32_e32 v13, 3, v10
	v_sub_u32_e32 v13, v12, v13
	v_lshl_add_u32 v13, v9, 3, v13
	ds_read_b64 v[13:14], v13 offset:544
	ds_read_b64 v[15:16], v12 offset:8
	s_waitcnt lgkmcnt(0)
	v_mul_f32_e32 v17, v16, v14
	v_mul_f32_e32 v14, v15, v14
	v_fma_f32 v15, v15, v13, -v17
	v_fmac_f32_e32 v14, v16, v13
	v_add_f32_e32 v8, v8, v15
	v_add_f32_e32 v11, v11, v14
	s_or_b64 exec, exec, s[16:17]
	v_cmp_gt_u32_e64 s[12:13], 8, v1
	s_and_saveexec_b64 s[16:17], s[12:13]
	s_cbranch_execz .LBB154_154
.LBB154_1055:
	ds_read_b64 v[13:14], v6 offset:1056
	ds_read_b64 v[15:16], v12 offset:16
	s_waitcnt lgkmcnt(0)
	v_mul_f32_e32 v12, v16, v14
	v_mul_f32_e32 v14, v15, v14
	v_fma_f32 v12, v15, v13, -v12
	v_fmac_f32_e32 v14, v16, v13
	v_add_f32_e32 v8, v8, v12
	v_add_f32_e32 v11, v11, v14
	s_or_b64 exec, exec, s[16:17]
	v_cmp_gt_u32_e64 s[12:13], 4, v1
	s_and_saveexec_b64 s[16:17], s[12:13]
	s_cbranch_execnz .LBB154_155
	s_branch .LBB154_156
.LBB154_1056:
	v_lshlrev_b32_e32 v18, 3, v15
	v_sub_u32_e32 v18, v17, v18
	v_lshl_add_u32 v18, v14, 3, v18
	ds_read_b64 v[18:19], v18 offset:576
	ds_read_b64 v[20:21], v17 offset:8
	s_waitcnt lgkmcnt(0)
	v_mul_f32_e32 v22, v21, v19
	v_mul_f32_e32 v19, v20, v19
	v_fma_f32 v20, v20, v18, -v22
	v_fmac_f32_e32 v19, v21, v18
	v_add_f32_e32 v13, v13, v20
	v_add_f32_e32 v16, v16, v19
	s_or_b64 exec, exec, s[20:21]
	v_cmp_gt_u32_e64 s[14:15], 48, v1
	s_and_saveexec_b64 s[20:21], s[14:15]
	s_cbranch_execz .LBB154_192
.LBB154_1057:
	v_lshlrev_b32_e32 v18, 3, v15
	v_sub_u32_e32 v18, v17, v18
	v_lshl_add_u32 v18, v14, 3, v18
	ds_read_b64 v[18:19], v18 offset:1088
	ds_read_b64 v[20:21], v17 offset:16
	s_waitcnt lgkmcnt(0)
	v_mul_f32_e32 v22, v21, v19
	v_mul_f32_e32 v19, v20, v19
	v_fma_f32 v20, v20, v18, -v22
	v_fmac_f32_e32 v19, v21, v18
	v_add_f32_e32 v13, v13, v20
	v_add_f32_e32 v16, v16, v19
	s_or_b64 exec, exec, s[20:21]
	v_cmp_gt_u32_e64 s[14:15], 40, v1
	s_and_saveexec_b64 s[20:21], s[14:15]
	s_cbranch_execz .LBB154_193
.LBB154_1058:
	v_lshlrev_b32_e32 v18, 3, v15
	v_sub_u32_e32 v18, v17, v18
	v_lshl_add_u32 v18, v14, 3, v18
	ds_read_b64 v[18:19], v18 offset:1600
	ds_read_b64 v[20:21], v17 offset:24
	s_waitcnt lgkmcnt(0)
	v_mul_f32_e32 v22, v21, v19
	v_mul_f32_e32 v19, v20, v19
	v_fma_f32 v20, v20, v18, -v22
	v_fmac_f32_e32 v19, v21, v18
	v_add_f32_e32 v13, v13, v20
	v_add_f32_e32 v16, v16, v19
	s_or_b64 exec, exec, s[20:21]
	v_cmp_gt_u32_e64 s[14:15], 32, v1
	s_and_saveexec_b64 s[20:21], s[14:15]
	s_cbranch_execz .LBB154_194
.LBB154_1059:
	ds_read_b64 v[18:19], v11 offset:2112
	ds_read_b64 v[20:21], v17 offset:32
	s_waitcnt lgkmcnt(0)
	v_mul_f32_e32 v22, v21, v19
	v_mul_f32_e32 v19, v20, v19
	v_fma_f32 v20, v20, v18, -v22
	v_fmac_f32_e32 v19, v21, v18
	v_add_f32_e32 v13, v13, v20
	v_add_f32_e32 v16, v16, v19
	s_or_b64 exec, exec, s[20:21]
	v_cmp_gt_u32_e64 s[14:15], 24, v1
	s_and_saveexec_b64 s[20:21], s[14:15]
	s_cbranch_execz .LBB154_195
.LBB154_1060:
	v_lshlrev_b32_e32 v18, 3, v15
	v_sub_u32_e32 v18, v17, v18
	v_lshl_add_u32 v18, v14, 3, v18
	ds_read_b64 v[18:19], v18 offset:2624
	ds_read_b64 v[20:21], v17 offset:40
	s_waitcnt lgkmcnt(0)
	v_mul_f32_e32 v22, v21, v19
	v_mul_f32_e32 v19, v20, v19
	v_fma_f32 v20, v20, v18, -v22
	v_fmac_f32_e32 v19, v21, v18
	v_add_f32_e32 v13, v13, v20
	v_add_f32_e32 v16, v16, v19
	s_or_b64 exec, exec, s[20:21]
	v_cmp_gt_u32_e64 s[14:15], 16, v1
	s_and_saveexec_b64 s[20:21], s[14:15]
	s_cbranch_execz .LBB154_196
.LBB154_1061:
	ds_read_b64 v[18:19], v11 offset:3136
	ds_read_b64 v[20:21], v17 offset:48
	s_waitcnt lgkmcnt(0)
	v_mul_f32_e32 v17, v21, v19
	v_mul_f32_e32 v19, v20, v19
	v_fma_f32 v17, v20, v18, -v17
	v_fmac_f32_e32 v19, v21, v18
	v_add_f32_e32 v13, v13, v17
	v_add_f32_e32 v16, v16, v19
	s_or_b64 exec, exec, s[20:21]
	v_cmp_gt_u32_e64 s[14:15], 8, v1
	s_and_saveexec_b64 s[20:21], s[14:15]
	s_cbranch_execnz .LBB154_197
	s_branch .LBB154_198
.LBB154_1062:
	v_lshlrev_b32_e32 v19, 3, v10
	v_sub_u32_e32 v19, v17, v19
	v_lshl_add_u32 v19, v9, 3, v19
	ds_read_b64 v[19:20], v19 offset:4704
	ds_read_b64 v[21:22], v17 offset:4168
	s_waitcnt lgkmcnt(0)
	v_mul_f32_e32 v23, v22, v20
	v_mul_f32_e32 v20, v21, v20
	v_fma_f32 v21, v21, v19, -v23
	v_fmac_f32_e32 v20, v22, v19
	v_add_f32_e32 v16, v16, v21
	v_add_f32_e32 v18, v18, v20
	s_or_b64 exec, exec, s[16:17]
	v_cmp_gt_u32_e64 s[12:13], 8, v1
	s_and_saveexec_b64 s[16:17], s[12:13]
	s_cbranch_execz .LBB154_250
.LBB154_1063:
	ds_read_b64 v[19:20], v6 offset:5216
	ds_read_b64 v[21:22], v17 offset:4176
	s_waitcnt lgkmcnt(0)
	v_mul_f32_e32 v17, v22, v20
	v_mul_f32_e32 v20, v21, v20
	v_fma_f32 v17, v21, v19, -v17
	v_fmac_f32_e32 v20, v22, v19
	v_add_f32_e32 v16, v16, v17
	v_add_f32_e32 v18, v18, v20
	s_or_b64 exec, exec, s[16:17]
	v_cmp_gt_u32_e64 s[12:13], 4, v1
	s_and_saveexec_b64 s[16:17], s[12:13]
	s_cbranch_execnz .LBB154_251
	s_branch .LBB154_252
.LBB154_1064:
	v_lshlrev_b32_e32 v23, 3, v17
	v_lshl_add_u32 v23, v19, 3, v23
	ds_read_b64 v[23:24], v23 offset:5760
	ds_read_b64 v[25:26], v22 offset:88
	s_waitcnt lgkmcnt(0)
	v_mul_f32_e32 v27, v26, v24
	v_mul_f32_e32 v24, v25, v24
	v_fma_f32 v25, v25, v23, -v27
	v_fmac_f32_e32 v24, v26, v23
	v_add_f32_e32 v18, v18, v25
	v_add_f32_e32 v21, v21, v24
	s_or_b64 exec, exec, s[34:35]
	v_cmp_gt_u32_e64 s[16:17], 64, v1
	s_and_saveexec_b64 s[34:35], s[16:17]
	s_cbranch_execz .LBB154_308
.LBB154_1065:
	ds_read_b64 v[23:24], v16 offset:6272
	ds_read_b64 v[25:26], v22 offset:96
	s_waitcnt lgkmcnt(0)
	v_mul_f32_e32 v27, v26, v24
	v_mul_f32_e32 v24, v25, v24
	v_fma_f32 v25, v25, v23, -v27
	v_fmac_f32_e32 v24, v26, v23
	v_add_f32_e32 v18, v18, v25
	v_add_f32_e32 v21, v21, v24
	s_or_b64 exec, exec, s[34:35]
	v_cmp_gt_u32_e64 s[16:17], 48, v1
	s_and_saveexec_b64 s[34:35], s[16:17]
	s_cbranch_execz .LBB154_309
.LBB154_1066:
	v_lshlrev_b32_e32 v23, 3, v17
	v_lshl_add_u32 v23, v19, 3, v23
	ds_read_b64 v[23:24], v23 offset:6784
	ds_read_b64 v[25:26], v22 offset:104
	s_waitcnt lgkmcnt(0)
	v_mul_f32_e32 v27, v26, v24
	v_mul_f32_e32 v24, v25, v24
	v_fma_f32 v25, v25, v23, -v27
	v_fmac_f32_e32 v24, v26, v23
	v_add_f32_e32 v18, v18, v25
	v_add_f32_e32 v21, v21, v24
	s_or_b64 exec, exec, s[34:35]
	v_cmp_gt_u32_e64 s[16:17], 32, v1
	s_and_saveexec_b64 s[34:35], s[16:17]
	s_cbranch_execz .LBB154_310
.LBB154_1067:
	ds_read_b64 v[23:24], v16 offset:7296
	ds_read_b64 v[25:26], v22 offset:112
	s_waitcnt lgkmcnt(0)
	v_mul_f32_e32 v22, v26, v24
	v_mul_f32_e32 v24, v25, v24
	v_fma_f32 v22, v25, v23, -v22
	v_fmac_f32_e32 v24, v26, v23
	v_add_f32_e32 v18, v18, v22
	v_add_f32_e32 v21, v21, v24
	s_or_b64 exec, exec, s[34:35]
	v_cmp_gt_u32_e64 s[16:17], 16, v1
	s_and_saveexec_b64 s[34:35], s[16:17]
	s_cbranch_execnz .LBB154_311
	s_branch .LBB154_312
.LBB154_1068:
	v_lshlrev_b32_e32 v24, 3, v10
	v_sub_u32_e32 v24, v22, v24
	v_lshl_add_u32 v24, v9, 3, v24
	ds_read_b64 v[24:25], v24 offset:8864
	ds_read_b64 v[26:27], v22 offset:8328
	s_waitcnt lgkmcnt(0)
	v_mul_f32_e32 v28, v27, v25
	v_mul_f32_e32 v25, v26, v25
	v_fma_f32 v26, v26, v24, -v28
	v_fmac_f32_e32 v25, v27, v24
	v_add_f32_e32 v21, v21, v26
	v_add_f32_e32 v23, v23, v25
	s_or_b64 exec, exec, s[20:21]
	v_cmp_gt_u32_e64 s[14:15], 8, v1
	s_and_saveexec_b64 s[20:21], s[14:15]
	s_cbranch_execz .LBB154_396
.LBB154_1069:
	ds_read_b64 v[24:25], v6 offset:9376
	ds_read_b64 v[26:27], v22 offset:8336
	s_waitcnt lgkmcnt(0)
	v_mul_f32_e32 v22, v27, v25
	v_mul_f32_e32 v25, v26, v25
	v_fma_f32 v22, v26, v24, -v22
	v_fmac_f32_e32 v25, v27, v24
	v_add_f32_e32 v21, v21, v22
	v_add_f32_e32 v23, v23, v25
	s_or_b64 exec, exec, s[20:21]
	v_cmp_gt_u32_e64 s[14:15], 4, v1
	s_and_saveexec_b64 s[20:21], s[14:15]
	s_cbranch_execnz .LBB154_397
	s_branch .LBB154_398
.LBB154_1070:
	v_lshlrev_b32_e32 v24, 3, v15
	v_sub_u32_e32 v24, v22, v24
	v_lshl_add_u32 v24, v14, 3, v24
	ds_read_b64 v[24:25], v24 offset:8896
	ds_read_b64 v[26:27], v22 offset:8328
	s_waitcnt lgkmcnt(0)
	v_mul_f32_e32 v28, v27, v25
	v_mul_f32_e32 v25, v26, v25
	v_fma_f32 v26, v26, v24, -v28
	v_fmac_f32_e32 v25, v27, v24
	v_add_f32_e32 v21, v21, v26
	v_add_f32_e32 v23, v23, v25
	s_or_b64 exec, exec, s[20:21]
	v_cmp_gt_u32_e64 s[14:15], 48, v1
	s_and_saveexec_b64 s[20:21], s[14:15]
	s_cbranch_execz .LBB154_434
.LBB154_1071:
	v_lshlrev_b32_e32 v24, 3, v15
	v_sub_u32_e32 v24, v22, v24
	v_lshl_add_u32 v24, v14, 3, v24
	ds_read_b64 v[24:25], v24 offset:9408
	ds_read_b64 v[26:27], v22 offset:8336
	s_waitcnt lgkmcnt(0)
	v_mul_f32_e32 v28, v27, v25
	v_mul_f32_e32 v25, v26, v25
	v_fma_f32 v26, v26, v24, -v28
	v_fmac_f32_e32 v25, v27, v24
	v_add_f32_e32 v21, v21, v26
	v_add_f32_e32 v23, v23, v25
	s_or_b64 exec, exec, s[20:21]
	v_cmp_gt_u32_e64 s[14:15], 40, v1
	s_and_saveexec_b64 s[20:21], s[14:15]
	s_cbranch_execz .LBB154_435
.LBB154_1072:
	v_lshlrev_b32_e32 v24, 3, v15
	v_sub_u32_e32 v24, v22, v24
	v_lshl_add_u32 v24, v14, 3, v24
	ds_read_b64 v[24:25], v24 offset:9920
	ds_read_b64 v[26:27], v22 offset:8344
	s_waitcnt lgkmcnt(0)
	v_mul_f32_e32 v28, v27, v25
	v_mul_f32_e32 v25, v26, v25
	v_fma_f32 v26, v26, v24, -v28
	v_fmac_f32_e32 v25, v27, v24
	v_add_f32_e32 v21, v21, v26
	v_add_f32_e32 v23, v23, v25
	s_or_b64 exec, exec, s[20:21]
	v_cmp_gt_u32_e64 s[14:15], 32, v1
	s_and_saveexec_b64 s[20:21], s[14:15]
	s_cbranch_execz .LBB154_436
.LBB154_1073:
	ds_read_b64 v[24:25], v11 offset:10432
	ds_read_b64 v[26:27], v22 offset:8352
	s_waitcnt lgkmcnt(0)
	v_mul_f32_e32 v28, v27, v25
	v_mul_f32_e32 v25, v26, v25
	v_fma_f32 v26, v26, v24, -v28
	v_fmac_f32_e32 v25, v27, v24
	v_add_f32_e32 v21, v21, v26
	v_add_f32_e32 v23, v23, v25
	s_or_b64 exec, exec, s[20:21]
	v_cmp_gt_u32_e64 s[14:15], 24, v1
	s_and_saveexec_b64 s[20:21], s[14:15]
	s_cbranch_execz .LBB154_437
.LBB154_1074:
	v_lshlrev_b32_e32 v24, 3, v15
	v_sub_u32_e32 v24, v22, v24
	v_lshl_add_u32 v24, v14, 3, v24
	ds_read_b64 v[24:25], v24 offset:10944
	ds_read_b64 v[26:27], v22 offset:8360
	s_waitcnt lgkmcnt(0)
	v_mul_f32_e32 v28, v27, v25
	v_mul_f32_e32 v25, v26, v25
	v_fma_f32 v26, v26, v24, -v28
	v_fmac_f32_e32 v25, v27, v24
	v_add_f32_e32 v21, v21, v26
	v_add_f32_e32 v23, v23, v25
	s_or_b64 exec, exec, s[20:21]
	v_cmp_gt_u32_e64 s[14:15], 16, v1
	s_and_saveexec_b64 s[20:21], s[14:15]
	s_cbranch_execz .LBB154_438
.LBB154_1075:
	ds_read_b64 v[24:25], v11 offset:11456
	ds_read_b64 v[26:27], v22 offset:8368
	s_waitcnt lgkmcnt(0)
	v_mul_f32_e32 v22, v27, v25
	v_mul_f32_e32 v25, v26, v25
	v_fma_f32 v22, v26, v24, -v22
	v_fmac_f32_e32 v25, v27, v24
	v_add_f32_e32 v21, v21, v22
	v_add_f32_e32 v23, v23, v25
	s_or_b64 exec, exec, s[20:21]
	v_cmp_gt_u32_e64 s[14:15], 8, v1
	s_and_saveexec_b64 s[20:21], s[14:15]
	s_cbranch_execnz .LBB154_439
	s_branch .LBB154_440
.LBB154_1076:
	v_lshlrev_b32_e32 v24, 3, v10
	v_sub_u32_e32 v24, v22, v24
	v_lshl_add_u32 v24, v9, 3, v24
	ds_read_b64 v[24:25], v24 offset:13024
	ds_read_b64 v[26:27], v22 offset:12488
	s_waitcnt lgkmcnt(0)
	v_mul_f32_e32 v28, v27, v25
	v_mul_f32_e32 v25, v26, v25
	v_fma_f32 v26, v26, v24, -v28
	v_fmac_f32_e32 v25, v27, v24
	v_add_f32_e32 v21, v21, v26
	v_add_f32_e32 v23, v23, v25
	s_or_b64 exec, exec, s[20:21]
	v_cmp_gt_u32_e64 s[14:15], 8, v1
	s_and_saveexec_b64 s[20:21], s[14:15]
	s_cbranch_execz .LBB154_492
.LBB154_1077:
	ds_read_b64 v[24:25], v6 offset:13536
	ds_read_b64 v[26:27], v22 offset:12496
	s_waitcnt lgkmcnt(0)
	v_mul_f32_e32 v22, v27, v25
	v_mul_f32_e32 v25, v26, v25
	v_fma_f32 v22, v26, v24, -v22
	v_fmac_f32_e32 v25, v27, v24
	v_add_f32_e32 v21, v21, v22
	v_add_f32_e32 v23, v23, v25
	s_or_b64 exec, exec, s[20:21]
	v_cmp_gt_u32_e64 s[14:15], 4, v1
	s_and_saveexec_b64 s[20:21], s[14:15]
	s_cbranch_execnz .LBB154_493
	s_branch .LBB154_494
.LBB154_1078:
	ds_read_b64 v[29:30], v28 offset:15104
	ds_read_b64 v[31:32], v27 offset:232
	s_waitcnt lgkmcnt(0)
	v_mul_f32_e32 v33, v32, v30
	v_mul_f32_e32 v30, v31, v30
	v_fma_f32 v31, v31, v29, -v33
	v_fmac_f32_e32 v30, v32, v29
	v_add_f32_e32 v24, v24, v31
	v_add_f32_e32 v25, v25, v30
	s_or_b64 exec, exec, s[88:89]
	v_cmp_gt_u32_e64 s[20:21], 64, v1
	s_and_saveexec_b64 s[88:89], s[20:21]
	s_cbranch_execz .LBB154_586
.LBB154_1079:
	ds_read_b64 v[28:29], v28 offset:15616
	ds_read_b64 v[30:31], v27 offset:240
	s_waitcnt lgkmcnt(0)
	v_mul_f32_e32 v32, v31, v29
	v_mul_f32_e32 v29, v30, v29
	v_fma_f32 v30, v30, v28, -v32
	v_fmac_f32_e32 v29, v31, v28
	v_add_f32_e32 v24, v24, v30
	v_add_f32_e32 v25, v25, v29
	s_or_b64 exec, exec, s[88:89]
	v_cmp_gt_u32_e64 s[20:21], 32, v1
	s_and_saveexec_b64 s[88:89], s[20:21]
	s_cbranch_execnz .LBB154_587
	s_branch .LBB154_588
.LBB154_1080:
	v_lshlrev_b32_e32 v24, 3, v10
	v_sub_u32_e32 v24, v22, v24
	v_lshl_add_u32 v24, v9, 3, v24
	ds_read_b64 v[24:25], v24 offset:17184
	ds_read_b64 v[26:27], v22 offset:16648
	s_waitcnt lgkmcnt(0)
	v_mul_f32_e32 v28, v27, v25
	v_mul_f32_e32 v25, v26, v25
	v_fma_f32 v26, v26, v24, -v28
	v_fmac_f32_e32 v25, v27, v24
	v_add_f32_e32 v21, v21, v26
	v_add_f32_e32 v23, v23, v25
	s_or_b64 exec, exec, s[20:21]
	v_cmp_gt_u32_e64 s[14:15], 8, v1
	s_and_saveexec_b64 s[20:21], s[14:15]
	s_cbranch_execz .LBB154_620
.LBB154_1081:
	ds_read_b64 v[24:25], v6 offset:17696
	ds_read_b64 v[26:27], v22 offset:16656
	s_waitcnt lgkmcnt(0)
	v_mul_f32_e32 v22, v27, v25
	v_mul_f32_e32 v25, v26, v25
	v_fma_f32 v22, v26, v24, -v22
	v_fmac_f32_e32 v25, v27, v24
	v_add_f32_e32 v21, v21, v22
	v_add_f32_e32 v23, v23, v25
	s_or_b64 exec, exec, s[20:21]
	v_cmp_gt_u32_e64 s[14:15], 4, v1
	s_and_saveexec_b64 s[20:21], s[14:15]
	s_cbranch_execnz .LBB154_621
	s_branch .LBB154_622
.LBB154_1082:
	v_lshlrev_b32_e32 v24, 3, v15
	v_sub_u32_e32 v24, v22, v24
	v_lshl_add_u32 v24, v14, 3, v24
	ds_read_b64 v[24:25], v24 offset:17216
	ds_read_b64 v[26:27], v22 offset:16648
	s_waitcnt lgkmcnt(0)
	v_mul_f32_e32 v28, v27, v25
	v_mul_f32_e32 v25, v26, v25
	v_fma_f32 v26, v26, v24, -v28
	v_fmac_f32_e32 v25, v27, v24
	v_add_f32_e32 v21, v21, v26
	v_add_f32_e32 v23, v23, v25
	s_or_b64 exec, exec, s[20:21]
	v_cmp_gt_u32_e64 s[14:15], 48, v1
	s_and_saveexec_b64 s[20:21], s[14:15]
	s_cbranch_execz .LBB154_658
.LBB154_1083:
	v_lshlrev_b32_e32 v24, 3, v15
	v_sub_u32_e32 v24, v22, v24
	v_lshl_add_u32 v24, v14, 3, v24
	ds_read_b64 v[24:25], v24 offset:17728
	ds_read_b64 v[26:27], v22 offset:16656
	s_waitcnt lgkmcnt(0)
	v_mul_f32_e32 v28, v27, v25
	v_mul_f32_e32 v25, v26, v25
	v_fma_f32 v26, v26, v24, -v28
	v_fmac_f32_e32 v25, v27, v24
	v_add_f32_e32 v21, v21, v26
	v_add_f32_e32 v23, v23, v25
	s_or_b64 exec, exec, s[20:21]
	v_cmp_gt_u32_e64 s[14:15], 40, v1
	s_and_saveexec_b64 s[20:21], s[14:15]
	s_cbranch_execz .LBB154_659
.LBB154_1084:
	v_lshlrev_b32_e32 v24, 3, v15
	v_sub_u32_e32 v24, v22, v24
	v_lshl_add_u32 v24, v14, 3, v24
	ds_read_b64 v[24:25], v24 offset:18240
	ds_read_b64 v[26:27], v22 offset:16664
	s_waitcnt lgkmcnt(0)
	v_mul_f32_e32 v28, v27, v25
	v_mul_f32_e32 v25, v26, v25
	v_fma_f32 v26, v26, v24, -v28
	v_fmac_f32_e32 v25, v27, v24
	v_add_f32_e32 v21, v21, v26
	v_add_f32_e32 v23, v23, v25
	s_or_b64 exec, exec, s[20:21]
	v_cmp_gt_u32_e64 s[14:15], 32, v1
	s_and_saveexec_b64 s[20:21], s[14:15]
	s_cbranch_execz .LBB154_660
.LBB154_1085:
	ds_read_b64 v[24:25], v11 offset:18752
	ds_read_b64 v[26:27], v22 offset:16672
	s_waitcnt lgkmcnt(0)
	v_mul_f32_e32 v28, v27, v25
	v_mul_f32_e32 v25, v26, v25
	v_fma_f32 v26, v26, v24, -v28
	v_fmac_f32_e32 v25, v27, v24
	v_add_f32_e32 v21, v21, v26
	v_add_f32_e32 v23, v23, v25
	s_or_b64 exec, exec, s[20:21]
	v_cmp_gt_u32_e64 s[14:15], 24, v1
	s_and_saveexec_b64 s[20:21], s[14:15]
	s_cbranch_execz .LBB154_661
.LBB154_1086:
	v_lshlrev_b32_e32 v24, 3, v15
	v_sub_u32_e32 v24, v22, v24
	v_lshl_add_u32 v24, v14, 3, v24
	ds_read_b64 v[24:25], v24 offset:19264
	ds_read_b64 v[26:27], v22 offset:16680
	s_waitcnt lgkmcnt(0)
	v_mul_f32_e32 v28, v27, v25
	v_mul_f32_e32 v25, v26, v25
	v_fma_f32 v26, v26, v24, -v28
	v_fmac_f32_e32 v25, v27, v24
	v_add_f32_e32 v21, v21, v26
	v_add_f32_e32 v23, v23, v25
	s_or_b64 exec, exec, s[20:21]
	v_cmp_gt_u32_e64 s[14:15], 16, v1
	s_and_saveexec_b64 s[20:21], s[14:15]
	s_cbranch_execz .LBB154_662
.LBB154_1087:
	ds_read_b64 v[24:25], v11 offset:19776
	ds_read_b64 v[26:27], v22 offset:16688
	s_waitcnt lgkmcnt(0)
	v_mul_f32_e32 v22, v27, v25
	v_mul_f32_e32 v25, v26, v25
	v_fma_f32 v22, v26, v24, -v22
	v_fmac_f32_e32 v25, v27, v24
	v_add_f32_e32 v21, v21, v22
	v_add_f32_e32 v23, v23, v25
	s_or_b64 exec, exec, s[20:21]
	v_cmp_gt_u32_e64 s[14:15], 8, v1
	s_and_saveexec_b64 s[20:21], s[14:15]
	s_cbranch_execnz .LBB154_663
	s_branch .LBB154_664
.LBB154_1088:
	v_lshlrev_b32_e32 v24, 3, v10
	v_sub_u32_e32 v24, v22, v24
	v_lshl_add_u32 v24, v9, 3, v24
	ds_read_b64 v[24:25], v24 offset:21344
	ds_read_b64 v[26:27], v22 offset:20808
	s_waitcnt lgkmcnt(0)
	v_mul_f32_e32 v28, v27, v25
	v_mul_f32_e32 v25, v26, v25
	v_fma_f32 v26, v26, v24, -v28
	v_fmac_f32_e32 v25, v27, v24
	v_add_f32_e32 v21, v21, v26
	v_add_f32_e32 v23, v23, v25
	s_or_b64 exec, exec, s[20:21]
	v_cmp_gt_u32_e64 s[14:15], 8, v1
	s_and_saveexec_b64 s[20:21], s[14:15]
	s_cbranch_execz .LBB154_716
.LBB154_1089:
	ds_read_b64 v[24:25], v6 offset:21856
	ds_read_b64 v[26:27], v22 offset:20816
	s_waitcnt lgkmcnt(0)
	v_mul_f32_e32 v22, v27, v25
	v_mul_f32_e32 v25, v26, v25
	v_fma_f32 v22, v26, v24, -v22
	v_fmac_f32_e32 v25, v27, v24
	v_add_f32_e32 v21, v21, v22
	v_add_f32_e32 v23, v23, v25
	s_or_b64 exec, exec, s[20:21]
	v_cmp_gt_u32_e64 s[14:15], 4, v1
	s_and_saveexec_b64 s[20:21], s[14:15]
	s_cbranch_execnz .LBB154_717
	s_branch .LBB154_718
.LBB154_1090:
	v_lshlrev_b32_e32 v20, 3, v17
	v_lshl_add_u32 v20, v19, 3, v20
	ds_read_b64 v[24:25], v20 offset:22400
	ds_read_b64 v[26:27], v22 offset:16728
	s_waitcnt lgkmcnt(0)
	v_mul_f32_e32 v20, v27, v25
	v_mul_f32_e32 v25, v26, v25
	v_fma_f32 v20, v26, v24, -v20
	v_fmac_f32_e32 v25, v27, v24
	v_add_f32_e32 v21, v21, v20
	v_add_f32_e32 v23, v23, v25
	s_or_b64 exec, exec, s[20:21]
	v_cmp_gt_u32_e64 s[14:15], 64, v1
	s_and_saveexec_b64 s[20:21], s[14:15]
	s_cbranch_execz .LBB154_774
.LBB154_1091:
	ds_read_b64 v[24:25], v16 offset:22912
	ds_read_b64 v[26:27], v22 offset:16736
	s_waitcnt lgkmcnt(0)
	v_mul_f32_e32 v20, v27, v25
	v_mul_f32_e32 v25, v26, v25
	v_fma_f32 v20, v26, v24, -v20
	v_fmac_f32_e32 v25, v27, v24
	v_add_f32_e32 v21, v21, v20
	v_add_f32_e32 v23, v23, v25
	s_or_b64 exec, exec, s[20:21]
	v_cmp_gt_u32_e64 s[14:15], 48, v1
	s_and_saveexec_b64 s[20:21], s[14:15]
	s_cbranch_execz .LBB154_775
.LBB154_1092:
	v_lshlrev_b32_e32 v20, 3, v17
	v_lshl_add_u32 v19, v19, 3, v20
	ds_read_b64 v[19:20], v19 offset:23424
	ds_read_b64 v[24:25], v22 offset:16744
	s_waitcnt lgkmcnt(0)
	v_mul_f32_e32 v26, v25, v20
	v_mul_f32_e32 v20, v24, v20
	v_fma_f32 v24, v24, v19, -v26
	v_fmac_f32_e32 v20, v25, v19
	v_add_f32_e32 v21, v21, v24
	v_add_f32_e32 v23, v23, v20
	s_or_b64 exec, exec, s[20:21]
	v_cmp_gt_u32_e64 s[14:15], 32, v1
	s_and_saveexec_b64 s[20:21], s[14:15]
	s_cbranch_execz .LBB154_776
.LBB154_1093:
	ds_read_b64 v[19:20], v16 offset:23936
	ds_read_b64 v[24:25], v22 offset:16752
	s_waitcnt lgkmcnt(0)
	v_mul_f32_e32 v22, v25, v20
	v_mul_f32_e32 v20, v24, v20
	v_fma_f32 v22, v24, v19, -v22
	v_fmac_f32_e32 v20, v25, v19
	v_add_f32_e32 v21, v21, v22
	v_add_f32_e32 v23, v23, v20
	s_or_b64 exec, exec, s[20:21]
	v_cmp_gt_u32_e64 s[14:15], 16, v1
	s_and_saveexec_b64 s[20:21], s[14:15]
	s_cbranch_execnz .LBB154_777
	s_branch .LBB154_778
.LBB154_1094:
	v_lshlrev_b32_e32 v19, 3, v10
	v_sub_u32_e32 v19, v17, v19
	v_lshl_add_u32 v19, v9, 3, v19
	ds_read_b64 v[19:20], v19 offset:25504
	ds_read_b64 v[21:22], v17 offset:24968
	s_waitcnt lgkmcnt(0)
	v_mul_f32_e32 v23, v22, v20
	v_mul_f32_e32 v20, v21, v20
	v_fma_f32 v21, v21, v19, -v23
	v_fmac_f32_e32 v20, v22, v19
	v_add_f32_e32 v16, v16, v21
	v_add_f32_e32 v18, v18, v20
	s_or_b64 exec, exec, s[16:17]
	v_cmp_gt_u32_e64 s[12:13], 8, v1
	s_and_saveexec_b64 s[16:17], s[12:13]
	s_cbranch_execz .LBB154_862
.LBB154_1095:
	ds_read_b64 v[19:20], v6 offset:26016
	ds_read_b64 v[21:22], v17 offset:24976
	s_waitcnt lgkmcnt(0)
	v_mul_f32_e32 v17, v22, v20
	v_mul_f32_e32 v20, v21, v20
	v_fma_f32 v17, v21, v19, -v17
	v_fmac_f32_e32 v20, v22, v19
	v_add_f32_e32 v16, v16, v17
	v_add_f32_e32 v18, v18, v20
	s_or_b64 exec, exec, s[16:17]
	v_cmp_gt_u32_e64 s[12:13], 4, v1
	s_and_saveexec_b64 s[16:17], s[12:13]
	s_cbranch_execnz .LBB154_863
	s_branch .LBB154_864
.LBB154_1096:
	v_lshlrev_b32_e32 v19, 3, v15
	v_sub_u32_e32 v19, v17, v19
	v_lshl_add_u32 v19, v14, 3, v19
	ds_read_b64 v[19:20], v19 offset:25536
	ds_read_b64 v[21:22], v17 offset:24968
	s_waitcnt lgkmcnt(0)
	v_mul_f32_e32 v23, v22, v20
	v_mul_f32_e32 v20, v21, v20
	v_fma_f32 v21, v21, v19, -v23
	v_fmac_f32_e32 v20, v22, v19
	v_add_f32_e32 v16, v16, v21
	v_add_f32_e32 v18, v18, v20
	s_or_b64 exec, exec, s[16:17]
	v_cmp_gt_u32_e64 s[12:13], 48, v1
	s_and_saveexec_b64 s[16:17], s[12:13]
	s_cbranch_execz .LBB154_900
.LBB154_1097:
	v_lshlrev_b32_e32 v19, 3, v15
	v_sub_u32_e32 v19, v17, v19
	v_lshl_add_u32 v19, v14, 3, v19
	ds_read_b64 v[19:20], v19 offset:26048
	ds_read_b64 v[21:22], v17 offset:24976
	s_waitcnt lgkmcnt(0)
	v_mul_f32_e32 v23, v22, v20
	v_mul_f32_e32 v20, v21, v20
	v_fma_f32 v21, v21, v19, -v23
	v_fmac_f32_e32 v20, v22, v19
	v_add_f32_e32 v16, v16, v21
	v_add_f32_e32 v18, v18, v20
	s_or_b64 exec, exec, s[16:17]
	v_cmp_gt_u32_e64 s[12:13], 40, v1
	s_and_saveexec_b64 s[16:17], s[12:13]
	s_cbranch_execz .LBB154_901
.LBB154_1098:
	v_lshlrev_b32_e32 v19, 3, v15
	v_sub_u32_e32 v19, v17, v19
	v_lshl_add_u32 v19, v14, 3, v19
	ds_read_b64 v[19:20], v19 offset:26560
	ds_read_b64 v[21:22], v17 offset:24984
	s_waitcnt lgkmcnt(0)
	v_mul_f32_e32 v23, v22, v20
	v_mul_f32_e32 v20, v21, v20
	v_fma_f32 v21, v21, v19, -v23
	v_fmac_f32_e32 v20, v22, v19
	v_add_f32_e32 v16, v16, v21
	v_add_f32_e32 v18, v18, v20
	s_or_b64 exec, exec, s[16:17]
	v_cmp_gt_u32_e64 s[12:13], 32, v1
	s_and_saveexec_b64 s[16:17], s[12:13]
	s_cbranch_execz .LBB154_902
.LBB154_1099:
	ds_read_b64 v[19:20], v11 offset:27072
	ds_read_b64 v[21:22], v17 offset:24992
	s_waitcnt lgkmcnt(0)
	v_mul_f32_e32 v23, v22, v20
	v_mul_f32_e32 v20, v21, v20
	v_fma_f32 v21, v21, v19, -v23
	v_fmac_f32_e32 v20, v22, v19
	v_add_f32_e32 v16, v16, v21
	v_add_f32_e32 v18, v18, v20
	s_or_b64 exec, exec, s[16:17]
	v_cmp_gt_u32_e64 s[12:13], 24, v1
	s_and_saveexec_b64 s[16:17], s[12:13]
	s_cbranch_execz .LBB154_903
.LBB154_1100:
	v_lshlrev_b32_e32 v15, 3, v15
	v_sub_u32_e32 v15, v17, v15
	v_lshl_add_u32 v14, v14, 3, v15
	ds_read_b64 v[14:15], v14 offset:27584
	ds_read_b64 v[19:20], v17 offset:25000
	s_waitcnt lgkmcnt(0)
	v_mul_f32_e32 v21, v20, v15
	v_mul_f32_e32 v15, v19, v15
	v_fma_f32 v19, v19, v14, -v21
	v_fmac_f32_e32 v15, v20, v14
	v_add_f32_e32 v16, v16, v19
	v_add_f32_e32 v18, v18, v15
	s_or_b64 exec, exec, s[16:17]
	v_cmp_gt_u32_e64 s[12:13], 16, v1
	s_and_saveexec_b64 s[16:17], s[12:13]
	s_cbranch_execz .LBB154_904
.LBB154_1101:
	ds_read_b64 v[14:15], v11 offset:28096
	ds_read_b64 v[19:20], v17 offset:25008
	s_waitcnt lgkmcnt(0)
	v_mul_f32_e32 v17, v20, v15
	v_mul_f32_e32 v15, v19, v15
	v_fma_f32 v17, v19, v14, -v17
	v_fmac_f32_e32 v15, v20, v14
	v_add_f32_e32 v16, v16, v17
	v_add_f32_e32 v18, v18, v15
	s_or_b64 exec, exec, s[16:17]
	v_cmp_gt_u32_e64 s[12:13], 8, v1
	s_and_saveexec_b64 s[16:17], s[12:13]
	s_cbranch_execnz .LBB154_905
	s_branch .LBB154_906
.LBB154_1102:
	v_lshlrev_b32_e32 v10, 3, v10
	v_sub_u32_e32 v10, v12, v10
	v_lshl_add_u32 v9, v9, 3, v10
	ds_read_b64 v[9:10], v9 offset:29664
	ds_read_b64 v[14:15], v12 offset:29128
	s_waitcnt lgkmcnt(0)
	v_mul_f32_e32 v16, v15, v10
	v_mul_f32_e32 v10, v14, v10
	v_fma_f32 v14, v14, v9, -v16
	v_fmac_f32_e32 v10, v15, v9
	v_add_f32_e32 v11, v11, v14
	v_add_f32_e32 v13, v13, v10
	s_or_b64 exec, exec, s[14:15]
	v_cmp_gt_u32_e64 s[10:11], 8, v1
	s_and_saveexec_b64 s[14:15], s[10:11]
	s_cbranch_execz .LBB154_958
.LBB154_1103:
	ds_read_b64 v[9:10], v6 offset:30176
	ds_read_b64 v[14:15], v12 offset:29136
	s_waitcnt lgkmcnt(0)
	v_mul_f32_e32 v12, v15, v10
	v_mul_f32_e32 v10, v14, v10
	v_fma_f32 v12, v14, v9, -v12
	v_fmac_f32_e32 v10, v15, v9
	v_add_f32_e32 v11, v11, v12
	v_add_f32_e32 v13, v13, v10
	s_or_b64 exec, exec, s[14:15]
	v_cmp_gt_u32_e64 s[10:11], 4, v1
	s_and_saveexec_b64 s[14:15], s[10:11]
	s_cbranch_execnz .LBB154_959
	s_branch .LBB154_960
	.section	.rodata,"a",@progbits
	.p2align	6, 0x0
	.amdhsa_kernel _ZL19rocblas_trsv_deviceILi64ELi16ELb1ELb0ELb0ELb0E19rocblas_complex_numIfEPKS1_PKS3_PKPS1_EviT7_lllT6_T8_lllPii
		.amdhsa_group_segment_fixed_size 41480
		.amdhsa_private_segment_fixed_size 48
		.amdhsa_kernarg_size 352
		.amdhsa_user_sgpr_count 8
		.amdhsa_user_sgpr_private_segment_buffer 1
		.amdhsa_user_sgpr_dispatch_ptr 0
		.amdhsa_user_sgpr_queue_ptr 0
		.amdhsa_user_sgpr_kernarg_segment_ptr 1
		.amdhsa_user_sgpr_dispatch_id 0
		.amdhsa_user_sgpr_flat_scratch_init 1
		.amdhsa_user_sgpr_private_segment_size 0
		.amdhsa_uses_dynamic_stack 0
		.amdhsa_system_sgpr_private_segment_wavefront_offset 1
		.amdhsa_system_sgpr_workgroup_id_x 1
		.amdhsa_system_sgpr_workgroup_id_y 0
		.amdhsa_system_sgpr_workgroup_id_z 1
		.amdhsa_system_sgpr_workgroup_info 0
		.amdhsa_system_vgpr_workitem_id 1
		.amdhsa_next_free_vgpr 49
		.amdhsa_next_free_sgpr 100
		.amdhsa_reserve_vcc 1
		.amdhsa_reserve_flat_scratch 1
		.amdhsa_float_round_mode_32 0
		.amdhsa_float_round_mode_16_64 0
		.amdhsa_float_denorm_mode_32 3
		.amdhsa_float_denorm_mode_16_64 3
		.amdhsa_dx10_clamp 1
		.amdhsa_ieee_mode 1
		.amdhsa_fp16_overflow 0
		.amdhsa_exception_fp_ieee_invalid_op 0
		.amdhsa_exception_fp_denorm_src 0
		.amdhsa_exception_fp_ieee_div_zero 0
		.amdhsa_exception_fp_ieee_overflow 0
		.amdhsa_exception_fp_ieee_underflow 0
		.amdhsa_exception_fp_ieee_inexact 0
		.amdhsa_exception_int_div_zero 0
	.end_amdhsa_kernel
	.section	.text._ZL19rocblas_trsv_deviceILi64ELi16ELb1ELb0ELb0ELb0E19rocblas_complex_numIfEPKS1_PKS3_PKPS1_EviT7_lllT6_T8_lllPii,"axG",@progbits,_ZL19rocblas_trsv_deviceILi64ELi16ELb1ELb0ELb0ELb0E19rocblas_complex_numIfEPKS1_PKS3_PKPS1_EviT7_lllT6_T8_lllPii,comdat
.Lfunc_end154:
	.size	_ZL19rocblas_trsv_deviceILi64ELi16ELb1ELb0ELb0ELb0E19rocblas_complex_numIfEPKS1_PKS3_PKPS1_EviT7_lllT6_T8_lllPii, .Lfunc_end154-_ZL19rocblas_trsv_deviceILi64ELi16ELb1ELb0ELb0ELb0E19rocblas_complex_numIfEPKS1_PKS3_PKPS1_EviT7_lllT6_T8_lllPii
                                        ; -- End function
	.set _ZL19rocblas_trsv_deviceILi64ELi16ELb1ELb0ELb0ELb0E19rocblas_complex_numIfEPKS1_PKS3_PKPS1_EviT7_lllT6_T8_lllPii.num_vgpr, 35
	.set _ZL19rocblas_trsv_deviceILi64ELi16ELb1ELb0ELb0ELb0E19rocblas_complex_numIfEPKS1_PKS3_PKPS1_EviT7_lllT6_T8_lllPii.num_agpr, 0
	.set _ZL19rocblas_trsv_deviceILi64ELi16ELb1ELb0ELb0ELb0E19rocblas_complex_numIfEPKS1_PKS3_PKPS1_EviT7_lllT6_T8_lllPii.numbered_sgpr, 100
	.set _ZL19rocblas_trsv_deviceILi64ELi16ELb1ELb0ELb0ELb0E19rocblas_complex_numIfEPKS1_PKS3_PKPS1_EviT7_lllT6_T8_lllPii.num_named_barrier, 0
	.set _ZL19rocblas_trsv_deviceILi64ELi16ELb1ELb0ELb0ELb0E19rocblas_complex_numIfEPKS1_PKS3_PKPS1_EviT7_lllT6_T8_lllPii.private_seg_size, 48
	.set _ZL19rocblas_trsv_deviceILi64ELi16ELb1ELb0ELb0ELb0E19rocblas_complex_numIfEPKS1_PKS3_PKPS1_EviT7_lllT6_T8_lllPii.uses_vcc, 1
	.set _ZL19rocblas_trsv_deviceILi64ELi16ELb1ELb0ELb0ELb0E19rocblas_complex_numIfEPKS1_PKS3_PKPS1_EviT7_lllT6_T8_lllPii.uses_flat_scratch, 1
	.set _ZL19rocblas_trsv_deviceILi64ELi16ELb1ELb0ELb0ELb0E19rocblas_complex_numIfEPKS1_PKS3_PKPS1_EviT7_lllT6_T8_lllPii.has_dyn_sized_stack, 0
	.set _ZL19rocblas_trsv_deviceILi64ELi16ELb1ELb0ELb0ELb0E19rocblas_complex_numIfEPKS1_PKS3_PKPS1_EviT7_lllT6_T8_lllPii.has_recursion, 0
	.set _ZL19rocblas_trsv_deviceILi64ELi16ELb1ELb0ELb0ELb0E19rocblas_complex_numIfEPKS1_PKS3_PKPS1_EviT7_lllT6_T8_lllPii.has_indirect_call, 0
	.section	.AMDGPU.csdata,"",@progbits
; Kernel info:
; codeLenInByte = 44520
; TotalNumSgprs: 106
; NumVgprs: 35
; ScratchSize: 48
; MemoryBound: 1
; FloatMode: 240
; IeeeMode: 1
; LDSByteSize: 41480 bytes/workgroup (compile time only)
; SGPRBlocks: 13
; VGPRBlocks: 12
; NumSGPRsForWavesPerEU: 106
; NumVGPRsForWavesPerEU: 49
; Occupancy: 4
; WaveLimiterHint : 1
; COMPUTE_PGM_RSRC2:SCRATCH_EN: 1
; COMPUTE_PGM_RSRC2:USER_SGPR: 8
; COMPUTE_PGM_RSRC2:TRAP_HANDLER: 0
; COMPUTE_PGM_RSRC2:TGID_X_EN: 1
; COMPUTE_PGM_RSRC2:TGID_Y_EN: 0
; COMPUTE_PGM_RSRC2:TGID_Z_EN: 1
; COMPUTE_PGM_RSRC2:TIDIG_COMP_CNT: 1
	.section	.text._ZL19rocblas_trsv_deviceILi64ELi16ELb1ELb1ELb0ELb0E19rocblas_complex_numIfEPKS1_PKS3_PKPS1_EviT7_lllT6_T8_lllPii,"axG",@progbits,_ZL19rocblas_trsv_deviceILi64ELi16ELb1ELb1ELb0ELb0E19rocblas_complex_numIfEPKS1_PKS3_PKPS1_EviT7_lllT6_T8_lllPii,comdat
	.globl	_ZL19rocblas_trsv_deviceILi64ELi16ELb1ELb1ELb0ELb0E19rocblas_complex_numIfEPKS1_PKS3_PKPS1_EviT7_lllT6_T8_lllPii ; -- Begin function _ZL19rocblas_trsv_deviceILi64ELi16ELb1ELb1ELb0ELb0E19rocblas_complex_numIfEPKS1_PKS3_PKPS1_EviT7_lllT6_T8_lllPii
	.p2align	8
	.type	_ZL19rocblas_trsv_deviceILi64ELi16ELb1ELb1ELb0ELb0E19rocblas_complex_numIfEPKS1_PKS3_PKPS1_EviT7_lllT6_T8_lllPii,@function
_ZL19rocblas_trsv_deviceILi64ELi16ELb1ELb1ELb0ELb0E19rocblas_complex_numIfEPKS1_PKS3_PKPS1_EviT7_lllT6_T8_lllPii: ; @_ZL19rocblas_trsv_deviceILi64ELi16ELb1ELb1ELb0ELb0E19rocblas_complex_numIfEPKS1_PKS3_PKPS1_EviT7_lllT6_T8_lllPii
; %bb.0:
	s_load_dwordx4 s[12:15], s[4:5], 0x8
	s_add_u32 flat_scratch_lo, s6, s10
	s_addc_u32 flat_scratch_hi, s7, 0
	s_add_u32 s0, s0, s10
	s_mov_b32 s34, s9
	s_mov_b32 s35, 0
	s_addc_u32 s1, s1, 0
	s_lshl_b64 s[6:7], s[34:35], 3
	s_waitcnt lgkmcnt(0)
	s_add_u32 s10, s12, s6
	s_addc_u32 s11, s13, s7
	s_load_dwordx2 s[12:13], s[10:11], 0x0
	s_load_dword s36, s[4:5], 0x0
	s_load_dwordx8 s[24:31], s[4:5], 0x28
	s_load_dwordx2 s[38:39], s[4:5], 0x18
	s_lshl_b64 s[10:11], s[14:15], 3
	s_waitcnt lgkmcnt(0)
	s_add_u32 s43, s12, s10
	s_addc_u32 s96, s13, s11
	s_add_u32 s6, s26, s6
	s_load_dword s9, s[4:5], 0x60
	s_addc_u32 s7, s27, s7
	s_load_dwordx2 s[66:67], s[6:7], 0x0
	s_load_dwordx2 s[52:53], s[24:25], 0x0
	s_load_dword s40, s[4:5], 0x6c
	v_mov_b32_e32 v2, v1
	s_waitcnt lgkmcnt(0)
	s_add_i32 s9, s9, -1
	s_sub_i32 s97, s9, s8
	s_cmp_lg_u32 s8, 0
	s_cbranch_scc0 .LBB155_1111
; %bb.1:
	s_lshl_b32 s33, s97, 6
	v_add_u32_e32 v1, s33, v0
	v_ashrrev_i32_e32 v3, 31, v1
	v_mul_lo_u32 v7, s38, v3
	v_mul_lo_u32 v8, s39, v1
	v_mad_u64_u32 v[3:4], s[6:7], s38, v1, 0
	v_add3_u32 v5, v2, s33, 64
	v_ashrrev_i32_e32 v6, 31, v5
	v_add3_u32 v4, v4, v7, v8
	v_lshlrev_b64 v[3:4], 3, v[3:4]
	v_mov_b32_e32 v7, s96
	v_add_co_u32_e64 v8, s[6:7], s43, v3
	v_addc_co_u32_e64 v7, s[6:7], v7, v4, s[6:7]
	v_lshlrev_b64 v[3:4], 3, v[5:6]
	v_cmp_gt_i32_e32 vcc, s36, v1
	v_add_co_u32_e64 v3, s[6:7], v8, v3
	v_addc_co_u32_e64 v4, s[6:7], v7, v4, s[6:7]
	v_max_i32_e32 v1, v5, v1
	v_cmp_le_i32_e64 s[6:7], s36, v1
	s_barrier
	s_and_saveexec_b64 s[10:11], s[6:7]
	s_xor_b64 s[6:7], exec, s[10:11]
	s_cbranch_execz .LBB155_3
; %bb.2:
	v_mov_b32_e32 v1, 0
	buffer_store_dword v1, off, s[0:3], 0
	buffer_store_dword v1, off, s[0:3], 0 offset:4
.LBB155_3:
	s_andn2_saveexec_b64 s[6:7], s[6:7]
	s_cbranch_execz .LBB155_5
; %bb.4:
	flat_load_dwordx2 v[6:7], v[3:4]
	s_waitcnt vmcnt(0) lgkmcnt(0)
	buffer_store_dword v7, off, s[0:3], 0 offset:4
	buffer_store_dword v6, off, s[0:3], 0
.LBB155_5:
	s_or_b64 exec, exec, s[6:7]
	v_add_u32_e32 v1, 16, v5
	v_cmp_le_i32_e64 s[6:7], s36, v1
	s_xor_b64 s[10:11], vcc, -1
	s_or_b64 s[6:7], s[6:7], s[10:11]
	s_waitcnt vmcnt(0)
	s_barrier
	s_and_saveexec_b64 s[12:13], s[6:7]
	s_xor_b64 s[6:7], exec, s[12:13]
	s_cbranch_execz .LBB155_7
; %bb.6:
	v_mov_b32_e32 v1, 0
	buffer_store_dword v1, off, s[0:3], 0 offset:8
	buffer_store_dword v1, off, s[0:3], 0 offset:12
.LBB155_7:
	s_andn2_saveexec_b64 s[6:7], s[6:7]
	s_cbranch_execz .LBB155_9
; %bb.8:
	flat_load_dwordx2 v[6:7], v[3:4] offset:128
	s_waitcnt vmcnt(0) lgkmcnt(0)
	buffer_store_dword v7, off, s[0:3], 0 offset:12
	buffer_store_dword v6, off, s[0:3], 0 offset:8
.LBB155_9:
	s_or_b64 exec, exec, s[6:7]
	v_add_u32_e32 v1, 32, v5
	v_cmp_le_i32_e32 vcc, s36, v1
	s_or_b64 s[6:7], vcc, s[10:11]
	s_waitcnt vmcnt(0)
	s_barrier
	s_and_saveexec_b64 s[12:13], s[6:7]
	s_xor_b64 s[6:7], exec, s[12:13]
	s_cbranch_execz .LBB155_11
; %bb.10:
	v_mov_b32_e32 v1, 0
	buffer_store_dword v1, off, s[0:3], 0 offset:16
	buffer_store_dword v1, off, s[0:3], 0 offset:20
.LBB155_11:
	s_andn2_saveexec_b64 s[6:7], s[6:7]
	s_cbranch_execz .LBB155_13
; %bb.12:
	flat_load_dwordx2 v[6:7], v[3:4] offset:256
	s_waitcnt vmcnt(0) lgkmcnt(0)
	buffer_store_dword v7, off, s[0:3], 0 offset:20
	buffer_store_dword v6, off, s[0:3], 0 offset:16
.LBB155_13:
	s_or_b64 exec, exec, s[6:7]
	v_add_u32_e32 v1, 48, v5
	v_cmp_le_i32_e32 vcc, s36, v1
	s_or_b64 s[6:7], vcc, s[10:11]
	s_waitcnt vmcnt(0)
	s_barrier
	s_and_saveexec_b64 s[10:11], s[6:7]
	s_xor_b64 s[6:7], exec, s[10:11]
	s_cbranch_execz .LBB155_15
; %bb.14:
	v_mov_b32_e32 v1, 0
	buffer_store_dword v1, off, s[0:3], 0 offset:24
	buffer_store_dword v1, off, s[0:3], 0 offset:28
                                        ; implicit-def: $vgpr3_vgpr4
.LBB155_15:
	s_andn2_saveexec_b64 s[6:7], s[6:7]
	s_cbranch_execz .LBB155_17
; %bb.16:
	flat_load_dwordx2 v[3:4], v[3:4] offset:384
	s_waitcnt vmcnt(0) lgkmcnt(0)
	buffer_store_dword v4, off, s[0:3], 0 offset:28
	buffer_store_dword v3, off, s[0:3], 0 offset:24
.LBB155_17:
	s_or_b64 exec, exec, s[6:7]
	s_branch .LBB155_19
.LBB155_18:
	s_lshl_b32 s33, s97, 6
.LBB155_19:
	s_ashr_i32 s37, s36, 31
	s_lshr_b32 s6, s37, 26
	s_add_i32 s6, s36, s6
	s_andn2_b32 s6, s6, 63
	s_sub_i32 s42, s36, s6
	s_add_i32 s6, s36, -1
	s_ashr_i32 s7, s6, 31
	s_lshr_b32 s7, s7, 26
	s_add_i32 s6, s6, s7
	s_ashr_i32 s6, s6, 6
	s_cmp_eq_u32 s6, s97
	s_cselect_b64 s[6:7], -1, 0
	s_cmp_lg_u32 s42, 0
	s_cselect_b64 s[10:11], -1, 0
	s_and_b64 s[26:27], s[10:11], s[6:7]
	s_cmp_lt_i32 s8, 5
	s_cselect_b64 s[12:13], -1, 0
	s_or_b64 s[6:7], s[12:13], s[26:27]
	s_ashr_i32 s46, s33, 31
	s_add_u32 s14, s38, 1
	v_mov_b32_e32 v1, 0
	v_mov_b32_e32 v3, s33
	v_mad_u64_u32 v[3:4], s[10:11], s14, v3, v[0:1]
	s_addc_u32 s15, s39, 0
	s_mul_i32 s10, s14, s46
	s_mul_i32 s15, s15, s33
	v_lshlrev_b32_e32 v9, 6, v0
	s_add_i32 s10, s10, s15
	s_mov_b64 s[16:17], -1
	v_add_u32_e32 v4, s10, v4
	s_and_b64 vcc, exec, s[26:27]
	v_add_u32_e32 v10, v2, v9
	v_cmp_le_u32_e64 s[10:11], v0, v2
	v_lshl_add_u32 v1, v2, 6, v0
	s_cbranch_vccnz .LBB155_77
; %bb.20:
	v_mad_u64_u32 v[5:6], s[14:15], s38, v2, v[3:4]
	v_cndmask_b32_e64 v11, v1, v10, s[12:13]
	v_mad_u64_u32 v[6:7], s[14:15], s39, v2, v[6:7]
	s_and_saveexec_b64 s[12:13], s[10:11]
	s_xor_b64 s[10:11], exec, s[12:13]
	s_cbranch_execz .LBB155_32
; %bb.21:
	v_cmp_ne_u32_e32 vcc, v0, v2
	s_and_saveexec_b64 s[12:13], vcc
	s_xor_b64 s[12:13], exec, s[12:13]
	s_cbranch_execz .LBB155_25
; %bb.22:
	v_or_b32_e32 v5, v2, v0
	v_cmp_gt_u32_e32 vcc, 64, v5
	s_and_saveexec_b64 s[14:15], vcc
; %bb.23:
	v_mov_b32_e32 v5, 0
	v_lshlrev_b32_e32 v7, 3, v11
	v_mov_b32_e32 v6, v5
	ds_write_b64 v7, v[5:6]
; %bb.24:
	s_or_b64 exec, exec, s[14:15]
                                        ; implicit-def: $vgpr11
                                        ; implicit-def: $vgpr5_vgpr6
.LBB155_25:
	s_andn2_saveexec_b64 s[12:13], s[12:13]
	s_cbranch_execz .LBB155_31
; %bb.26:
	v_lshlrev_b64 v[5:6], 3, v[5:6]
	v_mov_b32_e32 v7, s96
	v_add_co_u32_e32 v5, vcc, s43, v5
	v_addc_co_u32_e32 v6, vcc, v7, v6, vcc
	flat_load_dwordx2 v[5:6], v[5:6]
                                        ; implicit-def: $vgpr7
	s_waitcnt vmcnt(0) lgkmcnt(0)
	v_cmp_ngt_f32_e64 s[14:15], |v5|, |v6|
	s_and_saveexec_b64 s[16:17], s[14:15]
	s_xor_b64 s[14:15], exec, s[16:17]
	s_cbranch_execz .LBB155_28
; %bb.27:
	v_div_scale_f32 v7, s[16:17], v6, v6, v5
	v_div_scale_f32 v8, vcc, v5, v6, v5
	v_rcp_f32_e32 v12, v7
	v_fma_f32 v13, -v7, v12, 1.0
	v_fmac_f32_e32 v12, v13, v12
	v_mul_f32_e32 v13, v8, v12
	v_fma_f32 v14, -v7, v13, v8
	v_fmac_f32_e32 v13, v14, v12
	v_fma_f32 v7, -v7, v13, v8
	v_div_fmas_f32 v7, v7, v12, v13
	v_div_fixup_f32 v7, v7, v6, v5
	v_fmac_f32_e32 v6, v5, v7
	v_div_scale_f32 v5, s[16:17], v6, v6, 1.0
	v_div_scale_f32 v8, vcc, 1.0, v6, 1.0
	v_rcp_f32_e32 v12, v5
	v_fma_f32 v13, -v5, v12, 1.0
	v_fmac_f32_e32 v12, v13, v12
	v_mul_f32_e32 v13, v8, v12
	v_fma_f32 v14, -v5, v13, v8
	v_fmac_f32_e32 v13, v14, v12
	v_fma_f32 v5, -v5, v13, v8
	v_div_fmas_f32 v5, v5, v12, v13
	v_div_fixup_f32 v5, v5, v6, 1.0
	v_mul_f32_e32 v7, v7, v5
	v_xor_b32_e32 v8, 0x80000000, v5
                                        ; implicit-def: $vgpr5_vgpr6
.LBB155_28:
	s_andn2_saveexec_b64 s[14:15], s[14:15]
	s_cbranch_execz .LBB155_30
; %bb.29:
	v_div_scale_f32 v7, s[16:17], v5, v5, v6
	v_div_scale_f32 v8, vcc, v6, v5, v6
	v_rcp_f32_e32 v12, v7
	v_fma_f32 v13, -v7, v12, 1.0
	v_fmac_f32_e32 v12, v13, v12
	v_mul_f32_e32 v13, v8, v12
	v_fma_f32 v14, -v7, v13, v8
	v_fmac_f32_e32 v13, v14, v12
	v_fma_f32 v7, -v7, v13, v8
	v_div_fmas_f32 v7, v7, v12, v13
	v_div_fixup_f32 v8, v7, v5, v6
	v_fmac_f32_e32 v5, v6, v8
	v_div_scale_f32 v6, s[16:17], v5, v5, 1.0
	v_div_scale_f32 v7, vcc, 1.0, v5, 1.0
	v_rcp_f32_e32 v12, v6
	v_fma_f32 v13, -v6, v12, 1.0
	v_fmac_f32_e32 v12, v13, v12
	v_mul_f32_e32 v13, v7, v12
	v_fma_f32 v14, -v6, v13, v7
	v_fmac_f32_e32 v13, v14, v12
	v_fma_f32 v6, -v6, v13, v7
	v_div_fmas_f32 v6, v6, v12, v13
	v_div_fixup_f32 v7, v6, v5, 1.0
	v_mul_f32_e64 v8, v8, -v7
.LBB155_30:
	s_or_b64 exec, exec, s[14:15]
	v_lshlrev_b32_e32 v5, 3, v11
	ds_write_b64 v5, v[7:8]
.LBB155_31:
	s_or_b64 exec, exec, s[12:13]
                                        ; implicit-def: $vgpr5_vgpr6
                                        ; implicit-def: $vgpr11
.LBB155_32:
	s_andn2_saveexec_b64 s[10:11], s[10:11]
	s_cbranch_execz .LBB155_34
; %bb.33:
	v_lshlrev_b64 v[5:6], 3, v[5:6]
	v_mov_b32_e32 v7, s96
	v_add_co_u32_e32 v5, vcc, s43, v5
	v_addc_co_u32_e32 v6, vcc, v7, v6, vcc
	flat_load_dwordx2 v[5:6], v[5:6]
	v_lshlrev_b32_e32 v7, 3, v11
	s_waitcnt vmcnt(0) lgkmcnt(0)
	v_xor_b32_e32 v5, 0x80000000, v5
	v_xor_b32_e32 v6, 0x80000000, v6
	ds_write_b64 v7, v[5:6]
.LBB155_34:
	s_or_b64 exec, exec, s[10:11]
	v_add_u32_e32 v7, 16, v2
	v_mad_u64_u32 v[5:6], s[10:11], s38, v7, v[3:4]
	v_lshl_add_u32 v8, v7, 6, v0
	v_cmp_le_u32_e32 vcc, v0, v7
	v_mad_u64_u32 v[12:13], s[10:11], s39, v7, v[6:7]
	v_add_u32_e32 v6, v7, v9
	v_cndmask_b32_e64 v11, v8, v6, s[6:7]
	v_mov_b32_e32 v6, v12
	s_and_saveexec_b64 s[10:11], vcc
	s_xor_b64 s[10:11], exec, s[10:11]
	s_cbranch_execz .LBB155_46
; %bb.35:
	v_cmp_ne_u32_e32 vcc, v0, v7
	s_and_saveexec_b64 s[12:13], vcc
	s_xor_b64 s[12:13], exec, s[12:13]
	s_cbranch_execz .LBB155_39
; %bb.36:
	v_or_b32_e32 v5, v7, v0
	v_cmp_gt_u32_e32 vcc, 64, v5
	s_and_saveexec_b64 s[14:15], vcc
; %bb.37:
	v_mov_b32_e32 v5, 0
	v_lshlrev_b32_e32 v7, 3, v11
	v_mov_b32_e32 v6, v5
	ds_write_b64 v7, v[5:6]
; %bb.38:
	s_or_b64 exec, exec, s[14:15]
                                        ; implicit-def: $vgpr11
                                        ; implicit-def: $vgpr5_vgpr6
.LBB155_39:
	s_andn2_saveexec_b64 s[12:13], s[12:13]
	s_cbranch_execz .LBB155_45
; %bb.40:
	v_lshlrev_b64 v[5:6], 3, v[5:6]
	v_mov_b32_e32 v7, s96
	v_add_co_u32_e32 v5, vcc, s43, v5
	v_addc_co_u32_e32 v6, vcc, v7, v6, vcc
	flat_load_dwordx2 v[5:6], v[5:6]
                                        ; implicit-def: $vgpr7
	s_waitcnt vmcnt(0) lgkmcnt(0)
	v_cmp_ngt_f32_e64 s[14:15], |v5|, |v6|
	s_and_saveexec_b64 s[16:17], s[14:15]
	s_xor_b64 s[14:15], exec, s[16:17]
	s_cbranch_execz .LBB155_42
; %bb.41:
	v_div_scale_f32 v7, s[16:17], v6, v6, v5
	v_div_scale_f32 v8, vcc, v5, v6, v5
	v_rcp_f32_e32 v12, v7
	v_fma_f32 v13, -v7, v12, 1.0
	v_fmac_f32_e32 v12, v13, v12
	v_mul_f32_e32 v13, v8, v12
	v_fma_f32 v14, -v7, v13, v8
	v_fmac_f32_e32 v13, v14, v12
	v_fma_f32 v7, -v7, v13, v8
	v_div_fmas_f32 v7, v7, v12, v13
	v_div_fixup_f32 v7, v7, v6, v5
	v_fmac_f32_e32 v6, v5, v7
	v_div_scale_f32 v5, s[16:17], v6, v6, 1.0
	v_div_scale_f32 v8, vcc, 1.0, v6, 1.0
	v_rcp_f32_e32 v12, v5
	v_fma_f32 v13, -v5, v12, 1.0
	v_fmac_f32_e32 v12, v13, v12
	v_mul_f32_e32 v13, v8, v12
	v_fma_f32 v14, -v5, v13, v8
	v_fmac_f32_e32 v13, v14, v12
	v_fma_f32 v5, -v5, v13, v8
	v_div_fmas_f32 v5, v5, v12, v13
	v_div_fixup_f32 v5, v5, v6, 1.0
	v_mul_f32_e32 v7, v7, v5
	v_xor_b32_e32 v8, 0x80000000, v5
                                        ; implicit-def: $vgpr5_vgpr6
.LBB155_42:
	s_andn2_saveexec_b64 s[14:15], s[14:15]
	s_cbranch_execz .LBB155_44
; %bb.43:
	v_div_scale_f32 v7, s[16:17], v5, v5, v6
	v_div_scale_f32 v8, vcc, v6, v5, v6
	v_rcp_f32_e32 v12, v7
	v_fma_f32 v13, -v7, v12, 1.0
	v_fmac_f32_e32 v12, v13, v12
	v_mul_f32_e32 v13, v8, v12
	v_fma_f32 v14, -v7, v13, v8
	v_fmac_f32_e32 v13, v14, v12
	v_fma_f32 v7, -v7, v13, v8
	v_div_fmas_f32 v7, v7, v12, v13
	v_div_fixup_f32 v8, v7, v5, v6
	v_fmac_f32_e32 v5, v6, v8
	v_div_scale_f32 v6, s[16:17], v5, v5, 1.0
	v_div_scale_f32 v7, vcc, 1.0, v5, 1.0
	v_rcp_f32_e32 v12, v6
	v_fma_f32 v13, -v6, v12, 1.0
	v_fmac_f32_e32 v12, v13, v12
	v_mul_f32_e32 v13, v7, v12
	v_fma_f32 v14, -v6, v13, v7
	v_fmac_f32_e32 v13, v14, v12
	v_fma_f32 v6, -v6, v13, v7
	v_div_fmas_f32 v6, v6, v12, v13
	v_div_fixup_f32 v7, v6, v5, 1.0
	v_mul_f32_e64 v8, v8, -v7
.LBB155_44:
	s_or_b64 exec, exec, s[14:15]
	v_lshlrev_b32_e32 v5, 3, v11
	ds_write_b64 v5, v[7:8]
.LBB155_45:
	s_or_b64 exec, exec, s[12:13]
                                        ; implicit-def: $vgpr5_vgpr6
                                        ; implicit-def: $vgpr11
.LBB155_46:
	s_andn2_saveexec_b64 s[10:11], s[10:11]
	s_cbranch_execz .LBB155_48
; %bb.47:
	v_lshlrev_b64 v[5:6], 3, v[5:6]
	v_mov_b32_e32 v7, s96
	v_add_co_u32_e32 v5, vcc, s43, v5
	v_addc_co_u32_e32 v6, vcc, v7, v6, vcc
	flat_load_dwordx2 v[5:6], v[5:6]
	v_lshlrev_b32_e32 v7, 3, v11
	s_waitcnt vmcnt(0) lgkmcnt(0)
	v_xor_b32_e32 v5, 0x80000000, v5
	v_xor_b32_e32 v6, 0x80000000, v6
	ds_write_b64 v7, v[5:6]
.LBB155_48:
	s_or_b64 exec, exec, s[10:11]
	v_add_u32_e32 v7, 32, v2
	v_mad_u64_u32 v[5:6], s[10:11], s38, v7, v[3:4]
	v_lshl_add_u32 v8, v7, 6, v0
	v_cmp_le_u32_e32 vcc, v0, v7
	v_mad_u64_u32 v[12:13], s[10:11], s39, v7, v[6:7]
	v_add_u32_e32 v6, v7, v9
	v_cndmask_b32_e64 v11, v8, v6, s[6:7]
	v_mov_b32_e32 v6, v12
	s_and_saveexec_b64 s[10:11], vcc
	s_xor_b64 s[10:11], exec, s[10:11]
	s_cbranch_execz .LBB155_60
; %bb.49:
	v_cmp_ne_u32_e32 vcc, v0, v7
	s_and_saveexec_b64 s[12:13], vcc
	s_xor_b64 s[12:13], exec, s[12:13]
	s_cbranch_execz .LBB155_53
; %bb.50:
	v_or_b32_e32 v5, v7, v0
	v_cmp_gt_u32_e32 vcc, 64, v5
	s_and_saveexec_b64 s[14:15], vcc
; %bb.51:
	v_mov_b32_e32 v5, 0
	v_lshlrev_b32_e32 v7, 3, v11
	v_mov_b32_e32 v6, v5
	ds_write_b64 v7, v[5:6]
; %bb.52:
	s_or_b64 exec, exec, s[14:15]
                                        ; implicit-def: $vgpr11
                                        ; implicit-def: $vgpr5_vgpr6
.LBB155_53:
	s_andn2_saveexec_b64 s[12:13], s[12:13]
	s_cbranch_execz .LBB155_59
; %bb.54:
	v_lshlrev_b64 v[5:6], 3, v[5:6]
	v_mov_b32_e32 v7, s96
	v_add_co_u32_e32 v5, vcc, s43, v5
	v_addc_co_u32_e32 v6, vcc, v7, v6, vcc
	flat_load_dwordx2 v[5:6], v[5:6]
                                        ; implicit-def: $vgpr7
	s_waitcnt vmcnt(0) lgkmcnt(0)
	v_cmp_ngt_f32_e64 s[14:15], |v5|, |v6|
	s_and_saveexec_b64 s[16:17], s[14:15]
	s_xor_b64 s[14:15], exec, s[16:17]
	s_cbranch_execz .LBB155_56
; %bb.55:
	v_div_scale_f32 v7, s[16:17], v6, v6, v5
	v_div_scale_f32 v8, vcc, v5, v6, v5
	v_rcp_f32_e32 v12, v7
	v_fma_f32 v13, -v7, v12, 1.0
	v_fmac_f32_e32 v12, v13, v12
	v_mul_f32_e32 v13, v8, v12
	v_fma_f32 v14, -v7, v13, v8
	v_fmac_f32_e32 v13, v14, v12
	v_fma_f32 v7, -v7, v13, v8
	v_div_fmas_f32 v7, v7, v12, v13
	v_div_fixup_f32 v7, v7, v6, v5
	v_fmac_f32_e32 v6, v5, v7
	v_div_scale_f32 v5, s[16:17], v6, v6, 1.0
	v_div_scale_f32 v8, vcc, 1.0, v6, 1.0
	v_rcp_f32_e32 v12, v5
	v_fma_f32 v13, -v5, v12, 1.0
	v_fmac_f32_e32 v12, v13, v12
	v_mul_f32_e32 v13, v8, v12
	v_fma_f32 v14, -v5, v13, v8
	v_fmac_f32_e32 v13, v14, v12
	v_fma_f32 v5, -v5, v13, v8
	v_div_fmas_f32 v5, v5, v12, v13
	v_div_fixup_f32 v5, v5, v6, 1.0
	v_mul_f32_e32 v7, v7, v5
	v_xor_b32_e32 v8, 0x80000000, v5
                                        ; implicit-def: $vgpr5_vgpr6
.LBB155_56:
	s_andn2_saveexec_b64 s[14:15], s[14:15]
	s_cbranch_execz .LBB155_58
; %bb.57:
	v_div_scale_f32 v7, s[16:17], v5, v5, v6
	v_div_scale_f32 v8, vcc, v6, v5, v6
	v_rcp_f32_e32 v12, v7
	v_fma_f32 v13, -v7, v12, 1.0
	v_fmac_f32_e32 v12, v13, v12
	v_mul_f32_e32 v13, v8, v12
	v_fma_f32 v14, -v7, v13, v8
	v_fmac_f32_e32 v13, v14, v12
	v_fma_f32 v7, -v7, v13, v8
	v_div_fmas_f32 v7, v7, v12, v13
	v_div_fixup_f32 v8, v7, v5, v6
	v_fmac_f32_e32 v5, v6, v8
	v_div_scale_f32 v6, s[16:17], v5, v5, 1.0
	v_div_scale_f32 v7, vcc, 1.0, v5, 1.0
	v_rcp_f32_e32 v12, v6
	v_fma_f32 v13, -v6, v12, 1.0
	v_fmac_f32_e32 v12, v13, v12
	v_mul_f32_e32 v13, v7, v12
	v_fma_f32 v14, -v6, v13, v7
	v_fmac_f32_e32 v13, v14, v12
	v_fma_f32 v6, -v6, v13, v7
	v_div_fmas_f32 v6, v6, v12, v13
	v_div_fixup_f32 v7, v6, v5, 1.0
	v_mul_f32_e64 v8, v8, -v7
.LBB155_58:
	s_or_b64 exec, exec, s[14:15]
	v_lshlrev_b32_e32 v5, 3, v11
	ds_write_b64 v5, v[7:8]
.LBB155_59:
	s_or_b64 exec, exec, s[12:13]
                                        ; implicit-def: $vgpr5_vgpr6
                                        ; implicit-def: $vgpr11
.LBB155_60:
	s_andn2_saveexec_b64 s[10:11], s[10:11]
	s_cbranch_execz .LBB155_62
; %bb.61:
	v_lshlrev_b64 v[5:6], 3, v[5:6]
	v_mov_b32_e32 v7, s96
	v_add_co_u32_e32 v5, vcc, s43, v5
	v_addc_co_u32_e32 v6, vcc, v7, v6, vcc
	flat_load_dwordx2 v[5:6], v[5:6]
	v_lshlrev_b32_e32 v7, 3, v11
	s_waitcnt vmcnt(0) lgkmcnt(0)
	v_xor_b32_e32 v5, 0x80000000, v5
	v_xor_b32_e32 v6, 0x80000000, v6
	ds_write_b64 v7, v[5:6]
.LBB155_62:
	s_or_b64 exec, exec, s[10:11]
	v_add_u32_e32 v7, 48, v2
	v_mad_u64_u32 v[5:6], s[10:11], s38, v7, v[3:4]
	v_lshl_add_u32 v8, v7, 6, v0
	v_cmp_le_u32_e32 vcc, v0, v7
	v_mad_u64_u32 v[12:13], s[10:11], s39, v7, v[6:7]
	v_add_u32_e32 v6, v7, v9
	v_cndmask_b32_e64 v11, v8, v6, s[6:7]
	v_mov_b32_e32 v6, v12
	s_and_saveexec_b64 s[10:11], vcc
	s_xor_b64 s[10:11], exec, s[10:11]
	s_cbranch_execz .LBB155_74
; %bb.63:
	v_cmp_ne_u32_e32 vcc, v0, v7
	s_and_saveexec_b64 s[12:13], vcc
	s_xor_b64 s[12:13], exec, s[12:13]
	s_cbranch_execz .LBB155_67
; %bb.64:
	v_or_b32_e32 v5, v7, v0
	v_cmp_gt_u32_e32 vcc, 64, v5
	s_and_saveexec_b64 s[14:15], vcc
; %bb.65:
	v_mov_b32_e32 v5, 0
	v_lshlrev_b32_e32 v7, 3, v11
	v_mov_b32_e32 v6, v5
	ds_write_b64 v7, v[5:6]
; %bb.66:
	s_or_b64 exec, exec, s[14:15]
                                        ; implicit-def: $vgpr11
                                        ; implicit-def: $vgpr5_vgpr6
.LBB155_67:
	s_andn2_saveexec_b64 s[12:13], s[12:13]
	s_cbranch_execz .LBB155_73
; %bb.68:
	v_lshlrev_b64 v[5:6], 3, v[5:6]
	v_mov_b32_e32 v7, s96
	v_add_co_u32_e32 v5, vcc, s43, v5
	v_addc_co_u32_e32 v6, vcc, v7, v6, vcc
	flat_load_dwordx2 v[5:6], v[5:6]
                                        ; implicit-def: $vgpr7
	s_waitcnt vmcnt(0) lgkmcnt(0)
	v_cmp_ngt_f32_e64 s[14:15], |v5|, |v6|
	s_and_saveexec_b64 s[16:17], s[14:15]
	s_xor_b64 s[14:15], exec, s[16:17]
	s_cbranch_execz .LBB155_70
; %bb.69:
	v_div_scale_f32 v7, s[16:17], v6, v6, v5
	v_div_scale_f32 v8, vcc, v5, v6, v5
	v_rcp_f32_e32 v12, v7
	v_fma_f32 v13, -v7, v12, 1.0
	v_fmac_f32_e32 v12, v13, v12
	v_mul_f32_e32 v13, v8, v12
	v_fma_f32 v14, -v7, v13, v8
	v_fmac_f32_e32 v13, v14, v12
	v_fma_f32 v7, -v7, v13, v8
	v_div_fmas_f32 v7, v7, v12, v13
	v_div_fixup_f32 v7, v7, v6, v5
	v_fmac_f32_e32 v6, v5, v7
	v_div_scale_f32 v5, s[16:17], v6, v6, 1.0
	v_div_scale_f32 v8, vcc, 1.0, v6, 1.0
	v_rcp_f32_e32 v12, v5
	v_fma_f32 v13, -v5, v12, 1.0
	v_fmac_f32_e32 v12, v13, v12
	v_mul_f32_e32 v13, v8, v12
	v_fma_f32 v14, -v5, v13, v8
	v_fmac_f32_e32 v13, v14, v12
	v_fma_f32 v5, -v5, v13, v8
	v_div_fmas_f32 v5, v5, v12, v13
	v_div_fixup_f32 v5, v5, v6, 1.0
	v_mul_f32_e32 v7, v7, v5
	v_xor_b32_e32 v8, 0x80000000, v5
                                        ; implicit-def: $vgpr5_vgpr6
.LBB155_70:
	s_andn2_saveexec_b64 s[14:15], s[14:15]
	s_cbranch_execz .LBB155_72
; %bb.71:
	v_div_scale_f32 v7, s[16:17], v5, v5, v6
	v_div_scale_f32 v8, vcc, v6, v5, v6
	v_rcp_f32_e32 v12, v7
	v_fma_f32 v13, -v7, v12, 1.0
	v_fmac_f32_e32 v12, v13, v12
	v_mul_f32_e32 v13, v8, v12
	v_fma_f32 v14, -v7, v13, v8
	v_fmac_f32_e32 v13, v14, v12
	v_fma_f32 v7, -v7, v13, v8
	v_div_fmas_f32 v7, v7, v12, v13
	v_div_fixup_f32 v8, v7, v5, v6
	v_fmac_f32_e32 v5, v6, v8
	v_div_scale_f32 v6, s[16:17], v5, v5, 1.0
	v_div_scale_f32 v7, vcc, 1.0, v5, 1.0
	v_rcp_f32_e32 v12, v6
	v_fma_f32 v13, -v6, v12, 1.0
	v_fmac_f32_e32 v12, v13, v12
	v_mul_f32_e32 v13, v7, v12
	v_fma_f32 v14, -v6, v13, v7
	v_fmac_f32_e32 v13, v14, v12
	v_fma_f32 v6, -v6, v13, v7
	v_div_fmas_f32 v6, v6, v12, v13
	v_div_fixup_f32 v7, v6, v5, 1.0
	v_mul_f32_e64 v8, v8, -v7
.LBB155_72:
	s_or_b64 exec, exec, s[14:15]
	v_lshlrev_b32_e32 v5, 3, v11
	ds_write_b64 v5, v[7:8]
.LBB155_73:
	s_or_b64 exec, exec, s[12:13]
                                        ; implicit-def: $vgpr5_vgpr6
                                        ; implicit-def: $vgpr11
.LBB155_74:
	s_andn2_saveexec_b64 s[10:11], s[10:11]
	s_cbranch_execz .LBB155_76
; %bb.75:
	v_lshlrev_b64 v[5:6], 3, v[5:6]
	v_mov_b32_e32 v7, s96
	v_add_co_u32_e32 v5, vcc, s43, v5
	v_addc_co_u32_e32 v6, vcc, v7, v6, vcc
	flat_load_dwordx2 v[5:6], v[5:6]
	v_lshlrev_b32_e32 v7, 3, v11
	s_waitcnt vmcnt(0) lgkmcnt(0)
	v_xor_b32_e32 v5, 0x80000000, v5
	v_xor_b32_e32 v6, 0x80000000, v6
	ds_write_b64 v7, v[5:6]
.LBB155_76:
	s_or_b64 exec, exec, s[10:11]
	s_mov_b64 s[16:17], 0
.LBB155_77:
	s_xor_b64 s[14:15], s[6:7], -1
	s_and_b64 vcc, exec, s[16:17]
	s_cbranch_vccz .LBB155_135
; %bb.78:
	v_mad_u64_u32 v[5:6], s[10:11], s38, v2, v[3:4]
	v_cmp_le_u32_e32 vcc, v0, v2
	v_cmp_gt_i32_e64 s[10:11], s42, v0
	v_mad_u64_u32 v[6:7], s[12:13], s39, v2, v[6:7]
	v_max_i32_e32 v7, v2, v0
	v_cmp_le_i32_e64 s[12:13], s42, v7
	s_or_b64 s[12:13], s[12:13], vcc
	s_and_saveexec_b64 s[16:17], s[12:13]
	s_xor_b64 s[12:13], exec, s[16:17]
	s_cbranch_execz .LBB155_90
; %bb.79:
	v_cmp_ne_u32_e32 vcc, v0, v2
	s_xor_b64 s[16:17], s[10:11], -1
	s_or_b64 s[16:17], s[16:17], vcc
	s_and_saveexec_b64 s[18:19], s[16:17]
	s_xor_b64 s[16:17], exec, s[18:19]
	s_cbranch_execz .LBB155_83
; %bb.80:
	v_or_b32_e32 v5, v2, v0
	v_cmp_gt_u32_e32 vcc, 64, v5
	s_and_saveexec_b64 s[18:19], vcc
; %bb.81:
	v_mov_b32_e32 v5, 0
	v_lshlrev_b32_e32 v7, 3, v10
	v_mov_b32_e32 v6, v5
	ds_write_b64 v7, v[5:6]
; %bb.82:
	s_or_b64 exec, exec, s[18:19]
                                        ; implicit-def: $vgpr10
                                        ; implicit-def: $vgpr5_vgpr6
.LBB155_83:
	s_andn2_saveexec_b64 s[16:17], s[16:17]
	s_cbranch_execz .LBB155_89
; %bb.84:
	v_lshlrev_b64 v[5:6], 3, v[5:6]
	v_mov_b32_e32 v7, s96
	v_add_co_u32_e32 v5, vcc, s43, v5
	v_addc_co_u32_e32 v6, vcc, v7, v6, vcc
	flat_load_dwordx2 v[5:6], v[5:6]
                                        ; implicit-def: $vgpr7
	s_waitcnt vmcnt(0) lgkmcnt(0)
	v_cmp_ngt_f32_e64 s[18:19], |v5|, |v6|
	s_and_saveexec_b64 s[20:21], s[18:19]
	s_xor_b64 s[18:19], exec, s[20:21]
	s_cbranch_execz .LBB155_86
; %bb.85:
	v_div_scale_f32 v7, s[20:21], v6, v6, v5
	v_div_scale_f32 v8, vcc, v5, v6, v5
	v_rcp_f32_e32 v11, v7
	v_fma_f32 v12, -v7, v11, 1.0
	v_fmac_f32_e32 v11, v12, v11
	v_mul_f32_e32 v12, v8, v11
	v_fma_f32 v13, -v7, v12, v8
	v_fmac_f32_e32 v12, v13, v11
	v_fma_f32 v7, -v7, v12, v8
	v_div_fmas_f32 v7, v7, v11, v12
	v_div_fixup_f32 v7, v7, v6, v5
	v_fmac_f32_e32 v6, v5, v7
	v_div_scale_f32 v5, s[20:21], v6, v6, 1.0
	v_div_scale_f32 v8, vcc, 1.0, v6, 1.0
	v_rcp_f32_e32 v11, v5
	v_fma_f32 v12, -v5, v11, 1.0
	v_fmac_f32_e32 v11, v12, v11
	v_mul_f32_e32 v12, v8, v11
	v_fma_f32 v13, -v5, v12, v8
	v_fmac_f32_e32 v12, v13, v11
	v_fma_f32 v5, -v5, v12, v8
	v_div_fmas_f32 v5, v5, v11, v12
	v_div_fixup_f32 v5, v5, v6, 1.0
	v_mul_f32_e32 v7, v7, v5
	v_xor_b32_e32 v8, 0x80000000, v5
                                        ; implicit-def: $vgpr5_vgpr6
.LBB155_86:
	s_andn2_saveexec_b64 s[18:19], s[18:19]
	s_cbranch_execz .LBB155_88
; %bb.87:
	v_div_scale_f32 v7, s[20:21], v5, v5, v6
	v_div_scale_f32 v8, vcc, v6, v5, v6
	v_rcp_f32_e32 v11, v7
	v_fma_f32 v12, -v7, v11, 1.0
	v_fmac_f32_e32 v11, v12, v11
	v_mul_f32_e32 v12, v8, v11
	v_fma_f32 v13, -v7, v12, v8
	v_fmac_f32_e32 v12, v13, v11
	v_fma_f32 v7, -v7, v12, v8
	v_div_fmas_f32 v7, v7, v11, v12
	v_div_fixup_f32 v8, v7, v5, v6
	v_fmac_f32_e32 v5, v6, v8
	v_div_scale_f32 v6, s[20:21], v5, v5, 1.0
	v_div_scale_f32 v7, vcc, 1.0, v5, 1.0
	v_rcp_f32_e32 v11, v6
	v_fma_f32 v12, -v6, v11, 1.0
	v_fmac_f32_e32 v11, v12, v11
	v_mul_f32_e32 v12, v7, v11
	v_fma_f32 v13, -v6, v12, v7
	v_fmac_f32_e32 v12, v13, v11
	v_fma_f32 v6, -v6, v12, v7
	v_div_fmas_f32 v6, v6, v11, v12
	v_div_fixup_f32 v7, v6, v5, 1.0
	v_mul_f32_e64 v8, v8, -v7
.LBB155_88:
	s_or_b64 exec, exec, s[18:19]
	v_lshlrev_b32_e32 v5, 3, v10
	ds_write_b64 v5, v[7:8]
.LBB155_89:
	s_or_b64 exec, exec, s[16:17]
                                        ; implicit-def: $vgpr5_vgpr6
                                        ; implicit-def: $vgpr10
.LBB155_90:
	s_andn2_saveexec_b64 s[12:13], s[12:13]
	s_cbranch_execz .LBB155_92
; %bb.91:
	v_lshlrev_b64 v[5:6], 3, v[5:6]
	v_mov_b32_e32 v7, s96
	v_add_co_u32_e32 v5, vcc, s43, v5
	v_addc_co_u32_e32 v6, vcc, v7, v6, vcc
	flat_load_dwordx2 v[5:6], v[5:6]
	v_lshlrev_b32_e32 v7, 3, v10
	s_waitcnt vmcnt(0) lgkmcnt(0)
	v_xor_b32_e32 v5, 0x80000000, v5
	v_xor_b32_e32 v6, 0x80000000, v6
	ds_write_b64 v7, v[5:6]
.LBB155_92:
	s_or_b64 exec, exec, s[12:13]
	v_add_u32_e32 v7, 16, v2
	v_mad_u64_u32 v[5:6], s[12:13], s38, v7, v[3:4]
	v_cmp_gt_u32_e32 vcc, v0, v7
	v_add_u32_e32 v8, v7, v9
	v_mad_u64_u32 v[11:12], s[12:13], s39, v7, v[6:7]
	v_cmp_gt_i32_e64 s[12:13], s42, v7
	s_and_b64 s[12:13], vcc, s[12:13]
	v_lshl_add_u32 v6, v7, 6, v0
	s_and_b64 s[12:13], s[10:11], s[12:13]
	v_cndmask_b32_e64 v10, v6, v8, s[6:7]
	v_mov_b32_e32 v6, v11
	s_xor_b64 s[12:13], s[12:13], -1
	s_and_saveexec_b64 s[16:17], s[12:13]
	s_xor_b64 s[12:13], exec, s[16:17]
	s_cbranch_execz .LBB155_104
; %bb.93:
	v_cmp_ne_u32_e32 vcc, v0, v7
	s_xor_b64 s[16:17], s[10:11], -1
	s_or_b64 s[16:17], s[16:17], vcc
	s_and_saveexec_b64 s[18:19], s[16:17]
	s_xor_b64 s[16:17], exec, s[18:19]
	s_cbranch_execz .LBB155_97
; %bb.94:
	v_or_b32_e32 v5, v7, v0
	v_cmp_gt_u32_e32 vcc, 64, v5
	s_and_saveexec_b64 s[18:19], vcc
; %bb.95:
	v_mov_b32_e32 v5, 0
	v_lshlrev_b32_e32 v7, 3, v10
	v_mov_b32_e32 v6, v5
	ds_write_b64 v7, v[5:6]
; %bb.96:
	s_or_b64 exec, exec, s[18:19]
                                        ; implicit-def: $vgpr10
                                        ; implicit-def: $vgpr5_vgpr6
.LBB155_97:
	s_andn2_saveexec_b64 s[16:17], s[16:17]
	s_cbranch_execz .LBB155_103
; %bb.98:
	v_lshlrev_b64 v[5:6], 3, v[5:6]
	v_mov_b32_e32 v7, s96
	v_add_co_u32_e32 v5, vcc, s43, v5
	v_addc_co_u32_e32 v6, vcc, v7, v6, vcc
	flat_load_dwordx2 v[5:6], v[5:6]
                                        ; implicit-def: $vgpr7
	s_waitcnt vmcnt(0) lgkmcnt(0)
	v_cmp_ngt_f32_e64 s[18:19], |v5|, |v6|
	s_and_saveexec_b64 s[20:21], s[18:19]
	s_xor_b64 s[18:19], exec, s[20:21]
	s_cbranch_execz .LBB155_100
; %bb.99:
	v_div_scale_f32 v7, s[20:21], v6, v6, v5
	v_div_scale_f32 v8, vcc, v5, v6, v5
	v_rcp_f32_e32 v11, v7
	v_fma_f32 v12, -v7, v11, 1.0
	v_fmac_f32_e32 v11, v12, v11
	v_mul_f32_e32 v12, v8, v11
	v_fma_f32 v13, -v7, v12, v8
	v_fmac_f32_e32 v12, v13, v11
	v_fma_f32 v7, -v7, v12, v8
	v_div_fmas_f32 v7, v7, v11, v12
	v_div_fixup_f32 v7, v7, v6, v5
	v_fmac_f32_e32 v6, v5, v7
	v_div_scale_f32 v5, s[20:21], v6, v6, 1.0
	v_div_scale_f32 v8, vcc, 1.0, v6, 1.0
	v_rcp_f32_e32 v11, v5
	v_fma_f32 v12, -v5, v11, 1.0
	v_fmac_f32_e32 v11, v12, v11
	v_mul_f32_e32 v12, v8, v11
	v_fma_f32 v13, -v5, v12, v8
	v_fmac_f32_e32 v12, v13, v11
	v_fma_f32 v5, -v5, v12, v8
	v_div_fmas_f32 v5, v5, v11, v12
	v_div_fixup_f32 v5, v5, v6, 1.0
	v_mul_f32_e32 v7, v7, v5
	v_xor_b32_e32 v8, 0x80000000, v5
                                        ; implicit-def: $vgpr5_vgpr6
.LBB155_100:
	s_andn2_saveexec_b64 s[18:19], s[18:19]
	s_cbranch_execz .LBB155_102
; %bb.101:
	v_div_scale_f32 v7, s[20:21], v5, v5, v6
	v_div_scale_f32 v8, vcc, v6, v5, v6
	v_rcp_f32_e32 v11, v7
	v_fma_f32 v12, -v7, v11, 1.0
	v_fmac_f32_e32 v11, v12, v11
	v_mul_f32_e32 v12, v8, v11
	v_fma_f32 v13, -v7, v12, v8
	v_fmac_f32_e32 v12, v13, v11
	v_fma_f32 v7, -v7, v12, v8
	v_div_fmas_f32 v7, v7, v11, v12
	v_div_fixup_f32 v8, v7, v5, v6
	v_fmac_f32_e32 v5, v6, v8
	v_div_scale_f32 v6, s[20:21], v5, v5, 1.0
	v_div_scale_f32 v7, vcc, 1.0, v5, 1.0
	v_rcp_f32_e32 v11, v6
	v_fma_f32 v12, -v6, v11, 1.0
	v_fmac_f32_e32 v11, v12, v11
	v_mul_f32_e32 v12, v7, v11
	v_fma_f32 v13, -v6, v12, v7
	v_fmac_f32_e32 v12, v13, v11
	v_fma_f32 v6, -v6, v12, v7
	v_div_fmas_f32 v6, v6, v11, v12
	v_div_fixup_f32 v7, v6, v5, 1.0
	v_mul_f32_e64 v8, v8, -v7
.LBB155_102:
	s_or_b64 exec, exec, s[18:19]
	v_lshlrev_b32_e32 v5, 3, v10
	ds_write_b64 v5, v[7:8]
.LBB155_103:
	s_or_b64 exec, exec, s[16:17]
                                        ; implicit-def: $vgpr5_vgpr6
                                        ; implicit-def: $vgpr10
.LBB155_104:
	s_andn2_saveexec_b64 s[12:13], s[12:13]
	s_cbranch_execz .LBB155_106
; %bb.105:
	v_lshlrev_b64 v[5:6], 3, v[5:6]
	v_mov_b32_e32 v7, s96
	v_add_co_u32_e32 v5, vcc, s43, v5
	v_addc_co_u32_e32 v6, vcc, v7, v6, vcc
	flat_load_dwordx2 v[5:6], v[5:6]
	v_lshlrev_b32_e32 v7, 3, v10
	s_waitcnt vmcnt(0) lgkmcnt(0)
	v_xor_b32_e32 v5, 0x80000000, v5
	v_xor_b32_e32 v6, 0x80000000, v6
	ds_write_b64 v7, v[5:6]
.LBB155_106:
	s_or_b64 exec, exec, s[12:13]
	v_add_u32_e32 v7, 32, v2
	v_mad_u64_u32 v[5:6], s[12:13], s38, v7, v[3:4]
	v_cmp_gt_u32_e32 vcc, v0, v7
	v_add_u32_e32 v8, v7, v9
	v_mad_u64_u32 v[11:12], s[12:13], s39, v7, v[6:7]
	v_cmp_gt_i32_e64 s[12:13], s42, v7
	s_and_b64 s[12:13], vcc, s[12:13]
	v_lshl_add_u32 v6, v7, 6, v0
	s_and_b64 s[12:13], s[10:11], s[12:13]
	v_cndmask_b32_e64 v10, v6, v8, s[6:7]
	v_mov_b32_e32 v6, v11
	s_xor_b64 s[12:13], s[12:13], -1
	s_and_saveexec_b64 s[16:17], s[12:13]
	s_xor_b64 s[12:13], exec, s[16:17]
	s_cbranch_execz .LBB155_118
; %bb.107:
	v_cmp_ne_u32_e32 vcc, v0, v7
	s_xor_b64 s[16:17], s[10:11], -1
	s_or_b64 s[16:17], s[16:17], vcc
	s_and_saveexec_b64 s[18:19], s[16:17]
	s_xor_b64 s[16:17], exec, s[18:19]
	s_cbranch_execz .LBB155_111
; %bb.108:
	v_or_b32_e32 v5, v7, v0
	v_cmp_gt_u32_e32 vcc, 64, v5
	s_and_saveexec_b64 s[18:19], vcc
; %bb.109:
	v_mov_b32_e32 v5, 0
	v_lshlrev_b32_e32 v7, 3, v10
	v_mov_b32_e32 v6, v5
	ds_write_b64 v7, v[5:6]
; %bb.110:
	s_or_b64 exec, exec, s[18:19]
                                        ; implicit-def: $vgpr10
                                        ; implicit-def: $vgpr5_vgpr6
.LBB155_111:
	s_andn2_saveexec_b64 s[16:17], s[16:17]
	s_cbranch_execz .LBB155_117
; %bb.112:
	v_lshlrev_b64 v[5:6], 3, v[5:6]
	v_mov_b32_e32 v7, s96
	v_add_co_u32_e32 v5, vcc, s43, v5
	v_addc_co_u32_e32 v6, vcc, v7, v6, vcc
	flat_load_dwordx2 v[5:6], v[5:6]
                                        ; implicit-def: $vgpr7
	s_waitcnt vmcnt(0) lgkmcnt(0)
	v_cmp_ngt_f32_e64 s[18:19], |v5|, |v6|
	s_and_saveexec_b64 s[20:21], s[18:19]
	s_xor_b64 s[18:19], exec, s[20:21]
	s_cbranch_execz .LBB155_114
; %bb.113:
	v_div_scale_f32 v7, s[20:21], v6, v6, v5
	v_div_scale_f32 v8, vcc, v5, v6, v5
	v_rcp_f32_e32 v11, v7
	v_fma_f32 v12, -v7, v11, 1.0
	v_fmac_f32_e32 v11, v12, v11
	v_mul_f32_e32 v12, v8, v11
	v_fma_f32 v13, -v7, v12, v8
	v_fmac_f32_e32 v12, v13, v11
	v_fma_f32 v7, -v7, v12, v8
	v_div_fmas_f32 v7, v7, v11, v12
	v_div_fixup_f32 v7, v7, v6, v5
	v_fmac_f32_e32 v6, v5, v7
	v_div_scale_f32 v5, s[20:21], v6, v6, 1.0
	v_div_scale_f32 v8, vcc, 1.0, v6, 1.0
	v_rcp_f32_e32 v11, v5
	v_fma_f32 v12, -v5, v11, 1.0
	v_fmac_f32_e32 v11, v12, v11
	v_mul_f32_e32 v12, v8, v11
	v_fma_f32 v13, -v5, v12, v8
	v_fmac_f32_e32 v12, v13, v11
	v_fma_f32 v5, -v5, v12, v8
	v_div_fmas_f32 v5, v5, v11, v12
	v_div_fixup_f32 v5, v5, v6, 1.0
	v_mul_f32_e32 v7, v7, v5
	v_xor_b32_e32 v8, 0x80000000, v5
                                        ; implicit-def: $vgpr5_vgpr6
.LBB155_114:
	s_andn2_saveexec_b64 s[18:19], s[18:19]
	s_cbranch_execz .LBB155_116
; %bb.115:
	v_div_scale_f32 v7, s[20:21], v5, v5, v6
	v_div_scale_f32 v8, vcc, v6, v5, v6
	v_rcp_f32_e32 v11, v7
	v_fma_f32 v12, -v7, v11, 1.0
	v_fmac_f32_e32 v11, v12, v11
	v_mul_f32_e32 v12, v8, v11
	v_fma_f32 v13, -v7, v12, v8
	v_fmac_f32_e32 v12, v13, v11
	v_fma_f32 v7, -v7, v12, v8
	v_div_fmas_f32 v7, v7, v11, v12
	v_div_fixup_f32 v8, v7, v5, v6
	v_fmac_f32_e32 v5, v6, v8
	v_div_scale_f32 v6, s[20:21], v5, v5, 1.0
	v_div_scale_f32 v7, vcc, 1.0, v5, 1.0
	v_rcp_f32_e32 v11, v6
	v_fma_f32 v12, -v6, v11, 1.0
	v_fmac_f32_e32 v11, v12, v11
	v_mul_f32_e32 v12, v7, v11
	v_fma_f32 v13, -v6, v12, v7
	v_fmac_f32_e32 v12, v13, v11
	v_fma_f32 v6, -v6, v12, v7
	v_div_fmas_f32 v6, v6, v11, v12
	v_div_fixup_f32 v7, v6, v5, 1.0
	v_mul_f32_e64 v8, v8, -v7
.LBB155_116:
	s_or_b64 exec, exec, s[18:19]
	v_lshlrev_b32_e32 v5, 3, v10
	ds_write_b64 v5, v[7:8]
.LBB155_117:
	s_or_b64 exec, exec, s[16:17]
                                        ; implicit-def: $vgpr5_vgpr6
                                        ; implicit-def: $vgpr10
.LBB155_118:
	s_andn2_saveexec_b64 s[12:13], s[12:13]
	s_cbranch_execz .LBB155_120
; %bb.119:
	v_lshlrev_b64 v[5:6], 3, v[5:6]
	v_mov_b32_e32 v7, s96
	v_add_co_u32_e32 v5, vcc, s43, v5
	v_addc_co_u32_e32 v6, vcc, v7, v6, vcc
	flat_load_dwordx2 v[5:6], v[5:6]
	v_lshlrev_b32_e32 v7, 3, v10
	s_waitcnt vmcnt(0) lgkmcnt(0)
	v_xor_b32_e32 v5, 0x80000000, v5
	v_xor_b32_e32 v6, 0x80000000, v6
	ds_write_b64 v7, v[5:6]
.LBB155_120:
	s_or_b64 exec, exec, s[12:13]
	v_add_u32_e32 v5, 48, v2
	v_mad_u64_u32 v[3:4], s[12:13], s38, v5, v[3:4]
	v_add_u32_e32 v8, v5, v9
	v_cmp_gt_u32_e32 vcc, v0, v5
	v_mad_u64_u32 v[6:7], s[12:13], s39, v5, v[4:5]
	v_lshl_add_u32 v4, v5, 6, v0
	v_cndmask_b32_e64 v7, v4, v8, s[6:7]
	v_cmp_gt_i32_e64 s[6:7], s42, v5
	s_and_b64 s[6:7], vcc, s[6:7]
	s_and_b64 s[6:7], s[10:11], s[6:7]
	v_mov_b32_e32 v4, v6
	s_xor_b64 s[6:7], s[6:7], -1
	s_and_saveexec_b64 s[12:13], s[6:7]
	s_xor_b64 s[6:7], exec, s[12:13]
	s_cbranch_execz .LBB155_132
; %bb.121:
	v_cmp_ne_u32_e32 vcc, v0, v5
	s_xor_b64 s[10:11], s[10:11], -1
	s_or_b64 s[10:11], s[10:11], vcc
	s_and_saveexec_b64 s[12:13], s[10:11]
	s_xor_b64 s[10:11], exec, s[12:13]
	s_cbranch_execz .LBB155_125
; %bb.122:
	v_or_b32_e32 v3, v5, v0
	v_cmp_gt_u32_e32 vcc, 64, v3
	s_and_saveexec_b64 s[12:13], vcc
; %bb.123:
	v_mov_b32_e32 v3, 0
	v_lshlrev_b32_e32 v5, 3, v7
	v_mov_b32_e32 v4, v3
	ds_write_b64 v5, v[3:4]
; %bb.124:
	s_or_b64 exec, exec, s[12:13]
                                        ; implicit-def: $vgpr7
                                        ; implicit-def: $vgpr3_vgpr4
.LBB155_125:
	s_andn2_saveexec_b64 s[10:11], s[10:11]
	s_cbranch_execz .LBB155_131
; %bb.126:
	v_lshlrev_b64 v[3:4], 3, v[3:4]
	v_mov_b32_e32 v5, s96
	v_add_co_u32_e32 v3, vcc, s43, v3
	v_addc_co_u32_e32 v4, vcc, v5, v4, vcc
	flat_load_dwordx2 v[3:4], v[3:4]
                                        ; implicit-def: $vgpr5
	s_waitcnt vmcnt(0) lgkmcnt(0)
	v_cmp_ngt_f32_e64 s[12:13], |v3|, |v4|
	s_and_saveexec_b64 s[16:17], s[12:13]
	s_xor_b64 s[12:13], exec, s[16:17]
	s_cbranch_execz .LBB155_128
; %bb.127:
	v_div_scale_f32 v5, s[16:17], v4, v4, v3
	v_div_scale_f32 v6, vcc, v3, v4, v3
	v_rcp_f32_e32 v8, v5
	v_fma_f32 v9, -v5, v8, 1.0
	v_fmac_f32_e32 v8, v9, v8
	v_mul_f32_e32 v9, v6, v8
	v_fma_f32 v10, -v5, v9, v6
	v_fmac_f32_e32 v9, v10, v8
	v_fma_f32 v5, -v5, v9, v6
	v_div_fmas_f32 v5, v5, v8, v9
	v_div_fixup_f32 v5, v5, v4, v3
	v_fmac_f32_e32 v4, v3, v5
	v_div_scale_f32 v3, s[16:17], v4, v4, 1.0
	v_div_scale_f32 v6, vcc, 1.0, v4, 1.0
	v_rcp_f32_e32 v8, v3
	v_fma_f32 v9, -v3, v8, 1.0
	v_fmac_f32_e32 v8, v9, v8
	v_mul_f32_e32 v9, v6, v8
	v_fma_f32 v10, -v3, v9, v6
	v_fmac_f32_e32 v9, v10, v8
	v_fma_f32 v3, -v3, v9, v6
	v_div_fmas_f32 v3, v3, v8, v9
	v_div_fixup_f32 v3, v3, v4, 1.0
	v_mul_f32_e32 v5, v5, v3
	v_xor_b32_e32 v6, 0x80000000, v3
                                        ; implicit-def: $vgpr3_vgpr4
.LBB155_128:
	s_andn2_saveexec_b64 s[12:13], s[12:13]
	s_cbranch_execz .LBB155_130
; %bb.129:
	v_div_scale_f32 v5, s[16:17], v3, v3, v4
	v_div_scale_f32 v6, vcc, v4, v3, v4
	v_rcp_f32_e32 v8, v5
	v_fma_f32 v9, -v5, v8, 1.0
	v_fmac_f32_e32 v8, v9, v8
	v_mul_f32_e32 v9, v6, v8
	v_fma_f32 v10, -v5, v9, v6
	v_fmac_f32_e32 v9, v10, v8
	v_fma_f32 v5, -v5, v9, v6
	v_div_fmas_f32 v5, v5, v8, v9
	v_div_fixup_f32 v6, v5, v3, v4
	v_fmac_f32_e32 v3, v4, v6
	v_div_scale_f32 v4, s[16:17], v3, v3, 1.0
	v_div_scale_f32 v5, vcc, 1.0, v3, 1.0
	v_rcp_f32_e32 v8, v4
	v_fma_f32 v9, -v4, v8, 1.0
	v_fmac_f32_e32 v8, v9, v8
	v_mul_f32_e32 v9, v5, v8
	v_fma_f32 v10, -v4, v9, v5
	v_fmac_f32_e32 v9, v10, v8
	v_fma_f32 v4, -v4, v9, v5
	v_div_fmas_f32 v4, v4, v8, v9
	v_div_fixup_f32 v5, v4, v3, 1.0
	v_mul_f32_e64 v6, v6, -v5
.LBB155_130:
	s_or_b64 exec, exec, s[12:13]
	v_lshlrev_b32_e32 v3, 3, v7
	ds_write_b64 v3, v[5:6]
.LBB155_131:
	s_or_b64 exec, exec, s[10:11]
                                        ; implicit-def: $vgpr3_vgpr4
                                        ; implicit-def: $vgpr7
.LBB155_132:
	s_andn2_saveexec_b64 s[6:7], s[6:7]
	s_cbranch_execz .LBB155_134
; %bb.133:
	v_lshlrev_b64 v[3:4], 3, v[3:4]
	v_mov_b32_e32 v5, s96
	v_add_co_u32_e32 v3, vcc, s43, v3
	v_addc_co_u32_e32 v4, vcc, v5, v4, vcc
	flat_load_dwordx2 v[3:4], v[3:4]
	v_lshlrev_b32_e32 v5, 3, v7
	s_waitcnt vmcnt(0) lgkmcnt(0)
	v_xor_b32_e32 v3, 0x80000000, v3
	v_xor_b32_e32 v4, 0x80000000, v4
	ds_write_b64 v5, v[3:4]
.LBB155_134:
	s_or_b64 exec, exec, s[6:7]
.LBB155_135:
	v_cndmask_b32_e64 v3, 0, 1, s[14:15]
	v_cmp_ne_u32_e64 s[6:7], 1, v3
                                        ; implicit-def: $vgpr35 : SGPR spill to VGPR lane
	s_andn2_b64 vcc, exec, s[14:15]
	v_writelane_b32 v35, s6, 0
	s_waitcnt vmcnt(0) lgkmcnt(0)
	s_barrier
	v_writelane_b32 v35, s7, 1
	s_cbranch_vccnz .LBB155_1057
; %bb.136:
	v_or_b32_e32 v3, v0, v2
	v_cmp_eq_u32_e32 vcc, 0, v3
	s_and_saveexec_b64 s[6:7], vcc
	s_cbranch_execz .LBB155_138
; %bb.137:
	v_mov_b32_e32 v9, 0
	ds_read_b128 v[3:6], v9
	ds_read_b64 v[7:8], v9 offset:520
	s_waitcnt lgkmcnt(0)
	v_mul_f32_e32 v10, v8, v4
	v_mul_f32_e32 v11, v7, v4
	v_fma_f32 v7, v7, v3, -v10
	v_fmac_f32_e32 v11, v8, v3
	v_mul_f32_e32 v3, v11, v6
	v_mul_f32_e32 v4, v7, v6
	v_fma_f32 v3, v7, v5, -v3
	v_fmac_f32_e32 v4, v11, v5
	ds_write2_b64 v9, v[3:4], v[3:4] offset0:1 offset1:64
.LBB155_138:
	s_or_b64 exec, exec, s[6:7]
	v_and_b32_e32 v8, 1, v0
	v_lshrrev_b32_e32 v5, 1, v1
	v_lshlrev_b32_e32 v3, 3, v8
	v_cmp_lt_u32_e64 s[10:11], 3, v1
	v_cmp_gt_u32_e64 s[22:23], 4, v1
	v_lshl_or_b32 v3, v5, 9, v3
	v_mov_b32_e32 v6, 0
	v_mov_b32_e32 v7, 0
	s_waitcnt lgkmcnt(0)
	s_barrier
	s_and_saveexec_b64 s[6:7], s[22:23]
	s_cbranch_execz .LBB155_142
; %bb.139:
	v_mul_u32_u24_e32 v4, 0x208, v5
	ds_read_b64 v[6:7], v3 offset:16
	ds_read_b64 v[9:10], v4
	v_cmp_gt_u32_e64 s[12:13], 2, v1
	s_waitcnt lgkmcnt(0)
	v_mul_f32_e32 v4, v10, v7
	v_mul_f32_e32 v7, v9, v7
	v_fma_f32 v4, v9, v6, -v4
	v_fmac_f32_e32 v7, v10, v6
	v_add_f32_e32 v4, 0, v4
	v_add_f32_e32 v6, 0, v7
	s_and_saveexec_b64 s[14:15], s[12:13]
	s_cbranch_execz .LBB155_141
; %bb.140:
	v_lshlrev_b32_e32 v7, 3, v0
	v_mov_b32_e32 v11, 0
	ds_read_b64 v[9:10], v7 offset:528
	ds_read_b64 v[11:12], v11 offset:8
	s_waitcnt lgkmcnt(0)
	v_mul_f32_e32 v7, v12, v10
	v_mul_f32_e32 v10, v11, v10
	v_fma_f32 v7, v11, v9, -v7
	v_fmac_f32_e32 v10, v12, v9
	v_add_f32_e32 v4, v4, v7
	v_add_f32_e32 v6, v6, v10
.LBB155_141:
	s_or_b64 exec, exec, s[14:15]
	v_xor_b32_e32 v7, 0x80000000, v4
	v_xor_b32_e32 v6, 0x80000000, v6
.LBB155_142:
	v_writelane_b32 v35, s46, 2
	s_or_b64 exec, exec, s[6:7]
	v_mov_b32_e32 v4, 0x8000
	v_cmp_eq_u32_e64 s[12:13], 0, v8
	s_xor_b64 s[6:7], s[10:11], -1
	v_lshl_add_u32 v4, v5, 3, v4
	s_and_b64 s[46:47], s[12:13], s[6:7]
	s_and_saveexec_b64 s[10:11], s[46:47]
	s_cbranch_execz .LBB155_144
; %bb.143:
	v_mov_b32_e32 v9, 0
	ds_read_b64 v[9:10], v9 offset:1040
	s_waitcnt lgkmcnt(0)
	v_mul_f32_e32 v12, v6, v10
	v_mul_f32_e32 v11, v7, v10
	v_fma_f32 v10, v7, v9, -v12
	v_fmac_f32_e32 v11, v6, v9
	v_mov_b32_e32 v7, v10
	v_mov_b32_e32 v6, v11
	ds_write_b64 v4, v[10:11]
.LBB155_144:
	s_or_b64 exec, exec, s[10:11]
	v_cmp_ne_u32_e64 s[10:11], 0, v8
	s_and_b64 s[44:45], s[10:11], s[6:7]
	s_waitcnt lgkmcnt(0)
	s_barrier
	s_and_saveexec_b64 s[6:7], s[44:45]
	s_cbranch_execz .LBB155_146
; %bb.145:
	v_mov_b32_e32 v8, 0
	ds_read_b64 v[8:9], v8 offset:1048
	ds_read_b64 v[10:11], v4
	s_waitcnt lgkmcnt(0)
	v_mul_f32_e32 v12, v11, v9
	v_mul_f32_e32 v9, v10, v9
	v_fma_f32 v10, v10, v8, -v12
	v_fmac_f32_e32 v9, v11, v8
	v_add_f32_e32 v7, v7, v10
	v_add_f32_e32 v6, v6, v9
.LBB155_146:
	s_or_b64 exec, exec, s[6:7]
	s_barrier
	s_and_saveexec_b64 s[6:7], s[44:45]
	s_cbranch_execz .LBB155_148
; %bb.147:
	v_mov_b32_e32 v8, 0
	ds_read_b64 v[8:9], v8 offset:1560
	s_waitcnt lgkmcnt(0)
	v_mul_f32_e32 v11, v6, v9
	v_mul_f32_e32 v10, v7, v9
	v_fma_f32 v9, v7, v8, -v11
	v_fmac_f32_e32 v10, v6, v8
	v_mov_b32_e32 v7, v9
	v_mov_b32_e32 v6, v10
	ds_write_b64 v4, v[9:10]
.LBB155_148:
	s_or_b64 exec, exec, s[6:7]
	s_waitcnt lgkmcnt(0)
	s_barrier
	s_barrier
	s_and_saveexec_b64 s[6:7], s[22:23]
; %bb.149:
	v_xor_b32_e32 v8, 0x80000000, v6
	v_xor_b32_e32 v7, 0x80000000, v7
	ds_write_b64 v3, v[7:8] offset:16
; %bb.150:
	s_or_b64 exec, exec, s[6:7]
	v_cmp_eq_u32_e64 s[16:17], 0, v2
	v_cmp_gt_u32_e64 s[10:11], 2, v0
	s_and_b64 s[48:49], s[16:17], s[10:11]
	s_waitcnt lgkmcnt(0)
	s_barrier
	s_barrier
	s_and_saveexec_b64 s[6:7], s[48:49]
	s_cbranch_execz .LBB155_152
; %bb.151:
	v_lshlrev_b32_e32 v8, 3, v0
	s_movk_i32 s10, 0x1f8
	v_mad_u32_u24 v9, v0, s10, v8
	ds_read_b64 v[6:7], v9 offset:16
	s_waitcnt lgkmcnt(0)
	ds_write_b64 v8, v[6:7] offset:1024
	ds_read_b64 v[6:7], v9 offset:24
	s_waitcnt lgkmcnt(0)
	ds_write_b64 v8, v[6:7] offset:1536
.LBB155_152:
	s_or_b64 exec, exec, s[6:7]
	s_waitcnt lgkmcnt(0)
	s_barrier
	s_and_saveexec_b64 s[6:7], vcc
	s_cbranch_execz .LBB155_154
; %bb.153:
	v_mov_b32_e32 v12, 0
	ds_read_b128 v[6:9], v12 offset:1040
	ds_read_b64 v[10:11], v12 offset:1560
	s_waitcnt lgkmcnt(0)
	v_mul_f32_e32 v13, v11, v7
	v_mul_f32_e32 v14, v10, v7
	v_fma_f32 v10, v10, v6, -v13
	v_fmac_f32_e32 v14, v11, v6
	v_mul_f32_e32 v6, v14, v9
	v_mul_f32_e32 v7, v10, v9
	v_fma_f32 v6, v10, v8, -v6
	v_fmac_f32_e32 v7, v14, v8
	ds_write2_b64 v12, v[6:7], v[6:7] offset0:131 offset1:194
.LBB155_154:
	s_or_b64 exec, exec, s[6:7]
	v_and_b32_e32 v9, 3, v0
	v_lshrrev_b32_e32 v10, 2, v1
	v_lshlrev_b32_e32 v7, 3, v9
	v_cmp_lt_u32_e64 s[12:13], 15, v1
	v_cmp_gt_u32_e64 s[10:11], 16, v1
	v_lshl_or_b32 v6, v10, 9, v7
	v_mov_b32_e32 v11, 0
	v_mov_b32_e32 v12, 0
	s_waitcnt lgkmcnt(0)
	s_barrier
	s_and_saveexec_b64 s[6:7], s[10:11]
	s_cbranch_execz .LBB155_160
; %bb.155:
	v_mul_u32_u24_e32 v12, 0x208, v10
	ds_read_b64 v[13:14], v6 offset:32
	ds_read_b64 v[15:16], v12
	v_cmp_gt_u32_e64 s[14:15], 12, v1
	s_waitcnt lgkmcnt(0)
	v_mul_f32_e32 v8, v16, v14
	v_mul_f32_e32 v11, v15, v14
	v_fma_f32 v8, v15, v13, -v8
	v_fmac_f32_e32 v11, v16, v13
	v_add_f32_e32 v8, 0, v8
	v_add_f32_e32 v11, 0, v11
	s_and_saveexec_b64 s[18:19], s[14:15]
	s_cbranch_execnz .LBB155_1116
; %bb.156:
	s_or_b64 exec, exec, s[18:19]
	v_cmp_gt_u32_e64 s[14:15], 8, v1
	s_and_saveexec_b64 s[18:19], s[14:15]
	s_cbranch_execnz .LBB155_1117
.LBB155_157:
	s_or_b64 exec, exec, s[18:19]
	v_cmp_gt_u32_e64 s[14:15], 4, v1
	s_and_saveexec_b64 s[18:19], s[14:15]
	s_cbranch_execz .LBB155_159
.LBB155_158:
	v_lshlrev_b32_e32 v12, 3, v0
	v_mov_b32_e32 v14, 0
	ds_read_b64 v[12:13], v12 offset:1568
	ds_read_b64 v[14:15], v14 offset:24
	s_waitcnt lgkmcnt(0)
	v_mul_f32_e32 v16, v15, v13
	v_mul_f32_e32 v13, v14, v13
	v_fma_f32 v14, v14, v12, -v16
	v_fmac_f32_e32 v13, v15, v12
	v_add_f32_e32 v8, v8, v14
	v_add_f32_e32 v11, v11, v13
.LBB155_159:
	s_or_b64 exec, exec, s[18:19]
	v_xor_b32_e32 v12, 0x80000000, v8
	v_xor_b32_e32 v11, 0x80000000, v11
.LBB155_160:
	v_writelane_b32 v35, s52, 3
	v_writelane_b32 v35, s53, 4
	s_or_b64 exec, exec, s[6:7]
	v_mov_b32_e32 v8, 0x8000
	v_cmp_eq_u32_e64 s[14:15], 0, v9
	s_xor_b64 s[6:7], s[12:13], -1
	v_lshl_add_u32 v8, v10, 3, v8
	s_and_b64 s[52:53], s[14:15], s[6:7]
	s_and_saveexec_b64 s[12:13], s[52:53]
	s_cbranch_execz .LBB155_162
; %bb.161:
	v_mov_b32_e32 v13, 0
	ds_read_b64 v[13:14], v13 offset:2080
	s_waitcnt lgkmcnt(0)
	v_mul_f32_e32 v16, v11, v14
	v_mul_f32_e32 v15, v12, v14
	v_fma_f32 v14, v12, v13, -v16
	v_fmac_f32_e32 v15, v11, v13
	v_mov_b32_e32 v12, v14
	v_mov_b32_e32 v11, v15
	ds_write_b64 v8, v[14:15]
.LBB155_162:
	s_or_b64 exec, exec, s[12:13]
	v_cmp_ne_u32_e64 s[12:13], 0, v9
	s_and_b64 s[54:55], s[12:13], s[6:7]
	s_waitcnt lgkmcnt(0)
	s_barrier
	s_and_saveexec_b64 s[12:13], s[54:55]
	s_cbranch_execz .LBB155_164
; %bb.163:
	ds_read_b64 v[13:14], v7 offset:2080
	ds_read_b64 v[15:16], v8
	s_waitcnt lgkmcnt(0)
	v_mul_f32_e32 v17, v16, v14
	v_mul_f32_e32 v14, v15, v14
	v_fma_f32 v15, v15, v13, -v17
	v_fmac_f32_e32 v14, v16, v13
	v_add_f32_e32 v12, v12, v15
	v_add_f32_e32 v11, v11, v14
.LBB155_164:
	s_or_b64 exec, exec, s[12:13]
	v_cmp_eq_u32_e64 s[12:13], 1, v9
	s_and_b64 s[56:57], s[12:13], s[6:7]
	s_barrier
	s_and_saveexec_b64 s[12:13], s[56:57]
	s_cbranch_execz .LBB155_166
; %bb.165:
	v_mov_b32_e32 v13, 0
	ds_read_b64 v[13:14], v13 offset:2600
	s_waitcnt lgkmcnt(0)
	v_mul_f32_e32 v16, v11, v14
	v_mul_f32_e32 v15, v12, v14
	v_fma_f32 v14, v12, v13, -v16
	v_fmac_f32_e32 v15, v11, v13
	v_mov_b32_e32 v12, v14
	v_mov_b32_e32 v11, v15
	ds_write_b64 v8, v[14:15]
.LBB155_166:
	s_or_b64 exec, exec, s[12:13]
	v_cmp_lt_u32_e64 s[12:13], 1, v9
	s_and_b64 s[58:59], s[12:13], s[6:7]
	s_waitcnt lgkmcnt(0)
	s_barrier
	s_and_saveexec_b64 s[12:13], s[58:59]
	s_cbranch_execz .LBB155_168
; %bb.167:
	ds_read_b64 v[13:14], v7 offset:2592
	ds_read_b64 v[15:16], v8
	s_waitcnt lgkmcnt(0)
	v_mul_f32_e32 v17, v16, v14
	v_mul_f32_e32 v14, v15, v14
	v_fma_f32 v15, v15, v13, -v17
	v_fmac_f32_e32 v14, v16, v13
	v_add_f32_e32 v12, v12, v15
	v_add_f32_e32 v11, v11, v14
.LBB155_168:
	s_or_b64 exec, exec, s[12:13]
	v_cmp_eq_u32_e64 s[12:13], 2, v9
	s_and_b64 s[60:61], s[12:13], s[6:7]
	s_barrier
	s_and_saveexec_b64 s[12:13], s[60:61]
	s_cbranch_execz .LBB155_170
; %bb.169:
	v_mov_b32_e32 v13, 0
	ds_read_b64 v[13:14], v13 offset:3120
	s_waitcnt lgkmcnt(0)
	v_mul_f32_e32 v16, v11, v14
	v_mul_f32_e32 v15, v12, v14
	v_fma_f32 v14, v12, v13, -v16
	v_fmac_f32_e32 v15, v11, v13
	v_mov_b32_e32 v12, v14
	v_mov_b32_e32 v11, v15
	ds_write_b64 v8, v[14:15]
.LBB155_170:
	s_or_b64 exec, exec, s[12:13]
	v_cmp_eq_u32_e64 s[12:13], 3, v9
	s_and_b64 s[50:51], s[12:13], s[6:7]
	s_waitcnt lgkmcnt(0)
	s_barrier
	s_and_saveexec_b64 s[6:7], s[50:51]
	s_cbranch_execz .LBB155_172
; %bb.171:
	v_mov_b32_e32 v13, 0
	ds_read_b64 v[13:14], v13 offset:3128
	ds_read_b64 v[15:16], v8
	s_waitcnt lgkmcnt(0)
	v_mul_f32_e32 v17, v16, v14
	v_mul_f32_e32 v14, v15, v14
	v_fma_f32 v15, v15, v13, -v17
	v_fmac_f32_e32 v14, v16, v13
	v_add_f32_e32 v12, v12, v15
	v_add_f32_e32 v11, v11, v14
.LBB155_172:
	s_or_b64 exec, exec, s[6:7]
	s_barrier
	s_and_saveexec_b64 s[6:7], s[50:51]
	s_cbranch_execz .LBB155_174
; %bb.173:
	v_mov_b32_e32 v13, 0
	ds_read_b64 v[13:14], v13 offset:3640
	s_waitcnt lgkmcnt(0)
	v_mul_f32_e32 v16, v11, v14
	v_mul_f32_e32 v15, v12, v14
	v_fma_f32 v14, v12, v13, -v16
	v_fmac_f32_e32 v15, v11, v13
	v_mov_b32_e32 v12, v14
	v_mov_b32_e32 v11, v15
	ds_write_b64 v8, v[14:15]
.LBB155_174:
	s_or_b64 exec, exec, s[6:7]
	s_waitcnt lgkmcnt(0)
	s_barrier
	s_barrier
	s_and_saveexec_b64 s[6:7], s[10:11]
; %bb.175:
	v_xor_b32_e32 v12, 0x80000000, v12
	v_xor_b32_e32 v13, 0x80000000, v11
	ds_write_b64 v6, v[12:13] offset:32
; %bb.176:
	s_or_b64 exec, exec, s[6:7]
	v_cmp_gt_u32_e64 s[12:13], 4, v0
	s_and_b64 s[62:63], s[16:17], s[12:13]
	s_waitcnt lgkmcnt(0)
	s_barrier
	s_barrier
	s_and_saveexec_b64 s[6:7], s[62:63]
	s_cbranch_execz .LBB155_178
; %bb.177:
	v_lshlrev_b32_e32 v13, 9, v0
	ds_read_b64 v[11:12], v13 offset:32
	s_movk_i32 s12, 0xfe08
	v_mad_i32_i24 v14, v0, s12, v13
	s_waitcnt lgkmcnt(0)
	ds_write_b64 v14, v[11:12] offset:2048
	ds_read_b64 v[11:12], v13 offset:40
	s_waitcnt lgkmcnt(0)
	ds_write_b64 v14, v[11:12] offset:2560
	ds_read_b64 v[11:12], v13 offset:48
	;; [unrolled: 3-line block ×3, first 2 shown]
	s_waitcnt lgkmcnt(0)
	ds_write_b64 v14, v[11:12] offset:3584
.LBB155_178:
	s_or_b64 exec, exec, s[6:7]
	s_waitcnt lgkmcnt(0)
	s_barrier
	s_and_saveexec_b64 s[6:7], vcc
	s_cbranch_execz .LBB155_180
; %bb.179:
	v_mov_b32_e32 v15, 0
	ds_read_b128 v[11:14], v15 offset:2080
	ds_read_b64 v[15:16], v15 offset:2600
	s_movk_i32 s12, 0x800
	s_waitcnt lgkmcnt(0)
	v_mul_f32_e32 v17, v16, v12
	v_mul_f32_e32 v18, v15, v12
	v_fma_f32 v15, v15, v11, -v17
	v_fmac_f32_e32 v18, v16, v11
	v_mul_f32_e32 v11, v18, v14
	v_mul_f32_e32 v12, v15, v14
	v_fma_f32 v11, v15, v13, -v11
	v_fmac_f32_e32 v12, v18, v13
	v_add_u32_e64 v13, s12, 0
	ds_write2_b64 v13, v[11:12], v[11:12] offset0:5 offset1:68
.LBB155_180:
	s_or_b64 exec, exec, s[6:7]
	v_mov_b32_e32 v11, 0
	v_mov_b32_e32 v12, 0
	s_waitcnt lgkmcnt(0)
	s_barrier
	s_and_saveexec_b64 s[6:7], s[22:23]
	s_cbranch_execz .LBB155_184
; %bb.181:
	v_mul_u32_u24_e32 v13, 0x208, v5
	ds_read_b64 v[11:12], v3 offset:2096
	ds_read_b64 v[13:14], v13 offset:2080
	v_cmp_gt_u32_e64 s[12:13], 2, v1
	s_waitcnt lgkmcnt(0)
	v_mul_f32_e32 v15, v14, v12
	v_mul_f32_e32 v12, v13, v12
	v_fma_f32 v13, v13, v11, -v15
	v_fmac_f32_e32 v12, v14, v11
	v_add_f32_e32 v11, 0, v13
	v_add_f32_e32 v13, 0, v12
	s_and_saveexec_b64 s[14:15], s[12:13]
	s_cbranch_execz .LBB155_183
; %bb.182:
	v_lshlrev_b32_e32 v12, 3, v0
	v_mov_b32_e32 v16, 0
	ds_read_b64 v[14:15], v12 offset:2608
	ds_read_b64 v[16:17], v16 offset:2088
	s_waitcnt lgkmcnt(0)
	v_mul_f32_e32 v12, v17, v15
	v_mul_f32_e32 v15, v16, v15
	v_fma_f32 v12, v16, v14, -v12
	v_fmac_f32_e32 v15, v17, v14
	v_add_f32_e32 v11, v11, v12
	v_add_f32_e32 v13, v13, v15
.LBB155_183:
	s_or_b64 exec, exec, s[14:15]
	v_xor_b32_e32 v12, 0x80000000, v11
	v_xor_b32_e32 v11, 0x80000000, v13
.LBB155_184:
	s_or_b64 exec, exec, s[6:7]
	s_and_saveexec_b64 s[6:7], s[46:47]
	s_cbranch_execz .LBB155_186
; %bb.185:
	v_mov_b32_e32 v13, 0
	ds_read_b64 v[13:14], v13 offset:3120
	s_waitcnt lgkmcnt(0)
	v_mul_f32_e32 v16, v11, v14
	v_mul_f32_e32 v15, v12, v14
	v_fma_f32 v14, v12, v13, -v16
	v_fmac_f32_e32 v15, v11, v13
	v_mov_b32_e32 v12, v14
	v_mov_b32_e32 v11, v15
	ds_write_b64 v4, v[14:15]
.LBB155_186:
	s_or_b64 exec, exec, s[6:7]
	s_waitcnt lgkmcnt(0)
	s_barrier
	s_and_saveexec_b64 s[6:7], s[44:45]
	s_cbranch_execz .LBB155_188
; %bb.187:
	v_mov_b32_e32 v13, 0
	ds_read_b64 v[13:14], v13 offset:3128
	ds_read_b64 v[15:16], v4
	s_waitcnt lgkmcnt(0)
	v_mul_f32_e32 v17, v16, v14
	v_mul_f32_e32 v14, v15, v14
	v_fma_f32 v15, v15, v13, -v17
	v_fmac_f32_e32 v14, v16, v13
	v_add_f32_e32 v12, v12, v15
	v_add_f32_e32 v11, v11, v14
.LBB155_188:
	s_or_b64 exec, exec, s[6:7]
	s_barrier
	s_and_saveexec_b64 s[6:7], s[44:45]
	s_cbranch_execz .LBB155_190
; %bb.189:
	v_mov_b32_e32 v13, 0
	ds_read_b64 v[13:14], v13 offset:3640
	s_waitcnt lgkmcnt(0)
	v_mul_f32_e32 v16, v11, v14
	v_mul_f32_e32 v15, v12, v14
	v_fma_f32 v14, v12, v13, -v16
	v_fmac_f32_e32 v15, v11, v13
	v_mov_b32_e32 v12, v14
	v_mov_b32_e32 v11, v15
	ds_write_b64 v4, v[14:15]
.LBB155_190:
	s_or_b64 exec, exec, s[6:7]
	s_waitcnt lgkmcnt(0)
	s_barrier
	s_barrier
	s_and_saveexec_b64 s[6:7], s[22:23]
; %bb.191:
	v_xor_b32_e32 v13, 0x80000000, v11
	v_xor_b32_e32 v12, 0x80000000, v12
	ds_write_b64 v3, v[12:13] offset:2096
; %bb.192:
	s_or_b64 exec, exec, s[6:7]
	s_waitcnt lgkmcnt(0)
	s_barrier
	s_barrier
	s_and_saveexec_b64 s[6:7], s[48:49]
	s_cbranch_execz .LBB155_194
; %bb.193:
	v_lshlrev_b32_e32 v13, 3, v0
	s_movk_i32 s12, 0x1f8
	v_mad_u32_u24 v14, v0, s12, v13
	ds_read_b64 v[11:12], v14 offset:2096
	s_waitcnt lgkmcnt(0)
	ds_write_b64 v13, v[11:12] offset:3104
	ds_read_b64 v[11:12], v14 offset:2104
	s_waitcnt lgkmcnt(0)
	ds_write_b64 v13, v[11:12] offset:3616
.LBB155_194:
	s_or_b64 exec, exec, s[6:7]
	s_waitcnt lgkmcnt(0)
	s_barrier
	s_and_saveexec_b64 s[6:7], vcc
	s_cbranch_execz .LBB155_196
; %bb.195:
	v_mov_b32_e32 v15, 0
	ds_read_b128 v[11:14], v15 offset:3120
	ds_read_b64 v[15:16], v15 offset:3640
	s_movk_i32 s12, 0x800
	s_waitcnt lgkmcnt(0)
	v_mul_f32_e32 v17, v16, v12
	v_mul_f32_e32 v18, v15, v12
	v_fma_f32 v15, v15, v11, -v17
	v_fmac_f32_e32 v18, v16, v11
	v_mul_f32_e32 v11, v18, v14
	v_mul_f32_e32 v12, v15, v14
	v_fma_f32 v11, v15, v13, -v11
	v_fmac_f32_e32 v12, v18, v13
	v_add_u32_e64 v13, s12, 0
	ds_write2_b64 v13, v[11:12], v[11:12] offset0:135 offset1:198
.LBB155_196:
	s_or_b64 exec, exec, s[6:7]
	v_and_b32_e32 v14, 7, v0
	v_lshrrev_b32_e32 v15, 3, v1
	v_lshlrev_b32_e32 v12, 3, v14
	v_cmp_lt_u32_e64 s[14:15], 63, v1
	v_cmp_gt_u32_e64 s[12:13], 64, v1
	v_lshl_or_b32 v11, v15, 9, v12
	v_mov_b32_e32 v16, 0
	v_mov_b32_e32 v17, 0
	s_waitcnt lgkmcnt(0)
	s_barrier
	s_and_saveexec_b64 s[6:7], s[12:13]
	s_cbranch_execz .LBB155_206
; %bb.197:
	v_mul_u32_u24_e32 v17, 0x208, v15
	ds_read_b64 v[18:19], v11 offset:64
	ds_read_b64 v[20:21], v17
	v_cmp_gt_u32_e64 s[18:19], 56, v1
	s_waitcnt lgkmcnt(0)
	v_mul_f32_e32 v13, v21, v19
	v_mul_f32_e32 v16, v20, v19
	v_fma_f32 v13, v20, v18, -v13
	v_fmac_f32_e32 v16, v21, v18
	v_add_f32_e32 v13, 0, v13
	v_add_f32_e32 v16, 0, v16
	s_and_saveexec_b64 s[20:21], s[18:19]
	s_cbranch_execnz .LBB155_1118
; %bb.198:
	s_or_b64 exec, exec, s[20:21]
	v_cmp_gt_u32_e64 s[18:19], 48, v1
	s_and_saveexec_b64 s[20:21], s[18:19]
	s_cbranch_execnz .LBB155_1119
.LBB155_199:
	s_or_b64 exec, exec, s[20:21]
	v_cmp_gt_u32_e64 s[18:19], 40, v1
	s_and_saveexec_b64 s[20:21], s[18:19]
	s_cbranch_execnz .LBB155_1120
.LBB155_200:
	s_or_b64 exec, exec, s[20:21]
	v_cmp_gt_u32_e64 s[18:19], 32, v1
	s_and_saveexec_b64 s[20:21], s[18:19]
	s_cbranch_execnz .LBB155_1121
.LBB155_201:
	s_or_b64 exec, exec, s[20:21]
	v_cmp_gt_u32_e64 s[18:19], 24, v1
	s_and_saveexec_b64 s[20:21], s[18:19]
	s_cbranch_execnz .LBB155_1122
.LBB155_202:
	s_or_b64 exec, exec, s[20:21]
	v_cmp_gt_u32_e64 s[18:19], 16, v1
	s_and_saveexec_b64 s[20:21], s[18:19]
	s_cbranch_execnz .LBB155_1123
.LBB155_203:
	s_or_b64 exec, exec, s[20:21]
	v_cmp_gt_u32_e64 s[18:19], 8, v1
	s_and_saveexec_b64 s[20:21], s[18:19]
	s_cbranch_execz .LBB155_205
.LBB155_204:
	v_lshlrev_b32_e32 v17, 3, v0
	v_mov_b32_e32 v19, 0
	ds_read_b64 v[17:18], v17 offset:3648
	ds_read_b64 v[19:20], v19 offset:56
	s_waitcnt lgkmcnt(0)
	v_mul_f32_e32 v21, v20, v18
	v_mul_f32_e32 v18, v19, v18
	v_fma_f32 v19, v19, v17, -v21
	v_fmac_f32_e32 v18, v20, v17
	v_add_f32_e32 v13, v13, v19
	v_add_f32_e32 v16, v16, v18
.LBB155_205:
	s_or_b64 exec, exec, s[20:21]
	v_xor_b32_e32 v17, 0x80000000, v13
	v_xor_b32_e32 v16, 0x80000000, v16
.LBB155_206:
	v_writelane_b32 v35, s66, 5
	v_writelane_b32 v35, s67, 6
	s_or_b64 exec, exec, s[6:7]
	v_mov_b32_e32 v13, 0x8000
	v_cmp_eq_u32_e64 s[18:19], 0, v14
	s_xor_b64 s[6:7], s[14:15], -1
	v_lshl_add_u32 v13, v15, 3, v13
	s_and_b64 s[66:67], s[18:19], s[6:7]
	s_and_saveexec_b64 s[14:15], s[66:67]
	s_cbranch_execz .LBB155_208
; %bb.207:
	v_mov_b32_e32 v18, 0
	ds_read_b64 v[18:19], v18 offset:4160
	s_waitcnt lgkmcnt(0)
	v_mul_f32_e32 v21, v16, v19
	v_mul_f32_e32 v20, v17, v19
	v_fma_f32 v19, v17, v18, -v21
	v_fmac_f32_e32 v20, v16, v18
	v_mov_b32_e32 v17, v19
	v_mov_b32_e32 v16, v20
	ds_write_b64 v13, v[19:20]
.LBB155_208:
	s_or_b64 exec, exec, s[14:15]
	v_cmp_ne_u32_e64 s[14:15], 0, v14
	s_and_b64 s[68:69], s[14:15], s[6:7]
	s_waitcnt lgkmcnt(0)
	s_barrier
	s_and_saveexec_b64 s[14:15], s[68:69]
	s_cbranch_execz .LBB155_210
; %bb.209:
	ds_read_b64 v[18:19], v12 offset:4160
	ds_read_b64 v[20:21], v13
	s_waitcnt lgkmcnt(0)
	v_mul_f32_e32 v22, v21, v19
	v_mul_f32_e32 v19, v20, v19
	v_fma_f32 v20, v20, v18, -v22
	v_fmac_f32_e32 v19, v21, v18
	v_add_f32_e32 v17, v17, v20
	v_add_f32_e32 v16, v16, v19
.LBB155_210:
	s_or_b64 exec, exec, s[14:15]
	v_cmp_eq_u32_e64 s[14:15], 1, v14
	s_and_b64 s[70:71], s[14:15], s[6:7]
	s_barrier
	s_and_saveexec_b64 s[14:15], s[70:71]
	s_cbranch_execz .LBB155_212
; %bb.211:
	v_mov_b32_e32 v18, 0
	ds_read_b64 v[18:19], v18 offset:4680
	s_waitcnt lgkmcnt(0)
	v_mul_f32_e32 v21, v16, v19
	v_mul_f32_e32 v20, v17, v19
	v_fma_f32 v19, v17, v18, -v21
	v_fmac_f32_e32 v20, v16, v18
	v_mov_b32_e32 v17, v19
	v_mov_b32_e32 v16, v20
	ds_write_b64 v13, v[19:20]
.LBB155_212:
	s_or_b64 exec, exec, s[14:15]
	v_cmp_lt_u32_e64 s[14:15], 1, v14
	s_and_b64 s[72:73], s[14:15], s[6:7]
	s_waitcnt lgkmcnt(0)
	s_barrier
	s_and_saveexec_b64 s[14:15], s[72:73]
	s_cbranch_execz .LBB155_214
; %bb.213:
	ds_read_b64 v[18:19], v12 offset:4672
	ds_read_b64 v[20:21], v13
	s_waitcnt lgkmcnt(0)
	v_mul_f32_e32 v22, v21, v19
	v_mul_f32_e32 v19, v20, v19
	v_fma_f32 v20, v20, v18, -v22
	v_fmac_f32_e32 v19, v21, v18
	v_add_f32_e32 v17, v17, v20
	v_add_f32_e32 v16, v16, v19
.LBB155_214:
	s_or_b64 exec, exec, s[14:15]
	v_cmp_eq_u32_e64 s[14:15], 2, v14
	s_and_b64 s[74:75], s[14:15], s[6:7]
	s_barrier
	s_and_saveexec_b64 s[14:15], s[74:75]
	s_cbranch_execz .LBB155_216
; %bb.215:
	v_mov_b32_e32 v18, 0
	ds_read_b64 v[18:19], v18 offset:5200
	s_waitcnt lgkmcnt(0)
	v_mul_f32_e32 v21, v16, v19
	v_mul_f32_e32 v20, v17, v19
	v_fma_f32 v19, v17, v18, -v21
	v_fmac_f32_e32 v20, v16, v18
	v_mov_b32_e32 v17, v19
	v_mov_b32_e32 v16, v20
	ds_write_b64 v13, v[19:20]
.LBB155_216:
	s_or_b64 exec, exec, s[14:15]
	v_cmp_lt_u32_e64 s[14:15], 2, v14
	;; [unrolled: 36-line block ×5, first 2 shown]
	s_and_b64 s[88:89], s[14:15], s[6:7]
	s_waitcnt lgkmcnt(0)
	s_barrier
	s_and_saveexec_b64 s[14:15], s[88:89]
	s_cbranch_execz .LBB155_230
; %bb.229:
	ds_read_b64 v[18:19], v12 offset:6720
	ds_read_b64 v[20:21], v13
	s_waitcnt lgkmcnt(0)
	v_mul_f32_e32 v22, v21, v19
	v_mul_f32_e32 v19, v20, v19
	v_fma_f32 v20, v20, v18, -v22
	v_fmac_f32_e32 v19, v21, v18
	v_add_f32_e32 v17, v17, v20
	v_add_f32_e32 v16, v16, v19
.LBB155_230:
	s_or_b64 exec, exec, s[14:15]
	v_cmp_eq_u32_e64 s[14:15], 6, v14
	s_and_b64 s[90:91], s[14:15], s[6:7]
	s_barrier
	s_and_saveexec_b64 s[14:15], s[90:91]
	s_cbranch_execz .LBB155_232
; %bb.231:
	v_mov_b32_e32 v18, 0
	ds_read_b64 v[18:19], v18 offset:7280
	s_waitcnt lgkmcnt(0)
	v_mul_f32_e32 v21, v16, v19
	v_mul_f32_e32 v20, v17, v19
	v_fma_f32 v19, v17, v18, -v21
	v_fmac_f32_e32 v20, v16, v18
	v_mov_b32_e32 v17, v19
	v_mov_b32_e32 v16, v20
	ds_write_b64 v13, v[19:20]
.LBB155_232:
	s_or_b64 exec, exec, s[14:15]
	v_cmp_eq_u32_e64 s[14:15], 7, v14
	s_and_b64 s[64:65], s[14:15], s[6:7]
	s_waitcnt lgkmcnt(0)
	s_barrier
	s_and_saveexec_b64 s[6:7], s[64:65]
	s_cbranch_execz .LBB155_234
; %bb.233:
	v_mov_b32_e32 v18, 0
	ds_read_b64 v[18:19], v18 offset:7288
	ds_read_b64 v[20:21], v13
	s_waitcnt lgkmcnt(0)
	v_mul_f32_e32 v22, v21, v19
	v_mul_f32_e32 v19, v20, v19
	v_fma_f32 v20, v20, v18, -v22
	v_fmac_f32_e32 v19, v21, v18
	v_add_f32_e32 v17, v17, v20
	v_add_f32_e32 v16, v16, v19
.LBB155_234:
	s_or_b64 exec, exec, s[6:7]
	s_barrier
	s_and_saveexec_b64 s[6:7], s[64:65]
	s_cbranch_execz .LBB155_236
; %bb.235:
	v_mov_b32_e32 v18, 0
	ds_read_b64 v[18:19], v18 offset:7800
	s_waitcnt lgkmcnt(0)
	v_mul_f32_e32 v21, v16, v19
	v_mul_f32_e32 v20, v17, v19
	v_fma_f32 v19, v17, v18, -v21
	v_fmac_f32_e32 v20, v16, v18
	v_mov_b32_e32 v17, v19
	v_mov_b32_e32 v16, v20
	ds_write_b64 v13, v[19:20]
.LBB155_236:
	s_or_b64 exec, exec, s[6:7]
	s_waitcnt lgkmcnt(0)
	s_barrier
	s_barrier
	s_and_saveexec_b64 s[6:7], s[12:13]
; %bb.237:
	v_xor_b32_e32 v18, 0x80000000, v16
	v_xor_b32_e32 v17, 0x80000000, v17
	ds_write_b64 v11, v[17:18] offset:64
; %bb.238:
	s_or_b64 exec, exec, s[6:7]
	v_cmp_gt_u32_e64 s[14:15], 8, v0
	s_and_b64 s[92:93], s[16:17], s[14:15]
	s_waitcnt lgkmcnt(0)
	s_barrier
	s_barrier
	s_and_saveexec_b64 s[6:7], s[92:93]
	s_cbranch_execz .LBB155_240
; %bb.239:
	v_lshlrev_b32_e32 v18, 9, v0
	ds_read_b64 v[16:17], v18 offset:64
	s_movk_i32 s14, 0xfe08
	v_mad_i32_i24 v19, v0, s14, v18
	s_waitcnt lgkmcnt(0)
	ds_write_b64 v19, v[16:17] offset:4096
	ds_read_b64 v[16:17], v18 offset:72
	s_waitcnt lgkmcnt(0)
	ds_write_b64 v19, v[16:17] offset:4608
	ds_read_b64 v[16:17], v18 offset:80
	;; [unrolled: 3-line block ×7, first 2 shown]
	s_waitcnt lgkmcnt(0)
	ds_write_b64 v19, v[16:17] offset:7680
.LBB155_240:
	s_or_b64 exec, exec, s[6:7]
	s_waitcnt lgkmcnt(0)
	s_barrier
	s_and_saveexec_b64 s[6:7], vcc
	s_cbranch_execz .LBB155_242
; %bb.241:
	v_mov_b32_e32 v20, 0
	ds_read_b128 v[16:19], v20 offset:4160
	ds_read_b64 v[20:21], v20 offset:4680
	s_movk_i32 s14, 0x1000
	s_waitcnt lgkmcnt(0)
	v_mul_f32_e32 v22, v21, v17
	v_mul_f32_e32 v23, v20, v17
	v_fma_f32 v20, v20, v16, -v22
	v_fmac_f32_e32 v23, v21, v16
	v_mul_f32_e32 v16, v23, v19
	v_mul_f32_e32 v17, v20, v19
	v_fma_f32 v16, v20, v18, -v16
	v_fmac_f32_e32 v17, v23, v18
	v_add_u32_e64 v18, s14, 0
	ds_write2_b64 v18, v[16:17], v[16:17] offset0:9 offset1:72
.LBB155_242:
	s_or_b64 exec, exec, s[6:7]
	v_mov_b32_e32 v16, 0
	v_mov_b32_e32 v17, 0
	s_waitcnt lgkmcnt(0)
	s_barrier
	s_and_saveexec_b64 s[6:7], s[22:23]
	s_cbranch_execz .LBB155_246
; %bb.243:
	v_mul_u32_u24_e32 v18, 0x208, v5
	ds_read_b64 v[16:17], v3 offset:4176
	ds_read_b64 v[18:19], v18 offset:4160
	v_cmp_gt_u32_e64 s[14:15], 2, v1
	s_waitcnt lgkmcnt(0)
	v_mul_f32_e32 v20, v19, v17
	v_mul_f32_e32 v17, v18, v17
	v_fma_f32 v18, v18, v16, -v20
	v_fmac_f32_e32 v17, v19, v16
	v_add_f32_e32 v16, 0, v18
	v_add_f32_e32 v18, 0, v17
	s_and_saveexec_b64 s[18:19], s[14:15]
	s_cbranch_execz .LBB155_245
; %bb.244:
	v_lshlrev_b32_e32 v17, 3, v0
	v_mov_b32_e32 v21, 0
	ds_read_b64 v[19:20], v17 offset:4688
	ds_read_b64 v[21:22], v21 offset:4168
	s_waitcnt lgkmcnt(0)
	v_mul_f32_e32 v17, v22, v20
	v_mul_f32_e32 v20, v21, v20
	v_fma_f32 v17, v21, v19, -v17
	v_fmac_f32_e32 v20, v22, v19
	v_add_f32_e32 v16, v16, v17
	v_add_f32_e32 v18, v18, v20
.LBB155_245:
	s_or_b64 exec, exec, s[18:19]
	v_xor_b32_e32 v17, 0x80000000, v16
	v_xor_b32_e32 v16, 0x80000000, v18
.LBB155_246:
	s_or_b64 exec, exec, s[6:7]
	s_and_saveexec_b64 s[6:7], s[46:47]
	s_cbranch_execz .LBB155_248
; %bb.247:
	v_mov_b32_e32 v18, 0
	ds_read_b64 v[18:19], v18 offset:5200
	s_waitcnt lgkmcnt(0)
	v_mul_f32_e32 v21, v16, v19
	v_mul_f32_e32 v20, v17, v19
	v_fma_f32 v19, v17, v18, -v21
	v_fmac_f32_e32 v20, v16, v18
	v_mov_b32_e32 v17, v19
	v_mov_b32_e32 v16, v20
	ds_write_b64 v4, v[19:20]
.LBB155_248:
	s_or_b64 exec, exec, s[6:7]
	s_waitcnt lgkmcnt(0)
	s_barrier
	s_and_saveexec_b64 s[6:7], s[44:45]
	s_cbranch_execz .LBB155_250
; %bb.249:
	v_mov_b32_e32 v18, 0
	ds_read_b64 v[18:19], v18 offset:5208
	ds_read_b64 v[20:21], v4
	s_waitcnt lgkmcnt(0)
	v_mul_f32_e32 v22, v21, v19
	v_mul_f32_e32 v19, v20, v19
	v_fma_f32 v20, v20, v18, -v22
	v_fmac_f32_e32 v19, v21, v18
	v_add_f32_e32 v17, v17, v20
	v_add_f32_e32 v16, v16, v19
.LBB155_250:
	s_or_b64 exec, exec, s[6:7]
	s_barrier
	s_and_saveexec_b64 s[6:7], s[44:45]
	s_cbranch_execz .LBB155_252
; %bb.251:
	v_mov_b32_e32 v18, 0
	ds_read_b64 v[18:19], v18 offset:5720
	s_waitcnt lgkmcnt(0)
	v_mul_f32_e32 v21, v16, v19
	v_mul_f32_e32 v20, v17, v19
	v_fma_f32 v19, v17, v18, -v21
	v_fmac_f32_e32 v20, v16, v18
	v_mov_b32_e32 v17, v19
	v_mov_b32_e32 v16, v20
	ds_write_b64 v4, v[19:20]
.LBB155_252:
	s_or_b64 exec, exec, s[6:7]
	s_waitcnt lgkmcnt(0)
	s_barrier
	s_barrier
	s_and_saveexec_b64 s[6:7], s[22:23]
; %bb.253:
	v_xor_b32_e32 v18, 0x80000000, v16
	v_xor_b32_e32 v17, 0x80000000, v17
	ds_write_b64 v3, v[17:18] offset:4176
; %bb.254:
	s_or_b64 exec, exec, s[6:7]
	s_waitcnt lgkmcnt(0)
	s_barrier
	s_barrier
	s_and_saveexec_b64 s[6:7], s[48:49]
	s_cbranch_execz .LBB155_256
; %bb.255:
	v_lshlrev_b32_e32 v18, 3, v0
	s_movk_i32 s14, 0x1f8
	v_mad_u32_u24 v19, v0, s14, v18
	ds_read_b64 v[16:17], v19 offset:4176
	s_waitcnt lgkmcnt(0)
	ds_write_b64 v18, v[16:17] offset:5184
	ds_read_b64 v[16:17], v19 offset:4184
	s_waitcnt lgkmcnt(0)
	ds_write_b64 v18, v[16:17] offset:5696
.LBB155_256:
	s_or_b64 exec, exec, s[6:7]
	s_waitcnt lgkmcnt(0)
	s_barrier
	s_and_saveexec_b64 s[6:7], vcc
	s_cbranch_execz .LBB155_258
; %bb.257:
	v_mov_b32_e32 v20, 0
	ds_read_b128 v[16:19], v20 offset:5200
	ds_read_b64 v[20:21], v20 offset:5720
	s_movk_i32 s14, 0x1000
	s_waitcnt lgkmcnt(0)
	v_mul_f32_e32 v22, v21, v17
	v_mul_f32_e32 v23, v20, v17
	v_fma_f32 v20, v20, v16, -v22
	v_fmac_f32_e32 v23, v21, v16
	v_mul_f32_e32 v16, v23, v19
	v_mul_f32_e32 v17, v20, v19
	v_fma_f32 v16, v20, v18, -v16
	v_fmac_f32_e32 v17, v23, v18
	v_add_u32_e64 v18, s14, 0
	ds_write2_b64 v18, v[16:17], v[16:17] offset0:139 offset1:202
.LBB155_258:
	s_or_b64 exec, exec, s[6:7]
	v_mov_b32_e32 v16, 0
	v_mov_b32_e32 v17, 0
	s_waitcnt lgkmcnt(0)
	s_barrier
	s_and_saveexec_b64 s[6:7], s[10:11]
	s_cbranch_execz .LBB155_264
; %bb.259:
	v_mul_u32_u24_e32 v17, 0x208, v10
	ds_read_b64 v[18:19], v6 offset:4192
	ds_read_b64 v[20:21], v17 offset:4160
	v_cmp_gt_u32_e64 s[14:15], 12, v1
	s_waitcnt lgkmcnt(0)
	v_mul_f32_e32 v16, v21, v19
	v_mul_f32_e32 v19, v20, v19
	v_fma_f32 v16, v20, v18, -v16
	v_fmac_f32_e32 v19, v21, v18
	v_add_f32_e32 v16, 0, v16
	v_add_f32_e32 v18, 0, v19
	s_and_saveexec_b64 s[18:19], s[14:15]
	s_cbranch_execnz .LBB155_1124
; %bb.260:
	s_or_b64 exec, exec, s[18:19]
	v_cmp_gt_u32_e64 s[14:15], 8, v1
	s_and_saveexec_b64 s[18:19], s[14:15]
	s_cbranch_execnz .LBB155_1125
.LBB155_261:
	s_or_b64 exec, exec, s[18:19]
	v_cmp_gt_u32_e64 s[14:15], 4, v1
	s_and_saveexec_b64 s[18:19], s[14:15]
	s_cbranch_execz .LBB155_263
.LBB155_262:
	v_lshlrev_b32_e32 v17, 3, v0
	v_mov_b32_e32 v21, 0
	ds_read_b64 v[19:20], v17 offset:5728
	ds_read_b64 v[21:22], v21 offset:4184
	s_waitcnt lgkmcnt(0)
	v_mul_f32_e32 v17, v22, v20
	v_mul_f32_e32 v20, v21, v20
	v_fma_f32 v17, v21, v19, -v17
	v_fmac_f32_e32 v20, v22, v19
	v_add_f32_e32 v16, v16, v17
	v_add_f32_e32 v18, v18, v20
.LBB155_263:
	s_or_b64 exec, exec, s[18:19]
	v_xor_b32_e32 v17, 0x80000000, v16
	v_xor_b32_e32 v16, 0x80000000, v18
.LBB155_264:
	s_or_b64 exec, exec, s[6:7]
	s_and_saveexec_b64 s[6:7], s[52:53]
	s_cbranch_execz .LBB155_266
; %bb.265:
	v_mov_b32_e32 v18, 0
	ds_read_b64 v[18:19], v18 offset:6240
	s_waitcnt lgkmcnt(0)
	v_mul_f32_e32 v21, v16, v19
	v_mul_f32_e32 v20, v17, v19
	v_fma_f32 v19, v17, v18, -v21
	v_fmac_f32_e32 v20, v16, v18
	v_mov_b32_e32 v17, v19
	v_mov_b32_e32 v16, v20
	ds_write_b64 v8, v[19:20]
.LBB155_266:
	s_or_b64 exec, exec, s[6:7]
	s_waitcnt lgkmcnt(0)
	s_barrier
	s_and_saveexec_b64 s[6:7], s[54:55]
	s_cbranch_execz .LBB155_268
; %bb.267:
	ds_read_b64 v[18:19], v7 offset:6240
	ds_read_b64 v[20:21], v8
	s_waitcnt lgkmcnt(0)
	v_mul_f32_e32 v22, v21, v19
	v_mul_f32_e32 v19, v20, v19
	v_fma_f32 v20, v20, v18, -v22
	v_fmac_f32_e32 v19, v21, v18
	v_add_f32_e32 v17, v17, v20
	v_add_f32_e32 v16, v16, v19
.LBB155_268:
	s_or_b64 exec, exec, s[6:7]
	s_barrier
	s_and_saveexec_b64 s[6:7], s[56:57]
	s_cbranch_execz .LBB155_270
; %bb.269:
	v_mov_b32_e32 v18, 0
	ds_read_b64 v[18:19], v18 offset:6760
	s_waitcnt lgkmcnt(0)
	v_mul_f32_e32 v21, v16, v19
	v_mul_f32_e32 v20, v17, v19
	v_fma_f32 v19, v17, v18, -v21
	v_fmac_f32_e32 v20, v16, v18
	v_mov_b32_e32 v17, v19
	v_mov_b32_e32 v16, v20
	ds_write_b64 v8, v[19:20]
.LBB155_270:
	s_or_b64 exec, exec, s[6:7]
	s_waitcnt lgkmcnt(0)
	s_barrier
	s_and_saveexec_b64 s[6:7], s[58:59]
	s_cbranch_execz .LBB155_272
; %bb.271:
	ds_read_b64 v[18:19], v7 offset:6752
	ds_read_b64 v[20:21], v8
	s_waitcnt lgkmcnt(0)
	v_mul_f32_e32 v22, v21, v19
	v_mul_f32_e32 v19, v20, v19
	v_fma_f32 v20, v20, v18, -v22
	v_fmac_f32_e32 v19, v21, v18
	v_add_f32_e32 v17, v17, v20
	v_add_f32_e32 v16, v16, v19
.LBB155_272:
	s_or_b64 exec, exec, s[6:7]
	s_barrier
	s_and_saveexec_b64 s[6:7], s[60:61]
	s_cbranch_execz .LBB155_274
; %bb.273:
	v_mov_b32_e32 v18, 0
	ds_read_b64 v[18:19], v18 offset:7280
	s_waitcnt lgkmcnt(0)
	v_mul_f32_e32 v21, v16, v19
	v_mul_f32_e32 v20, v17, v19
	v_fma_f32 v19, v17, v18, -v21
	v_fmac_f32_e32 v20, v16, v18
	v_mov_b32_e32 v17, v19
	v_mov_b32_e32 v16, v20
	ds_write_b64 v8, v[19:20]
.LBB155_274:
	s_or_b64 exec, exec, s[6:7]
	s_waitcnt lgkmcnt(0)
	s_barrier
	s_and_saveexec_b64 s[6:7], s[50:51]
	s_cbranch_execz .LBB155_276
; %bb.275:
	v_mov_b32_e32 v18, 0
	ds_read_b64 v[18:19], v18 offset:7288
	ds_read_b64 v[20:21], v8
	s_waitcnt lgkmcnt(0)
	v_mul_f32_e32 v22, v21, v19
	v_mul_f32_e32 v19, v20, v19
	v_fma_f32 v20, v20, v18, -v22
	v_fmac_f32_e32 v19, v21, v18
	v_add_f32_e32 v17, v17, v20
	v_add_f32_e32 v16, v16, v19
.LBB155_276:
	s_or_b64 exec, exec, s[6:7]
	s_barrier
	s_and_saveexec_b64 s[6:7], s[50:51]
	s_cbranch_execz .LBB155_278
; %bb.277:
	v_mov_b32_e32 v18, 0
	ds_read_b64 v[18:19], v18 offset:7800
	s_waitcnt lgkmcnt(0)
	v_mul_f32_e32 v21, v16, v19
	v_mul_f32_e32 v20, v17, v19
	v_fma_f32 v19, v17, v18, -v21
	v_fmac_f32_e32 v20, v16, v18
	v_mov_b32_e32 v17, v19
	v_mov_b32_e32 v16, v20
	ds_write_b64 v8, v[19:20]
.LBB155_278:
	s_or_b64 exec, exec, s[6:7]
	s_waitcnt lgkmcnt(0)
	s_barrier
	s_barrier
	s_and_saveexec_b64 s[6:7], s[10:11]
; %bb.279:
	v_xor_b32_e32 v17, 0x80000000, v17
	v_xor_b32_e32 v18, 0x80000000, v16
	ds_write_b64 v6, v[17:18] offset:4192
; %bb.280:
	s_or_b64 exec, exec, s[6:7]
	s_waitcnt lgkmcnt(0)
	s_barrier
	s_barrier
	s_and_saveexec_b64 s[6:7], s[62:63]
	s_cbranch_execz .LBB155_282
; %bb.281:
	v_lshlrev_b32_e32 v18, 9, v0
	ds_read_b64 v[16:17], v18 offset:4192
	s_movk_i32 s14, 0xfe08
	v_mad_i32_i24 v19, v0, s14, v18
	s_waitcnt lgkmcnt(0)
	ds_write_b64 v19, v[16:17] offset:6208
	ds_read_b64 v[16:17], v18 offset:4200
	s_waitcnt lgkmcnt(0)
	ds_write_b64 v19, v[16:17] offset:6720
	ds_read_b64 v[16:17], v18 offset:4208
	;; [unrolled: 3-line block ×3, first 2 shown]
	s_waitcnt lgkmcnt(0)
	ds_write_b64 v19, v[16:17] offset:7744
.LBB155_282:
	s_or_b64 exec, exec, s[6:7]
	s_waitcnt lgkmcnt(0)
	s_barrier
	s_and_saveexec_b64 s[6:7], vcc
	s_cbranch_execz .LBB155_284
; %bb.283:
	v_mov_b32_e32 v20, 0
	ds_read_b128 v[16:19], v20 offset:6240
	ds_read_b64 v[20:21], v20 offset:6760
	s_movk_i32 s14, 0x1800
	s_waitcnt lgkmcnt(0)
	v_mul_f32_e32 v22, v21, v17
	v_mul_f32_e32 v23, v20, v17
	v_fma_f32 v20, v20, v16, -v22
	v_fmac_f32_e32 v23, v21, v16
	v_mul_f32_e32 v16, v23, v19
	v_mul_f32_e32 v17, v20, v19
	v_fma_f32 v16, v20, v18, -v16
	v_fmac_f32_e32 v17, v23, v18
	v_add_u32_e64 v18, s14, 0
	ds_write2_b64 v18, v[16:17], v[16:17] offset0:13 offset1:76
.LBB155_284:
	s_or_b64 exec, exec, s[6:7]
	v_mov_b32_e32 v16, 0
	v_mov_b32_e32 v17, 0
	s_waitcnt lgkmcnt(0)
	s_barrier
	s_and_saveexec_b64 s[6:7], s[22:23]
	s_cbranch_execz .LBB155_288
; %bb.285:
	v_mul_u32_u24_e32 v18, 0x208, v5
	ds_read_b64 v[16:17], v3 offset:6256
	ds_read_b64 v[18:19], v18 offset:6240
	v_cmp_gt_u32_e64 s[14:15], 2, v1
	s_waitcnt lgkmcnt(0)
	v_mul_f32_e32 v20, v19, v17
	v_mul_f32_e32 v17, v18, v17
	v_fma_f32 v18, v18, v16, -v20
	v_fmac_f32_e32 v17, v19, v16
	v_add_f32_e32 v16, 0, v18
	v_add_f32_e32 v18, 0, v17
	s_and_saveexec_b64 s[18:19], s[14:15]
	s_cbranch_execz .LBB155_287
; %bb.286:
	v_lshlrev_b32_e32 v17, 3, v0
	v_mov_b32_e32 v21, 0
	ds_read_b64 v[19:20], v17 offset:6768
	ds_read_b64 v[21:22], v21 offset:6248
	s_waitcnt lgkmcnt(0)
	v_mul_f32_e32 v17, v22, v20
	v_mul_f32_e32 v20, v21, v20
	v_fma_f32 v17, v21, v19, -v17
	v_fmac_f32_e32 v20, v22, v19
	v_add_f32_e32 v16, v16, v17
	v_add_f32_e32 v18, v18, v20
.LBB155_287:
	s_or_b64 exec, exec, s[18:19]
	v_xor_b32_e32 v17, 0x80000000, v16
	v_xor_b32_e32 v16, 0x80000000, v18
.LBB155_288:
	s_or_b64 exec, exec, s[6:7]
	s_and_saveexec_b64 s[6:7], s[46:47]
	s_cbranch_execz .LBB155_290
; %bb.289:
	v_mov_b32_e32 v18, 0
	ds_read_b64 v[18:19], v18 offset:7280
	s_waitcnt lgkmcnt(0)
	v_mul_f32_e32 v21, v16, v19
	v_mul_f32_e32 v20, v17, v19
	v_fma_f32 v19, v17, v18, -v21
	v_fmac_f32_e32 v20, v16, v18
	v_mov_b32_e32 v17, v19
	v_mov_b32_e32 v16, v20
	ds_write_b64 v4, v[19:20]
.LBB155_290:
	s_or_b64 exec, exec, s[6:7]
	s_waitcnt lgkmcnt(0)
	s_barrier
	s_and_saveexec_b64 s[6:7], s[44:45]
	s_cbranch_execz .LBB155_292
; %bb.291:
	v_mov_b32_e32 v18, 0
	ds_read_b64 v[18:19], v18 offset:7288
	ds_read_b64 v[20:21], v4
	s_waitcnt lgkmcnt(0)
	v_mul_f32_e32 v22, v21, v19
	v_mul_f32_e32 v19, v20, v19
	v_fma_f32 v20, v20, v18, -v22
	v_fmac_f32_e32 v19, v21, v18
	v_add_f32_e32 v17, v17, v20
	v_add_f32_e32 v16, v16, v19
.LBB155_292:
	s_or_b64 exec, exec, s[6:7]
	s_barrier
	s_and_saveexec_b64 s[6:7], s[44:45]
	s_cbranch_execz .LBB155_294
; %bb.293:
	v_mov_b32_e32 v18, 0
	ds_read_b64 v[18:19], v18 offset:7800
	s_waitcnt lgkmcnt(0)
	v_mul_f32_e32 v21, v16, v19
	v_mul_f32_e32 v20, v17, v19
	v_fma_f32 v19, v17, v18, -v21
	v_fmac_f32_e32 v20, v16, v18
	v_mov_b32_e32 v17, v19
	v_mov_b32_e32 v16, v20
	ds_write_b64 v4, v[19:20]
.LBB155_294:
	s_or_b64 exec, exec, s[6:7]
	s_waitcnt lgkmcnt(0)
	s_barrier
	s_barrier
	s_and_saveexec_b64 s[6:7], s[22:23]
; %bb.295:
	v_xor_b32_e32 v18, 0x80000000, v16
	v_xor_b32_e32 v17, 0x80000000, v17
	ds_write_b64 v3, v[17:18] offset:6256
; %bb.296:
	s_or_b64 exec, exec, s[6:7]
	s_waitcnt lgkmcnt(0)
	s_barrier
	s_barrier
	s_and_saveexec_b64 s[6:7], s[48:49]
	s_cbranch_execz .LBB155_298
; %bb.297:
	v_lshlrev_b32_e32 v18, 3, v0
	s_movk_i32 s14, 0x1f8
	v_mad_u32_u24 v19, v0, s14, v18
	ds_read_b64 v[16:17], v19 offset:6256
	s_waitcnt lgkmcnt(0)
	ds_write_b64 v18, v[16:17] offset:7264
	ds_read_b64 v[16:17], v19 offset:6264
	s_waitcnt lgkmcnt(0)
	ds_write_b64 v18, v[16:17] offset:7776
.LBB155_298:
	s_or_b64 exec, exec, s[6:7]
	s_waitcnt lgkmcnt(0)
	s_barrier
	s_and_saveexec_b64 s[6:7], vcc
	s_cbranch_execz .LBB155_300
; %bb.299:
	v_mov_b32_e32 v20, 0
	ds_read_b128 v[16:19], v20 offset:7280
	ds_read_b64 v[20:21], v20 offset:7800
	s_movk_i32 s14, 0x1800
	s_waitcnt lgkmcnt(0)
	v_mul_f32_e32 v22, v21, v17
	v_mul_f32_e32 v23, v20, v17
	v_fma_f32 v20, v20, v16, -v22
	v_fmac_f32_e32 v23, v21, v16
	v_mul_f32_e32 v16, v23, v19
	v_mul_f32_e32 v17, v20, v19
	v_fma_f32 v16, v20, v18, -v16
	v_fmac_f32_e32 v17, v23, v18
	v_add_u32_e64 v18, s14, 0
	ds_write2_b64 v18, v[16:17], v[16:17] offset0:143 offset1:206
.LBB155_300:
	s_or_b64 exec, exec, s[6:7]
	v_lshrrev_b32_e32 v20, 4, v1
	v_and_b32_e32 v17, 15, v0
	s_movk_i32 s6, 0xff
	v_lshlrev_b32_e32 v19, 6, v20
	v_cmp_lt_u32_e64 s[18:19], s6, v1
	s_movk_i32 s6, 0x100
	v_or_b32_e32 v16, v19, v17
	v_cmp_gt_u32_e64 s[14:15], s6, v1
	v_lshlrev_b32_e32 v16, 3, v16
	v_mov_b32_e32 v21, 0
	v_mov_b32_e32 v22, 0
	s_waitcnt lgkmcnt(0)
	s_barrier
	s_and_saveexec_b64 s[6:7], s[14:15]
	s_cbranch_execz .LBB155_328
; %bb.301:
	v_mul_u32_u24_e32 v22, 0x208, v20
	ds_read_b64 v[23:24], v16 offset:128
	ds_read_b64 v[25:26], v22
	s_movk_i32 s20, 0xf0
	v_cmp_gt_u32_e64 s[20:21], s20, v1
	s_waitcnt lgkmcnt(0)
	v_mul_f32_e32 v18, v26, v24
	v_mul_f32_e32 v21, v25, v24
	v_fma_f32 v18, v25, v23, -v18
	v_fmac_f32_e32 v21, v26, v23
	v_add_f32_e32 v18, 0, v18
	v_add_f32_e32 v21, 0, v21
	s_and_saveexec_b64 s[24:25], s[20:21]
	s_cbranch_execz .LBB155_303
; %bb.302:
	v_lshlrev_b32_e32 v23, 3, v20
	v_sub_u32_e32 v23, v22, v23
	v_lshl_add_u32 v23, v17, 3, v23
	ds_read_b64 v[23:24], v23 offset:640
	ds_read_b64 v[25:26], v22 offset:8
	s_waitcnt lgkmcnt(0)
	v_mul_f32_e32 v27, v26, v24
	v_mul_f32_e32 v24, v25, v24
	v_fma_f32 v25, v25, v23, -v27
	v_fmac_f32_e32 v24, v26, v23
	v_add_f32_e32 v18, v18, v25
	v_add_f32_e32 v21, v21, v24
.LBB155_303:
	s_or_b64 exec, exec, s[24:25]
	s_movk_i32 s20, 0xe0
	v_cmp_gt_u32_e64 s[20:21], s20, v1
	s_and_saveexec_b64 s[24:25], s[20:21]
	s_cbranch_execz .LBB155_305
; %bb.304:
	v_lshlrev_b32_e32 v23, 3, v20
	v_sub_u32_e32 v23, v22, v23
	v_lshl_add_u32 v23, v17, 3, v23
	ds_read_b64 v[23:24], v23 offset:1152
	ds_read_b64 v[25:26], v22 offset:16
	s_waitcnt lgkmcnt(0)
	v_mul_f32_e32 v27, v26, v24
	v_mul_f32_e32 v24, v25, v24
	v_fma_f32 v25, v25, v23, -v27
	v_fmac_f32_e32 v24, v26, v23
	v_add_f32_e32 v18, v18, v25
	v_add_f32_e32 v21, v21, v24
.LBB155_305:
	s_or_b64 exec, exec, s[24:25]
	s_movk_i32 s20, 0xd0
	v_cmp_gt_u32_e64 s[20:21], s20, v1
	;; [unrolled: 19-line block ×7, first 2 shown]
	s_and_saveexec_b64 s[24:25], s[20:21]
	s_cbranch_execz .LBB155_317
; %bb.316:
	ds_read_b64 v[23:24], v16 offset:4224
	ds_read_b64 v[25:26], v22 offset:64
	s_waitcnt lgkmcnt(0)
	v_mul_f32_e32 v27, v26, v24
	v_mul_f32_e32 v24, v25, v24
	v_fma_f32 v25, v25, v23, -v27
	v_fmac_f32_e32 v24, v26, v23
	v_add_f32_e32 v18, v18, v25
	v_add_f32_e32 v21, v21, v24
.LBB155_317:
	s_or_b64 exec, exec, s[24:25]
	s_movk_i32 s20, 0x70
	v_cmp_gt_u32_e64 s[20:21], s20, v1
	s_and_saveexec_b64 s[24:25], s[20:21]
	s_cbranch_execz .LBB155_319
; %bb.318:
	v_lshlrev_b32_e32 v23, 3, v17
	v_lshl_add_u32 v23, v19, 3, v23
	ds_read_b64 v[23:24], v23 offset:4736
	ds_read_b64 v[25:26], v22 offset:72
	s_waitcnt lgkmcnt(0)
	v_mul_f32_e32 v27, v26, v24
	v_mul_f32_e32 v24, v25, v24
	v_fma_f32 v25, v25, v23, -v27
	v_fmac_f32_e32 v24, v26, v23
	v_add_f32_e32 v18, v18, v25
	v_add_f32_e32 v21, v21, v24
.LBB155_319:
	s_or_b64 exec, exec, s[24:25]
	s_movk_i32 s20, 0x60
	v_cmp_gt_u32_e64 s[20:21], s20, v1
	s_and_saveexec_b64 s[24:25], s[20:21]
	s_cbranch_execz .LBB155_321
; %bb.320:
	v_lshlrev_b32_e32 v23, 3, v17
	v_lshl_add_u32 v23, v19, 3, v23
	ds_read_b64 v[23:24], v23 offset:5248
	ds_read_b64 v[25:26], v22 offset:80
	s_waitcnt lgkmcnt(0)
	v_mul_f32_e32 v27, v26, v24
	v_mul_f32_e32 v24, v25, v24
	v_fma_f32 v25, v25, v23, -v27
	v_fmac_f32_e32 v24, v26, v23
	v_add_f32_e32 v18, v18, v25
	v_add_f32_e32 v21, v21, v24
.LBB155_321:
	s_or_b64 exec, exec, s[24:25]
	s_movk_i32 s20, 0x50
	v_cmp_gt_u32_e64 s[20:21], s20, v1
	s_and_saveexec_b64 s[24:25], s[20:21]
	s_cbranch_execnz .LBB155_1126
; %bb.322:
	s_or_b64 exec, exec, s[24:25]
	v_cmp_gt_u32_e64 s[20:21], 64, v1
	s_and_saveexec_b64 s[24:25], s[20:21]
	s_cbranch_execnz .LBB155_1127
.LBB155_323:
	s_or_b64 exec, exec, s[24:25]
	v_cmp_gt_u32_e64 s[20:21], 48, v1
	s_and_saveexec_b64 s[24:25], s[20:21]
	s_cbranch_execnz .LBB155_1128
.LBB155_324:
	s_or_b64 exec, exec, s[24:25]
	v_cmp_gt_u32_e64 s[20:21], 32, v1
	s_and_saveexec_b64 s[24:25], s[20:21]
	s_cbranch_execnz .LBB155_1129
.LBB155_325:
	s_or_b64 exec, exec, s[24:25]
	v_cmp_gt_u32_e64 s[20:21], 16, v1
	s_and_saveexec_b64 s[24:25], s[20:21]
	s_cbranch_execz .LBB155_327
.LBB155_326:
	v_lshlrev_b32_e32 v22, 3, v0
	v_mov_b32_e32 v24, 0
	ds_read_b64 v[22:23], v22 offset:7808
	ds_read_b64 v[24:25], v24 offset:120
	s_waitcnt lgkmcnt(0)
	v_mul_f32_e32 v26, v25, v23
	v_mul_f32_e32 v23, v24, v23
	v_fma_f32 v24, v24, v22, -v26
	v_fmac_f32_e32 v23, v25, v22
	v_add_f32_e32 v18, v18, v24
	v_add_f32_e32 v21, v21, v23
.LBB155_327:
	s_or_b64 exec, exec, s[24:25]
	v_xor_b32_e32 v22, 0x80000000, v18
	v_xor_b32_e32 v21, 0x80000000, v21
.LBB155_328:
	s_or_b64 exec, exec, s[6:7]
	v_mov_b32_e32 v18, 0x8000
	v_lshl_add_u32 v18, v20, 3, v18
	v_cmp_eq_u32_e64 s[20:21], 0, v17
	s_xor_b64 s[24:25], s[18:19], -1
	s_and_b64 s[18:19], s[20:21], s[24:25]
	s_mov_b64 s[6:7], exec
	v_writelane_b32 v35, s18, 7
	v_writelane_b32 v35, s19, 8
	s_and_b64 s[18:19], s[6:7], s[18:19]
	s_mov_b64 exec, s[18:19]
	s_cbranch_execz .LBB155_330
; %bb.329:
	v_mov_b32_e32 v23, 0
	ds_read_b64 v[23:24], v23 offset:8320
	s_waitcnt lgkmcnt(0)
	v_mul_f32_e32 v26, v21, v24
	v_mul_f32_e32 v25, v22, v24
	v_fma_f32 v24, v22, v23, -v26
	v_fmac_f32_e32 v25, v21, v23
	v_mov_b32_e32 v22, v24
	v_mov_b32_e32 v21, v25
	ds_write_b64 v18, v[24:25]
.LBB155_330:
	s_or_b64 exec, exec, s[6:7]
	v_cmp_ne_u32_e64 s[18:19], 0, v17
	s_waitcnt lgkmcnt(0)
	s_barrier
	s_and_b64 s[18:19], s[18:19], s[24:25]
	s_mov_b64 s[6:7], exec
	v_writelane_b32 v35, s18, 9
	v_writelane_b32 v35, s19, 10
	s_and_b64 s[18:19], s[6:7], s[18:19]
	s_mov_b64 exec, s[18:19]
	s_cbranch_execz .LBB155_332
; %bb.331:
	v_lshlrev_b32_e32 v23, 3, v17
	ds_read_b64 v[23:24], v23 offset:8320
	ds_read_b64 v[25:26], v18
	s_waitcnt lgkmcnt(0)
	v_mul_f32_e32 v27, v26, v24
	v_mul_f32_e32 v24, v25, v24
	v_fma_f32 v25, v25, v23, -v27
	v_fmac_f32_e32 v24, v26, v23
	v_add_f32_e32 v22, v22, v25
	v_add_f32_e32 v21, v21, v24
.LBB155_332:
	s_or_b64 exec, exec, s[6:7]
	v_cmp_eq_u32_e64 s[18:19], 1, v17
	s_barrier
	s_and_b64 s[18:19], s[18:19], s[24:25]
	s_mov_b64 s[6:7], exec
	v_writelane_b32 v35, s18, 11
	v_writelane_b32 v35, s19, 12
	s_and_b64 s[18:19], s[6:7], s[18:19]
	s_mov_b64 exec, s[18:19]
	s_cbranch_execz .LBB155_334
; %bb.333:
	v_mov_b32_e32 v23, 0
	ds_read_b64 v[23:24], v23 offset:8840
	s_waitcnt lgkmcnt(0)
	v_mul_f32_e32 v26, v21, v24
	v_mul_f32_e32 v25, v22, v24
	v_fma_f32 v24, v22, v23, -v26
	v_fmac_f32_e32 v25, v21, v23
	v_mov_b32_e32 v22, v24
	v_mov_b32_e32 v21, v25
	ds_write_b64 v18, v[24:25]
.LBB155_334:
	s_or_b64 exec, exec, s[6:7]
	v_cmp_lt_u32_e64 s[18:19], 1, v17
	s_waitcnt lgkmcnt(0)
	s_barrier
	s_and_b64 s[18:19], s[18:19], s[24:25]
	s_mov_b64 s[6:7], exec
	v_writelane_b32 v35, s18, 13
	v_writelane_b32 v35, s19, 14
	s_and_b64 s[18:19], s[6:7], s[18:19]
	s_mov_b64 exec, s[18:19]
	s_cbranch_execz .LBB155_336
; %bb.335:
	v_lshlrev_b32_e32 v23, 3, v17
	ds_read_b64 v[23:24], v23 offset:8832
	ds_read_b64 v[25:26], v18
	s_waitcnt lgkmcnt(0)
	v_mul_f32_e32 v27, v26, v24
	v_mul_f32_e32 v24, v25, v24
	v_fma_f32 v25, v25, v23, -v27
	v_fmac_f32_e32 v24, v26, v23
	v_add_f32_e32 v22, v22, v25
	v_add_f32_e32 v21, v21, v24
.LBB155_336:
	s_or_b64 exec, exec, s[6:7]
	v_cmp_eq_u32_e64 s[18:19], 2, v17
	s_barrier
	s_and_b64 s[18:19], s[18:19], s[24:25]
	s_mov_b64 s[6:7], exec
	v_writelane_b32 v35, s18, 15
	v_writelane_b32 v35, s19, 16
	s_and_b64 s[18:19], s[6:7], s[18:19]
	s_mov_b64 exec, s[18:19]
	s_cbranch_execz .LBB155_338
; %bb.337:
	v_mov_b32_e32 v23, 0
	ds_read_b64 v[23:24], v23 offset:9360
	s_waitcnt lgkmcnt(0)
	v_mul_f32_e32 v26, v21, v24
	v_mul_f32_e32 v25, v22, v24
	v_fma_f32 v24, v22, v23, -v26
	v_fmac_f32_e32 v25, v21, v23
	v_mov_b32_e32 v22, v24
	v_mov_b32_e32 v21, v25
	ds_write_b64 v18, v[24:25]
.LBB155_338:
	s_or_b64 exec, exec, s[6:7]
	v_cmp_lt_u32_e64 s[18:19], 2, v17
	;; [unrolled: 45-line block ×13, first 2 shown]
	s_waitcnt lgkmcnt(0)
	s_barrier
	s_and_b64 s[18:19], s[18:19], s[24:25]
	s_mov_b64 s[6:7], exec
	v_writelane_b32 v35, s18, 61
	v_writelane_b32 v35, s19, 62
	s_and_b64 s[18:19], s[6:7], s[18:19]
	s_mov_b64 exec, s[18:19]
	s_cbranch_execz .LBB155_384
; %bb.383:
	v_lshlrev_b32_e32 v23, 3, v17
	ds_read_b64 v[23:24], v23 offset:14976
	ds_read_b64 v[25:26], v18
	s_waitcnt lgkmcnt(0)
	v_mul_f32_e32 v27, v26, v24
	v_mul_f32_e32 v24, v25, v24
	v_fma_f32 v25, v25, v23, -v27
	v_fmac_f32_e32 v24, v26, v23
	v_add_f32_e32 v22, v22, v25
	v_add_f32_e32 v21, v21, v24
.LBB155_384:
	s_or_b64 exec, exec, s[6:7]
	v_cmp_eq_u32_e64 s[18:19], 14, v17
	s_barrier
	s_and_b64 s[18:19], s[18:19], s[24:25]
	s_mov_b64 s[6:7], exec
                                        ; implicit-def: $vgpr34 : SGPR spill to VGPR lane
	v_writelane_b32 v35, s18, 63
	v_writelane_b32 v34, s19, 0
	s_and_b64 s[18:19], s[6:7], s[18:19]
	s_mov_b64 exec, s[18:19]
	s_cbranch_execz .LBB155_386
; %bb.385:
	v_mov_b32_e32 v23, 0
	ds_read_b64 v[23:24], v23 offset:15600
	s_waitcnt lgkmcnt(0)
	v_mul_f32_e32 v26, v21, v24
	v_mul_f32_e32 v25, v22, v24
	v_fma_f32 v24, v22, v23, -v26
	v_fmac_f32_e32 v25, v21, v23
	v_mov_b32_e32 v22, v24
	v_mov_b32_e32 v21, v25
	ds_write_b64 v18, v[24:25]
.LBB155_386:
	s_or_b64 exec, exec, s[6:7]
	v_cmp_eq_u32_e64 s[18:19], 15, v17
	s_and_b64 s[94:95], s[18:19], s[24:25]
	s_waitcnt lgkmcnt(0)
	s_barrier
	s_and_saveexec_b64 s[6:7], s[94:95]
	s_cbranch_execz .LBB155_388
; %bb.387:
	v_mov_b32_e32 v23, 0
	ds_read_b64 v[23:24], v23 offset:15608
	ds_read_b64 v[25:26], v18
	s_waitcnt lgkmcnt(0)
	v_mul_f32_e32 v27, v26, v24
	v_mul_f32_e32 v24, v25, v24
	v_fma_f32 v25, v25, v23, -v27
	v_fmac_f32_e32 v24, v26, v23
	v_add_f32_e32 v22, v22, v25
	v_add_f32_e32 v21, v21, v24
.LBB155_388:
	s_or_b64 exec, exec, s[6:7]
	s_barrier
	s_and_saveexec_b64 s[6:7], s[94:95]
	s_cbranch_execz .LBB155_390
; %bb.389:
	v_mov_b32_e32 v23, 0
	ds_read_b64 v[23:24], v23 offset:16120
	s_waitcnt lgkmcnt(0)
	v_mul_f32_e32 v26, v21, v24
	v_mul_f32_e32 v25, v22, v24
	v_fma_f32 v24, v22, v23, -v26
	v_fmac_f32_e32 v25, v21, v23
	v_mov_b32_e32 v22, v24
	v_mov_b32_e32 v21, v25
	ds_write_b64 v18, v[24:25]
.LBB155_390:
	s_or_b64 exec, exec, s[6:7]
	s_waitcnt lgkmcnt(0)
	s_barrier
	s_barrier
	s_and_saveexec_b64 s[6:7], s[14:15]
; %bb.391:
	v_xor_b32_e32 v22, 0x80000000, v22
	v_xor_b32_e32 v23, 0x80000000, v21
	ds_write_b64 v16, v[22:23] offset:128
; %bb.392:
	s_or_b64 exec, exec, s[6:7]
	v_cmp_gt_u32_e64 s[18:19], 16, v0
	s_and_b64 s[98:99], s[16:17], s[18:19]
	s_waitcnt lgkmcnt(0)
	s_barrier
	s_barrier
	s_and_saveexec_b64 s[6:7], s[98:99]
	s_cbranch_execz .LBB155_394
; %bb.393:
	v_lshlrev_b32_e32 v23, 9, v0
	ds_read_b64 v[21:22], v23 offset:128
	s_movk_i32 s18, 0xfe08
	v_mad_i32_i24 v24, v0, s18, v23
	s_waitcnt lgkmcnt(0)
	ds_write_b64 v24, v[21:22] offset:8192
	ds_read_b64 v[21:22], v23 offset:136
	s_waitcnt lgkmcnt(0)
	ds_write_b64 v24, v[21:22] offset:8704
	ds_read_b64 v[21:22], v23 offset:144
	;; [unrolled: 3-line block ×15, first 2 shown]
	s_waitcnt lgkmcnt(0)
	ds_write_b64 v24, v[21:22] offset:15872
.LBB155_394:
	s_or_b64 exec, exec, s[6:7]
	s_waitcnt lgkmcnt(0)
	s_barrier
	s_and_saveexec_b64 s[6:7], vcc
	s_cbranch_execz .LBB155_396
; %bb.395:
	v_mov_b32_e32 v25, 0
	ds_read_b128 v[21:24], v25 offset:8320
	ds_read_b64 v[25:26], v25 offset:8840
	s_movk_i32 s18, 0x2000
	s_waitcnt lgkmcnt(0)
	v_mul_f32_e32 v27, v26, v22
	v_mul_f32_e32 v28, v25, v22
	v_fma_f32 v25, v25, v21, -v27
	v_fmac_f32_e32 v28, v26, v21
	v_mul_f32_e32 v21, v28, v24
	v_mul_f32_e32 v22, v25, v24
	v_fma_f32 v21, v25, v23, -v21
	v_fmac_f32_e32 v22, v28, v23
	v_add_u32_e64 v23, s18, 0
	ds_write2_b64 v23, v[21:22], v[21:22] offset0:17 offset1:80
.LBB155_396:
	s_or_b64 exec, exec, s[6:7]
	v_mov_b32_e32 v21, 0
	v_mov_b32_e32 v22, 0
	s_waitcnt lgkmcnt(0)
	s_barrier
	s_and_saveexec_b64 s[6:7], s[22:23]
	s_cbranch_execz .LBB155_400
; %bb.397:
	v_mul_u32_u24_e32 v23, 0x208, v5
	ds_read_b64 v[21:22], v3 offset:8336
	ds_read_b64 v[23:24], v23 offset:8320
	v_cmp_gt_u32_e64 s[18:19], 2, v1
	s_waitcnt lgkmcnt(0)
	v_mul_f32_e32 v25, v24, v22
	v_mul_f32_e32 v22, v23, v22
	v_fma_f32 v23, v23, v21, -v25
	v_fmac_f32_e32 v22, v24, v21
	v_add_f32_e32 v21, 0, v23
	v_add_f32_e32 v23, 0, v22
	s_and_saveexec_b64 s[20:21], s[18:19]
	s_cbranch_execz .LBB155_399
; %bb.398:
	v_lshlrev_b32_e32 v22, 3, v0
	v_mov_b32_e32 v26, 0
	ds_read_b64 v[24:25], v22 offset:8848
	ds_read_b64 v[26:27], v26 offset:8328
	s_waitcnt lgkmcnt(0)
	v_mul_f32_e32 v22, v27, v25
	v_mul_f32_e32 v25, v26, v25
	v_fma_f32 v22, v26, v24, -v22
	v_fmac_f32_e32 v25, v27, v24
	v_add_f32_e32 v21, v21, v22
	v_add_f32_e32 v23, v23, v25
.LBB155_399:
	s_or_b64 exec, exec, s[20:21]
	v_xor_b32_e32 v22, 0x80000000, v21
	v_xor_b32_e32 v21, 0x80000000, v23
.LBB155_400:
	s_or_b64 exec, exec, s[6:7]
	s_and_saveexec_b64 s[6:7], s[46:47]
	s_cbranch_execz .LBB155_402
; %bb.401:
	v_mov_b32_e32 v23, 0
	ds_read_b64 v[23:24], v23 offset:9360
	s_waitcnt lgkmcnt(0)
	v_mul_f32_e32 v26, v21, v24
	v_mul_f32_e32 v25, v22, v24
	v_fma_f32 v24, v22, v23, -v26
	v_fmac_f32_e32 v25, v21, v23
	v_mov_b32_e32 v22, v24
	v_mov_b32_e32 v21, v25
	ds_write_b64 v4, v[24:25]
.LBB155_402:
	s_or_b64 exec, exec, s[6:7]
	s_waitcnt lgkmcnt(0)
	s_barrier
	s_and_saveexec_b64 s[6:7], s[44:45]
	s_cbranch_execz .LBB155_404
; %bb.403:
	v_mov_b32_e32 v23, 0
	ds_read_b64 v[23:24], v23 offset:9368
	ds_read_b64 v[25:26], v4
	s_waitcnt lgkmcnt(0)
	v_mul_f32_e32 v27, v26, v24
	v_mul_f32_e32 v24, v25, v24
	v_fma_f32 v25, v25, v23, -v27
	v_fmac_f32_e32 v24, v26, v23
	v_add_f32_e32 v22, v22, v25
	v_add_f32_e32 v21, v21, v24
.LBB155_404:
	s_or_b64 exec, exec, s[6:7]
	s_barrier
	s_and_saveexec_b64 s[6:7], s[44:45]
	s_cbranch_execz .LBB155_406
; %bb.405:
	v_mov_b32_e32 v23, 0
	ds_read_b64 v[23:24], v23 offset:9880
	s_waitcnt lgkmcnt(0)
	v_mul_f32_e32 v26, v21, v24
	v_mul_f32_e32 v25, v22, v24
	v_fma_f32 v24, v22, v23, -v26
	v_fmac_f32_e32 v25, v21, v23
	v_mov_b32_e32 v22, v24
	v_mov_b32_e32 v21, v25
	ds_write_b64 v4, v[24:25]
.LBB155_406:
	s_or_b64 exec, exec, s[6:7]
	s_waitcnt lgkmcnt(0)
	s_barrier
	s_barrier
	s_and_saveexec_b64 s[6:7], s[22:23]
; %bb.407:
	v_xor_b32_e32 v23, 0x80000000, v21
	v_xor_b32_e32 v22, 0x80000000, v22
	ds_write_b64 v3, v[22:23] offset:8336
; %bb.408:
	s_or_b64 exec, exec, s[6:7]
	s_waitcnt lgkmcnt(0)
	s_barrier
	s_barrier
	s_and_saveexec_b64 s[6:7], s[48:49]
	s_cbranch_execz .LBB155_410
; %bb.409:
	v_lshlrev_b32_e32 v23, 3, v0
	s_movk_i32 s18, 0x1f8
	v_mad_u32_u24 v24, v0, s18, v23
	ds_read_b64 v[21:22], v24 offset:8336
	s_waitcnt lgkmcnt(0)
	ds_write_b64 v23, v[21:22] offset:9344
	ds_read_b64 v[21:22], v24 offset:8344
	s_waitcnt lgkmcnt(0)
	ds_write_b64 v23, v[21:22] offset:9856
.LBB155_410:
	s_or_b64 exec, exec, s[6:7]
	s_waitcnt lgkmcnt(0)
	s_barrier
	s_and_saveexec_b64 s[6:7], vcc
	s_cbranch_execz .LBB155_412
; %bb.411:
	v_mov_b32_e32 v25, 0
	ds_read_b128 v[21:24], v25 offset:9360
	ds_read_b64 v[25:26], v25 offset:9880
	s_movk_i32 s18, 0x2000
	s_waitcnt lgkmcnt(0)
	v_mul_f32_e32 v27, v26, v22
	v_mul_f32_e32 v28, v25, v22
	v_fma_f32 v25, v25, v21, -v27
	v_fmac_f32_e32 v28, v26, v21
	v_mul_f32_e32 v21, v28, v24
	v_mul_f32_e32 v22, v25, v24
	v_fma_f32 v21, v25, v23, -v21
	v_fmac_f32_e32 v22, v28, v23
	v_add_u32_e64 v23, s18, 0
	ds_write2_b64 v23, v[21:22], v[21:22] offset0:147 offset1:210
.LBB155_412:
	s_or_b64 exec, exec, s[6:7]
	v_mov_b32_e32 v21, 0
	v_mov_b32_e32 v22, 0
	s_waitcnt lgkmcnt(0)
	s_barrier
	s_and_saveexec_b64 s[6:7], s[10:11]
	s_cbranch_execz .LBB155_418
; %bb.413:
	v_mul_u32_u24_e32 v22, 0x208, v10
	ds_read_b64 v[23:24], v6 offset:8352
	ds_read_b64 v[25:26], v22 offset:8320
	v_cmp_gt_u32_e64 s[18:19], 12, v1
	s_waitcnt lgkmcnt(0)
	v_mul_f32_e32 v21, v26, v24
	v_mul_f32_e32 v24, v25, v24
	v_fma_f32 v21, v25, v23, -v21
	v_fmac_f32_e32 v24, v26, v23
	v_add_f32_e32 v21, 0, v21
	v_add_f32_e32 v23, 0, v24
	s_and_saveexec_b64 s[20:21], s[18:19]
	s_cbranch_execnz .LBB155_1130
; %bb.414:
	s_or_b64 exec, exec, s[20:21]
	v_cmp_gt_u32_e64 s[18:19], 8, v1
	s_and_saveexec_b64 s[20:21], s[18:19]
	s_cbranch_execnz .LBB155_1131
.LBB155_415:
	s_or_b64 exec, exec, s[20:21]
	v_cmp_gt_u32_e64 s[18:19], 4, v1
	s_and_saveexec_b64 s[20:21], s[18:19]
	s_cbranch_execz .LBB155_417
.LBB155_416:
	v_lshlrev_b32_e32 v22, 3, v0
	v_mov_b32_e32 v26, 0
	ds_read_b64 v[24:25], v22 offset:9888
	ds_read_b64 v[26:27], v26 offset:8344
	s_waitcnt lgkmcnt(0)
	v_mul_f32_e32 v22, v27, v25
	v_mul_f32_e32 v25, v26, v25
	v_fma_f32 v22, v26, v24, -v22
	v_fmac_f32_e32 v25, v27, v24
	v_add_f32_e32 v21, v21, v22
	v_add_f32_e32 v23, v23, v25
.LBB155_417:
	s_or_b64 exec, exec, s[20:21]
	v_xor_b32_e32 v22, 0x80000000, v21
	v_xor_b32_e32 v21, 0x80000000, v23
.LBB155_418:
	s_or_b64 exec, exec, s[6:7]
	s_and_saveexec_b64 s[6:7], s[52:53]
	s_cbranch_execz .LBB155_420
; %bb.419:
	v_mov_b32_e32 v23, 0
	ds_read_b64 v[23:24], v23 offset:10400
	s_waitcnt lgkmcnt(0)
	v_mul_f32_e32 v26, v21, v24
	v_mul_f32_e32 v25, v22, v24
	v_fma_f32 v24, v22, v23, -v26
	v_fmac_f32_e32 v25, v21, v23
	v_mov_b32_e32 v22, v24
	v_mov_b32_e32 v21, v25
	ds_write_b64 v8, v[24:25]
.LBB155_420:
	s_or_b64 exec, exec, s[6:7]
	s_waitcnt lgkmcnt(0)
	s_barrier
	s_and_saveexec_b64 s[6:7], s[54:55]
	s_cbranch_execz .LBB155_422
; %bb.421:
	ds_read_b64 v[23:24], v7 offset:10400
	ds_read_b64 v[25:26], v8
	s_waitcnt lgkmcnt(0)
	v_mul_f32_e32 v27, v26, v24
	v_mul_f32_e32 v24, v25, v24
	v_fma_f32 v25, v25, v23, -v27
	v_fmac_f32_e32 v24, v26, v23
	v_add_f32_e32 v22, v22, v25
	v_add_f32_e32 v21, v21, v24
.LBB155_422:
	s_or_b64 exec, exec, s[6:7]
	s_barrier
	s_and_saveexec_b64 s[6:7], s[56:57]
	s_cbranch_execz .LBB155_424
; %bb.423:
	v_mov_b32_e32 v23, 0
	ds_read_b64 v[23:24], v23 offset:10920
	s_waitcnt lgkmcnt(0)
	v_mul_f32_e32 v26, v21, v24
	v_mul_f32_e32 v25, v22, v24
	v_fma_f32 v24, v22, v23, -v26
	v_fmac_f32_e32 v25, v21, v23
	v_mov_b32_e32 v22, v24
	v_mov_b32_e32 v21, v25
	ds_write_b64 v8, v[24:25]
.LBB155_424:
	s_or_b64 exec, exec, s[6:7]
	s_waitcnt lgkmcnt(0)
	s_barrier
	s_and_saveexec_b64 s[6:7], s[58:59]
	s_cbranch_execz .LBB155_426
; %bb.425:
	ds_read_b64 v[23:24], v7 offset:10912
	ds_read_b64 v[25:26], v8
	s_waitcnt lgkmcnt(0)
	v_mul_f32_e32 v27, v26, v24
	v_mul_f32_e32 v24, v25, v24
	v_fma_f32 v25, v25, v23, -v27
	v_fmac_f32_e32 v24, v26, v23
	v_add_f32_e32 v22, v22, v25
	v_add_f32_e32 v21, v21, v24
.LBB155_426:
	s_or_b64 exec, exec, s[6:7]
	s_barrier
	s_and_saveexec_b64 s[6:7], s[60:61]
	s_cbranch_execz .LBB155_428
; %bb.427:
	v_mov_b32_e32 v23, 0
	ds_read_b64 v[23:24], v23 offset:11440
	s_waitcnt lgkmcnt(0)
	v_mul_f32_e32 v26, v21, v24
	v_mul_f32_e32 v25, v22, v24
	v_fma_f32 v24, v22, v23, -v26
	v_fmac_f32_e32 v25, v21, v23
	v_mov_b32_e32 v22, v24
	v_mov_b32_e32 v21, v25
	ds_write_b64 v8, v[24:25]
.LBB155_428:
	s_or_b64 exec, exec, s[6:7]
	s_waitcnt lgkmcnt(0)
	s_barrier
	s_and_saveexec_b64 s[6:7], s[50:51]
	s_cbranch_execz .LBB155_430
; %bb.429:
	v_mov_b32_e32 v23, 0
	ds_read_b64 v[23:24], v23 offset:11448
	ds_read_b64 v[25:26], v8
	s_waitcnt lgkmcnt(0)
	v_mul_f32_e32 v27, v26, v24
	v_mul_f32_e32 v24, v25, v24
	v_fma_f32 v25, v25, v23, -v27
	v_fmac_f32_e32 v24, v26, v23
	v_add_f32_e32 v22, v22, v25
	v_add_f32_e32 v21, v21, v24
.LBB155_430:
	s_or_b64 exec, exec, s[6:7]
	s_barrier
	s_and_saveexec_b64 s[6:7], s[50:51]
	s_cbranch_execz .LBB155_432
; %bb.431:
	v_mov_b32_e32 v23, 0
	ds_read_b64 v[23:24], v23 offset:11960
	s_waitcnt lgkmcnt(0)
	v_mul_f32_e32 v26, v21, v24
	v_mul_f32_e32 v25, v22, v24
	v_fma_f32 v24, v22, v23, -v26
	v_fmac_f32_e32 v25, v21, v23
	v_mov_b32_e32 v22, v24
	v_mov_b32_e32 v21, v25
	ds_write_b64 v8, v[24:25]
.LBB155_432:
	s_or_b64 exec, exec, s[6:7]
	s_waitcnt lgkmcnt(0)
	s_barrier
	s_barrier
	s_and_saveexec_b64 s[6:7], s[10:11]
; %bb.433:
	v_xor_b32_e32 v22, 0x80000000, v22
	v_xor_b32_e32 v23, 0x80000000, v21
	ds_write_b64 v6, v[22:23] offset:8352
; %bb.434:
	s_or_b64 exec, exec, s[6:7]
	s_waitcnt lgkmcnt(0)
	s_barrier
	s_barrier
	s_and_saveexec_b64 s[6:7], s[62:63]
	s_cbranch_execz .LBB155_436
; %bb.435:
	v_lshlrev_b32_e32 v23, 9, v0
	ds_read_b64 v[21:22], v23 offset:8352
	s_movk_i32 s18, 0xfe08
	v_mad_i32_i24 v24, v0, s18, v23
	s_waitcnt lgkmcnt(0)
	ds_write_b64 v24, v[21:22] offset:10368
	ds_read_b64 v[21:22], v23 offset:8360
	s_waitcnt lgkmcnt(0)
	ds_write_b64 v24, v[21:22] offset:10880
	ds_read_b64 v[21:22], v23 offset:8368
	;; [unrolled: 3-line block ×3, first 2 shown]
	s_waitcnt lgkmcnt(0)
	ds_write_b64 v24, v[21:22] offset:11904
.LBB155_436:
	s_or_b64 exec, exec, s[6:7]
	s_waitcnt lgkmcnt(0)
	s_barrier
	s_and_saveexec_b64 s[6:7], vcc
	s_cbranch_execz .LBB155_438
; %bb.437:
	v_mov_b32_e32 v25, 0
	ds_read_b128 v[21:24], v25 offset:10400
	ds_read_b64 v[25:26], v25 offset:10920
	s_movk_i32 s18, 0x2800
	s_waitcnt lgkmcnt(0)
	v_mul_f32_e32 v27, v26, v22
	v_mul_f32_e32 v28, v25, v22
	v_fma_f32 v25, v25, v21, -v27
	v_fmac_f32_e32 v28, v26, v21
	v_mul_f32_e32 v21, v28, v24
	v_mul_f32_e32 v22, v25, v24
	v_fma_f32 v21, v25, v23, -v21
	v_fmac_f32_e32 v22, v28, v23
	v_add_u32_e64 v23, s18, 0
	ds_write2_b64 v23, v[21:22], v[21:22] offset0:21 offset1:84
.LBB155_438:
	s_or_b64 exec, exec, s[6:7]
	v_mov_b32_e32 v21, 0
	v_mov_b32_e32 v22, 0
	s_waitcnt lgkmcnt(0)
	s_barrier
	s_and_saveexec_b64 s[6:7], s[22:23]
	s_cbranch_execz .LBB155_442
; %bb.439:
	v_mul_u32_u24_e32 v23, 0x208, v5
	ds_read_b64 v[21:22], v3 offset:10416
	ds_read_b64 v[23:24], v23 offset:10400
	v_cmp_gt_u32_e64 s[18:19], 2, v1
	s_waitcnt lgkmcnt(0)
	v_mul_f32_e32 v25, v24, v22
	v_mul_f32_e32 v22, v23, v22
	v_fma_f32 v23, v23, v21, -v25
	v_fmac_f32_e32 v22, v24, v21
	v_add_f32_e32 v21, 0, v23
	v_add_f32_e32 v23, 0, v22
	s_and_saveexec_b64 s[20:21], s[18:19]
	s_cbranch_execz .LBB155_441
; %bb.440:
	v_lshlrev_b32_e32 v22, 3, v0
	v_mov_b32_e32 v26, 0
	ds_read_b64 v[24:25], v22 offset:10928
	ds_read_b64 v[26:27], v26 offset:10408
	s_waitcnt lgkmcnt(0)
	v_mul_f32_e32 v22, v27, v25
	v_mul_f32_e32 v25, v26, v25
	v_fma_f32 v22, v26, v24, -v22
	v_fmac_f32_e32 v25, v27, v24
	v_add_f32_e32 v21, v21, v22
	v_add_f32_e32 v23, v23, v25
.LBB155_441:
	s_or_b64 exec, exec, s[20:21]
	v_xor_b32_e32 v22, 0x80000000, v21
	v_xor_b32_e32 v21, 0x80000000, v23
.LBB155_442:
	s_or_b64 exec, exec, s[6:7]
	s_and_saveexec_b64 s[6:7], s[46:47]
	s_cbranch_execz .LBB155_444
; %bb.443:
	v_mov_b32_e32 v23, 0
	ds_read_b64 v[23:24], v23 offset:11440
	s_waitcnt lgkmcnt(0)
	v_mul_f32_e32 v26, v21, v24
	v_mul_f32_e32 v25, v22, v24
	v_fma_f32 v24, v22, v23, -v26
	v_fmac_f32_e32 v25, v21, v23
	v_mov_b32_e32 v22, v24
	v_mov_b32_e32 v21, v25
	ds_write_b64 v4, v[24:25]
.LBB155_444:
	s_or_b64 exec, exec, s[6:7]
	s_waitcnt lgkmcnt(0)
	s_barrier
	s_and_saveexec_b64 s[6:7], s[44:45]
	s_cbranch_execz .LBB155_446
; %bb.445:
	v_mov_b32_e32 v23, 0
	ds_read_b64 v[23:24], v23 offset:11448
	ds_read_b64 v[25:26], v4
	s_waitcnt lgkmcnt(0)
	v_mul_f32_e32 v27, v26, v24
	v_mul_f32_e32 v24, v25, v24
	v_fma_f32 v25, v25, v23, -v27
	v_fmac_f32_e32 v24, v26, v23
	v_add_f32_e32 v22, v22, v25
	v_add_f32_e32 v21, v21, v24
.LBB155_446:
	s_or_b64 exec, exec, s[6:7]
	s_barrier
	s_and_saveexec_b64 s[6:7], s[44:45]
	s_cbranch_execz .LBB155_448
; %bb.447:
	v_mov_b32_e32 v23, 0
	ds_read_b64 v[23:24], v23 offset:11960
	s_waitcnt lgkmcnt(0)
	v_mul_f32_e32 v26, v21, v24
	v_mul_f32_e32 v25, v22, v24
	v_fma_f32 v24, v22, v23, -v26
	v_fmac_f32_e32 v25, v21, v23
	v_mov_b32_e32 v22, v24
	v_mov_b32_e32 v21, v25
	ds_write_b64 v4, v[24:25]
.LBB155_448:
	s_or_b64 exec, exec, s[6:7]
	s_waitcnt lgkmcnt(0)
	s_barrier
	s_barrier
	s_and_saveexec_b64 s[6:7], s[22:23]
; %bb.449:
	v_xor_b32_e32 v23, 0x80000000, v21
	v_xor_b32_e32 v22, 0x80000000, v22
	ds_write_b64 v3, v[22:23] offset:10416
; %bb.450:
	s_or_b64 exec, exec, s[6:7]
	s_waitcnt lgkmcnt(0)
	s_barrier
	s_barrier
	s_and_saveexec_b64 s[6:7], s[48:49]
	s_cbranch_execz .LBB155_452
; %bb.451:
	v_lshlrev_b32_e32 v23, 3, v0
	s_movk_i32 s18, 0x1f8
	v_mad_u32_u24 v24, v0, s18, v23
	ds_read_b64 v[21:22], v24 offset:10416
	s_waitcnt lgkmcnt(0)
	ds_write_b64 v23, v[21:22] offset:11424
	ds_read_b64 v[21:22], v24 offset:10424
	s_waitcnt lgkmcnt(0)
	ds_write_b64 v23, v[21:22] offset:11936
.LBB155_452:
	s_or_b64 exec, exec, s[6:7]
	s_waitcnt lgkmcnt(0)
	s_barrier
	s_and_saveexec_b64 s[6:7], vcc
	s_cbranch_execz .LBB155_454
; %bb.453:
	v_mov_b32_e32 v25, 0
	ds_read_b128 v[21:24], v25 offset:11440
	ds_read_b64 v[25:26], v25 offset:11960
	s_movk_i32 s18, 0x2800
	s_waitcnt lgkmcnt(0)
	v_mul_f32_e32 v27, v26, v22
	v_mul_f32_e32 v28, v25, v22
	v_fma_f32 v25, v25, v21, -v27
	v_fmac_f32_e32 v28, v26, v21
	v_mul_f32_e32 v21, v28, v24
	v_mul_f32_e32 v22, v25, v24
	v_fma_f32 v21, v25, v23, -v21
	v_fmac_f32_e32 v22, v28, v23
	v_add_u32_e64 v23, s18, 0
	ds_write2_b64 v23, v[21:22], v[21:22] offset0:151 offset1:214
.LBB155_454:
	s_or_b64 exec, exec, s[6:7]
	v_mov_b32_e32 v21, 0
	v_mov_b32_e32 v22, 0
	s_waitcnt lgkmcnt(0)
	s_barrier
	s_and_saveexec_b64 s[6:7], s[12:13]
	s_cbranch_execz .LBB155_464
; %bb.455:
	v_mul_u32_u24_e32 v22, 0x208, v15
	ds_read_b64 v[23:24], v11 offset:8384
	ds_read_b64 v[25:26], v22 offset:8320
	v_cmp_gt_u32_e64 s[18:19], 56, v1
	s_waitcnt lgkmcnt(0)
	v_mul_f32_e32 v21, v26, v24
	v_mul_f32_e32 v24, v25, v24
	v_fma_f32 v21, v25, v23, -v21
	v_fmac_f32_e32 v24, v26, v23
	v_add_f32_e32 v21, 0, v21
	v_add_f32_e32 v23, 0, v24
	s_and_saveexec_b64 s[20:21], s[18:19]
	s_cbranch_execnz .LBB155_1132
; %bb.456:
	s_or_b64 exec, exec, s[20:21]
	v_cmp_gt_u32_e64 s[18:19], 48, v1
	s_and_saveexec_b64 s[20:21], s[18:19]
	s_cbranch_execnz .LBB155_1133
.LBB155_457:
	s_or_b64 exec, exec, s[20:21]
	v_cmp_gt_u32_e64 s[18:19], 40, v1
	s_and_saveexec_b64 s[20:21], s[18:19]
	s_cbranch_execnz .LBB155_1134
.LBB155_458:
	s_or_b64 exec, exec, s[20:21]
	v_cmp_gt_u32_e64 s[18:19], 32, v1
	s_and_saveexec_b64 s[20:21], s[18:19]
	s_cbranch_execnz .LBB155_1135
.LBB155_459:
	s_or_b64 exec, exec, s[20:21]
	v_cmp_gt_u32_e64 s[18:19], 24, v1
	s_and_saveexec_b64 s[20:21], s[18:19]
	s_cbranch_execnz .LBB155_1136
.LBB155_460:
	s_or_b64 exec, exec, s[20:21]
	v_cmp_gt_u32_e64 s[18:19], 16, v1
	s_and_saveexec_b64 s[20:21], s[18:19]
	s_cbranch_execnz .LBB155_1137
.LBB155_461:
	s_or_b64 exec, exec, s[20:21]
	v_cmp_gt_u32_e64 s[18:19], 8, v1
	s_and_saveexec_b64 s[20:21], s[18:19]
	s_cbranch_execz .LBB155_463
.LBB155_462:
	v_lshlrev_b32_e32 v22, 3, v0
	v_mov_b32_e32 v26, 0
	ds_read_b64 v[24:25], v22 offset:11968
	ds_read_b64 v[26:27], v26 offset:8376
	s_waitcnt lgkmcnt(0)
	v_mul_f32_e32 v22, v27, v25
	v_mul_f32_e32 v25, v26, v25
	v_fma_f32 v22, v26, v24, -v22
	v_fmac_f32_e32 v25, v27, v24
	v_add_f32_e32 v21, v21, v22
	v_add_f32_e32 v23, v23, v25
.LBB155_463:
	s_or_b64 exec, exec, s[20:21]
	v_xor_b32_e32 v22, 0x80000000, v21
	v_xor_b32_e32 v21, 0x80000000, v23
.LBB155_464:
	s_or_b64 exec, exec, s[6:7]
	s_and_saveexec_b64 s[6:7], s[66:67]
	s_cbranch_execz .LBB155_466
; %bb.465:
	v_mov_b32_e32 v23, 0
	ds_read_b64 v[23:24], v23 offset:12480
	s_waitcnt lgkmcnt(0)
	v_mul_f32_e32 v26, v21, v24
	v_mul_f32_e32 v25, v22, v24
	v_fma_f32 v24, v22, v23, -v26
	v_fmac_f32_e32 v25, v21, v23
	v_mov_b32_e32 v22, v24
	v_mov_b32_e32 v21, v25
	ds_write_b64 v13, v[24:25]
.LBB155_466:
	s_or_b64 exec, exec, s[6:7]
	s_waitcnt lgkmcnt(0)
	s_barrier
	s_and_saveexec_b64 s[6:7], s[68:69]
	s_cbranch_execz .LBB155_468
; %bb.467:
	ds_read_b64 v[23:24], v12 offset:12480
	ds_read_b64 v[25:26], v13
	s_waitcnt lgkmcnt(0)
	v_mul_f32_e32 v27, v26, v24
	v_mul_f32_e32 v24, v25, v24
	v_fma_f32 v25, v25, v23, -v27
	v_fmac_f32_e32 v24, v26, v23
	v_add_f32_e32 v22, v22, v25
	v_add_f32_e32 v21, v21, v24
.LBB155_468:
	s_or_b64 exec, exec, s[6:7]
	s_barrier
	s_and_saveexec_b64 s[6:7], s[70:71]
	s_cbranch_execz .LBB155_470
; %bb.469:
	v_mov_b32_e32 v23, 0
	ds_read_b64 v[23:24], v23 offset:13000
	s_waitcnt lgkmcnt(0)
	v_mul_f32_e32 v26, v21, v24
	v_mul_f32_e32 v25, v22, v24
	v_fma_f32 v24, v22, v23, -v26
	v_fmac_f32_e32 v25, v21, v23
	v_mov_b32_e32 v22, v24
	v_mov_b32_e32 v21, v25
	ds_write_b64 v13, v[24:25]
.LBB155_470:
	s_or_b64 exec, exec, s[6:7]
	s_waitcnt lgkmcnt(0)
	s_barrier
	s_and_saveexec_b64 s[6:7], s[72:73]
	s_cbranch_execz .LBB155_472
; %bb.471:
	ds_read_b64 v[23:24], v12 offset:12992
	ds_read_b64 v[25:26], v13
	s_waitcnt lgkmcnt(0)
	v_mul_f32_e32 v27, v26, v24
	v_mul_f32_e32 v24, v25, v24
	v_fma_f32 v25, v25, v23, -v27
	v_fmac_f32_e32 v24, v26, v23
	v_add_f32_e32 v22, v22, v25
	v_add_f32_e32 v21, v21, v24
.LBB155_472:
	s_or_b64 exec, exec, s[6:7]
	s_barrier
	;; [unrolled: 32-line block ×6, first 2 shown]
	s_and_saveexec_b64 s[6:7], s[90:91]
	s_cbranch_execz .LBB155_490
; %bb.489:
	v_mov_b32_e32 v23, 0
	ds_read_b64 v[23:24], v23 offset:15600
	s_waitcnt lgkmcnt(0)
	v_mul_f32_e32 v26, v21, v24
	v_mul_f32_e32 v25, v22, v24
	v_fma_f32 v24, v22, v23, -v26
	v_fmac_f32_e32 v25, v21, v23
	v_mov_b32_e32 v22, v24
	v_mov_b32_e32 v21, v25
	ds_write_b64 v13, v[24:25]
.LBB155_490:
	s_or_b64 exec, exec, s[6:7]
	s_waitcnt lgkmcnt(0)
	s_barrier
	s_and_saveexec_b64 s[6:7], s[64:65]
	s_cbranch_execz .LBB155_492
; %bb.491:
	v_mov_b32_e32 v23, 0
	ds_read_b64 v[23:24], v23 offset:15608
	ds_read_b64 v[25:26], v13
	s_waitcnt lgkmcnt(0)
	v_mul_f32_e32 v27, v26, v24
	v_mul_f32_e32 v24, v25, v24
	v_fma_f32 v25, v25, v23, -v27
	v_fmac_f32_e32 v24, v26, v23
	v_add_f32_e32 v22, v22, v25
	v_add_f32_e32 v21, v21, v24
.LBB155_492:
	s_or_b64 exec, exec, s[6:7]
	s_barrier
	s_and_saveexec_b64 s[6:7], s[64:65]
	s_cbranch_execz .LBB155_494
; %bb.493:
	v_mov_b32_e32 v23, 0
	ds_read_b64 v[23:24], v23 offset:16120
	s_waitcnt lgkmcnt(0)
	v_mul_f32_e32 v26, v21, v24
	v_mul_f32_e32 v25, v22, v24
	v_fma_f32 v24, v22, v23, -v26
	v_fmac_f32_e32 v25, v21, v23
	v_mov_b32_e32 v22, v24
	v_mov_b32_e32 v21, v25
	ds_write_b64 v13, v[24:25]
.LBB155_494:
	s_or_b64 exec, exec, s[6:7]
	s_waitcnt lgkmcnt(0)
	s_barrier
	s_barrier
	s_and_saveexec_b64 s[6:7], s[12:13]
; %bb.495:
	v_xor_b32_e32 v23, 0x80000000, v21
	v_xor_b32_e32 v22, 0x80000000, v22
	ds_write_b64 v11, v[22:23] offset:8384
; %bb.496:
	s_or_b64 exec, exec, s[6:7]
	s_waitcnt lgkmcnt(0)
	s_barrier
	s_barrier
	s_and_saveexec_b64 s[6:7], s[92:93]
	s_cbranch_execz .LBB155_498
; %bb.497:
	v_lshlrev_b32_e32 v23, 9, v0
	ds_read_b64 v[21:22], v23 offset:8384
	s_movk_i32 s18, 0xfe08
	v_mad_i32_i24 v24, v0, s18, v23
	s_waitcnt lgkmcnt(0)
	ds_write_b64 v24, v[21:22] offset:12416
	ds_read_b64 v[21:22], v23 offset:8392
	s_waitcnt lgkmcnt(0)
	ds_write_b64 v24, v[21:22] offset:12928
	ds_read_b64 v[21:22], v23 offset:8400
	;; [unrolled: 3-line block ×7, first 2 shown]
	s_waitcnt lgkmcnt(0)
	ds_write_b64 v24, v[21:22] offset:16000
.LBB155_498:
	s_or_b64 exec, exec, s[6:7]
	s_waitcnt lgkmcnt(0)
	s_barrier
	s_and_saveexec_b64 s[6:7], vcc
	s_cbranch_execz .LBB155_500
; %bb.499:
	v_mov_b32_e32 v25, 0
	ds_read_b128 v[21:24], v25 offset:12480
	ds_read_b64 v[25:26], v25 offset:13000
	s_movk_i32 s18, 0x3000
	s_waitcnt lgkmcnt(0)
	v_mul_f32_e32 v27, v26, v22
	v_mul_f32_e32 v28, v25, v22
	v_fma_f32 v25, v25, v21, -v27
	v_fmac_f32_e32 v28, v26, v21
	v_mul_f32_e32 v21, v28, v24
	v_mul_f32_e32 v22, v25, v24
	v_fma_f32 v21, v25, v23, -v21
	v_fmac_f32_e32 v22, v28, v23
	v_add_u32_e64 v23, s18, 0
	ds_write2_b64 v23, v[21:22], v[21:22] offset0:25 offset1:88
.LBB155_500:
	s_or_b64 exec, exec, s[6:7]
	v_mov_b32_e32 v21, 0
	v_mov_b32_e32 v22, 0
	s_waitcnt lgkmcnt(0)
	s_barrier
	s_and_saveexec_b64 s[6:7], s[22:23]
	s_cbranch_execz .LBB155_504
; %bb.501:
	v_mul_u32_u24_e32 v23, 0x208, v5
	ds_read_b64 v[21:22], v3 offset:12496
	ds_read_b64 v[23:24], v23 offset:12480
	v_cmp_gt_u32_e64 s[18:19], 2, v1
	s_waitcnt lgkmcnt(0)
	v_mul_f32_e32 v25, v24, v22
	v_mul_f32_e32 v22, v23, v22
	v_fma_f32 v23, v23, v21, -v25
	v_fmac_f32_e32 v22, v24, v21
	v_add_f32_e32 v21, 0, v23
	v_add_f32_e32 v23, 0, v22
	s_and_saveexec_b64 s[20:21], s[18:19]
	s_cbranch_execz .LBB155_503
; %bb.502:
	v_lshlrev_b32_e32 v22, 3, v0
	v_mov_b32_e32 v26, 0
	ds_read_b64 v[24:25], v22 offset:13008
	ds_read_b64 v[26:27], v26 offset:12488
	s_waitcnt lgkmcnt(0)
	v_mul_f32_e32 v22, v27, v25
	v_mul_f32_e32 v25, v26, v25
	v_fma_f32 v22, v26, v24, -v22
	v_fmac_f32_e32 v25, v27, v24
	v_add_f32_e32 v21, v21, v22
	v_add_f32_e32 v23, v23, v25
.LBB155_503:
	s_or_b64 exec, exec, s[20:21]
	v_xor_b32_e32 v22, 0x80000000, v21
	v_xor_b32_e32 v21, 0x80000000, v23
.LBB155_504:
	s_or_b64 exec, exec, s[6:7]
	s_and_saveexec_b64 s[6:7], s[46:47]
	s_cbranch_execz .LBB155_506
; %bb.505:
	v_mov_b32_e32 v23, 0
	ds_read_b64 v[23:24], v23 offset:13520
	s_waitcnt lgkmcnt(0)
	v_mul_f32_e32 v26, v21, v24
	v_mul_f32_e32 v25, v22, v24
	v_fma_f32 v24, v22, v23, -v26
	v_fmac_f32_e32 v25, v21, v23
	v_mov_b32_e32 v22, v24
	v_mov_b32_e32 v21, v25
	ds_write_b64 v4, v[24:25]
.LBB155_506:
	s_or_b64 exec, exec, s[6:7]
	s_waitcnt lgkmcnt(0)
	s_barrier
	s_and_saveexec_b64 s[6:7], s[44:45]
	s_cbranch_execz .LBB155_508
; %bb.507:
	v_mov_b32_e32 v23, 0
	ds_read_b64 v[23:24], v23 offset:13528
	ds_read_b64 v[25:26], v4
	s_waitcnt lgkmcnt(0)
	v_mul_f32_e32 v27, v26, v24
	v_mul_f32_e32 v24, v25, v24
	v_fma_f32 v25, v25, v23, -v27
	v_fmac_f32_e32 v24, v26, v23
	v_add_f32_e32 v22, v22, v25
	v_add_f32_e32 v21, v21, v24
.LBB155_508:
	s_or_b64 exec, exec, s[6:7]
	s_barrier
	s_and_saveexec_b64 s[6:7], s[44:45]
	s_cbranch_execz .LBB155_510
; %bb.509:
	v_mov_b32_e32 v23, 0
	ds_read_b64 v[23:24], v23 offset:14040
	s_waitcnt lgkmcnt(0)
	v_mul_f32_e32 v26, v21, v24
	v_mul_f32_e32 v25, v22, v24
	v_fma_f32 v24, v22, v23, -v26
	v_fmac_f32_e32 v25, v21, v23
	v_mov_b32_e32 v22, v24
	v_mov_b32_e32 v21, v25
	ds_write_b64 v4, v[24:25]
.LBB155_510:
	s_or_b64 exec, exec, s[6:7]
	s_waitcnt lgkmcnt(0)
	s_barrier
	s_barrier
	s_and_saveexec_b64 s[6:7], s[22:23]
; %bb.511:
	v_xor_b32_e32 v23, 0x80000000, v21
	v_xor_b32_e32 v22, 0x80000000, v22
	ds_write_b64 v3, v[22:23] offset:12496
; %bb.512:
	s_or_b64 exec, exec, s[6:7]
	s_waitcnt lgkmcnt(0)
	s_barrier
	s_barrier
	s_and_saveexec_b64 s[6:7], s[48:49]
	s_cbranch_execz .LBB155_514
; %bb.513:
	v_lshlrev_b32_e32 v23, 3, v0
	s_movk_i32 s18, 0x1f8
	v_mad_u32_u24 v24, v0, s18, v23
	ds_read_b64 v[21:22], v24 offset:12496
	s_waitcnt lgkmcnt(0)
	ds_write_b64 v23, v[21:22] offset:13504
	ds_read_b64 v[21:22], v24 offset:12504
	s_waitcnt lgkmcnt(0)
	ds_write_b64 v23, v[21:22] offset:14016
.LBB155_514:
	s_or_b64 exec, exec, s[6:7]
	s_waitcnt lgkmcnt(0)
	s_barrier
	s_and_saveexec_b64 s[6:7], vcc
	s_cbranch_execz .LBB155_516
; %bb.515:
	v_mov_b32_e32 v25, 0
	ds_read_b128 v[21:24], v25 offset:13520
	ds_read_b64 v[25:26], v25 offset:14040
	s_movk_i32 s18, 0x3000
	s_waitcnt lgkmcnt(0)
	v_mul_f32_e32 v27, v26, v22
	v_mul_f32_e32 v28, v25, v22
	v_fma_f32 v25, v25, v21, -v27
	v_fmac_f32_e32 v28, v26, v21
	v_mul_f32_e32 v21, v28, v24
	v_mul_f32_e32 v22, v25, v24
	v_fma_f32 v21, v25, v23, -v21
	v_fmac_f32_e32 v22, v28, v23
	v_add_u32_e64 v23, s18, 0
	ds_write2_b64 v23, v[21:22], v[21:22] offset0:155 offset1:218
.LBB155_516:
	s_or_b64 exec, exec, s[6:7]
	v_mov_b32_e32 v21, 0
	v_mov_b32_e32 v22, 0
	s_waitcnt lgkmcnt(0)
	s_barrier
	s_and_saveexec_b64 s[6:7], s[10:11]
	s_cbranch_execz .LBB155_522
; %bb.517:
	v_mul_u32_u24_e32 v22, 0x208, v10
	ds_read_b64 v[23:24], v6 offset:12512
	ds_read_b64 v[25:26], v22 offset:12480
	v_cmp_gt_u32_e64 s[18:19], 12, v1
	s_waitcnt lgkmcnt(0)
	v_mul_f32_e32 v21, v26, v24
	v_mul_f32_e32 v24, v25, v24
	v_fma_f32 v21, v25, v23, -v21
	v_fmac_f32_e32 v24, v26, v23
	v_add_f32_e32 v21, 0, v21
	v_add_f32_e32 v23, 0, v24
	s_and_saveexec_b64 s[20:21], s[18:19]
	s_cbranch_execnz .LBB155_1138
; %bb.518:
	s_or_b64 exec, exec, s[20:21]
	v_cmp_gt_u32_e64 s[18:19], 8, v1
	s_and_saveexec_b64 s[20:21], s[18:19]
	s_cbranch_execnz .LBB155_1139
.LBB155_519:
	s_or_b64 exec, exec, s[20:21]
	v_cmp_gt_u32_e64 s[18:19], 4, v1
	s_and_saveexec_b64 s[20:21], s[18:19]
	s_cbranch_execz .LBB155_521
.LBB155_520:
	v_lshlrev_b32_e32 v22, 3, v0
	v_mov_b32_e32 v26, 0
	ds_read_b64 v[24:25], v22 offset:14048
	ds_read_b64 v[26:27], v26 offset:12504
	s_waitcnt lgkmcnt(0)
	v_mul_f32_e32 v22, v27, v25
	v_mul_f32_e32 v25, v26, v25
	v_fma_f32 v22, v26, v24, -v22
	v_fmac_f32_e32 v25, v27, v24
	v_add_f32_e32 v21, v21, v22
	v_add_f32_e32 v23, v23, v25
.LBB155_521:
	s_or_b64 exec, exec, s[20:21]
	v_xor_b32_e32 v22, 0x80000000, v21
	v_xor_b32_e32 v21, 0x80000000, v23
.LBB155_522:
	s_or_b64 exec, exec, s[6:7]
	s_and_saveexec_b64 s[6:7], s[52:53]
	s_cbranch_execz .LBB155_524
; %bb.523:
	v_mov_b32_e32 v23, 0
	ds_read_b64 v[23:24], v23 offset:14560
	s_waitcnt lgkmcnt(0)
	v_mul_f32_e32 v26, v21, v24
	v_mul_f32_e32 v25, v22, v24
	v_fma_f32 v24, v22, v23, -v26
	v_fmac_f32_e32 v25, v21, v23
	v_mov_b32_e32 v22, v24
	v_mov_b32_e32 v21, v25
	ds_write_b64 v8, v[24:25]
.LBB155_524:
	s_or_b64 exec, exec, s[6:7]
	s_waitcnt lgkmcnt(0)
	s_barrier
	s_and_saveexec_b64 s[6:7], s[54:55]
	s_cbranch_execz .LBB155_526
; %bb.525:
	ds_read_b64 v[23:24], v7 offset:14560
	ds_read_b64 v[25:26], v8
	s_waitcnt lgkmcnt(0)
	v_mul_f32_e32 v27, v26, v24
	v_mul_f32_e32 v24, v25, v24
	v_fma_f32 v25, v25, v23, -v27
	v_fmac_f32_e32 v24, v26, v23
	v_add_f32_e32 v22, v22, v25
	v_add_f32_e32 v21, v21, v24
.LBB155_526:
	s_or_b64 exec, exec, s[6:7]
	s_barrier
	s_and_saveexec_b64 s[6:7], s[56:57]
	s_cbranch_execz .LBB155_528
; %bb.527:
	v_mov_b32_e32 v23, 0
	ds_read_b64 v[23:24], v23 offset:15080
	s_waitcnt lgkmcnt(0)
	v_mul_f32_e32 v26, v21, v24
	v_mul_f32_e32 v25, v22, v24
	v_fma_f32 v24, v22, v23, -v26
	v_fmac_f32_e32 v25, v21, v23
	v_mov_b32_e32 v22, v24
	v_mov_b32_e32 v21, v25
	ds_write_b64 v8, v[24:25]
.LBB155_528:
	s_or_b64 exec, exec, s[6:7]
	s_waitcnt lgkmcnt(0)
	s_barrier
	s_and_saveexec_b64 s[6:7], s[58:59]
	s_cbranch_execz .LBB155_530
; %bb.529:
	ds_read_b64 v[23:24], v7 offset:15072
	ds_read_b64 v[25:26], v8
	s_waitcnt lgkmcnt(0)
	v_mul_f32_e32 v27, v26, v24
	v_mul_f32_e32 v24, v25, v24
	v_fma_f32 v25, v25, v23, -v27
	v_fmac_f32_e32 v24, v26, v23
	v_add_f32_e32 v22, v22, v25
	v_add_f32_e32 v21, v21, v24
.LBB155_530:
	s_or_b64 exec, exec, s[6:7]
	s_barrier
	s_and_saveexec_b64 s[6:7], s[60:61]
	s_cbranch_execz .LBB155_532
; %bb.531:
	v_mov_b32_e32 v23, 0
	ds_read_b64 v[23:24], v23 offset:15600
	s_waitcnt lgkmcnt(0)
	v_mul_f32_e32 v26, v21, v24
	v_mul_f32_e32 v25, v22, v24
	v_fma_f32 v24, v22, v23, -v26
	v_fmac_f32_e32 v25, v21, v23
	v_mov_b32_e32 v22, v24
	v_mov_b32_e32 v21, v25
	ds_write_b64 v8, v[24:25]
.LBB155_532:
	s_or_b64 exec, exec, s[6:7]
	s_waitcnt lgkmcnt(0)
	s_barrier
	s_and_saveexec_b64 s[6:7], s[50:51]
	s_cbranch_execz .LBB155_534
; %bb.533:
	v_mov_b32_e32 v23, 0
	ds_read_b64 v[23:24], v23 offset:15608
	ds_read_b64 v[25:26], v8
	s_waitcnt lgkmcnt(0)
	v_mul_f32_e32 v27, v26, v24
	v_mul_f32_e32 v24, v25, v24
	v_fma_f32 v25, v25, v23, -v27
	v_fmac_f32_e32 v24, v26, v23
	v_add_f32_e32 v22, v22, v25
	v_add_f32_e32 v21, v21, v24
.LBB155_534:
	s_or_b64 exec, exec, s[6:7]
	s_barrier
	s_and_saveexec_b64 s[6:7], s[50:51]
	s_cbranch_execz .LBB155_536
; %bb.535:
	v_mov_b32_e32 v23, 0
	ds_read_b64 v[23:24], v23 offset:16120
	s_waitcnt lgkmcnt(0)
	v_mul_f32_e32 v26, v21, v24
	v_mul_f32_e32 v25, v22, v24
	v_fma_f32 v24, v22, v23, -v26
	v_fmac_f32_e32 v25, v21, v23
	v_mov_b32_e32 v22, v24
	v_mov_b32_e32 v21, v25
	ds_write_b64 v8, v[24:25]
.LBB155_536:
	s_or_b64 exec, exec, s[6:7]
	s_waitcnt lgkmcnt(0)
	s_barrier
	s_barrier
	s_and_saveexec_b64 s[6:7], s[10:11]
; %bb.537:
	v_xor_b32_e32 v22, 0x80000000, v22
	v_xor_b32_e32 v23, 0x80000000, v21
	ds_write_b64 v6, v[22:23] offset:12512
; %bb.538:
	s_or_b64 exec, exec, s[6:7]
	s_waitcnt lgkmcnt(0)
	s_barrier
	s_barrier
	s_and_saveexec_b64 s[6:7], s[62:63]
	s_cbranch_execz .LBB155_540
; %bb.539:
	v_lshlrev_b32_e32 v23, 9, v0
	ds_read_b64 v[21:22], v23 offset:12512
	s_movk_i32 s18, 0xfe08
	v_mad_i32_i24 v24, v0, s18, v23
	s_waitcnt lgkmcnt(0)
	ds_write_b64 v24, v[21:22] offset:14528
	ds_read_b64 v[21:22], v23 offset:12520
	s_waitcnt lgkmcnt(0)
	ds_write_b64 v24, v[21:22] offset:15040
	ds_read_b64 v[21:22], v23 offset:12528
	;; [unrolled: 3-line block ×3, first 2 shown]
	s_waitcnt lgkmcnt(0)
	ds_write_b64 v24, v[21:22] offset:16064
.LBB155_540:
	s_or_b64 exec, exec, s[6:7]
	s_waitcnt lgkmcnt(0)
	s_barrier
	s_and_saveexec_b64 s[6:7], vcc
	s_cbranch_execz .LBB155_542
; %bb.541:
	v_mov_b32_e32 v25, 0
	ds_read_b128 v[21:24], v25 offset:14560
	ds_read_b64 v[25:26], v25 offset:15080
	s_movk_i32 s18, 0x3800
	s_waitcnt lgkmcnt(0)
	v_mul_f32_e32 v27, v26, v22
	v_mul_f32_e32 v28, v25, v22
	v_fma_f32 v25, v25, v21, -v27
	v_fmac_f32_e32 v28, v26, v21
	v_mul_f32_e32 v21, v28, v24
	v_mul_f32_e32 v22, v25, v24
	v_fma_f32 v21, v25, v23, -v21
	v_fmac_f32_e32 v22, v28, v23
	v_add_u32_e64 v23, s18, 0
	ds_write2_b64 v23, v[21:22], v[21:22] offset0:29 offset1:92
.LBB155_542:
	s_or_b64 exec, exec, s[6:7]
	v_mov_b32_e32 v21, 0
	v_mov_b32_e32 v22, 0
	s_waitcnt lgkmcnt(0)
	s_barrier
	s_and_saveexec_b64 s[6:7], s[22:23]
	s_cbranch_execz .LBB155_546
; %bb.543:
	v_mul_u32_u24_e32 v23, 0x208, v5
	ds_read_b64 v[21:22], v3 offset:14576
	ds_read_b64 v[23:24], v23 offset:14560
	v_cmp_gt_u32_e64 s[18:19], 2, v1
	s_waitcnt lgkmcnt(0)
	v_mul_f32_e32 v25, v24, v22
	v_mul_f32_e32 v22, v23, v22
	v_fma_f32 v23, v23, v21, -v25
	v_fmac_f32_e32 v22, v24, v21
	v_add_f32_e32 v21, 0, v23
	v_add_f32_e32 v23, 0, v22
	s_and_saveexec_b64 s[20:21], s[18:19]
	s_cbranch_execz .LBB155_545
; %bb.544:
	v_lshlrev_b32_e32 v22, 3, v0
	v_mov_b32_e32 v26, 0
	ds_read_b64 v[24:25], v22 offset:15088
	ds_read_b64 v[26:27], v26 offset:14568
	s_waitcnt lgkmcnt(0)
	v_mul_f32_e32 v22, v27, v25
	v_mul_f32_e32 v25, v26, v25
	v_fma_f32 v22, v26, v24, -v22
	v_fmac_f32_e32 v25, v27, v24
	v_add_f32_e32 v21, v21, v22
	v_add_f32_e32 v23, v23, v25
.LBB155_545:
	s_or_b64 exec, exec, s[20:21]
	v_xor_b32_e32 v22, 0x80000000, v21
	v_xor_b32_e32 v21, 0x80000000, v23
.LBB155_546:
	s_or_b64 exec, exec, s[6:7]
	s_and_saveexec_b64 s[6:7], s[46:47]
	s_cbranch_execz .LBB155_548
; %bb.547:
	v_mov_b32_e32 v23, 0
	ds_read_b64 v[23:24], v23 offset:15600
	s_waitcnt lgkmcnt(0)
	v_mul_f32_e32 v26, v21, v24
	v_mul_f32_e32 v25, v22, v24
	v_fma_f32 v24, v22, v23, -v26
	v_fmac_f32_e32 v25, v21, v23
	v_mov_b32_e32 v22, v24
	v_mov_b32_e32 v21, v25
	ds_write_b64 v4, v[24:25]
.LBB155_548:
	s_or_b64 exec, exec, s[6:7]
	s_waitcnt lgkmcnt(0)
	s_barrier
	s_and_saveexec_b64 s[6:7], s[44:45]
	s_cbranch_execz .LBB155_550
; %bb.549:
	v_mov_b32_e32 v23, 0
	ds_read_b64 v[23:24], v23 offset:15608
	ds_read_b64 v[25:26], v4
	s_waitcnt lgkmcnt(0)
	v_mul_f32_e32 v27, v26, v24
	v_mul_f32_e32 v24, v25, v24
	v_fma_f32 v25, v25, v23, -v27
	v_fmac_f32_e32 v24, v26, v23
	v_add_f32_e32 v22, v22, v25
	v_add_f32_e32 v21, v21, v24
.LBB155_550:
	s_or_b64 exec, exec, s[6:7]
	s_barrier
	s_and_saveexec_b64 s[6:7], s[44:45]
	s_cbranch_execz .LBB155_552
; %bb.551:
	v_mov_b32_e32 v23, 0
	ds_read_b64 v[23:24], v23 offset:16120
	s_waitcnt lgkmcnt(0)
	v_mul_f32_e32 v26, v21, v24
	v_mul_f32_e32 v25, v22, v24
	v_fma_f32 v24, v22, v23, -v26
	v_fmac_f32_e32 v25, v21, v23
	v_mov_b32_e32 v22, v24
	v_mov_b32_e32 v21, v25
	ds_write_b64 v4, v[24:25]
.LBB155_552:
	s_or_b64 exec, exec, s[6:7]
	s_waitcnt lgkmcnt(0)
	s_barrier
	s_barrier
	s_and_saveexec_b64 s[6:7], s[22:23]
; %bb.553:
	v_xor_b32_e32 v23, 0x80000000, v21
	v_xor_b32_e32 v22, 0x80000000, v22
	ds_write_b64 v3, v[22:23] offset:14576
; %bb.554:
	s_or_b64 exec, exec, s[6:7]
	s_waitcnt lgkmcnt(0)
	s_barrier
	s_barrier
	s_and_saveexec_b64 s[6:7], s[48:49]
	s_cbranch_execz .LBB155_556
; %bb.555:
	v_lshlrev_b32_e32 v23, 3, v0
	s_movk_i32 s18, 0x1f8
	v_mad_u32_u24 v24, v0, s18, v23
	ds_read_b64 v[21:22], v24 offset:14576
	s_waitcnt lgkmcnt(0)
	ds_write_b64 v23, v[21:22] offset:15584
	ds_read_b64 v[21:22], v24 offset:14584
	s_waitcnt lgkmcnt(0)
	ds_write_b64 v23, v[21:22] offset:16096
.LBB155_556:
	s_or_b64 exec, exec, s[6:7]
	s_waitcnt lgkmcnt(0)
	s_barrier
	s_and_saveexec_b64 s[6:7], vcc
	s_cbranch_execz .LBB155_558
; %bb.557:
	v_mov_b32_e32 v25, 0
	ds_read_b128 v[21:24], v25 offset:15600
	ds_read_b64 v[25:26], v25 offset:16120
	s_movk_i32 s18, 0x3800
	s_waitcnt lgkmcnt(0)
	v_mul_f32_e32 v27, v26, v22
	v_mul_f32_e32 v28, v25, v22
	v_fma_f32 v25, v25, v21, -v27
	v_fmac_f32_e32 v28, v26, v21
	v_mul_f32_e32 v21, v28, v24
	v_mul_f32_e32 v22, v25, v24
	v_fma_f32 v21, v25, v23, -v21
	v_fmac_f32_e32 v22, v28, v23
	v_add_u32_e64 v23, s18, 0
	ds_write2_b64 v23, v[21:22], v[21:22] offset0:159 offset1:222
.LBB155_558:
	s_or_b64 exec, exec, s[6:7]
	s_movk_i32 s6, 0x3ff
	v_lshrrev_b32_e32 v23, 5, v1
	v_cmp_lt_u32_e64 s[20:21], s6, v1
	s_movk_i32 s6, 0x400
	v_and_b32_e32 v21, 31, v0
	v_cmp_gt_u32_e64 s[18:19], s6, v1
	v_lshlrev_b32_e32 v22, 9, v23
	v_mov_b32_e32 v24, 0
	v_mov_b32_e32 v26, 0
	s_waitcnt lgkmcnt(0)
	s_barrier
	s_and_saveexec_b64 s[6:7], s[18:19]
	s_cbranch_execz .LBB155_620
; %bb.559:
	v_lshlrev_b32_e32 v26, 3, v21
	v_add_u32_e32 v28, v26, v22
	v_mul_u32_u24_e32 v27, 0x208, v23
	ds_read_b64 v[24:25], v28 offset:256
	ds_read_b64 v[29:30], v27
	s_movk_i32 s24, 0x3e0
	v_cmp_gt_u32_e64 s[24:25], s24, v1
	s_waitcnt lgkmcnt(0)
	v_mul_f32_e32 v31, v30, v25
	v_mul_f32_e32 v25, v29, v25
	v_fma_f32 v29, v29, v24, -v31
	v_fmac_f32_e32 v25, v30, v24
	v_add_f32_e32 v24, 0, v29
	v_add_f32_e32 v25, 0, v25
	s_and_saveexec_b64 s[40:41], s[24:25]
	s_cbranch_execz .LBB155_561
; %bb.560:
	ds_read_b64 v[29:30], v28 offset:768
	ds_read_b64 v[31:32], v27 offset:8
	s_waitcnt lgkmcnt(0)
	v_mul_f32_e32 v33, v32, v30
	v_mul_f32_e32 v30, v31, v30
	v_fma_f32 v31, v31, v29, -v33
	v_fmac_f32_e32 v30, v32, v29
	v_add_f32_e32 v24, v24, v31
	v_add_f32_e32 v25, v25, v30
.LBB155_561:
	s_or_b64 exec, exec, s[40:41]
	s_movk_i32 s24, 0x3c0
	v_cmp_gt_u32_e64 s[24:25], s24, v1
	s_and_saveexec_b64 s[40:41], s[24:25]
	s_cbranch_execz .LBB155_563
; %bb.562:
	ds_read_b64 v[29:30], v28 offset:1280
	ds_read_b64 v[31:32], v27 offset:16
	s_waitcnt lgkmcnt(0)
	v_mul_f32_e32 v33, v32, v30
	v_mul_f32_e32 v30, v31, v30
	v_fma_f32 v31, v31, v29, -v33
	v_fmac_f32_e32 v30, v32, v29
	v_add_f32_e32 v24, v24, v31
	v_add_f32_e32 v25, v25, v30
.LBB155_563:
	s_or_b64 exec, exec, s[40:41]
	s_movk_i32 s24, 0x3a0
	v_cmp_gt_u32_e64 s[24:25], s24, v1
	s_and_saveexec_b64 s[40:41], s[24:25]
	s_cbranch_execz .LBB155_565
; %bb.564:
	ds_read_b64 v[29:30], v28 offset:1792
	ds_read_b64 v[31:32], v27 offset:24
	s_waitcnt lgkmcnt(0)
	v_mul_f32_e32 v33, v32, v30
	v_mul_f32_e32 v30, v31, v30
	v_fma_f32 v31, v31, v29, -v33
	v_fmac_f32_e32 v30, v32, v29
	v_add_f32_e32 v24, v24, v31
	v_add_f32_e32 v25, v25, v30
.LBB155_565:
	s_or_b64 exec, exec, s[40:41]
	s_movk_i32 s24, 0x380
	v_cmp_gt_u32_e64 s[24:25], s24, v1
	s_and_saveexec_b64 s[40:41], s[24:25]
	s_cbranch_execz .LBB155_567
; %bb.566:
	ds_read_b64 v[29:30], v28 offset:2304
	ds_read_b64 v[31:32], v27 offset:32
	s_waitcnt lgkmcnt(0)
	v_mul_f32_e32 v33, v32, v30
	v_mul_f32_e32 v30, v31, v30
	v_fma_f32 v31, v31, v29, -v33
	v_fmac_f32_e32 v30, v32, v29
	v_add_f32_e32 v24, v24, v31
	v_add_f32_e32 v25, v25, v30
.LBB155_567:
	s_or_b64 exec, exec, s[40:41]
	s_movk_i32 s24, 0x360
	v_cmp_gt_u32_e64 s[24:25], s24, v1
	s_and_saveexec_b64 s[40:41], s[24:25]
	s_cbranch_execz .LBB155_569
; %bb.568:
	ds_read_b64 v[29:30], v28 offset:2816
	ds_read_b64 v[31:32], v27 offset:40
	s_waitcnt lgkmcnt(0)
	v_mul_f32_e32 v33, v32, v30
	v_mul_f32_e32 v30, v31, v30
	v_fma_f32 v31, v31, v29, -v33
	v_fmac_f32_e32 v30, v32, v29
	v_add_f32_e32 v24, v24, v31
	v_add_f32_e32 v25, v25, v30
.LBB155_569:
	s_or_b64 exec, exec, s[40:41]
	s_movk_i32 s24, 0x340
	v_cmp_gt_u32_e64 s[24:25], s24, v1
	s_and_saveexec_b64 s[40:41], s[24:25]
	s_cbranch_execz .LBB155_571
; %bb.570:
	ds_read_b64 v[29:30], v28 offset:3328
	ds_read_b64 v[31:32], v27 offset:48
	s_waitcnt lgkmcnt(0)
	v_mul_f32_e32 v33, v32, v30
	v_mul_f32_e32 v30, v31, v30
	v_fma_f32 v31, v31, v29, -v33
	v_fmac_f32_e32 v30, v32, v29
	v_add_f32_e32 v24, v24, v31
	v_add_f32_e32 v25, v25, v30
.LBB155_571:
	s_or_b64 exec, exec, s[40:41]
	s_movk_i32 s24, 0x320
	v_cmp_gt_u32_e64 s[24:25], s24, v1
	s_and_saveexec_b64 s[40:41], s[24:25]
	s_cbranch_execz .LBB155_573
; %bb.572:
	ds_read_b64 v[29:30], v28 offset:3840
	ds_read_b64 v[31:32], v27 offset:56
	s_waitcnt lgkmcnt(0)
	v_mul_f32_e32 v33, v32, v30
	v_mul_f32_e32 v30, v31, v30
	v_fma_f32 v31, v31, v29, -v33
	v_fmac_f32_e32 v30, v32, v29
	v_add_f32_e32 v24, v24, v31
	v_add_f32_e32 v25, v25, v30
.LBB155_573:
	s_or_b64 exec, exec, s[40:41]
	s_movk_i32 s24, 0x300
	v_cmp_gt_u32_e64 s[24:25], s24, v1
	s_and_saveexec_b64 s[40:41], s[24:25]
	s_cbranch_execz .LBB155_575
; %bb.574:
	ds_read_b64 v[29:30], v28 offset:4352
	ds_read_b64 v[31:32], v27 offset:64
	s_waitcnt lgkmcnt(0)
	v_mul_f32_e32 v33, v32, v30
	v_mul_f32_e32 v30, v31, v30
	v_fma_f32 v31, v31, v29, -v33
	v_fmac_f32_e32 v30, v32, v29
	v_add_f32_e32 v24, v24, v31
	v_add_f32_e32 v25, v25, v30
.LBB155_575:
	s_or_b64 exec, exec, s[40:41]
	s_movk_i32 s24, 0x2e0
	v_cmp_gt_u32_e64 s[24:25], s24, v1
	s_and_saveexec_b64 s[40:41], s[24:25]
	s_cbranch_execz .LBB155_577
; %bb.576:
	ds_read_b64 v[29:30], v28 offset:4864
	ds_read_b64 v[31:32], v27 offset:72
	s_waitcnt lgkmcnt(0)
	v_mul_f32_e32 v33, v32, v30
	v_mul_f32_e32 v30, v31, v30
	v_fma_f32 v31, v31, v29, -v33
	v_fmac_f32_e32 v30, v32, v29
	v_add_f32_e32 v24, v24, v31
	v_add_f32_e32 v25, v25, v30
.LBB155_577:
	s_or_b64 exec, exec, s[40:41]
	s_movk_i32 s24, 0x2c0
	v_cmp_gt_u32_e64 s[24:25], s24, v1
	s_and_saveexec_b64 s[40:41], s[24:25]
	s_cbranch_execz .LBB155_579
; %bb.578:
	ds_read_b64 v[29:30], v28 offset:5376
	ds_read_b64 v[31:32], v27 offset:80
	s_waitcnt lgkmcnt(0)
	v_mul_f32_e32 v33, v32, v30
	v_mul_f32_e32 v30, v31, v30
	v_fma_f32 v31, v31, v29, -v33
	v_fmac_f32_e32 v30, v32, v29
	v_add_f32_e32 v24, v24, v31
	v_add_f32_e32 v25, v25, v30
.LBB155_579:
	s_or_b64 exec, exec, s[40:41]
	s_movk_i32 s24, 0x2a0
	v_cmp_gt_u32_e64 s[24:25], s24, v1
	s_and_saveexec_b64 s[40:41], s[24:25]
	s_cbranch_execz .LBB155_581
; %bb.580:
	ds_read_b64 v[29:30], v28 offset:5888
	ds_read_b64 v[31:32], v27 offset:88
	s_waitcnt lgkmcnt(0)
	v_mul_f32_e32 v33, v32, v30
	v_mul_f32_e32 v30, v31, v30
	v_fma_f32 v31, v31, v29, -v33
	v_fmac_f32_e32 v30, v32, v29
	v_add_f32_e32 v24, v24, v31
	v_add_f32_e32 v25, v25, v30
.LBB155_581:
	s_or_b64 exec, exec, s[40:41]
	s_movk_i32 s24, 0x280
	v_cmp_gt_u32_e64 s[24:25], s24, v1
	s_and_saveexec_b64 s[40:41], s[24:25]
	s_cbranch_execz .LBB155_583
; %bb.582:
	ds_read_b64 v[29:30], v28 offset:6400
	ds_read_b64 v[31:32], v27 offset:96
	s_waitcnt lgkmcnt(0)
	v_mul_f32_e32 v33, v32, v30
	v_mul_f32_e32 v30, v31, v30
	v_fma_f32 v31, v31, v29, -v33
	v_fmac_f32_e32 v30, v32, v29
	v_add_f32_e32 v24, v24, v31
	v_add_f32_e32 v25, v25, v30
.LBB155_583:
	s_or_b64 exec, exec, s[40:41]
	s_movk_i32 s24, 0x260
	v_cmp_gt_u32_e64 s[24:25], s24, v1
	s_and_saveexec_b64 s[40:41], s[24:25]
	s_cbranch_execz .LBB155_585
; %bb.584:
	ds_read_b64 v[29:30], v28 offset:6912
	ds_read_b64 v[31:32], v27 offset:104
	s_waitcnt lgkmcnt(0)
	v_mul_f32_e32 v33, v32, v30
	v_mul_f32_e32 v30, v31, v30
	v_fma_f32 v31, v31, v29, -v33
	v_fmac_f32_e32 v30, v32, v29
	v_add_f32_e32 v24, v24, v31
	v_add_f32_e32 v25, v25, v30
.LBB155_585:
	s_or_b64 exec, exec, s[40:41]
	s_movk_i32 s24, 0x240
	v_cmp_gt_u32_e64 s[24:25], s24, v1
	s_and_saveexec_b64 s[40:41], s[24:25]
	s_cbranch_execz .LBB155_587
; %bb.586:
	ds_read_b64 v[29:30], v28 offset:7424
	ds_read_b64 v[31:32], v27 offset:112
	s_waitcnt lgkmcnt(0)
	v_mul_f32_e32 v33, v32, v30
	v_mul_f32_e32 v30, v31, v30
	v_fma_f32 v31, v31, v29, -v33
	v_fmac_f32_e32 v30, v32, v29
	v_add_f32_e32 v24, v24, v31
	v_add_f32_e32 v25, v25, v30
.LBB155_587:
	s_or_b64 exec, exec, s[40:41]
	s_movk_i32 s24, 0x220
	v_cmp_gt_u32_e64 s[24:25], s24, v1
	s_and_saveexec_b64 s[40:41], s[24:25]
	s_cbranch_execz .LBB155_589
; %bb.588:
	ds_read_b64 v[29:30], v28 offset:7936
	ds_read_b64 v[31:32], v27 offset:120
	s_waitcnt lgkmcnt(0)
	v_mul_f32_e32 v33, v32, v30
	v_mul_f32_e32 v30, v31, v30
	v_fma_f32 v31, v31, v29, -v33
	v_fmac_f32_e32 v30, v32, v29
	v_add_f32_e32 v24, v24, v31
	v_add_f32_e32 v25, v25, v30
.LBB155_589:
	s_or_b64 exec, exec, s[40:41]
	s_movk_i32 s24, 0x200
	v_cmp_gt_u32_e64 s[24:25], s24, v1
	s_and_saveexec_b64 s[40:41], s[24:25]
	s_cbranch_execz .LBB155_591
; %bb.590:
	ds_read_b64 v[29:30], v28 offset:8448
	ds_read_b64 v[31:32], v27 offset:128
	s_waitcnt lgkmcnt(0)
	v_mul_f32_e32 v33, v32, v30
	v_mul_f32_e32 v30, v31, v30
	v_fma_f32 v31, v31, v29, -v33
	v_fmac_f32_e32 v30, v32, v29
	v_add_f32_e32 v24, v24, v31
	v_add_f32_e32 v25, v25, v30
.LBB155_591:
	s_or_b64 exec, exec, s[40:41]
	s_movk_i32 s24, 0x1e0
	v_cmp_gt_u32_e64 s[24:25], s24, v1
	s_and_saveexec_b64 s[40:41], s[24:25]
	s_cbranch_execz .LBB155_593
; %bb.592:
	ds_read_b64 v[29:30], v28 offset:8960
	ds_read_b64 v[31:32], v27 offset:136
	s_waitcnt lgkmcnt(0)
	v_mul_f32_e32 v33, v32, v30
	v_mul_f32_e32 v30, v31, v30
	v_fma_f32 v31, v31, v29, -v33
	v_fmac_f32_e32 v30, v32, v29
	v_add_f32_e32 v24, v24, v31
	v_add_f32_e32 v25, v25, v30
.LBB155_593:
	s_or_b64 exec, exec, s[40:41]
	s_movk_i32 s24, 0x1c0
	v_cmp_gt_u32_e64 s[24:25], s24, v1
	s_and_saveexec_b64 s[40:41], s[24:25]
	s_cbranch_execz .LBB155_595
; %bb.594:
	ds_read_b64 v[29:30], v28 offset:9472
	ds_read_b64 v[31:32], v27 offset:144
	s_waitcnt lgkmcnt(0)
	v_mul_f32_e32 v33, v32, v30
	v_mul_f32_e32 v30, v31, v30
	v_fma_f32 v31, v31, v29, -v33
	v_fmac_f32_e32 v30, v32, v29
	v_add_f32_e32 v24, v24, v31
	v_add_f32_e32 v25, v25, v30
.LBB155_595:
	s_or_b64 exec, exec, s[40:41]
	s_movk_i32 s24, 0x1a0
	v_cmp_gt_u32_e64 s[24:25], s24, v1
	s_and_saveexec_b64 s[40:41], s[24:25]
	s_cbranch_execz .LBB155_597
; %bb.596:
	ds_read_b64 v[29:30], v28 offset:9984
	ds_read_b64 v[31:32], v27 offset:152
	s_waitcnt lgkmcnt(0)
	v_mul_f32_e32 v33, v32, v30
	v_mul_f32_e32 v30, v31, v30
	v_fma_f32 v31, v31, v29, -v33
	v_fmac_f32_e32 v30, v32, v29
	v_add_f32_e32 v24, v24, v31
	v_add_f32_e32 v25, v25, v30
.LBB155_597:
	s_or_b64 exec, exec, s[40:41]
	s_movk_i32 s24, 0x180
	v_cmp_gt_u32_e64 s[24:25], s24, v1
	s_and_saveexec_b64 s[40:41], s[24:25]
	s_cbranch_execz .LBB155_599
; %bb.598:
	ds_read_b64 v[29:30], v28 offset:10496
	ds_read_b64 v[31:32], v27 offset:160
	s_waitcnt lgkmcnt(0)
	v_mul_f32_e32 v33, v32, v30
	v_mul_f32_e32 v30, v31, v30
	v_fma_f32 v31, v31, v29, -v33
	v_fmac_f32_e32 v30, v32, v29
	v_add_f32_e32 v24, v24, v31
	v_add_f32_e32 v25, v25, v30
.LBB155_599:
	s_or_b64 exec, exec, s[40:41]
	s_movk_i32 s24, 0x160
	v_cmp_gt_u32_e64 s[24:25], s24, v1
	s_and_saveexec_b64 s[40:41], s[24:25]
	s_cbranch_execz .LBB155_601
; %bb.600:
	ds_read_b64 v[29:30], v28 offset:11008
	ds_read_b64 v[31:32], v27 offset:168
	s_waitcnt lgkmcnt(0)
	v_mul_f32_e32 v33, v32, v30
	v_mul_f32_e32 v30, v31, v30
	v_fma_f32 v31, v31, v29, -v33
	v_fmac_f32_e32 v30, v32, v29
	v_add_f32_e32 v24, v24, v31
	v_add_f32_e32 v25, v25, v30
.LBB155_601:
	s_or_b64 exec, exec, s[40:41]
	s_movk_i32 s24, 0x140
	v_cmp_gt_u32_e64 s[24:25], s24, v1
	s_and_saveexec_b64 s[40:41], s[24:25]
	s_cbranch_execz .LBB155_603
; %bb.602:
	ds_read_b64 v[29:30], v28 offset:11520
	ds_read_b64 v[31:32], v27 offset:176
	s_waitcnt lgkmcnt(0)
	v_mul_f32_e32 v33, v32, v30
	v_mul_f32_e32 v30, v31, v30
	v_fma_f32 v31, v31, v29, -v33
	v_fmac_f32_e32 v30, v32, v29
	v_add_f32_e32 v24, v24, v31
	v_add_f32_e32 v25, v25, v30
.LBB155_603:
	s_or_b64 exec, exec, s[40:41]
	s_movk_i32 s24, 0x120
	v_cmp_gt_u32_e64 s[24:25], s24, v1
	s_and_saveexec_b64 s[40:41], s[24:25]
	s_cbranch_execz .LBB155_605
; %bb.604:
	ds_read_b64 v[29:30], v28 offset:12032
	ds_read_b64 v[31:32], v27 offset:184
	s_waitcnt lgkmcnt(0)
	v_mul_f32_e32 v33, v32, v30
	v_mul_f32_e32 v30, v31, v30
	v_fma_f32 v31, v31, v29, -v33
	v_fmac_f32_e32 v30, v32, v29
	v_add_f32_e32 v24, v24, v31
	v_add_f32_e32 v25, v25, v30
.LBB155_605:
	s_or_b64 exec, exec, s[40:41]
	s_movk_i32 s24, 0x100
	v_cmp_gt_u32_e64 s[24:25], s24, v1
	s_and_saveexec_b64 s[40:41], s[24:25]
	s_cbranch_execz .LBB155_607
; %bb.606:
	ds_read_b64 v[29:30], v28 offset:12544
	ds_read_b64 v[31:32], v27 offset:192
	s_waitcnt lgkmcnt(0)
	v_mul_f32_e32 v33, v32, v30
	v_mul_f32_e32 v30, v31, v30
	v_fma_f32 v31, v31, v29, -v33
	v_fmac_f32_e32 v30, v32, v29
	v_add_f32_e32 v24, v24, v31
	v_add_f32_e32 v25, v25, v30
.LBB155_607:
	s_or_b64 exec, exec, s[40:41]
	s_movk_i32 s24, 0xe0
	v_cmp_gt_u32_e64 s[24:25], s24, v1
	s_and_saveexec_b64 s[40:41], s[24:25]
	s_cbranch_execz .LBB155_609
; %bb.608:
	ds_read_b64 v[29:30], v28 offset:13056
	ds_read_b64 v[31:32], v27 offset:200
	s_waitcnt lgkmcnt(0)
	v_mul_f32_e32 v33, v32, v30
	v_mul_f32_e32 v30, v31, v30
	v_fma_f32 v31, v31, v29, -v33
	v_fmac_f32_e32 v30, v32, v29
	v_add_f32_e32 v24, v24, v31
	v_add_f32_e32 v25, v25, v30
.LBB155_609:
	s_or_b64 exec, exec, s[40:41]
	s_movk_i32 s24, 0xc0
	v_cmp_gt_u32_e64 s[24:25], s24, v1
	s_and_saveexec_b64 s[40:41], s[24:25]
	s_cbranch_execz .LBB155_611
; %bb.610:
	ds_read_b64 v[29:30], v28 offset:13568
	ds_read_b64 v[31:32], v27 offset:208
	s_waitcnt lgkmcnt(0)
	v_mul_f32_e32 v33, v32, v30
	v_mul_f32_e32 v30, v31, v30
	v_fma_f32 v31, v31, v29, -v33
	v_fmac_f32_e32 v30, v32, v29
	v_add_f32_e32 v24, v24, v31
	v_add_f32_e32 v25, v25, v30
.LBB155_611:
	s_or_b64 exec, exec, s[40:41]
	s_movk_i32 s24, 0xa0
	v_cmp_gt_u32_e64 s[24:25], s24, v1
	s_and_saveexec_b64 s[40:41], s[24:25]
	s_cbranch_execz .LBB155_613
; %bb.612:
	ds_read_b64 v[29:30], v28 offset:14080
	ds_read_b64 v[31:32], v27 offset:216
	s_waitcnt lgkmcnt(0)
	v_mul_f32_e32 v33, v32, v30
	v_mul_f32_e32 v30, v31, v30
	v_fma_f32 v31, v31, v29, -v33
	v_fmac_f32_e32 v30, v32, v29
	v_add_f32_e32 v24, v24, v31
	v_add_f32_e32 v25, v25, v30
.LBB155_613:
	s_or_b64 exec, exec, s[40:41]
	s_movk_i32 s24, 0x80
	v_cmp_gt_u32_e64 s[24:25], s24, v1
	s_and_saveexec_b64 s[40:41], s[24:25]
	s_cbranch_execz .LBB155_615
; %bb.614:
	ds_read_b64 v[29:30], v28 offset:14592
	ds_read_b64 v[31:32], v27 offset:224
	s_waitcnt lgkmcnt(0)
	v_mul_f32_e32 v33, v32, v30
	v_mul_f32_e32 v30, v31, v30
	v_fma_f32 v31, v31, v29, -v33
	v_fmac_f32_e32 v30, v32, v29
	v_add_f32_e32 v24, v24, v31
	v_add_f32_e32 v25, v25, v30
.LBB155_615:
	s_or_b64 exec, exec, s[40:41]
	s_movk_i32 s24, 0x60
	v_cmp_gt_u32_e64 s[24:25], s24, v1
	s_and_saveexec_b64 s[40:41], s[24:25]
	s_cbranch_execnz .LBB155_1140
; %bb.616:
	s_or_b64 exec, exec, s[40:41]
	v_cmp_gt_u32_e64 s[24:25], 64, v1
	s_and_saveexec_b64 s[40:41], s[24:25]
	s_cbranch_execnz .LBB155_1141
.LBB155_617:
	s_or_b64 exec, exec, s[40:41]
	v_cmp_gt_u32_e64 s[24:25], 32, v1
	s_and_saveexec_b64 s[40:41], s[24:25]
	s_cbranch_execz .LBB155_619
.LBB155_618:
	ds_read_b64 v[28:29], v26 offset:16128
	ds_read_b64 v[26:27], v27 offset:248
	s_waitcnt lgkmcnt(0)
	v_mul_f32_e32 v30, v27, v29
	v_mul_f32_e32 v29, v26, v29
	v_fma_f32 v26, v26, v28, -v30
	v_fmac_f32_e32 v29, v27, v28
	v_add_f32_e32 v24, v24, v26
	v_add_f32_e32 v25, v25, v29
.LBB155_619:
	s_or_b64 exec, exec, s[40:41]
	v_xor_b32_e32 v26, 0x80000000, v24
	v_xor_b32_e32 v24, 0x80000000, v25
.LBB155_620:
	s_or_b64 exec, exec, s[6:7]
	v_mov_b32_e32 v25, 0x8000
	v_lshl_or_b32 v23, v23, 3, v25
	v_mul_u32_u24_e32 v25, 0x208, v21
	v_lshlrev_b32_e32 v27, 9, v21
	v_sub_u32_e32 v27, v25, v27
	v_add_u32_e32 v27, 0x4100, v27
	s_mov_b32 s24, 0
	s_xor_b64 s[6:7], s[20:21], -1
	v_mov_b32_e32 v28, v21
	s_branch .LBB155_622
.LBB155_621:                            ;   in Loop: Header=BB155_622 Depth=1
	s_or_b64 exec, exec, s[20:21]
	s_add_i32 s24, s24, 2
	v_add_u32_e32 v27, 0x400, v27
	s_cmp_eq_u32 s24, 32
	v_add_u32_e32 v28, -2, v28
	s_barrier
	s_cbranch_scc1 .LBB155_630
.LBB155_622:                            ; =>This Inner Loop Header: Depth=1
	v_cmp_eq_u32_e64 s[20:21], 0, v28
	s_and_b64 s[40:41], s[6:7], s[20:21]
	s_and_saveexec_b64 s[20:21], s[40:41]
	s_cbranch_execz .LBB155_624
; %bb.623:                              ;   in Loop: Header=BB155_622 Depth=1
	ds_read_b64 v[29:30], v25 offset:16640
	s_waitcnt lgkmcnt(0)
	v_mul_f32_e32 v32, v24, v30
	v_mul_f32_e32 v31, v26, v30
	v_fma_f32 v30, v26, v29, -v32
	v_fmac_f32_e32 v31, v24, v29
	v_mov_b32_e32 v26, v30
	v_mov_b32_e32 v24, v31
	ds_write_b64 v23, v[30:31]
.LBB155_624:                            ;   in Loop: Header=BB155_622 Depth=1
	s_or_b64 exec, exec, s[20:21]
	v_cmp_lt_u32_e64 s[20:21], s24, v21
	s_and_b64 s[40:41], s[6:7], s[20:21]
	s_waitcnt lgkmcnt(0)
	s_barrier
	s_and_saveexec_b64 s[20:21], s[40:41]
	s_cbranch_execz .LBB155_626
; %bb.625:                              ;   in Loop: Header=BB155_622 Depth=1
	ds_read_b64 v[29:30], v27
	ds_read_b64 v[31:32], v23
	s_waitcnt lgkmcnt(0)
	v_mul_f32_e32 v33, v32, v30
	v_mul_f32_e32 v30, v31, v30
	v_fma_f32 v31, v31, v29, -v33
	v_fmac_f32_e32 v30, v32, v29
	v_add_f32_e32 v26, v26, v31
	v_add_f32_e32 v24, v24, v30
.LBB155_626:                            ;   in Loop: Header=BB155_622 Depth=1
	s_or_b64 exec, exec, s[20:21]
	s_or_b32 s25, s24, 1
	v_cmp_eq_u32_e64 s[20:21], s25, v21
	s_and_b64 s[40:41], s[6:7], s[20:21]
	s_barrier
	s_and_saveexec_b64 s[20:21], s[40:41]
	s_cbranch_execz .LBB155_628
; %bb.627:                              ;   in Loop: Header=BB155_622 Depth=1
	ds_read_b64 v[29:30], v25 offset:16640
	s_waitcnt lgkmcnt(0)
	v_mul_f32_e32 v32, v24, v30
	v_mul_f32_e32 v31, v26, v30
	v_fma_f32 v30, v26, v29, -v32
	v_fmac_f32_e32 v31, v24, v29
	v_mov_b32_e32 v26, v30
	v_mov_b32_e32 v24, v31
	ds_write_b64 v23, v[30:31]
.LBB155_628:                            ;   in Loop: Header=BB155_622 Depth=1
	s_or_b64 exec, exec, s[20:21]
	v_cmp_lt_u32_e64 s[20:21], s25, v21
	s_and_b64 s[40:41], s[6:7], s[20:21]
	s_waitcnt lgkmcnt(0)
	s_barrier
	s_and_saveexec_b64 s[20:21], s[40:41]
	s_cbranch_execz .LBB155_621
; %bb.629:                              ;   in Loop: Header=BB155_622 Depth=1
	ds_read_b64 v[29:30], v27 offset:512
	ds_read_b64 v[31:32], v23
	s_waitcnt lgkmcnt(0)
	v_mul_f32_e32 v33, v32, v30
	v_mul_f32_e32 v30, v31, v30
	v_fma_f32 v31, v31, v29, -v33
	v_fmac_f32_e32 v30, v32, v29
	v_add_f32_e32 v26, v26, v31
	v_add_f32_e32 v24, v24, v30
	s_branch .LBB155_621
.LBB155_630:
	s_and_saveexec_b64 s[6:7], s[18:19]
; %bb.631:
	v_lshl_add_u32 v23, v21, 3, v22
	v_xor_b32_e32 v22, 0x80000000, v24
	v_xor_b32_e32 v21, 0x80000000, v26
	ds_write_b64 v23, v[21:22] offset:256
; %bb.632:
	s_or_b64 exec, exec, s[6:7]
	v_cmp_gt_u32_e64 s[18:19], 32, v0
	s_and_b64 s[16:17], s[16:17], s[18:19]
	s_waitcnt lgkmcnt(0)
	s_barrier
	s_barrier
	s_and_saveexec_b64 s[6:7], s[16:17]
	s_cbranch_execz .LBB155_634
; %bb.633:
	v_lshlrev_b32_e32 v23, 9, v0
	ds_read_b64 v[21:22], v23 offset:256
	s_movk_i32 s16, 0xfe08
	v_mad_i32_i24 v24, v0, s16, v23
	s_waitcnt lgkmcnt(0)
	ds_write_b64 v24, v[21:22] offset:16384
	ds_read_b64 v[21:22], v23 offset:264
	s_waitcnt lgkmcnt(0)
	ds_write_b64 v24, v[21:22] offset:16896
	ds_read_b64 v[21:22], v23 offset:272
	;; [unrolled: 3-line block ×31, first 2 shown]
	s_waitcnt lgkmcnt(0)
	ds_write_b64 v24, v[21:22] offset:32256
.LBB155_634:
	s_or_b64 exec, exec, s[6:7]
	s_waitcnt lgkmcnt(0)
	s_barrier
	s_and_saveexec_b64 s[6:7], vcc
	s_cbranch_execz .LBB155_636
; %bb.635:
	v_mov_b32_e32 v25, 0
	ds_read_b128 v[21:24], v25 offset:16640
	ds_read_b64 v[25:26], v25 offset:17160
	s_movk_i32 s16, 0x4000
	s_waitcnt lgkmcnt(0)
	v_mul_f32_e32 v27, v26, v22
	v_mul_f32_e32 v28, v25, v22
	v_fma_f32 v25, v25, v21, -v27
	v_fmac_f32_e32 v28, v26, v21
	v_mul_f32_e32 v21, v28, v24
	v_mul_f32_e32 v22, v25, v24
	v_fma_f32 v21, v25, v23, -v21
	v_fmac_f32_e32 v22, v28, v23
	v_add_u32_e64 v23, s16, 0
	ds_write2_b64 v23, v[21:22], v[21:22] offset0:33 offset1:96
.LBB155_636:
	s_or_b64 exec, exec, s[6:7]
	v_mov_b32_e32 v21, 0
	v_mov_b32_e32 v22, 0
	s_waitcnt lgkmcnt(0)
	s_barrier
	s_and_saveexec_b64 s[6:7], s[22:23]
	s_cbranch_execz .LBB155_640
; %bb.637:
	v_mul_u32_u24_e32 v23, 0x208, v5
	ds_read_b64 v[21:22], v3 offset:16656
	ds_read_b64 v[23:24], v23 offset:16640
	v_cmp_gt_u32_e64 s[16:17], 2, v1
	s_waitcnt lgkmcnt(0)
	v_mul_f32_e32 v25, v24, v22
	v_mul_f32_e32 v22, v23, v22
	v_fma_f32 v23, v23, v21, -v25
	v_fmac_f32_e32 v22, v24, v21
	v_add_f32_e32 v21, 0, v23
	v_add_f32_e32 v23, 0, v22
	s_and_saveexec_b64 s[18:19], s[16:17]
	s_cbranch_execz .LBB155_639
; %bb.638:
	v_lshlrev_b32_e32 v22, 3, v0
	v_mov_b32_e32 v26, 0
	ds_read_b64 v[24:25], v22 offset:17168
	ds_read_b64 v[26:27], v26 offset:16648
	s_waitcnt lgkmcnt(0)
	v_mul_f32_e32 v22, v27, v25
	v_mul_f32_e32 v25, v26, v25
	v_fma_f32 v22, v26, v24, -v22
	v_fmac_f32_e32 v25, v27, v24
	v_add_f32_e32 v21, v21, v22
	v_add_f32_e32 v23, v23, v25
.LBB155_639:
	s_or_b64 exec, exec, s[18:19]
	v_xor_b32_e32 v22, 0x80000000, v21
	v_xor_b32_e32 v21, 0x80000000, v23
.LBB155_640:
	s_or_b64 exec, exec, s[6:7]
	s_and_saveexec_b64 s[6:7], s[46:47]
	s_cbranch_execz .LBB155_642
; %bb.641:
	v_mov_b32_e32 v23, 0
	ds_read_b64 v[23:24], v23 offset:17680
	s_waitcnt lgkmcnt(0)
	v_mul_f32_e32 v26, v21, v24
	v_mul_f32_e32 v25, v22, v24
	v_fma_f32 v24, v22, v23, -v26
	v_fmac_f32_e32 v25, v21, v23
	v_mov_b32_e32 v22, v24
	v_mov_b32_e32 v21, v25
	ds_write_b64 v4, v[24:25]
.LBB155_642:
	s_or_b64 exec, exec, s[6:7]
	s_waitcnt lgkmcnt(0)
	s_barrier
	s_and_saveexec_b64 s[6:7], s[44:45]
	s_cbranch_execz .LBB155_644
; %bb.643:
	v_mov_b32_e32 v23, 0
	ds_read_b64 v[23:24], v23 offset:17688
	ds_read_b64 v[25:26], v4
	s_waitcnt lgkmcnt(0)
	v_mul_f32_e32 v27, v26, v24
	v_mul_f32_e32 v24, v25, v24
	v_fma_f32 v25, v25, v23, -v27
	v_fmac_f32_e32 v24, v26, v23
	v_add_f32_e32 v22, v22, v25
	v_add_f32_e32 v21, v21, v24
.LBB155_644:
	s_or_b64 exec, exec, s[6:7]
	s_barrier
	s_and_saveexec_b64 s[6:7], s[44:45]
	s_cbranch_execz .LBB155_646
; %bb.645:
	v_mov_b32_e32 v23, 0
	ds_read_b64 v[23:24], v23 offset:18200
	s_waitcnt lgkmcnt(0)
	v_mul_f32_e32 v26, v21, v24
	v_mul_f32_e32 v25, v22, v24
	v_fma_f32 v24, v22, v23, -v26
	v_fmac_f32_e32 v25, v21, v23
	v_mov_b32_e32 v22, v24
	v_mov_b32_e32 v21, v25
	ds_write_b64 v4, v[24:25]
.LBB155_646:
	s_or_b64 exec, exec, s[6:7]
	s_waitcnt lgkmcnt(0)
	s_barrier
	s_barrier
	s_and_saveexec_b64 s[6:7], s[22:23]
; %bb.647:
	v_xor_b32_e32 v23, 0x80000000, v21
	v_xor_b32_e32 v22, 0x80000000, v22
	ds_write_b64 v3, v[22:23] offset:16656
; %bb.648:
	s_or_b64 exec, exec, s[6:7]
	s_waitcnt lgkmcnt(0)
	s_barrier
	s_barrier
	s_and_saveexec_b64 s[6:7], s[48:49]
	s_cbranch_execz .LBB155_650
; %bb.649:
	v_lshlrev_b32_e32 v23, 3, v0
	s_movk_i32 s16, 0x1f8
	v_mad_u32_u24 v24, v0, s16, v23
	ds_read_b64 v[21:22], v24 offset:16656
	s_waitcnt lgkmcnt(0)
	ds_write_b64 v23, v[21:22] offset:17664
	ds_read_b64 v[21:22], v24 offset:16664
	s_waitcnt lgkmcnt(0)
	ds_write_b64 v23, v[21:22] offset:18176
.LBB155_650:
	s_or_b64 exec, exec, s[6:7]
	s_waitcnt lgkmcnt(0)
	s_barrier
	s_and_saveexec_b64 s[6:7], vcc
	s_cbranch_execz .LBB155_652
; %bb.651:
	v_mov_b32_e32 v25, 0
	ds_read_b128 v[21:24], v25 offset:17680
	ds_read_b64 v[25:26], v25 offset:18200
	s_movk_i32 s16, 0x4000
	s_waitcnt lgkmcnt(0)
	v_mul_f32_e32 v27, v26, v22
	v_mul_f32_e32 v28, v25, v22
	v_fma_f32 v25, v25, v21, -v27
	v_fmac_f32_e32 v28, v26, v21
	v_mul_f32_e32 v21, v28, v24
	v_mul_f32_e32 v22, v25, v24
	v_fma_f32 v21, v25, v23, -v21
	v_fmac_f32_e32 v22, v28, v23
	v_add_u32_e64 v23, s16, 0
	ds_write2_b64 v23, v[21:22], v[21:22] offset0:163 offset1:226
.LBB155_652:
	s_or_b64 exec, exec, s[6:7]
	v_mov_b32_e32 v21, 0
	v_mov_b32_e32 v22, 0
	s_waitcnt lgkmcnt(0)
	s_barrier
	s_and_saveexec_b64 s[6:7], s[10:11]
	s_cbranch_execz .LBB155_658
; %bb.653:
	v_mul_u32_u24_e32 v22, 0x208, v10
	ds_read_b64 v[23:24], v6 offset:16672
	ds_read_b64 v[25:26], v22 offset:16640
	v_cmp_gt_u32_e64 s[16:17], 12, v1
	s_waitcnt lgkmcnt(0)
	v_mul_f32_e32 v21, v26, v24
	v_mul_f32_e32 v24, v25, v24
	v_fma_f32 v21, v25, v23, -v21
	v_fmac_f32_e32 v24, v26, v23
	v_add_f32_e32 v21, 0, v21
	v_add_f32_e32 v23, 0, v24
	s_and_saveexec_b64 s[18:19], s[16:17]
	s_cbranch_execnz .LBB155_1142
; %bb.654:
	s_or_b64 exec, exec, s[18:19]
	v_cmp_gt_u32_e64 s[16:17], 8, v1
	s_and_saveexec_b64 s[18:19], s[16:17]
	s_cbranch_execnz .LBB155_1143
.LBB155_655:
	s_or_b64 exec, exec, s[18:19]
	v_cmp_gt_u32_e64 s[16:17], 4, v1
	s_and_saveexec_b64 s[18:19], s[16:17]
	s_cbranch_execz .LBB155_657
.LBB155_656:
	v_lshlrev_b32_e32 v22, 3, v0
	v_mov_b32_e32 v26, 0
	ds_read_b64 v[24:25], v22 offset:18208
	ds_read_b64 v[26:27], v26 offset:16664
	s_waitcnt lgkmcnt(0)
	v_mul_f32_e32 v22, v27, v25
	v_mul_f32_e32 v25, v26, v25
	v_fma_f32 v22, v26, v24, -v22
	v_fmac_f32_e32 v25, v27, v24
	v_add_f32_e32 v21, v21, v22
	v_add_f32_e32 v23, v23, v25
.LBB155_657:
	s_or_b64 exec, exec, s[18:19]
	v_xor_b32_e32 v22, 0x80000000, v21
	v_xor_b32_e32 v21, 0x80000000, v23
.LBB155_658:
	s_or_b64 exec, exec, s[6:7]
	s_and_saveexec_b64 s[6:7], s[52:53]
	s_cbranch_execz .LBB155_660
; %bb.659:
	v_mov_b32_e32 v23, 0
	ds_read_b64 v[23:24], v23 offset:18720
	s_waitcnt lgkmcnt(0)
	v_mul_f32_e32 v26, v21, v24
	v_mul_f32_e32 v25, v22, v24
	v_fma_f32 v24, v22, v23, -v26
	v_fmac_f32_e32 v25, v21, v23
	v_mov_b32_e32 v22, v24
	v_mov_b32_e32 v21, v25
	ds_write_b64 v8, v[24:25]
.LBB155_660:
	s_or_b64 exec, exec, s[6:7]
	s_waitcnt lgkmcnt(0)
	s_barrier
	s_and_saveexec_b64 s[6:7], s[54:55]
	s_cbranch_execz .LBB155_662
; %bb.661:
	ds_read_b64 v[23:24], v7 offset:18720
	ds_read_b64 v[25:26], v8
	s_waitcnt lgkmcnt(0)
	v_mul_f32_e32 v27, v26, v24
	v_mul_f32_e32 v24, v25, v24
	v_fma_f32 v25, v25, v23, -v27
	v_fmac_f32_e32 v24, v26, v23
	v_add_f32_e32 v22, v22, v25
	v_add_f32_e32 v21, v21, v24
.LBB155_662:
	s_or_b64 exec, exec, s[6:7]
	s_barrier
	s_and_saveexec_b64 s[6:7], s[56:57]
	s_cbranch_execz .LBB155_664
; %bb.663:
	v_mov_b32_e32 v23, 0
	ds_read_b64 v[23:24], v23 offset:19240
	s_waitcnt lgkmcnt(0)
	v_mul_f32_e32 v26, v21, v24
	v_mul_f32_e32 v25, v22, v24
	v_fma_f32 v24, v22, v23, -v26
	v_fmac_f32_e32 v25, v21, v23
	v_mov_b32_e32 v22, v24
	v_mov_b32_e32 v21, v25
	ds_write_b64 v8, v[24:25]
.LBB155_664:
	s_or_b64 exec, exec, s[6:7]
	s_waitcnt lgkmcnt(0)
	s_barrier
	s_and_saveexec_b64 s[6:7], s[58:59]
	s_cbranch_execz .LBB155_666
; %bb.665:
	ds_read_b64 v[23:24], v7 offset:19232
	ds_read_b64 v[25:26], v8
	s_waitcnt lgkmcnt(0)
	v_mul_f32_e32 v27, v26, v24
	v_mul_f32_e32 v24, v25, v24
	v_fma_f32 v25, v25, v23, -v27
	v_fmac_f32_e32 v24, v26, v23
	v_add_f32_e32 v22, v22, v25
	v_add_f32_e32 v21, v21, v24
.LBB155_666:
	s_or_b64 exec, exec, s[6:7]
	s_barrier
	s_and_saveexec_b64 s[6:7], s[60:61]
	s_cbranch_execz .LBB155_668
; %bb.667:
	v_mov_b32_e32 v23, 0
	ds_read_b64 v[23:24], v23 offset:19760
	s_waitcnt lgkmcnt(0)
	v_mul_f32_e32 v26, v21, v24
	v_mul_f32_e32 v25, v22, v24
	v_fma_f32 v24, v22, v23, -v26
	v_fmac_f32_e32 v25, v21, v23
	v_mov_b32_e32 v22, v24
	v_mov_b32_e32 v21, v25
	ds_write_b64 v8, v[24:25]
.LBB155_668:
	s_or_b64 exec, exec, s[6:7]
	s_waitcnt lgkmcnt(0)
	s_barrier
	s_and_saveexec_b64 s[6:7], s[50:51]
	s_cbranch_execz .LBB155_670
; %bb.669:
	v_mov_b32_e32 v23, 0
	ds_read_b64 v[23:24], v23 offset:19768
	ds_read_b64 v[25:26], v8
	s_waitcnt lgkmcnt(0)
	v_mul_f32_e32 v27, v26, v24
	v_mul_f32_e32 v24, v25, v24
	v_fma_f32 v25, v25, v23, -v27
	v_fmac_f32_e32 v24, v26, v23
	v_add_f32_e32 v22, v22, v25
	v_add_f32_e32 v21, v21, v24
.LBB155_670:
	s_or_b64 exec, exec, s[6:7]
	s_barrier
	s_and_saveexec_b64 s[6:7], s[50:51]
	s_cbranch_execz .LBB155_672
; %bb.671:
	v_mov_b32_e32 v23, 0
	ds_read_b64 v[23:24], v23 offset:20280
	s_waitcnt lgkmcnt(0)
	v_mul_f32_e32 v26, v21, v24
	v_mul_f32_e32 v25, v22, v24
	v_fma_f32 v24, v22, v23, -v26
	v_fmac_f32_e32 v25, v21, v23
	v_mov_b32_e32 v22, v24
	v_mov_b32_e32 v21, v25
	ds_write_b64 v8, v[24:25]
.LBB155_672:
	s_or_b64 exec, exec, s[6:7]
	s_waitcnt lgkmcnt(0)
	s_barrier
	s_barrier
	s_and_saveexec_b64 s[6:7], s[10:11]
; %bb.673:
	v_xor_b32_e32 v22, 0x80000000, v22
	v_xor_b32_e32 v23, 0x80000000, v21
	ds_write_b64 v6, v[22:23] offset:16672
; %bb.674:
	s_or_b64 exec, exec, s[6:7]
	s_waitcnt lgkmcnt(0)
	s_barrier
	s_barrier
	s_and_saveexec_b64 s[6:7], s[62:63]
	s_cbranch_execz .LBB155_676
; %bb.675:
	v_lshlrev_b32_e32 v23, 9, v0
	ds_read_b64 v[21:22], v23 offset:16672
	s_movk_i32 s16, 0xfe08
	v_mad_i32_i24 v24, v0, s16, v23
	s_waitcnt lgkmcnt(0)
	ds_write_b64 v24, v[21:22] offset:18688
	ds_read_b64 v[21:22], v23 offset:16680
	s_waitcnt lgkmcnt(0)
	ds_write_b64 v24, v[21:22] offset:19200
	ds_read_b64 v[21:22], v23 offset:16688
	;; [unrolled: 3-line block ×3, first 2 shown]
	s_waitcnt lgkmcnt(0)
	ds_write_b64 v24, v[21:22] offset:20224
.LBB155_676:
	s_or_b64 exec, exec, s[6:7]
	s_waitcnt lgkmcnt(0)
	s_barrier
	s_and_saveexec_b64 s[6:7], vcc
	s_cbranch_execz .LBB155_678
; %bb.677:
	v_mov_b32_e32 v25, 0
	ds_read_b128 v[21:24], v25 offset:18720
	ds_read_b64 v[25:26], v25 offset:19240
	s_movk_i32 s16, 0x4800
	s_waitcnt lgkmcnt(0)
	v_mul_f32_e32 v27, v26, v22
	v_mul_f32_e32 v28, v25, v22
	v_fma_f32 v25, v25, v21, -v27
	v_fmac_f32_e32 v28, v26, v21
	v_mul_f32_e32 v21, v28, v24
	v_mul_f32_e32 v22, v25, v24
	v_fma_f32 v21, v25, v23, -v21
	v_fmac_f32_e32 v22, v28, v23
	v_add_u32_e64 v23, s16, 0
	ds_write2_b64 v23, v[21:22], v[21:22] offset0:37 offset1:100
.LBB155_678:
	s_or_b64 exec, exec, s[6:7]
	v_mov_b32_e32 v21, 0
	v_mov_b32_e32 v22, 0
	s_waitcnt lgkmcnt(0)
	s_barrier
	s_and_saveexec_b64 s[6:7], s[22:23]
	s_cbranch_execz .LBB155_682
; %bb.679:
	v_mul_u32_u24_e32 v23, 0x208, v5
	ds_read_b64 v[21:22], v3 offset:18736
	ds_read_b64 v[23:24], v23 offset:18720
	v_cmp_gt_u32_e64 s[16:17], 2, v1
	s_waitcnt lgkmcnt(0)
	v_mul_f32_e32 v25, v24, v22
	v_mul_f32_e32 v22, v23, v22
	v_fma_f32 v23, v23, v21, -v25
	v_fmac_f32_e32 v22, v24, v21
	v_add_f32_e32 v21, 0, v23
	v_add_f32_e32 v23, 0, v22
	s_and_saveexec_b64 s[18:19], s[16:17]
	s_cbranch_execz .LBB155_681
; %bb.680:
	v_lshlrev_b32_e32 v22, 3, v0
	v_mov_b32_e32 v26, 0
	ds_read_b64 v[24:25], v22 offset:19248
	ds_read_b64 v[26:27], v26 offset:18728
	s_waitcnt lgkmcnt(0)
	v_mul_f32_e32 v22, v27, v25
	v_mul_f32_e32 v25, v26, v25
	v_fma_f32 v22, v26, v24, -v22
	v_fmac_f32_e32 v25, v27, v24
	v_add_f32_e32 v21, v21, v22
	v_add_f32_e32 v23, v23, v25
.LBB155_681:
	s_or_b64 exec, exec, s[18:19]
	v_xor_b32_e32 v22, 0x80000000, v21
	v_xor_b32_e32 v21, 0x80000000, v23
.LBB155_682:
	s_or_b64 exec, exec, s[6:7]
	s_and_saveexec_b64 s[6:7], s[46:47]
	s_cbranch_execz .LBB155_684
; %bb.683:
	v_mov_b32_e32 v23, 0
	ds_read_b64 v[23:24], v23 offset:19760
	s_waitcnt lgkmcnt(0)
	v_mul_f32_e32 v26, v21, v24
	v_mul_f32_e32 v25, v22, v24
	v_fma_f32 v24, v22, v23, -v26
	v_fmac_f32_e32 v25, v21, v23
	v_mov_b32_e32 v22, v24
	v_mov_b32_e32 v21, v25
	ds_write_b64 v4, v[24:25]
.LBB155_684:
	s_or_b64 exec, exec, s[6:7]
	s_waitcnt lgkmcnt(0)
	s_barrier
	s_and_saveexec_b64 s[6:7], s[44:45]
	s_cbranch_execz .LBB155_686
; %bb.685:
	v_mov_b32_e32 v23, 0
	ds_read_b64 v[23:24], v23 offset:19768
	ds_read_b64 v[25:26], v4
	s_waitcnt lgkmcnt(0)
	v_mul_f32_e32 v27, v26, v24
	v_mul_f32_e32 v24, v25, v24
	v_fma_f32 v25, v25, v23, -v27
	v_fmac_f32_e32 v24, v26, v23
	v_add_f32_e32 v22, v22, v25
	v_add_f32_e32 v21, v21, v24
.LBB155_686:
	s_or_b64 exec, exec, s[6:7]
	s_barrier
	s_and_saveexec_b64 s[6:7], s[44:45]
	s_cbranch_execz .LBB155_688
; %bb.687:
	v_mov_b32_e32 v23, 0
	ds_read_b64 v[23:24], v23 offset:20280
	s_waitcnt lgkmcnt(0)
	v_mul_f32_e32 v26, v21, v24
	v_mul_f32_e32 v25, v22, v24
	v_fma_f32 v24, v22, v23, -v26
	v_fmac_f32_e32 v25, v21, v23
	v_mov_b32_e32 v22, v24
	v_mov_b32_e32 v21, v25
	ds_write_b64 v4, v[24:25]
.LBB155_688:
	s_or_b64 exec, exec, s[6:7]
	s_waitcnt lgkmcnt(0)
	s_barrier
	s_barrier
	s_and_saveexec_b64 s[6:7], s[22:23]
; %bb.689:
	v_xor_b32_e32 v23, 0x80000000, v21
	v_xor_b32_e32 v22, 0x80000000, v22
	ds_write_b64 v3, v[22:23] offset:18736
; %bb.690:
	s_or_b64 exec, exec, s[6:7]
	s_waitcnt lgkmcnt(0)
	s_barrier
	s_barrier
	s_and_saveexec_b64 s[6:7], s[48:49]
	s_cbranch_execz .LBB155_692
; %bb.691:
	v_lshlrev_b32_e32 v23, 3, v0
	s_movk_i32 s16, 0x1f8
	v_mad_u32_u24 v24, v0, s16, v23
	ds_read_b64 v[21:22], v24 offset:18736
	s_waitcnt lgkmcnt(0)
	ds_write_b64 v23, v[21:22] offset:19744
	ds_read_b64 v[21:22], v24 offset:18744
	s_waitcnt lgkmcnt(0)
	ds_write_b64 v23, v[21:22] offset:20256
.LBB155_692:
	s_or_b64 exec, exec, s[6:7]
	s_waitcnt lgkmcnt(0)
	s_barrier
	s_and_saveexec_b64 s[6:7], vcc
	s_cbranch_execz .LBB155_694
; %bb.693:
	v_mov_b32_e32 v25, 0
	ds_read_b128 v[21:24], v25 offset:19760
	ds_read_b64 v[25:26], v25 offset:20280
	s_movk_i32 s16, 0x4800
	s_waitcnt lgkmcnt(0)
	v_mul_f32_e32 v27, v26, v22
	v_mul_f32_e32 v28, v25, v22
	v_fma_f32 v25, v25, v21, -v27
	v_fmac_f32_e32 v28, v26, v21
	v_mul_f32_e32 v21, v28, v24
	v_mul_f32_e32 v22, v25, v24
	v_fma_f32 v21, v25, v23, -v21
	v_fmac_f32_e32 v22, v28, v23
	v_add_u32_e64 v23, s16, 0
	ds_write2_b64 v23, v[21:22], v[21:22] offset0:167 offset1:230
.LBB155_694:
	s_or_b64 exec, exec, s[6:7]
	v_mov_b32_e32 v21, 0
	v_mov_b32_e32 v22, 0
	s_waitcnt lgkmcnt(0)
	s_barrier
	s_and_saveexec_b64 s[6:7], s[12:13]
	s_cbranch_execz .LBB155_704
; %bb.695:
	v_mul_u32_u24_e32 v22, 0x208, v15
	ds_read_b64 v[23:24], v11 offset:16704
	ds_read_b64 v[25:26], v22 offset:16640
	v_cmp_gt_u32_e64 s[16:17], 56, v1
	s_waitcnt lgkmcnt(0)
	v_mul_f32_e32 v21, v26, v24
	v_mul_f32_e32 v24, v25, v24
	v_fma_f32 v21, v25, v23, -v21
	v_fmac_f32_e32 v24, v26, v23
	v_add_f32_e32 v21, 0, v21
	v_add_f32_e32 v23, 0, v24
	s_and_saveexec_b64 s[18:19], s[16:17]
	s_cbranch_execnz .LBB155_1144
; %bb.696:
	s_or_b64 exec, exec, s[18:19]
	v_cmp_gt_u32_e64 s[16:17], 48, v1
	s_and_saveexec_b64 s[18:19], s[16:17]
	s_cbranch_execnz .LBB155_1145
.LBB155_697:
	s_or_b64 exec, exec, s[18:19]
	v_cmp_gt_u32_e64 s[16:17], 40, v1
	s_and_saveexec_b64 s[18:19], s[16:17]
	s_cbranch_execnz .LBB155_1146
.LBB155_698:
	s_or_b64 exec, exec, s[18:19]
	v_cmp_gt_u32_e64 s[16:17], 32, v1
	s_and_saveexec_b64 s[18:19], s[16:17]
	s_cbranch_execnz .LBB155_1147
.LBB155_699:
	s_or_b64 exec, exec, s[18:19]
	v_cmp_gt_u32_e64 s[16:17], 24, v1
	s_and_saveexec_b64 s[18:19], s[16:17]
	s_cbranch_execnz .LBB155_1148
.LBB155_700:
	s_or_b64 exec, exec, s[18:19]
	v_cmp_gt_u32_e64 s[16:17], 16, v1
	s_and_saveexec_b64 s[18:19], s[16:17]
	s_cbranch_execnz .LBB155_1149
.LBB155_701:
	s_or_b64 exec, exec, s[18:19]
	v_cmp_gt_u32_e64 s[16:17], 8, v1
	s_and_saveexec_b64 s[18:19], s[16:17]
	s_cbranch_execz .LBB155_703
.LBB155_702:
	v_lshlrev_b32_e32 v22, 3, v0
	v_mov_b32_e32 v26, 0
	ds_read_b64 v[24:25], v22 offset:20288
	ds_read_b64 v[26:27], v26 offset:16696
	s_waitcnt lgkmcnt(0)
	v_mul_f32_e32 v22, v27, v25
	v_mul_f32_e32 v25, v26, v25
	v_fma_f32 v22, v26, v24, -v22
	v_fmac_f32_e32 v25, v27, v24
	v_add_f32_e32 v21, v21, v22
	v_add_f32_e32 v23, v23, v25
.LBB155_703:
	s_or_b64 exec, exec, s[18:19]
	v_xor_b32_e32 v22, 0x80000000, v21
	v_xor_b32_e32 v21, 0x80000000, v23
.LBB155_704:
	s_or_b64 exec, exec, s[6:7]
	s_and_saveexec_b64 s[6:7], s[66:67]
	s_cbranch_execz .LBB155_706
; %bb.705:
	v_mov_b32_e32 v23, 0
	ds_read_b64 v[23:24], v23 offset:20800
	s_waitcnt lgkmcnt(0)
	v_mul_f32_e32 v26, v21, v24
	v_mul_f32_e32 v25, v22, v24
	v_fma_f32 v24, v22, v23, -v26
	v_fmac_f32_e32 v25, v21, v23
	v_mov_b32_e32 v22, v24
	v_mov_b32_e32 v21, v25
	ds_write_b64 v13, v[24:25]
.LBB155_706:
	s_or_b64 exec, exec, s[6:7]
	s_waitcnt lgkmcnt(0)
	s_barrier
	s_and_saveexec_b64 s[6:7], s[68:69]
	s_cbranch_execz .LBB155_708
; %bb.707:
	ds_read_b64 v[23:24], v12 offset:20800
	ds_read_b64 v[25:26], v13
	s_waitcnt lgkmcnt(0)
	v_mul_f32_e32 v27, v26, v24
	v_mul_f32_e32 v24, v25, v24
	v_fma_f32 v25, v25, v23, -v27
	v_fmac_f32_e32 v24, v26, v23
	v_add_f32_e32 v22, v22, v25
	v_add_f32_e32 v21, v21, v24
.LBB155_708:
	s_or_b64 exec, exec, s[6:7]
	s_barrier
	s_and_saveexec_b64 s[6:7], s[70:71]
	s_cbranch_execz .LBB155_710
; %bb.709:
	v_mov_b32_e32 v23, 0
	ds_read_b64 v[23:24], v23 offset:21320
	s_waitcnt lgkmcnt(0)
	v_mul_f32_e32 v26, v21, v24
	v_mul_f32_e32 v25, v22, v24
	v_fma_f32 v24, v22, v23, -v26
	v_fmac_f32_e32 v25, v21, v23
	v_mov_b32_e32 v22, v24
	v_mov_b32_e32 v21, v25
	ds_write_b64 v13, v[24:25]
.LBB155_710:
	s_or_b64 exec, exec, s[6:7]
	s_waitcnt lgkmcnt(0)
	s_barrier
	s_and_saveexec_b64 s[6:7], s[72:73]
	s_cbranch_execz .LBB155_712
; %bb.711:
	ds_read_b64 v[23:24], v12 offset:21312
	ds_read_b64 v[25:26], v13
	s_waitcnt lgkmcnt(0)
	v_mul_f32_e32 v27, v26, v24
	v_mul_f32_e32 v24, v25, v24
	v_fma_f32 v25, v25, v23, -v27
	v_fmac_f32_e32 v24, v26, v23
	v_add_f32_e32 v22, v22, v25
	v_add_f32_e32 v21, v21, v24
.LBB155_712:
	s_or_b64 exec, exec, s[6:7]
	s_barrier
	;; [unrolled: 32-line block ×6, first 2 shown]
	s_and_saveexec_b64 s[6:7], s[90:91]
	s_cbranch_execz .LBB155_730
; %bb.729:
	v_mov_b32_e32 v23, 0
	ds_read_b64 v[23:24], v23 offset:23920
	s_waitcnt lgkmcnt(0)
	v_mul_f32_e32 v26, v21, v24
	v_mul_f32_e32 v25, v22, v24
	v_fma_f32 v24, v22, v23, -v26
	v_fmac_f32_e32 v25, v21, v23
	v_mov_b32_e32 v22, v24
	v_mov_b32_e32 v21, v25
	ds_write_b64 v13, v[24:25]
.LBB155_730:
	s_or_b64 exec, exec, s[6:7]
	s_waitcnt lgkmcnt(0)
	s_barrier
	s_and_saveexec_b64 s[6:7], s[64:65]
	s_cbranch_execz .LBB155_732
; %bb.731:
	v_mov_b32_e32 v23, 0
	ds_read_b64 v[23:24], v23 offset:23928
	ds_read_b64 v[25:26], v13
	s_waitcnt lgkmcnt(0)
	v_mul_f32_e32 v27, v26, v24
	v_mul_f32_e32 v24, v25, v24
	v_fma_f32 v25, v25, v23, -v27
	v_fmac_f32_e32 v24, v26, v23
	v_add_f32_e32 v22, v22, v25
	v_add_f32_e32 v21, v21, v24
.LBB155_732:
	s_or_b64 exec, exec, s[6:7]
	s_barrier
	s_and_saveexec_b64 s[6:7], s[64:65]
	s_cbranch_execz .LBB155_734
; %bb.733:
	v_mov_b32_e32 v23, 0
	ds_read_b64 v[23:24], v23 offset:24440
	s_waitcnt lgkmcnt(0)
	v_mul_f32_e32 v26, v21, v24
	v_mul_f32_e32 v25, v22, v24
	v_fma_f32 v24, v22, v23, -v26
	v_fmac_f32_e32 v25, v21, v23
	v_mov_b32_e32 v22, v24
	v_mov_b32_e32 v21, v25
	ds_write_b64 v13, v[24:25]
.LBB155_734:
	s_or_b64 exec, exec, s[6:7]
	s_waitcnt lgkmcnt(0)
	s_barrier
	s_barrier
	s_and_saveexec_b64 s[6:7], s[12:13]
; %bb.735:
	v_xor_b32_e32 v23, 0x80000000, v21
	v_xor_b32_e32 v22, 0x80000000, v22
	ds_write_b64 v11, v[22:23] offset:16704
; %bb.736:
	s_or_b64 exec, exec, s[6:7]
	s_waitcnt lgkmcnt(0)
	s_barrier
	s_barrier
	s_and_saveexec_b64 s[6:7], s[92:93]
	s_cbranch_execz .LBB155_738
; %bb.737:
	v_lshlrev_b32_e32 v23, 9, v0
	ds_read_b64 v[21:22], v23 offset:16704
	s_movk_i32 s16, 0xfe08
	v_mad_i32_i24 v24, v0, s16, v23
	s_waitcnt lgkmcnt(0)
	ds_write_b64 v24, v[21:22] offset:20736
	ds_read_b64 v[21:22], v23 offset:16712
	s_waitcnt lgkmcnt(0)
	ds_write_b64 v24, v[21:22] offset:21248
	ds_read_b64 v[21:22], v23 offset:16720
	;; [unrolled: 3-line block ×7, first 2 shown]
	s_waitcnt lgkmcnt(0)
	ds_write_b64 v24, v[21:22] offset:24320
.LBB155_738:
	s_or_b64 exec, exec, s[6:7]
	s_waitcnt lgkmcnt(0)
	s_barrier
	s_and_saveexec_b64 s[6:7], vcc
	s_cbranch_execz .LBB155_740
; %bb.739:
	v_mov_b32_e32 v25, 0
	ds_read_b128 v[21:24], v25 offset:20800
	ds_read_b64 v[25:26], v25 offset:21320
	s_movk_i32 s16, 0x5000
	s_waitcnt lgkmcnt(0)
	v_mul_f32_e32 v27, v26, v22
	v_mul_f32_e32 v28, v25, v22
	v_fma_f32 v25, v25, v21, -v27
	v_fmac_f32_e32 v28, v26, v21
	v_mul_f32_e32 v21, v28, v24
	v_mul_f32_e32 v22, v25, v24
	v_fma_f32 v21, v25, v23, -v21
	v_fmac_f32_e32 v22, v28, v23
	v_add_u32_e64 v23, s16, 0
	ds_write2_b64 v23, v[21:22], v[21:22] offset0:41 offset1:104
.LBB155_740:
	s_or_b64 exec, exec, s[6:7]
	v_mov_b32_e32 v21, 0
	v_mov_b32_e32 v22, 0
	s_waitcnt lgkmcnt(0)
	s_barrier
	s_and_saveexec_b64 s[6:7], s[22:23]
	s_cbranch_execz .LBB155_744
; %bb.741:
	v_mul_u32_u24_e32 v23, 0x208, v5
	ds_read_b64 v[21:22], v3 offset:20816
	ds_read_b64 v[23:24], v23 offset:20800
	v_cmp_gt_u32_e64 s[16:17], 2, v1
	s_waitcnt lgkmcnt(0)
	v_mul_f32_e32 v25, v24, v22
	v_mul_f32_e32 v22, v23, v22
	v_fma_f32 v23, v23, v21, -v25
	v_fmac_f32_e32 v22, v24, v21
	v_add_f32_e32 v21, 0, v23
	v_add_f32_e32 v23, 0, v22
	s_and_saveexec_b64 s[18:19], s[16:17]
	s_cbranch_execz .LBB155_743
; %bb.742:
	v_lshlrev_b32_e32 v22, 3, v0
	v_mov_b32_e32 v26, 0
	ds_read_b64 v[24:25], v22 offset:21328
	ds_read_b64 v[26:27], v26 offset:20808
	s_waitcnt lgkmcnt(0)
	v_mul_f32_e32 v22, v27, v25
	v_mul_f32_e32 v25, v26, v25
	v_fma_f32 v22, v26, v24, -v22
	v_fmac_f32_e32 v25, v27, v24
	v_add_f32_e32 v21, v21, v22
	v_add_f32_e32 v23, v23, v25
.LBB155_743:
	s_or_b64 exec, exec, s[18:19]
	v_xor_b32_e32 v22, 0x80000000, v21
	v_xor_b32_e32 v21, 0x80000000, v23
.LBB155_744:
	s_or_b64 exec, exec, s[6:7]
	s_and_saveexec_b64 s[6:7], s[46:47]
	s_cbranch_execz .LBB155_746
; %bb.745:
	v_mov_b32_e32 v23, 0
	ds_read_b64 v[23:24], v23 offset:21840
	s_waitcnt lgkmcnt(0)
	v_mul_f32_e32 v26, v21, v24
	v_mul_f32_e32 v25, v22, v24
	v_fma_f32 v24, v22, v23, -v26
	v_fmac_f32_e32 v25, v21, v23
	v_mov_b32_e32 v22, v24
	v_mov_b32_e32 v21, v25
	ds_write_b64 v4, v[24:25]
.LBB155_746:
	s_or_b64 exec, exec, s[6:7]
	s_waitcnt lgkmcnt(0)
	s_barrier
	s_and_saveexec_b64 s[6:7], s[44:45]
	s_cbranch_execz .LBB155_748
; %bb.747:
	v_mov_b32_e32 v23, 0
	ds_read_b64 v[23:24], v23 offset:21848
	ds_read_b64 v[25:26], v4
	s_waitcnt lgkmcnt(0)
	v_mul_f32_e32 v27, v26, v24
	v_mul_f32_e32 v24, v25, v24
	v_fma_f32 v25, v25, v23, -v27
	v_fmac_f32_e32 v24, v26, v23
	v_add_f32_e32 v22, v22, v25
	v_add_f32_e32 v21, v21, v24
.LBB155_748:
	s_or_b64 exec, exec, s[6:7]
	s_barrier
	s_and_saveexec_b64 s[6:7], s[44:45]
	s_cbranch_execz .LBB155_750
; %bb.749:
	v_mov_b32_e32 v23, 0
	ds_read_b64 v[23:24], v23 offset:22360
	s_waitcnt lgkmcnt(0)
	v_mul_f32_e32 v26, v21, v24
	v_mul_f32_e32 v25, v22, v24
	v_fma_f32 v24, v22, v23, -v26
	v_fmac_f32_e32 v25, v21, v23
	v_mov_b32_e32 v22, v24
	v_mov_b32_e32 v21, v25
	ds_write_b64 v4, v[24:25]
.LBB155_750:
	s_or_b64 exec, exec, s[6:7]
	s_waitcnt lgkmcnt(0)
	s_barrier
	s_barrier
	s_and_saveexec_b64 s[6:7], s[22:23]
; %bb.751:
	v_xor_b32_e32 v23, 0x80000000, v21
	v_xor_b32_e32 v22, 0x80000000, v22
	ds_write_b64 v3, v[22:23] offset:20816
; %bb.752:
	s_or_b64 exec, exec, s[6:7]
	s_waitcnt lgkmcnt(0)
	s_barrier
	s_barrier
	s_and_saveexec_b64 s[6:7], s[48:49]
	s_cbranch_execz .LBB155_754
; %bb.753:
	v_lshlrev_b32_e32 v23, 3, v0
	s_movk_i32 s16, 0x1f8
	v_mad_u32_u24 v24, v0, s16, v23
	ds_read_b64 v[21:22], v24 offset:20816
	s_waitcnt lgkmcnt(0)
	ds_write_b64 v23, v[21:22] offset:21824
	ds_read_b64 v[21:22], v24 offset:20824
	s_waitcnt lgkmcnt(0)
	ds_write_b64 v23, v[21:22] offset:22336
.LBB155_754:
	s_or_b64 exec, exec, s[6:7]
	s_waitcnt lgkmcnt(0)
	s_barrier
	s_and_saveexec_b64 s[6:7], vcc
	s_cbranch_execz .LBB155_756
; %bb.755:
	v_mov_b32_e32 v25, 0
	ds_read_b128 v[21:24], v25 offset:21840
	ds_read_b64 v[25:26], v25 offset:22360
	s_movk_i32 s16, 0x5000
	s_waitcnt lgkmcnt(0)
	v_mul_f32_e32 v27, v26, v22
	v_mul_f32_e32 v28, v25, v22
	v_fma_f32 v25, v25, v21, -v27
	v_fmac_f32_e32 v28, v26, v21
	v_mul_f32_e32 v21, v28, v24
	v_mul_f32_e32 v22, v25, v24
	v_fma_f32 v21, v25, v23, -v21
	v_fmac_f32_e32 v22, v28, v23
	v_add_u32_e64 v23, s16, 0
	ds_write2_b64 v23, v[21:22], v[21:22] offset0:171 offset1:234
.LBB155_756:
	s_or_b64 exec, exec, s[6:7]
	v_mov_b32_e32 v21, 0
	v_mov_b32_e32 v22, 0
	s_waitcnt lgkmcnt(0)
	s_barrier
	s_and_saveexec_b64 s[6:7], s[10:11]
	s_cbranch_execz .LBB155_762
; %bb.757:
	v_mul_u32_u24_e32 v22, 0x208, v10
	ds_read_b64 v[23:24], v6 offset:20832
	ds_read_b64 v[25:26], v22 offset:20800
	v_cmp_gt_u32_e64 s[16:17], 12, v1
	s_waitcnt lgkmcnt(0)
	v_mul_f32_e32 v21, v26, v24
	v_mul_f32_e32 v24, v25, v24
	v_fma_f32 v21, v25, v23, -v21
	v_fmac_f32_e32 v24, v26, v23
	v_add_f32_e32 v21, 0, v21
	v_add_f32_e32 v23, 0, v24
	s_and_saveexec_b64 s[18:19], s[16:17]
	s_cbranch_execnz .LBB155_1150
; %bb.758:
	s_or_b64 exec, exec, s[18:19]
	v_cmp_gt_u32_e64 s[16:17], 8, v1
	s_and_saveexec_b64 s[18:19], s[16:17]
	s_cbranch_execnz .LBB155_1151
.LBB155_759:
	s_or_b64 exec, exec, s[18:19]
	v_cmp_gt_u32_e64 s[16:17], 4, v1
	s_and_saveexec_b64 s[18:19], s[16:17]
	s_cbranch_execz .LBB155_761
.LBB155_760:
	v_lshlrev_b32_e32 v22, 3, v0
	v_mov_b32_e32 v26, 0
	ds_read_b64 v[24:25], v22 offset:22368
	ds_read_b64 v[26:27], v26 offset:20824
	s_waitcnt lgkmcnt(0)
	v_mul_f32_e32 v22, v27, v25
	v_mul_f32_e32 v25, v26, v25
	v_fma_f32 v22, v26, v24, -v22
	v_fmac_f32_e32 v25, v27, v24
	v_add_f32_e32 v21, v21, v22
	v_add_f32_e32 v23, v23, v25
.LBB155_761:
	s_or_b64 exec, exec, s[18:19]
	v_xor_b32_e32 v22, 0x80000000, v21
	v_xor_b32_e32 v21, 0x80000000, v23
.LBB155_762:
	s_or_b64 exec, exec, s[6:7]
	s_and_saveexec_b64 s[6:7], s[52:53]
	s_cbranch_execz .LBB155_764
; %bb.763:
	v_mov_b32_e32 v23, 0
	ds_read_b64 v[23:24], v23 offset:22880
	s_waitcnt lgkmcnt(0)
	v_mul_f32_e32 v26, v21, v24
	v_mul_f32_e32 v25, v22, v24
	v_fma_f32 v24, v22, v23, -v26
	v_fmac_f32_e32 v25, v21, v23
	v_mov_b32_e32 v22, v24
	v_mov_b32_e32 v21, v25
	ds_write_b64 v8, v[24:25]
.LBB155_764:
	s_or_b64 exec, exec, s[6:7]
	s_waitcnt lgkmcnt(0)
	s_barrier
	s_and_saveexec_b64 s[6:7], s[54:55]
	s_cbranch_execz .LBB155_766
; %bb.765:
	ds_read_b64 v[23:24], v7 offset:22880
	ds_read_b64 v[25:26], v8
	s_waitcnt lgkmcnt(0)
	v_mul_f32_e32 v27, v26, v24
	v_mul_f32_e32 v24, v25, v24
	v_fma_f32 v25, v25, v23, -v27
	v_fmac_f32_e32 v24, v26, v23
	v_add_f32_e32 v22, v22, v25
	v_add_f32_e32 v21, v21, v24
.LBB155_766:
	s_or_b64 exec, exec, s[6:7]
	s_barrier
	s_and_saveexec_b64 s[6:7], s[56:57]
	s_cbranch_execz .LBB155_768
; %bb.767:
	v_mov_b32_e32 v23, 0
	ds_read_b64 v[23:24], v23 offset:23400
	s_waitcnt lgkmcnt(0)
	v_mul_f32_e32 v26, v21, v24
	v_mul_f32_e32 v25, v22, v24
	v_fma_f32 v24, v22, v23, -v26
	v_fmac_f32_e32 v25, v21, v23
	v_mov_b32_e32 v22, v24
	v_mov_b32_e32 v21, v25
	ds_write_b64 v8, v[24:25]
.LBB155_768:
	s_or_b64 exec, exec, s[6:7]
	s_waitcnt lgkmcnt(0)
	s_barrier
	s_and_saveexec_b64 s[6:7], s[58:59]
	s_cbranch_execz .LBB155_770
; %bb.769:
	ds_read_b64 v[23:24], v7 offset:23392
	ds_read_b64 v[25:26], v8
	s_waitcnt lgkmcnt(0)
	v_mul_f32_e32 v27, v26, v24
	v_mul_f32_e32 v24, v25, v24
	v_fma_f32 v25, v25, v23, -v27
	v_fmac_f32_e32 v24, v26, v23
	v_add_f32_e32 v22, v22, v25
	v_add_f32_e32 v21, v21, v24
.LBB155_770:
	s_or_b64 exec, exec, s[6:7]
	s_barrier
	s_and_saveexec_b64 s[6:7], s[60:61]
	s_cbranch_execz .LBB155_772
; %bb.771:
	v_mov_b32_e32 v23, 0
	ds_read_b64 v[23:24], v23 offset:23920
	s_waitcnt lgkmcnt(0)
	v_mul_f32_e32 v26, v21, v24
	v_mul_f32_e32 v25, v22, v24
	v_fma_f32 v24, v22, v23, -v26
	v_fmac_f32_e32 v25, v21, v23
	v_mov_b32_e32 v22, v24
	v_mov_b32_e32 v21, v25
	ds_write_b64 v8, v[24:25]
.LBB155_772:
	s_or_b64 exec, exec, s[6:7]
	s_waitcnt lgkmcnt(0)
	s_barrier
	s_and_saveexec_b64 s[6:7], s[50:51]
	s_cbranch_execz .LBB155_774
; %bb.773:
	v_mov_b32_e32 v23, 0
	ds_read_b64 v[23:24], v23 offset:23928
	ds_read_b64 v[25:26], v8
	s_waitcnt lgkmcnt(0)
	v_mul_f32_e32 v27, v26, v24
	v_mul_f32_e32 v24, v25, v24
	v_fma_f32 v25, v25, v23, -v27
	v_fmac_f32_e32 v24, v26, v23
	v_add_f32_e32 v22, v22, v25
	v_add_f32_e32 v21, v21, v24
.LBB155_774:
	s_or_b64 exec, exec, s[6:7]
	s_barrier
	s_and_saveexec_b64 s[6:7], s[50:51]
	s_cbranch_execz .LBB155_776
; %bb.775:
	v_mov_b32_e32 v23, 0
	ds_read_b64 v[23:24], v23 offset:24440
	s_waitcnt lgkmcnt(0)
	v_mul_f32_e32 v26, v21, v24
	v_mul_f32_e32 v25, v22, v24
	v_fma_f32 v24, v22, v23, -v26
	v_fmac_f32_e32 v25, v21, v23
	v_mov_b32_e32 v22, v24
	v_mov_b32_e32 v21, v25
	ds_write_b64 v8, v[24:25]
.LBB155_776:
	s_or_b64 exec, exec, s[6:7]
	s_waitcnt lgkmcnt(0)
	s_barrier
	s_barrier
	s_and_saveexec_b64 s[6:7], s[10:11]
; %bb.777:
	v_xor_b32_e32 v22, 0x80000000, v22
	v_xor_b32_e32 v23, 0x80000000, v21
	ds_write_b64 v6, v[22:23] offset:20832
; %bb.778:
	s_or_b64 exec, exec, s[6:7]
	s_waitcnt lgkmcnt(0)
	s_barrier
	s_barrier
	s_and_saveexec_b64 s[6:7], s[62:63]
	s_cbranch_execz .LBB155_780
; %bb.779:
	v_lshlrev_b32_e32 v23, 9, v0
	ds_read_b64 v[21:22], v23 offset:20832
	s_movk_i32 s16, 0xfe08
	v_mad_i32_i24 v24, v0, s16, v23
	s_waitcnt lgkmcnt(0)
	ds_write_b64 v24, v[21:22] offset:22848
	ds_read_b64 v[21:22], v23 offset:20840
	s_waitcnt lgkmcnt(0)
	ds_write_b64 v24, v[21:22] offset:23360
	ds_read_b64 v[21:22], v23 offset:20848
	;; [unrolled: 3-line block ×3, first 2 shown]
	s_waitcnt lgkmcnt(0)
	ds_write_b64 v24, v[21:22] offset:24384
.LBB155_780:
	s_or_b64 exec, exec, s[6:7]
	s_waitcnt lgkmcnt(0)
	s_barrier
	s_and_saveexec_b64 s[6:7], vcc
	s_cbranch_execz .LBB155_782
; %bb.781:
	v_mov_b32_e32 v25, 0
	ds_read_b128 v[21:24], v25 offset:22880
	ds_read_b64 v[25:26], v25 offset:23400
	s_movk_i32 s16, 0x5800
	s_waitcnt lgkmcnt(0)
	v_mul_f32_e32 v27, v26, v22
	v_mul_f32_e32 v28, v25, v22
	v_fma_f32 v25, v25, v21, -v27
	v_fmac_f32_e32 v28, v26, v21
	v_mul_f32_e32 v21, v28, v24
	v_mul_f32_e32 v22, v25, v24
	v_fma_f32 v21, v25, v23, -v21
	v_fmac_f32_e32 v22, v28, v23
	v_add_u32_e64 v23, s16, 0
	ds_write2_b64 v23, v[21:22], v[21:22] offset0:45 offset1:108
.LBB155_782:
	s_or_b64 exec, exec, s[6:7]
	v_mov_b32_e32 v21, 0
	v_mov_b32_e32 v22, 0
	s_waitcnt lgkmcnt(0)
	s_barrier
	s_and_saveexec_b64 s[6:7], s[22:23]
	s_cbranch_execz .LBB155_786
; %bb.783:
	v_mul_u32_u24_e32 v23, 0x208, v5
	ds_read_b64 v[21:22], v3 offset:22896
	ds_read_b64 v[23:24], v23 offset:22880
	v_cmp_gt_u32_e64 s[16:17], 2, v1
	s_waitcnt lgkmcnt(0)
	v_mul_f32_e32 v25, v24, v22
	v_mul_f32_e32 v22, v23, v22
	v_fma_f32 v23, v23, v21, -v25
	v_fmac_f32_e32 v22, v24, v21
	v_add_f32_e32 v21, 0, v23
	v_add_f32_e32 v23, 0, v22
	s_and_saveexec_b64 s[18:19], s[16:17]
	s_cbranch_execz .LBB155_785
; %bb.784:
	v_lshlrev_b32_e32 v22, 3, v0
	v_mov_b32_e32 v26, 0
	ds_read_b64 v[24:25], v22 offset:23408
	ds_read_b64 v[26:27], v26 offset:22888
	s_waitcnt lgkmcnt(0)
	v_mul_f32_e32 v22, v27, v25
	v_mul_f32_e32 v25, v26, v25
	v_fma_f32 v22, v26, v24, -v22
	v_fmac_f32_e32 v25, v27, v24
	v_add_f32_e32 v21, v21, v22
	v_add_f32_e32 v23, v23, v25
.LBB155_785:
	s_or_b64 exec, exec, s[18:19]
	v_xor_b32_e32 v22, 0x80000000, v21
	v_xor_b32_e32 v21, 0x80000000, v23
.LBB155_786:
	s_or_b64 exec, exec, s[6:7]
	s_and_saveexec_b64 s[6:7], s[46:47]
	s_cbranch_execz .LBB155_788
; %bb.787:
	v_mov_b32_e32 v23, 0
	ds_read_b64 v[23:24], v23 offset:23920
	s_waitcnt lgkmcnt(0)
	v_mul_f32_e32 v26, v21, v24
	v_mul_f32_e32 v25, v22, v24
	v_fma_f32 v24, v22, v23, -v26
	v_fmac_f32_e32 v25, v21, v23
	v_mov_b32_e32 v22, v24
	v_mov_b32_e32 v21, v25
	ds_write_b64 v4, v[24:25]
.LBB155_788:
	s_or_b64 exec, exec, s[6:7]
	s_waitcnt lgkmcnt(0)
	s_barrier
	s_and_saveexec_b64 s[6:7], s[44:45]
	s_cbranch_execz .LBB155_790
; %bb.789:
	v_mov_b32_e32 v23, 0
	ds_read_b64 v[23:24], v23 offset:23928
	ds_read_b64 v[25:26], v4
	s_waitcnt lgkmcnt(0)
	v_mul_f32_e32 v27, v26, v24
	v_mul_f32_e32 v24, v25, v24
	v_fma_f32 v25, v25, v23, -v27
	v_fmac_f32_e32 v24, v26, v23
	v_add_f32_e32 v22, v22, v25
	v_add_f32_e32 v21, v21, v24
.LBB155_790:
	s_or_b64 exec, exec, s[6:7]
	s_barrier
	s_and_saveexec_b64 s[6:7], s[44:45]
	s_cbranch_execz .LBB155_792
; %bb.791:
	v_mov_b32_e32 v23, 0
	ds_read_b64 v[23:24], v23 offset:24440
	s_waitcnt lgkmcnt(0)
	v_mul_f32_e32 v26, v21, v24
	v_mul_f32_e32 v25, v22, v24
	v_fma_f32 v24, v22, v23, -v26
	v_fmac_f32_e32 v25, v21, v23
	v_mov_b32_e32 v22, v24
	v_mov_b32_e32 v21, v25
	ds_write_b64 v4, v[24:25]
.LBB155_792:
	s_or_b64 exec, exec, s[6:7]
	s_waitcnt lgkmcnt(0)
	s_barrier
	s_barrier
	s_and_saveexec_b64 s[6:7], s[22:23]
; %bb.793:
	v_xor_b32_e32 v23, 0x80000000, v21
	v_xor_b32_e32 v22, 0x80000000, v22
	ds_write_b64 v3, v[22:23] offset:22896
; %bb.794:
	s_or_b64 exec, exec, s[6:7]
	s_waitcnt lgkmcnt(0)
	s_barrier
	s_barrier
	s_and_saveexec_b64 s[6:7], s[48:49]
	s_cbranch_execz .LBB155_796
; %bb.795:
	v_lshlrev_b32_e32 v23, 3, v0
	s_movk_i32 s16, 0x1f8
	v_mad_u32_u24 v24, v0, s16, v23
	ds_read_b64 v[21:22], v24 offset:22896
	s_waitcnt lgkmcnt(0)
	ds_write_b64 v23, v[21:22] offset:23904
	ds_read_b64 v[21:22], v24 offset:22904
	s_waitcnt lgkmcnt(0)
	ds_write_b64 v23, v[21:22] offset:24416
.LBB155_796:
	s_or_b64 exec, exec, s[6:7]
	s_waitcnt lgkmcnt(0)
	s_barrier
	s_and_saveexec_b64 s[6:7], vcc
	s_cbranch_execz .LBB155_798
; %bb.797:
	v_mov_b32_e32 v25, 0
	ds_read_b128 v[21:24], v25 offset:23920
	ds_read_b64 v[25:26], v25 offset:24440
	s_movk_i32 s16, 0x5800
	s_waitcnt lgkmcnt(0)
	v_mul_f32_e32 v27, v26, v22
	v_mul_f32_e32 v28, v25, v22
	v_fma_f32 v25, v25, v21, -v27
	v_fmac_f32_e32 v28, v26, v21
	v_mul_f32_e32 v21, v28, v24
	v_mul_f32_e32 v22, v25, v24
	v_fma_f32 v21, v25, v23, -v21
	v_fmac_f32_e32 v22, v28, v23
	v_add_u32_e64 v23, s16, 0
	ds_write2_b64 v23, v[21:22], v[21:22] offset0:175 offset1:238
.LBB155_798:
	s_or_b64 exec, exec, s[6:7]
	v_mov_b32_e32 v21, 0
	v_mov_b32_e32 v22, 0
	s_waitcnt lgkmcnt(0)
	s_barrier
	s_and_saveexec_b64 s[6:7], s[14:15]
	s_cbranch_execz .LBB155_826
; %bb.799:
	v_mul_u32_u24_e32 v22, 0x208, v20
	ds_read_b64 v[23:24], v16 offset:16768
	ds_read_b64 v[25:26], v22 offset:16640
	s_movk_i32 s16, 0xf0
	v_cmp_gt_u32_e64 s[16:17], s16, v1
	s_waitcnt lgkmcnt(0)
	v_mul_f32_e32 v21, v26, v24
	v_mul_f32_e32 v24, v25, v24
	v_fma_f32 v21, v25, v23, -v21
	v_fmac_f32_e32 v24, v26, v23
	v_add_f32_e32 v21, 0, v21
	v_add_f32_e32 v23, 0, v24
	s_and_saveexec_b64 s[18:19], s[16:17]
	s_cbranch_execz .LBB155_801
; %bb.800:
	v_lshlrev_b32_e32 v24, 3, v20
	v_sub_u32_e32 v24, v22, v24
	v_lshl_add_u32 v24, v17, 3, v24
	ds_read_b64 v[24:25], v24 offset:17280
	ds_read_b64 v[26:27], v22 offset:16648
	s_waitcnt lgkmcnt(0)
	v_mul_f32_e32 v28, v27, v25
	v_mul_f32_e32 v25, v26, v25
	v_fma_f32 v26, v26, v24, -v28
	v_fmac_f32_e32 v25, v27, v24
	v_add_f32_e32 v21, v21, v26
	v_add_f32_e32 v23, v23, v25
.LBB155_801:
	s_or_b64 exec, exec, s[18:19]
	s_movk_i32 s16, 0xe0
	v_cmp_gt_u32_e64 s[16:17], s16, v1
	s_and_saveexec_b64 s[18:19], s[16:17]
	s_cbranch_execz .LBB155_803
; %bb.802:
	v_lshlrev_b32_e32 v24, 3, v20
	v_sub_u32_e32 v24, v22, v24
	v_lshl_add_u32 v24, v17, 3, v24
	ds_read_b64 v[24:25], v24 offset:17792
	ds_read_b64 v[26:27], v22 offset:16656
	s_waitcnt lgkmcnt(0)
	v_mul_f32_e32 v28, v27, v25
	v_mul_f32_e32 v25, v26, v25
	v_fma_f32 v26, v26, v24, -v28
	v_fmac_f32_e32 v25, v27, v24
	v_add_f32_e32 v21, v21, v26
	v_add_f32_e32 v23, v23, v25
.LBB155_803:
	s_or_b64 exec, exec, s[18:19]
	s_movk_i32 s16, 0xd0
	v_cmp_gt_u32_e64 s[16:17], s16, v1
	;; [unrolled: 19-line block ×6, first 2 shown]
	s_and_saveexec_b64 s[18:19], s[16:17]
	s_cbranch_execz .LBB155_813
; %bb.812:
	v_lshlrev_b32_e32 v20, 3, v17
	v_lshl_add_u32 v20, v19, 3, v20
	ds_read_b64 v[24:25], v20 offset:20352
	ds_read_b64 v[26:27], v22 offset:16696
	s_waitcnt lgkmcnt(0)
	v_mul_f32_e32 v20, v27, v25
	v_mul_f32_e32 v25, v26, v25
	v_fma_f32 v20, v26, v24, -v20
	v_fmac_f32_e32 v25, v27, v24
	v_add_f32_e32 v21, v21, v20
	v_add_f32_e32 v23, v23, v25
.LBB155_813:
	s_or_b64 exec, exec, s[18:19]
	s_movk_i32 s16, 0x80
	v_cmp_gt_u32_e64 s[16:17], s16, v1
	s_and_saveexec_b64 s[18:19], s[16:17]
	s_cbranch_execz .LBB155_815
; %bb.814:
	ds_read_b64 v[24:25], v16 offset:20864
	ds_read_b64 v[26:27], v22 offset:16704
	s_waitcnt lgkmcnt(0)
	v_mul_f32_e32 v20, v27, v25
	v_mul_f32_e32 v25, v26, v25
	v_fma_f32 v20, v26, v24, -v20
	v_fmac_f32_e32 v25, v27, v24
	v_add_f32_e32 v21, v21, v20
	v_add_f32_e32 v23, v23, v25
.LBB155_815:
	s_or_b64 exec, exec, s[18:19]
	s_movk_i32 s16, 0x70
	v_cmp_gt_u32_e64 s[16:17], s16, v1
	s_and_saveexec_b64 s[18:19], s[16:17]
	s_cbranch_execz .LBB155_817
; %bb.816:
	v_lshlrev_b32_e32 v20, 3, v17
	v_lshl_add_u32 v20, v19, 3, v20
	ds_read_b64 v[24:25], v20 offset:21376
	ds_read_b64 v[26:27], v22 offset:16712
	s_waitcnt lgkmcnt(0)
	v_mul_f32_e32 v20, v27, v25
	v_mul_f32_e32 v25, v26, v25
	v_fma_f32 v20, v26, v24, -v20
	v_fmac_f32_e32 v25, v27, v24
	v_add_f32_e32 v21, v21, v20
	v_add_f32_e32 v23, v23, v25
.LBB155_817:
	s_or_b64 exec, exec, s[18:19]
	s_movk_i32 s16, 0x60
	v_cmp_gt_u32_e64 s[16:17], s16, v1
	s_and_saveexec_b64 s[18:19], s[16:17]
	s_cbranch_execz .LBB155_819
; %bb.818:
	v_lshlrev_b32_e32 v20, 3, v17
	v_lshl_add_u32 v20, v19, 3, v20
	ds_read_b64 v[24:25], v20 offset:21888
	ds_read_b64 v[26:27], v22 offset:16720
	s_waitcnt lgkmcnt(0)
	v_mul_f32_e32 v20, v27, v25
	v_mul_f32_e32 v25, v26, v25
	v_fma_f32 v20, v26, v24, -v20
	v_fmac_f32_e32 v25, v27, v24
	v_add_f32_e32 v21, v21, v20
	v_add_f32_e32 v23, v23, v25
.LBB155_819:
	s_or_b64 exec, exec, s[18:19]
	s_movk_i32 s16, 0x50
	v_cmp_gt_u32_e64 s[16:17], s16, v1
	s_and_saveexec_b64 s[18:19], s[16:17]
	s_cbranch_execnz .LBB155_1152
; %bb.820:
	s_or_b64 exec, exec, s[18:19]
	v_cmp_gt_u32_e64 s[16:17], 64, v1
	s_and_saveexec_b64 s[18:19], s[16:17]
	s_cbranch_execnz .LBB155_1153
.LBB155_821:
	s_or_b64 exec, exec, s[18:19]
	v_cmp_gt_u32_e64 s[16:17], 48, v1
	s_and_saveexec_b64 s[18:19], s[16:17]
	s_cbranch_execnz .LBB155_1154
.LBB155_822:
	s_or_b64 exec, exec, s[18:19]
	v_cmp_gt_u32_e64 s[16:17], 32, v1
	s_and_saveexec_b64 s[18:19], s[16:17]
	s_cbranch_execnz .LBB155_1155
.LBB155_823:
	s_or_b64 exec, exec, s[18:19]
	v_cmp_gt_u32_e64 s[16:17], 16, v1
	s_and_saveexec_b64 s[18:19], s[16:17]
	s_cbranch_execz .LBB155_825
.LBB155_824:
	v_lshlrev_b32_e32 v19, 3, v0
	v_mov_b32_e32 v22, 0
	ds_read_b64 v[19:20], v19 offset:24448
	ds_read_b64 v[24:25], v22 offset:16760
	s_waitcnt lgkmcnt(0)
	v_mul_f32_e32 v22, v25, v20
	v_mul_f32_e32 v20, v24, v20
	v_fma_f32 v22, v24, v19, -v22
	v_fmac_f32_e32 v20, v25, v19
	v_add_f32_e32 v21, v21, v22
	v_add_f32_e32 v23, v23, v20
.LBB155_825:
	s_or_b64 exec, exec, s[18:19]
	v_xor_b32_e32 v22, 0x80000000, v21
	v_xor_b32_e32 v21, 0x80000000, v23
.LBB155_826:
	s_or_b64 exec, exec, s[6:7]
	s_mov_b64 s[6:7], exec
	v_readlane_b32 s16, v35, 7
	v_readlane_b32 s17, v35, 8
	s_and_b64 s[16:17], s[6:7], s[16:17]
	s_mov_b64 exec, s[16:17]
	s_cbranch_execz .LBB155_828
; %bb.827:
	v_mov_b32_e32 v19, 0
	ds_read_b64 v[19:20], v19 offset:24960
	s_waitcnt lgkmcnt(0)
	v_mul_f32_e32 v23, v22, v20
	v_mul_f32_e32 v24, v21, v20
	v_fmac_f32_e32 v23, v21, v19
	v_fma_f32 v22, v22, v19, -v24
	v_mov_b32_e32 v21, v23
	ds_write_b64 v18, v[22:23]
.LBB155_828:
	s_or_b64 exec, exec, s[6:7]
	s_waitcnt lgkmcnt(0)
	s_barrier
	s_mov_b64 s[6:7], exec
	v_readlane_b32 s16, v35, 9
	v_readlane_b32 s17, v35, 10
	s_and_b64 s[16:17], s[6:7], s[16:17]
	s_mov_b64 exec, s[16:17]
	s_cbranch_execz .LBB155_830
; %bb.829:
	v_lshlrev_b32_e32 v19, 3, v17
	ds_read_b64 v[19:20], v19 offset:24960
	ds_read_b64 v[23:24], v18
	s_waitcnt lgkmcnt(0)
	v_mul_f32_e32 v25, v24, v20
	v_mul_f32_e32 v20, v23, v20
	v_fma_f32 v23, v23, v19, -v25
	v_fmac_f32_e32 v20, v24, v19
	v_add_f32_e32 v22, v22, v23
	v_add_f32_e32 v21, v21, v20
.LBB155_830:
	s_or_b64 exec, exec, s[6:7]
	s_barrier
	s_mov_b64 s[6:7], exec
	v_readlane_b32 s16, v35, 11
	v_readlane_b32 s17, v35, 12
	s_and_b64 s[16:17], s[6:7], s[16:17]
	s_mov_b64 exec, s[16:17]
	s_cbranch_execz .LBB155_832
; %bb.831:
	v_mov_b32_e32 v19, 0
	ds_read_b64 v[19:20], v19 offset:25480
	s_waitcnt lgkmcnt(0)
	v_mul_f32_e32 v23, v22, v20
	v_mul_f32_e32 v24, v21, v20
	v_fmac_f32_e32 v23, v21, v19
	v_fma_f32 v22, v22, v19, -v24
	v_mov_b32_e32 v21, v23
	ds_write_b64 v18, v[22:23]
.LBB155_832:
	s_or_b64 exec, exec, s[6:7]
	s_waitcnt lgkmcnt(0)
	s_barrier
	s_mov_b64 s[6:7], exec
	v_readlane_b32 s16, v35, 13
	v_readlane_b32 s17, v35, 14
	s_and_b64 s[16:17], s[6:7], s[16:17]
	s_mov_b64 exec, s[16:17]
	s_cbranch_execz .LBB155_834
; %bb.833:
	v_lshlrev_b32_e32 v19, 3, v17
	ds_read_b64 v[19:20], v19 offset:25472
	ds_read_b64 v[23:24], v18
	s_waitcnt lgkmcnt(0)
	v_mul_f32_e32 v25, v24, v20
	v_mul_f32_e32 v20, v23, v20
	v_fma_f32 v23, v23, v19, -v25
	v_fmac_f32_e32 v20, v24, v19
	v_add_f32_e32 v22, v22, v23
	v_add_f32_e32 v21, v21, v20
.LBB155_834:
	s_or_b64 exec, exec, s[6:7]
	s_barrier
	;; [unrolled: 40-line block ×14, first 2 shown]
	s_mov_b64 s[6:7], exec
	v_readlane_b32 s16, v35, 63
	v_readlane_b32 s17, v34, 0
	s_and_b64 s[16:17], s[6:7], s[16:17]
	s_mov_b64 exec, s[16:17]
	s_cbranch_execz .LBB155_884
; %bb.883:
	v_mov_b32_e32 v17, 0
	ds_read_b64 v[19:20], v17 offset:32240
	s_waitcnt lgkmcnt(0)
	v_mul_f32_e32 v23, v22, v20
	v_mul_f32_e32 v17, v21, v20
	v_fmac_f32_e32 v23, v21, v19
	v_fma_f32 v22, v22, v19, -v17
	v_mov_b32_e32 v21, v23
	ds_write_b64 v18, v[22:23]
.LBB155_884:
	s_or_b64 exec, exec, s[6:7]
	s_waitcnt lgkmcnt(0)
	s_barrier
	s_and_saveexec_b64 s[6:7], s[94:95]
	s_cbranch_execz .LBB155_886
; %bb.885:
	v_mov_b32_e32 v17, 0
	ds_read_b64 v[19:20], v17 offset:32248
	ds_read_b64 v[23:24], v18
	s_waitcnt lgkmcnt(0)
	v_mul_f32_e32 v17, v24, v20
	v_mul_f32_e32 v20, v23, v20
	v_fma_f32 v17, v23, v19, -v17
	v_fmac_f32_e32 v20, v24, v19
	v_add_f32_e32 v22, v22, v17
	v_add_f32_e32 v21, v21, v20
.LBB155_886:
	s_or_b64 exec, exec, s[6:7]
	s_barrier
	s_and_saveexec_b64 s[6:7], s[94:95]
	s_cbranch_execz .LBB155_888
; %bb.887:
	v_mov_b32_e32 v17, 0
	ds_read_b64 v[19:20], v17 offset:32760
	s_waitcnt lgkmcnt(0)
	v_mul_f32_e32 v23, v22, v20
	v_mul_f32_e32 v17, v21, v20
	v_fmac_f32_e32 v23, v21, v19
	v_fma_f32 v22, v22, v19, -v17
	v_mov_b32_e32 v21, v23
	ds_write_b64 v18, v[22:23]
.LBB155_888:
	s_or_b64 exec, exec, s[6:7]
	s_waitcnt lgkmcnt(0)
	s_barrier
	s_barrier
	s_and_saveexec_b64 s[6:7], s[14:15]
; %bb.889:
	v_xor_b32_e32 v17, 0x80000000, v22
	v_xor_b32_e32 v18, 0x80000000, v21
	ds_write_b64 v16, v[17:18] offset:16768
; %bb.890:
	s_or_b64 exec, exec, s[6:7]
	s_waitcnt lgkmcnt(0)
	s_barrier
	s_barrier
	s_and_saveexec_b64 s[6:7], s[98:99]
	s_cbranch_execz .LBB155_892
; %bb.891:
	v_lshlrev_b32_e32 v18, 9, v0
	ds_read_b64 v[16:17], v18 offset:16768
	s_movk_i32 s14, 0xfe08
	v_mad_i32_i24 v19, v0, s14, v18
	s_waitcnt lgkmcnt(0)
	ds_write_b64 v19, v[16:17] offset:24832
	ds_read_b64 v[16:17], v18 offset:16776
	s_waitcnt lgkmcnt(0)
	ds_write_b64 v19, v[16:17] offset:25344
	ds_read_b64 v[16:17], v18 offset:16784
	;; [unrolled: 3-line block ×15, first 2 shown]
	s_waitcnt lgkmcnt(0)
	ds_write_b64 v19, v[16:17] offset:32512
.LBB155_892:
	s_or_b64 exec, exec, s[6:7]
	s_waitcnt lgkmcnt(0)
	s_barrier
	s_and_saveexec_b64 s[6:7], vcc
	s_cbranch_execz .LBB155_894
; %bb.893:
	v_mov_b32_e32 v20, 0
	ds_read_b128 v[16:19], v20 offset:24960
	ds_read_b64 v[20:21], v20 offset:25480
	s_movk_i32 s14, 0x6000
	s_waitcnt lgkmcnt(0)
	v_mul_f32_e32 v22, v21, v17
	v_mul_f32_e32 v23, v20, v17
	v_fma_f32 v20, v20, v16, -v22
	v_fmac_f32_e32 v23, v21, v16
	v_mul_f32_e32 v16, v23, v19
	v_mul_f32_e32 v17, v20, v19
	v_fma_f32 v16, v20, v18, -v16
	v_fmac_f32_e32 v17, v23, v18
	v_add_u32_e64 v18, s14, 0
	ds_write2_b64 v18, v[16:17], v[16:17] offset0:49 offset1:112
.LBB155_894:
	s_or_b64 exec, exec, s[6:7]
	v_mov_b32_e32 v16, 0
	v_mov_b32_e32 v17, 0
	s_waitcnt lgkmcnt(0)
	s_barrier
	s_and_saveexec_b64 s[6:7], s[22:23]
	s_cbranch_execz .LBB155_898
; %bb.895:
	v_mul_u32_u24_e32 v18, 0x208, v5
	ds_read_b64 v[16:17], v3 offset:24976
	ds_read_b64 v[18:19], v18 offset:24960
	v_cmp_gt_u32_e64 s[14:15], 2, v1
	s_waitcnt lgkmcnt(0)
	v_mul_f32_e32 v20, v19, v17
	v_mul_f32_e32 v17, v18, v17
	v_fma_f32 v18, v18, v16, -v20
	v_fmac_f32_e32 v17, v19, v16
	v_add_f32_e32 v16, 0, v18
	v_add_f32_e32 v18, 0, v17
	s_and_saveexec_b64 s[16:17], s[14:15]
	s_cbranch_execz .LBB155_897
; %bb.896:
	v_lshlrev_b32_e32 v17, 3, v0
	v_mov_b32_e32 v21, 0
	ds_read_b64 v[19:20], v17 offset:25488
	ds_read_b64 v[21:22], v21 offset:24968
	s_waitcnt lgkmcnt(0)
	v_mul_f32_e32 v17, v22, v20
	v_mul_f32_e32 v20, v21, v20
	v_fma_f32 v17, v21, v19, -v17
	v_fmac_f32_e32 v20, v22, v19
	v_add_f32_e32 v16, v16, v17
	v_add_f32_e32 v18, v18, v20
.LBB155_897:
	s_or_b64 exec, exec, s[16:17]
	v_xor_b32_e32 v17, 0x80000000, v16
	v_xor_b32_e32 v16, 0x80000000, v18
.LBB155_898:
	s_or_b64 exec, exec, s[6:7]
	s_and_saveexec_b64 s[6:7], s[46:47]
	s_cbranch_execz .LBB155_900
; %bb.899:
	v_mov_b32_e32 v18, 0
	ds_read_b64 v[18:19], v18 offset:26000
	s_waitcnt lgkmcnt(0)
	v_mul_f32_e32 v21, v16, v19
	v_mul_f32_e32 v20, v17, v19
	v_fma_f32 v19, v17, v18, -v21
	v_fmac_f32_e32 v20, v16, v18
	v_mov_b32_e32 v17, v19
	v_mov_b32_e32 v16, v20
	ds_write_b64 v4, v[19:20]
.LBB155_900:
	s_or_b64 exec, exec, s[6:7]
	s_waitcnt lgkmcnt(0)
	s_barrier
	s_and_saveexec_b64 s[6:7], s[44:45]
	s_cbranch_execz .LBB155_902
; %bb.901:
	v_mov_b32_e32 v18, 0
	ds_read_b64 v[18:19], v18 offset:26008
	ds_read_b64 v[20:21], v4
	s_waitcnt lgkmcnt(0)
	v_mul_f32_e32 v22, v21, v19
	v_mul_f32_e32 v19, v20, v19
	v_fma_f32 v20, v20, v18, -v22
	v_fmac_f32_e32 v19, v21, v18
	v_add_f32_e32 v17, v17, v20
	v_add_f32_e32 v16, v16, v19
.LBB155_902:
	s_or_b64 exec, exec, s[6:7]
	s_barrier
	s_and_saveexec_b64 s[6:7], s[44:45]
	s_cbranch_execz .LBB155_904
; %bb.903:
	v_mov_b32_e32 v18, 0
	ds_read_b64 v[18:19], v18 offset:26520
	s_waitcnt lgkmcnt(0)
	v_mul_f32_e32 v21, v16, v19
	v_mul_f32_e32 v20, v17, v19
	v_fma_f32 v19, v17, v18, -v21
	v_fmac_f32_e32 v20, v16, v18
	v_mov_b32_e32 v17, v19
	v_mov_b32_e32 v16, v20
	ds_write_b64 v4, v[19:20]
.LBB155_904:
	s_or_b64 exec, exec, s[6:7]
	s_waitcnt lgkmcnt(0)
	s_barrier
	s_barrier
	s_and_saveexec_b64 s[6:7], s[22:23]
; %bb.905:
	v_xor_b32_e32 v18, 0x80000000, v16
	v_xor_b32_e32 v17, 0x80000000, v17
	ds_write_b64 v3, v[17:18] offset:24976
; %bb.906:
	s_or_b64 exec, exec, s[6:7]
	s_waitcnt lgkmcnt(0)
	s_barrier
	s_barrier
	s_and_saveexec_b64 s[6:7], s[48:49]
	s_cbranch_execz .LBB155_908
; %bb.907:
	v_lshlrev_b32_e32 v18, 3, v0
	s_movk_i32 s14, 0x1f8
	v_mad_u32_u24 v19, v0, s14, v18
	ds_read_b64 v[16:17], v19 offset:24976
	s_waitcnt lgkmcnt(0)
	ds_write_b64 v18, v[16:17] offset:25984
	ds_read_b64 v[16:17], v19 offset:24984
	s_waitcnt lgkmcnt(0)
	ds_write_b64 v18, v[16:17] offset:26496
.LBB155_908:
	s_or_b64 exec, exec, s[6:7]
	s_waitcnt lgkmcnt(0)
	s_barrier
	s_and_saveexec_b64 s[6:7], vcc
	s_cbranch_execz .LBB155_910
; %bb.909:
	v_mov_b32_e32 v20, 0
	ds_read_b128 v[16:19], v20 offset:26000
	ds_read_b64 v[20:21], v20 offset:26520
	s_movk_i32 s14, 0x6000
	s_waitcnt lgkmcnt(0)
	v_mul_f32_e32 v22, v21, v17
	v_mul_f32_e32 v23, v20, v17
	v_fma_f32 v20, v20, v16, -v22
	v_fmac_f32_e32 v23, v21, v16
	v_mul_f32_e32 v16, v23, v19
	v_mul_f32_e32 v17, v20, v19
	v_fma_f32 v16, v20, v18, -v16
	v_fmac_f32_e32 v17, v23, v18
	v_add_u32_e64 v18, s14, 0
	ds_write2_b64 v18, v[16:17], v[16:17] offset0:179 offset1:242
.LBB155_910:
	s_or_b64 exec, exec, s[6:7]
	v_mov_b32_e32 v16, 0
	v_mov_b32_e32 v17, 0
	s_waitcnt lgkmcnt(0)
	s_barrier
	s_and_saveexec_b64 s[6:7], s[10:11]
	s_cbranch_execz .LBB155_916
; %bb.911:
	v_mul_u32_u24_e32 v17, 0x208, v10
	ds_read_b64 v[18:19], v6 offset:24992
	ds_read_b64 v[20:21], v17 offset:24960
	v_cmp_gt_u32_e64 s[14:15], 12, v1
	s_waitcnt lgkmcnt(0)
	v_mul_f32_e32 v16, v21, v19
	v_mul_f32_e32 v19, v20, v19
	v_fma_f32 v16, v20, v18, -v16
	v_fmac_f32_e32 v19, v21, v18
	v_add_f32_e32 v16, 0, v16
	v_add_f32_e32 v18, 0, v19
	s_and_saveexec_b64 s[16:17], s[14:15]
	s_cbranch_execnz .LBB155_1156
; %bb.912:
	s_or_b64 exec, exec, s[16:17]
	v_cmp_gt_u32_e64 s[14:15], 8, v1
	s_and_saveexec_b64 s[16:17], s[14:15]
	s_cbranch_execnz .LBB155_1157
.LBB155_913:
	s_or_b64 exec, exec, s[16:17]
	v_cmp_gt_u32_e64 s[14:15], 4, v1
	s_and_saveexec_b64 s[16:17], s[14:15]
	s_cbranch_execz .LBB155_915
.LBB155_914:
	v_lshlrev_b32_e32 v17, 3, v0
	v_mov_b32_e32 v21, 0
	ds_read_b64 v[19:20], v17 offset:26528
	ds_read_b64 v[21:22], v21 offset:24984
	s_waitcnt lgkmcnt(0)
	v_mul_f32_e32 v17, v22, v20
	v_mul_f32_e32 v20, v21, v20
	v_fma_f32 v17, v21, v19, -v17
	v_fmac_f32_e32 v20, v22, v19
	v_add_f32_e32 v16, v16, v17
	v_add_f32_e32 v18, v18, v20
.LBB155_915:
	s_or_b64 exec, exec, s[16:17]
	v_xor_b32_e32 v17, 0x80000000, v16
	v_xor_b32_e32 v16, 0x80000000, v18
.LBB155_916:
	s_or_b64 exec, exec, s[6:7]
	s_and_saveexec_b64 s[6:7], s[52:53]
	s_cbranch_execz .LBB155_918
; %bb.917:
	v_mov_b32_e32 v18, 0
	ds_read_b64 v[18:19], v18 offset:27040
	s_waitcnt lgkmcnt(0)
	v_mul_f32_e32 v21, v16, v19
	v_mul_f32_e32 v20, v17, v19
	v_fma_f32 v19, v17, v18, -v21
	v_fmac_f32_e32 v20, v16, v18
	v_mov_b32_e32 v17, v19
	v_mov_b32_e32 v16, v20
	ds_write_b64 v8, v[19:20]
.LBB155_918:
	s_or_b64 exec, exec, s[6:7]
	s_waitcnt lgkmcnt(0)
	s_barrier
	s_and_saveexec_b64 s[6:7], s[54:55]
	s_cbranch_execz .LBB155_920
; %bb.919:
	ds_read_b64 v[18:19], v7 offset:27040
	ds_read_b64 v[20:21], v8
	s_waitcnt lgkmcnt(0)
	v_mul_f32_e32 v22, v21, v19
	v_mul_f32_e32 v19, v20, v19
	v_fma_f32 v20, v20, v18, -v22
	v_fmac_f32_e32 v19, v21, v18
	v_add_f32_e32 v17, v17, v20
	v_add_f32_e32 v16, v16, v19
.LBB155_920:
	s_or_b64 exec, exec, s[6:7]
	s_barrier
	s_and_saveexec_b64 s[6:7], s[56:57]
	s_cbranch_execz .LBB155_922
; %bb.921:
	v_mov_b32_e32 v18, 0
	ds_read_b64 v[18:19], v18 offset:27560
	s_waitcnt lgkmcnt(0)
	v_mul_f32_e32 v21, v16, v19
	v_mul_f32_e32 v20, v17, v19
	v_fma_f32 v19, v17, v18, -v21
	v_fmac_f32_e32 v20, v16, v18
	v_mov_b32_e32 v17, v19
	v_mov_b32_e32 v16, v20
	ds_write_b64 v8, v[19:20]
.LBB155_922:
	s_or_b64 exec, exec, s[6:7]
	s_waitcnt lgkmcnt(0)
	s_barrier
	s_and_saveexec_b64 s[6:7], s[58:59]
	s_cbranch_execz .LBB155_924
; %bb.923:
	ds_read_b64 v[18:19], v7 offset:27552
	ds_read_b64 v[20:21], v8
	s_waitcnt lgkmcnt(0)
	v_mul_f32_e32 v22, v21, v19
	v_mul_f32_e32 v19, v20, v19
	v_fma_f32 v20, v20, v18, -v22
	v_fmac_f32_e32 v19, v21, v18
	v_add_f32_e32 v17, v17, v20
	v_add_f32_e32 v16, v16, v19
.LBB155_924:
	s_or_b64 exec, exec, s[6:7]
	s_barrier
	s_and_saveexec_b64 s[6:7], s[60:61]
	s_cbranch_execz .LBB155_926
; %bb.925:
	v_mov_b32_e32 v18, 0
	ds_read_b64 v[18:19], v18 offset:28080
	s_waitcnt lgkmcnt(0)
	v_mul_f32_e32 v21, v16, v19
	v_mul_f32_e32 v20, v17, v19
	v_fma_f32 v19, v17, v18, -v21
	v_fmac_f32_e32 v20, v16, v18
	v_mov_b32_e32 v17, v19
	v_mov_b32_e32 v16, v20
	ds_write_b64 v8, v[19:20]
.LBB155_926:
	s_or_b64 exec, exec, s[6:7]
	s_waitcnt lgkmcnt(0)
	s_barrier
	s_and_saveexec_b64 s[6:7], s[50:51]
	s_cbranch_execz .LBB155_928
; %bb.927:
	v_mov_b32_e32 v18, 0
	ds_read_b64 v[18:19], v18 offset:28088
	ds_read_b64 v[20:21], v8
	s_waitcnt lgkmcnt(0)
	v_mul_f32_e32 v22, v21, v19
	v_mul_f32_e32 v19, v20, v19
	v_fma_f32 v20, v20, v18, -v22
	v_fmac_f32_e32 v19, v21, v18
	v_add_f32_e32 v17, v17, v20
	v_add_f32_e32 v16, v16, v19
.LBB155_928:
	s_or_b64 exec, exec, s[6:7]
	s_barrier
	s_and_saveexec_b64 s[6:7], s[50:51]
	s_cbranch_execz .LBB155_930
; %bb.929:
	v_mov_b32_e32 v18, 0
	ds_read_b64 v[18:19], v18 offset:28600
	s_waitcnt lgkmcnt(0)
	v_mul_f32_e32 v21, v16, v19
	v_mul_f32_e32 v20, v17, v19
	v_fma_f32 v19, v17, v18, -v21
	v_fmac_f32_e32 v20, v16, v18
	v_mov_b32_e32 v17, v19
	v_mov_b32_e32 v16, v20
	ds_write_b64 v8, v[19:20]
.LBB155_930:
	s_or_b64 exec, exec, s[6:7]
	s_waitcnt lgkmcnt(0)
	s_barrier
	s_barrier
	s_and_saveexec_b64 s[6:7], s[10:11]
; %bb.931:
	v_xor_b32_e32 v17, 0x80000000, v17
	v_xor_b32_e32 v18, 0x80000000, v16
	ds_write_b64 v6, v[17:18] offset:24992
; %bb.932:
	s_or_b64 exec, exec, s[6:7]
	s_waitcnt lgkmcnt(0)
	s_barrier
	s_barrier
	s_and_saveexec_b64 s[6:7], s[62:63]
	s_cbranch_execz .LBB155_934
; %bb.933:
	v_lshlrev_b32_e32 v18, 9, v0
	ds_read_b64 v[16:17], v18 offset:24992
	s_movk_i32 s14, 0xfe08
	v_mad_i32_i24 v19, v0, s14, v18
	s_waitcnt lgkmcnt(0)
	ds_write_b64 v19, v[16:17] offset:27008
	ds_read_b64 v[16:17], v18 offset:25000
	s_waitcnt lgkmcnt(0)
	ds_write_b64 v19, v[16:17] offset:27520
	ds_read_b64 v[16:17], v18 offset:25008
	;; [unrolled: 3-line block ×3, first 2 shown]
	s_waitcnt lgkmcnt(0)
	ds_write_b64 v19, v[16:17] offset:28544
.LBB155_934:
	s_or_b64 exec, exec, s[6:7]
	s_waitcnt lgkmcnt(0)
	s_barrier
	s_and_saveexec_b64 s[6:7], vcc
	s_cbranch_execz .LBB155_936
; %bb.935:
	v_mov_b32_e32 v20, 0
	ds_read_b128 v[16:19], v20 offset:27040
	ds_read_b64 v[20:21], v20 offset:27560
	s_movk_i32 s14, 0x6800
	s_waitcnt lgkmcnt(0)
	v_mul_f32_e32 v22, v21, v17
	v_mul_f32_e32 v23, v20, v17
	v_fma_f32 v20, v20, v16, -v22
	v_fmac_f32_e32 v23, v21, v16
	v_mul_f32_e32 v16, v23, v19
	v_mul_f32_e32 v17, v20, v19
	v_fma_f32 v16, v20, v18, -v16
	v_fmac_f32_e32 v17, v23, v18
	v_add_u32_e64 v18, s14, 0
	ds_write2_b64 v18, v[16:17], v[16:17] offset0:53 offset1:116
.LBB155_936:
	s_or_b64 exec, exec, s[6:7]
	v_mov_b32_e32 v16, 0
	v_mov_b32_e32 v17, 0
	s_waitcnt lgkmcnt(0)
	s_barrier
	s_and_saveexec_b64 s[6:7], s[22:23]
	s_cbranch_execz .LBB155_940
; %bb.937:
	v_mul_u32_u24_e32 v18, 0x208, v5
	ds_read_b64 v[16:17], v3 offset:27056
	ds_read_b64 v[18:19], v18 offset:27040
	v_cmp_gt_u32_e64 s[14:15], 2, v1
	s_waitcnt lgkmcnt(0)
	v_mul_f32_e32 v20, v19, v17
	v_mul_f32_e32 v17, v18, v17
	v_fma_f32 v18, v18, v16, -v20
	v_fmac_f32_e32 v17, v19, v16
	v_add_f32_e32 v16, 0, v18
	v_add_f32_e32 v18, 0, v17
	s_and_saveexec_b64 s[16:17], s[14:15]
	s_cbranch_execz .LBB155_939
; %bb.938:
	v_lshlrev_b32_e32 v17, 3, v0
	v_mov_b32_e32 v21, 0
	ds_read_b64 v[19:20], v17 offset:27568
	ds_read_b64 v[21:22], v21 offset:27048
	s_waitcnt lgkmcnt(0)
	v_mul_f32_e32 v17, v22, v20
	v_mul_f32_e32 v20, v21, v20
	v_fma_f32 v17, v21, v19, -v17
	v_fmac_f32_e32 v20, v22, v19
	v_add_f32_e32 v16, v16, v17
	v_add_f32_e32 v18, v18, v20
.LBB155_939:
	s_or_b64 exec, exec, s[16:17]
	v_xor_b32_e32 v17, 0x80000000, v16
	v_xor_b32_e32 v16, 0x80000000, v18
.LBB155_940:
	s_or_b64 exec, exec, s[6:7]
	s_and_saveexec_b64 s[6:7], s[46:47]
	s_cbranch_execz .LBB155_942
; %bb.941:
	v_mov_b32_e32 v18, 0
	ds_read_b64 v[18:19], v18 offset:28080
	s_waitcnt lgkmcnt(0)
	v_mul_f32_e32 v21, v16, v19
	v_mul_f32_e32 v20, v17, v19
	v_fma_f32 v19, v17, v18, -v21
	v_fmac_f32_e32 v20, v16, v18
	v_mov_b32_e32 v17, v19
	v_mov_b32_e32 v16, v20
	ds_write_b64 v4, v[19:20]
.LBB155_942:
	s_or_b64 exec, exec, s[6:7]
	s_waitcnt lgkmcnt(0)
	s_barrier
	s_and_saveexec_b64 s[6:7], s[44:45]
	s_cbranch_execz .LBB155_944
; %bb.943:
	v_mov_b32_e32 v18, 0
	ds_read_b64 v[18:19], v18 offset:28088
	ds_read_b64 v[20:21], v4
	s_waitcnt lgkmcnt(0)
	v_mul_f32_e32 v22, v21, v19
	v_mul_f32_e32 v19, v20, v19
	v_fma_f32 v20, v20, v18, -v22
	v_fmac_f32_e32 v19, v21, v18
	v_add_f32_e32 v17, v17, v20
	v_add_f32_e32 v16, v16, v19
.LBB155_944:
	s_or_b64 exec, exec, s[6:7]
	s_barrier
	s_and_saveexec_b64 s[6:7], s[44:45]
	s_cbranch_execz .LBB155_946
; %bb.945:
	v_mov_b32_e32 v18, 0
	ds_read_b64 v[18:19], v18 offset:28600
	s_waitcnt lgkmcnt(0)
	v_mul_f32_e32 v21, v16, v19
	v_mul_f32_e32 v20, v17, v19
	v_fma_f32 v19, v17, v18, -v21
	v_fmac_f32_e32 v20, v16, v18
	v_mov_b32_e32 v17, v19
	v_mov_b32_e32 v16, v20
	ds_write_b64 v4, v[19:20]
.LBB155_946:
	s_or_b64 exec, exec, s[6:7]
	s_waitcnt lgkmcnt(0)
	s_barrier
	s_barrier
	s_and_saveexec_b64 s[6:7], s[22:23]
; %bb.947:
	v_xor_b32_e32 v18, 0x80000000, v16
	v_xor_b32_e32 v17, 0x80000000, v17
	ds_write_b64 v3, v[17:18] offset:27056
; %bb.948:
	s_or_b64 exec, exec, s[6:7]
	s_waitcnt lgkmcnt(0)
	s_barrier
	s_barrier
	s_and_saveexec_b64 s[6:7], s[48:49]
	s_cbranch_execz .LBB155_950
; %bb.949:
	v_lshlrev_b32_e32 v18, 3, v0
	s_movk_i32 s14, 0x1f8
	v_mad_u32_u24 v19, v0, s14, v18
	ds_read_b64 v[16:17], v19 offset:27056
	s_waitcnt lgkmcnt(0)
	ds_write_b64 v18, v[16:17] offset:28064
	ds_read_b64 v[16:17], v19 offset:27064
	s_waitcnt lgkmcnt(0)
	ds_write_b64 v18, v[16:17] offset:28576
.LBB155_950:
	s_or_b64 exec, exec, s[6:7]
	s_waitcnt lgkmcnt(0)
	s_barrier
	s_and_saveexec_b64 s[6:7], vcc
	s_cbranch_execz .LBB155_952
; %bb.951:
	v_mov_b32_e32 v20, 0
	ds_read_b128 v[16:19], v20 offset:28080
	ds_read_b64 v[20:21], v20 offset:28600
	s_movk_i32 s14, 0x6800
	s_waitcnt lgkmcnt(0)
	v_mul_f32_e32 v22, v21, v17
	v_mul_f32_e32 v23, v20, v17
	v_fma_f32 v20, v20, v16, -v22
	v_fmac_f32_e32 v23, v21, v16
	v_mul_f32_e32 v16, v23, v19
	v_mul_f32_e32 v17, v20, v19
	v_fma_f32 v16, v20, v18, -v16
	v_fmac_f32_e32 v17, v23, v18
	v_add_u32_e64 v18, s14, 0
	ds_write2_b64 v18, v[16:17], v[16:17] offset0:183 offset1:246
.LBB155_952:
	s_or_b64 exec, exec, s[6:7]
	v_mov_b32_e32 v16, 0
	v_mov_b32_e32 v17, 0
	s_waitcnt lgkmcnt(0)
	s_barrier
	s_and_saveexec_b64 s[6:7], s[12:13]
	s_cbranch_execz .LBB155_962
; %bb.953:
	v_mul_u32_u24_e32 v17, 0x208, v15
	ds_read_b64 v[18:19], v11 offset:25024
	ds_read_b64 v[20:21], v17 offset:24960
	v_cmp_gt_u32_e64 s[14:15], 56, v1
	s_waitcnt lgkmcnt(0)
	v_mul_f32_e32 v16, v21, v19
	v_mul_f32_e32 v19, v20, v19
	v_fma_f32 v16, v20, v18, -v16
	v_fmac_f32_e32 v19, v21, v18
	v_add_f32_e32 v16, 0, v16
	v_add_f32_e32 v18, 0, v19
	s_and_saveexec_b64 s[16:17], s[14:15]
	s_cbranch_execnz .LBB155_1158
; %bb.954:
	s_or_b64 exec, exec, s[16:17]
	v_cmp_gt_u32_e64 s[14:15], 48, v1
	s_and_saveexec_b64 s[16:17], s[14:15]
	s_cbranch_execnz .LBB155_1159
.LBB155_955:
	s_or_b64 exec, exec, s[16:17]
	v_cmp_gt_u32_e64 s[14:15], 40, v1
	s_and_saveexec_b64 s[16:17], s[14:15]
	s_cbranch_execnz .LBB155_1160
.LBB155_956:
	s_or_b64 exec, exec, s[16:17]
	v_cmp_gt_u32_e64 s[14:15], 32, v1
	s_and_saveexec_b64 s[16:17], s[14:15]
	s_cbranch_execnz .LBB155_1161
.LBB155_957:
	s_or_b64 exec, exec, s[16:17]
	v_cmp_gt_u32_e64 s[14:15], 24, v1
	s_and_saveexec_b64 s[16:17], s[14:15]
	s_cbranch_execnz .LBB155_1162
.LBB155_958:
	s_or_b64 exec, exec, s[16:17]
	v_cmp_gt_u32_e64 s[14:15], 16, v1
	s_and_saveexec_b64 s[16:17], s[14:15]
	s_cbranch_execnz .LBB155_1163
.LBB155_959:
	s_or_b64 exec, exec, s[16:17]
	v_cmp_gt_u32_e64 s[14:15], 8, v1
	s_and_saveexec_b64 s[16:17], s[14:15]
	s_cbranch_execz .LBB155_961
.LBB155_960:
	v_lshlrev_b32_e32 v14, 3, v0
	v_mov_b32_e32 v17, 0
	ds_read_b64 v[14:15], v14 offset:28608
	ds_read_b64 v[19:20], v17 offset:25016
	s_waitcnt lgkmcnt(0)
	v_mul_f32_e32 v17, v20, v15
	v_mul_f32_e32 v15, v19, v15
	v_fma_f32 v17, v19, v14, -v17
	v_fmac_f32_e32 v15, v20, v14
	v_add_f32_e32 v16, v16, v17
	v_add_f32_e32 v18, v18, v15
.LBB155_961:
	s_or_b64 exec, exec, s[16:17]
	v_xor_b32_e32 v17, 0x80000000, v16
	v_xor_b32_e32 v16, 0x80000000, v18
.LBB155_962:
	s_or_b64 exec, exec, s[6:7]
	s_and_saveexec_b64 s[6:7], s[66:67]
	s_cbranch_execz .LBB155_964
; %bb.963:
	v_mov_b32_e32 v14, 0
	ds_read_b64 v[14:15], v14 offset:29120
	s_waitcnt lgkmcnt(0)
	v_mul_f32_e32 v18, v17, v15
	v_mul_f32_e32 v19, v16, v15
	v_fmac_f32_e32 v18, v16, v14
	v_fma_f32 v17, v17, v14, -v19
	v_mov_b32_e32 v16, v18
	ds_write_b64 v13, v[17:18]
.LBB155_964:
	s_or_b64 exec, exec, s[6:7]
	s_waitcnt lgkmcnt(0)
	s_barrier
	s_and_saveexec_b64 s[6:7], s[68:69]
	v_readlane_b32 s66, v35, 5
	v_readlane_b32 s67, v35, 6
	s_cbranch_execz .LBB155_966
; %bb.965:
	ds_read_b64 v[14:15], v12 offset:29120
	ds_read_b64 v[18:19], v13
	s_waitcnt lgkmcnt(0)
	v_mul_f32_e32 v20, v19, v15
	v_mul_f32_e32 v15, v18, v15
	v_fma_f32 v18, v18, v14, -v20
	v_fmac_f32_e32 v15, v19, v14
	v_add_f32_e32 v17, v17, v18
	v_add_f32_e32 v16, v16, v15
.LBB155_966:
	s_or_b64 exec, exec, s[6:7]
	s_barrier
	s_and_saveexec_b64 s[6:7], s[70:71]
	s_cbranch_execz .LBB155_968
; %bb.967:
	v_mov_b32_e32 v14, 0
	ds_read_b64 v[14:15], v14 offset:29640
	s_waitcnt lgkmcnt(0)
	v_mul_f32_e32 v18, v17, v15
	v_mul_f32_e32 v19, v16, v15
	v_fmac_f32_e32 v18, v16, v14
	v_fma_f32 v17, v17, v14, -v19
	v_mov_b32_e32 v16, v18
	ds_write_b64 v13, v[17:18]
.LBB155_968:
	s_or_b64 exec, exec, s[6:7]
	s_waitcnt lgkmcnt(0)
	s_barrier
	s_and_saveexec_b64 s[6:7], s[72:73]
	s_cbranch_execz .LBB155_970
; %bb.969:
	ds_read_b64 v[14:15], v12 offset:29632
	ds_read_b64 v[18:19], v13
	s_waitcnt lgkmcnt(0)
	v_mul_f32_e32 v20, v19, v15
	v_mul_f32_e32 v15, v18, v15
	v_fma_f32 v18, v18, v14, -v20
	v_fmac_f32_e32 v15, v19, v14
	v_add_f32_e32 v17, v17, v18
	v_add_f32_e32 v16, v16, v15
.LBB155_970:
	s_or_b64 exec, exec, s[6:7]
	s_barrier
	s_and_saveexec_b64 s[6:7], s[74:75]
	s_cbranch_execz .LBB155_972
; %bb.971:
	v_mov_b32_e32 v14, 0
	ds_read_b64 v[14:15], v14 offset:30160
	s_waitcnt lgkmcnt(0)
	v_mul_f32_e32 v18, v17, v15
	v_mul_f32_e32 v19, v16, v15
	v_fmac_f32_e32 v18, v16, v14
	v_fma_f32 v17, v17, v14, -v19
	v_mov_b32_e32 v16, v18
	ds_write_b64 v13, v[17:18]
.LBB155_972:
	s_or_b64 exec, exec, s[6:7]
	s_waitcnt lgkmcnt(0)
	s_barrier
	s_and_saveexec_b64 s[6:7], s[76:77]
	;; [unrolled: 31-line block ×6, first 2 shown]
	s_cbranch_execz .LBB155_990
; %bb.989:
	v_mov_b32_e32 v12, 0
	ds_read_b64 v[14:15], v12 offset:32248
	ds_read_b64 v[18:19], v13
	s_waitcnt lgkmcnt(0)
	v_mul_f32_e32 v12, v19, v15
	v_mul_f32_e32 v15, v18, v15
	v_fma_f32 v12, v18, v14, -v12
	v_fmac_f32_e32 v15, v19, v14
	v_add_f32_e32 v17, v17, v12
	v_add_f32_e32 v16, v16, v15
.LBB155_990:
	s_or_b64 exec, exec, s[6:7]
	s_barrier
	s_and_saveexec_b64 s[6:7], s[64:65]
	s_cbranch_execz .LBB155_992
; %bb.991:
	v_mov_b32_e32 v12, 0
	ds_read_b64 v[14:15], v12 offset:32760
	s_waitcnt lgkmcnt(0)
	v_mul_f32_e32 v18, v17, v15
	v_mul_f32_e32 v12, v16, v15
	v_fmac_f32_e32 v18, v16, v14
	v_fma_f32 v17, v17, v14, -v12
	v_mov_b32_e32 v16, v18
	ds_write_b64 v13, v[17:18]
.LBB155_992:
	s_or_b64 exec, exec, s[6:7]
	s_waitcnt lgkmcnt(0)
	s_barrier
	s_barrier
	s_and_saveexec_b64 s[6:7], s[12:13]
; %bb.993:
	v_xor_b32_e32 v13, 0x80000000, v16
	v_xor_b32_e32 v12, 0x80000000, v17
	ds_write_b64 v11, v[12:13] offset:25024
; %bb.994:
	s_or_b64 exec, exec, s[6:7]
	s_waitcnt lgkmcnt(0)
	s_barrier
	s_barrier
	s_and_saveexec_b64 s[6:7], s[92:93]
	s_cbranch_execz .LBB155_996
; %bb.995:
	v_lshlrev_b32_e32 v13, 9, v0
	ds_read_b64 v[11:12], v13 offset:25024
	s_movk_i32 s12, 0xfe08
	v_mad_i32_i24 v14, v0, s12, v13
	s_waitcnt lgkmcnt(0)
	ds_write_b64 v14, v[11:12] offset:29056
	ds_read_b64 v[11:12], v13 offset:25032
	s_waitcnt lgkmcnt(0)
	ds_write_b64 v14, v[11:12] offset:29568
	ds_read_b64 v[11:12], v13 offset:25040
	s_waitcnt lgkmcnt(0)
	ds_write_b64 v14, v[11:12] offset:30080
	ds_read_b64 v[11:12], v13 offset:25048
	s_waitcnt lgkmcnt(0)
	ds_write_b64 v14, v[11:12] offset:30592
	ds_read_b64 v[11:12], v13 offset:25056
	s_waitcnt lgkmcnt(0)
	ds_write_b64 v14, v[11:12] offset:31104
	ds_read_b64 v[11:12], v13 offset:25064
	s_waitcnt lgkmcnt(0)
	ds_write_b64 v14, v[11:12] offset:31616
	ds_read_b64 v[11:12], v13 offset:25072
	s_waitcnt lgkmcnt(0)
	ds_write_b64 v14, v[11:12] offset:32128
	ds_read_b64 v[11:12], v13 offset:25080
	s_waitcnt lgkmcnt(0)
	ds_write_b64 v14, v[11:12] offset:32640
.LBB155_996:
	s_or_b64 exec, exec, s[6:7]
	s_waitcnt lgkmcnt(0)
	s_barrier
	s_and_saveexec_b64 s[6:7], vcc
	s_cbranch_execz .LBB155_998
; %bb.997:
	v_mov_b32_e32 v15, 0
	ds_read_b128 v[11:14], v15 offset:29120
	ds_read_b64 v[15:16], v15 offset:29640
	s_movk_i32 s12, 0x7000
	s_waitcnt lgkmcnt(0)
	v_mul_f32_e32 v17, v16, v12
	v_mul_f32_e32 v18, v15, v12
	v_fma_f32 v15, v15, v11, -v17
	v_fmac_f32_e32 v18, v16, v11
	v_mul_f32_e32 v11, v18, v14
	v_mul_f32_e32 v12, v15, v14
	v_fma_f32 v11, v15, v13, -v11
	v_fmac_f32_e32 v12, v18, v13
	v_add_u32_e64 v13, s12, 0
	ds_write2_b64 v13, v[11:12], v[11:12] offset0:57 offset1:120
.LBB155_998:
	s_or_b64 exec, exec, s[6:7]
	v_mov_b32_e32 v11, 0
	v_mov_b32_e32 v12, 0
	s_waitcnt lgkmcnt(0)
	s_barrier
	s_and_saveexec_b64 s[6:7], s[22:23]
	s_cbranch_execz .LBB155_1002
; %bb.999:
	v_mul_u32_u24_e32 v13, 0x208, v5
	ds_read_b64 v[11:12], v3 offset:29136
	ds_read_b64 v[13:14], v13 offset:29120
	v_cmp_gt_u32_e64 s[12:13], 2, v1
	s_waitcnt lgkmcnt(0)
	v_mul_f32_e32 v15, v14, v12
	v_mul_f32_e32 v12, v13, v12
	v_fma_f32 v13, v13, v11, -v15
	v_fmac_f32_e32 v12, v14, v11
	v_add_f32_e32 v11, 0, v13
	v_add_f32_e32 v13, 0, v12
	s_and_saveexec_b64 s[14:15], s[12:13]
	s_cbranch_execz .LBB155_1001
; %bb.1000:
	v_lshlrev_b32_e32 v12, 3, v0
	v_mov_b32_e32 v16, 0
	ds_read_b64 v[14:15], v12 offset:29648
	ds_read_b64 v[16:17], v16 offset:29128
	s_waitcnt lgkmcnt(0)
	v_mul_f32_e32 v12, v17, v15
	v_mul_f32_e32 v15, v16, v15
	v_fma_f32 v12, v16, v14, -v12
	v_fmac_f32_e32 v15, v17, v14
	v_add_f32_e32 v11, v11, v12
	v_add_f32_e32 v13, v13, v15
.LBB155_1001:
	s_or_b64 exec, exec, s[14:15]
	v_xor_b32_e32 v12, 0x80000000, v11
	v_xor_b32_e32 v11, 0x80000000, v13
.LBB155_1002:
	s_or_b64 exec, exec, s[6:7]
	s_and_saveexec_b64 s[6:7], s[46:47]
	s_cbranch_execz .LBB155_1004
; %bb.1003:
	v_mov_b32_e32 v13, 0
	ds_read_b64 v[13:14], v13 offset:30160
	s_waitcnt lgkmcnt(0)
	v_mul_f32_e32 v16, v11, v14
	v_mul_f32_e32 v15, v12, v14
	v_fma_f32 v14, v12, v13, -v16
	v_fmac_f32_e32 v15, v11, v13
	v_mov_b32_e32 v12, v14
	v_mov_b32_e32 v11, v15
	ds_write_b64 v4, v[14:15]
.LBB155_1004:
	s_or_b64 exec, exec, s[6:7]
	s_waitcnt lgkmcnt(0)
	s_barrier
	s_and_saveexec_b64 s[6:7], s[44:45]
	s_cbranch_execz .LBB155_1006
; %bb.1005:
	v_mov_b32_e32 v13, 0
	ds_read_b64 v[13:14], v13 offset:30168
	ds_read_b64 v[15:16], v4
	s_waitcnt lgkmcnt(0)
	v_mul_f32_e32 v17, v16, v14
	v_mul_f32_e32 v14, v15, v14
	v_fma_f32 v15, v15, v13, -v17
	v_fmac_f32_e32 v14, v16, v13
	v_add_f32_e32 v12, v12, v15
	v_add_f32_e32 v11, v11, v14
.LBB155_1006:
	s_or_b64 exec, exec, s[6:7]
	s_barrier
	s_and_saveexec_b64 s[6:7], s[44:45]
	s_cbranch_execz .LBB155_1008
; %bb.1007:
	v_mov_b32_e32 v13, 0
	ds_read_b64 v[13:14], v13 offset:30680
	s_waitcnt lgkmcnt(0)
	v_mul_f32_e32 v16, v11, v14
	v_mul_f32_e32 v15, v12, v14
	v_fma_f32 v14, v12, v13, -v16
	v_fmac_f32_e32 v15, v11, v13
	v_mov_b32_e32 v12, v14
	v_mov_b32_e32 v11, v15
	ds_write_b64 v4, v[14:15]
.LBB155_1008:
	s_or_b64 exec, exec, s[6:7]
	s_waitcnt lgkmcnt(0)
	s_barrier
	s_barrier
	s_and_saveexec_b64 s[6:7], s[22:23]
; %bb.1009:
	v_xor_b32_e32 v13, 0x80000000, v11
	v_xor_b32_e32 v12, 0x80000000, v12
	ds_write_b64 v3, v[12:13] offset:29136
; %bb.1010:
	s_or_b64 exec, exec, s[6:7]
	s_waitcnt lgkmcnt(0)
	s_barrier
	s_barrier
	s_and_saveexec_b64 s[6:7], s[48:49]
	s_cbranch_execz .LBB155_1012
; %bb.1011:
	v_lshlrev_b32_e32 v13, 3, v0
	s_movk_i32 s12, 0x1f8
	v_mad_u32_u24 v14, v0, s12, v13
	ds_read_b64 v[11:12], v14 offset:29136
	s_waitcnt lgkmcnt(0)
	ds_write_b64 v13, v[11:12] offset:30144
	ds_read_b64 v[11:12], v14 offset:29144
	s_waitcnt lgkmcnt(0)
	ds_write_b64 v13, v[11:12] offset:30656
.LBB155_1012:
	s_or_b64 exec, exec, s[6:7]
	s_waitcnt lgkmcnt(0)
	s_barrier
	s_and_saveexec_b64 s[6:7], vcc
	s_cbranch_execz .LBB155_1014
; %bb.1013:
	v_mov_b32_e32 v15, 0
	ds_read_b128 v[11:14], v15 offset:30160
	ds_read_b64 v[15:16], v15 offset:30680
	s_movk_i32 s12, 0x7000
	s_waitcnt lgkmcnt(0)
	v_mul_f32_e32 v17, v16, v12
	v_mul_f32_e32 v18, v15, v12
	v_fma_f32 v15, v15, v11, -v17
	v_fmac_f32_e32 v18, v16, v11
	v_mul_f32_e32 v11, v18, v14
	v_mul_f32_e32 v12, v15, v14
	v_fma_f32 v11, v15, v13, -v11
	v_fmac_f32_e32 v12, v18, v13
	v_add_u32_e64 v13, s12, 0
	ds_write2_b64 v13, v[11:12], v[11:12] offset0:187 offset1:250
.LBB155_1014:
	s_or_b64 exec, exec, s[6:7]
	v_mov_b32_e32 v11, 0
	v_mov_b32_e32 v12, 0
	s_waitcnt lgkmcnt(0)
	s_barrier
	s_and_saveexec_b64 s[6:7], s[10:11]
	s_cbranch_execz .LBB155_1020
; %bb.1015:
	v_mul_u32_u24_e32 v12, 0x208, v10
	ds_read_b64 v[13:14], v6 offset:29152
	ds_read_b64 v[15:16], v12 offset:29120
	v_cmp_gt_u32_e64 s[12:13], 12, v1
	s_waitcnt lgkmcnt(0)
	v_mul_f32_e32 v11, v16, v14
	v_mul_f32_e32 v14, v15, v14
	v_fma_f32 v11, v15, v13, -v11
	v_fmac_f32_e32 v14, v16, v13
	v_add_f32_e32 v11, 0, v11
	v_add_f32_e32 v13, 0, v14
	s_and_saveexec_b64 s[14:15], s[12:13]
	s_cbranch_execnz .LBB155_1164
; %bb.1016:
	s_or_b64 exec, exec, s[14:15]
	v_cmp_gt_u32_e64 s[12:13], 8, v1
	s_and_saveexec_b64 s[14:15], s[12:13]
	s_cbranch_execnz .LBB155_1165
.LBB155_1017:
	s_or_b64 exec, exec, s[14:15]
	v_cmp_gt_u32_e64 s[12:13], 4, v1
	s_and_saveexec_b64 s[14:15], s[12:13]
	s_cbranch_execz .LBB155_1019
.LBB155_1018:
	v_lshlrev_b32_e32 v9, 3, v0
	v_mov_b32_e32 v12, 0
	ds_read_b64 v[9:10], v9 offset:30688
	ds_read_b64 v[14:15], v12 offset:29144
	s_waitcnt lgkmcnt(0)
	v_mul_f32_e32 v12, v15, v10
	v_mul_f32_e32 v10, v14, v10
	v_fma_f32 v12, v14, v9, -v12
	v_fmac_f32_e32 v10, v15, v9
	v_add_f32_e32 v11, v11, v12
	v_add_f32_e32 v13, v13, v10
.LBB155_1019:
	s_or_b64 exec, exec, s[14:15]
	v_xor_b32_e32 v12, 0x80000000, v11
	v_xor_b32_e32 v11, 0x80000000, v13
.LBB155_1020:
	s_or_b64 exec, exec, s[6:7]
	s_and_saveexec_b64 s[6:7], s[52:53]
	s_cbranch_execz .LBB155_1022
; %bb.1021:
	v_mov_b32_e32 v9, 0
	ds_read_b64 v[9:10], v9 offset:31200
	s_waitcnt lgkmcnt(0)
	v_mul_f32_e32 v13, v12, v10
	v_mul_f32_e32 v14, v11, v10
	v_fmac_f32_e32 v13, v11, v9
	v_fma_f32 v12, v12, v9, -v14
	v_mov_b32_e32 v11, v13
	ds_write_b64 v8, v[12:13]
.LBB155_1022:
	s_or_b64 exec, exec, s[6:7]
	s_waitcnt lgkmcnt(0)
	s_barrier
	s_and_saveexec_b64 s[6:7], s[54:55]
	v_readlane_b32 s52, v35, 3
	v_readlane_b32 s53, v35, 4
	s_cbranch_execz .LBB155_1024
; %bb.1023:
	ds_read_b64 v[9:10], v7 offset:31200
	ds_read_b64 v[13:14], v8
	s_waitcnt lgkmcnt(0)
	v_mul_f32_e32 v15, v14, v10
	v_mul_f32_e32 v10, v13, v10
	v_fma_f32 v13, v13, v9, -v15
	v_fmac_f32_e32 v10, v14, v9
	v_add_f32_e32 v12, v12, v13
	v_add_f32_e32 v11, v11, v10
.LBB155_1024:
	s_or_b64 exec, exec, s[6:7]
	s_barrier
	s_and_saveexec_b64 s[6:7], s[56:57]
	s_cbranch_execz .LBB155_1026
; %bb.1025:
	v_mov_b32_e32 v9, 0
	ds_read_b64 v[9:10], v9 offset:31720
	s_waitcnt lgkmcnt(0)
	v_mul_f32_e32 v13, v12, v10
	v_mul_f32_e32 v14, v11, v10
	v_fmac_f32_e32 v13, v11, v9
	v_fma_f32 v12, v12, v9, -v14
	v_mov_b32_e32 v11, v13
	ds_write_b64 v8, v[12:13]
.LBB155_1026:
	s_or_b64 exec, exec, s[6:7]
	s_waitcnt lgkmcnt(0)
	s_barrier
	s_and_saveexec_b64 s[6:7], s[58:59]
	s_cbranch_execz .LBB155_1028
; %bb.1027:
	ds_read_b64 v[9:10], v7 offset:31712
	ds_read_b64 v[13:14], v8
	s_waitcnt lgkmcnt(0)
	v_mul_f32_e32 v7, v14, v10
	v_mul_f32_e32 v10, v13, v10
	v_fma_f32 v7, v13, v9, -v7
	v_fmac_f32_e32 v10, v14, v9
	v_add_f32_e32 v12, v12, v7
	v_add_f32_e32 v11, v11, v10
.LBB155_1028:
	s_or_b64 exec, exec, s[6:7]
	s_barrier
	s_and_saveexec_b64 s[6:7], s[60:61]
	s_cbranch_execz .LBB155_1030
; %bb.1029:
	v_mov_b32_e32 v7, 0
	ds_read_b64 v[9:10], v7 offset:32240
	s_waitcnt lgkmcnt(0)
	v_mul_f32_e32 v13, v12, v10
	v_mul_f32_e32 v7, v11, v10
	v_fmac_f32_e32 v13, v11, v9
	v_fma_f32 v12, v12, v9, -v7
	v_mov_b32_e32 v11, v13
	ds_write_b64 v8, v[12:13]
.LBB155_1030:
	s_or_b64 exec, exec, s[6:7]
	s_waitcnt lgkmcnt(0)
	s_barrier
	s_and_saveexec_b64 s[6:7], s[50:51]
	s_cbranch_execz .LBB155_1032
; %bb.1031:
	v_mov_b32_e32 v7, 0
	ds_read_b64 v[9:10], v7 offset:32248
	ds_read_b64 v[13:14], v8
	s_waitcnt lgkmcnt(0)
	v_mul_f32_e32 v7, v14, v10
	v_mul_f32_e32 v10, v13, v10
	v_fma_f32 v7, v13, v9, -v7
	v_fmac_f32_e32 v10, v14, v9
	v_add_f32_e32 v12, v12, v7
	v_add_f32_e32 v11, v11, v10
.LBB155_1032:
	s_or_b64 exec, exec, s[6:7]
	s_barrier
	s_and_saveexec_b64 s[6:7], s[50:51]
	s_cbranch_execz .LBB155_1034
; %bb.1033:
	v_mov_b32_e32 v7, 0
	ds_read_b64 v[9:10], v7 offset:32760
	s_waitcnt lgkmcnt(0)
	v_mul_f32_e32 v13, v12, v10
	v_mul_f32_e32 v7, v11, v10
	v_fmac_f32_e32 v13, v11, v9
	v_fma_f32 v12, v12, v9, -v7
	v_mov_b32_e32 v11, v13
	ds_write_b64 v8, v[12:13]
.LBB155_1034:
	s_or_b64 exec, exec, s[6:7]
	s_waitcnt lgkmcnt(0)
	s_barrier
	s_barrier
	s_and_saveexec_b64 s[6:7], s[10:11]
; %bb.1035:
	v_xor_b32_e32 v7, 0x80000000, v12
	v_xor_b32_e32 v8, 0x80000000, v11
	ds_write_b64 v6, v[7:8] offset:29152
; %bb.1036:
	s_or_b64 exec, exec, s[6:7]
	s_waitcnt lgkmcnt(0)
	s_barrier
	s_barrier
	s_and_saveexec_b64 s[6:7], s[62:63]
	s_cbranch_execz .LBB155_1038
; %bb.1037:
	v_lshlrev_b32_e32 v8, 9, v0
	ds_read_b64 v[6:7], v8 offset:29152
	s_movk_i32 s10, 0xfe08
	v_mad_i32_i24 v9, v0, s10, v8
	s_waitcnt lgkmcnt(0)
	ds_write_b64 v9, v[6:7] offset:31168
	ds_read_b64 v[6:7], v8 offset:29160
	s_waitcnt lgkmcnt(0)
	ds_write_b64 v9, v[6:7] offset:31680
	ds_read_b64 v[6:7], v8 offset:29168
	;; [unrolled: 3-line block ×3, first 2 shown]
	s_waitcnt lgkmcnt(0)
	ds_write_b64 v9, v[6:7] offset:32704
.LBB155_1038:
	s_or_b64 exec, exec, s[6:7]
	s_waitcnt lgkmcnt(0)
	s_barrier
	s_and_saveexec_b64 s[6:7], vcc
	s_cbranch_execz .LBB155_1040
; %bb.1039:
	v_mov_b32_e32 v10, 0
	ds_read_b128 v[6:9], v10 offset:31200
	ds_read_b64 v[10:11], v10 offset:31720
	s_movk_i32 s10, 0x7800
	s_waitcnt lgkmcnt(0)
	v_mul_f32_e32 v12, v11, v7
	v_mul_f32_e32 v13, v10, v7
	v_fma_f32 v10, v10, v6, -v12
	v_fmac_f32_e32 v13, v11, v6
	v_mul_f32_e32 v6, v13, v9
	v_mul_f32_e32 v7, v10, v9
	v_fma_f32 v6, v10, v8, -v6
	v_fmac_f32_e32 v7, v13, v8
	v_add_u32_e64 v8, s10, 0
	ds_write2_b64 v8, v[6:7], v[6:7] offset0:61 offset1:124
.LBB155_1040:
	s_or_b64 exec, exec, s[6:7]
	v_mov_b32_e32 v6, 0
	v_mov_b32_e32 v7, 0
	s_waitcnt lgkmcnt(0)
	s_barrier
	s_and_saveexec_b64 s[6:7], s[22:23]
	s_cbranch_execz .LBB155_1044
; %bb.1041:
	v_mul_u32_u24_e32 v7, 0x208, v5
	ds_read_b64 v[5:6], v3 offset:31216
	ds_read_b64 v[7:8], v7 offset:31200
	v_cmp_gt_u32_e64 s[10:11], 2, v1
	s_waitcnt lgkmcnt(0)
	v_mul_f32_e32 v9, v8, v6
	v_mul_f32_e32 v6, v7, v6
	v_fma_f32 v7, v7, v5, -v9
	v_fmac_f32_e32 v6, v8, v5
	v_add_f32_e32 v5, 0, v7
	v_add_f32_e32 v6, 0, v6
	s_and_saveexec_b64 s[12:13], s[10:11]
	s_cbranch_execz .LBB155_1043
; %bb.1042:
	v_lshlrev_b32_e32 v7, 3, v0
	v_mov_b32_e32 v9, 0
	ds_read_b64 v[7:8], v7 offset:31728
	ds_read_b64 v[9:10], v9 offset:31208
	s_waitcnt lgkmcnt(0)
	v_mul_f32_e32 v11, v10, v8
	v_mul_f32_e32 v8, v9, v8
	v_fma_f32 v9, v9, v7, -v11
	v_fmac_f32_e32 v8, v10, v7
	v_add_f32_e32 v5, v5, v9
	v_add_f32_e32 v6, v6, v8
.LBB155_1043:
	s_or_b64 exec, exec, s[12:13]
	v_xor_b32_e32 v7, 0x80000000, v5
	v_xor_b32_e32 v6, 0x80000000, v6
.LBB155_1044:
	s_or_b64 exec, exec, s[6:7]
	s_and_saveexec_b64 s[6:7], s[46:47]
	s_cbranch_execz .LBB155_1046
; %bb.1045:
	v_mov_b32_e32 v5, 0
	ds_read_b64 v[8:9], v5 offset:32240
	s_waitcnt lgkmcnt(0)
	v_mul_f32_e32 v5, v6, v9
	v_mul_f32_e32 v10, v7, v9
	v_fma_f32 v9, v7, v8, -v5
	v_fmac_f32_e32 v10, v6, v8
	v_mov_b32_e32 v7, v9
	v_mov_b32_e32 v6, v10
	ds_write_b64 v4, v[9:10]
.LBB155_1046:
	s_or_b64 exec, exec, s[6:7]
	s_waitcnt lgkmcnt(0)
	s_barrier
	s_and_saveexec_b64 s[6:7], s[44:45]
	s_load_dword s40, s[4:5], 0x6c
	v_readlane_b32 s46, v35, 2
	s_cbranch_execz .LBB155_1048
; %bb.1047:
	v_mov_b32_e32 v5, 0
	ds_read_b64 v[8:9], v5 offset:32248
	ds_read_b64 v[10:11], v4
	s_waitcnt lgkmcnt(0)
	v_mul_f32_e32 v5, v11, v9
	v_mul_f32_e32 v9, v10, v9
	v_fma_f32 v5, v10, v8, -v5
	v_fmac_f32_e32 v9, v11, v8
	v_add_f32_e32 v7, v7, v5
	v_add_f32_e32 v6, v6, v9
.LBB155_1048:
	s_or_b64 exec, exec, s[6:7]
	s_waitcnt lgkmcnt(0)
	s_barrier
	s_and_saveexec_b64 s[6:7], s[44:45]
	s_cbranch_execz .LBB155_1050
; %bb.1049:
	v_mov_b32_e32 v5, 0
	ds_read_b64 v[8:9], v5 offset:32760
	s_waitcnt lgkmcnt(0)
	v_mul_f32_e32 v5, v6, v9
	v_mul_f32_e32 v10, v7, v9
	v_fma_f32 v9, v7, v8, -v5
	v_fmac_f32_e32 v10, v6, v8
	v_mov_b32_e32 v7, v9
	v_mov_b32_e32 v6, v10
	ds_write_b64 v4, v[9:10]
.LBB155_1050:
	s_or_b64 exec, exec, s[6:7]
	s_waitcnt lgkmcnt(0)
	s_barrier
	s_barrier
	s_and_saveexec_b64 s[6:7], s[22:23]
; %bb.1051:
	v_xor_b32_e32 v5, 0x80000000, v6
	v_xor_b32_e32 v4, 0x80000000, v7
	ds_write_b64 v3, v[4:5] offset:31216
; %bb.1052:
	s_or_b64 exec, exec, s[6:7]
	s_waitcnt lgkmcnt(0)
	s_barrier
	s_barrier
	s_and_saveexec_b64 s[6:7], s[48:49]
	s_cbranch_execz .LBB155_1054
; %bb.1053:
	v_lshlrev_b32_e32 v5, 3, v0
	s_movk_i32 s10, 0x1f8
	v_mad_u32_u24 v6, v0, s10, v5
	ds_read_b64 v[3:4], v6 offset:31216
	s_waitcnt lgkmcnt(0)
	ds_write_b64 v5, v[3:4] offset:32224
	ds_read_b64 v[3:4], v6 offset:31224
	s_waitcnt lgkmcnt(0)
	ds_write_b64 v5, v[3:4] offset:32736
.LBB155_1054:
	s_or_b64 exec, exec, s[6:7]
	s_waitcnt lgkmcnt(0)
	s_barrier
	s_and_saveexec_b64 s[6:7], vcc
	s_cbranch_execz .LBB155_1056
; %bb.1055:
	v_mov_b32_e32 v7, 0
	ds_read_b128 v[3:6], v7 offset:32240
	ds_read_b64 v[7:8], v7 offset:32760
	s_movk_i32 s10, 0x7800
	s_waitcnt lgkmcnt(0)
	v_mul_f32_e32 v9, v8, v4
	v_mul_f32_e32 v10, v7, v4
	v_fma_f32 v7, v7, v3, -v9
	v_fmac_f32_e32 v10, v8, v3
	v_mul_f32_e32 v3, v10, v6
	v_mul_f32_e32 v4, v7, v6
	v_fma_f32 v3, v7, v5, -v3
	v_fmac_f32_e32 v4, v10, v5
	v_add_u32_e64 v5, s10, 0
	ds_write2_b64 v5, v[3:4], v[3:4] offset0:191 offset1:254
.LBB155_1056:
	s_or_b64 exec, exec, s[6:7]
.LBB155_1057:
	s_lshl_b64 s[6:7], s[28:29], 3
	s_add_u32 s28, s66, s6
	v_cmp_le_i32_e32 vcc, s42, v0
	s_addc_u32 s29, s67, s7
	s_and_b64 s[18:19], vcc, s[26:27]
	v_cmp_eq_u32_e64 s[16:17], 0, v2
	s_xor_b64 s[6:7], s[18:19], -1
	s_and_b64 s[10:11], s[16:17], s[6:7]
	v_mov_b32_e32 v3, 0
	v_add_u32_e32 v5, s33, v0
	v_mov_b32_e32 v4, 0
	s_waitcnt lgkmcnt(0)
	s_barrier
	s_and_saveexec_b64 s[6:7], s[10:11]
	s_cbranch_execz .LBB155_1059
; %bb.1058:
	v_ashrrev_i32_e32 v6, 31, v5
	v_mul_lo_u32 v7, s31, v5
	v_mad_u64_u32 v[3:4], s[10:11], s30, v5, 0
	v_mul_lo_u32 v6, s30, v6
	v_add3_u32 v4, v4, v6, v7
	v_lshlrev_b64 v[3:4], 3, v[3:4]
	v_mov_b32_e32 v6, s29
	v_add_co_u32_e32 v3, vcc, s28, v3
	v_addc_co_u32_e32 v4, vcc, v6, v4, vcc
	flat_load_dwordx2 v[6:7], v[3:4]
	s_waitcnt vmcnt(0) lgkmcnt(0)
	v_mul_f32_e32 v3, s52, v6
	v_mul_f32_e32 v4, s52, v7
	v_fma_f32 v3, s53, v7, -v3
	v_fma_f32 v4, v6, -s53, -v4
.LBB155_1059:
	s_or_b64 exec, exec, s[6:7]
	s_load_dwordx2 s[6:7], s[4:5], 0x50
	s_and_b32 s4, 0xffff, s40
	v_mad_u32_u24 v8, v2, s4, v0
	s_cmp_lt_i32 s8, 1
	v_cmp_eq_u32_e64 s[4:5], 0, v8
	s_cbranch_scc1 .LBB155_1078
; %bb.1060:
	v_ashrrev_i32_e32 v6, 31, v5
	v_mul_lo_u32 v9, s38, v6
	v_mul_lo_u32 v10, s39, v5
	v_mad_u64_u32 v[6:7], s[10:11], s38, v5, 0
	v_cmp_gt_i32_e64 s[12:13], s36, v5
	s_lshl_b64 s[10:11], s[34:35], 2
	v_add3_u32 v7, v7, v9, v10
	v_lshlrev_b64 v[5:6], 3, v[6:7]
	s_mov_b64 s[20:21], src_private_base
	s_waitcnt lgkmcnt(0)
	s_add_u32 s22, s6, s10
	v_mov_b32_e32 v10, 0xa000
	v_mov_b32_e32 v7, s96
	v_add_co_u32_e32 v11, vcc, s43, v5
	s_mov_b32 s20, 0
	s_addc_u32 s23, s7, s11
	v_cmp_gt_u32_e64 s[10:11], 64, v8
	v_lshl_add_u32 v9, v8, 3, v10
	v_lshl_or_b32 v10, v2, 3, v10
	s_add_i32 s97, s97, 1
	v_addc_co_u32_e32 v12, vcc, v7, v6, vcc
	v_mov_b32_e32 v15, -1
	v_mov_b32_e32 v5, 0
	v_mov_b32_e32 v13, 0
	;; [unrolled: 1-line block ×5, first 2 shown]
	s_branch .LBB155_1062
.LBB155_1061:                           ;   in Loop: Header=BB155_1062 Depth=1
	s_or_b64 exec, exec, s[24:25]
	s_add_i32 s20, s20, 1
	s_cmp_eq_u32 s20, s8
	s_cbranch_scc1 .LBB155_1078
.LBB155_1062:                           ; =>This Loop Header: Depth=1
                                        ;     Child Loop BB155_1064 Depth 2
	v_cmp_gt_i32_e32 vcc, s20, v15
	s_and_b64 s[24:25], s[4:5], vcc
	s_and_saveexec_b64 s[14:15], s[24:25]
	s_cbranch_execz .LBB155_1065
; %bb.1063:                             ;   in Loop: Header=BB155_1062 Depth=1
	global_load_dword v15, v5, s[22:23]
	s_waitcnt vmcnt(0)
	v_cmp_le_i32_e32 vcc, s20, v15
	s_cbranch_vccnz .LBB155_1065
.LBB155_1064:                           ;   Parent Loop BB155_1062 Depth=1
                                        ; =>  This Inner Loop Header: Depth=2
	buffer_wbinvl1_vol
	global_load_dword v15, v5, s[22:23]
	s_waitcnt vmcnt(0)
	v_cmp_gt_i32_e32 vcc, s20, v15
	s_cbranch_vccnz .LBB155_1064
.LBB155_1065:                           ;   in Loop: Header=BB155_1062 Depth=1
	s_or_b64 exec, exec, s[14:15]
	s_sub_i32 s38, s9, s20
	s_lshl_b32 s39, s38, 6
	buffer_wbinvl1_vol
	s_barrier
	s_and_saveexec_b64 s[14:15], s[10:11]
	s_cbranch_execz .LBB155_1070
; %bb.1066:                             ;   in Loop: Header=BB155_1062 Depth=1
	s_ashr_i32 s24, s39, 31
	v_mov_b32_e32 v7, s24
	v_or_b32_e32 v6, s39, v8
	v_cmp_le_i64_e32 vcc, s[36:37], v[6:7]
	s_and_saveexec_b64 s[24:25], vcc
	s_xor_b64 s[24:25], exec, s[24:25]
; %bb.1067:                             ;   in Loop: Header=BB155_1062 Depth=1
	v_mov_b32_e32 v6, v5
	ds_write_b64 v9, v[5:6]
                                        ; implicit-def: $vgpr6_vgpr7
; %bb.1068:                             ;   in Loop: Header=BB155_1062 Depth=1
	s_andn2_saveexec_b64 s[24:25], s[24:25]
	s_cbranch_execz .LBB155_1070
; %bb.1069:                             ;   in Loop: Header=BB155_1062 Depth=1
	v_mul_lo_u32 v18, v7, s30
	v_mul_lo_u32 v19, v6, s31
	v_mad_u64_u32 v[6:7], s[24:25], v6, s30, 0
	v_add3_u32 v7, v7, v19, v18
	v_lshlrev_b64 v[6:7], 3, v[6:7]
	v_mov_b32_e32 v18, s29
	v_add_co_u32_e32 v6, vcc, s28, v6
	v_addc_co_u32_e32 v7, vcc, v18, v7, vcc
	flat_load_dwordx2 v[6:7], v[6:7]
	s_waitcnt vmcnt(0) lgkmcnt(0)
	ds_write_b64 v9, v[6:7]
.LBB155_1070:                           ;   in Loop: Header=BB155_1062 Depth=1
	s_or_b64 exec, exec, s[14:15]
	v_add_u32_e32 v6, s39, v2
	v_ashrrev_i32_e32 v7, 31, v6
	v_lshlrev_b64 v[18:19], 3, v[6:7]
	s_cmp_eq_u32 s38, s97
	v_add_co_u32_e32 v18, vcc, v11, v18
	v_addc_co_u32_e32 v7, vcc, v12, v19, vcc
	v_cmp_gt_i32_e32 vcc, s36, v6
	s_cselect_b64 s[14:15], -1, 0
	s_and_b64 s[38:39], vcc, s[12:13]
	s_waitcnt lgkmcnt(0)
	s_barrier
	s_and_saveexec_b64 s[24:25], s[38:39]
	s_cbranch_execz .LBB155_1072
; %bb.1071:                             ;   in Loop: Header=BB155_1062 Depth=1
	v_mov_b32_e32 v19, s21
	v_cndmask_b32_e64 v20, v7, v19, s[14:15]
	v_cndmask_b32_e64 v19, v18, v13, s[14:15]
	flat_load_dwordx2 v[19:20], v[19:20]
	ds_read_b64 v[21:22], v10
	s_waitcnt vmcnt(0) lgkmcnt(0)
	v_mul_f32_e32 v23, v22, v20
	v_mul_f32_e32 v20, v21, v20
	v_fma_f32 v21, v21, v19, -v23
	v_fmac_f32_e32 v20, v22, v19
	v_add_f32_e32 v3, v3, v21
	v_add_f32_e32 v4, v4, v20
.LBB155_1072:                           ;   in Loop: Header=BB155_1062 Depth=1
	s_or_b64 exec, exec, s[24:25]
	v_add_u32_e32 v19, 16, v6
	v_cmp_gt_i32_e32 vcc, s36, v19
	s_and_b64 s[38:39], vcc, s[12:13]
	s_and_saveexec_b64 s[24:25], s[38:39]
	s_cbranch_execz .LBB155_1074
; %bb.1073:                             ;   in Loop: Header=BB155_1062 Depth=1
	v_add_co_u32_e32 v19, vcc, 0x80, v18
	v_addc_co_u32_e32 v20, vcc, 0, v7, vcc
	v_mov_b32_e32 v21, s21
	v_cndmask_b32_e64 v20, v20, v21, s[14:15]
	v_cndmask_b32_e64 v19, v19, v14, s[14:15]
	flat_load_dwordx2 v[19:20], v[19:20]
	ds_read_b64 v[21:22], v10 offset:128
	s_waitcnt vmcnt(0) lgkmcnt(0)
	v_mul_f32_e32 v23, v22, v20
	v_mul_f32_e32 v20, v21, v20
	v_fma_f32 v21, v21, v19, -v23
	v_fmac_f32_e32 v20, v22, v19
	v_add_f32_e32 v3, v3, v21
	v_add_f32_e32 v4, v4, v20
.LBB155_1074:                           ;   in Loop: Header=BB155_1062 Depth=1
	s_or_b64 exec, exec, s[24:25]
	v_add_u32_e32 v19, 32, v6
	v_cmp_gt_i32_e32 vcc, s36, v19
	s_and_b64 s[38:39], vcc, s[12:13]
	s_and_saveexec_b64 s[24:25], s[38:39]
	s_cbranch_execz .LBB155_1076
; %bb.1075:                             ;   in Loop: Header=BB155_1062 Depth=1
	v_add_co_u32_e32 v19, vcc, 0x100, v18
	v_addc_co_u32_e32 v20, vcc, 0, v7, vcc
	v_mov_b32_e32 v21, s21
	v_cndmask_b32_e64 v20, v20, v21, s[14:15]
	v_cndmask_b32_e64 v19, v19, v16, s[14:15]
	flat_load_dwordx2 v[19:20], v[19:20]
	ds_read_b64 v[21:22], v10 offset:256
	s_waitcnt vmcnt(0) lgkmcnt(0)
	v_mul_f32_e32 v23, v22, v20
	v_mul_f32_e32 v20, v21, v20
	v_fma_f32 v21, v21, v19, -v23
	v_fmac_f32_e32 v20, v22, v19
	v_add_f32_e32 v3, v3, v21
	v_add_f32_e32 v4, v4, v20
.LBB155_1076:                           ;   in Loop: Header=BB155_1062 Depth=1
	s_or_b64 exec, exec, s[24:25]
	v_add_u32_e32 v6, 48, v6
	v_cmp_gt_i32_e32 vcc, s36, v6
	s_and_b64 s[38:39], vcc, s[12:13]
	s_and_saveexec_b64 s[24:25], s[38:39]
	s_cbranch_execz .LBB155_1061
; %bb.1077:                             ;   in Loop: Header=BB155_1062 Depth=1
	v_add_co_u32_e32 v6, vcc, 0x180, v18
	v_addc_co_u32_e32 v7, vcc, 0, v7, vcc
	v_mov_b32_e32 v18, s21
	v_cndmask_b32_e64 v7, v7, v18, s[14:15]
	v_cndmask_b32_e64 v6, v6, v17, s[14:15]
	flat_load_dwordx2 v[6:7], v[6:7]
	ds_read_b64 v[18:19], v10 offset:384
	s_waitcnt vmcnt(0) lgkmcnt(0)
	v_mul_f32_e32 v20, v19, v7
	v_mul_f32_e32 v7, v18, v7
	v_fma_f32 v18, v18, v6, -v20
	v_fmac_f32_e32 v7, v19, v6
	v_add_f32_e32 v3, v3, v18
	v_add_f32_e32 v4, v4, v7
	s_branch .LBB155_1061
.LBB155_1078:
	s_xor_b64 s[4:5], s[26:27], -1
	v_lshlrev_b32_e32 v1, 3, v1
	ds_write_b64 v1, v[3:4] offset:32768
	s_waitcnt lgkmcnt(0)
	s_barrier
	s_and_saveexec_b64 s[8:9], s[16:17]
	s_cbranch_execz .LBB155_1080
; %bb.1079:
	v_lshlrev_b32_e32 v7, 3, v0
	ds_read2st64_b64 v[9:12], v7 offset0:65 offset1:66
	ds_read2st64_b64 v[13:16], v7 offset0:67 offset1:68
	ds_read_b64 v[17:18], v7 offset:40448
	s_waitcnt lgkmcnt(2)
	v_add_f32_e32 v3, v3, v9
	v_add_f32_e32 v4, v4, v10
	;; [unrolled: 1-line block ×4, first 2 shown]
	ds_read2st64_b64 v[3:6], v7 offset0:69 offset1:70
	s_waitcnt lgkmcnt(2)
	v_add_f32_e32 v9, v9, v13
	v_add_f32_e32 v10, v10, v14
	;; [unrolled: 1-line block ×4, first 2 shown]
	s_waitcnt lgkmcnt(0)
	v_add_f32_e32 v3, v9, v3
	ds_read2st64_b64 v[9:12], v7 offset0:71 offset1:72
	v_add_f32_e32 v4, v13, v4
	v_add_f32_e32 v13, v3, v5
	;; [unrolled: 1-line block ×3, first 2 shown]
	ds_read2st64_b64 v[3:6], v7 offset0:73 offset1:74
	s_waitcnt lgkmcnt(1)
	v_add_f32_e32 v9, v13, v9
	v_add_f32_e32 v10, v14, v10
	;; [unrolled: 1-line block ×4, first 2 shown]
	s_waitcnt lgkmcnt(0)
	v_add_f32_e32 v3, v9, v3
	ds_read2st64_b64 v[9:12], v7 offset0:75 offset1:76
	v_add_f32_e32 v4, v13, v4
	v_add_f32_e32 v13, v3, v5
	;; [unrolled: 1-line block ×3, first 2 shown]
	ds_read2st64_b64 v[3:6], v7 offset0:77 offset1:78
	s_waitcnt lgkmcnt(1)
	v_add_f32_e32 v7, v13, v9
	v_add_f32_e32 v9, v14, v10
	v_add_f32_e32 v7, v7, v11
	v_add_f32_e32 v9, v9, v12
	s_waitcnt lgkmcnt(0)
	v_add_f32_e32 v3, v7, v3
	v_add_f32_e32 v4, v9, v4
	v_add_f32_e32 v3, v3, v5
	v_add_f32_e32 v4, v4, v6
	v_add_f32_e32 v3, v3, v17
	v_add_f32_e32 v4, v4, v18
	v_cndmask_b32_e64 v3, -v3, 0, s[18:19]
	v_cndmask_b32_e64 v4, -v4, 0, s[18:19]
.LBB155_1080:
	s_or_b64 exec, exec, s[8:9]
	v_readlane_b32 s8, v35, 0
	v_readlane_b32 s9, v35, 1
	s_and_b64 vcc, exec, s[8:9]
	s_cbranch_vccnz .LBB155_1093
; %bb.1081:
	v_mov_b32_e32 v5, 0xa000
	v_lshl_or_b32 v7, v2, 3, v5
	s_and_saveexec_b64 s[8:9], s[16:17]
; %bb.1082:
	v_lshl_add_u32 v5, v0, 3, v7
	ds_write_b64 v5, v[3:4]
; %bb.1083:
	s_or_b64 exec, exec, s[8:9]
	v_cmp_le_u32_e32 vcc, v0, v2
	v_mov_b32_e32 v5, 0
	v_mov_b32_e32 v6, 0
	s_waitcnt lgkmcnt(0)
	s_barrier
	s_and_saveexec_b64 s[8:9], vcc
	s_cbranch_execz .LBB155_1085
; %bb.1084:
	ds_read_b64 v[5:6], v1
	ds_read_b64 v[9:10], v7
	s_waitcnt lgkmcnt(0)
	v_mul_f32_e32 v11, v10, v6
	v_mul_f32_e32 v6, v9, v6
	v_fma_f32 v9, v9, v5, -v11
	v_fmac_f32_e32 v6, v10, v5
	v_add_f32_e32 v5, 0, v9
	v_add_f32_e32 v6, 0, v6
.LBB155_1085:
	s_or_b64 exec, exec, s[8:9]
	v_add_u32_e32 v9, 16, v2
	v_cmp_le_u32_e32 vcc, v0, v9
	s_and_saveexec_b64 s[8:9], vcc
	s_cbranch_execz .LBB155_1087
; %bb.1086:
	ds_read_b64 v[9:10], v1 offset:8192
	ds_read_b64 v[11:12], v7 offset:128
	s_waitcnt lgkmcnt(0)
	v_mul_f32_e32 v13, v12, v10
	v_mul_f32_e32 v10, v11, v10
	v_fma_f32 v11, v11, v9, -v13
	v_fmac_f32_e32 v10, v12, v9
	v_add_f32_e32 v5, v5, v11
	v_add_f32_e32 v6, v6, v10
.LBB155_1087:
	s_or_b64 exec, exec, s[8:9]
	v_add_u32_e32 v9, 32, v2
	v_cmp_le_u32_e32 vcc, v0, v9
	s_and_saveexec_b64 s[8:9], vcc
	s_cbranch_execz .LBB155_1089
; %bb.1088:
	ds_read_b64 v[9:10], v1 offset:16384
	ds_read_b64 v[11:12], v7 offset:256
	s_waitcnt lgkmcnt(0)
	v_mul_f32_e32 v13, v12, v10
	v_mul_f32_e32 v10, v11, v10
	v_fma_f32 v11, v11, v9, -v13
	v_fmac_f32_e32 v10, v12, v9
	v_add_f32_e32 v5, v5, v11
	v_add_f32_e32 v6, v6, v10
.LBB155_1089:
	s_or_b64 exec, exec, s[8:9]
	v_add_u32_e32 v2, 48, v2
	v_add_u32_e32 v9, 0x8000, v1
	v_cmp_le_u32_e32 vcc, v0, v2
	s_and_saveexec_b64 s[8:9], vcc
	s_cbranch_execz .LBB155_1091
; %bb.1090:
	ds_read_b64 v[1:2], v1 offset:24576
	ds_read_b64 v[10:11], v7 offset:384
	s_waitcnt lgkmcnt(0)
	v_mul_f32_e32 v7, v11, v2
	v_mul_f32_e32 v2, v10, v2
	v_fma_f32 v7, v10, v1, -v7
	v_fmac_f32_e32 v2, v11, v1
	v_add_f32_e32 v5, v5, v7
	v_add_f32_e32 v6, v6, v2
.LBB155_1091:
	s_or_b64 exec, exec, s[8:9]
	s_mov_b64 s[10:11], 0
	s_mov_b64 s[8:9], 0
	ds_write_b64 v9, v[5:6]
	s_waitcnt lgkmcnt(0)
	s_barrier
                                        ; implicit-def: $vgpr1
                                        ; implicit-def: $vgpr2
	s_and_saveexec_b64 s[12:13], s[16:17]
	s_cbranch_execz .LBB155_1112
; %bb.1092:
	v_lshlrev_b32_e32 v1, 3, v0
	ds_read2st64_b64 v[9:12], v1 offset0:65 offset1:66
	ds_read2st64_b64 v[13:16], v1 offset0:67 offset1:68
	ds_read_b64 v[17:18], v1 offset:40448
	s_mov_b64 s[8:9], exec
	s_waitcnt lgkmcnt(2)
	v_add_f32_e32 v2, v5, v9
	v_add_f32_e32 v5, v6, v10
	v_add_f32_e32 v2, v2, v11
	v_add_f32_e32 v5, v5, v12
	ds_read2st64_b64 v[9:12], v1 offset0:69 offset1:70
	s_waitcnt lgkmcnt(2)
	v_add_f32_e32 v2, v2, v13
	v_add_f32_e32 v5, v5, v14
	v_add_f32_e32 v2, v2, v15
	v_add_f32_e32 v5, v5, v16
	ds_read2st64_b64 v[13:16], v1 offset0:71 offset1:72
	;; [unrolled: 6-line block ×5, first 2 shown]
	s_waitcnt lgkmcnt(1)
	v_add_f32_e32 v1, v2, v13
	v_add_f32_e32 v2, v5, v14
	;; [unrolled: 1-line block ×4, first 2 shown]
	s_waitcnt lgkmcnt(0)
	v_add_f32_e32 v1, v1, v9
	v_add_f32_e32 v2, v2, v10
	;; [unrolled: 1-line block ×6, first 2 shown]
	s_or_b64 exec, exec, s[12:13]
	s_and_b64 vcc, exec, s[10:11]
	s_cbranch_vccnz .LBB155_1094
	s_branch .LBB155_1113
.LBB155_1093:
	s_mov_b64 s[8:9], 0
                                        ; implicit-def: $vgpr1
                                        ; implicit-def: $vgpr2
	s_cbranch_execz .LBB155_1113
.LBB155_1094:
	s_movk_i32 s10, 0x208
	v_lshlrev_b32_e32 v2, 9, v0
	v_mov_b32_e32 v5, 0x7c00
	v_mul_u32_u24_e32 v1, 0x208, v0
	v_sub_u32_e32 v2, 0, v2
	v_mad_u32_u24 v5, v0, s10, v5
	s_mov_b32 s12, 63
	s_movk_i32 s13, 0x8200
	v_mov_b32_e32 v6, 0
	s_branch .LBB155_1096
.LBB155_1095:                           ;   in Loop: Header=BB155_1096 Depth=1
	s_or_b64 exec, exec, s[10:11]
	s_add_i32 s12, s12, -2
	s_cmp_lg_u32 s14, 0
	v_add_u32_e32 v2, 0xfffffc00, v2
	s_barrier
	s_cbranch_scc0 .LBB155_1104
.LBB155_1096:                           ; =>This Inner Loop Header: Depth=1
	v_cmp_eq_u32_e32 vcc, s13, v2
	s_and_b64 s[14:15], s[16:17], vcc
	s_and_saveexec_b64 s[10:11], s[14:15]
	s_cbranch_execz .LBB155_1098
; %bb.1097:                             ;   in Loop: Header=BB155_1096 Depth=1
	ds_read_b64 v[9:10], v1
	s_waitcnt lgkmcnt(0)
	v_mul_f32_e32 v7, v4, v10
	v_mul_f32_e32 v11, v3, v10
	v_fma_f32 v10, v3, v9, -v7
	v_fmac_f32_e32 v11, v4, v9
	v_mov_b32_e32 v3, v10
	v_mov_b32_e32 v4, v11
	ds_write_b64 v6, v[10:11] offset:41472
.LBB155_1098:                           ;   in Loop: Header=BB155_1096 Depth=1
	s_or_b64 exec, exec, s[10:11]
	v_cmp_gt_u32_e32 vcc, s12, v0
	s_and_b64 s[14:15], s[16:17], vcc
	v_add_u32_e32 v7, v5, v2
	s_waitcnt lgkmcnt(0)
	s_barrier
	s_and_saveexec_b64 s[10:11], s[14:15]
	s_cbranch_execz .LBB155_1100
; %bb.1099:                             ;   in Loop: Header=BB155_1096 Depth=1
	ds_read_b64 v[9:10], v7 offset:512
	ds_read_b64 v[11:12], v6 offset:41472
	s_waitcnt lgkmcnt(0)
	v_mul_f32_e32 v13, v12, v10
	v_mul_f32_e32 v10, v11, v10
	v_fma_f32 v11, v11, v9, -v13
	v_fmac_f32_e32 v10, v12, v9
	v_add_f32_e32 v3, v3, v11
	v_add_f32_e32 v4, v4, v10
.LBB155_1100:                           ;   in Loop: Header=BB155_1096 Depth=1
	s_or_b64 exec, exec, s[10:11]
	s_add_i32 s14, s12, -1
	v_cmp_eq_u32_e32 vcc, s14, v0
	s_and_b64 s[18:19], s[16:17], vcc
	s_barrier
	s_and_saveexec_b64 s[10:11], s[18:19]
	s_cbranch_execz .LBB155_1102
; %bb.1101:                             ;   in Loop: Header=BB155_1096 Depth=1
	ds_read_b64 v[9:10], v1
	s_waitcnt lgkmcnt(0)
	v_mul_f32_e32 v12, v4, v10
	v_mul_f32_e32 v11, v3, v10
	v_fma_f32 v10, v3, v9, -v12
	v_fmac_f32_e32 v11, v4, v9
	v_mov_b32_e32 v3, v10
	v_mov_b32_e32 v4, v11
	ds_write_b64 v6, v[10:11] offset:41472
.LBB155_1102:                           ;   in Loop: Header=BB155_1096 Depth=1
	s_or_b64 exec, exec, s[10:11]
	v_cmp_gt_u32_e32 vcc, s14, v0
	s_and_b64 s[18:19], s[16:17], vcc
	s_waitcnt lgkmcnt(0)
	s_barrier
	s_and_saveexec_b64 s[10:11], s[18:19]
	s_cbranch_execz .LBB155_1095
; %bb.1103:                             ;   in Loop: Header=BB155_1096 Depth=1
	ds_read_b64 v[9:10], v7
	ds_read_b64 v[11:12], v6 offset:41472
	s_waitcnt lgkmcnt(0)
	v_mul_f32_e32 v7, v12, v10
	v_mul_f32_e32 v10, v11, v10
	v_fma_f32 v7, v11, v9, -v7
	v_fmac_f32_e32 v10, v12, v9
	v_add_f32_e32 v3, v3, v7
	v_add_f32_e32 v4, v4, v10
	s_branch .LBB155_1095
.LBB155_1104:
	s_mov_b64 s[10:11], -1
	s_and_b64 vcc, exec, s[4:5]
	s_cbranch_vccnz .LBB155_1114
; %bb.1105:
	s_andn2_b64 vcc, exec, s[10:11]
	s_cbranch_vccz .LBB155_1115
.LBB155_1106:
	s_and_saveexec_b64 s[4:5], s[8:9]
	s_cbranch_execz .LBB155_1108
.LBB155_1107:
	v_mov_b32_e32 v0, s46
	v_add_co_u32_e32 v1, vcc, s33, v8
	v_addc_co_u32_e32 v0, vcc, 0, v0, vcc
	v_mul_lo_u32 v2, v0, s30
	v_mul_lo_u32 v5, v1, s31
	v_mad_u64_u32 v[0:1], s[8:9], v1, s30, 0
	v_add3_u32 v1, v1, v5, v2
	v_lshlrev_b64 v[0:1], 3, v[0:1]
	v_mov_b32_e32 v2, s29
	v_add_co_u32_e32 v0, vcc, s28, v0
	v_addc_co_u32_e32 v1, vcc, v2, v1, vcc
	flat_store_dwordx2 v[0:1], v[3:4]
.LBB155_1108:
	s_or_b64 exec, exec, s[4:5]
	v_cmp_eq_u32_e32 vcc, 0, v8
	s_waitcnt vmcnt(0) lgkmcnt(0)
	buffer_wbinvl1_vol
	s_barrier
	s_and_saveexec_b64 s[4:5], vcc
	s_cbranch_execz .LBB155_1110
; %bb.1109:
	s_lshl_b64 s[8:9], s[34:35], 2
	s_add_u32 s6, s6, s8
	s_addc_u32 s7, s7, s9
	v_mov_b32_e32 v0, 0
	global_load_dword v1, v0, s[6:7]
	s_waitcnt vmcnt(0)
	v_add_u32_e32 v1, 1, v1
	global_store_dword v0, v1, s[6:7]
.LBB155_1110:
	s_or_b64 exec, exec, s[4:5]
	s_waitcnt vmcnt(0)
	buffer_wbinvl1_vol
	s_endpgm
.LBB155_1111:
                                        ; implicit-def: $sgpr33
	s_cbranch_execnz .LBB155_18
	s_branch .LBB155_19
.LBB155_1112:
	s_or_b64 exec, exec, s[12:13]
	s_and_b64 vcc, exec, s[10:11]
	s_cbranch_vccnz .LBB155_1094
.LBB155_1113:
	v_mov_b32_e32 v4, v1
	v_mov_b32_e32 v3, v2
	s_and_saveexec_b64 s[4:5], s[8:9]
	s_cbranch_execnz .LBB155_1107
	s_branch .LBB155_1108
.LBB155_1114:
	s_andn2_b64 s[4:5], s[8:9], exec
	s_and_b64 s[8:9], s[16:17], exec
	s_or_b64 s[8:9], s[4:5], s[8:9]
	s_cbranch_execnz .LBB155_1106
.LBB155_1115:
	v_cmp_gt_i32_e32 vcc, s42, v0
	s_and_b64 s[4:5], s[16:17], vcc
	s_andn2_b64 s[8:9], s[8:9], exec
	s_and_b64 s[4:5], s[4:5], exec
	s_or_b64 s[8:9], s[8:9], s[4:5]
	s_and_saveexec_b64 s[4:5], s[8:9]
	s_cbranch_execnz .LBB155_1107
	s_branch .LBB155_1108
.LBB155_1116:
	v_lshlrev_b32_e32 v13, 3, v10
	v_sub_u32_e32 v13, v12, v13
	v_lshl_add_u32 v13, v9, 3, v13
	ds_read_b64 v[13:14], v13 offset:544
	ds_read_b64 v[15:16], v12 offset:8
	s_waitcnt lgkmcnt(0)
	v_mul_f32_e32 v17, v16, v14
	v_mul_f32_e32 v14, v15, v14
	v_fma_f32 v15, v15, v13, -v17
	v_fmac_f32_e32 v14, v16, v13
	v_add_f32_e32 v8, v8, v15
	v_add_f32_e32 v11, v11, v14
	s_or_b64 exec, exec, s[18:19]
	v_cmp_gt_u32_e64 s[14:15], 8, v1
	s_and_saveexec_b64 s[18:19], s[14:15]
	s_cbranch_execz .LBB155_157
.LBB155_1117:
	ds_read_b64 v[13:14], v6 offset:1056
	ds_read_b64 v[15:16], v12 offset:16
	s_waitcnt lgkmcnt(0)
	v_mul_f32_e32 v12, v16, v14
	v_mul_f32_e32 v14, v15, v14
	v_fma_f32 v12, v15, v13, -v12
	v_fmac_f32_e32 v14, v16, v13
	v_add_f32_e32 v8, v8, v12
	v_add_f32_e32 v11, v11, v14
	s_or_b64 exec, exec, s[18:19]
	v_cmp_gt_u32_e64 s[14:15], 4, v1
	s_and_saveexec_b64 s[18:19], s[14:15]
	s_cbranch_execnz .LBB155_158
	s_branch .LBB155_159
.LBB155_1118:
	v_lshlrev_b32_e32 v18, 3, v15
	v_sub_u32_e32 v18, v17, v18
	v_lshl_add_u32 v18, v14, 3, v18
	ds_read_b64 v[18:19], v18 offset:576
	ds_read_b64 v[20:21], v17 offset:8
	s_waitcnt lgkmcnt(0)
	v_mul_f32_e32 v22, v21, v19
	v_mul_f32_e32 v19, v20, v19
	v_fma_f32 v20, v20, v18, -v22
	v_fmac_f32_e32 v19, v21, v18
	v_add_f32_e32 v13, v13, v20
	v_add_f32_e32 v16, v16, v19
	s_or_b64 exec, exec, s[20:21]
	v_cmp_gt_u32_e64 s[18:19], 48, v1
	s_and_saveexec_b64 s[20:21], s[18:19]
	s_cbranch_execz .LBB155_199
.LBB155_1119:
	v_lshlrev_b32_e32 v18, 3, v15
	v_sub_u32_e32 v18, v17, v18
	v_lshl_add_u32 v18, v14, 3, v18
	ds_read_b64 v[18:19], v18 offset:1088
	ds_read_b64 v[20:21], v17 offset:16
	s_waitcnt lgkmcnt(0)
	v_mul_f32_e32 v22, v21, v19
	v_mul_f32_e32 v19, v20, v19
	v_fma_f32 v20, v20, v18, -v22
	v_fmac_f32_e32 v19, v21, v18
	v_add_f32_e32 v13, v13, v20
	v_add_f32_e32 v16, v16, v19
	s_or_b64 exec, exec, s[20:21]
	v_cmp_gt_u32_e64 s[18:19], 40, v1
	s_and_saveexec_b64 s[20:21], s[18:19]
	s_cbranch_execz .LBB155_200
.LBB155_1120:
	v_lshlrev_b32_e32 v18, 3, v15
	v_sub_u32_e32 v18, v17, v18
	v_lshl_add_u32 v18, v14, 3, v18
	ds_read_b64 v[18:19], v18 offset:1600
	ds_read_b64 v[20:21], v17 offset:24
	s_waitcnt lgkmcnt(0)
	v_mul_f32_e32 v22, v21, v19
	v_mul_f32_e32 v19, v20, v19
	v_fma_f32 v20, v20, v18, -v22
	v_fmac_f32_e32 v19, v21, v18
	v_add_f32_e32 v13, v13, v20
	v_add_f32_e32 v16, v16, v19
	s_or_b64 exec, exec, s[20:21]
	v_cmp_gt_u32_e64 s[18:19], 32, v1
	s_and_saveexec_b64 s[20:21], s[18:19]
	s_cbranch_execz .LBB155_201
.LBB155_1121:
	ds_read_b64 v[18:19], v11 offset:2112
	ds_read_b64 v[20:21], v17 offset:32
	s_waitcnt lgkmcnt(0)
	v_mul_f32_e32 v22, v21, v19
	v_mul_f32_e32 v19, v20, v19
	v_fma_f32 v20, v20, v18, -v22
	v_fmac_f32_e32 v19, v21, v18
	v_add_f32_e32 v13, v13, v20
	v_add_f32_e32 v16, v16, v19
	s_or_b64 exec, exec, s[20:21]
	v_cmp_gt_u32_e64 s[18:19], 24, v1
	s_and_saveexec_b64 s[20:21], s[18:19]
	s_cbranch_execz .LBB155_202
.LBB155_1122:
	v_lshlrev_b32_e32 v18, 3, v15
	v_sub_u32_e32 v18, v17, v18
	v_lshl_add_u32 v18, v14, 3, v18
	ds_read_b64 v[18:19], v18 offset:2624
	ds_read_b64 v[20:21], v17 offset:40
	s_waitcnt lgkmcnt(0)
	v_mul_f32_e32 v22, v21, v19
	v_mul_f32_e32 v19, v20, v19
	v_fma_f32 v20, v20, v18, -v22
	v_fmac_f32_e32 v19, v21, v18
	v_add_f32_e32 v13, v13, v20
	v_add_f32_e32 v16, v16, v19
	s_or_b64 exec, exec, s[20:21]
	v_cmp_gt_u32_e64 s[18:19], 16, v1
	s_and_saveexec_b64 s[20:21], s[18:19]
	s_cbranch_execz .LBB155_203
.LBB155_1123:
	ds_read_b64 v[18:19], v11 offset:3136
	ds_read_b64 v[20:21], v17 offset:48
	s_waitcnt lgkmcnt(0)
	v_mul_f32_e32 v17, v21, v19
	v_mul_f32_e32 v19, v20, v19
	v_fma_f32 v17, v20, v18, -v17
	v_fmac_f32_e32 v19, v21, v18
	v_add_f32_e32 v13, v13, v17
	v_add_f32_e32 v16, v16, v19
	s_or_b64 exec, exec, s[20:21]
	v_cmp_gt_u32_e64 s[18:19], 8, v1
	s_and_saveexec_b64 s[20:21], s[18:19]
	s_cbranch_execnz .LBB155_204
	s_branch .LBB155_205
.LBB155_1124:
	v_lshlrev_b32_e32 v19, 3, v10
	v_sub_u32_e32 v19, v17, v19
	v_lshl_add_u32 v19, v9, 3, v19
	ds_read_b64 v[19:20], v19 offset:4704
	ds_read_b64 v[21:22], v17 offset:4168
	s_waitcnt lgkmcnt(0)
	v_mul_f32_e32 v23, v22, v20
	v_mul_f32_e32 v20, v21, v20
	v_fma_f32 v21, v21, v19, -v23
	v_fmac_f32_e32 v20, v22, v19
	v_add_f32_e32 v16, v16, v21
	v_add_f32_e32 v18, v18, v20
	s_or_b64 exec, exec, s[18:19]
	v_cmp_gt_u32_e64 s[14:15], 8, v1
	s_and_saveexec_b64 s[18:19], s[14:15]
	s_cbranch_execz .LBB155_261
.LBB155_1125:
	ds_read_b64 v[19:20], v6 offset:5216
	ds_read_b64 v[21:22], v17 offset:4176
	s_waitcnt lgkmcnt(0)
	v_mul_f32_e32 v17, v22, v20
	v_mul_f32_e32 v20, v21, v20
	v_fma_f32 v17, v21, v19, -v17
	v_fmac_f32_e32 v20, v22, v19
	v_add_f32_e32 v16, v16, v17
	v_add_f32_e32 v18, v18, v20
	s_or_b64 exec, exec, s[18:19]
	v_cmp_gt_u32_e64 s[14:15], 4, v1
	s_and_saveexec_b64 s[18:19], s[14:15]
	s_cbranch_execnz .LBB155_262
	s_branch .LBB155_263
.LBB155_1126:
	v_lshlrev_b32_e32 v23, 3, v17
	v_lshl_add_u32 v23, v19, 3, v23
	ds_read_b64 v[23:24], v23 offset:5760
	ds_read_b64 v[25:26], v22 offset:88
	s_waitcnt lgkmcnt(0)
	v_mul_f32_e32 v27, v26, v24
	v_mul_f32_e32 v24, v25, v24
	v_fma_f32 v25, v25, v23, -v27
	v_fmac_f32_e32 v24, v26, v23
	v_add_f32_e32 v18, v18, v25
	v_add_f32_e32 v21, v21, v24
	s_or_b64 exec, exec, s[24:25]
	v_cmp_gt_u32_e64 s[20:21], 64, v1
	s_and_saveexec_b64 s[24:25], s[20:21]
	s_cbranch_execz .LBB155_323
.LBB155_1127:
	ds_read_b64 v[23:24], v16 offset:6272
	ds_read_b64 v[25:26], v22 offset:96
	s_waitcnt lgkmcnt(0)
	v_mul_f32_e32 v27, v26, v24
	v_mul_f32_e32 v24, v25, v24
	v_fma_f32 v25, v25, v23, -v27
	v_fmac_f32_e32 v24, v26, v23
	v_add_f32_e32 v18, v18, v25
	v_add_f32_e32 v21, v21, v24
	s_or_b64 exec, exec, s[24:25]
	v_cmp_gt_u32_e64 s[20:21], 48, v1
	s_and_saveexec_b64 s[24:25], s[20:21]
	s_cbranch_execz .LBB155_324
.LBB155_1128:
	v_lshlrev_b32_e32 v23, 3, v17
	v_lshl_add_u32 v23, v19, 3, v23
	ds_read_b64 v[23:24], v23 offset:6784
	ds_read_b64 v[25:26], v22 offset:104
	s_waitcnt lgkmcnt(0)
	v_mul_f32_e32 v27, v26, v24
	v_mul_f32_e32 v24, v25, v24
	v_fma_f32 v25, v25, v23, -v27
	v_fmac_f32_e32 v24, v26, v23
	v_add_f32_e32 v18, v18, v25
	v_add_f32_e32 v21, v21, v24
	s_or_b64 exec, exec, s[24:25]
	v_cmp_gt_u32_e64 s[20:21], 32, v1
	s_and_saveexec_b64 s[24:25], s[20:21]
	s_cbranch_execz .LBB155_325
.LBB155_1129:
	ds_read_b64 v[23:24], v16 offset:7296
	ds_read_b64 v[25:26], v22 offset:112
	s_waitcnt lgkmcnt(0)
	v_mul_f32_e32 v22, v26, v24
	v_mul_f32_e32 v24, v25, v24
	v_fma_f32 v22, v25, v23, -v22
	v_fmac_f32_e32 v24, v26, v23
	v_add_f32_e32 v18, v18, v22
	v_add_f32_e32 v21, v21, v24
	s_or_b64 exec, exec, s[24:25]
	v_cmp_gt_u32_e64 s[20:21], 16, v1
	s_and_saveexec_b64 s[24:25], s[20:21]
	s_cbranch_execnz .LBB155_326
	s_branch .LBB155_327
.LBB155_1130:
	v_lshlrev_b32_e32 v24, 3, v10
	v_sub_u32_e32 v24, v22, v24
	v_lshl_add_u32 v24, v9, 3, v24
	ds_read_b64 v[24:25], v24 offset:8864
	ds_read_b64 v[26:27], v22 offset:8328
	s_waitcnt lgkmcnt(0)
	v_mul_f32_e32 v28, v27, v25
	v_mul_f32_e32 v25, v26, v25
	v_fma_f32 v26, v26, v24, -v28
	v_fmac_f32_e32 v25, v27, v24
	v_add_f32_e32 v21, v21, v26
	v_add_f32_e32 v23, v23, v25
	s_or_b64 exec, exec, s[20:21]
	v_cmp_gt_u32_e64 s[18:19], 8, v1
	s_and_saveexec_b64 s[20:21], s[18:19]
	s_cbranch_execz .LBB155_415
.LBB155_1131:
	ds_read_b64 v[24:25], v6 offset:9376
	ds_read_b64 v[26:27], v22 offset:8336
	s_waitcnt lgkmcnt(0)
	v_mul_f32_e32 v22, v27, v25
	v_mul_f32_e32 v25, v26, v25
	v_fma_f32 v22, v26, v24, -v22
	v_fmac_f32_e32 v25, v27, v24
	v_add_f32_e32 v21, v21, v22
	v_add_f32_e32 v23, v23, v25
	s_or_b64 exec, exec, s[20:21]
	v_cmp_gt_u32_e64 s[18:19], 4, v1
	s_and_saveexec_b64 s[20:21], s[18:19]
	s_cbranch_execnz .LBB155_416
	s_branch .LBB155_417
.LBB155_1132:
	v_lshlrev_b32_e32 v24, 3, v15
	v_sub_u32_e32 v24, v22, v24
	v_lshl_add_u32 v24, v14, 3, v24
	ds_read_b64 v[24:25], v24 offset:8896
	ds_read_b64 v[26:27], v22 offset:8328
	s_waitcnt lgkmcnt(0)
	v_mul_f32_e32 v28, v27, v25
	v_mul_f32_e32 v25, v26, v25
	v_fma_f32 v26, v26, v24, -v28
	v_fmac_f32_e32 v25, v27, v24
	v_add_f32_e32 v21, v21, v26
	v_add_f32_e32 v23, v23, v25
	s_or_b64 exec, exec, s[20:21]
	v_cmp_gt_u32_e64 s[18:19], 48, v1
	s_and_saveexec_b64 s[20:21], s[18:19]
	s_cbranch_execz .LBB155_457
.LBB155_1133:
	v_lshlrev_b32_e32 v24, 3, v15
	v_sub_u32_e32 v24, v22, v24
	v_lshl_add_u32 v24, v14, 3, v24
	ds_read_b64 v[24:25], v24 offset:9408
	ds_read_b64 v[26:27], v22 offset:8336
	s_waitcnt lgkmcnt(0)
	v_mul_f32_e32 v28, v27, v25
	v_mul_f32_e32 v25, v26, v25
	v_fma_f32 v26, v26, v24, -v28
	v_fmac_f32_e32 v25, v27, v24
	v_add_f32_e32 v21, v21, v26
	v_add_f32_e32 v23, v23, v25
	s_or_b64 exec, exec, s[20:21]
	v_cmp_gt_u32_e64 s[18:19], 40, v1
	s_and_saveexec_b64 s[20:21], s[18:19]
	s_cbranch_execz .LBB155_458
.LBB155_1134:
	v_lshlrev_b32_e32 v24, 3, v15
	v_sub_u32_e32 v24, v22, v24
	v_lshl_add_u32 v24, v14, 3, v24
	ds_read_b64 v[24:25], v24 offset:9920
	ds_read_b64 v[26:27], v22 offset:8344
	s_waitcnt lgkmcnt(0)
	v_mul_f32_e32 v28, v27, v25
	v_mul_f32_e32 v25, v26, v25
	v_fma_f32 v26, v26, v24, -v28
	v_fmac_f32_e32 v25, v27, v24
	v_add_f32_e32 v21, v21, v26
	v_add_f32_e32 v23, v23, v25
	s_or_b64 exec, exec, s[20:21]
	v_cmp_gt_u32_e64 s[18:19], 32, v1
	s_and_saveexec_b64 s[20:21], s[18:19]
	s_cbranch_execz .LBB155_459
.LBB155_1135:
	ds_read_b64 v[24:25], v11 offset:10432
	ds_read_b64 v[26:27], v22 offset:8352
	s_waitcnt lgkmcnt(0)
	v_mul_f32_e32 v28, v27, v25
	v_mul_f32_e32 v25, v26, v25
	v_fma_f32 v26, v26, v24, -v28
	v_fmac_f32_e32 v25, v27, v24
	v_add_f32_e32 v21, v21, v26
	v_add_f32_e32 v23, v23, v25
	s_or_b64 exec, exec, s[20:21]
	v_cmp_gt_u32_e64 s[18:19], 24, v1
	s_and_saveexec_b64 s[20:21], s[18:19]
	s_cbranch_execz .LBB155_460
.LBB155_1136:
	v_lshlrev_b32_e32 v24, 3, v15
	v_sub_u32_e32 v24, v22, v24
	v_lshl_add_u32 v24, v14, 3, v24
	ds_read_b64 v[24:25], v24 offset:10944
	ds_read_b64 v[26:27], v22 offset:8360
	s_waitcnt lgkmcnt(0)
	v_mul_f32_e32 v28, v27, v25
	v_mul_f32_e32 v25, v26, v25
	v_fma_f32 v26, v26, v24, -v28
	v_fmac_f32_e32 v25, v27, v24
	v_add_f32_e32 v21, v21, v26
	v_add_f32_e32 v23, v23, v25
	s_or_b64 exec, exec, s[20:21]
	v_cmp_gt_u32_e64 s[18:19], 16, v1
	s_and_saveexec_b64 s[20:21], s[18:19]
	s_cbranch_execz .LBB155_461
.LBB155_1137:
	ds_read_b64 v[24:25], v11 offset:11456
	ds_read_b64 v[26:27], v22 offset:8368
	s_waitcnt lgkmcnt(0)
	v_mul_f32_e32 v22, v27, v25
	v_mul_f32_e32 v25, v26, v25
	v_fma_f32 v22, v26, v24, -v22
	v_fmac_f32_e32 v25, v27, v24
	v_add_f32_e32 v21, v21, v22
	v_add_f32_e32 v23, v23, v25
	s_or_b64 exec, exec, s[20:21]
	v_cmp_gt_u32_e64 s[18:19], 8, v1
	s_and_saveexec_b64 s[20:21], s[18:19]
	s_cbranch_execnz .LBB155_462
	s_branch .LBB155_463
.LBB155_1138:
	v_lshlrev_b32_e32 v24, 3, v10
	v_sub_u32_e32 v24, v22, v24
	v_lshl_add_u32 v24, v9, 3, v24
	ds_read_b64 v[24:25], v24 offset:13024
	ds_read_b64 v[26:27], v22 offset:12488
	s_waitcnt lgkmcnt(0)
	v_mul_f32_e32 v28, v27, v25
	v_mul_f32_e32 v25, v26, v25
	v_fma_f32 v26, v26, v24, -v28
	v_fmac_f32_e32 v25, v27, v24
	v_add_f32_e32 v21, v21, v26
	v_add_f32_e32 v23, v23, v25
	s_or_b64 exec, exec, s[20:21]
	v_cmp_gt_u32_e64 s[18:19], 8, v1
	s_and_saveexec_b64 s[20:21], s[18:19]
	s_cbranch_execz .LBB155_519
.LBB155_1139:
	ds_read_b64 v[24:25], v6 offset:13536
	ds_read_b64 v[26:27], v22 offset:12496
	s_waitcnt lgkmcnt(0)
	v_mul_f32_e32 v22, v27, v25
	v_mul_f32_e32 v25, v26, v25
	v_fma_f32 v22, v26, v24, -v22
	v_fmac_f32_e32 v25, v27, v24
	v_add_f32_e32 v21, v21, v22
	v_add_f32_e32 v23, v23, v25
	s_or_b64 exec, exec, s[20:21]
	v_cmp_gt_u32_e64 s[18:19], 4, v1
	s_and_saveexec_b64 s[20:21], s[18:19]
	s_cbranch_execnz .LBB155_520
	s_branch .LBB155_521
.LBB155_1140:
	ds_read_b64 v[29:30], v28 offset:15104
	ds_read_b64 v[31:32], v27 offset:232
	s_waitcnt lgkmcnt(0)
	v_mul_f32_e32 v33, v32, v30
	v_mul_f32_e32 v30, v31, v30
	v_fma_f32 v31, v31, v29, -v33
	v_fmac_f32_e32 v30, v32, v29
	v_add_f32_e32 v24, v24, v31
	v_add_f32_e32 v25, v25, v30
	s_or_b64 exec, exec, s[40:41]
	v_cmp_gt_u32_e64 s[24:25], 64, v1
	s_and_saveexec_b64 s[40:41], s[24:25]
	s_cbranch_execz .LBB155_617
.LBB155_1141:
	ds_read_b64 v[28:29], v28 offset:15616
	ds_read_b64 v[30:31], v27 offset:240
	s_waitcnt lgkmcnt(0)
	v_mul_f32_e32 v32, v31, v29
	v_mul_f32_e32 v29, v30, v29
	v_fma_f32 v30, v30, v28, -v32
	v_fmac_f32_e32 v29, v31, v28
	v_add_f32_e32 v24, v24, v30
	v_add_f32_e32 v25, v25, v29
	s_or_b64 exec, exec, s[40:41]
	v_cmp_gt_u32_e64 s[24:25], 32, v1
	s_and_saveexec_b64 s[40:41], s[24:25]
	s_cbranch_execnz .LBB155_618
	s_branch .LBB155_619
.LBB155_1142:
	v_lshlrev_b32_e32 v24, 3, v10
	v_sub_u32_e32 v24, v22, v24
	v_lshl_add_u32 v24, v9, 3, v24
	ds_read_b64 v[24:25], v24 offset:17184
	ds_read_b64 v[26:27], v22 offset:16648
	s_waitcnt lgkmcnt(0)
	v_mul_f32_e32 v28, v27, v25
	v_mul_f32_e32 v25, v26, v25
	v_fma_f32 v26, v26, v24, -v28
	v_fmac_f32_e32 v25, v27, v24
	v_add_f32_e32 v21, v21, v26
	v_add_f32_e32 v23, v23, v25
	s_or_b64 exec, exec, s[18:19]
	v_cmp_gt_u32_e64 s[16:17], 8, v1
	s_and_saveexec_b64 s[18:19], s[16:17]
	s_cbranch_execz .LBB155_655
.LBB155_1143:
	ds_read_b64 v[24:25], v6 offset:17696
	ds_read_b64 v[26:27], v22 offset:16656
	s_waitcnt lgkmcnt(0)
	v_mul_f32_e32 v22, v27, v25
	v_mul_f32_e32 v25, v26, v25
	v_fma_f32 v22, v26, v24, -v22
	v_fmac_f32_e32 v25, v27, v24
	v_add_f32_e32 v21, v21, v22
	v_add_f32_e32 v23, v23, v25
	s_or_b64 exec, exec, s[18:19]
	v_cmp_gt_u32_e64 s[16:17], 4, v1
	s_and_saveexec_b64 s[18:19], s[16:17]
	s_cbranch_execnz .LBB155_656
	s_branch .LBB155_657
.LBB155_1144:
	v_lshlrev_b32_e32 v24, 3, v15
	v_sub_u32_e32 v24, v22, v24
	v_lshl_add_u32 v24, v14, 3, v24
	ds_read_b64 v[24:25], v24 offset:17216
	ds_read_b64 v[26:27], v22 offset:16648
	s_waitcnt lgkmcnt(0)
	v_mul_f32_e32 v28, v27, v25
	v_mul_f32_e32 v25, v26, v25
	v_fma_f32 v26, v26, v24, -v28
	v_fmac_f32_e32 v25, v27, v24
	v_add_f32_e32 v21, v21, v26
	v_add_f32_e32 v23, v23, v25
	s_or_b64 exec, exec, s[18:19]
	v_cmp_gt_u32_e64 s[16:17], 48, v1
	s_and_saveexec_b64 s[18:19], s[16:17]
	s_cbranch_execz .LBB155_697
.LBB155_1145:
	v_lshlrev_b32_e32 v24, 3, v15
	v_sub_u32_e32 v24, v22, v24
	v_lshl_add_u32 v24, v14, 3, v24
	ds_read_b64 v[24:25], v24 offset:17728
	ds_read_b64 v[26:27], v22 offset:16656
	s_waitcnt lgkmcnt(0)
	v_mul_f32_e32 v28, v27, v25
	v_mul_f32_e32 v25, v26, v25
	v_fma_f32 v26, v26, v24, -v28
	v_fmac_f32_e32 v25, v27, v24
	v_add_f32_e32 v21, v21, v26
	v_add_f32_e32 v23, v23, v25
	s_or_b64 exec, exec, s[18:19]
	v_cmp_gt_u32_e64 s[16:17], 40, v1
	s_and_saveexec_b64 s[18:19], s[16:17]
	s_cbranch_execz .LBB155_698
.LBB155_1146:
	v_lshlrev_b32_e32 v24, 3, v15
	v_sub_u32_e32 v24, v22, v24
	v_lshl_add_u32 v24, v14, 3, v24
	ds_read_b64 v[24:25], v24 offset:18240
	ds_read_b64 v[26:27], v22 offset:16664
	s_waitcnt lgkmcnt(0)
	v_mul_f32_e32 v28, v27, v25
	v_mul_f32_e32 v25, v26, v25
	v_fma_f32 v26, v26, v24, -v28
	v_fmac_f32_e32 v25, v27, v24
	v_add_f32_e32 v21, v21, v26
	v_add_f32_e32 v23, v23, v25
	s_or_b64 exec, exec, s[18:19]
	v_cmp_gt_u32_e64 s[16:17], 32, v1
	s_and_saveexec_b64 s[18:19], s[16:17]
	s_cbranch_execz .LBB155_699
.LBB155_1147:
	ds_read_b64 v[24:25], v11 offset:18752
	ds_read_b64 v[26:27], v22 offset:16672
	s_waitcnt lgkmcnt(0)
	v_mul_f32_e32 v28, v27, v25
	v_mul_f32_e32 v25, v26, v25
	v_fma_f32 v26, v26, v24, -v28
	v_fmac_f32_e32 v25, v27, v24
	v_add_f32_e32 v21, v21, v26
	v_add_f32_e32 v23, v23, v25
	s_or_b64 exec, exec, s[18:19]
	v_cmp_gt_u32_e64 s[16:17], 24, v1
	s_and_saveexec_b64 s[18:19], s[16:17]
	s_cbranch_execz .LBB155_700
.LBB155_1148:
	v_lshlrev_b32_e32 v24, 3, v15
	v_sub_u32_e32 v24, v22, v24
	v_lshl_add_u32 v24, v14, 3, v24
	ds_read_b64 v[24:25], v24 offset:19264
	ds_read_b64 v[26:27], v22 offset:16680
	s_waitcnt lgkmcnt(0)
	v_mul_f32_e32 v28, v27, v25
	v_mul_f32_e32 v25, v26, v25
	v_fma_f32 v26, v26, v24, -v28
	v_fmac_f32_e32 v25, v27, v24
	v_add_f32_e32 v21, v21, v26
	v_add_f32_e32 v23, v23, v25
	s_or_b64 exec, exec, s[18:19]
	v_cmp_gt_u32_e64 s[16:17], 16, v1
	s_and_saveexec_b64 s[18:19], s[16:17]
	s_cbranch_execz .LBB155_701
.LBB155_1149:
	ds_read_b64 v[24:25], v11 offset:19776
	ds_read_b64 v[26:27], v22 offset:16688
	s_waitcnt lgkmcnt(0)
	v_mul_f32_e32 v22, v27, v25
	v_mul_f32_e32 v25, v26, v25
	v_fma_f32 v22, v26, v24, -v22
	v_fmac_f32_e32 v25, v27, v24
	v_add_f32_e32 v21, v21, v22
	v_add_f32_e32 v23, v23, v25
	s_or_b64 exec, exec, s[18:19]
	v_cmp_gt_u32_e64 s[16:17], 8, v1
	s_and_saveexec_b64 s[18:19], s[16:17]
	s_cbranch_execnz .LBB155_702
	s_branch .LBB155_703
.LBB155_1150:
	v_lshlrev_b32_e32 v24, 3, v10
	v_sub_u32_e32 v24, v22, v24
	v_lshl_add_u32 v24, v9, 3, v24
	ds_read_b64 v[24:25], v24 offset:21344
	ds_read_b64 v[26:27], v22 offset:20808
	s_waitcnt lgkmcnt(0)
	v_mul_f32_e32 v28, v27, v25
	v_mul_f32_e32 v25, v26, v25
	v_fma_f32 v26, v26, v24, -v28
	v_fmac_f32_e32 v25, v27, v24
	v_add_f32_e32 v21, v21, v26
	v_add_f32_e32 v23, v23, v25
	s_or_b64 exec, exec, s[18:19]
	v_cmp_gt_u32_e64 s[16:17], 8, v1
	s_and_saveexec_b64 s[18:19], s[16:17]
	s_cbranch_execz .LBB155_759
.LBB155_1151:
	ds_read_b64 v[24:25], v6 offset:21856
	ds_read_b64 v[26:27], v22 offset:20816
	s_waitcnt lgkmcnt(0)
	v_mul_f32_e32 v22, v27, v25
	v_mul_f32_e32 v25, v26, v25
	v_fma_f32 v22, v26, v24, -v22
	v_fmac_f32_e32 v25, v27, v24
	v_add_f32_e32 v21, v21, v22
	v_add_f32_e32 v23, v23, v25
	s_or_b64 exec, exec, s[18:19]
	v_cmp_gt_u32_e64 s[16:17], 4, v1
	s_and_saveexec_b64 s[18:19], s[16:17]
	s_cbranch_execnz .LBB155_760
	s_branch .LBB155_761
.LBB155_1152:
	v_lshlrev_b32_e32 v20, 3, v17
	v_lshl_add_u32 v20, v19, 3, v20
	ds_read_b64 v[24:25], v20 offset:22400
	ds_read_b64 v[26:27], v22 offset:16728
	s_waitcnt lgkmcnt(0)
	v_mul_f32_e32 v20, v27, v25
	v_mul_f32_e32 v25, v26, v25
	v_fma_f32 v20, v26, v24, -v20
	v_fmac_f32_e32 v25, v27, v24
	v_add_f32_e32 v21, v21, v20
	v_add_f32_e32 v23, v23, v25
	s_or_b64 exec, exec, s[18:19]
	v_cmp_gt_u32_e64 s[16:17], 64, v1
	s_and_saveexec_b64 s[18:19], s[16:17]
	s_cbranch_execz .LBB155_821
.LBB155_1153:
	ds_read_b64 v[24:25], v16 offset:22912
	ds_read_b64 v[26:27], v22 offset:16736
	s_waitcnt lgkmcnt(0)
	v_mul_f32_e32 v20, v27, v25
	v_mul_f32_e32 v25, v26, v25
	v_fma_f32 v20, v26, v24, -v20
	v_fmac_f32_e32 v25, v27, v24
	v_add_f32_e32 v21, v21, v20
	v_add_f32_e32 v23, v23, v25
	s_or_b64 exec, exec, s[18:19]
	v_cmp_gt_u32_e64 s[16:17], 48, v1
	s_and_saveexec_b64 s[18:19], s[16:17]
	s_cbranch_execz .LBB155_822
.LBB155_1154:
	v_lshlrev_b32_e32 v20, 3, v17
	v_lshl_add_u32 v19, v19, 3, v20
	ds_read_b64 v[19:20], v19 offset:23424
	ds_read_b64 v[24:25], v22 offset:16744
	s_waitcnt lgkmcnt(0)
	v_mul_f32_e32 v26, v25, v20
	v_mul_f32_e32 v20, v24, v20
	v_fma_f32 v24, v24, v19, -v26
	v_fmac_f32_e32 v20, v25, v19
	v_add_f32_e32 v21, v21, v24
	v_add_f32_e32 v23, v23, v20
	s_or_b64 exec, exec, s[18:19]
	v_cmp_gt_u32_e64 s[16:17], 32, v1
	s_and_saveexec_b64 s[18:19], s[16:17]
	s_cbranch_execz .LBB155_823
.LBB155_1155:
	ds_read_b64 v[19:20], v16 offset:23936
	ds_read_b64 v[24:25], v22 offset:16752
	s_waitcnt lgkmcnt(0)
	v_mul_f32_e32 v22, v25, v20
	v_mul_f32_e32 v20, v24, v20
	v_fma_f32 v22, v24, v19, -v22
	v_fmac_f32_e32 v20, v25, v19
	v_add_f32_e32 v21, v21, v22
	v_add_f32_e32 v23, v23, v20
	s_or_b64 exec, exec, s[18:19]
	v_cmp_gt_u32_e64 s[16:17], 16, v1
	s_and_saveexec_b64 s[18:19], s[16:17]
	s_cbranch_execnz .LBB155_824
	s_branch .LBB155_825
.LBB155_1156:
	v_lshlrev_b32_e32 v19, 3, v10
	v_sub_u32_e32 v19, v17, v19
	v_lshl_add_u32 v19, v9, 3, v19
	ds_read_b64 v[19:20], v19 offset:25504
	ds_read_b64 v[21:22], v17 offset:24968
	s_waitcnt lgkmcnt(0)
	v_mul_f32_e32 v23, v22, v20
	v_mul_f32_e32 v20, v21, v20
	v_fma_f32 v21, v21, v19, -v23
	v_fmac_f32_e32 v20, v22, v19
	v_add_f32_e32 v16, v16, v21
	v_add_f32_e32 v18, v18, v20
	s_or_b64 exec, exec, s[16:17]
	v_cmp_gt_u32_e64 s[14:15], 8, v1
	s_and_saveexec_b64 s[16:17], s[14:15]
	s_cbranch_execz .LBB155_913
.LBB155_1157:
	ds_read_b64 v[19:20], v6 offset:26016
	ds_read_b64 v[21:22], v17 offset:24976
	s_waitcnt lgkmcnt(0)
	v_mul_f32_e32 v17, v22, v20
	v_mul_f32_e32 v20, v21, v20
	v_fma_f32 v17, v21, v19, -v17
	v_fmac_f32_e32 v20, v22, v19
	v_add_f32_e32 v16, v16, v17
	v_add_f32_e32 v18, v18, v20
	s_or_b64 exec, exec, s[16:17]
	v_cmp_gt_u32_e64 s[14:15], 4, v1
	s_and_saveexec_b64 s[16:17], s[14:15]
	s_cbranch_execnz .LBB155_914
	s_branch .LBB155_915
.LBB155_1158:
	v_lshlrev_b32_e32 v19, 3, v15
	v_sub_u32_e32 v19, v17, v19
	v_lshl_add_u32 v19, v14, 3, v19
	ds_read_b64 v[19:20], v19 offset:25536
	ds_read_b64 v[21:22], v17 offset:24968
	s_waitcnt lgkmcnt(0)
	v_mul_f32_e32 v23, v22, v20
	v_mul_f32_e32 v20, v21, v20
	v_fma_f32 v21, v21, v19, -v23
	v_fmac_f32_e32 v20, v22, v19
	v_add_f32_e32 v16, v16, v21
	v_add_f32_e32 v18, v18, v20
	s_or_b64 exec, exec, s[16:17]
	v_cmp_gt_u32_e64 s[14:15], 48, v1
	s_and_saveexec_b64 s[16:17], s[14:15]
	s_cbranch_execz .LBB155_955
.LBB155_1159:
	v_lshlrev_b32_e32 v19, 3, v15
	v_sub_u32_e32 v19, v17, v19
	v_lshl_add_u32 v19, v14, 3, v19
	ds_read_b64 v[19:20], v19 offset:26048
	ds_read_b64 v[21:22], v17 offset:24976
	s_waitcnt lgkmcnt(0)
	v_mul_f32_e32 v23, v22, v20
	v_mul_f32_e32 v20, v21, v20
	v_fma_f32 v21, v21, v19, -v23
	v_fmac_f32_e32 v20, v22, v19
	v_add_f32_e32 v16, v16, v21
	v_add_f32_e32 v18, v18, v20
	s_or_b64 exec, exec, s[16:17]
	v_cmp_gt_u32_e64 s[14:15], 40, v1
	s_and_saveexec_b64 s[16:17], s[14:15]
	s_cbranch_execz .LBB155_956
.LBB155_1160:
	v_lshlrev_b32_e32 v19, 3, v15
	v_sub_u32_e32 v19, v17, v19
	v_lshl_add_u32 v19, v14, 3, v19
	ds_read_b64 v[19:20], v19 offset:26560
	ds_read_b64 v[21:22], v17 offset:24984
	s_waitcnt lgkmcnt(0)
	v_mul_f32_e32 v23, v22, v20
	v_mul_f32_e32 v20, v21, v20
	v_fma_f32 v21, v21, v19, -v23
	v_fmac_f32_e32 v20, v22, v19
	v_add_f32_e32 v16, v16, v21
	v_add_f32_e32 v18, v18, v20
	s_or_b64 exec, exec, s[16:17]
	v_cmp_gt_u32_e64 s[14:15], 32, v1
	s_and_saveexec_b64 s[16:17], s[14:15]
	s_cbranch_execz .LBB155_957
.LBB155_1161:
	ds_read_b64 v[19:20], v11 offset:27072
	ds_read_b64 v[21:22], v17 offset:24992
	s_waitcnt lgkmcnt(0)
	v_mul_f32_e32 v23, v22, v20
	v_mul_f32_e32 v20, v21, v20
	v_fma_f32 v21, v21, v19, -v23
	v_fmac_f32_e32 v20, v22, v19
	v_add_f32_e32 v16, v16, v21
	v_add_f32_e32 v18, v18, v20
	s_or_b64 exec, exec, s[16:17]
	v_cmp_gt_u32_e64 s[14:15], 24, v1
	s_and_saveexec_b64 s[16:17], s[14:15]
	s_cbranch_execz .LBB155_958
.LBB155_1162:
	v_lshlrev_b32_e32 v15, 3, v15
	v_sub_u32_e32 v15, v17, v15
	v_lshl_add_u32 v14, v14, 3, v15
	ds_read_b64 v[14:15], v14 offset:27584
	ds_read_b64 v[19:20], v17 offset:25000
	s_waitcnt lgkmcnt(0)
	v_mul_f32_e32 v21, v20, v15
	v_mul_f32_e32 v15, v19, v15
	v_fma_f32 v19, v19, v14, -v21
	v_fmac_f32_e32 v15, v20, v14
	v_add_f32_e32 v16, v16, v19
	v_add_f32_e32 v18, v18, v15
	s_or_b64 exec, exec, s[16:17]
	v_cmp_gt_u32_e64 s[14:15], 16, v1
	s_and_saveexec_b64 s[16:17], s[14:15]
	s_cbranch_execz .LBB155_959
.LBB155_1163:
	ds_read_b64 v[14:15], v11 offset:28096
	ds_read_b64 v[19:20], v17 offset:25008
	s_waitcnt lgkmcnt(0)
	v_mul_f32_e32 v17, v20, v15
	v_mul_f32_e32 v15, v19, v15
	v_fma_f32 v17, v19, v14, -v17
	v_fmac_f32_e32 v15, v20, v14
	v_add_f32_e32 v16, v16, v17
	v_add_f32_e32 v18, v18, v15
	s_or_b64 exec, exec, s[16:17]
	v_cmp_gt_u32_e64 s[14:15], 8, v1
	s_and_saveexec_b64 s[16:17], s[14:15]
	s_cbranch_execnz .LBB155_960
	s_branch .LBB155_961
.LBB155_1164:
	v_lshlrev_b32_e32 v10, 3, v10
	v_sub_u32_e32 v10, v12, v10
	v_lshl_add_u32 v9, v9, 3, v10
	ds_read_b64 v[9:10], v9 offset:29664
	ds_read_b64 v[14:15], v12 offset:29128
	s_waitcnt lgkmcnt(0)
	v_mul_f32_e32 v16, v15, v10
	v_mul_f32_e32 v10, v14, v10
	v_fma_f32 v14, v14, v9, -v16
	v_fmac_f32_e32 v10, v15, v9
	v_add_f32_e32 v11, v11, v14
	v_add_f32_e32 v13, v13, v10
	s_or_b64 exec, exec, s[14:15]
	v_cmp_gt_u32_e64 s[12:13], 8, v1
	s_and_saveexec_b64 s[14:15], s[12:13]
	s_cbranch_execz .LBB155_1017
.LBB155_1165:
	ds_read_b64 v[9:10], v6 offset:30176
	ds_read_b64 v[14:15], v12 offset:29136
	s_waitcnt lgkmcnt(0)
	v_mul_f32_e32 v12, v15, v10
	v_mul_f32_e32 v10, v14, v10
	v_fma_f32 v12, v14, v9, -v12
	v_fmac_f32_e32 v10, v15, v9
	v_add_f32_e32 v11, v11, v12
	v_add_f32_e32 v13, v13, v10
	s_or_b64 exec, exec, s[14:15]
	v_cmp_gt_u32_e64 s[12:13], 4, v1
	s_and_saveexec_b64 s[14:15], s[12:13]
	s_cbranch_execnz .LBB155_1018
	s_branch .LBB155_1019
	.section	.rodata,"a",@progbits
	.p2align	6, 0x0
	.amdhsa_kernel _ZL19rocblas_trsv_deviceILi64ELi16ELb1ELb1ELb0ELb0E19rocblas_complex_numIfEPKS1_PKS3_PKPS1_EviT7_lllT6_T8_lllPii
		.amdhsa_group_segment_fixed_size 41480
		.amdhsa_private_segment_fixed_size 48
		.amdhsa_kernarg_size 352
		.amdhsa_user_sgpr_count 8
		.amdhsa_user_sgpr_private_segment_buffer 1
		.amdhsa_user_sgpr_dispatch_ptr 0
		.amdhsa_user_sgpr_queue_ptr 0
		.amdhsa_user_sgpr_kernarg_segment_ptr 1
		.amdhsa_user_sgpr_dispatch_id 0
		.amdhsa_user_sgpr_flat_scratch_init 1
		.amdhsa_user_sgpr_private_segment_size 0
		.amdhsa_uses_dynamic_stack 0
		.amdhsa_system_sgpr_private_segment_wavefront_offset 1
		.amdhsa_system_sgpr_workgroup_id_x 1
		.amdhsa_system_sgpr_workgroup_id_y 0
		.amdhsa_system_sgpr_workgroup_id_z 1
		.amdhsa_system_sgpr_workgroup_info 0
		.amdhsa_system_vgpr_workitem_id 1
		.amdhsa_next_free_vgpr 49
		.amdhsa_next_free_sgpr 100
		.amdhsa_reserve_vcc 1
		.amdhsa_reserve_flat_scratch 1
		.amdhsa_float_round_mode_32 0
		.amdhsa_float_round_mode_16_64 0
		.amdhsa_float_denorm_mode_32 3
		.amdhsa_float_denorm_mode_16_64 3
		.amdhsa_dx10_clamp 1
		.amdhsa_ieee_mode 1
		.amdhsa_fp16_overflow 0
		.amdhsa_exception_fp_ieee_invalid_op 0
		.amdhsa_exception_fp_denorm_src 0
		.amdhsa_exception_fp_ieee_div_zero 0
		.amdhsa_exception_fp_ieee_overflow 0
		.amdhsa_exception_fp_ieee_underflow 0
		.amdhsa_exception_fp_ieee_inexact 0
		.amdhsa_exception_int_div_zero 0
	.end_amdhsa_kernel
	.section	.text._ZL19rocblas_trsv_deviceILi64ELi16ELb1ELb1ELb0ELb0E19rocblas_complex_numIfEPKS1_PKS3_PKPS1_EviT7_lllT6_T8_lllPii,"axG",@progbits,_ZL19rocblas_trsv_deviceILi64ELi16ELb1ELb1ELb0ELb0E19rocblas_complex_numIfEPKS1_PKS3_PKPS1_EviT7_lllT6_T8_lllPii,comdat
.Lfunc_end155:
	.size	_ZL19rocblas_trsv_deviceILi64ELi16ELb1ELb1ELb0ELb0E19rocblas_complex_numIfEPKS1_PKS3_PKPS1_EviT7_lllT6_T8_lllPii, .Lfunc_end155-_ZL19rocblas_trsv_deviceILi64ELi16ELb1ELb1ELb0ELb0E19rocblas_complex_numIfEPKS1_PKS3_PKPS1_EviT7_lllT6_T8_lllPii
                                        ; -- End function
	.set _ZL19rocblas_trsv_deviceILi64ELi16ELb1ELb1ELb0ELb0E19rocblas_complex_numIfEPKS1_PKS3_PKPS1_EviT7_lllT6_T8_lllPii.num_vgpr, 36
	.set _ZL19rocblas_trsv_deviceILi64ELi16ELb1ELb1ELb0ELb0E19rocblas_complex_numIfEPKS1_PKS3_PKPS1_EviT7_lllT6_T8_lllPii.num_agpr, 0
	.set _ZL19rocblas_trsv_deviceILi64ELi16ELb1ELb1ELb0ELb0E19rocblas_complex_numIfEPKS1_PKS3_PKPS1_EviT7_lllT6_T8_lllPii.numbered_sgpr, 100
	.set _ZL19rocblas_trsv_deviceILi64ELi16ELb1ELb1ELb0ELb0E19rocblas_complex_numIfEPKS1_PKS3_PKPS1_EviT7_lllT6_T8_lllPii.num_named_barrier, 0
	.set _ZL19rocblas_trsv_deviceILi64ELi16ELb1ELb1ELb0ELb0E19rocblas_complex_numIfEPKS1_PKS3_PKPS1_EviT7_lllT6_T8_lllPii.private_seg_size, 48
	.set _ZL19rocblas_trsv_deviceILi64ELi16ELb1ELb1ELb0ELb0E19rocblas_complex_numIfEPKS1_PKS3_PKPS1_EviT7_lllT6_T8_lllPii.uses_vcc, 1
	.set _ZL19rocblas_trsv_deviceILi64ELi16ELb1ELb1ELb0ELb0E19rocblas_complex_numIfEPKS1_PKS3_PKPS1_EviT7_lllT6_T8_lllPii.uses_flat_scratch, 1
	.set _ZL19rocblas_trsv_deviceILi64ELi16ELb1ELb1ELb0ELb0E19rocblas_complex_numIfEPKS1_PKS3_PKPS1_EviT7_lllT6_T8_lllPii.has_dyn_sized_stack, 0
	.set _ZL19rocblas_trsv_deviceILi64ELi16ELb1ELb1ELb0ELb0E19rocblas_complex_numIfEPKS1_PKS3_PKPS1_EviT7_lllT6_T8_lllPii.has_recursion, 0
	.set _ZL19rocblas_trsv_deviceILi64ELi16ELb1ELb1ELb0ELb0E19rocblas_complex_numIfEPKS1_PKS3_PKPS1_EviT7_lllT6_T8_lllPii.has_indirect_call, 0
	.section	.AMDGPU.csdata,"",@progbits
; Kernel info:
; codeLenInByte = 49620
; TotalNumSgprs: 106
; NumVgprs: 36
; ScratchSize: 48
; MemoryBound: 1
; FloatMode: 240
; IeeeMode: 1
; LDSByteSize: 41480 bytes/workgroup (compile time only)
; SGPRBlocks: 13
; VGPRBlocks: 12
; NumSGPRsForWavesPerEU: 106
; NumVGPRsForWavesPerEU: 49
; Occupancy: 4
; WaveLimiterHint : 1
; COMPUTE_PGM_RSRC2:SCRATCH_EN: 1
; COMPUTE_PGM_RSRC2:USER_SGPR: 8
; COMPUTE_PGM_RSRC2:TRAP_HANDLER: 0
; COMPUTE_PGM_RSRC2:TGID_X_EN: 1
; COMPUTE_PGM_RSRC2:TGID_Y_EN: 0
; COMPUTE_PGM_RSRC2:TGID_Z_EN: 1
; COMPUTE_PGM_RSRC2:TIDIG_COMP_CNT: 1
	.section	.text._ZL19rocblas_trsv_deviceILi64ELi16ELb1ELb1ELb1ELb0E19rocblas_complex_numIfEPKS1_PKS3_PKPS1_EviT7_lllT6_T8_lllPii,"axG",@progbits,_ZL19rocblas_trsv_deviceILi64ELi16ELb1ELb1ELb1ELb0E19rocblas_complex_numIfEPKS1_PKS3_PKPS1_EviT7_lllT6_T8_lllPii,comdat
	.globl	_ZL19rocblas_trsv_deviceILi64ELi16ELb1ELb1ELb1ELb0E19rocblas_complex_numIfEPKS1_PKS3_PKPS1_EviT7_lllT6_T8_lllPii ; -- Begin function _ZL19rocblas_trsv_deviceILi64ELi16ELb1ELb1ELb1ELb0E19rocblas_complex_numIfEPKS1_PKS3_PKPS1_EviT7_lllT6_T8_lllPii
	.p2align	8
	.type	_ZL19rocblas_trsv_deviceILi64ELi16ELb1ELb1ELb1ELb0E19rocblas_complex_numIfEPKS1_PKS3_PKPS1_EviT7_lllT6_T8_lllPii,@function
_ZL19rocblas_trsv_deviceILi64ELi16ELb1ELb1ELb1ELb0E19rocblas_complex_numIfEPKS1_PKS3_PKPS1_EviT7_lllT6_T8_lllPii: ; @_ZL19rocblas_trsv_deviceILi64ELi16ELb1ELb1ELb1ELb0E19rocblas_complex_numIfEPKS1_PKS3_PKPS1_EviT7_lllT6_T8_lllPii
; %bb.0:
	s_load_dwordx4 s[0:3], s[4:5], 0x8
	s_mov_b32 s28, s7
	s_mov_b32 s29, 0
	s_lshl_b64 s[8:9], s[28:29], 3
	v_mov_b32_e32 v2, v1
	s_waitcnt lgkmcnt(0)
	s_add_u32 s0, s0, s8
	s_addc_u32 s1, s1, s9
	s_load_dwordx2 s[10:11], s[0:1], 0x0
	s_load_dword s30, s[4:5], 0x0
	s_load_dwordx8 s[20:27], s[4:5], 0x28
	s_load_dwordx2 s[34:35], s[4:5], 0x18
	s_lshl_b64 s[0:1], s[2:3], 3
	s_waitcnt lgkmcnt(0)
	s_add_u32 s39, s10, s0
	s_addc_u32 s92, s11, s1
	s_add_u32 s0, s22, s8
	s_load_dword s7, s[4:5], 0x60
	s_addc_u32 s1, s23, s9
	s_load_dwordx2 s[62:63], s[0:1], 0x0
	s_load_dwordx2 s[48:49], s[20:21], 0x0
	s_load_dword s36, s[4:5], 0x6c
	s_waitcnt lgkmcnt(0)
	s_add_i32 s7, s7, -1
	s_sub_i32 s93, s7, s6
	s_cmp_lg_u32 s6, 0
	s_cbranch_scc0 .LBB156_1119
; %bb.1:
	s_lshl_b32 s33, s93, 6
	v_add_u32_e32 v1, s33, v0
	v_ashrrev_i32_e32 v3, 31, v1
	v_mul_lo_u32 v5, s34, v3
	v_mul_lo_u32 v6, s35, v1
	v_mad_u64_u32 v[3:4], s[0:1], s34, v1, 0
	v_add3_u32 v7, v2, s33, 64
	v_ashrrev_i32_e32 v8, 31, v7
	v_add3_u32 v4, v4, v5, v6
	v_lshlrev_b64 v[3:4], 3, v[3:4]
	v_cmp_gt_i32_e32 vcc, s30, v1
	v_mov_b32_e32 v1, s92
	v_add_co_u32_e64 v5, s[0:1], s39, v3
	v_addc_co_u32_e64 v1, s[0:1], v1, v4, s[0:1]
	v_lshlrev_b64 v[3:4], 3, v[7:8]
	v_mov_b32_e32 v6, 0
	v_add_co_u32_e64 v11, s[0:1], v5, v3
	v_addc_co_u32_e64 v12, s[0:1], v1, v4, s[0:1]
	v_cmp_gt_i32_e64 s[0:1], s30, v7
	s_and_b64 s[2:3], s[0:1], vcc
	v_mov_b32_e32 v3, 0
	v_mov_b32_e32 v5, 0
	s_barrier
	s_and_saveexec_b64 s[0:1], s[2:3]
	s_cbranch_execz .LBB156_3
; %bb.2:
	flat_load_dwordx2 v[5:6], v[11:12]
.LBB156_3:
	s_or_b64 exec, exec, s[0:1]
	v_add_u32_e32 v1, 16, v7
	v_cmp_gt_i32_e64 s[0:1], s30, v1
	s_and_b64 s[2:3], s[0:1], vcc
	v_mov_b32_e32 v4, 0
	s_waitcnt vmcnt(0) lgkmcnt(0)
	s_barrier
	s_and_saveexec_b64 s[0:1], s[2:3]
	s_cbranch_execz .LBB156_5
; %bb.4:
	flat_load_dwordx2 v[3:4], v[11:12] offset:128
.LBB156_5:
	s_or_b64 exec, exec, s[0:1]
	v_add_u32_e32 v1, 32, v7
	v_cmp_gt_i32_e64 s[0:1], s30, v1
	s_and_b64 s[2:3], s[0:1], vcc
	v_mov_b32_e32 v8, 0
	v_mov_b32_e32 v9, 0
	;; [unrolled: 1-line block ×3, first 2 shown]
	s_waitcnt vmcnt(0) lgkmcnt(0)
	s_barrier
	s_and_saveexec_b64 s[0:1], s[2:3]
	s_cbranch_execz .LBB156_7
; %bb.6:
	flat_load_dwordx2 v[9:10], v[11:12] offset:256
.LBB156_7:
	s_or_b64 exec, exec, s[0:1]
	v_add_u32_e32 v1, 48, v7
	v_cmp_gt_i32_e64 s[0:1], s30, v1
	s_and_b64 s[2:3], s[0:1], vcc
	v_mov_b32_e32 v7, 0
	s_waitcnt vmcnt(0) lgkmcnt(0)
	s_barrier
	s_and_saveexec_b64 s[0:1], s[2:3]
	s_cbranch_execz .LBB156_9
; %bb.8:
	flat_load_dwordx2 v[7:8], v[11:12] offset:384
.LBB156_9:
	s_or_b64 exec, exec, s[0:1]
	s_branch .LBB156_11
.LBB156_10:
	s_lshl_b32 s33, s93, 6
                                        ; implicit-def: $vgpr5
                                        ; implicit-def: $vgpr3
                                        ; implicit-def: $vgpr9
                                        ; implicit-def: $vgpr7
.LBB156_11:
	s_ashr_i32 s31, s30, 31
	s_lshr_b32 s0, s31, 26
	s_add_i32 s0, s30, s0
	s_andn2_b32 s0, s0, 63
	s_sub_i32 s38, s30, s0
	s_add_i32 s0, s30, -1
	s_ashr_i32 s1, s0, 31
	s_lshr_b32 s1, s1, 26
	s_add_i32 s0, s0, s1
	s_ashr_i32 s0, s0, 6
	s_cmp_eq_u32 s0, s93
	s_cselect_b64 s[0:1], -1, 0
	s_cmp_lg_u32 s38, 0
	s_cselect_b64 s[2:3], -1, 0
	s_and_b64 s[22:23], s[2:3], s[0:1]
	s_cmp_lt_i32 s6, 5
	s_cselect_b64 s[2:3], -1, 0
	s_or_b64 s[0:1], s[2:3], s[22:23]
	s_ashr_i32 s42, s33, 31
	s_add_u32 s10, s34, 1
	v_mov_b32_e32 v1, 0
	v_mov_b32_e32 v11, s33
	v_mad_u64_u32 v[11:12], s[8:9], s10, v11, v[0:1]
	s_addc_u32 s11, s35, 0
	s_mul_i32 s8, s10, s42
	s_mul_i32 s11, s11, s33
	v_lshlrev_b32_e32 v17, 6, v0
	s_add_i32 s8, s8, s11
	s_mov_b64 s[12:13], -1
	v_add_u32_e32 v12, s8, v12
	s_and_b64 vcc, exec, s[22:23]
	v_add_u32_e32 v18, v2, v17
	v_cmp_le_u32_e64 s[8:9], v0, v2
	v_lshl_add_u32 v1, v2, 6, v0
	s_cbranch_vccnz .LBB156_69
; %bb.12:
	v_mad_u64_u32 v[13:14], s[10:11], s34, v2, v[11:12]
	v_cndmask_b32_e64 v19, v1, v18, s[2:3]
	v_mad_u64_u32 v[14:15], s[10:11], s35, v2, v[14:15]
	s_and_saveexec_b64 s[2:3], s[8:9]
	s_xor_b64 s[2:3], exec, s[2:3]
	s_cbranch_execz .LBB156_24
; %bb.13:
	v_cmp_ne_u32_e32 vcc, v0, v2
	s_and_saveexec_b64 s[8:9], vcc
	s_xor_b64 s[8:9], exec, s[8:9]
	s_cbranch_execz .LBB156_17
; %bb.14:
	v_or_b32_e32 v13, v2, v0
	v_cmp_gt_u32_e32 vcc, 64, v13
	s_and_saveexec_b64 s[10:11], vcc
; %bb.15:
	v_mov_b32_e32 v13, 0
	v_lshlrev_b32_e32 v15, 3, v19
	v_mov_b32_e32 v14, v13
	ds_write_b64 v15, v[13:14]
; %bb.16:
	s_or_b64 exec, exec, s[10:11]
                                        ; implicit-def: $vgpr19
                                        ; implicit-def: $vgpr13_vgpr14
.LBB156_17:
	s_andn2_saveexec_b64 s[8:9], s[8:9]
	s_cbranch_execz .LBB156_23
; %bb.18:
	v_lshlrev_b64 v[13:14], 3, v[13:14]
	v_mov_b32_e32 v15, s92
	v_add_co_u32_e32 v13, vcc, s39, v13
	v_addc_co_u32_e32 v14, vcc, v15, v14, vcc
	flat_load_dwordx2 v[13:14], v[13:14]
                                        ; implicit-def: $vgpr15
	s_waitcnt vmcnt(0) lgkmcnt(0)
	v_cmp_ngt_f32_e64 s[10:11], |v13|, |v14|
	s_and_saveexec_b64 s[12:13], s[10:11]
	s_xor_b64 s[10:11], exec, s[12:13]
	s_cbranch_execz .LBB156_20
; %bb.19:
	v_div_scale_f32 v15, s[12:13], -v14, -v14, v13
	v_div_scale_f32 v16, vcc, v13, -v14, v13
	v_rcp_f32_e32 v20, v15
	v_fma_f32 v21, -v15, v20, 1.0
	v_fmac_f32_e32 v20, v21, v20
	v_mul_f32_e32 v21, v16, v20
	v_fma_f32 v22, -v15, v21, v16
	v_fmac_f32_e32 v21, v22, v20
	v_fma_f32 v15, -v15, v21, v16
	v_div_fmas_f32 v15, v15, v20, v21
	v_div_fixup_f32 v15, v15, -v14, v13
	v_fma_f32 v13, v13, v15, -v14
	v_div_scale_f32 v14, s[12:13], v13, v13, 1.0
	v_div_scale_f32 v16, vcc, 1.0, v13, 1.0
	v_rcp_f32_e32 v20, v14
	v_fma_f32 v21, -v14, v20, 1.0
	v_fmac_f32_e32 v20, v21, v20
	v_mul_f32_e32 v21, v16, v20
	v_fma_f32 v22, -v14, v21, v16
	v_fmac_f32_e32 v21, v22, v20
	v_fma_f32 v14, -v14, v21, v16
	v_div_fmas_f32 v14, v14, v20, v21
	v_div_fixup_f32 v13, v14, v13, 1.0
	v_mul_f32_e32 v15, v15, v13
	v_xor_b32_e32 v16, 0x80000000, v13
                                        ; implicit-def: $vgpr13_vgpr14
.LBB156_20:
	s_andn2_saveexec_b64 s[10:11], s[10:11]
	s_cbranch_execz .LBB156_22
; %bb.21:
	v_div_scale_f32 v15, s[12:13], v13, v13, -v14
	v_div_scale_f32 v16, vcc, -v14, v13, -v14
	v_rcp_f32_e32 v20, v15
	v_fma_f32 v21, -v15, v20, 1.0
	v_fmac_f32_e32 v20, v21, v20
	v_mul_f32_e32 v21, v16, v20
	v_fma_f32 v22, -v15, v21, v16
	v_fmac_f32_e32 v21, v22, v20
	v_fma_f32 v15, -v15, v21, v16
	v_div_fmas_f32 v15, v15, v20, v21
	v_div_fixup_f32 v16, v15, v13, -v14
	v_fma_f32 v13, -v14, v16, v13
	v_div_scale_f32 v14, s[12:13], v13, v13, 1.0
	v_div_scale_f32 v15, vcc, 1.0, v13, 1.0
	v_rcp_f32_e32 v20, v14
	v_fma_f32 v21, -v14, v20, 1.0
	v_fmac_f32_e32 v20, v21, v20
	v_mul_f32_e32 v21, v15, v20
	v_fma_f32 v22, -v14, v21, v15
	v_fmac_f32_e32 v21, v22, v20
	v_fma_f32 v14, -v14, v21, v15
	v_div_fmas_f32 v14, v14, v20, v21
	v_div_fixup_f32 v15, v14, v13, 1.0
	v_mul_f32_e64 v16, v16, -v15
.LBB156_22:
	s_or_b64 exec, exec, s[10:11]
	v_lshlrev_b32_e32 v13, 3, v19
	ds_write_b64 v13, v[15:16]
.LBB156_23:
	s_or_b64 exec, exec, s[8:9]
                                        ; implicit-def: $vgpr13_vgpr14
                                        ; implicit-def: $vgpr19
.LBB156_24:
	s_andn2_saveexec_b64 s[2:3], s[2:3]
	s_cbranch_execz .LBB156_26
; %bb.25:
	v_lshlrev_b64 v[13:14], 3, v[13:14]
	v_mov_b32_e32 v15, s92
	v_add_co_u32_e32 v13, vcc, s39, v13
	v_addc_co_u32_e32 v14, vcc, v15, v14, vcc
	flat_load_dwordx2 v[13:14], v[13:14]
	v_lshlrev_b32_e32 v15, 3, v19
	s_waitcnt vmcnt(0) lgkmcnt(0)
	v_xor_b32_e32 v13, 0x80000000, v13
	ds_write_b64 v15, v[13:14]
.LBB156_26:
	s_or_b64 exec, exec, s[2:3]
	v_add_u32_e32 v15, 16, v2
	v_mad_u64_u32 v[13:14], s[2:3], s34, v15, v[11:12]
	v_lshl_add_u32 v16, v15, 6, v0
	v_cmp_le_u32_e32 vcc, v0, v15
	v_mad_u64_u32 v[20:21], s[2:3], s35, v15, v[14:15]
	v_add_u32_e32 v14, v15, v17
	v_cndmask_b32_e64 v19, v16, v14, s[0:1]
	v_mov_b32_e32 v14, v20
	s_and_saveexec_b64 s[2:3], vcc
	s_xor_b64 s[2:3], exec, s[2:3]
	s_cbranch_execz .LBB156_38
; %bb.27:
	v_cmp_ne_u32_e32 vcc, v0, v15
	s_and_saveexec_b64 s[8:9], vcc
	s_xor_b64 s[8:9], exec, s[8:9]
	s_cbranch_execz .LBB156_31
; %bb.28:
	v_or_b32_e32 v13, v15, v0
	v_cmp_gt_u32_e32 vcc, 64, v13
	s_and_saveexec_b64 s[10:11], vcc
; %bb.29:
	v_mov_b32_e32 v13, 0
	v_lshlrev_b32_e32 v15, 3, v19
	v_mov_b32_e32 v14, v13
	ds_write_b64 v15, v[13:14]
; %bb.30:
	s_or_b64 exec, exec, s[10:11]
                                        ; implicit-def: $vgpr19
                                        ; implicit-def: $vgpr13_vgpr14
.LBB156_31:
	s_andn2_saveexec_b64 s[8:9], s[8:9]
	s_cbranch_execz .LBB156_37
; %bb.32:
	v_lshlrev_b64 v[13:14], 3, v[13:14]
	v_mov_b32_e32 v15, s92
	v_add_co_u32_e32 v13, vcc, s39, v13
	v_addc_co_u32_e32 v14, vcc, v15, v14, vcc
	flat_load_dwordx2 v[13:14], v[13:14]
                                        ; implicit-def: $vgpr15
	s_waitcnt vmcnt(0) lgkmcnt(0)
	v_cmp_ngt_f32_e64 s[10:11], |v13|, |v14|
	s_and_saveexec_b64 s[12:13], s[10:11]
	s_xor_b64 s[10:11], exec, s[12:13]
	s_cbranch_execz .LBB156_34
; %bb.33:
	v_div_scale_f32 v15, s[12:13], -v14, -v14, v13
	v_div_scale_f32 v16, vcc, v13, -v14, v13
	v_rcp_f32_e32 v20, v15
	v_fma_f32 v21, -v15, v20, 1.0
	v_fmac_f32_e32 v20, v21, v20
	v_mul_f32_e32 v21, v16, v20
	v_fma_f32 v22, -v15, v21, v16
	v_fmac_f32_e32 v21, v22, v20
	v_fma_f32 v15, -v15, v21, v16
	v_div_fmas_f32 v15, v15, v20, v21
	v_div_fixup_f32 v15, v15, -v14, v13
	v_fma_f32 v13, v13, v15, -v14
	v_div_scale_f32 v14, s[12:13], v13, v13, 1.0
	v_div_scale_f32 v16, vcc, 1.0, v13, 1.0
	v_rcp_f32_e32 v20, v14
	v_fma_f32 v21, -v14, v20, 1.0
	v_fmac_f32_e32 v20, v21, v20
	v_mul_f32_e32 v21, v16, v20
	v_fma_f32 v22, -v14, v21, v16
	v_fmac_f32_e32 v21, v22, v20
	v_fma_f32 v14, -v14, v21, v16
	v_div_fmas_f32 v14, v14, v20, v21
	v_div_fixup_f32 v13, v14, v13, 1.0
	v_mul_f32_e32 v15, v15, v13
	v_xor_b32_e32 v16, 0x80000000, v13
                                        ; implicit-def: $vgpr13_vgpr14
.LBB156_34:
	s_andn2_saveexec_b64 s[10:11], s[10:11]
	s_cbranch_execz .LBB156_36
; %bb.35:
	v_div_scale_f32 v15, s[12:13], v13, v13, -v14
	v_div_scale_f32 v16, vcc, -v14, v13, -v14
	v_rcp_f32_e32 v20, v15
	v_fma_f32 v21, -v15, v20, 1.0
	v_fmac_f32_e32 v20, v21, v20
	v_mul_f32_e32 v21, v16, v20
	v_fma_f32 v22, -v15, v21, v16
	v_fmac_f32_e32 v21, v22, v20
	v_fma_f32 v15, -v15, v21, v16
	v_div_fmas_f32 v15, v15, v20, v21
	v_div_fixup_f32 v16, v15, v13, -v14
	v_fma_f32 v13, -v14, v16, v13
	v_div_scale_f32 v14, s[12:13], v13, v13, 1.0
	v_div_scale_f32 v15, vcc, 1.0, v13, 1.0
	v_rcp_f32_e32 v20, v14
	v_fma_f32 v21, -v14, v20, 1.0
	v_fmac_f32_e32 v20, v21, v20
	v_mul_f32_e32 v21, v15, v20
	v_fma_f32 v22, -v14, v21, v15
	v_fmac_f32_e32 v21, v22, v20
	v_fma_f32 v14, -v14, v21, v15
	v_div_fmas_f32 v14, v14, v20, v21
	v_div_fixup_f32 v15, v14, v13, 1.0
	v_mul_f32_e64 v16, v16, -v15
.LBB156_36:
	s_or_b64 exec, exec, s[10:11]
	v_lshlrev_b32_e32 v13, 3, v19
	ds_write_b64 v13, v[15:16]
.LBB156_37:
	s_or_b64 exec, exec, s[8:9]
                                        ; implicit-def: $vgpr13_vgpr14
                                        ; implicit-def: $vgpr19
.LBB156_38:
	s_andn2_saveexec_b64 s[2:3], s[2:3]
	s_cbranch_execz .LBB156_40
; %bb.39:
	v_lshlrev_b64 v[13:14], 3, v[13:14]
	v_mov_b32_e32 v15, s92
	v_add_co_u32_e32 v13, vcc, s39, v13
	v_addc_co_u32_e32 v14, vcc, v15, v14, vcc
	flat_load_dwordx2 v[13:14], v[13:14]
	v_lshlrev_b32_e32 v15, 3, v19
	s_waitcnt vmcnt(0) lgkmcnt(0)
	v_xor_b32_e32 v13, 0x80000000, v13
	ds_write_b64 v15, v[13:14]
.LBB156_40:
	s_or_b64 exec, exec, s[2:3]
	v_add_u32_e32 v15, 32, v2
	v_mad_u64_u32 v[13:14], s[2:3], s34, v15, v[11:12]
	v_lshl_add_u32 v16, v15, 6, v0
	v_cmp_le_u32_e32 vcc, v0, v15
	v_mad_u64_u32 v[20:21], s[2:3], s35, v15, v[14:15]
	v_add_u32_e32 v14, v15, v17
	v_cndmask_b32_e64 v19, v16, v14, s[0:1]
	v_mov_b32_e32 v14, v20
	s_and_saveexec_b64 s[2:3], vcc
	s_xor_b64 s[2:3], exec, s[2:3]
	s_cbranch_execz .LBB156_52
; %bb.41:
	v_cmp_ne_u32_e32 vcc, v0, v15
	s_and_saveexec_b64 s[8:9], vcc
	s_xor_b64 s[8:9], exec, s[8:9]
	s_cbranch_execz .LBB156_45
; %bb.42:
	v_or_b32_e32 v13, v15, v0
	v_cmp_gt_u32_e32 vcc, 64, v13
	s_and_saveexec_b64 s[10:11], vcc
; %bb.43:
	v_mov_b32_e32 v13, 0
	v_lshlrev_b32_e32 v15, 3, v19
	v_mov_b32_e32 v14, v13
	ds_write_b64 v15, v[13:14]
; %bb.44:
	s_or_b64 exec, exec, s[10:11]
                                        ; implicit-def: $vgpr19
                                        ; implicit-def: $vgpr13_vgpr14
.LBB156_45:
	s_andn2_saveexec_b64 s[8:9], s[8:9]
	s_cbranch_execz .LBB156_51
; %bb.46:
	v_lshlrev_b64 v[13:14], 3, v[13:14]
	v_mov_b32_e32 v15, s92
	v_add_co_u32_e32 v13, vcc, s39, v13
	v_addc_co_u32_e32 v14, vcc, v15, v14, vcc
	flat_load_dwordx2 v[13:14], v[13:14]
                                        ; implicit-def: $vgpr15
	s_waitcnt vmcnt(0) lgkmcnt(0)
	v_cmp_ngt_f32_e64 s[10:11], |v13|, |v14|
	s_and_saveexec_b64 s[12:13], s[10:11]
	s_xor_b64 s[10:11], exec, s[12:13]
	s_cbranch_execz .LBB156_48
; %bb.47:
	v_div_scale_f32 v15, s[12:13], -v14, -v14, v13
	v_div_scale_f32 v16, vcc, v13, -v14, v13
	v_rcp_f32_e32 v20, v15
	v_fma_f32 v21, -v15, v20, 1.0
	v_fmac_f32_e32 v20, v21, v20
	v_mul_f32_e32 v21, v16, v20
	v_fma_f32 v22, -v15, v21, v16
	v_fmac_f32_e32 v21, v22, v20
	v_fma_f32 v15, -v15, v21, v16
	v_div_fmas_f32 v15, v15, v20, v21
	v_div_fixup_f32 v15, v15, -v14, v13
	v_fma_f32 v13, v13, v15, -v14
	v_div_scale_f32 v14, s[12:13], v13, v13, 1.0
	v_div_scale_f32 v16, vcc, 1.0, v13, 1.0
	v_rcp_f32_e32 v20, v14
	v_fma_f32 v21, -v14, v20, 1.0
	v_fmac_f32_e32 v20, v21, v20
	v_mul_f32_e32 v21, v16, v20
	v_fma_f32 v22, -v14, v21, v16
	v_fmac_f32_e32 v21, v22, v20
	v_fma_f32 v14, -v14, v21, v16
	v_div_fmas_f32 v14, v14, v20, v21
	v_div_fixup_f32 v13, v14, v13, 1.0
	v_mul_f32_e32 v15, v15, v13
	v_xor_b32_e32 v16, 0x80000000, v13
                                        ; implicit-def: $vgpr13_vgpr14
.LBB156_48:
	s_andn2_saveexec_b64 s[10:11], s[10:11]
	s_cbranch_execz .LBB156_50
; %bb.49:
	v_div_scale_f32 v15, s[12:13], v13, v13, -v14
	v_div_scale_f32 v16, vcc, -v14, v13, -v14
	v_rcp_f32_e32 v20, v15
	v_fma_f32 v21, -v15, v20, 1.0
	v_fmac_f32_e32 v20, v21, v20
	v_mul_f32_e32 v21, v16, v20
	v_fma_f32 v22, -v15, v21, v16
	v_fmac_f32_e32 v21, v22, v20
	v_fma_f32 v15, -v15, v21, v16
	v_div_fmas_f32 v15, v15, v20, v21
	v_div_fixup_f32 v16, v15, v13, -v14
	v_fma_f32 v13, -v14, v16, v13
	v_div_scale_f32 v14, s[12:13], v13, v13, 1.0
	v_div_scale_f32 v15, vcc, 1.0, v13, 1.0
	v_rcp_f32_e32 v20, v14
	v_fma_f32 v21, -v14, v20, 1.0
	v_fmac_f32_e32 v20, v21, v20
	v_mul_f32_e32 v21, v15, v20
	v_fma_f32 v22, -v14, v21, v15
	v_fmac_f32_e32 v21, v22, v20
	v_fma_f32 v14, -v14, v21, v15
	v_div_fmas_f32 v14, v14, v20, v21
	v_div_fixup_f32 v15, v14, v13, 1.0
	v_mul_f32_e64 v16, v16, -v15
.LBB156_50:
	s_or_b64 exec, exec, s[10:11]
	v_lshlrev_b32_e32 v13, 3, v19
	ds_write_b64 v13, v[15:16]
.LBB156_51:
	s_or_b64 exec, exec, s[8:9]
                                        ; implicit-def: $vgpr13_vgpr14
                                        ; implicit-def: $vgpr19
.LBB156_52:
	s_andn2_saveexec_b64 s[2:3], s[2:3]
	s_cbranch_execz .LBB156_54
; %bb.53:
	v_lshlrev_b64 v[13:14], 3, v[13:14]
	v_mov_b32_e32 v15, s92
	v_add_co_u32_e32 v13, vcc, s39, v13
	v_addc_co_u32_e32 v14, vcc, v15, v14, vcc
	flat_load_dwordx2 v[13:14], v[13:14]
	v_lshlrev_b32_e32 v15, 3, v19
	s_waitcnt vmcnt(0) lgkmcnt(0)
	v_xor_b32_e32 v13, 0x80000000, v13
	ds_write_b64 v15, v[13:14]
.LBB156_54:
	s_or_b64 exec, exec, s[2:3]
	v_add_u32_e32 v15, 48, v2
	v_mad_u64_u32 v[13:14], s[2:3], s34, v15, v[11:12]
	v_lshl_add_u32 v16, v15, 6, v0
	v_cmp_le_u32_e32 vcc, v0, v15
	v_mad_u64_u32 v[20:21], s[2:3], s35, v15, v[14:15]
	v_add_u32_e32 v14, v15, v17
	v_cndmask_b32_e64 v19, v16, v14, s[0:1]
	v_mov_b32_e32 v14, v20
	s_and_saveexec_b64 s[2:3], vcc
	s_xor_b64 s[2:3], exec, s[2:3]
	s_cbranch_execz .LBB156_66
; %bb.55:
	v_cmp_ne_u32_e32 vcc, v0, v15
	s_and_saveexec_b64 s[8:9], vcc
	s_xor_b64 s[8:9], exec, s[8:9]
	s_cbranch_execz .LBB156_59
; %bb.56:
	v_or_b32_e32 v13, v15, v0
	v_cmp_gt_u32_e32 vcc, 64, v13
	s_and_saveexec_b64 s[10:11], vcc
; %bb.57:
	v_mov_b32_e32 v13, 0
	v_lshlrev_b32_e32 v15, 3, v19
	v_mov_b32_e32 v14, v13
	ds_write_b64 v15, v[13:14]
; %bb.58:
	s_or_b64 exec, exec, s[10:11]
                                        ; implicit-def: $vgpr19
                                        ; implicit-def: $vgpr13_vgpr14
.LBB156_59:
	s_andn2_saveexec_b64 s[8:9], s[8:9]
	s_cbranch_execz .LBB156_65
; %bb.60:
	v_lshlrev_b64 v[13:14], 3, v[13:14]
	v_mov_b32_e32 v15, s92
	v_add_co_u32_e32 v13, vcc, s39, v13
	v_addc_co_u32_e32 v14, vcc, v15, v14, vcc
	flat_load_dwordx2 v[13:14], v[13:14]
                                        ; implicit-def: $vgpr15
	s_waitcnt vmcnt(0) lgkmcnt(0)
	v_cmp_ngt_f32_e64 s[10:11], |v13|, |v14|
	s_and_saveexec_b64 s[12:13], s[10:11]
	s_xor_b64 s[10:11], exec, s[12:13]
	s_cbranch_execz .LBB156_62
; %bb.61:
	v_div_scale_f32 v15, s[12:13], -v14, -v14, v13
	v_div_scale_f32 v16, vcc, v13, -v14, v13
	v_rcp_f32_e32 v20, v15
	v_fma_f32 v21, -v15, v20, 1.0
	v_fmac_f32_e32 v20, v21, v20
	v_mul_f32_e32 v21, v16, v20
	v_fma_f32 v22, -v15, v21, v16
	v_fmac_f32_e32 v21, v22, v20
	v_fma_f32 v15, -v15, v21, v16
	v_div_fmas_f32 v15, v15, v20, v21
	v_div_fixup_f32 v15, v15, -v14, v13
	v_fma_f32 v13, v13, v15, -v14
	v_div_scale_f32 v14, s[12:13], v13, v13, 1.0
	v_div_scale_f32 v16, vcc, 1.0, v13, 1.0
	v_rcp_f32_e32 v20, v14
	v_fma_f32 v21, -v14, v20, 1.0
	v_fmac_f32_e32 v20, v21, v20
	v_mul_f32_e32 v21, v16, v20
	v_fma_f32 v22, -v14, v21, v16
	v_fmac_f32_e32 v21, v22, v20
	v_fma_f32 v14, -v14, v21, v16
	v_div_fmas_f32 v14, v14, v20, v21
	v_div_fixup_f32 v13, v14, v13, 1.0
	v_mul_f32_e32 v15, v15, v13
	v_xor_b32_e32 v16, 0x80000000, v13
                                        ; implicit-def: $vgpr13_vgpr14
.LBB156_62:
	s_andn2_saveexec_b64 s[10:11], s[10:11]
	s_cbranch_execz .LBB156_64
; %bb.63:
	v_div_scale_f32 v15, s[12:13], v13, v13, -v14
	v_div_scale_f32 v16, vcc, -v14, v13, -v14
	v_rcp_f32_e32 v20, v15
	v_fma_f32 v21, -v15, v20, 1.0
	v_fmac_f32_e32 v20, v21, v20
	v_mul_f32_e32 v21, v16, v20
	v_fma_f32 v22, -v15, v21, v16
	v_fmac_f32_e32 v21, v22, v20
	v_fma_f32 v15, -v15, v21, v16
	v_div_fmas_f32 v15, v15, v20, v21
	v_div_fixup_f32 v16, v15, v13, -v14
	v_fma_f32 v13, -v14, v16, v13
	v_div_scale_f32 v14, s[12:13], v13, v13, 1.0
	v_div_scale_f32 v15, vcc, 1.0, v13, 1.0
	v_rcp_f32_e32 v20, v14
	v_fma_f32 v21, -v14, v20, 1.0
	v_fmac_f32_e32 v20, v21, v20
	v_mul_f32_e32 v21, v15, v20
	v_fma_f32 v22, -v14, v21, v15
	v_fmac_f32_e32 v21, v22, v20
	v_fma_f32 v14, -v14, v21, v15
	v_div_fmas_f32 v14, v14, v20, v21
	v_div_fixup_f32 v15, v14, v13, 1.0
	v_mul_f32_e64 v16, v16, -v15
.LBB156_64:
	s_or_b64 exec, exec, s[10:11]
	v_lshlrev_b32_e32 v13, 3, v19
	ds_write_b64 v13, v[15:16]
.LBB156_65:
	s_or_b64 exec, exec, s[8:9]
                                        ; implicit-def: $vgpr13_vgpr14
                                        ; implicit-def: $vgpr19
.LBB156_66:
	s_andn2_saveexec_b64 s[2:3], s[2:3]
	s_cbranch_execz .LBB156_68
; %bb.67:
	v_lshlrev_b64 v[13:14], 3, v[13:14]
	v_mov_b32_e32 v15, s92
	v_add_co_u32_e32 v13, vcc, s39, v13
	v_addc_co_u32_e32 v14, vcc, v15, v14, vcc
	flat_load_dwordx2 v[13:14], v[13:14]
	v_lshlrev_b32_e32 v15, 3, v19
	s_waitcnt vmcnt(0) lgkmcnt(0)
	v_xor_b32_e32 v13, 0x80000000, v13
	ds_write_b64 v15, v[13:14]
.LBB156_68:
	s_or_b64 exec, exec, s[2:3]
	s_mov_b64 s[12:13], 0
.LBB156_69:
	s_xor_b64 s[10:11], s[0:1], -1
	s_and_b64 vcc, exec, s[12:13]
	s_cbranch_vccz .LBB156_127
; %bb.70:
	v_mad_u64_u32 v[13:14], s[2:3], s34, v2, v[11:12]
	v_cmp_le_u32_e32 vcc, v0, v2
	v_cmp_gt_i32_e64 s[2:3], s38, v0
	v_mad_u64_u32 v[14:15], s[8:9], s35, v2, v[14:15]
	v_max_i32_e32 v15, v2, v0
	v_cmp_le_i32_e64 s[8:9], s38, v15
	s_or_b64 s[8:9], s[8:9], vcc
	s_and_saveexec_b64 s[12:13], s[8:9]
	s_xor_b64 s[8:9], exec, s[12:13]
	s_cbranch_execz .LBB156_82
; %bb.71:
	v_cmp_ne_u32_e32 vcc, v0, v2
	s_xor_b64 s[12:13], s[2:3], -1
	s_or_b64 s[12:13], s[12:13], vcc
	s_and_saveexec_b64 s[14:15], s[12:13]
	s_xor_b64 s[12:13], exec, s[14:15]
	s_cbranch_execz .LBB156_75
; %bb.72:
	v_or_b32_e32 v13, v2, v0
	v_cmp_gt_u32_e32 vcc, 64, v13
	s_and_saveexec_b64 s[14:15], vcc
; %bb.73:
	v_mov_b32_e32 v13, 0
	v_lshlrev_b32_e32 v15, 3, v18
	v_mov_b32_e32 v14, v13
	ds_write_b64 v15, v[13:14]
; %bb.74:
	s_or_b64 exec, exec, s[14:15]
                                        ; implicit-def: $vgpr18
                                        ; implicit-def: $vgpr13_vgpr14
.LBB156_75:
	s_andn2_saveexec_b64 s[12:13], s[12:13]
	s_cbranch_execz .LBB156_81
; %bb.76:
	v_lshlrev_b64 v[13:14], 3, v[13:14]
	v_mov_b32_e32 v15, s92
	v_add_co_u32_e32 v13, vcc, s39, v13
	v_addc_co_u32_e32 v14, vcc, v15, v14, vcc
	flat_load_dwordx2 v[13:14], v[13:14]
                                        ; implicit-def: $vgpr15
	s_waitcnt vmcnt(0) lgkmcnt(0)
	v_cmp_ngt_f32_e64 s[14:15], |v13|, |v14|
	s_and_saveexec_b64 s[16:17], s[14:15]
	s_xor_b64 s[14:15], exec, s[16:17]
	s_cbranch_execz .LBB156_78
; %bb.77:
	v_div_scale_f32 v15, s[16:17], -v14, -v14, v13
	v_div_scale_f32 v16, vcc, v13, -v14, v13
	v_rcp_f32_e32 v19, v15
	v_fma_f32 v20, -v15, v19, 1.0
	v_fmac_f32_e32 v19, v20, v19
	v_mul_f32_e32 v20, v16, v19
	v_fma_f32 v21, -v15, v20, v16
	v_fmac_f32_e32 v20, v21, v19
	v_fma_f32 v15, -v15, v20, v16
	v_div_fmas_f32 v15, v15, v19, v20
	v_div_fixup_f32 v15, v15, -v14, v13
	v_fma_f32 v13, v13, v15, -v14
	v_div_scale_f32 v14, s[16:17], v13, v13, 1.0
	v_div_scale_f32 v16, vcc, 1.0, v13, 1.0
	v_rcp_f32_e32 v19, v14
	v_fma_f32 v20, -v14, v19, 1.0
	v_fmac_f32_e32 v19, v20, v19
	v_mul_f32_e32 v20, v16, v19
	v_fma_f32 v21, -v14, v20, v16
	v_fmac_f32_e32 v20, v21, v19
	v_fma_f32 v14, -v14, v20, v16
	v_div_fmas_f32 v14, v14, v19, v20
	v_div_fixup_f32 v13, v14, v13, 1.0
	v_mul_f32_e32 v15, v15, v13
	v_xor_b32_e32 v16, 0x80000000, v13
                                        ; implicit-def: $vgpr13_vgpr14
.LBB156_78:
	s_andn2_saveexec_b64 s[14:15], s[14:15]
	s_cbranch_execz .LBB156_80
; %bb.79:
	v_div_scale_f32 v15, s[16:17], v13, v13, -v14
	v_div_scale_f32 v16, vcc, -v14, v13, -v14
	v_rcp_f32_e32 v19, v15
	v_fma_f32 v20, -v15, v19, 1.0
	v_fmac_f32_e32 v19, v20, v19
	v_mul_f32_e32 v20, v16, v19
	v_fma_f32 v21, -v15, v20, v16
	v_fmac_f32_e32 v20, v21, v19
	v_fma_f32 v15, -v15, v20, v16
	v_div_fmas_f32 v15, v15, v19, v20
	v_div_fixup_f32 v16, v15, v13, -v14
	v_fma_f32 v13, -v14, v16, v13
	v_div_scale_f32 v14, s[16:17], v13, v13, 1.0
	v_div_scale_f32 v15, vcc, 1.0, v13, 1.0
	v_rcp_f32_e32 v19, v14
	v_fma_f32 v20, -v14, v19, 1.0
	v_fmac_f32_e32 v19, v20, v19
	v_mul_f32_e32 v20, v15, v19
	v_fma_f32 v21, -v14, v20, v15
	v_fmac_f32_e32 v20, v21, v19
	v_fma_f32 v14, -v14, v20, v15
	v_div_fmas_f32 v14, v14, v19, v20
	v_div_fixup_f32 v15, v14, v13, 1.0
	v_mul_f32_e64 v16, v16, -v15
.LBB156_80:
	s_or_b64 exec, exec, s[14:15]
	v_lshlrev_b32_e32 v13, 3, v18
	ds_write_b64 v13, v[15:16]
.LBB156_81:
	s_or_b64 exec, exec, s[12:13]
                                        ; implicit-def: $vgpr13_vgpr14
                                        ; implicit-def: $vgpr18
.LBB156_82:
	s_andn2_saveexec_b64 s[8:9], s[8:9]
	s_cbranch_execz .LBB156_84
; %bb.83:
	v_lshlrev_b64 v[13:14], 3, v[13:14]
	v_mov_b32_e32 v15, s92
	v_add_co_u32_e32 v13, vcc, s39, v13
	v_addc_co_u32_e32 v14, vcc, v15, v14, vcc
	flat_load_dwordx2 v[13:14], v[13:14]
	v_lshlrev_b32_e32 v15, 3, v18
	s_waitcnt vmcnt(0) lgkmcnt(0)
	v_xor_b32_e32 v13, 0x80000000, v13
	ds_write_b64 v15, v[13:14]
.LBB156_84:
	s_or_b64 exec, exec, s[8:9]
	v_add_u32_e32 v15, 16, v2
	v_mad_u64_u32 v[13:14], s[8:9], s34, v15, v[11:12]
	v_cmp_gt_u32_e32 vcc, v0, v15
	v_add_u32_e32 v16, v15, v17
	v_mad_u64_u32 v[19:20], s[8:9], s35, v15, v[14:15]
	v_cmp_gt_i32_e64 s[8:9], s38, v15
	s_and_b64 s[8:9], vcc, s[8:9]
	v_lshl_add_u32 v14, v15, 6, v0
	s_and_b64 s[8:9], s[2:3], s[8:9]
	v_cndmask_b32_e64 v18, v14, v16, s[0:1]
	v_mov_b32_e32 v14, v19
	s_xor_b64 s[8:9], s[8:9], -1
	s_and_saveexec_b64 s[12:13], s[8:9]
	s_xor_b64 s[8:9], exec, s[12:13]
	s_cbranch_execz .LBB156_96
; %bb.85:
	v_cmp_ne_u32_e32 vcc, v0, v15
	s_xor_b64 s[12:13], s[2:3], -1
	s_or_b64 s[12:13], s[12:13], vcc
	s_and_saveexec_b64 s[14:15], s[12:13]
	s_xor_b64 s[12:13], exec, s[14:15]
	s_cbranch_execz .LBB156_89
; %bb.86:
	v_or_b32_e32 v13, v15, v0
	v_cmp_gt_u32_e32 vcc, 64, v13
	s_and_saveexec_b64 s[14:15], vcc
; %bb.87:
	v_mov_b32_e32 v13, 0
	v_lshlrev_b32_e32 v15, 3, v18
	v_mov_b32_e32 v14, v13
	ds_write_b64 v15, v[13:14]
; %bb.88:
	s_or_b64 exec, exec, s[14:15]
                                        ; implicit-def: $vgpr18
                                        ; implicit-def: $vgpr13_vgpr14
.LBB156_89:
	s_andn2_saveexec_b64 s[12:13], s[12:13]
	s_cbranch_execz .LBB156_95
; %bb.90:
	v_lshlrev_b64 v[13:14], 3, v[13:14]
	v_mov_b32_e32 v15, s92
	v_add_co_u32_e32 v13, vcc, s39, v13
	v_addc_co_u32_e32 v14, vcc, v15, v14, vcc
	flat_load_dwordx2 v[13:14], v[13:14]
                                        ; implicit-def: $vgpr15
	s_waitcnt vmcnt(0) lgkmcnt(0)
	v_cmp_ngt_f32_e64 s[14:15], |v13|, |v14|
	s_and_saveexec_b64 s[16:17], s[14:15]
	s_xor_b64 s[14:15], exec, s[16:17]
	s_cbranch_execz .LBB156_92
; %bb.91:
	v_div_scale_f32 v15, s[16:17], -v14, -v14, v13
	v_div_scale_f32 v16, vcc, v13, -v14, v13
	v_rcp_f32_e32 v19, v15
	v_fma_f32 v20, -v15, v19, 1.0
	v_fmac_f32_e32 v19, v20, v19
	v_mul_f32_e32 v20, v16, v19
	v_fma_f32 v21, -v15, v20, v16
	v_fmac_f32_e32 v20, v21, v19
	v_fma_f32 v15, -v15, v20, v16
	v_div_fmas_f32 v15, v15, v19, v20
	v_div_fixup_f32 v15, v15, -v14, v13
	v_fma_f32 v13, v13, v15, -v14
	v_div_scale_f32 v14, s[16:17], v13, v13, 1.0
	v_div_scale_f32 v16, vcc, 1.0, v13, 1.0
	v_rcp_f32_e32 v19, v14
	v_fma_f32 v20, -v14, v19, 1.0
	v_fmac_f32_e32 v19, v20, v19
	v_mul_f32_e32 v20, v16, v19
	v_fma_f32 v21, -v14, v20, v16
	v_fmac_f32_e32 v20, v21, v19
	v_fma_f32 v14, -v14, v20, v16
	v_div_fmas_f32 v14, v14, v19, v20
	v_div_fixup_f32 v13, v14, v13, 1.0
	v_mul_f32_e32 v15, v15, v13
	v_xor_b32_e32 v16, 0x80000000, v13
                                        ; implicit-def: $vgpr13_vgpr14
.LBB156_92:
	s_andn2_saveexec_b64 s[14:15], s[14:15]
	s_cbranch_execz .LBB156_94
; %bb.93:
	v_div_scale_f32 v15, s[16:17], v13, v13, -v14
	v_div_scale_f32 v16, vcc, -v14, v13, -v14
	v_rcp_f32_e32 v19, v15
	v_fma_f32 v20, -v15, v19, 1.0
	v_fmac_f32_e32 v19, v20, v19
	v_mul_f32_e32 v20, v16, v19
	v_fma_f32 v21, -v15, v20, v16
	v_fmac_f32_e32 v20, v21, v19
	v_fma_f32 v15, -v15, v20, v16
	v_div_fmas_f32 v15, v15, v19, v20
	v_div_fixup_f32 v16, v15, v13, -v14
	v_fma_f32 v13, -v14, v16, v13
	v_div_scale_f32 v14, s[16:17], v13, v13, 1.0
	v_div_scale_f32 v15, vcc, 1.0, v13, 1.0
	v_rcp_f32_e32 v19, v14
	v_fma_f32 v20, -v14, v19, 1.0
	v_fmac_f32_e32 v19, v20, v19
	v_mul_f32_e32 v20, v15, v19
	v_fma_f32 v21, -v14, v20, v15
	v_fmac_f32_e32 v20, v21, v19
	v_fma_f32 v14, -v14, v20, v15
	v_div_fmas_f32 v14, v14, v19, v20
	v_div_fixup_f32 v15, v14, v13, 1.0
	v_mul_f32_e64 v16, v16, -v15
.LBB156_94:
	s_or_b64 exec, exec, s[14:15]
	v_lshlrev_b32_e32 v13, 3, v18
	ds_write_b64 v13, v[15:16]
.LBB156_95:
	s_or_b64 exec, exec, s[12:13]
                                        ; implicit-def: $vgpr13_vgpr14
                                        ; implicit-def: $vgpr18
.LBB156_96:
	s_andn2_saveexec_b64 s[8:9], s[8:9]
	s_cbranch_execz .LBB156_98
; %bb.97:
	v_lshlrev_b64 v[13:14], 3, v[13:14]
	v_mov_b32_e32 v15, s92
	v_add_co_u32_e32 v13, vcc, s39, v13
	v_addc_co_u32_e32 v14, vcc, v15, v14, vcc
	flat_load_dwordx2 v[13:14], v[13:14]
	v_lshlrev_b32_e32 v15, 3, v18
	s_waitcnt vmcnt(0) lgkmcnt(0)
	v_xor_b32_e32 v13, 0x80000000, v13
	ds_write_b64 v15, v[13:14]
.LBB156_98:
	s_or_b64 exec, exec, s[8:9]
	v_add_u32_e32 v15, 32, v2
	v_mad_u64_u32 v[13:14], s[8:9], s34, v15, v[11:12]
	v_cmp_gt_u32_e32 vcc, v0, v15
	v_add_u32_e32 v16, v15, v17
	v_mad_u64_u32 v[19:20], s[8:9], s35, v15, v[14:15]
	v_cmp_gt_i32_e64 s[8:9], s38, v15
	s_and_b64 s[8:9], vcc, s[8:9]
	v_lshl_add_u32 v14, v15, 6, v0
	s_and_b64 s[8:9], s[2:3], s[8:9]
	v_cndmask_b32_e64 v18, v14, v16, s[0:1]
	v_mov_b32_e32 v14, v19
	s_xor_b64 s[8:9], s[8:9], -1
	s_and_saveexec_b64 s[12:13], s[8:9]
	s_xor_b64 s[8:9], exec, s[12:13]
	s_cbranch_execz .LBB156_110
; %bb.99:
	v_cmp_ne_u32_e32 vcc, v0, v15
	s_xor_b64 s[12:13], s[2:3], -1
	s_or_b64 s[12:13], s[12:13], vcc
	s_and_saveexec_b64 s[14:15], s[12:13]
	s_xor_b64 s[12:13], exec, s[14:15]
	s_cbranch_execz .LBB156_103
; %bb.100:
	v_or_b32_e32 v13, v15, v0
	v_cmp_gt_u32_e32 vcc, 64, v13
	s_and_saveexec_b64 s[14:15], vcc
; %bb.101:
	v_mov_b32_e32 v13, 0
	v_lshlrev_b32_e32 v15, 3, v18
	v_mov_b32_e32 v14, v13
	ds_write_b64 v15, v[13:14]
; %bb.102:
	s_or_b64 exec, exec, s[14:15]
                                        ; implicit-def: $vgpr18
                                        ; implicit-def: $vgpr13_vgpr14
.LBB156_103:
	s_andn2_saveexec_b64 s[12:13], s[12:13]
	s_cbranch_execz .LBB156_109
; %bb.104:
	v_lshlrev_b64 v[13:14], 3, v[13:14]
	v_mov_b32_e32 v15, s92
	v_add_co_u32_e32 v13, vcc, s39, v13
	v_addc_co_u32_e32 v14, vcc, v15, v14, vcc
	flat_load_dwordx2 v[13:14], v[13:14]
                                        ; implicit-def: $vgpr15
	s_waitcnt vmcnt(0) lgkmcnt(0)
	v_cmp_ngt_f32_e64 s[14:15], |v13|, |v14|
	s_and_saveexec_b64 s[16:17], s[14:15]
	s_xor_b64 s[14:15], exec, s[16:17]
	s_cbranch_execz .LBB156_106
; %bb.105:
	v_div_scale_f32 v15, s[16:17], -v14, -v14, v13
	v_div_scale_f32 v16, vcc, v13, -v14, v13
	v_rcp_f32_e32 v19, v15
	v_fma_f32 v20, -v15, v19, 1.0
	v_fmac_f32_e32 v19, v20, v19
	v_mul_f32_e32 v20, v16, v19
	v_fma_f32 v21, -v15, v20, v16
	v_fmac_f32_e32 v20, v21, v19
	v_fma_f32 v15, -v15, v20, v16
	v_div_fmas_f32 v15, v15, v19, v20
	v_div_fixup_f32 v15, v15, -v14, v13
	v_fma_f32 v13, v13, v15, -v14
	v_div_scale_f32 v14, s[16:17], v13, v13, 1.0
	v_div_scale_f32 v16, vcc, 1.0, v13, 1.0
	v_rcp_f32_e32 v19, v14
	v_fma_f32 v20, -v14, v19, 1.0
	v_fmac_f32_e32 v19, v20, v19
	v_mul_f32_e32 v20, v16, v19
	v_fma_f32 v21, -v14, v20, v16
	v_fmac_f32_e32 v20, v21, v19
	v_fma_f32 v14, -v14, v20, v16
	v_div_fmas_f32 v14, v14, v19, v20
	v_div_fixup_f32 v13, v14, v13, 1.0
	v_mul_f32_e32 v15, v15, v13
	v_xor_b32_e32 v16, 0x80000000, v13
                                        ; implicit-def: $vgpr13_vgpr14
.LBB156_106:
	s_andn2_saveexec_b64 s[14:15], s[14:15]
	s_cbranch_execz .LBB156_108
; %bb.107:
	v_div_scale_f32 v15, s[16:17], v13, v13, -v14
	v_div_scale_f32 v16, vcc, -v14, v13, -v14
	v_rcp_f32_e32 v19, v15
	v_fma_f32 v20, -v15, v19, 1.0
	v_fmac_f32_e32 v19, v20, v19
	v_mul_f32_e32 v20, v16, v19
	v_fma_f32 v21, -v15, v20, v16
	v_fmac_f32_e32 v20, v21, v19
	v_fma_f32 v15, -v15, v20, v16
	v_div_fmas_f32 v15, v15, v19, v20
	v_div_fixup_f32 v16, v15, v13, -v14
	v_fma_f32 v13, -v14, v16, v13
	v_div_scale_f32 v14, s[16:17], v13, v13, 1.0
	v_div_scale_f32 v15, vcc, 1.0, v13, 1.0
	v_rcp_f32_e32 v19, v14
	v_fma_f32 v20, -v14, v19, 1.0
	v_fmac_f32_e32 v19, v20, v19
	v_mul_f32_e32 v20, v15, v19
	v_fma_f32 v21, -v14, v20, v15
	v_fmac_f32_e32 v20, v21, v19
	v_fma_f32 v14, -v14, v20, v15
	v_div_fmas_f32 v14, v14, v19, v20
	v_div_fixup_f32 v15, v14, v13, 1.0
	v_mul_f32_e64 v16, v16, -v15
.LBB156_108:
	s_or_b64 exec, exec, s[14:15]
	v_lshlrev_b32_e32 v13, 3, v18
	ds_write_b64 v13, v[15:16]
.LBB156_109:
	s_or_b64 exec, exec, s[12:13]
                                        ; implicit-def: $vgpr13_vgpr14
                                        ; implicit-def: $vgpr18
.LBB156_110:
	s_andn2_saveexec_b64 s[8:9], s[8:9]
	s_cbranch_execz .LBB156_112
; %bb.111:
	v_lshlrev_b64 v[13:14], 3, v[13:14]
	v_mov_b32_e32 v15, s92
	v_add_co_u32_e32 v13, vcc, s39, v13
	v_addc_co_u32_e32 v14, vcc, v15, v14, vcc
	flat_load_dwordx2 v[13:14], v[13:14]
	v_lshlrev_b32_e32 v15, 3, v18
	s_waitcnt vmcnt(0) lgkmcnt(0)
	v_xor_b32_e32 v13, 0x80000000, v13
	ds_write_b64 v15, v[13:14]
.LBB156_112:
	s_or_b64 exec, exec, s[8:9]
	v_add_u32_e32 v13, 48, v2
	v_mad_u64_u32 v[11:12], s[8:9], s34, v13, v[11:12]
	v_add_u32_e32 v16, v13, v17
	v_cmp_gt_u32_e32 vcc, v0, v13
	v_mad_u64_u32 v[14:15], s[8:9], s35, v13, v[12:13]
	v_lshl_add_u32 v12, v13, 6, v0
	v_cndmask_b32_e64 v15, v12, v16, s[0:1]
	v_cmp_gt_i32_e64 s[0:1], s38, v13
	s_and_b64 s[0:1], vcc, s[0:1]
	s_and_b64 s[0:1], s[2:3], s[0:1]
	v_mov_b32_e32 v12, v14
	s_xor_b64 s[0:1], s[0:1], -1
	s_and_saveexec_b64 s[8:9], s[0:1]
	s_xor_b64 s[0:1], exec, s[8:9]
	s_cbranch_execz .LBB156_124
; %bb.113:
	v_cmp_ne_u32_e32 vcc, v0, v13
	s_xor_b64 s[2:3], s[2:3], -1
	s_or_b64 s[2:3], s[2:3], vcc
	s_and_saveexec_b64 s[8:9], s[2:3]
	s_xor_b64 s[2:3], exec, s[8:9]
	s_cbranch_execz .LBB156_117
; %bb.114:
	v_or_b32_e32 v11, v13, v0
	v_cmp_gt_u32_e32 vcc, 64, v11
	s_and_saveexec_b64 s[8:9], vcc
; %bb.115:
	v_mov_b32_e32 v11, 0
	v_lshlrev_b32_e32 v13, 3, v15
	v_mov_b32_e32 v12, v11
	ds_write_b64 v13, v[11:12]
; %bb.116:
	s_or_b64 exec, exec, s[8:9]
                                        ; implicit-def: $vgpr15
                                        ; implicit-def: $vgpr11_vgpr12
.LBB156_117:
	s_andn2_saveexec_b64 s[2:3], s[2:3]
	s_cbranch_execz .LBB156_123
; %bb.118:
	v_lshlrev_b64 v[11:12], 3, v[11:12]
	v_mov_b32_e32 v13, s92
	v_add_co_u32_e32 v11, vcc, s39, v11
	v_addc_co_u32_e32 v12, vcc, v13, v12, vcc
	flat_load_dwordx2 v[11:12], v[11:12]
                                        ; implicit-def: $vgpr13
	s_waitcnt vmcnt(0) lgkmcnt(0)
	v_cmp_ngt_f32_e64 s[8:9], |v11|, |v12|
	s_and_saveexec_b64 s[12:13], s[8:9]
	s_xor_b64 s[8:9], exec, s[12:13]
	s_cbranch_execz .LBB156_120
; %bb.119:
	v_div_scale_f32 v13, s[12:13], -v12, -v12, v11
	v_div_scale_f32 v14, vcc, v11, -v12, v11
	v_rcp_f32_e32 v16, v13
	v_fma_f32 v17, -v13, v16, 1.0
	v_fmac_f32_e32 v16, v17, v16
	v_mul_f32_e32 v17, v14, v16
	v_fma_f32 v18, -v13, v17, v14
	v_fmac_f32_e32 v17, v18, v16
	v_fma_f32 v13, -v13, v17, v14
	v_div_fmas_f32 v13, v13, v16, v17
	v_div_fixup_f32 v13, v13, -v12, v11
	v_fma_f32 v11, v11, v13, -v12
	v_div_scale_f32 v12, s[12:13], v11, v11, 1.0
	v_div_scale_f32 v14, vcc, 1.0, v11, 1.0
	v_rcp_f32_e32 v16, v12
	v_fma_f32 v17, -v12, v16, 1.0
	v_fmac_f32_e32 v16, v17, v16
	v_mul_f32_e32 v17, v14, v16
	v_fma_f32 v18, -v12, v17, v14
	v_fmac_f32_e32 v17, v18, v16
	v_fma_f32 v12, -v12, v17, v14
	v_div_fmas_f32 v12, v12, v16, v17
	v_div_fixup_f32 v11, v12, v11, 1.0
	v_mul_f32_e32 v13, v13, v11
	v_xor_b32_e32 v14, 0x80000000, v11
                                        ; implicit-def: $vgpr11_vgpr12
.LBB156_120:
	s_andn2_saveexec_b64 s[8:9], s[8:9]
	s_cbranch_execz .LBB156_122
; %bb.121:
	v_div_scale_f32 v13, s[12:13], v11, v11, -v12
	v_div_scale_f32 v14, vcc, -v12, v11, -v12
	v_rcp_f32_e32 v16, v13
	v_fma_f32 v17, -v13, v16, 1.0
	v_fmac_f32_e32 v16, v17, v16
	v_mul_f32_e32 v17, v14, v16
	v_fma_f32 v18, -v13, v17, v14
	v_fmac_f32_e32 v17, v18, v16
	v_fma_f32 v13, -v13, v17, v14
	v_div_fmas_f32 v13, v13, v16, v17
	v_div_fixup_f32 v14, v13, v11, -v12
	v_fma_f32 v11, -v12, v14, v11
	v_div_scale_f32 v12, s[12:13], v11, v11, 1.0
	v_div_scale_f32 v13, vcc, 1.0, v11, 1.0
	v_rcp_f32_e32 v16, v12
	v_fma_f32 v17, -v12, v16, 1.0
	v_fmac_f32_e32 v16, v17, v16
	v_mul_f32_e32 v17, v13, v16
	v_fma_f32 v18, -v12, v17, v13
	v_fmac_f32_e32 v17, v18, v16
	v_fma_f32 v12, -v12, v17, v13
	v_div_fmas_f32 v12, v12, v16, v17
	v_div_fixup_f32 v13, v12, v11, 1.0
	v_mul_f32_e64 v14, v14, -v13
.LBB156_122:
	s_or_b64 exec, exec, s[8:9]
	v_lshlrev_b32_e32 v11, 3, v15
	ds_write_b64 v11, v[13:14]
.LBB156_123:
	s_or_b64 exec, exec, s[2:3]
                                        ; implicit-def: $vgpr11_vgpr12
                                        ; implicit-def: $vgpr15
.LBB156_124:
	s_andn2_saveexec_b64 s[0:1], s[0:1]
	s_cbranch_execz .LBB156_126
; %bb.125:
	v_lshlrev_b64 v[11:12], 3, v[11:12]
	v_mov_b32_e32 v13, s92
	v_add_co_u32_e32 v11, vcc, s39, v11
	v_addc_co_u32_e32 v12, vcc, v13, v12, vcc
	flat_load_dwordx2 v[11:12], v[11:12]
	v_lshlrev_b32_e32 v13, 3, v15
	s_waitcnt vmcnt(0) lgkmcnt(0)
	v_xor_b32_e32 v11, 0x80000000, v11
	ds_write_b64 v13, v[11:12]
.LBB156_126:
	s_or_b64 exec, exec, s[0:1]
.LBB156_127:
	v_cndmask_b32_e64 v11, 0, 1, s[10:11]
	v_cmp_ne_u32_e64 s[0:1], 1, v11
                                        ; implicit-def: $vgpr43 : SGPR spill to VGPR lane
	s_andn2_b64 vcc, exec, s[10:11]
	v_writelane_b32 v43, s0, 0
	s_waitcnt vmcnt(0) lgkmcnt(0)
	s_barrier
	v_writelane_b32 v43, s1, 1
	s_cbranch_vccnz .LBB156_1049
; %bb.128:
	v_or_b32_e32 v11, v0, v2
	v_cmp_eq_u32_e32 vcc, 0, v11
	s_and_saveexec_b64 s[0:1], vcc
	s_cbranch_execz .LBB156_130
; %bb.129:
	v_mov_b32_e32 v17, 0
	ds_read_b128 v[11:14], v17
	ds_read_b64 v[15:16], v17 offset:520
	s_waitcnt lgkmcnt(0)
	v_mul_f32_e32 v18, v16, v12
	v_mul_f32_e32 v19, v15, v12
	v_fma_f32 v15, v15, v11, -v18
	v_fmac_f32_e32 v19, v16, v11
	v_mul_f32_e32 v11, v19, v14
	v_mul_f32_e32 v12, v15, v14
	v_fma_f32 v11, v15, v13, -v11
	v_fmac_f32_e32 v12, v19, v13
	ds_write2_b64 v17, v[11:12], v[11:12] offset0:1 offset1:64
.LBB156_130:
	s_or_b64 exec, exec, s[0:1]
	v_and_b32_e32 v16, 1, v0
	v_lshrrev_b32_e32 v13, 1, v1
	v_lshlrev_b32_e32 v11, 3, v16
	v_cmp_lt_u32_e64 s[8:9], 3, v1
	v_cmp_gt_u32_e64 s[2:3], 4, v1
	v_lshl_or_b32 v11, v13, 9, v11
	v_mov_b32_e32 v14, 0
	v_mov_b32_e32 v15, 0
	s_waitcnt lgkmcnt(0)
	s_barrier
	s_and_saveexec_b64 s[0:1], s[2:3]
	s_cbranch_execz .LBB156_134
; %bb.131:
	v_mul_u32_u24_e32 v12, 0x208, v13
	ds_read_b64 v[14:15], v11 offset:16
	ds_read_b64 v[17:18], v12
	v_cmp_gt_u32_e64 s[10:11], 2, v1
	s_waitcnt lgkmcnt(0)
	v_mul_f32_e32 v12, v18, v15
	v_mul_f32_e32 v15, v17, v15
	v_fma_f32 v12, v17, v14, -v12
	v_fmac_f32_e32 v15, v18, v14
	v_add_f32_e32 v12, 0, v12
	v_add_f32_e32 v14, 0, v15
	s_and_saveexec_b64 s[12:13], s[10:11]
	s_cbranch_execz .LBB156_133
; %bb.132:
	v_lshlrev_b32_e32 v15, 3, v0
	v_mov_b32_e32 v19, 0
	ds_read_b64 v[17:18], v15 offset:528
	ds_read_b64 v[19:20], v19 offset:8
	s_waitcnt lgkmcnt(0)
	v_mul_f32_e32 v15, v20, v18
	v_mul_f32_e32 v18, v19, v18
	v_fma_f32 v15, v19, v17, -v15
	v_fmac_f32_e32 v18, v20, v17
	v_add_f32_e32 v12, v12, v15
	v_add_f32_e32 v14, v14, v18
.LBB156_133:
	s_or_b64 exec, exec, s[12:13]
	v_xor_b32_e32 v15, 0x80000000, v12
	v_xor_b32_e32 v14, 0x80000000, v14
.LBB156_134:
	v_writelane_b32 v43, s42, 2
	s_or_b64 exec, exec, s[0:1]
	v_mov_b32_e32 v12, 0x8000
	v_cmp_eq_u32_e64 s[10:11], 0, v16
	s_xor_b64 s[0:1], s[8:9], -1
	v_lshl_add_u32 v12, v13, 3, v12
	s_and_b64 s[42:43], s[10:11], s[0:1]
	s_and_saveexec_b64 s[8:9], s[42:43]
	s_cbranch_execz .LBB156_136
; %bb.135:
	v_mov_b32_e32 v17, 0
	ds_read_b64 v[17:18], v17 offset:1040
	s_waitcnt lgkmcnt(0)
	v_mul_f32_e32 v20, v14, v18
	v_mul_f32_e32 v19, v15, v18
	v_fma_f32 v18, v15, v17, -v20
	v_fmac_f32_e32 v19, v14, v17
	v_mov_b32_e32 v15, v18
	v_mov_b32_e32 v14, v19
	ds_write_b64 v12, v[18:19]
.LBB156_136:
	s_or_b64 exec, exec, s[8:9]
	v_cmp_ne_u32_e64 s[8:9], 0, v16
	s_and_b64 s[40:41], s[8:9], s[0:1]
	s_waitcnt lgkmcnt(0)
	s_barrier
	s_and_saveexec_b64 s[0:1], s[40:41]
	s_cbranch_execz .LBB156_138
; %bb.137:
	v_mov_b32_e32 v16, 0
	ds_read_b64 v[16:17], v16 offset:1048
	ds_read_b64 v[18:19], v12
	s_waitcnt lgkmcnt(0)
	v_mul_f32_e32 v20, v19, v17
	v_mul_f32_e32 v17, v18, v17
	v_fma_f32 v18, v18, v16, -v20
	v_fmac_f32_e32 v17, v19, v16
	v_add_f32_e32 v15, v15, v18
	v_add_f32_e32 v14, v14, v17
.LBB156_138:
	s_or_b64 exec, exec, s[0:1]
	s_barrier
	s_and_saveexec_b64 s[0:1], s[40:41]
	s_cbranch_execz .LBB156_140
; %bb.139:
	v_mov_b32_e32 v16, 0
	ds_read_b64 v[16:17], v16 offset:1560
	s_waitcnt lgkmcnt(0)
	v_mul_f32_e32 v19, v14, v17
	v_mul_f32_e32 v18, v15, v17
	v_fma_f32 v17, v15, v16, -v19
	v_fmac_f32_e32 v18, v14, v16
	v_mov_b32_e32 v15, v17
	v_mov_b32_e32 v14, v18
	ds_write_b64 v12, v[17:18]
.LBB156_140:
	s_or_b64 exec, exec, s[0:1]
	s_waitcnt lgkmcnt(0)
	s_barrier
	s_barrier
	s_and_saveexec_b64 s[0:1], s[2:3]
; %bb.141:
	v_xor_b32_e32 v16, 0x80000000, v14
	v_xor_b32_e32 v15, 0x80000000, v15
	ds_write_b64 v11, v[15:16] offset:16
; %bb.142:
	s_or_b64 exec, exec, s[0:1]
	v_cmp_eq_u32_e64 s[12:13], 0, v2
	v_cmp_gt_u32_e64 s[8:9], 2, v0
	s_and_b64 s[44:45], s[12:13], s[8:9]
	s_waitcnt lgkmcnt(0)
	s_barrier
	s_barrier
	s_and_saveexec_b64 s[0:1], s[44:45]
	s_cbranch_execz .LBB156_144
; %bb.143:
	v_lshlrev_b32_e32 v16, 3, v0
	s_movk_i32 s8, 0x1f8
	v_mad_u32_u24 v17, v0, s8, v16
	ds_read_b64 v[14:15], v17 offset:16
	s_waitcnt lgkmcnt(0)
	ds_write_b64 v16, v[14:15] offset:1024
	ds_read_b64 v[14:15], v17 offset:24
	s_waitcnt lgkmcnt(0)
	ds_write_b64 v16, v[14:15] offset:1536
.LBB156_144:
	s_or_b64 exec, exec, s[0:1]
	s_waitcnt lgkmcnt(0)
	s_barrier
	s_and_saveexec_b64 s[0:1], vcc
	s_cbranch_execz .LBB156_146
; %bb.145:
	v_mov_b32_e32 v20, 0
	ds_read_b128 v[14:17], v20 offset:1040
	ds_read_b64 v[18:19], v20 offset:1560
	s_waitcnt lgkmcnt(0)
	v_mul_f32_e32 v21, v19, v15
	v_mul_f32_e32 v22, v18, v15
	v_fma_f32 v18, v18, v14, -v21
	v_fmac_f32_e32 v22, v19, v14
	v_mul_f32_e32 v14, v22, v17
	v_mul_f32_e32 v15, v18, v17
	v_fma_f32 v14, v18, v16, -v14
	v_fmac_f32_e32 v15, v22, v16
	ds_write2_b64 v20, v[14:15], v[14:15] offset0:131 offset1:194
.LBB156_146:
	s_or_b64 exec, exec, s[0:1]
	v_and_b32_e32 v17, 3, v0
	v_lshrrev_b32_e32 v18, 2, v1
	v_lshlrev_b32_e32 v15, 3, v17
	v_cmp_lt_u32_e64 s[8:9], 15, v1
	v_cmp_gt_u32_e64 s[18:19], 16, v1
	v_lshl_or_b32 v14, v18, 9, v15
	v_mov_b32_e32 v19, 0
	v_mov_b32_e32 v20, 0
	s_waitcnt lgkmcnt(0)
	s_barrier
	s_and_saveexec_b64 s[0:1], s[18:19]
	s_cbranch_execz .LBB156_152
; %bb.147:
	v_mul_u32_u24_e32 v20, 0x208, v18
	ds_read_b64 v[21:22], v14 offset:32
	ds_read_b64 v[23:24], v20
	v_cmp_gt_u32_e64 s[10:11], 12, v1
	s_waitcnt lgkmcnt(0)
	v_mul_f32_e32 v16, v24, v22
	v_mul_f32_e32 v19, v23, v22
	v_fma_f32 v16, v23, v21, -v16
	v_fmac_f32_e32 v19, v24, v21
	v_add_f32_e32 v16, 0, v16
	v_add_f32_e32 v19, 0, v19
	s_and_saveexec_b64 s[14:15], s[10:11]
	s_cbranch_execnz .LBB156_1124
; %bb.148:
	s_or_b64 exec, exec, s[14:15]
	v_cmp_gt_u32_e64 s[10:11], 8, v1
	s_and_saveexec_b64 s[14:15], s[10:11]
	s_cbranch_execnz .LBB156_1125
.LBB156_149:
	s_or_b64 exec, exec, s[14:15]
	v_cmp_gt_u32_e64 s[10:11], 4, v1
	s_and_saveexec_b64 s[14:15], s[10:11]
	s_cbranch_execz .LBB156_151
.LBB156_150:
	v_lshlrev_b32_e32 v20, 3, v0
	v_mov_b32_e32 v22, 0
	ds_read_b64 v[20:21], v20 offset:1568
	ds_read_b64 v[22:23], v22 offset:24
	s_waitcnt lgkmcnt(0)
	v_mul_f32_e32 v24, v23, v21
	v_mul_f32_e32 v21, v22, v21
	v_fma_f32 v22, v22, v20, -v24
	v_fmac_f32_e32 v21, v23, v20
	v_add_f32_e32 v16, v16, v22
	v_add_f32_e32 v19, v19, v21
.LBB156_151:
	s_or_b64 exec, exec, s[14:15]
	v_xor_b32_e32 v20, 0x80000000, v16
	v_xor_b32_e32 v19, 0x80000000, v19
.LBB156_152:
	v_writelane_b32 v43, s48, 3
	v_writelane_b32 v43, s49, 4
	s_or_b64 exec, exec, s[0:1]
	v_mov_b32_e32 v16, 0x8000
	v_cmp_eq_u32_e64 s[10:11], 0, v17
	s_xor_b64 s[0:1], s[8:9], -1
	v_lshl_add_u32 v16, v18, 3, v16
	s_and_b64 s[48:49], s[10:11], s[0:1]
	s_and_saveexec_b64 s[8:9], s[48:49]
	s_cbranch_execz .LBB156_154
; %bb.153:
	v_mov_b32_e32 v21, 0
	ds_read_b64 v[21:22], v21 offset:2080
	s_waitcnt lgkmcnt(0)
	v_mul_f32_e32 v24, v19, v22
	v_mul_f32_e32 v23, v20, v22
	v_fma_f32 v22, v20, v21, -v24
	v_fmac_f32_e32 v23, v19, v21
	v_mov_b32_e32 v20, v22
	v_mov_b32_e32 v19, v23
	ds_write_b64 v16, v[22:23]
.LBB156_154:
	s_or_b64 exec, exec, s[8:9]
	v_cmp_ne_u32_e64 s[8:9], 0, v17
	s_and_b64 s[50:51], s[8:9], s[0:1]
	s_waitcnt lgkmcnt(0)
	s_barrier
	s_and_saveexec_b64 s[8:9], s[50:51]
	s_cbranch_execz .LBB156_156
; %bb.155:
	ds_read_b64 v[21:22], v15 offset:2080
	ds_read_b64 v[23:24], v16
	s_waitcnt lgkmcnt(0)
	v_mul_f32_e32 v25, v24, v22
	v_mul_f32_e32 v22, v23, v22
	v_fma_f32 v23, v23, v21, -v25
	v_fmac_f32_e32 v22, v24, v21
	v_add_f32_e32 v20, v20, v23
	v_add_f32_e32 v19, v19, v22
.LBB156_156:
	s_or_b64 exec, exec, s[8:9]
	v_cmp_eq_u32_e64 s[8:9], 1, v17
	s_and_b64 s[52:53], s[8:9], s[0:1]
	s_barrier
	s_and_saveexec_b64 s[8:9], s[52:53]
	s_cbranch_execz .LBB156_158
; %bb.157:
	v_mov_b32_e32 v21, 0
	ds_read_b64 v[21:22], v21 offset:2600
	s_waitcnt lgkmcnt(0)
	v_mul_f32_e32 v24, v19, v22
	v_mul_f32_e32 v23, v20, v22
	v_fma_f32 v22, v20, v21, -v24
	v_fmac_f32_e32 v23, v19, v21
	v_mov_b32_e32 v20, v22
	v_mov_b32_e32 v19, v23
	ds_write_b64 v16, v[22:23]
.LBB156_158:
	s_or_b64 exec, exec, s[8:9]
	v_cmp_lt_u32_e64 s[8:9], 1, v17
	s_and_b64 s[54:55], s[8:9], s[0:1]
	s_waitcnt lgkmcnt(0)
	s_barrier
	s_and_saveexec_b64 s[8:9], s[54:55]
	s_cbranch_execz .LBB156_160
; %bb.159:
	ds_read_b64 v[21:22], v15 offset:2592
	ds_read_b64 v[23:24], v16
	s_waitcnt lgkmcnt(0)
	v_mul_f32_e32 v25, v24, v22
	v_mul_f32_e32 v22, v23, v22
	v_fma_f32 v23, v23, v21, -v25
	v_fmac_f32_e32 v22, v24, v21
	v_add_f32_e32 v20, v20, v23
	v_add_f32_e32 v19, v19, v22
.LBB156_160:
	s_or_b64 exec, exec, s[8:9]
	v_cmp_eq_u32_e64 s[8:9], 2, v17
	s_and_b64 s[56:57], s[8:9], s[0:1]
	s_barrier
	s_and_saveexec_b64 s[8:9], s[56:57]
	s_cbranch_execz .LBB156_162
; %bb.161:
	v_mov_b32_e32 v21, 0
	ds_read_b64 v[21:22], v21 offset:3120
	s_waitcnt lgkmcnt(0)
	v_mul_f32_e32 v24, v19, v22
	v_mul_f32_e32 v23, v20, v22
	v_fma_f32 v22, v20, v21, -v24
	v_fmac_f32_e32 v23, v19, v21
	v_mov_b32_e32 v20, v22
	v_mov_b32_e32 v19, v23
	ds_write_b64 v16, v[22:23]
.LBB156_162:
	s_or_b64 exec, exec, s[8:9]
	v_cmp_eq_u32_e64 s[8:9], 3, v17
	s_and_b64 s[46:47], s[8:9], s[0:1]
	s_waitcnt lgkmcnt(0)
	s_barrier
	s_and_saveexec_b64 s[0:1], s[46:47]
	s_cbranch_execz .LBB156_164
; %bb.163:
	v_mov_b32_e32 v21, 0
	ds_read_b64 v[21:22], v21 offset:3128
	ds_read_b64 v[23:24], v16
	s_waitcnt lgkmcnt(0)
	v_mul_f32_e32 v25, v24, v22
	v_mul_f32_e32 v22, v23, v22
	v_fma_f32 v23, v23, v21, -v25
	v_fmac_f32_e32 v22, v24, v21
	v_add_f32_e32 v20, v20, v23
	v_add_f32_e32 v19, v19, v22
.LBB156_164:
	s_or_b64 exec, exec, s[0:1]
	s_barrier
	s_and_saveexec_b64 s[0:1], s[46:47]
	s_cbranch_execz .LBB156_166
; %bb.165:
	v_mov_b32_e32 v21, 0
	ds_read_b64 v[21:22], v21 offset:3640
	s_waitcnt lgkmcnt(0)
	v_mul_f32_e32 v24, v19, v22
	v_mul_f32_e32 v23, v20, v22
	v_fma_f32 v22, v20, v21, -v24
	v_fmac_f32_e32 v23, v19, v21
	v_mov_b32_e32 v20, v22
	v_mov_b32_e32 v19, v23
	ds_write_b64 v16, v[22:23]
.LBB156_166:
	s_or_b64 exec, exec, s[0:1]
	s_waitcnt lgkmcnt(0)
	s_barrier
	s_barrier
	s_and_saveexec_b64 s[0:1], s[18:19]
; %bb.167:
	v_xor_b32_e32 v20, 0x80000000, v20
	v_xor_b32_e32 v21, 0x80000000, v19
	ds_write_b64 v14, v[20:21] offset:32
; %bb.168:
	s_or_b64 exec, exec, s[0:1]
	v_cmp_gt_u32_e64 s[8:9], 4, v0
	s_and_b64 s[58:59], s[12:13], s[8:9]
	s_waitcnt lgkmcnt(0)
	s_barrier
	s_barrier
	s_and_saveexec_b64 s[0:1], s[58:59]
	s_cbranch_execz .LBB156_170
; %bb.169:
	v_lshlrev_b32_e32 v21, 9, v0
	ds_read_b64 v[19:20], v21 offset:32
	s_movk_i32 s8, 0xfe08
	v_mad_i32_i24 v22, v0, s8, v21
	s_waitcnt lgkmcnt(0)
	ds_write_b64 v22, v[19:20] offset:2048
	ds_read_b64 v[19:20], v21 offset:40
	s_waitcnt lgkmcnt(0)
	ds_write_b64 v22, v[19:20] offset:2560
	ds_read_b64 v[19:20], v21 offset:48
	;; [unrolled: 3-line block ×3, first 2 shown]
	s_waitcnt lgkmcnt(0)
	ds_write_b64 v22, v[19:20] offset:3584
.LBB156_170:
	s_or_b64 exec, exec, s[0:1]
	s_waitcnt lgkmcnt(0)
	s_barrier
	s_and_saveexec_b64 s[0:1], vcc
	s_cbranch_execz .LBB156_172
; %bb.171:
	v_mov_b32_e32 v23, 0
	ds_read_b128 v[19:22], v23 offset:2080
	ds_read_b64 v[23:24], v23 offset:2600
	s_movk_i32 s8, 0x800
	s_waitcnt lgkmcnt(0)
	v_mul_f32_e32 v25, v24, v20
	v_mul_f32_e32 v26, v23, v20
	v_fma_f32 v23, v23, v19, -v25
	v_fmac_f32_e32 v26, v24, v19
	v_mul_f32_e32 v19, v26, v22
	v_mul_f32_e32 v20, v23, v22
	v_fma_f32 v19, v23, v21, -v19
	v_fmac_f32_e32 v20, v26, v21
	v_add_u32_e64 v21, s8, 0
	ds_write2_b64 v21, v[19:20], v[19:20] offset0:5 offset1:68
.LBB156_172:
	s_or_b64 exec, exec, s[0:1]
	v_mov_b32_e32 v19, 0
	v_mov_b32_e32 v20, 0
	s_waitcnt lgkmcnt(0)
	s_barrier
	s_and_saveexec_b64 s[0:1], s[2:3]
	s_cbranch_execz .LBB156_176
; %bb.173:
	v_mul_u32_u24_e32 v21, 0x208, v13
	ds_read_b64 v[19:20], v11 offset:2096
	ds_read_b64 v[21:22], v21 offset:2080
	v_cmp_gt_u32_e64 s[8:9], 2, v1
	s_waitcnt lgkmcnt(0)
	v_mul_f32_e32 v23, v22, v20
	v_mul_f32_e32 v20, v21, v20
	v_fma_f32 v21, v21, v19, -v23
	v_fmac_f32_e32 v20, v22, v19
	v_add_f32_e32 v19, 0, v21
	v_add_f32_e32 v21, 0, v20
	s_and_saveexec_b64 s[10:11], s[8:9]
	s_cbranch_execz .LBB156_175
; %bb.174:
	v_lshlrev_b32_e32 v20, 3, v0
	v_mov_b32_e32 v24, 0
	ds_read_b64 v[22:23], v20 offset:2608
	ds_read_b64 v[24:25], v24 offset:2088
	s_waitcnt lgkmcnt(0)
	v_mul_f32_e32 v20, v25, v23
	v_mul_f32_e32 v23, v24, v23
	v_fma_f32 v20, v24, v22, -v20
	v_fmac_f32_e32 v23, v25, v22
	v_add_f32_e32 v19, v19, v20
	v_add_f32_e32 v21, v21, v23
.LBB156_175:
	s_or_b64 exec, exec, s[10:11]
	v_xor_b32_e32 v20, 0x80000000, v19
	v_xor_b32_e32 v19, 0x80000000, v21
.LBB156_176:
	s_or_b64 exec, exec, s[0:1]
	s_and_saveexec_b64 s[0:1], s[42:43]
	s_cbranch_execz .LBB156_178
; %bb.177:
	v_mov_b32_e32 v21, 0
	ds_read_b64 v[21:22], v21 offset:3120
	s_waitcnt lgkmcnt(0)
	v_mul_f32_e32 v24, v19, v22
	v_mul_f32_e32 v23, v20, v22
	v_fma_f32 v22, v20, v21, -v24
	v_fmac_f32_e32 v23, v19, v21
	v_mov_b32_e32 v20, v22
	v_mov_b32_e32 v19, v23
	ds_write_b64 v12, v[22:23]
.LBB156_178:
	s_or_b64 exec, exec, s[0:1]
	s_waitcnt lgkmcnt(0)
	s_barrier
	s_and_saveexec_b64 s[0:1], s[40:41]
	s_cbranch_execz .LBB156_180
; %bb.179:
	v_mov_b32_e32 v21, 0
	ds_read_b64 v[21:22], v21 offset:3128
	ds_read_b64 v[23:24], v12
	s_waitcnt lgkmcnt(0)
	v_mul_f32_e32 v25, v24, v22
	v_mul_f32_e32 v22, v23, v22
	v_fma_f32 v23, v23, v21, -v25
	v_fmac_f32_e32 v22, v24, v21
	v_add_f32_e32 v20, v20, v23
	v_add_f32_e32 v19, v19, v22
.LBB156_180:
	s_or_b64 exec, exec, s[0:1]
	s_barrier
	s_and_saveexec_b64 s[0:1], s[40:41]
	s_cbranch_execz .LBB156_182
; %bb.181:
	v_mov_b32_e32 v21, 0
	ds_read_b64 v[21:22], v21 offset:3640
	s_waitcnt lgkmcnt(0)
	v_mul_f32_e32 v24, v19, v22
	v_mul_f32_e32 v23, v20, v22
	v_fma_f32 v22, v20, v21, -v24
	v_fmac_f32_e32 v23, v19, v21
	v_mov_b32_e32 v20, v22
	v_mov_b32_e32 v19, v23
	ds_write_b64 v12, v[22:23]
.LBB156_182:
	s_or_b64 exec, exec, s[0:1]
	s_waitcnt lgkmcnt(0)
	s_barrier
	s_barrier
	s_and_saveexec_b64 s[0:1], s[2:3]
; %bb.183:
	v_xor_b32_e32 v21, 0x80000000, v19
	v_xor_b32_e32 v20, 0x80000000, v20
	ds_write_b64 v11, v[20:21] offset:2096
; %bb.184:
	s_or_b64 exec, exec, s[0:1]
	s_waitcnt lgkmcnt(0)
	s_barrier
	s_barrier
	s_and_saveexec_b64 s[0:1], s[44:45]
	s_cbranch_execz .LBB156_186
; %bb.185:
	v_lshlrev_b32_e32 v21, 3, v0
	s_movk_i32 s8, 0x1f8
	v_mad_u32_u24 v22, v0, s8, v21
	ds_read_b64 v[19:20], v22 offset:2096
	s_waitcnt lgkmcnt(0)
	ds_write_b64 v21, v[19:20] offset:3104
	ds_read_b64 v[19:20], v22 offset:2104
	s_waitcnt lgkmcnt(0)
	ds_write_b64 v21, v[19:20] offset:3616
.LBB156_186:
	s_or_b64 exec, exec, s[0:1]
	s_waitcnt lgkmcnt(0)
	s_barrier
	s_and_saveexec_b64 s[0:1], vcc
	s_cbranch_execz .LBB156_188
; %bb.187:
	v_mov_b32_e32 v23, 0
	ds_read_b128 v[19:22], v23 offset:3120
	ds_read_b64 v[23:24], v23 offset:3640
	s_movk_i32 s8, 0x800
	s_waitcnt lgkmcnt(0)
	v_mul_f32_e32 v25, v24, v20
	v_mul_f32_e32 v26, v23, v20
	v_fma_f32 v23, v23, v19, -v25
	v_fmac_f32_e32 v26, v24, v19
	v_mul_f32_e32 v19, v26, v22
	v_mul_f32_e32 v20, v23, v22
	v_fma_f32 v19, v23, v21, -v19
	v_fmac_f32_e32 v20, v26, v21
	v_add_u32_e64 v21, s8, 0
	ds_write2_b64 v21, v[19:20], v[19:20] offset0:135 offset1:198
.LBB156_188:
	s_or_b64 exec, exec, s[0:1]
	v_and_b32_e32 v22, 7, v0
	v_lshrrev_b32_e32 v23, 3, v1
	v_lshlrev_b32_e32 v20, 3, v22
	v_cmp_lt_u32_e64 s[10:11], 63, v1
	v_cmp_gt_u32_e64 s[8:9], 64, v1
	v_lshl_or_b32 v19, v23, 9, v20
	v_mov_b32_e32 v24, 0
	v_mov_b32_e32 v25, 0
	s_waitcnt lgkmcnt(0)
	s_barrier
	s_and_saveexec_b64 s[0:1], s[8:9]
	s_cbranch_execz .LBB156_198
; %bb.189:
	v_mul_u32_u24_e32 v25, 0x208, v23
	ds_read_b64 v[26:27], v19 offset:64
	ds_read_b64 v[28:29], v25
	v_cmp_gt_u32_e64 s[14:15], 56, v1
	s_waitcnt lgkmcnt(0)
	v_mul_f32_e32 v21, v29, v27
	v_mul_f32_e32 v24, v28, v27
	v_fma_f32 v21, v28, v26, -v21
	v_fmac_f32_e32 v24, v29, v26
	v_add_f32_e32 v21, 0, v21
	v_add_f32_e32 v24, 0, v24
	s_and_saveexec_b64 s[16:17], s[14:15]
	s_cbranch_execnz .LBB156_1126
; %bb.190:
	s_or_b64 exec, exec, s[16:17]
	v_cmp_gt_u32_e64 s[14:15], 48, v1
	s_and_saveexec_b64 s[16:17], s[14:15]
	s_cbranch_execnz .LBB156_1127
.LBB156_191:
	s_or_b64 exec, exec, s[16:17]
	v_cmp_gt_u32_e64 s[14:15], 40, v1
	s_and_saveexec_b64 s[16:17], s[14:15]
	s_cbranch_execnz .LBB156_1128
.LBB156_192:
	s_or_b64 exec, exec, s[16:17]
	v_cmp_gt_u32_e64 s[14:15], 32, v1
	s_and_saveexec_b64 s[16:17], s[14:15]
	s_cbranch_execnz .LBB156_1129
.LBB156_193:
	s_or_b64 exec, exec, s[16:17]
	v_cmp_gt_u32_e64 s[14:15], 24, v1
	s_and_saveexec_b64 s[16:17], s[14:15]
	s_cbranch_execnz .LBB156_1130
.LBB156_194:
	s_or_b64 exec, exec, s[16:17]
	v_cmp_gt_u32_e64 s[14:15], 16, v1
	s_and_saveexec_b64 s[16:17], s[14:15]
	s_cbranch_execnz .LBB156_1131
.LBB156_195:
	s_or_b64 exec, exec, s[16:17]
	v_cmp_gt_u32_e64 s[14:15], 8, v1
	s_and_saveexec_b64 s[16:17], s[14:15]
	s_cbranch_execz .LBB156_197
.LBB156_196:
	v_lshlrev_b32_e32 v25, 3, v0
	v_mov_b32_e32 v27, 0
	ds_read_b64 v[25:26], v25 offset:3648
	ds_read_b64 v[27:28], v27 offset:56
	s_waitcnt lgkmcnt(0)
	v_mul_f32_e32 v29, v28, v26
	v_mul_f32_e32 v26, v27, v26
	v_fma_f32 v27, v27, v25, -v29
	v_fmac_f32_e32 v26, v28, v25
	v_add_f32_e32 v21, v21, v27
	v_add_f32_e32 v24, v24, v26
.LBB156_197:
	s_or_b64 exec, exec, s[16:17]
	v_xor_b32_e32 v25, 0x80000000, v21
	v_xor_b32_e32 v24, 0x80000000, v24
.LBB156_198:
	v_writelane_b32 v43, s62, 5
	v_writelane_b32 v43, s63, 6
	s_or_b64 exec, exec, s[0:1]
	v_mov_b32_e32 v21, 0x8000
	v_cmp_eq_u32_e64 s[14:15], 0, v22
	s_xor_b64 s[0:1], s[10:11], -1
	v_lshl_add_u32 v21, v23, 3, v21
	s_and_b64 s[62:63], s[14:15], s[0:1]
	s_and_saveexec_b64 s[10:11], s[62:63]
	s_cbranch_execz .LBB156_200
; %bb.199:
	v_mov_b32_e32 v26, 0
	ds_read_b64 v[26:27], v26 offset:4160
	s_waitcnt lgkmcnt(0)
	v_mul_f32_e32 v29, v24, v27
	v_mul_f32_e32 v28, v25, v27
	v_fma_f32 v27, v25, v26, -v29
	v_fmac_f32_e32 v28, v24, v26
	v_mov_b32_e32 v25, v27
	v_mov_b32_e32 v24, v28
	ds_write_b64 v21, v[27:28]
.LBB156_200:
	s_or_b64 exec, exec, s[10:11]
	v_cmp_ne_u32_e64 s[10:11], 0, v22
	s_and_b64 s[64:65], s[10:11], s[0:1]
	s_waitcnt lgkmcnt(0)
	s_barrier
	s_and_saveexec_b64 s[10:11], s[64:65]
	s_cbranch_execz .LBB156_202
; %bb.201:
	ds_read_b64 v[26:27], v20 offset:4160
	ds_read_b64 v[28:29], v21
	s_waitcnt lgkmcnt(0)
	v_mul_f32_e32 v30, v29, v27
	v_mul_f32_e32 v27, v28, v27
	v_fma_f32 v28, v28, v26, -v30
	v_fmac_f32_e32 v27, v29, v26
	v_add_f32_e32 v25, v25, v28
	v_add_f32_e32 v24, v24, v27
.LBB156_202:
	s_or_b64 exec, exec, s[10:11]
	v_cmp_eq_u32_e64 s[10:11], 1, v22
	s_and_b64 s[66:67], s[10:11], s[0:1]
	s_barrier
	s_and_saveexec_b64 s[10:11], s[66:67]
	s_cbranch_execz .LBB156_204
; %bb.203:
	v_mov_b32_e32 v26, 0
	ds_read_b64 v[26:27], v26 offset:4680
	s_waitcnt lgkmcnt(0)
	v_mul_f32_e32 v29, v24, v27
	v_mul_f32_e32 v28, v25, v27
	v_fma_f32 v27, v25, v26, -v29
	v_fmac_f32_e32 v28, v24, v26
	v_mov_b32_e32 v25, v27
	v_mov_b32_e32 v24, v28
	ds_write_b64 v21, v[27:28]
.LBB156_204:
	s_or_b64 exec, exec, s[10:11]
	v_cmp_lt_u32_e64 s[10:11], 1, v22
	s_and_b64 s[68:69], s[10:11], s[0:1]
	s_waitcnt lgkmcnt(0)
	s_barrier
	s_and_saveexec_b64 s[10:11], s[68:69]
	s_cbranch_execz .LBB156_206
; %bb.205:
	ds_read_b64 v[26:27], v20 offset:4672
	ds_read_b64 v[28:29], v21
	s_waitcnt lgkmcnt(0)
	v_mul_f32_e32 v30, v29, v27
	v_mul_f32_e32 v27, v28, v27
	v_fma_f32 v28, v28, v26, -v30
	v_fmac_f32_e32 v27, v29, v26
	v_add_f32_e32 v25, v25, v28
	v_add_f32_e32 v24, v24, v27
.LBB156_206:
	s_or_b64 exec, exec, s[10:11]
	v_cmp_eq_u32_e64 s[10:11], 2, v22
	s_and_b64 s[70:71], s[10:11], s[0:1]
	s_barrier
	s_and_saveexec_b64 s[10:11], s[70:71]
	s_cbranch_execz .LBB156_208
; %bb.207:
	v_mov_b32_e32 v26, 0
	ds_read_b64 v[26:27], v26 offset:5200
	s_waitcnt lgkmcnt(0)
	v_mul_f32_e32 v29, v24, v27
	v_mul_f32_e32 v28, v25, v27
	v_fma_f32 v27, v25, v26, -v29
	v_fmac_f32_e32 v28, v24, v26
	v_mov_b32_e32 v25, v27
	v_mov_b32_e32 v24, v28
	ds_write_b64 v21, v[27:28]
.LBB156_208:
	s_or_b64 exec, exec, s[10:11]
	v_cmp_lt_u32_e64 s[10:11], 2, v22
	;; [unrolled: 36-line block ×5, first 2 shown]
	s_and_b64 s[84:85], s[10:11], s[0:1]
	s_waitcnt lgkmcnt(0)
	s_barrier
	s_and_saveexec_b64 s[10:11], s[84:85]
	s_cbranch_execz .LBB156_222
; %bb.221:
	ds_read_b64 v[26:27], v20 offset:6720
	ds_read_b64 v[28:29], v21
	s_waitcnt lgkmcnt(0)
	v_mul_f32_e32 v30, v29, v27
	v_mul_f32_e32 v27, v28, v27
	v_fma_f32 v28, v28, v26, -v30
	v_fmac_f32_e32 v27, v29, v26
	v_add_f32_e32 v25, v25, v28
	v_add_f32_e32 v24, v24, v27
.LBB156_222:
	s_or_b64 exec, exec, s[10:11]
	v_cmp_eq_u32_e64 s[10:11], 6, v22
	s_and_b64 s[86:87], s[10:11], s[0:1]
	s_barrier
	s_and_saveexec_b64 s[10:11], s[86:87]
	s_cbranch_execz .LBB156_224
; %bb.223:
	v_mov_b32_e32 v26, 0
	ds_read_b64 v[26:27], v26 offset:7280
	s_waitcnt lgkmcnt(0)
	v_mul_f32_e32 v29, v24, v27
	v_mul_f32_e32 v28, v25, v27
	v_fma_f32 v27, v25, v26, -v29
	v_fmac_f32_e32 v28, v24, v26
	v_mov_b32_e32 v25, v27
	v_mov_b32_e32 v24, v28
	ds_write_b64 v21, v[27:28]
.LBB156_224:
	s_or_b64 exec, exec, s[10:11]
	v_cmp_eq_u32_e64 s[10:11], 7, v22
	s_and_b64 s[60:61], s[10:11], s[0:1]
	s_waitcnt lgkmcnt(0)
	s_barrier
	s_and_saveexec_b64 s[0:1], s[60:61]
	s_cbranch_execz .LBB156_226
; %bb.225:
	v_mov_b32_e32 v26, 0
	ds_read_b64 v[26:27], v26 offset:7288
	ds_read_b64 v[28:29], v21
	s_waitcnt lgkmcnt(0)
	v_mul_f32_e32 v30, v29, v27
	v_mul_f32_e32 v27, v28, v27
	v_fma_f32 v28, v28, v26, -v30
	v_fmac_f32_e32 v27, v29, v26
	v_add_f32_e32 v25, v25, v28
	v_add_f32_e32 v24, v24, v27
.LBB156_226:
	s_or_b64 exec, exec, s[0:1]
	s_barrier
	s_and_saveexec_b64 s[0:1], s[60:61]
	s_cbranch_execz .LBB156_228
; %bb.227:
	v_mov_b32_e32 v26, 0
	ds_read_b64 v[26:27], v26 offset:7800
	s_waitcnt lgkmcnt(0)
	v_mul_f32_e32 v29, v24, v27
	v_mul_f32_e32 v28, v25, v27
	v_fma_f32 v27, v25, v26, -v29
	v_fmac_f32_e32 v28, v24, v26
	v_mov_b32_e32 v25, v27
	v_mov_b32_e32 v24, v28
	ds_write_b64 v21, v[27:28]
.LBB156_228:
	s_or_b64 exec, exec, s[0:1]
	s_waitcnt lgkmcnt(0)
	s_barrier
	s_barrier
	s_and_saveexec_b64 s[0:1], s[8:9]
; %bb.229:
	v_xor_b32_e32 v26, 0x80000000, v24
	v_xor_b32_e32 v25, 0x80000000, v25
	ds_write_b64 v19, v[25:26] offset:64
; %bb.230:
	s_or_b64 exec, exec, s[0:1]
	v_cmp_gt_u32_e64 s[10:11], 8, v0
	s_and_b64 s[88:89], s[12:13], s[10:11]
	s_waitcnt lgkmcnt(0)
	s_barrier
	s_barrier
	s_and_saveexec_b64 s[0:1], s[88:89]
	s_cbranch_execz .LBB156_232
; %bb.231:
	v_lshlrev_b32_e32 v26, 9, v0
	ds_read_b64 v[24:25], v26 offset:64
	s_movk_i32 s10, 0xfe08
	v_mad_i32_i24 v27, v0, s10, v26
	s_waitcnt lgkmcnt(0)
	ds_write_b64 v27, v[24:25] offset:4096
	ds_read_b64 v[24:25], v26 offset:72
	s_waitcnt lgkmcnt(0)
	ds_write_b64 v27, v[24:25] offset:4608
	ds_read_b64 v[24:25], v26 offset:80
	;; [unrolled: 3-line block ×7, first 2 shown]
	s_waitcnt lgkmcnt(0)
	ds_write_b64 v27, v[24:25] offset:7680
.LBB156_232:
	s_or_b64 exec, exec, s[0:1]
	s_waitcnt lgkmcnt(0)
	s_barrier
	s_and_saveexec_b64 s[0:1], vcc
	s_cbranch_execz .LBB156_234
; %bb.233:
	v_mov_b32_e32 v28, 0
	ds_read_b128 v[24:27], v28 offset:4160
	ds_read_b64 v[28:29], v28 offset:4680
	s_movk_i32 s10, 0x1000
	s_waitcnt lgkmcnt(0)
	v_mul_f32_e32 v30, v29, v25
	v_mul_f32_e32 v31, v28, v25
	v_fma_f32 v28, v28, v24, -v30
	v_fmac_f32_e32 v31, v29, v24
	v_mul_f32_e32 v24, v31, v27
	v_mul_f32_e32 v25, v28, v27
	v_fma_f32 v24, v28, v26, -v24
	v_fmac_f32_e32 v25, v31, v26
	v_add_u32_e64 v26, s10, 0
	ds_write2_b64 v26, v[24:25], v[24:25] offset0:9 offset1:72
.LBB156_234:
	s_or_b64 exec, exec, s[0:1]
	v_mov_b32_e32 v24, 0
	v_mov_b32_e32 v25, 0
	s_waitcnt lgkmcnt(0)
	s_barrier
	s_and_saveexec_b64 s[0:1], s[2:3]
	s_cbranch_execz .LBB156_238
; %bb.235:
	v_mul_u32_u24_e32 v26, 0x208, v13
	ds_read_b64 v[24:25], v11 offset:4176
	ds_read_b64 v[26:27], v26 offset:4160
	v_cmp_gt_u32_e64 s[10:11], 2, v1
	s_waitcnt lgkmcnt(0)
	v_mul_f32_e32 v28, v27, v25
	v_mul_f32_e32 v25, v26, v25
	v_fma_f32 v26, v26, v24, -v28
	v_fmac_f32_e32 v25, v27, v24
	v_add_f32_e32 v24, 0, v26
	v_add_f32_e32 v26, 0, v25
	s_and_saveexec_b64 s[14:15], s[10:11]
	s_cbranch_execz .LBB156_237
; %bb.236:
	v_lshlrev_b32_e32 v25, 3, v0
	v_mov_b32_e32 v29, 0
	ds_read_b64 v[27:28], v25 offset:4688
	ds_read_b64 v[29:30], v29 offset:4168
	s_waitcnt lgkmcnt(0)
	v_mul_f32_e32 v25, v30, v28
	v_mul_f32_e32 v28, v29, v28
	v_fma_f32 v25, v29, v27, -v25
	v_fmac_f32_e32 v28, v30, v27
	v_add_f32_e32 v24, v24, v25
	v_add_f32_e32 v26, v26, v28
.LBB156_237:
	s_or_b64 exec, exec, s[14:15]
	v_xor_b32_e32 v25, 0x80000000, v24
	v_xor_b32_e32 v24, 0x80000000, v26
.LBB156_238:
	s_or_b64 exec, exec, s[0:1]
	s_and_saveexec_b64 s[0:1], s[42:43]
	s_cbranch_execz .LBB156_240
; %bb.239:
	v_mov_b32_e32 v26, 0
	ds_read_b64 v[26:27], v26 offset:5200
	s_waitcnt lgkmcnt(0)
	v_mul_f32_e32 v29, v24, v27
	v_mul_f32_e32 v28, v25, v27
	v_fma_f32 v27, v25, v26, -v29
	v_fmac_f32_e32 v28, v24, v26
	v_mov_b32_e32 v25, v27
	v_mov_b32_e32 v24, v28
	ds_write_b64 v12, v[27:28]
.LBB156_240:
	s_or_b64 exec, exec, s[0:1]
	s_waitcnt lgkmcnt(0)
	s_barrier
	s_and_saveexec_b64 s[0:1], s[40:41]
	s_cbranch_execz .LBB156_242
; %bb.241:
	v_mov_b32_e32 v26, 0
	ds_read_b64 v[26:27], v26 offset:5208
	ds_read_b64 v[28:29], v12
	s_waitcnt lgkmcnt(0)
	v_mul_f32_e32 v30, v29, v27
	v_mul_f32_e32 v27, v28, v27
	v_fma_f32 v28, v28, v26, -v30
	v_fmac_f32_e32 v27, v29, v26
	v_add_f32_e32 v25, v25, v28
	v_add_f32_e32 v24, v24, v27
.LBB156_242:
	s_or_b64 exec, exec, s[0:1]
	s_barrier
	s_and_saveexec_b64 s[0:1], s[40:41]
	s_cbranch_execz .LBB156_244
; %bb.243:
	v_mov_b32_e32 v26, 0
	ds_read_b64 v[26:27], v26 offset:5720
	s_waitcnt lgkmcnt(0)
	v_mul_f32_e32 v29, v24, v27
	v_mul_f32_e32 v28, v25, v27
	v_fma_f32 v27, v25, v26, -v29
	v_fmac_f32_e32 v28, v24, v26
	v_mov_b32_e32 v25, v27
	v_mov_b32_e32 v24, v28
	ds_write_b64 v12, v[27:28]
.LBB156_244:
	s_or_b64 exec, exec, s[0:1]
	s_waitcnt lgkmcnt(0)
	s_barrier
	s_barrier
	s_and_saveexec_b64 s[0:1], s[2:3]
; %bb.245:
	v_xor_b32_e32 v26, 0x80000000, v24
	v_xor_b32_e32 v25, 0x80000000, v25
	ds_write_b64 v11, v[25:26] offset:4176
; %bb.246:
	s_or_b64 exec, exec, s[0:1]
	s_waitcnt lgkmcnt(0)
	s_barrier
	s_barrier
	s_and_saveexec_b64 s[0:1], s[44:45]
	s_cbranch_execz .LBB156_248
; %bb.247:
	v_lshlrev_b32_e32 v26, 3, v0
	s_movk_i32 s10, 0x1f8
	v_mad_u32_u24 v27, v0, s10, v26
	ds_read_b64 v[24:25], v27 offset:4176
	s_waitcnt lgkmcnt(0)
	ds_write_b64 v26, v[24:25] offset:5184
	ds_read_b64 v[24:25], v27 offset:4184
	s_waitcnt lgkmcnt(0)
	ds_write_b64 v26, v[24:25] offset:5696
.LBB156_248:
	s_or_b64 exec, exec, s[0:1]
	s_waitcnt lgkmcnt(0)
	s_barrier
	s_and_saveexec_b64 s[0:1], vcc
	s_cbranch_execz .LBB156_250
; %bb.249:
	v_mov_b32_e32 v28, 0
	ds_read_b128 v[24:27], v28 offset:5200
	ds_read_b64 v[28:29], v28 offset:5720
	s_movk_i32 s10, 0x1000
	s_waitcnt lgkmcnt(0)
	v_mul_f32_e32 v30, v29, v25
	v_mul_f32_e32 v31, v28, v25
	v_fma_f32 v28, v28, v24, -v30
	v_fmac_f32_e32 v31, v29, v24
	v_mul_f32_e32 v24, v31, v27
	v_mul_f32_e32 v25, v28, v27
	v_fma_f32 v24, v28, v26, -v24
	v_fmac_f32_e32 v25, v31, v26
	v_add_u32_e64 v26, s10, 0
	ds_write2_b64 v26, v[24:25], v[24:25] offset0:139 offset1:202
.LBB156_250:
	s_or_b64 exec, exec, s[0:1]
	v_mov_b32_e32 v24, 0
	v_mov_b32_e32 v25, 0
	s_waitcnt lgkmcnt(0)
	s_barrier
	s_and_saveexec_b64 s[0:1], s[18:19]
	s_cbranch_execz .LBB156_256
; %bb.251:
	v_mul_u32_u24_e32 v25, 0x208, v18
	ds_read_b64 v[26:27], v14 offset:4192
	ds_read_b64 v[28:29], v25 offset:4160
	v_cmp_gt_u32_e64 s[10:11], 12, v1
	s_waitcnt lgkmcnt(0)
	v_mul_f32_e32 v24, v29, v27
	v_mul_f32_e32 v27, v28, v27
	v_fma_f32 v24, v28, v26, -v24
	v_fmac_f32_e32 v27, v29, v26
	v_add_f32_e32 v24, 0, v24
	v_add_f32_e32 v26, 0, v27
	s_and_saveexec_b64 s[14:15], s[10:11]
	s_cbranch_execnz .LBB156_1132
; %bb.252:
	s_or_b64 exec, exec, s[14:15]
	v_cmp_gt_u32_e64 s[10:11], 8, v1
	s_and_saveexec_b64 s[14:15], s[10:11]
	s_cbranch_execnz .LBB156_1133
.LBB156_253:
	s_or_b64 exec, exec, s[14:15]
	v_cmp_gt_u32_e64 s[10:11], 4, v1
	s_and_saveexec_b64 s[14:15], s[10:11]
	s_cbranch_execz .LBB156_255
.LBB156_254:
	v_lshlrev_b32_e32 v25, 3, v0
	v_mov_b32_e32 v29, 0
	ds_read_b64 v[27:28], v25 offset:5728
	ds_read_b64 v[29:30], v29 offset:4184
	s_waitcnt lgkmcnt(0)
	v_mul_f32_e32 v25, v30, v28
	v_mul_f32_e32 v28, v29, v28
	v_fma_f32 v25, v29, v27, -v25
	v_fmac_f32_e32 v28, v30, v27
	v_add_f32_e32 v24, v24, v25
	v_add_f32_e32 v26, v26, v28
.LBB156_255:
	s_or_b64 exec, exec, s[14:15]
	v_xor_b32_e32 v25, 0x80000000, v24
	v_xor_b32_e32 v24, 0x80000000, v26
.LBB156_256:
	s_or_b64 exec, exec, s[0:1]
	s_and_saveexec_b64 s[0:1], s[48:49]
	s_cbranch_execz .LBB156_258
; %bb.257:
	v_mov_b32_e32 v26, 0
	ds_read_b64 v[26:27], v26 offset:6240
	s_waitcnt lgkmcnt(0)
	v_mul_f32_e32 v29, v24, v27
	v_mul_f32_e32 v28, v25, v27
	v_fma_f32 v27, v25, v26, -v29
	v_fmac_f32_e32 v28, v24, v26
	v_mov_b32_e32 v25, v27
	v_mov_b32_e32 v24, v28
	ds_write_b64 v16, v[27:28]
.LBB156_258:
	s_or_b64 exec, exec, s[0:1]
	s_waitcnt lgkmcnt(0)
	s_barrier
	s_and_saveexec_b64 s[0:1], s[50:51]
	s_cbranch_execz .LBB156_260
; %bb.259:
	ds_read_b64 v[26:27], v15 offset:6240
	ds_read_b64 v[28:29], v16
	s_waitcnt lgkmcnt(0)
	v_mul_f32_e32 v30, v29, v27
	v_mul_f32_e32 v27, v28, v27
	v_fma_f32 v28, v28, v26, -v30
	v_fmac_f32_e32 v27, v29, v26
	v_add_f32_e32 v25, v25, v28
	v_add_f32_e32 v24, v24, v27
.LBB156_260:
	s_or_b64 exec, exec, s[0:1]
	s_barrier
	s_and_saveexec_b64 s[0:1], s[52:53]
	s_cbranch_execz .LBB156_262
; %bb.261:
	v_mov_b32_e32 v26, 0
	ds_read_b64 v[26:27], v26 offset:6760
	s_waitcnt lgkmcnt(0)
	v_mul_f32_e32 v29, v24, v27
	v_mul_f32_e32 v28, v25, v27
	v_fma_f32 v27, v25, v26, -v29
	v_fmac_f32_e32 v28, v24, v26
	v_mov_b32_e32 v25, v27
	v_mov_b32_e32 v24, v28
	ds_write_b64 v16, v[27:28]
.LBB156_262:
	s_or_b64 exec, exec, s[0:1]
	s_waitcnt lgkmcnt(0)
	s_barrier
	s_and_saveexec_b64 s[0:1], s[54:55]
	s_cbranch_execz .LBB156_264
; %bb.263:
	ds_read_b64 v[26:27], v15 offset:6752
	ds_read_b64 v[28:29], v16
	s_waitcnt lgkmcnt(0)
	v_mul_f32_e32 v30, v29, v27
	v_mul_f32_e32 v27, v28, v27
	v_fma_f32 v28, v28, v26, -v30
	v_fmac_f32_e32 v27, v29, v26
	v_add_f32_e32 v25, v25, v28
	v_add_f32_e32 v24, v24, v27
.LBB156_264:
	s_or_b64 exec, exec, s[0:1]
	s_barrier
	s_and_saveexec_b64 s[0:1], s[56:57]
	s_cbranch_execz .LBB156_266
; %bb.265:
	v_mov_b32_e32 v26, 0
	ds_read_b64 v[26:27], v26 offset:7280
	s_waitcnt lgkmcnt(0)
	v_mul_f32_e32 v29, v24, v27
	v_mul_f32_e32 v28, v25, v27
	v_fma_f32 v27, v25, v26, -v29
	v_fmac_f32_e32 v28, v24, v26
	v_mov_b32_e32 v25, v27
	v_mov_b32_e32 v24, v28
	ds_write_b64 v16, v[27:28]
.LBB156_266:
	s_or_b64 exec, exec, s[0:1]
	s_waitcnt lgkmcnt(0)
	s_barrier
	s_and_saveexec_b64 s[0:1], s[46:47]
	s_cbranch_execz .LBB156_268
; %bb.267:
	v_mov_b32_e32 v26, 0
	ds_read_b64 v[26:27], v26 offset:7288
	ds_read_b64 v[28:29], v16
	s_waitcnt lgkmcnt(0)
	v_mul_f32_e32 v30, v29, v27
	v_mul_f32_e32 v27, v28, v27
	v_fma_f32 v28, v28, v26, -v30
	v_fmac_f32_e32 v27, v29, v26
	v_add_f32_e32 v25, v25, v28
	v_add_f32_e32 v24, v24, v27
.LBB156_268:
	s_or_b64 exec, exec, s[0:1]
	s_barrier
	s_and_saveexec_b64 s[0:1], s[46:47]
	s_cbranch_execz .LBB156_270
; %bb.269:
	v_mov_b32_e32 v26, 0
	ds_read_b64 v[26:27], v26 offset:7800
	s_waitcnt lgkmcnt(0)
	v_mul_f32_e32 v29, v24, v27
	v_mul_f32_e32 v28, v25, v27
	v_fma_f32 v27, v25, v26, -v29
	v_fmac_f32_e32 v28, v24, v26
	v_mov_b32_e32 v25, v27
	v_mov_b32_e32 v24, v28
	ds_write_b64 v16, v[27:28]
.LBB156_270:
	s_or_b64 exec, exec, s[0:1]
	s_waitcnt lgkmcnt(0)
	s_barrier
	s_barrier
	s_and_saveexec_b64 s[0:1], s[18:19]
; %bb.271:
	v_xor_b32_e32 v25, 0x80000000, v25
	v_xor_b32_e32 v26, 0x80000000, v24
	ds_write_b64 v14, v[25:26] offset:4192
; %bb.272:
	s_or_b64 exec, exec, s[0:1]
	s_waitcnt lgkmcnt(0)
	s_barrier
	s_barrier
	s_and_saveexec_b64 s[0:1], s[58:59]
	s_cbranch_execz .LBB156_274
; %bb.273:
	v_lshlrev_b32_e32 v26, 9, v0
	ds_read_b64 v[24:25], v26 offset:4192
	s_movk_i32 s10, 0xfe08
	v_mad_i32_i24 v27, v0, s10, v26
	s_waitcnt lgkmcnt(0)
	ds_write_b64 v27, v[24:25] offset:6208
	ds_read_b64 v[24:25], v26 offset:4200
	s_waitcnt lgkmcnt(0)
	ds_write_b64 v27, v[24:25] offset:6720
	ds_read_b64 v[24:25], v26 offset:4208
	;; [unrolled: 3-line block ×3, first 2 shown]
	s_waitcnt lgkmcnt(0)
	ds_write_b64 v27, v[24:25] offset:7744
.LBB156_274:
	s_or_b64 exec, exec, s[0:1]
	s_waitcnt lgkmcnt(0)
	s_barrier
	s_and_saveexec_b64 s[0:1], vcc
	s_cbranch_execz .LBB156_276
; %bb.275:
	v_mov_b32_e32 v28, 0
	ds_read_b128 v[24:27], v28 offset:6240
	ds_read_b64 v[28:29], v28 offset:6760
	s_movk_i32 s10, 0x1800
	s_waitcnt lgkmcnt(0)
	v_mul_f32_e32 v30, v29, v25
	v_mul_f32_e32 v31, v28, v25
	v_fma_f32 v28, v28, v24, -v30
	v_fmac_f32_e32 v31, v29, v24
	v_mul_f32_e32 v24, v31, v27
	v_mul_f32_e32 v25, v28, v27
	v_fma_f32 v24, v28, v26, -v24
	v_fmac_f32_e32 v25, v31, v26
	v_add_u32_e64 v26, s10, 0
	ds_write2_b64 v26, v[24:25], v[24:25] offset0:13 offset1:76
.LBB156_276:
	s_or_b64 exec, exec, s[0:1]
	v_mov_b32_e32 v24, 0
	v_mov_b32_e32 v25, 0
	s_waitcnt lgkmcnt(0)
	s_barrier
	s_and_saveexec_b64 s[0:1], s[2:3]
	s_cbranch_execz .LBB156_280
; %bb.277:
	v_mul_u32_u24_e32 v26, 0x208, v13
	ds_read_b64 v[24:25], v11 offset:6256
	ds_read_b64 v[26:27], v26 offset:6240
	v_cmp_gt_u32_e64 s[10:11], 2, v1
	s_waitcnt lgkmcnt(0)
	v_mul_f32_e32 v28, v27, v25
	v_mul_f32_e32 v25, v26, v25
	v_fma_f32 v26, v26, v24, -v28
	v_fmac_f32_e32 v25, v27, v24
	v_add_f32_e32 v24, 0, v26
	v_add_f32_e32 v26, 0, v25
	s_and_saveexec_b64 s[14:15], s[10:11]
	s_cbranch_execz .LBB156_279
; %bb.278:
	v_lshlrev_b32_e32 v25, 3, v0
	v_mov_b32_e32 v29, 0
	ds_read_b64 v[27:28], v25 offset:6768
	ds_read_b64 v[29:30], v29 offset:6248
	s_waitcnt lgkmcnt(0)
	v_mul_f32_e32 v25, v30, v28
	v_mul_f32_e32 v28, v29, v28
	v_fma_f32 v25, v29, v27, -v25
	v_fmac_f32_e32 v28, v30, v27
	v_add_f32_e32 v24, v24, v25
	v_add_f32_e32 v26, v26, v28
.LBB156_279:
	s_or_b64 exec, exec, s[14:15]
	v_xor_b32_e32 v25, 0x80000000, v24
	v_xor_b32_e32 v24, 0x80000000, v26
.LBB156_280:
	s_or_b64 exec, exec, s[0:1]
	s_and_saveexec_b64 s[0:1], s[42:43]
	s_cbranch_execz .LBB156_282
; %bb.281:
	v_mov_b32_e32 v26, 0
	ds_read_b64 v[26:27], v26 offset:7280
	s_waitcnt lgkmcnt(0)
	v_mul_f32_e32 v29, v24, v27
	v_mul_f32_e32 v28, v25, v27
	v_fma_f32 v27, v25, v26, -v29
	v_fmac_f32_e32 v28, v24, v26
	v_mov_b32_e32 v25, v27
	v_mov_b32_e32 v24, v28
	ds_write_b64 v12, v[27:28]
.LBB156_282:
	s_or_b64 exec, exec, s[0:1]
	s_waitcnt lgkmcnt(0)
	s_barrier
	s_and_saveexec_b64 s[0:1], s[40:41]
	s_cbranch_execz .LBB156_284
; %bb.283:
	v_mov_b32_e32 v26, 0
	ds_read_b64 v[26:27], v26 offset:7288
	ds_read_b64 v[28:29], v12
	s_waitcnt lgkmcnt(0)
	v_mul_f32_e32 v30, v29, v27
	v_mul_f32_e32 v27, v28, v27
	v_fma_f32 v28, v28, v26, -v30
	v_fmac_f32_e32 v27, v29, v26
	v_add_f32_e32 v25, v25, v28
	v_add_f32_e32 v24, v24, v27
.LBB156_284:
	s_or_b64 exec, exec, s[0:1]
	s_barrier
	s_and_saveexec_b64 s[0:1], s[40:41]
	s_cbranch_execz .LBB156_286
; %bb.285:
	v_mov_b32_e32 v26, 0
	ds_read_b64 v[26:27], v26 offset:7800
	s_waitcnt lgkmcnt(0)
	v_mul_f32_e32 v29, v24, v27
	v_mul_f32_e32 v28, v25, v27
	v_fma_f32 v27, v25, v26, -v29
	v_fmac_f32_e32 v28, v24, v26
	v_mov_b32_e32 v25, v27
	v_mov_b32_e32 v24, v28
	ds_write_b64 v12, v[27:28]
.LBB156_286:
	s_or_b64 exec, exec, s[0:1]
	s_waitcnt lgkmcnt(0)
	s_barrier
	s_barrier
	s_and_saveexec_b64 s[0:1], s[2:3]
; %bb.287:
	v_xor_b32_e32 v26, 0x80000000, v24
	v_xor_b32_e32 v25, 0x80000000, v25
	ds_write_b64 v11, v[25:26] offset:6256
; %bb.288:
	s_or_b64 exec, exec, s[0:1]
	s_waitcnt lgkmcnt(0)
	s_barrier
	s_barrier
	s_and_saveexec_b64 s[0:1], s[44:45]
	s_cbranch_execz .LBB156_290
; %bb.289:
	v_lshlrev_b32_e32 v26, 3, v0
	s_movk_i32 s10, 0x1f8
	v_mad_u32_u24 v27, v0, s10, v26
	ds_read_b64 v[24:25], v27 offset:6256
	s_waitcnt lgkmcnt(0)
	ds_write_b64 v26, v[24:25] offset:7264
	ds_read_b64 v[24:25], v27 offset:6264
	s_waitcnt lgkmcnt(0)
	ds_write_b64 v26, v[24:25] offset:7776
.LBB156_290:
	s_or_b64 exec, exec, s[0:1]
	s_waitcnt lgkmcnt(0)
	s_barrier
	s_and_saveexec_b64 s[0:1], vcc
	s_cbranch_execz .LBB156_292
; %bb.291:
	v_mov_b32_e32 v28, 0
	ds_read_b128 v[24:27], v28 offset:7280
	ds_read_b64 v[28:29], v28 offset:7800
	s_movk_i32 s10, 0x1800
	s_waitcnt lgkmcnt(0)
	v_mul_f32_e32 v30, v29, v25
	v_mul_f32_e32 v31, v28, v25
	v_fma_f32 v28, v28, v24, -v30
	v_fmac_f32_e32 v31, v29, v24
	v_mul_f32_e32 v24, v31, v27
	v_mul_f32_e32 v25, v28, v27
	v_fma_f32 v24, v28, v26, -v24
	v_fmac_f32_e32 v25, v31, v26
	v_add_u32_e64 v26, s10, 0
	ds_write2_b64 v26, v[24:25], v[24:25] offset0:143 offset1:206
.LBB156_292:
	s_or_b64 exec, exec, s[0:1]
	v_lshrrev_b32_e32 v28, 4, v1
	v_and_b32_e32 v25, 15, v0
	s_movk_i32 s0, 0xff
	v_lshlrev_b32_e32 v27, 6, v28
	v_cmp_lt_u32_e64 s[14:15], s0, v1
	s_movk_i32 s0, 0x100
	v_or_b32_e32 v24, v27, v25
	v_cmp_gt_u32_e64 s[10:11], s0, v1
	v_lshlrev_b32_e32 v24, 3, v24
	v_mov_b32_e32 v29, 0
	v_mov_b32_e32 v30, 0
	s_waitcnt lgkmcnt(0)
	s_barrier
	s_and_saveexec_b64 s[0:1], s[10:11]
	s_cbranch_execz .LBB156_320
; %bb.293:
	v_mul_u32_u24_e32 v30, 0x208, v28
	ds_read_b64 v[31:32], v24 offset:128
	ds_read_b64 v[33:34], v30
	s_movk_i32 s16, 0xf0
	v_cmp_gt_u32_e64 s[16:17], s16, v1
	s_waitcnt lgkmcnt(0)
	v_mul_f32_e32 v26, v34, v32
	v_mul_f32_e32 v29, v33, v32
	v_fma_f32 v26, v33, v31, -v26
	v_fmac_f32_e32 v29, v34, v31
	v_add_f32_e32 v26, 0, v26
	v_add_f32_e32 v29, 0, v29
	s_and_saveexec_b64 s[20:21], s[16:17]
	s_cbranch_execz .LBB156_295
; %bb.294:
	v_lshlrev_b32_e32 v31, 3, v28
	v_sub_u32_e32 v31, v30, v31
	v_lshl_add_u32 v31, v25, 3, v31
	ds_read_b64 v[31:32], v31 offset:640
	ds_read_b64 v[33:34], v30 offset:8
	s_waitcnt lgkmcnt(0)
	v_mul_f32_e32 v35, v34, v32
	v_mul_f32_e32 v32, v33, v32
	v_fma_f32 v33, v33, v31, -v35
	v_fmac_f32_e32 v32, v34, v31
	v_add_f32_e32 v26, v26, v33
	v_add_f32_e32 v29, v29, v32
.LBB156_295:
	s_or_b64 exec, exec, s[20:21]
	s_movk_i32 s16, 0xe0
	v_cmp_gt_u32_e64 s[16:17], s16, v1
	s_and_saveexec_b64 s[20:21], s[16:17]
	s_cbranch_execz .LBB156_297
; %bb.296:
	v_lshlrev_b32_e32 v31, 3, v28
	v_sub_u32_e32 v31, v30, v31
	v_lshl_add_u32 v31, v25, 3, v31
	ds_read_b64 v[31:32], v31 offset:1152
	ds_read_b64 v[33:34], v30 offset:16
	s_waitcnt lgkmcnt(0)
	v_mul_f32_e32 v35, v34, v32
	v_mul_f32_e32 v32, v33, v32
	v_fma_f32 v33, v33, v31, -v35
	v_fmac_f32_e32 v32, v34, v31
	v_add_f32_e32 v26, v26, v33
	v_add_f32_e32 v29, v29, v32
.LBB156_297:
	s_or_b64 exec, exec, s[20:21]
	s_movk_i32 s16, 0xd0
	v_cmp_gt_u32_e64 s[16:17], s16, v1
	;; [unrolled: 19-line block ×7, first 2 shown]
	s_and_saveexec_b64 s[20:21], s[16:17]
	s_cbranch_execz .LBB156_309
; %bb.308:
	ds_read_b64 v[31:32], v24 offset:4224
	ds_read_b64 v[33:34], v30 offset:64
	s_waitcnt lgkmcnt(0)
	v_mul_f32_e32 v35, v34, v32
	v_mul_f32_e32 v32, v33, v32
	v_fma_f32 v33, v33, v31, -v35
	v_fmac_f32_e32 v32, v34, v31
	v_add_f32_e32 v26, v26, v33
	v_add_f32_e32 v29, v29, v32
.LBB156_309:
	s_or_b64 exec, exec, s[20:21]
	s_movk_i32 s16, 0x70
	v_cmp_gt_u32_e64 s[16:17], s16, v1
	s_and_saveexec_b64 s[20:21], s[16:17]
	s_cbranch_execz .LBB156_311
; %bb.310:
	v_lshlrev_b32_e32 v31, 3, v25
	v_lshl_add_u32 v31, v27, 3, v31
	ds_read_b64 v[31:32], v31 offset:4736
	ds_read_b64 v[33:34], v30 offset:72
	s_waitcnt lgkmcnt(0)
	v_mul_f32_e32 v35, v34, v32
	v_mul_f32_e32 v32, v33, v32
	v_fma_f32 v33, v33, v31, -v35
	v_fmac_f32_e32 v32, v34, v31
	v_add_f32_e32 v26, v26, v33
	v_add_f32_e32 v29, v29, v32
.LBB156_311:
	s_or_b64 exec, exec, s[20:21]
	s_movk_i32 s16, 0x60
	v_cmp_gt_u32_e64 s[16:17], s16, v1
	s_and_saveexec_b64 s[20:21], s[16:17]
	s_cbranch_execz .LBB156_313
; %bb.312:
	v_lshlrev_b32_e32 v31, 3, v25
	v_lshl_add_u32 v31, v27, 3, v31
	ds_read_b64 v[31:32], v31 offset:5248
	ds_read_b64 v[33:34], v30 offset:80
	s_waitcnt lgkmcnt(0)
	v_mul_f32_e32 v35, v34, v32
	v_mul_f32_e32 v32, v33, v32
	v_fma_f32 v33, v33, v31, -v35
	v_fmac_f32_e32 v32, v34, v31
	v_add_f32_e32 v26, v26, v33
	v_add_f32_e32 v29, v29, v32
.LBB156_313:
	s_or_b64 exec, exec, s[20:21]
	s_movk_i32 s16, 0x50
	v_cmp_gt_u32_e64 s[16:17], s16, v1
	s_and_saveexec_b64 s[20:21], s[16:17]
	s_cbranch_execnz .LBB156_1134
; %bb.314:
	s_or_b64 exec, exec, s[20:21]
	v_cmp_gt_u32_e64 s[16:17], 64, v1
	s_and_saveexec_b64 s[20:21], s[16:17]
	s_cbranch_execnz .LBB156_1135
.LBB156_315:
	s_or_b64 exec, exec, s[20:21]
	v_cmp_gt_u32_e64 s[16:17], 48, v1
	s_and_saveexec_b64 s[20:21], s[16:17]
	s_cbranch_execnz .LBB156_1136
.LBB156_316:
	s_or_b64 exec, exec, s[20:21]
	v_cmp_gt_u32_e64 s[16:17], 32, v1
	s_and_saveexec_b64 s[20:21], s[16:17]
	s_cbranch_execnz .LBB156_1137
.LBB156_317:
	s_or_b64 exec, exec, s[20:21]
	v_cmp_gt_u32_e64 s[16:17], 16, v1
	s_and_saveexec_b64 s[20:21], s[16:17]
	s_cbranch_execz .LBB156_319
.LBB156_318:
	v_lshlrev_b32_e32 v30, 3, v0
	v_mov_b32_e32 v32, 0
	ds_read_b64 v[30:31], v30 offset:7808
	ds_read_b64 v[32:33], v32 offset:120
	s_waitcnt lgkmcnt(0)
	v_mul_f32_e32 v34, v33, v31
	v_mul_f32_e32 v31, v32, v31
	v_fma_f32 v32, v32, v30, -v34
	v_fmac_f32_e32 v31, v33, v30
	v_add_f32_e32 v26, v26, v32
	v_add_f32_e32 v29, v29, v31
.LBB156_319:
	s_or_b64 exec, exec, s[20:21]
	v_xor_b32_e32 v30, 0x80000000, v26
	v_xor_b32_e32 v29, 0x80000000, v29
.LBB156_320:
	s_or_b64 exec, exec, s[0:1]
	v_mov_b32_e32 v26, 0x8000
	v_lshl_add_u32 v26, v28, 3, v26
	v_cmp_eq_u32_e64 s[16:17], 0, v25
	s_xor_b64 s[20:21], s[14:15], -1
	s_and_b64 s[14:15], s[16:17], s[20:21]
	s_mov_b64 s[0:1], exec
	v_writelane_b32 v43, s14, 7
	v_writelane_b32 v43, s15, 8
	s_and_b64 s[14:15], s[0:1], s[14:15]
	s_mov_b64 exec, s[14:15]
	s_cbranch_execz .LBB156_322
; %bb.321:
	v_mov_b32_e32 v31, 0
	ds_read_b64 v[31:32], v31 offset:8320
	s_waitcnt lgkmcnt(0)
	v_mul_f32_e32 v34, v29, v32
	v_mul_f32_e32 v33, v30, v32
	v_fma_f32 v32, v30, v31, -v34
	v_fmac_f32_e32 v33, v29, v31
	v_mov_b32_e32 v30, v32
	v_mov_b32_e32 v29, v33
	ds_write_b64 v26, v[32:33]
.LBB156_322:
	s_or_b64 exec, exec, s[0:1]
	v_cmp_ne_u32_e64 s[14:15], 0, v25
	s_waitcnt lgkmcnt(0)
	s_barrier
	s_and_b64 s[14:15], s[14:15], s[20:21]
	s_mov_b64 s[0:1], exec
	v_writelane_b32 v43, s14, 9
	v_writelane_b32 v43, s15, 10
	s_and_b64 s[14:15], s[0:1], s[14:15]
	s_mov_b64 exec, s[14:15]
	s_cbranch_execz .LBB156_324
; %bb.323:
	v_lshlrev_b32_e32 v31, 3, v25
	ds_read_b64 v[31:32], v31 offset:8320
	ds_read_b64 v[33:34], v26
	s_waitcnt lgkmcnt(0)
	v_mul_f32_e32 v35, v34, v32
	v_mul_f32_e32 v32, v33, v32
	v_fma_f32 v33, v33, v31, -v35
	v_fmac_f32_e32 v32, v34, v31
	v_add_f32_e32 v30, v30, v33
	v_add_f32_e32 v29, v29, v32
.LBB156_324:
	s_or_b64 exec, exec, s[0:1]
	v_cmp_eq_u32_e64 s[14:15], 1, v25
	s_barrier
	s_and_b64 s[14:15], s[14:15], s[20:21]
	s_mov_b64 s[0:1], exec
	v_writelane_b32 v43, s14, 11
	v_writelane_b32 v43, s15, 12
	s_and_b64 s[14:15], s[0:1], s[14:15]
	s_mov_b64 exec, s[14:15]
	s_cbranch_execz .LBB156_326
; %bb.325:
	v_mov_b32_e32 v31, 0
	ds_read_b64 v[31:32], v31 offset:8840
	s_waitcnt lgkmcnt(0)
	v_mul_f32_e32 v34, v29, v32
	v_mul_f32_e32 v33, v30, v32
	v_fma_f32 v32, v30, v31, -v34
	v_fmac_f32_e32 v33, v29, v31
	v_mov_b32_e32 v30, v32
	v_mov_b32_e32 v29, v33
	ds_write_b64 v26, v[32:33]
.LBB156_326:
	s_or_b64 exec, exec, s[0:1]
	v_cmp_lt_u32_e64 s[14:15], 1, v25
	s_waitcnt lgkmcnt(0)
	s_barrier
	s_and_b64 s[14:15], s[14:15], s[20:21]
	s_mov_b64 s[0:1], exec
	v_writelane_b32 v43, s14, 13
	v_writelane_b32 v43, s15, 14
	s_and_b64 s[14:15], s[0:1], s[14:15]
	s_mov_b64 exec, s[14:15]
	s_cbranch_execz .LBB156_328
; %bb.327:
	v_lshlrev_b32_e32 v31, 3, v25
	ds_read_b64 v[31:32], v31 offset:8832
	ds_read_b64 v[33:34], v26
	s_waitcnt lgkmcnt(0)
	v_mul_f32_e32 v35, v34, v32
	v_mul_f32_e32 v32, v33, v32
	v_fma_f32 v33, v33, v31, -v35
	v_fmac_f32_e32 v32, v34, v31
	v_add_f32_e32 v30, v30, v33
	v_add_f32_e32 v29, v29, v32
.LBB156_328:
	s_or_b64 exec, exec, s[0:1]
	v_cmp_eq_u32_e64 s[14:15], 2, v25
	s_barrier
	s_and_b64 s[14:15], s[14:15], s[20:21]
	s_mov_b64 s[0:1], exec
	v_writelane_b32 v43, s14, 15
	v_writelane_b32 v43, s15, 16
	s_and_b64 s[14:15], s[0:1], s[14:15]
	s_mov_b64 exec, s[14:15]
	s_cbranch_execz .LBB156_330
; %bb.329:
	v_mov_b32_e32 v31, 0
	ds_read_b64 v[31:32], v31 offset:9360
	s_waitcnt lgkmcnt(0)
	v_mul_f32_e32 v34, v29, v32
	v_mul_f32_e32 v33, v30, v32
	v_fma_f32 v32, v30, v31, -v34
	v_fmac_f32_e32 v33, v29, v31
	v_mov_b32_e32 v30, v32
	v_mov_b32_e32 v29, v33
	ds_write_b64 v26, v[32:33]
.LBB156_330:
	s_or_b64 exec, exec, s[0:1]
	v_cmp_lt_u32_e64 s[14:15], 2, v25
	;; [unrolled: 45-line block ×13, first 2 shown]
	s_waitcnt lgkmcnt(0)
	s_barrier
	s_and_b64 s[14:15], s[14:15], s[20:21]
	s_mov_b64 s[0:1], exec
	v_writelane_b32 v43, s14, 61
	v_writelane_b32 v43, s15, 62
	s_and_b64 s[14:15], s[0:1], s[14:15]
	s_mov_b64 exec, s[14:15]
	s_cbranch_execz .LBB156_376
; %bb.375:
	v_lshlrev_b32_e32 v31, 3, v25
	ds_read_b64 v[31:32], v31 offset:14976
	ds_read_b64 v[33:34], v26
	s_waitcnt lgkmcnt(0)
	v_mul_f32_e32 v35, v34, v32
	v_mul_f32_e32 v32, v33, v32
	v_fma_f32 v33, v33, v31, -v35
	v_fmac_f32_e32 v32, v34, v31
	v_add_f32_e32 v30, v30, v33
	v_add_f32_e32 v29, v29, v32
.LBB156_376:
	s_or_b64 exec, exec, s[0:1]
	v_cmp_eq_u32_e64 s[14:15], 14, v25
	s_barrier
	s_and_b64 s[14:15], s[14:15], s[20:21]
	s_mov_b64 s[0:1], exec
                                        ; implicit-def: $vgpr42 : SGPR spill to VGPR lane
	v_writelane_b32 v43, s14, 63
	v_writelane_b32 v42, s15, 0
	s_and_b64 s[14:15], s[0:1], s[14:15]
	s_mov_b64 exec, s[14:15]
	s_cbranch_execz .LBB156_378
; %bb.377:
	v_mov_b32_e32 v31, 0
	ds_read_b64 v[31:32], v31 offset:15600
	s_waitcnt lgkmcnt(0)
	v_mul_f32_e32 v34, v29, v32
	v_mul_f32_e32 v33, v30, v32
	v_fma_f32 v32, v30, v31, -v34
	v_fmac_f32_e32 v33, v29, v31
	v_mov_b32_e32 v30, v32
	v_mov_b32_e32 v29, v33
	ds_write_b64 v26, v[32:33]
.LBB156_378:
	s_or_b64 exec, exec, s[0:1]
	v_cmp_eq_u32_e64 s[14:15], 15, v25
	s_and_b64 s[90:91], s[14:15], s[20:21]
	s_waitcnt lgkmcnt(0)
	s_barrier
	s_and_saveexec_b64 s[0:1], s[90:91]
	s_cbranch_execz .LBB156_380
; %bb.379:
	v_mov_b32_e32 v31, 0
	ds_read_b64 v[31:32], v31 offset:15608
	ds_read_b64 v[33:34], v26
	s_waitcnt lgkmcnt(0)
	v_mul_f32_e32 v35, v34, v32
	v_mul_f32_e32 v32, v33, v32
	v_fma_f32 v33, v33, v31, -v35
	v_fmac_f32_e32 v32, v34, v31
	v_add_f32_e32 v30, v30, v33
	v_add_f32_e32 v29, v29, v32
.LBB156_380:
	s_or_b64 exec, exec, s[0:1]
	s_barrier
	s_and_saveexec_b64 s[0:1], s[90:91]
	s_cbranch_execz .LBB156_382
; %bb.381:
	v_mov_b32_e32 v31, 0
	ds_read_b64 v[31:32], v31 offset:16120
	s_waitcnt lgkmcnt(0)
	v_mul_f32_e32 v34, v29, v32
	v_mul_f32_e32 v33, v30, v32
	v_fma_f32 v32, v30, v31, -v34
	v_fmac_f32_e32 v33, v29, v31
	v_mov_b32_e32 v30, v32
	v_mov_b32_e32 v29, v33
	ds_write_b64 v26, v[32:33]
.LBB156_382:
	s_or_b64 exec, exec, s[0:1]
	s_waitcnt lgkmcnt(0)
	s_barrier
	s_barrier
	s_and_saveexec_b64 s[0:1], s[10:11]
; %bb.383:
	v_xor_b32_e32 v30, 0x80000000, v30
	v_xor_b32_e32 v31, 0x80000000, v29
	ds_write_b64 v24, v[30:31] offset:128
; %bb.384:
	s_or_b64 exec, exec, s[0:1]
	v_cmp_gt_u32_e64 s[14:15], 16, v0
	s_and_b64 s[94:95], s[12:13], s[14:15]
	s_waitcnt lgkmcnt(0)
	s_barrier
	s_barrier
	s_and_saveexec_b64 s[0:1], s[94:95]
	s_cbranch_execz .LBB156_386
; %bb.385:
	v_lshlrev_b32_e32 v31, 9, v0
	ds_read_b64 v[29:30], v31 offset:128
	s_movk_i32 s14, 0xfe08
	v_mad_i32_i24 v32, v0, s14, v31
	s_waitcnt lgkmcnt(0)
	ds_write_b64 v32, v[29:30] offset:8192
	ds_read_b64 v[29:30], v31 offset:136
	s_waitcnt lgkmcnt(0)
	ds_write_b64 v32, v[29:30] offset:8704
	ds_read_b64 v[29:30], v31 offset:144
	s_waitcnt lgkmcnt(0)
	ds_write_b64 v32, v[29:30] offset:9216
	ds_read_b64 v[29:30], v31 offset:152
	s_waitcnt lgkmcnt(0)
	ds_write_b64 v32, v[29:30] offset:9728
	ds_read_b64 v[29:30], v31 offset:160
	s_waitcnt lgkmcnt(0)
	ds_write_b64 v32, v[29:30] offset:10240
	ds_read_b64 v[29:30], v31 offset:168
	s_waitcnt lgkmcnt(0)
	ds_write_b64 v32, v[29:30] offset:10752
	ds_read_b64 v[29:30], v31 offset:176
	s_waitcnt lgkmcnt(0)
	ds_write_b64 v32, v[29:30] offset:11264
	ds_read_b64 v[29:30], v31 offset:184
	s_waitcnt lgkmcnt(0)
	ds_write_b64 v32, v[29:30] offset:11776
	ds_read_b64 v[29:30], v31 offset:192
	s_waitcnt lgkmcnt(0)
	ds_write_b64 v32, v[29:30] offset:12288
	ds_read_b64 v[29:30], v31 offset:200
	s_waitcnt lgkmcnt(0)
	ds_write_b64 v32, v[29:30] offset:12800
	ds_read_b64 v[29:30], v31 offset:208
	s_waitcnt lgkmcnt(0)
	ds_write_b64 v32, v[29:30] offset:13312
	ds_read_b64 v[29:30], v31 offset:216
	s_waitcnt lgkmcnt(0)
	ds_write_b64 v32, v[29:30] offset:13824
	ds_read_b64 v[29:30], v31 offset:224
	s_waitcnt lgkmcnt(0)
	ds_write_b64 v32, v[29:30] offset:14336
	ds_read_b64 v[29:30], v31 offset:232
	s_waitcnt lgkmcnt(0)
	ds_write_b64 v32, v[29:30] offset:14848
	ds_read_b64 v[29:30], v31 offset:240
	s_waitcnt lgkmcnt(0)
	ds_write_b64 v32, v[29:30] offset:15360
	ds_read_b64 v[29:30], v31 offset:248
	s_waitcnt lgkmcnt(0)
	ds_write_b64 v32, v[29:30] offset:15872
.LBB156_386:
	s_or_b64 exec, exec, s[0:1]
	s_waitcnt lgkmcnt(0)
	s_barrier
	s_and_saveexec_b64 s[0:1], vcc
	s_cbranch_execz .LBB156_388
; %bb.387:
	v_mov_b32_e32 v33, 0
	ds_read_b128 v[29:32], v33 offset:8320
	ds_read_b64 v[33:34], v33 offset:8840
	s_movk_i32 s14, 0x2000
	s_waitcnt lgkmcnt(0)
	v_mul_f32_e32 v35, v34, v30
	v_mul_f32_e32 v36, v33, v30
	v_fma_f32 v33, v33, v29, -v35
	v_fmac_f32_e32 v36, v34, v29
	v_mul_f32_e32 v29, v36, v32
	v_mul_f32_e32 v30, v33, v32
	v_fma_f32 v29, v33, v31, -v29
	v_fmac_f32_e32 v30, v36, v31
	v_add_u32_e64 v31, s14, 0
	ds_write2_b64 v31, v[29:30], v[29:30] offset0:17 offset1:80
.LBB156_388:
	s_or_b64 exec, exec, s[0:1]
	v_mov_b32_e32 v29, 0
	v_mov_b32_e32 v30, 0
	s_waitcnt lgkmcnt(0)
	s_barrier
	s_and_saveexec_b64 s[0:1], s[2:3]
	s_cbranch_execz .LBB156_392
; %bb.389:
	v_mul_u32_u24_e32 v31, 0x208, v13
	ds_read_b64 v[29:30], v11 offset:8336
	ds_read_b64 v[31:32], v31 offset:8320
	v_cmp_gt_u32_e64 s[14:15], 2, v1
	s_waitcnt lgkmcnt(0)
	v_mul_f32_e32 v33, v32, v30
	v_mul_f32_e32 v30, v31, v30
	v_fma_f32 v31, v31, v29, -v33
	v_fmac_f32_e32 v30, v32, v29
	v_add_f32_e32 v29, 0, v31
	v_add_f32_e32 v31, 0, v30
	s_and_saveexec_b64 s[16:17], s[14:15]
	s_cbranch_execz .LBB156_391
; %bb.390:
	v_lshlrev_b32_e32 v30, 3, v0
	v_mov_b32_e32 v34, 0
	ds_read_b64 v[32:33], v30 offset:8848
	ds_read_b64 v[34:35], v34 offset:8328
	s_waitcnt lgkmcnt(0)
	v_mul_f32_e32 v30, v35, v33
	v_mul_f32_e32 v33, v34, v33
	v_fma_f32 v30, v34, v32, -v30
	v_fmac_f32_e32 v33, v35, v32
	v_add_f32_e32 v29, v29, v30
	v_add_f32_e32 v31, v31, v33
.LBB156_391:
	s_or_b64 exec, exec, s[16:17]
	v_xor_b32_e32 v30, 0x80000000, v29
	v_xor_b32_e32 v29, 0x80000000, v31
.LBB156_392:
	s_or_b64 exec, exec, s[0:1]
	s_and_saveexec_b64 s[0:1], s[42:43]
	s_cbranch_execz .LBB156_394
; %bb.393:
	v_mov_b32_e32 v31, 0
	ds_read_b64 v[31:32], v31 offset:9360
	s_waitcnt lgkmcnt(0)
	v_mul_f32_e32 v34, v29, v32
	v_mul_f32_e32 v33, v30, v32
	v_fma_f32 v32, v30, v31, -v34
	v_fmac_f32_e32 v33, v29, v31
	v_mov_b32_e32 v30, v32
	v_mov_b32_e32 v29, v33
	ds_write_b64 v12, v[32:33]
.LBB156_394:
	s_or_b64 exec, exec, s[0:1]
	s_waitcnt lgkmcnt(0)
	s_barrier
	s_and_saveexec_b64 s[0:1], s[40:41]
	s_cbranch_execz .LBB156_396
; %bb.395:
	v_mov_b32_e32 v31, 0
	ds_read_b64 v[31:32], v31 offset:9368
	ds_read_b64 v[33:34], v12
	s_waitcnt lgkmcnt(0)
	v_mul_f32_e32 v35, v34, v32
	v_mul_f32_e32 v32, v33, v32
	v_fma_f32 v33, v33, v31, -v35
	v_fmac_f32_e32 v32, v34, v31
	v_add_f32_e32 v30, v30, v33
	v_add_f32_e32 v29, v29, v32
.LBB156_396:
	s_or_b64 exec, exec, s[0:1]
	s_barrier
	s_and_saveexec_b64 s[0:1], s[40:41]
	s_cbranch_execz .LBB156_398
; %bb.397:
	v_mov_b32_e32 v31, 0
	ds_read_b64 v[31:32], v31 offset:9880
	s_waitcnt lgkmcnt(0)
	v_mul_f32_e32 v34, v29, v32
	v_mul_f32_e32 v33, v30, v32
	v_fma_f32 v32, v30, v31, -v34
	v_fmac_f32_e32 v33, v29, v31
	v_mov_b32_e32 v30, v32
	v_mov_b32_e32 v29, v33
	ds_write_b64 v12, v[32:33]
.LBB156_398:
	s_or_b64 exec, exec, s[0:1]
	s_waitcnt lgkmcnt(0)
	s_barrier
	s_barrier
	s_and_saveexec_b64 s[0:1], s[2:3]
; %bb.399:
	v_xor_b32_e32 v31, 0x80000000, v29
	v_xor_b32_e32 v30, 0x80000000, v30
	ds_write_b64 v11, v[30:31] offset:8336
; %bb.400:
	s_or_b64 exec, exec, s[0:1]
	s_waitcnt lgkmcnt(0)
	s_barrier
	s_barrier
	s_and_saveexec_b64 s[0:1], s[44:45]
	s_cbranch_execz .LBB156_402
; %bb.401:
	v_lshlrev_b32_e32 v31, 3, v0
	s_movk_i32 s14, 0x1f8
	v_mad_u32_u24 v32, v0, s14, v31
	ds_read_b64 v[29:30], v32 offset:8336
	s_waitcnt lgkmcnt(0)
	ds_write_b64 v31, v[29:30] offset:9344
	ds_read_b64 v[29:30], v32 offset:8344
	s_waitcnt lgkmcnt(0)
	ds_write_b64 v31, v[29:30] offset:9856
.LBB156_402:
	s_or_b64 exec, exec, s[0:1]
	s_waitcnt lgkmcnt(0)
	s_barrier
	s_and_saveexec_b64 s[0:1], vcc
	s_cbranch_execz .LBB156_404
; %bb.403:
	v_mov_b32_e32 v33, 0
	ds_read_b128 v[29:32], v33 offset:9360
	ds_read_b64 v[33:34], v33 offset:9880
	s_movk_i32 s14, 0x2000
	s_waitcnt lgkmcnt(0)
	v_mul_f32_e32 v35, v34, v30
	v_mul_f32_e32 v36, v33, v30
	v_fma_f32 v33, v33, v29, -v35
	v_fmac_f32_e32 v36, v34, v29
	v_mul_f32_e32 v29, v36, v32
	v_mul_f32_e32 v30, v33, v32
	v_fma_f32 v29, v33, v31, -v29
	v_fmac_f32_e32 v30, v36, v31
	v_add_u32_e64 v31, s14, 0
	ds_write2_b64 v31, v[29:30], v[29:30] offset0:147 offset1:210
.LBB156_404:
	s_or_b64 exec, exec, s[0:1]
	v_mov_b32_e32 v29, 0
	v_mov_b32_e32 v30, 0
	s_waitcnt lgkmcnt(0)
	s_barrier
	s_and_saveexec_b64 s[0:1], s[18:19]
	s_cbranch_execz .LBB156_410
; %bb.405:
	v_mul_u32_u24_e32 v30, 0x208, v18
	ds_read_b64 v[31:32], v14 offset:8352
	ds_read_b64 v[33:34], v30 offset:8320
	v_cmp_gt_u32_e64 s[14:15], 12, v1
	s_waitcnt lgkmcnt(0)
	v_mul_f32_e32 v29, v34, v32
	v_mul_f32_e32 v32, v33, v32
	v_fma_f32 v29, v33, v31, -v29
	v_fmac_f32_e32 v32, v34, v31
	v_add_f32_e32 v29, 0, v29
	v_add_f32_e32 v31, 0, v32
	s_and_saveexec_b64 s[16:17], s[14:15]
	s_cbranch_execnz .LBB156_1138
; %bb.406:
	s_or_b64 exec, exec, s[16:17]
	v_cmp_gt_u32_e64 s[14:15], 8, v1
	s_and_saveexec_b64 s[16:17], s[14:15]
	s_cbranch_execnz .LBB156_1139
.LBB156_407:
	s_or_b64 exec, exec, s[16:17]
	v_cmp_gt_u32_e64 s[14:15], 4, v1
	s_and_saveexec_b64 s[16:17], s[14:15]
	s_cbranch_execz .LBB156_409
.LBB156_408:
	v_lshlrev_b32_e32 v30, 3, v0
	v_mov_b32_e32 v34, 0
	ds_read_b64 v[32:33], v30 offset:9888
	ds_read_b64 v[34:35], v34 offset:8344
	s_waitcnt lgkmcnt(0)
	v_mul_f32_e32 v30, v35, v33
	v_mul_f32_e32 v33, v34, v33
	v_fma_f32 v30, v34, v32, -v30
	v_fmac_f32_e32 v33, v35, v32
	v_add_f32_e32 v29, v29, v30
	v_add_f32_e32 v31, v31, v33
.LBB156_409:
	s_or_b64 exec, exec, s[16:17]
	v_xor_b32_e32 v30, 0x80000000, v29
	v_xor_b32_e32 v29, 0x80000000, v31
.LBB156_410:
	s_or_b64 exec, exec, s[0:1]
	s_and_saveexec_b64 s[0:1], s[48:49]
	s_cbranch_execz .LBB156_412
; %bb.411:
	v_mov_b32_e32 v31, 0
	ds_read_b64 v[31:32], v31 offset:10400
	s_waitcnt lgkmcnt(0)
	v_mul_f32_e32 v34, v29, v32
	v_mul_f32_e32 v33, v30, v32
	v_fma_f32 v32, v30, v31, -v34
	v_fmac_f32_e32 v33, v29, v31
	v_mov_b32_e32 v30, v32
	v_mov_b32_e32 v29, v33
	ds_write_b64 v16, v[32:33]
.LBB156_412:
	s_or_b64 exec, exec, s[0:1]
	s_waitcnt lgkmcnt(0)
	s_barrier
	s_and_saveexec_b64 s[0:1], s[50:51]
	s_cbranch_execz .LBB156_414
; %bb.413:
	ds_read_b64 v[31:32], v15 offset:10400
	ds_read_b64 v[33:34], v16
	s_waitcnt lgkmcnt(0)
	v_mul_f32_e32 v35, v34, v32
	v_mul_f32_e32 v32, v33, v32
	v_fma_f32 v33, v33, v31, -v35
	v_fmac_f32_e32 v32, v34, v31
	v_add_f32_e32 v30, v30, v33
	v_add_f32_e32 v29, v29, v32
.LBB156_414:
	s_or_b64 exec, exec, s[0:1]
	s_barrier
	s_and_saveexec_b64 s[0:1], s[52:53]
	s_cbranch_execz .LBB156_416
; %bb.415:
	v_mov_b32_e32 v31, 0
	ds_read_b64 v[31:32], v31 offset:10920
	s_waitcnt lgkmcnt(0)
	v_mul_f32_e32 v34, v29, v32
	v_mul_f32_e32 v33, v30, v32
	v_fma_f32 v32, v30, v31, -v34
	v_fmac_f32_e32 v33, v29, v31
	v_mov_b32_e32 v30, v32
	v_mov_b32_e32 v29, v33
	ds_write_b64 v16, v[32:33]
.LBB156_416:
	s_or_b64 exec, exec, s[0:1]
	s_waitcnt lgkmcnt(0)
	s_barrier
	s_and_saveexec_b64 s[0:1], s[54:55]
	s_cbranch_execz .LBB156_418
; %bb.417:
	ds_read_b64 v[31:32], v15 offset:10912
	ds_read_b64 v[33:34], v16
	s_waitcnt lgkmcnt(0)
	v_mul_f32_e32 v35, v34, v32
	v_mul_f32_e32 v32, v33, v32
	v_fma_f32 v33, v33, v31, -v35
	v_fmac_f32_e32 v32, v34, v31
	v_add_f32_e32 v30, v30, v33
	v_add_f32_e32 v29, v29, v32
.LBB156_418:
	s_or_b64 exec, exec, s[0:1]
	s_barrier
	s_and_saveexec_b64 s[0:1], s[56:57]
	s_cbranch_execz .LBB156_420
; %bb.419:
	v_mov_b32_e32 v31, 0
	ds_read_b64 v[31:32], v31 offset:11440
	s_waitcnt lgkmcnt(0)
	v_mul_f32_e32 v34, v29, v32
	v_mul_f32_e32 v33, v30, v32
	v_fma_f32 v32, v30, v31, -v34
	v_fmac_f32_e32 v33, v29, v31
	v_mov_b32_e32 v30, v32
	v_mov_b32_e32 v29, v33
	ds_write_b64 v16, v[32:33]
.LBB156_420:
	s_or_b64 exec, exec, s[0:1]
	s_waitcnt lgkmcnt(0)
	s_barrier
	s_and_saveexec_b64 s[0:1], s[46:47]
	s_cbranch_execz .LBB156_422
; %bb.421:
	v_mov_b32_e32 v31, 0
	ds_read_b64 v[31:32], v31 offset:11448
	ds_read_b64 v[33:34], v16
	s_waitcnt lgkmcnt(0)
	v_mul_f32_e32 v35, v34, v32
	v_mul_f32_e32 v32, v33, v32
	v_fma_f32 v33, v33, v31, -v35
	v_fmac_f32_e32 v32, v34, v31
	v_add_f32_e32 v30, v30, v33
	v_add_f32_e32 v29, v29, v32
.LBB156_422:
	s_or_b64 exec, exec, s[0:1]
	s_barrier
	s_and_saveexec_b64 s[0:1], s[46:47]
	s_cbranch_execz .LBB156_424
; %bb.423:
	v_mov_b32_e32 v31, 0
	ds_read_b64 v[31:32], v31 offset:11960
	s_waitcnt lgkmcnt(0)
	v_mul_f32_e32 v34, v29, v32
	v_mul_f32_e32 v33, v30, v32
	v_fma_f32 v32, v30, v31, -v34
	v_fmac_f32_e32 v33, v29, v31
	v_mov_b32_e32 v30, v32
	v_mov_b32_e32 v29, v33
	ds_write_b64 v16, v[32:33]
.LBB156_424:
	s_or_b64 exec, exec, s[0:1]
	s_waitcnt lgkmcnt(0)
	s_barrier
	s_barrier
	s_and_saveexec_b64 s[0:1], s[18:19]
; %bb.425:
	v_xor_b32_e32 v30, 0x80000000, v30
	v_xor_b32_e32 v31, 0x80000000, v29
	ds_write_b64 v14, v[30:31] offset:8352
; %bb.426:
	s_or_b64 exec, exec, s[0:1]
	s_waitcnt lgkmcnt(0)
	s_barrier
	s_barrier
	s_and_saveexec_b64 s[0:1], s[58:59]
	s_cbranch_execz .LBB156_428
; %bb.427:
	v_lshlrev_b32_e32 v31, 9, v0
	ds_read_b64 v[29:30], v31 offset:8352
	s_movk_i32 s14, 0xfe08
	v_mad_i32_i24 v32, v0, s14, v31
	s_waitcnt lgkmcnt(0)
	ds_write_b64 v32, v[29:30] offset:10368
	ds_read_b64 v[29:30], v31 offset:8360
	s_waitcnt lgkmcnt(0)
	ds_write_b64 v32, v[29:30] offset:10880
	ds_read_b64 v[29:30], v31 offset:8368
	;; [unrolled: 3-line block ×3, first 2 shown]
	s_waitcnt lgkmcnt(0)
	ds_write_b64 v32, v[29:30] offset:11904
.LBB156_428:
	s_or_b64 exec, exec, s[0:1]
	s_waitcnt lgkmcnt(0)
	s_barrier
	s_and_saveexec_b64 s[0:1], vcc
	s_cbranch_execz .LBB156_430
; %bb.429:
	v_mov_b32_e32 v33, 0
	ds_read_b128 v[29:32], v33 offset:10400
	ds_read_b64 v[33:34], v33 offset:10920
	s_movk_i32 s14, 0x2800
	s_waitcnt lgkmcnt(0)
	v_mul_f32_e32 v35, v34, v30
	v_mul_f32_e32 v36, v33, v30
	v_fma_f32 v33, v33, v29, -v35
	v_fmac_f32_e32 v36, v34, v29
	v_mul_f32_e32 v29, v36, v32
	v_mul_f32_e32 v30, v33, v32
	v_fma_f32 v29, v33, v31, -v29
	v_fmac_f32_e32 v30, v36, v31
	v_add_u32_e64 v31, s14, 0
	ds_write2_b64 v31, v[29:30], v[29:30] offset0:21 offset1:84
.LBB156_430:
	s_or_b64 exec, exec, s[0:1]
	v_mov_b32_e32 v29, 0
	v_mov_b32_e32 v30, 0
	s_waitcnt lgkmcnt(0)
	s_barrier
	s_and_saveexec_b64 s[0:1], s[2:3]
	s_cbranch_execz .LBB156_434
; %bb.431:
	v_mul_u32_u24_e32 v31, 0x208, v13
	ds_read_b64 v[29:30], v11 offset:10416
	ds_read_b64 v[31:32], v31 offset:10400
	v_cmp_gt_u32_e64 s[14:15], 2, v1
	s_waitcnt lgkmcnt(0)
	v_mul_f32_e32 v33, v32, v30
	v_mul_f32_e32 v30, v31, v30
	v_fma_f32 v31, v31, v29, -v33
	v_fmac_f32_e32 v30, v32, v29
	v_add_f32_e32 v29, 0, v31
	v_add_f32_e32 v31, 0, v30
	s_and_saveexec_b64 s[16:17], s[14:15]
	s_cbranch_execz .LBB156_433
; %bb.432:
	v_lshlrev_b32_e32 v30, 3, v0
	v_mov_b32_e32 v34, 0
	ds_read_b64 v[32:33], v30 offset:10928
	ds_read_b64 v[34:35], v34 offset:10408
	s_waitcnt lgkmcnt(0)
	v_mul_f32_e32 v30, v35, v33
	v_mul_f32_e32 v33, v34, v33
	v_fma_f32 v30, v34, v32, -v30
	v_fmac_f32_e32 v33, v35, v32
	v_add_f32_e32 v29, v29, v30
	v_add_f32_e32 v31, v31, v33
.LBB156_433:
	s_or_b64 exec, exec, s[16:17]
	v_xor_b32_e32 v30, 0x80000000, v29
	v_xor_b32_e32 v29, 0x80000000, v31
.LBB156_434:
	s_or_b64 exec, exec, s[0:1]
	s_and_saveexec_b64 s[0:1], s[42:43]
	s_cbranch_execz .LBB156_436
; %bb.435:
	v_mov_b32_e32 v31, 0
	ds_read_b64 v[31:32], v31 offset:11440
	s_waitcnt lgkmcnt(0)
	v_mul_f32_e32 v34, v29, v32
	v_mul_f32_e32 v33, v30, v32
	v_fma_f32 v32, v30, v31, -v34
	v_fmac_f32_e32 v33, v29, v31
	v_mov_b32_e32 v30, v32
	v_mov_b32_e32 v29, v33
	ds_write_b64 v12, v[32:33]
.LBB156_436:
	s_or_b64 exec, exec, s[0:1]
	s_waitcnt lgkmcnt(0)
	s_barrier
	s_and_saveexec_b64 s[0:1], s[40:41]
	s_cbranch_execz .LBB156_438
; %bb.437:
	v_mov_b32_e32 v31, 0
	ds_read_b64 v[31:32], v31 offset:11448
	ds_read_b64 v[33:34], v12
	s_waitcnt lgkmcnt(0)
	v_mul_f32_e32 v35, v34, v32
	v_mul_f32_e32 v32, v33, v32
	v_fma_f32 v33, v33, v31, -v35
	v_fmac_f32_e32 v32, v34, v31
	v_add_f32_e32 v30, v30, v33
	v_add_f32_e32 v29, v29, v32
.LBB156_438:
	s_or_b64 exec, exec, s[0:1]
	s_barrier
	s_and_saveexec_b64 s[0:1], s[40:41]
	s_cbranch_execz .LBB156_440
; %bb.439:
	v_mov_b32_e32 v31, 0
	ds_read_b64 v[31:32], v31 offset:11960
	s_waitcnt lgkmcnt(0)
	v_mul_f32_e32 v34, v29, v32
	v_mul_f32_e32 v33, v30, v32
	v_fma_f32 v32, v30, v31, -v34
	v_fmac_f32_e32 v33, v29, v31
	v_mov_b32_e32 v30, v32
	v_mov_b32_e32 v29, v33
	ds_write_b64 v12, v[32:33]
.LBB156_440:
	s_or_b64 exec, exec, s[0:1]
	s_waitcnt lgkmcnt(0)
	s_barrier
	s_barrier
	s_and_saveexec_b64 s[0:1], s[2:3]
; %bb.441:
	v_xor_b32_e32 v31, 0x80000000, v29
	v_xor_b32_e32 v30, 0x80000000, v30
	ds_write_b64 v11, v[30:31] offset:10416
; %bb.442:
	s_or_b64 exec, exec, s[0:1]
	s_waitcnt lgkmcnt(0)
	s_barrier
	s_barrier
	s_and_saveexec_b64 s[0:1], s[44:45]
	s_cbranch_execz .LBB156_444
; %bb.443:
	v_lshlrev_b32_e32 v31, 3, v0
	s_movk_i32 s14, 0x1f8
	v_mad_u32_u24 v32, v0, s14, v31
	ds_read_b64 v[29:30], v32 offset:10416
	s_waitcnt lgkmcnt(0)
	ds_write_b64 v31, v[29:30] offset:11424
	ds_read_b64 v[29:30], v32 offset:10424
	s_waitcnt lgkmcnt(0)
	ds_write_b64 v31, v[29:30] offset:11936
.LBB156_444:
	s_or_b64 exec, exec, s[0:1]
	s_waitcnt lgkmcnt(0)
	s_barrier
	s_and_saveexec_b64 s[0:1], vcc
	s_cbranch_execz .LBB156_446
; %bb.445:
	v_mov_b32_e32 v33, 0
	ds_read_b128 v[29:32], v33 offset:11440
	ds_read_b64 v[33:34], v33 offset:11960
	s_movk_i32 s14, 0x2800
	s_waitcnt lgkmcnt(0)
	v_mul_f32_e32 v35, v34, v30
	v_mul_f32_e32 v36, v33, v30
	v_fma_f32 v33, v33, v29, -v35
	v_fmac_f32_e32 v36, v34, v29
	v_mul_f32_e32 v29, v36, v32
	v_mul_f32_e32 v30, v33, v32
	v_fma_f32 v29, v33, v31, -v29
	v_fmac_f32_e32 v30, v36, v31
	v_add_u32_e64 v31, s14, 0
	ds_write2_b64 v31, v[29:30], v[29:30] offset0:151 offset1:214
.LBB156_446:
	s_or_b64 exec, exec, s[0:1]
	v_mov_b32_e32 v29, 0
	v_mov_b32_e32 v30, 0
	s_waitcnt lgkmcnt(0)
	s_barrier
	s_and_saveexec_b64 s[0:1], s[8:9]
	s_cbranch_execz .LBB156_456
; %bb.447:
	v_mul_u32_u24_e32 v30, 0x208, v23
	ds_read_b64 v[31:32], v19 offset:8384
	ds_read_b64 v[33:34], v30 offset:8320
	v_cmp_gt_u32_e64 s[14:15], 56, v1
	s_waitcnt lgkmcnt(0)
	v_mul_f32_e32 v29, v34, v32
	v_mul_f32_e32 v32, v33, v32
	v_fma_f32 v29, v33, v31, -v29
	v_fmac_f32_e32 v32, v34, v31
	v_add_f32_e32 v29, 0, v29
	v_add_f32_e32 v31, 0, v32
	s_and_saveexec_b64 s[16:17], s[14:15]
	s_cbranch_execnz .LBB156_1140
; %bb.448:
	s_or_b64 exec, exec, s[16:17]
	v_cmp_gt_u32_e64 s[14:15], 48, v1
	s_and_saveexec_b64 s[16:17], s[14:15]
	s_cbranch_execnz .LBB156_1141
.LBB156_449:
	s_or_b64 exec, exec, s[16:17]
	v_cmp_gt_u32_e64 s[14:15], 40, v1
	s_and_saveexec_b64 s[16:17], s[14:15]
	s_cbranch_execnz .LBB156_1142
.LBB156_450:
	s_or_b64 exec, exec, s[16:17]
	v_cmp_gt_u32_e64 s[14:15], 32, v1
	s_and_saveexec_b64 s[16:17], s[14:15]
	s_cbranch_execnz .LBB156_1143
.LBB156_451:
	s_or_b64 exec, exec, s[16:17]
	v_cmp_gt_u32_e64 s[14:15], 24, v1
	s_and_saveexec_b64 s[16:17], s[14:15]
	s_cbranch_execnz .LBB156_1144
.LBB156_452:
	s_or_b64 exec, exec, s[16:17]
	v_cmp_gt_u32_e64 s[14:15], 16, v1
	s_and_saveexec_b64 s[16:17], s[14:15]
	s_cbranch_execnz .LBB156_1145
.LBB156_453:
	s_or_b64 exec, exec, s[16:17]
	v_cmp_gt_u32_e64 s[14:15], 8, v1
	s_and_saveexec_b64 s[16:17], s[14:15]
	s_cbranch_execz .LBB156_455
.LBB156_454:
	v_lshlrev_b32_e32 v30, 3, v0
	v_mov_b32_e32 v34, 0
	ds_read_b64 v[32:33], v30 offset:11968
	ds_read_b64 v[34:35], v34 offset:8376
	s_waitcnt lgkmcnt(0)
	v_mul_f32_e32 v30, v35, v33
	v_mul_f32_e32 v33, v34, v33
	v_fma_f32 v30, v34, v32, -v30
	v_fmac_f32_e32 v33, v35, v32
	v_add_f32_e32 v29, v29, v30
	v_add_f32_e32 v31, v31, v33
.LBB156_455:
	s_or_b64 exec, exec, s[16:17]
	v_xor_b32_e32 v30, 0x80000000, v29
	v_xor_b32_e32 v29, 0x80000000, v31
.LBB156_456:
	s_or_b64 exec, exec, s[0:1]
	s_and_saveexec_b64 s[0:1], s[62:63]
	s_cbranch_execz .LBB156_458
; %bb.457:
	v_mov_b32_e32 v31, 0
	ds_read_b64 v[31:32], v31 offset:12480
	s_waitcnt lgkmcnt(0)
	v_mul_f32_e32 v34, v29, v32
	v_mul_f32_e32 v33, v30, v32
	v_fma_f32 v32, v30, v31, -v34
	v_fmac_f32_e32 v33, v29, v31
	v_mov_b32_e32 v30, v32
	v_mov_b32_e32 v29, v33
	ds_write_b64 v21, v[32:33]
.LBB156_458:
	s_or_b64 exec, exec, s[0:1]
	s_waitcnt lgkmcnt(0)
	s_barrier
	s_and_saveexec_b64 s[0:1], s[64:65]
	s_cbranch_execz .LBB156_460
; %bb.459:
	ds_read_b64 v[31:32], v20 offset:12480
	ds_read_b64 v[33:34], v21
	s_waitcnt lgkmcnt(0)
	v_mul_f32_e32 v35, v34, v32
	v_mul_f32_e32 v32, v33, v32
	v_fma_f32 v33, v33, v31, -v35
	v_fmac_f32_e32 v32, v34, v31
	v_add_f32_e32 v30, v30, v33
	v_add_f32_e32 v29, v29, v32
.LBB156_460:
	s_or_b64 exec, exec, s[0:1]
	s_barrier
	s_and_saveexec_b64 s[0:1], s[66:67]
	s_cbranch_execz .LBB156_462
; %bb.461:
	v_mov_b32_e32 v31, 0
	ds_read_b64 v[31:32], v31 offset:13000
	s_waitcnt lgkmcnt(0)
	v_mul_f32_e32 v34, v29, v32
	v_mul_f32_e32 v33, v30, v32
	v_fma_f32 v32, v30, v31, -v34
	v_fmac_f32_e32 v33, v29, v31
	v_mov_b32_e32 v30, v32
	v_mov_b32_e32 v29, v33
	ds_write_b64 v21, v[32:33]
.LBB156_462:
	s_or_b64 exec, exec, s[0:1]
	s_waitcnt lgkmcnt(0)
	s_barrier
	s_and_saveexec_b64 s[0:1], s[68:69]
	s_cbranch_execz .LBB156_464
; %bb.463:
	ds_read_b64 v[31:32], v20 offset:12992
	ds_read_b64 v[33:34], v21
	s_waitcnt lgkmcnt(0)
	v_mul_f32_e32 v35, v34, v32
	v_mul_f32_e32 v32, v33, v32
	v_fma_f32 v33, v33, v31, -v35
	v_fmac_f32_e32 v32, v34, v31
	v_add_f32_e32 v30, v30, v33
	v_add_f32_e32 v29, v29, v32
.LBB156_464:
	s_or_b64 exec, exec, s[0:1]
	s_barrier
	;; [unrolled: 32-line block ×6, first 2 shown]
	s_and_saveexec_b64 s[0:1], s[86:87]
	s_cbranch_execz .LBB156_482
; %bb.481:
	v_mov_b32_e32 v31, 0
	ds_read_b64 v[31:32], v31 offset:15600
	s_waitcnt lgkmcnt(0)
	v_mul_f32_e32 v34, v29, v32
	v_mul_f32_e32 v33, v30, v32
	v_fma_f32 v32, v30, v31, -v34
	v_fmac_f32_e32 v33, v29, v31
	v_mov_b32_e32 v30, v32
	v_mov_b32_e32 v29, v33
	ds_write_b64 v21, v[32:33]
.LBB156_482:
	s_or_b64 exec, exec, s[0:1]
	s_waitcnt lgkmcnt(0)
	s_barrier
	s_and_saveexec_b64 s[0:1], s[60:61]
	s_cbranch_execz .LBB156_484
; %bb.483:
	v_mov_b32_e32 v31, 0
	ds_read_b64 v[31:32], v31 offset:15608
	ds_read_b64 v[33:34], v21
	s_waitcnt lgkmcnt(0)
	v_mul_f32_e32 v35, v34, v32
	v_mul_f32_e32 v32, v33, v32
	v_fma_f32 v33, v33, v31, -v35
	v_fmac_f32_e32 v32, v34, v31
	v_add_f32_e32 v30, v30, v33
	v_add_f32_e32 v29, v29, v32
.LBB156_484:
	s_or_b64 exec, exec, s[0:1]
	s_barrier
	s_and_saveexec_b64 s[0:1], s[60:61]
	s_cbranch_execz .LBB156_486
; %bb.485:
	v_mov_b32_e32 v31, 0
	ds_read_b64 v[31:32], v31 offset:16120
	s_waitcnt lgkmcnt(0)
	v_mul_f32_e32 v34, v29, v32
	v_mul_f32_e32 v33, v30, v32
	v_fma_f32 v32, v30, v31, -v34
	v_fmac_f32_e32 v33, v29, v31
	v_mov_b32_e32 v30, v32
	v_mov_b32_e32 v29, v33
	ds_write_b64 v21, v[32:33]
.LBB156_486:
	s_or_b64 exec, exec, s[0:1]
	s_waitcnt lgkmcnt(0)
	s_barrier
	s_barrier
	s_and_saveexec_b64 s[0:1], s[8:9]
; %bb.487:
	v_xor_b32_e32 v31, 0x80000000, v29
	v_xor_b32_e32 v30, 0x80000000, v30
	ds_write_b64 v19, v[30:31] offset:8384
; %bb.488:
	s_or_b64 exec, exec, s[0:1]
	s_waitcnt lgkmcnt(0)
	s_barrier
	s_barrier
	s_and_saveexec_b64 s[0:1], s[88:89]
	s_cbranch_execz .LBB156_490
; %bb.489:
	v_lshlrev_b32_e32 v31, 9, v0
	ds_read_b64 v[29:30], v31 offset:8384
	s_movk_i32 s14, 0xfe08
	v_mad_i32_i24 v32, v0, s14, v31
	s_waitcnt lgkmcnt(0)
	ds_write_b64 v32, v[29:30] offset:12416
	ds_read_b64 v[29:30], v31 offset:8392
	s_waitcnt lgkmcnt(0)
	ds_write_b64 v32, v[29:30] offset:12928
	ds_read_b64 v[29:30], v31 offset:8400
	;; [unrolled: 3-line block ×7, first 2 shown]
	s_waitcnt lgkmcnt(0)
	ds_write_b64 v32, v[29:30] offset:16000
.LBB156_490:
	s_or_b64 exec, exec, s[0:1]
	s_waitcnt lgkmcnt(0)
	s_barrier
	s_and_saveexec_b64 s[0:1], vcc
	s_cbranch_execz .LBB156_492
; %bb.491:
	v_mov_b32_e32 v33, 0
	ds_read_b128 v[29:32], v33 offset:12480
	ds_read_b64 v[33:34], v33 offset:13000
	s_movk_i32 s14, 0x3000
	s_waitcnt lgkmcnt(0)
	v_mul_f32_e32 v35, v34, v30
	v_mul_f32_e32 v36, v33, v30
	v_fma_f32 v33, v33, v29, -v35
	v_fmac_f32_e32 v36, v34, v29
	v_mul_f32_e32 v29, v36, v32
	v_mul_f32_e32 v30, v33, v32
	v_fma_f32 v29, v33, v31, -v29
	v_fmac_f32_e32 v30, v36, v31
	v_add_u32_e64 v31, s14, 0
	ds_write2_b64 v31, v[29:30], v[29:30] offset0:25 offset1:88
.LBB156_492:
	s_or_b64 exec, exec, s[0:1]
	v_mov_b32_e32 v29, 0
	v_mov_b32_e32 v30, 0
	s_waitcnt lgkmcnt(0)
	s_barrier
	s_and_saveexec_b64 s[0:1], s[2:3]
	s_cbranch_execz .LBB156_496
; %bb.493:
	v_mul_u32_u24_e32 v31, 0x208, v13
	ds_read_b64 v[29:30], v11 offset:12496
	ds_read_b64 v[31:32], v31 offset:12480
	v_cmp_gt_u32_e64 s[14:15], 2, v1
	s_waitcnt lgkmcnt(0)
	v_mul_f32_e32 v33, v32, v30
	v_mul_f32_e32 v30, v31, v30
	v_fma_f32 v31, v31, v29, -v33
	v_fmac_f32_e32 v30, v32, v29
	v_add_f32_e32 v29, 0, v31
	v_add_f32_e32 v31, 0, v30
	s_and_saveexec_b64 s[16:17], s[14:15]
	s_cbranch_execz .LBB156_495
; %bb.494:
	v_lshlrev_b32_e32 v30, 3, v0
	v_mov_b32_e32 v34, 0
	ds_read_b64 v[32:33], v30 offset:13008
	ds_read_b64 v[34:35], v34 offset:12488
	s_waitcnt lgkmcnt(0)
	v_mul_f32_e32 v30, v35, v33
	v_mul_f32_e32 v33, v34, v33
	v_fma_f32 v30, v34, v32, -v30
	v_fmac_f32_e32 v33, v35, v32
	v_add_f32_e32 v29, v29, v30
	v_add_f32_e32 v31, v31, v33
.LBB156_495:
	s_or_b64 exec, exec, s[16:17]
	v_xor_b32_e32 v30, 0x80000000, v29
	v_xor_b32_e32 v29, 0x80000000, v31
.LBB156_496:
	s_or_b64 exec, exec, s[0:1]
	s_and_saveexec_b64 s[0:1], s[42:43]
	s_cbranch_execz .LBB156_498
; %bb.497:
	v_mov_b32_e32 v31, 0
	ds_read_b64 v[31:32], v31 offset:13520
	s_waitcnt lgkmcnt(0)
	v_mul_f32_e32 v34, v29, v32
	v_mul_f32_e32 v33, v30, v32
	v_fma_f32 v32, v30, v31, -v34
	v_fmac_f32_e32 v33, v29, v31
	v_mov_b32_e32 v30, v32
	v_mov_b32_e32 v29, v33
	ds_write_b64 v12, v[32:33]
.LBB156_498:
	s_or_b64 exec, exec, s[0:1]
	s_waitcnt lgkmcnt(0)
	s_barrier
	s_and_saveexec_b64 s[0:1], s[40:41]
	s_cbranch_execz .LBB156_500
; %bb.499:
	v_mov_b32_e32 v31, 0
	ds_read_b64 v[31:32], v31 offset:13528
	ds_read_b64 v[33:34], v12
	s_waitcnt lgkmcnt(0)
	v_mul_f32_e32 v35, v34, v32
	v_mul_f32_e32 v32, v33, v32
	v_fma_f32 v33, v33, v31, -v35
	v_fmac_f32_e32 v32, v34, v31
	v_add_f32_e32 v30, v30, v33
	v_add_f32_e32 v29, v29, v32
.LBB156_500:
	s_or_b64 exec, exec, s[0:1]
	s_barrier
	s_and_saveexec_b64 s[0:1], s[40:41]
	s_cbranch_execz .LBB156_502
; %bb.501:
	v_mov_b32_e32 v31, 0
	ds_read_b64 v[31:32], v31 offset:14040
	s_waitcnt lgkmcnt(0)
	v_mul_f32_e32 v34, v29, v32
	v_mul_f32_e32 v33, v30, v32
	v_fma_f32 v32, v30, v31, -v34
	v_fmac_f32_e32 v33, v29, v31
	v_mov_b32_e32 v30, v32
	v_mov_b32_e32 v29, v33
	ds_write_b64 v12, v[32:33]
.LBB156_502:
	s_or_b64 exec, exec, s[0:1]
	s_waitcnt lgkmcnt(0)
	s_barrier
	s_barrier
	s_and_saveexec_b64 s[0:1], s[2:3]
; %bb.503:
	v_xor_b32_e32 v31, 0x80000000, v29
	v_xor_b32_e32 v30, 0x80000000, v30
	ds_write_b64 v11, v[30:31] offset:12496
; %bb.504:
	s_or_b64 exec, exec, s[0:1]
	s_waitcnt lgkmcnt(0)
	s_barrier
	s_barrier
	s_and_saveexec_b64 s[0:1], s[44:45]
	s_cbranch_execz .LBB156_506
; %bb.505:
	v_lshlrev_b32_e32 v31, 3, v0
	s_movk_i32 s14, 0x1f8
	v_mad_u32_u24 v32, v0, s14, v31
	ds_read_b64 v[29:30], v32 offset:12496
	s_waitcnt lgkmcnt(0)
	ds_write_b64 v31, v[29:30] offset:13504
	ds_read_b64 v[29:30], v32 offset:12504
	s_waitcnt lgkmcnt(0)
	ds_write_b64 v31, v[29:30] offset:14016
.LBB156_506:
	s_or_b64 exec, exec, s[0:1]
	s_waitcnt lgkmcnt(0)
	s_barrier
	s_and_saveexec_b64 s[0:1], vcc
	s_cbranch_execz .LBB156_508
; %bb.507:
	v_mov_b32_e32 v33, 0
	ds_read_b128 v[29:32], v33 offset:13520
	ds_read_b64 v[33:34], v33 offset:14040
	s_movk_i32 s14, 0x3000
	s_waitcnt lgkmcnt(0)
	v_mul_f32_e32 v35, v34, v30
	v_mul_f32_e32 v36, v33, v30
	v_fma_f32 v33, v33, v29, -v35
	v_fmac_f32_e32 v36, v34, v29
	v_mul_f32_e32 v29, v36, v32
	v_mul_f32_e32 v30, v33, v32
	v_fma_f32 v29, v33, v31, -v29
	v_fmac_f32_e32 v30, v36, v31
	v_add_u32_e64 v31, s14, 0
	ds_write2_b64 v31, v[29:30], v[29:30] offset0:155 offset1:218
.LBB156_508:
	s_or_b64 exec, exec, s[0:1]
	v_mov_b32_e32 v29, 0
	v_mov_b32_e32 v30, 0
	s_waitcnt lgkmcnt(0)
	s_barrier
	s_and_saveexec_b64 s[0:1], s[18:19]
	s_cbranch_execz .LBB156_514
; %bb.509:
	v_mul_u32_u24_e32 v30, 0x208, v18
	ds_read_b64 v[31:32], v14 offset:12512
	ds_read_b64 v[33:34], v30 offset:12480
	v_cmp_gt_u32_e64 s[14:15], 12, v1
	s_waitcnt lgkmcnt(0)
	v_mul_f32_e32 v29, v34, v32
	v_mul_f32_e32 v32, v33, v32
	v_fma_f32 v29, v33, v31, -v29
	v_fmac_f32_e32 v32, v34, v31
	v_add_f32_e32 v29, 0, v29
	v_add_f32_e32 v31, 0, v32
	s_and_saveexec_b64 s[16:17], s[14:15]
	s_cbranch_execnz .LBB156_1146
; %bb.510:
	s_or_b64 exec, exec, s[16:17]
	v_cmp_gt_u32_e64 s[14:15], 8, v1
	s_and_saveexec_b64 s[16:17], s[14:15]
	s_cbranch_execnz .LBB156_1147
.LBB156_511:
	s_or_b64 exec, exec, s[16:17]
	v_cmp_gt_u32_e64 s[14:15], 4, v1
	s_and_saveexec_b64 s[16:17], s[14:15]
	s_cbranch_execz .LBB156_513
.LBB156_512:
	v_lshlrev_b32_e32 v30, 3, v0
	v_mov_b32_e32 v34, 0
	ds_read_b64 v[32:33], v30 offset:14048
	ds_read_b64 v[34:35], v34 offset:12504
	s_waitcnt lgkmcnt(0)
	v_mul_f32_e32 v30, v35, v33
	v_mul_f32_e32 v33, v34, v33
	v_fma_f32 v30, v34, v32, -v30
	v_fmac_f32_e32 v33, v35, v32
	v_add_f32_e32 v29, v29, v30
	v_add_f32_e32 v31, v31, v33
.LBB156_513:
	s_or_b64 exec, exec, s[16:17]
	v_xor_b32_e32 v30, 0x80000000, v29
	v_xor_b32_e32 v29, 0x80000000, v31
.LBB156_514:
	s_or_b64 exec, exec, s[0:1]
	s_and_saveexec_b64 s[0:1], s[48:49]
	s_cbranch_execz .LBB156_516
; %bb.515:
	v_mov_b32_e32 v31, 0
	ds_read_b64 v[31:32], v31 offset:14560
	s_waitcnt lgkmcnt(0)
	v_mul_f32_e32 v34, v29, v32
	v_mul_f32_e32 v33, v30, v32
	v_fma_f32 v32, v30, v31, -v34
	v_fmac_f32_e32 v33, v29, v31
	v_mov_b32_e32 v30, v32
	v_mov_b32_e32 v29, v33
	ds_write_b64 v16, v[32:33]
.LBB156_516:
	s_or_b64 exec, exec, s[0:1]
	s_waitcnt lgkmcnt(0)
	s_barrier
	s_and_saveexec_b64 s[0:1], s[50:51]
	s_cbranch_execz .LBB156_518
; %bb.517:
	ds_read_b64 v[31:32], v15 offset:14560
	ds_read_b64 v[33:34], v16
	s_waitcnt lgkmcnt(0)
	v_mul_f32_e32 v35, v34, v32
	v_mul_f32_e32 v32, v33, v32
	v_fma_f32 v33, v33, v31, -v35
	v_fmac_f32_e32 v32, v34, v31
	v_add_f32_e32 v30, v30, v33
	v_add_f32_e32 v29, v29, v32
.LBB156_518:
	s_or_b64 exec, exec, s[0:1]
	s_barrier
	s_and_saveexec_b64 s[0:1], s[52:53]
	s_cbranch_execz .LBB156_520
; %bb.519:
	v_mov_b32_e32 v31, 0
	ds_read_b64 v[31:32], v31 offset:15080
	s_waitcnt lgkmcnt(0)
	v_mul_f32_e32 v34, v29, v32
	v_mul_f32_e32 v33, v30, v32
	v_fma_f32 v32, v30, v31, -v34
	v_fmac_f32_e32 v33, v29, v31
	v_mov_b32_e32 v30, v32
	v_mov_b32_e32 v29, v33
	ds_write_b64 v16, v[32:33]
.LBB156_520:
	s_or_b64 exec, exec, s[0:1]
	s_waitcnt lgkmcnt(0)
	s_barrier
	s_and_saveexec_b64 s[0:1], s[54:55]
	s_cbranch_execz .LBB156_522
; %bb.521:
	ds_read_b64 v[31:32], v15 offset:15072
	ds_read_b64 v[33:34], v16
	s_waitcnt lgkmcnt(0)
	v_mul_f32_e32 v35, v34, v32
	v_mul_f32_e32 v32, v33, v32
	v_fma_f32 v33, v33, v31, -v35
	v_fmac_f32_e32 v32, v34, v31
	v_add_f32_e32 v30, v30, v33
	v_add_f32_e32 v29, v29, v32
.LBB156_522:
	s_or_b64 exec, exec, s[0:1]
	s_barrier
	s_and_saveexec_b64 s[0:1], s[56:57]
	s_cbranch_execz .LBB156_524
; %bb.523:
	v_mov_b32_e32 v31, 0
	ds_read_b64 v[31:32], v31 offset:15600
	s_waitcnt lgkmcnt(0)
	v_mul_f32_e32 v34, v29, v32
	v_mul_f32_e32 v33, v30, v32
	v_fma_f32 v32, v30, v31, -v34
	v_fmac_f32_e32 v33, v29, v31
	v_mov_b32_e32 v30, v32
	v_mov_b32_e32 v29, v33
	ds_write_b64 v16, v[32:33]
.LBB156_524:
	s_or_b64 exec, exec, s[0:1]
	s_waitcnt lgkmcnt(0)
	s_barrier
	s_and_saveexec_b64 s[0:1], s[46:47]
	s_cbranch_execz .LBB156_526
; %bb.525:
	v_mov_b32_e32 v31, 0
	ds_read_b64 v[31:32], v31 offset:15608
	ds_read_b64 v[33:34], v16
	s_waitcnt lgkmcnt(0)
	v_mul_f32_e32 v35, v34, v32
	v_mul_f32_e32 v32, v33, v32
	v_fma_f32 v33, v33, v31, -v35
	v_fmac_f32_e32 v32, v34, v31
	v_add_f32_e32 v30, v30, v33
	v_add_f32_e32 v29, v29, v32
.LBB156_526:
	s_or_b64 exec, exec, s[0:1]
	s_barrier
	s_and_saveexec_b64 s[0:1], s[46:47]
	s_cbranch_execz .LBB156_528
; %bb.527:
	v_mov_b32_e32 v31, 0
	ds_read_b64 v[31:32], v31 offset:16120
	s_waitcnt lgkmcnt(0)
	v_mul_f32_e32 v34, v29, v32
	v_mul_f32_e32 v33, v30, v32
	v_fma_f32 v32, v30, v31, -v34
	v_fmac_f32_e32 v33, v29, v31
	v_mov_b32_e32 v30, v32
	v_mov_b32_e32 v29, v33
	ds_write_b64 v16, v[32:33]
.LBB156_528:
	s_or_b64 exec, exec, s[0:1]
	s_waitcnt lgkmcnt(0)
	s_barrier
	s_barrier
	s_and_saveexec_b64 s[0:1], s[18:19]
; %bb.529:
	v_xor_b32_e32 v30, 0x80000000, v30
	v_xor_b32_e32 v31, 0x80000000, v29
	ds_write_b64 v14, v[30:31] offset:12512
; %bb.530:
	s_or_b64 exec, exec, s[0:1]
	s_waitcnt lgkmcnt(0)
	s_barrier
	s_barrier
	s_and_saveexec_b64 s[0:1], s[58:59]
	s_cbranch_execz .LBB156_532
; %bb.531:
	v_lshlrev_b32_e32 v31, 9, v0
	ds_read_b64 v[29:30], v31 offset:12512
	s_movk_i32 s14, 0xfe08
	v_mad_i32_i24 v32, v0, s14, v31
	s_waitcnt lgkmcnt(0)
	ds_write_b64 v32, v[29:30] offset:14528
	ds_read_b64 v[29:30], v31 offset:12520
	s_waitcnt lgkmcnt(0)
	ds_write_b64 v32, v[29:30] offset:15040
	ds_read_b64 v[29:30], v31 offset:12528
	;; [unrolled: 3-line block ×3, first 2 shown]
	s_waitcnt lgkmcnt(0)
	ds_write_b64 v32, v[29:30] offset:16064
.LBB156_532:
	s_or_b64 exec, exec, s[0:1]
	s_waitcnt lgkmcnt(0)
	s_barrier
	s_and_saveexec_b64 s[0:1], vcc
	s_cbranch_execz .LBB156_534
; %bb.533:
	v_mov_b32_e32 v33, 0
	ds_read_b128 v[29:32], v33 offset:14560
	ds_read_b64 v[33:34], v33 offset:15080
	s_movk_i32 s14, 0x3800
	s_waitcnt lgkmcnt(0)
	v_mul_f32_e32 v35, v34, v30
	v_mul_f32_e32 v36, v33, v30
	v_fma_f32 v33, v33, v29, -v35
	v_fmac_f32_e32 v36, v34, v29
	v_mul_f32_e32 v29, v36, v32
	v_mul_f32_e32 v30, v33, v32
	v_fma_f32 v29, v33, v31, -v29
	v_fmac_f32_e32 v30, v36, v31
	v_add_u32_e64 v31, s14, 0
	ds_write2_b64 v31, v[29:30], v[29:30] offset0:29 offset1:92
.LBB156_534:
	s_or_b64 exec, exec, s[0:1]
	v_mov_b32_e32 v29, 0
	v_mov_b32_e32 v30, 0
	s_waitcnt lgkmcnt(0)
	s_barrier
	s_and_saveexec_b64 s[0:1], s[2:3]
	s_cbranch_execz .LBB156_538
; %bb.535:
	v_mul_u32_u24_e32 v31, 0x208, v13
	ds_read_b64 v[29:30], v11 offset:14576
	ds_read_b64 v[31:32], v31 offset:14560
	v_cmp_gt_u32_e64 s[14:15], 2, v1
	s_waitcnt lgkmcnt(0)
	v_mul_f32_e32 v33, v32, v30
	v_mul_f32_e32 v30, v31, v30
	v_fma_f32 v31, v31, v29, -v33
	v_fmac_f32_e32 v30, v32, v29
	v_add_f32_e32 v29, 0, v31
	v_add_f32_e32 v31, 0, v30
	s_and_saveexec_b64 s[16:17], s[14:15]
	s_cbranch_execz .LBB156_537
; %bb.536:
	v_lshlrev_b32_e32 v30, 3, v0
	v_mov_b32_e32 v34, 0
	ds_read_b64 v[32:33], v30 offset:15088
	ds_read_b64 v[34:35], v34 offset:14568
	s_waitcnt lgkmcnt(0)
	v_mul_f32_e32 v30, v35, v33
	v_mul_f32_e32 v33, v34, v33
	v_fma_f32 v30, v34, v32, -v30
	v_fmac_f32_e32 v33, v35, v32
	v_add_f32_e32 v29, v29, v30
	v_add_f32_e32 v31, v31, v33
.LBB156_537:
	s_or_b64 exec, exec, s[16:17]
	v_xor_b32_e32 v30, 0x80000000, v29
	v_xor_b32_e32 v29, 0x80000000, v31
.LBB156_538:
	s_or_b64 exec, exec, s[0:1]
	s_and_saveexec_b64 s[0:1], s[42:43]
	s_cbranch_execz .LBB156_540
; %bb.539:
	v_mov_b32_e32 v31, 0
	ds_read_b64 v[31:32], v31 offset:15600
	s_waitcnt lgkmcnt(0)
	v_mul_f32_e32 v34, v29, v32
	v_mul_f32_e32 v33, v30, v32
	v_fma_f32 v32, v30, v31, -v34
	v_fmac_f32_e32 v33, v29, v31
	v_mov_b32_e32 v30, v32
	v_mov_b32_e32 v29, v33
	ds_write_b64 v12, v[32:33]
.LBB156_540:
	s_or_b64 exec, exec, s[0:1]
	s_waitcnt lgkmcnt(0)
	s_barrier
	s_and_saveexec_b64 s[0:1], s[40:41]
	s_cbranch_execz .LBB156_542
; %bb.541:
	v_mov_b32_e32 v31, 0
	ds_read_b64 v[31:32], v31 offset:15608
	ds_read_b64 v[33:34], v12
	s_waitcnt lgkmcnt(0)
	v_mul_f32_e32 v35, v34, v32
	v_mul_f32_e32 v32, v33, v32
	v_fma_f32 v33, v33, v31, -v35
	v_fmac_f32_e32 v32, v34, v31
	v_add_f32_e32 v30, v30, v33
	v_add_f32_e32 v29, v29, v32
.LBB156_542:
	s_or_b64 exec, exec, s[0:1]
	s_barrier
	s_and_saveexec_b64 s[0:1], s[40:41]
	s_cbranch_execz .LBB156_544
; %bb.543:
	v_mov_b32_e32 v31, 0
	ds_read_b64 v[31:32], v31 offset:16120
	s_waitcnt lgkmcnt(0)
	v_mul_f32_e32 v34, v29, v32
	v_mul_f32_e32 v33, v30, v32
	v_fma_f32 v32, v30, v31, -v34
	v_fmac_f32_e32 v33, v29, v31
	v_mov_b32_e32 v30, v32
	v_mov_b32_e32 v29, v33
	ds_write_b64 v12, v[32:33]
.LBB156_544:
	s_or_b64 exec, exec, s[0:1]
	s_waitcnt lgkmcnt(0)
	s_barrier
	s_barrier
	s_and_saveexec_b64 s[0:1], s[2:3]
; %bb.545:
	v_xor_b32_e32 v31, 0x80000000, v29
	v_xor_b32_e32 v30, 0x80000000, v30
	ds_write_b64 v11, v[30:31] offset:14576
; %bb.546:
	s_or_b64 exec, exec, s[0:1]
	s_waitcnt lgkmcnt(0)
	s_barrier
	s_barrier
	s_and_saveexec_b64 s[0:1], s[44:45]
	s_cbranch_execz .LBB156_548
; %bb.547:
	v_lshlrev_b32_e32 v31, 3, v0
	s_movk_i32 s14, 0x1f8
	v_mad_u32_u24 v32, v0, s14, v31
	ds_read_b64 v[29:30], v32 offset:14576
	s_waitcnt lgkmcnt(0)
	ds_write_b64 v31, v[29:30] offset:15584
	ds_read_b64 v[29:30], v32 offset:14584
	s_waitcnt lgkmcnt(0)
	ds_write_b64 v31, v[29:30] offset:16096
.LBB156_548:
	s_or_b64 exec, exec, s[0:1]
	s_waitcnt lgkmcnt(0)
	s_barrier
	s_and_saveexec_b64 s[0:1], vcc
	s_cbranch_execz .LBB156_550
; %bb.549:
	v_mov_b32_e32 v33, 0
	ds_read_b128 v[29:32], v33 offset:15600
	ds_read_b64 v[33:34], v33 offset:16120
	s_movk_i32 s14, 0x3800
	s_waitcnt lgkmcnt(0)
	v_mul_f32_e32 v35, v34, v30
	v_mul_f32_e32 v36, v33, v30
	v_fma_f32 v33, v33, v29, -v35
	v_fmac_f32_e32 v36, v34, v29
	v_mul_f32_e32 v29, v36, v32
	v_mul_f32_e32 v30, v33, v32
	v_fma_f32 v29, v33, v31, -v29
	v_fmac_f32_e32 v30, v36, v31
	v_add_u32_e64 v31, s14, 0
	ds_write2_b64 v31, v[29:30], v[29:30] offset0:159 offset1:222
.LBB156_550:
	s_or_b64 exec, exec, s[0:1]
	s_movk_i32 s0, 0x3ff
	v_lshrrev_b32_e32 v31, 5, v1
	v_cmp_lt_u32_e64 s[16:17], s0, v1
	s_movk_i32 s0, 0x400
	v_and_b32_e32 v29, 31, v0
	v_cmp_gt_u32_e64 s[14:15], s0, v1
	v_lshlrev_b32_e32 v30, 9, v31
	v_mov_b32_e32 v32, 0
	v_mov_b32_e32 v34, 0
	s_waitcnt lgkmcnt(0)
	s_barrier
	s_and_saveexec_b64 s[0:1], s[14:15]
	s_cbranch_execz .LBB156_612
; %bb.551:
	v_lshlrev_b32_e32 v34, 3, v29
	v_add_u32_e32 v36, v34, v30
	v_mul_u32_u24_e32 v35, 0x208, v31
	ds_read_b64 v[32:33], v36 offset:256
	ds_read_b64 v[37:38], v35
	s_movk_i32 s20, 0x3e0
	v_cmp_gt_u32_e64 s[20:21], s20, v1
	s_waitcnt lgkmcnt(0)
	v_mul_f32_e32 v39, v38, v33
	v_mul_f32_e32 v33, v37, v33
	v_fma_f32 v37, v37, v32, -v39
	v_fmac_f32_e32 v33, v38, v32
	v_add_f32_e32 v32, 0, v37
	v_add_f32_e32 v33, 0, v33
	s_and_saveexec_b64 s[36:37], s[20:21]
	s_cbranch_execz .LBB156_553
; %bb.552:
	ds_read_b64 v[37:38], v36 offset:768
	ds_read_b64 v[39:40], v35 offset:8
	s_waitcnt lgkmcnt(0)
	v_mul_f32_e32 v41, v40, v38
	v_mul_f32_e32 v38, v39, v38
	v_fma_f32 v39, v39, v37, -v41
	v_fmac_f32_e32 v38, v40, v37
	v_add_f32_e32 v32, v32, v39
	v_add_f32_e32 v33, v33, v38
.LBB156_553:
	s_or_b64 exec, exec, s[36:37]
	s_movk_i32 s20, 0x3c0
	v_cmp_gt_u32_e64 s[20:21], s20, v1
	s_and_saveexec_b64 s[36:37], s[20:21]
	s_cbranch_execz .LBB156_555
; %bb.554:
	ds_read_b64 v[37:38], v36 offset:1280
	ds_read_b64 v[39:40], v35 offset:16
	s_waitcnt lgkmcnt(0)
	v_mul_f32_e32 v41, v40, v38
	v_mul_f32_e32 v38, v39, v38
	v_fma_f32 v39, v39, v37, -v41
	v_fmac_f32_e32 v38, v40, v37
	v_add_f32_e32 v32, v32, v39
	v_add_f32_e32 v33, v33, v38
.LBB156_555:
	s_or_b64 exec, exec, s[36:37]
	s_movk_i32 s20, 0x3a0
	v_cmp_gt_u32_e64 s[20:21], s20, v1
	;; [unrolled: 16-line block ×28, first 2 shown]
	s_and_saveexec_b64 s[36:37], s[20:21]
	s_cbranch_execnz .LBB156_1148
; %bb.608:
	s_or_b64 exec, exec, s[36:37]
	v_cmp_gt_u32_e64 s[20:21], 64, v1
	s_and_saveexec_b64 s[36:37], s[20:21]
	s_cbranch_execnz .LBB156_1149
.LBB156_609:
	s_or_b64 exec, exec, s[36:37]
	v_cmp_gt_u32_e64 s[20:21], 32, v1
	s_and_saveexec_b64 s[36:37], s[20:21]
	s_cbranch_execz .LBB156_611
.LBB156_610:
	ds_read_b64 v[36:37], v34 offset:16128
	ds_read_b64 v[34:35], v35 offset:248
	s_waitcnt lgkmcnt(0)
	v_mul_f32_e32 v38, v35, v37
	v_mul_f32_e32 v37, v34, v37
	v_fma_f32 v34, v34, v36, -v38
	v_fmac_f32_e32 v37, v35, v36
	v_add_f32_e32 v32, v32, v34
	v_add_f32_e32 v33, v33, v37
.LBB156_611:
	s_or_b64 exec, exec, s[36:37]
	v_xor_b32_e32 v34, 0x80000000, v32
	v_xor_b32_e32 v32, 0x80000000, v33
.LBB156_612:
	s_or_b64 exec, exec, s[0:1]
	v_mov_b32_e32 v33, 0x8000
	v_lshl_or_b32 v31, v31, 3, v33
	v_mul_u32_u24_e32 v33, 0x208, v29
	v_lshlrev_b32_e32 v35, 9, v29
	v_sub_u32_e32 v35, v33, v35
	v_add_u32_e32 v35, 0x4100, v35
	s_mov_b32 s20, 0
	s_xor_b64 s[0:1], s[16:17], -1
	v_mov_b32_e32 v36, v29
	s_branch .LBB156_614
.LBB156_613:                            ;   in Loop: Header=BB156_614 Depth=1
	s_or_b64 exec, exec, s[16:17]
	s_add_i32 s20, s20, 2
	v_add_u32_e32 v35, 0x400, v35
	s_cmp_eq_u32 s20, 32
	v_add_u32_e32 v36, -2, v36
	s_barrier
	s_cbranch_scc1 .LBB156_622
.LBB156_614:                            ; =>This Inner Loop Header: Depth=1
	v_cmp_eq_u32_e64 s[16:17], 0, v36
	s_and_b64 s[36:37], s[0:1], s[16:17]
	s_and_saveexec_b64 s[16:17], s[36:37]
	s_cbranch_execz .LBB156_616
; %bb.615:                              ;   in Loop: Header=BB156_614 Depth=1
	ds_read_b64 v[37:38], v33 offset:16640
	s_waitcnt lgkmcnt(0)
	v_mul_f32_e32 v40, v32, v38
	v_mul_f32_e32 v39, v34, v38
	v_fma_f32 v38, v34, v37, -v40
	v_fmac_f32_e32 v39, v32, v37
	v_mov_b32_e32 v34, v38
	v_mov_b32_e32 v32, v39
	ds_write_b64 v31, v[38:39]
.LBB156_616:                            ;   in Loop: Header=BB156_614 Depth=1
	s_or_b64 exec, exec, s[16:17]
	v_cmp_lt_u32_e64 s[16:17], s20, v29
	s_and_b64 s[36:37], s[0:1], s[16:17]
	s_waitcnt lgkmcnt(0)
	s_barrier
	s_and_saveexec_b64 s[16:17], s[36:37]
	s_cbranch_execz .LBB156_618
; %bb.617:                              ;   in Loop: Header=BB156_614 Depth=1
	ds_read_b64 v[37:38], v35
	ds_read_b64 v[39:40], v31
	s_waitcnt lgkmcnt(0)
	v_mul_f32_e32 v41, v40, v38
	v_mul_f32_e32 v38, v39, v38
	v_fma_f32 v39, v39, v37, -v41
	v_fmac_f32_e32 v38, v40, v37
	v_add_f32_e32 v34, v34, v39
	v_add_f32_e32 v32, v32, v38
.LBB156_618:                            ;   in Loop: Header=BB156_614 Depth=1
	s_or_b64 exec, exec, s[16:17]
	s_or_b32 s21, s20, 1
	v_cmp_eq_u32_e64 s[16:17], s21, v29
	s_and_b64 s[36:37], s[0:1], s[16:17]
	s_barrier
	s_and_saveexec_b64 s[16:17], s[36:37]
	s_cbranch_execz .LBB156_620
; %bb.619:                              ;   in Loop: Header=BB156_614 Depth=1
	ds_read_b64 v[37:38], v33 offset:16640
	s_waitcnt lgkmcnt(0)
	v_mul_f32_e32 v40, v32, v38
	v_mul_f32_e32 v39, v34, v38
	v_fma_f32 v38, v34, v37, -v40
	v_fmac_f32_e32 v39, v32, v37
	v_mov_b32_e32 v34, v38
	v_mov_b32_e32 v32, v39
	ds_write_b64 v31, v[38:39]
.LBB156_620:                            ;   in Loop: Header=BB156_614 Depth=1
	s_or_b64 exec, exec, s[16:17]
	v_cmp_lt_u32_e64 s[16:17], s21, v29
	s_and_b64 s[36:37], s[0:1], s[16:17]
	s_waitcnt lgkmcnt(0)
	s_barrier
	s_and_saveexec_b64 s[16:17], s[36:37]
	s_cbranch_execz .LBB156_613
; %bb.621:                              ;   in Loop: Header=BB156_614 Depth=1
	ds_read_b64 v[37:38], v35 offset:512
	ds_read_b64 v[39:40], v31
	s_waitcnt lgkmcnt(0)
	v_mul_f32_e32 v41, v40, v38
	v_mul_f32_e32 v38, v39, v38
	v_fma_f32 v39, v39, v37, -v41
	v_fmac_f32_e32 v38, v40, v37
	v_add_f32_e32 v34, v34, v39
	v_add_f32_e32 v32, v32, v38
	s_branch .LBB156_613
.LBB156_622:
	s_and_saveexec_b64 s[0:1], s[14:15]
; %bb.623:
	v_lshl_add_u32 v31, v29, 3, v30
	v_xor_b32_e32 v30, 0x80000000, v32
	v_xor_b32_e32 v29, 0x80000000, v34
	ds_write_b64 v31, v[29:30] offset:256
; %bb.624:
	s_or_b64 exec, exec, s[0:1]
	v_cmp_gt_u32_e64 s[14:15], 32, v0
	s_and_b64 s[12:13], s[12:13], s[14:15]
	s_waitcnt lgkmcnt(0)
	s_barrier
	s_barrier
	s_and_saveexec_b64 s[0:1], s[12:13]
	s_cbranch_execz .LBB156_626
; %bb.625:
	v_lshlrev_b32_e32 v31, 9, v0
	ds_read_b64 v[29:30], v31 offset:256
	s_movk_i32 s12, 0xfe08
	v_mad_i32_i24 v32, v0, s12, v31
	s_waitcnt lgkmcnt(0)
	ds_write_b64 v32, v[29:30] offset:16384
	ds_read_b64 v[29:30], v31 offset:264
	s_waitcnt lgkmcnt(0)
	ds_write_b64 v32, v[29:30] offset:16896
	ds_read_b64 v[29:30], v31 offset:272
	;; [unrolled: 3-line block ×31, first 2 shown]
	s_waitcnt lgkmcnt(0)
	ds_write_b64 v32, v[29:30] offset:32256
.LBB156_626:
	s_or_b64 exec, exec, s[0:1]
	s_waitcnt lgkmcnt(0)
	s_barrier
	s_and_saveexec_b64 s[0:1], vcc
	s_cbranch_execz .LBB156_628
; %bb.627:
	v_mov_b32_e32 v33, 0
	ds_read_b128 v[29:32], v33 offset:16640
	ds_read_b64 v[33:34], v33 offset:17160
	s_movk_i32 s12, 0x4000
	s_waitcnt lgkmcnt(0)
	v_mul_f32_e32 v35, v34, v30
	v_mul_f32_e32 v36, v33, v30
	v_fma_f32 v33, v33, v29, -v35
	v_fmac_f32_e32 v36, v34, v29
	v_mul_f32_e32 v29, v36, v32
	v_mul_f32_e32 v30, v33, v32
	v_fma_f32 v29, v33, v31, -v29
	v_fmac_f32_e32 v30, v36, v31
	v_add_u32_e64 v31, s12, 0
	ds_write2_b64 v31, v[29:30], v[29:30] offset0:33 offset1:96
.LBB156_628:
	s_or_b64 exec, exec, s[0:1]
	v_mov_b32_e32 v29, 0
	v_mov_b32_e32 v30, 0
	s_waitcnt lgkmcnt(0)
	s_barrier
	s_and_saveexec_b64 s[0:1], s[2:3]
	s_cbranch_execz .LBB156_632
; %bb.629:
	v_mul_u32_u24_e32 v31, 0x208, v13
	ds_read_b64 v[29:30], v11 offset:16656
	ds_read_b64 v[31:32], v31 offset:16640
	v_cmp_gt_u32_e64 s[12:13], 2, v1
	s_waitcnt lgkmcnt(0)
	v_mul_f32_e32 v33, v32, v30
	v_mul_f32_e32 v30, v31, v30
	v_fma_f32 v31, v31, v29, -v33
	v_fmac_f32_e32 v30, v32, v29
	v_add_f32_e32 v29, 0, v31
	v_add_f32_e32 v31, 0, v30
	s_and_saveexec_b64 s[14:15], s[12:13]
	s_cbranch_execz .LBB156_631
; %bb.630:
	v_lshlrev_b32_e32 v30, 3, v0
	v_mov_b32_e32 v34, 0
	ds_read_b64 v[32:33], v30 offset:17168
	ds_read_b64 v[34:35], v34 offset:16648
	s_waitcnt lgkmcnt(0)
	v_mul_f32_e32 v30, v35, v33
	v_mul_f32_e32 v33, v34, v33
	v_fma_f32 v30, v34, v32, -v30
	v_fmac_f32_e32 v33, v35, v32
	v_add_f32_e32 v29, v29, v30
	v_add_f32_e32 v31, v31, v33
.LBB156_631:
	s_or_b64 exec, exec, s[14:15]
	v_xor_b32_e32 v30, 0x80000000, v29
	v_xor_b32_e32 v29, 0x80000000, v31
.LBB156_632:
	s_or_b64 exec, exec, s[0:1]
	s_and_saveexec_b64 s[0:1], s[42:43]
	s_cbranch_execz .LBB156_634
; %bb.633:
	v_mov_b32_e32 v31, 0
	ds_read_b64 v[31:32], v31 offset:17680
	s_waitcnt lgkmcnt(0)
	v_mul_f32_e32 v34, v29, v32
	v_mul_f32_e32 v33, v30, v32
	v_fma_f32 v32, v30, v31, -v34
	v_fmac_f32_e32 v33, v29, v31
	v_mov_b32_e32 v30, v32
	v_mov_b32_e32 v29, v33
	ds_write_b64 v12, v[32:33]
.LBB156_634:
	s_or_b64 exec, exec, s[0:1]
	s_waitcnt lgkmcnt(0)
	s_barrier
	s_and_saveexec_b64 s[0:1], s[40:41]
	s_cbranch_execz .LBB156_636
; %bb.635:
	v_mov_b32_e32 v31, 0
	ds_read_b64 v[31:32], v31 offset:17688
	ds_read_b64 v[33:34], v12
	s_waitcnt lgkmcnt(0)
	v_mul_f32_e32 v35, v34, v32
	v_mul_f32_e32 v32, v33, v32
	v_fma_f32 v33, v33, v31, -v35
	v_fmac_f32_e32 v32, v34, v31
	v_add_f32_e32 v30, v30, v33
	v_add_f32_e32 v29, v29, v32
.LBB156_636:
	s_or_b64 exec, exec, s[0:1]
	s_barrier
	s_and_saveexec_b64 s[0:1], s[40:41]
	s_cbranch_execz .LBB156_638
; %bb.637:
	v_mov_b32_e32 v31, 0
	ds_read_b64 v[31:32], v31 offset:18200
	s_waitcnt lgkmcnt(0)
	v_mul_f32_e32 v34, v29, v32
	v_mul_f32_e32 v33, v30, v32
	v_fma_f32 v32, v30, v31, -v34
	v_fmac_f32_e32 v33, v29, v31
	v_mov_b32_e32 v30, v32
	v_mov_b32_e32 v29, v33
	ds_write_b64 v12, v[32:33]
.LBB156_638:
	s_or_b64 exec, exec, s[0:1]
	s_waitcnt lgkmcnt(0)
	s_barrier
	s_barrier
	s_and_saveexec_b64 s[0:1], s[2:3]
; %bb.639:
	v_xor_b32_e32 v31, 0x80000000, v29
	v_xor_b32_e32 v30, 0x80000000, v30
	ds_write_b64 v11, v[30:31] offset:16656
; %bb.640:
	s_or_b64 exec, exec, s[0:1]
	s_waitcnt lgkmcnt(0)
	s_barrier
	s_barrier
	s_and_saveexec_b64 s[0:1], s[44:45]
	s_cbranch_execz .LBB156_642
; %bb.641:
	v_lshlrev_b32_e32 v31, 3, v0
	s_movk_i32 s12, 0x1f8
	v_mad_u32_u24 v32, v0, s12, v31
	ds_read_b64 v[29:30], v32 offset:16656
	s_waitcnt lgkmcnt(0)
	ds_write_b64 v31, v[29:30] offset:17664
	ds_read_b64 v[29:30], v32 offset:16664
	s_waitcnt lgkmcnt(0)
	ds_write_b64 v31, v[29:30] offset:18176
.LBB156_642:
	s_or_b64 exec, exec, s[0:1]
	s_waitcnt lgkmcnt(0)
	s_barrier
	s_and_saveexec_b64 s[0:1], vcc
	s_cbranch_execz .LBB156_644
; %bb.643:
	v_mov_b32_e32 v33, 0
	ds_read_b128 v[29:32], v33 offset:17680
	ds_read_b64 v[33:34], v33 offset:18200
	s_movk_i32 s12, 0x4000
	s_waitcnt lgkmcnt(0)
	v_mul_f32_e32 v35, v34, v30
	v_mul_f32_e32 v36, v33, v30
	v_fma_f32 v33, v33, v29, -v35
	v_fmac_f32_e32 v36, v34, v29
	v_mul_f32_e32 v29, v36, v32
	v_mul_f32_e32 v30, v33, v32
	v_fma_f32 v29, v33, v31, -v29
	v_fmac_f32_e32 v30, v36, v31
	v_add_u32_e64 v31, s12, 0
	ds_write2_b64 v31, v[29:30], v[29:30] offset0:163 offset1:226
.LBB156_644:
	s_or_b64 exec, exec, s[0:1]
	v_mov_b32_e32 v29, 0
	v_mov_b32_e32 v30, 0
	s_waitcnt lgkmcnt(0)
	s_barrier
	s_and_saveexec_b64 s[0:1], s[18:19]
	s_cbranch_execz .LBB156_650
; %bb.645:
	v_mul_u32_u24_e32 v30, 0x208, v18
	ds_read_b64 v[31:32], v14 offset:16672
	ds_read_b64 v[33:34], v30 offset:16640
	v_cmp_gt_u32_e64 s[12:13], 12, v1
	s_waitcnt lgkmcnt(0)
	v_mul_f32_e32 v29, v34, v32
	v_mul_f32_e32 v32, v33, v32
	v_fma_f32 v29, v33, v31, -v29
	v_fmac_f32_e32 v32, v34, v31
	v_add_f32_e32 v29, 0, v29
	v_add_f32_e32 v31, 0, v32
	s_and_saveexec_b64 s[14:15], s[12:13]
	s_cbranch_execnz .LBB156_1150
; %bb.646:
	s_or_b64 exec, exec, s[14:15]
	v_cmp_gt_u32_e64 s[12:13], 8, v1
	s_and_saveexec_b64 s[14:15], s[12:13]
	s_cbranch_execnz .LBB156_1151
.LBB156_647:
	s_or_b64 exec, exec, s[14:15]
	v_cmp_gt_u32_e64 s[12:13], 4, v1
	s_and_saveexec_b64 s[14:15], s[12:13]
	s_cbranch_execz .LBB156_649
.LBB156_648:
	v_lshlrev_b32_e32 v30, 3, v0
	v_mov_b32_e32 v34, 0
	ds_read_b64 v[32:33], v30 offset:18208
	ds_read_b64 v[34:35], v34 offset:16664
	s_waitcnt lgkmcnt(0)
	v_mul_f32_e32 v30, v35, v33
	v_mul_f32_e32 v33, v34, v33
	v_fma_f32 v30, v34, v32, -v30
	v_fmac_f32_e32 v33, v35, v32
	v_add_f32_e32 v29, v29, v30
	v_add_f32_e32 v31, v31, v33
.LBB156_649:
	s_or_b64 exec, exec, s[14:15]
	v_xor_b32_e32 v30, 0x80000000, v29
	v_xor_b32_e32 v29, 0x80000000, v31
.LBB156_650:
	s_or_b64 exec, exec, s[0:1]
	s_and_saveexec_b64 s[0:1], s[48:49]
	s_cbranch_execz .LBB156_652
; %bb.651:
	v_mov_b32_e32 v31, 0
	ds_read_b64 v[31:32], v31 offset:18720
	s_waitcnt lgkmcnt(0)
	v_mul_f32_e32 v34, v29, v32
	v_mul_f32_e32 v33, v30, v32
	v_fma_f32 v32, v30, v31, -v34
	v_fmac_f32_e32 v33, v29, v31
	v_mov_b32_e32 v30, v32
	v_mov_b32_e32 v29, v33
	ds_write_b64 v16, v[32:33]
.LBB156_652:
	s_or_b64 exec, exec, s[0:1]
	s_waitcnt lgkmcnt(0)
	s_barrier
	s_and_saveexec_b64 s[0:1], s[50:51]
	s_cbranch_execz .LBB156_654
; %bb.653:
	ds_read_b64 v[31:32], v15 offset:18720
	ds_read_b64 v[33:34], v16
	s_waitcnt lgkmcnt(0)
	v_mul_f32_e32 v35, v34, v32
	v_mul_f32_e32 v32, v33, v32
	v_fma_f32 v33, v33, v31, -v35
	v_fmac_f32_e32 v32, v34, v31
	v_add_f32_e32 v30, v30, v33
	v_add_f32_e32 v29, v29, v32
.LBB156_654:
	s_or_b64 exec, exec, s[0:1]
	s_barrier
	s_and_saveexec_b64 s[0:1], s[52:53]
	s_cbranch_execz .LBB156_656
; %bb.655:
	v_mov_b32_e32 v31, 0
	ds_read_b64 v[31:32], v31 offset:19240
	s_waitcnt lgkmcnt(0)
	v_mul_f32_e32 v34, v29, v32
	v_mul_f32_e32 v33, v30, v32
	v_fma_f32 v32, v30, v31, -v34
	v_fmac_f32_e32 v33, v29, v31
	v_mov_b32_e32 v30, v32
	v_mov_b32_e32 v29, v33
	ds_write_b64 v16, v[32:33]
.LBB156_656:
	s_or_b64 exec, exec, s[0:1]
	s_waitcnt lgkmcnt(0)
	s_barrier
	s_and_saveexec_b64 s[0:1], s[54:55]
	s_cbranch_execz .LBB156_658
; %bb.657:
	ds_read_b64 v[31:32], v15 offset:19232
	ds_read_b64 v[33:34], v16
	s_waitcnt lgkmcnt(0)
	v_mul_f32_e32 v35, v34, v32
	v_mul_f32_e32 v32, v33, v32
	v_fma_f32 v33, v33, v31, -v35
	v_fmac_f32_e32 v32, v34, v31
	v_add_f32_e32 v30, v30, v33
	v_add_f32_e32 v29, v29, v32
.LBB156_658:
	s_or_b64 exec, exec, s[0:1]
	s_barrier
	s_and_saveexec_b64 s[0:1], s[56:57]
	s_cbranch_execz .LBB156_660
; %bb.659:
	v_mov_b32_e32 v31, 0
	ds_read_b64 v[31:32], v31 offset:19760
	s_waitcnt lgkmcnt(0)
	v_mul_f32_e32 v34, v29, v32
	v_mul_f32_e32 v33, v30, v32
	v_fma_f32 v32, v30, v31, -v34
	v_fmac_f32_e32 v33, v29, v31
	v_mov_b32_e32 v30, v32
	v_mov_b32_e32 v29, v33
	ds_write_b64 v16, v[32:33]
.LBB156_660:
	s_or_b64 exec, exec, s[0:1]
	s_waitcnt lgkmcnt(0)
	s_barrier
	s_and_saveexec_b64 s[0:1], s[46:47]
	s_cbranch_execz .LBB156_662
; %bb.661:
	v_mov_b32_e32 v31, 0
	ds_read_b64 v[31:32], v31 offset:19768
	ds_read_b64 v[33:34], v16
	s_waitcnt lgkmcnt(0)
	v_mul_f32_e32 v35, v34, v32
	v_mul_f32_e32 v32, v33, v32
	v_fma_f32 v33, v33, v31, -v35
	v_fmac_f32_e32 v32, v34, v31
	v_add_f32_e32 v30, v30, v33
	v_add_f32_e32 v29, v29, v32
.LBB156_662:
	s_or_b64 exec, exec, s[0:1]
	s_barrier
	s_and_saveexec_b64 s[0:1], s[46:47]
	s_cbranch_execz .LBB156_664
; %bb.663:
	v_mov_b32_e32 v31, 0
	ds_read_b64 v[31:32], v31 offset:20280
	s_waitcnt lgkmcnt(0)
	v_mul_f32_e32 v34, v29, v32
	v_mul_f32_e32 v33, v30, v32
	v_fma_f32 v32, v30, v31, -v34
	v_fmac_f32_e32 v33, v29, v31
	v_mov_b32_e32 v30, v32
	v_mov_b32_e32 v29, v33
	ds_write_b64 v16, v[32:33]
.LBB156_664:
	s_or_b64 exec, exec, s[0:1]
	s_waitcnt lgkmcnt(0)
	s_barrier
	s_barrier
	s_and_saveexec_b64 s[0:1], s[18:19]
; %bb.665:
	v_xor_b32_e32 v30, 0x80000000, v30
	v_xor_b32_e32 v31, 0x80000000, v29
	ds_write_b64 v14, v[30:31] offset:16672
; %bb.666:
	s_or_b64 exec, exec, s[0:1]
	s_waitcnt lgkmcnt(0)
	s_barrier
	s_barrier
	s_and_saveexec_b64 s[0:1], s[58:59]
	s_cbranch_execz .LBB156_668
; %bb.667:
	v_lshlrev_b32_e32 v31, 9, v0
	ds_read_b64 v[29:30], v31 offset:16672
	s_movk_i32 s12, 0xfe08
	v_mad_i32_i24 v32, v0, s12, v31
	s_waitcnt lgkmcnt(0)
	ds_write_b64 v32, v[29:30] offset:18688
	ds_read_b64 v[29:30], v31 offset:16680
	s_waitcnt lgkmcnt(0)
	ds_write_b64 v32, v[29:30] offset:19200
	ds_read_b64 v[29:30], v31 offset:16688
	;; [unrolled: 3-line block ×3, first 2 shown]
	s_waitcnt lgkmcnt(0)
	ds_write_b64 v32, v[29:30] offset:20224
.LBB156_668:
	s_or_b64 exec, exec, s[0:1]
	s_waitcnt lgkmcnt(0)
	s_barrier
	s_and_saveexec_b64 s[0:1], vcc
	s_cbranch_execz .LBB156_670
; %bb.669:
	v_mov_b32_e32 v33, 0
	ds_read_b128 v[29:32], v33 offset:18720
	ds_read_b64 v[33:34], v33 offset:19240
	s_movk_i32 s12, 0x4800
	s_waitcnt lgkmcnt(0)
	v_mul_f32_e32 v35, v34, v30
	v_mul_f32_e32 v36, v33, v30
	v_fma_f32 v33, v33, v29, -v35
	v_fmac_f32_e32 v36, v34, v29
	v_mul_f32_e32 v29, v36, v32
	v_mul_f32_e32 v30, v33, v32
	v_fma_f32 v29, v33, v31, -v29
	v_fmac_f32_e32 v30, v36, v31
	v_add_u32_e64 v31, s12, 0
	ds_write2_b64 v31, v[29:30], v[29:30] offset0:37 offset1:100
.LBB156_670:
	s_or_b64 exec, exec, s[0:1]
	v_mov_b32_e32 v29, 0
	v_mov_b32_e32 v30, 0
	s_waitcnt lgkmcnt(0)
	s_barrier
	s_and_saveexec_b64 s[0:1], s[2:3]
	s_cbranch_execz .LBB156_674
; %bb.671:
	v_mul_u32_u24_e32 v31, 0x208, v13
	ds_read_b64 v[29:30], v11 offset:18736
	ds_read_b64 v[31:32], v31 offset:18720
	v_cmp_gt_u32_e64 s[12:13], 2, v1
	s_waitcnt lgkmcnt(0)
	v_mul_f32_e32 v33, v32, v30
	v_mul_f32_e32 v30, v31, v30
	v_fma_f32 v31, v31, v29, -v33
	v_fmac_f32_e32 v30, v32, v29
	v_add_f32_e32 v29, 0, v31
	v_add_f32_e32 v31, 0, v30
	s_and_saveexec_b64 s[14:15], s[12:13]
	s_cbranch_execz .LBB156_673
; %bb.672:
	v_lshlrev_b32_e32 v30, 3, v0
	v_mov_b32_e32 v34, 0
	ds_read_b64 v[32:33], v30 offset:19248
	ds_read_b64 v[34:35], v34 offset:18728
	s_waitcnt lgkmcnt(0)
	v_mul_f32_e32 v30, v35, v33
	v_mul_f32_e32 v33, v34, v33
	v_fma_f32 v30, v34, v32, -v30
	v_fmac_f32_e32 v33, v35, v32
	v_add_f32_e32 v29, v29, v30
	v_add_f32_e32 v31, v31, v33
.LBB156_673:
	s_or_b64 exec, exec, s[14:15]
	v_xor_b32_e32 v30, 0x80000000, v29
	v_xor_b32_e32 v29, 0x80000000, v31
.LBB156_674:
	s_or_b64 exec, exec, s[0:1]
	s_and_saveexec_b64 s[0:1], s[42:43]
	s_cbranch_execz .LBB156_676
; %bb.675:
	v_mov_b32_e32 v31, 0
	ds_read_b64 v[31:32], v31 offset:19760
	s_waitcnt lgkmcnt(0)
	v_mul_f32_e32 v34, v29, v32
	v_mul_f32_e32 v33, v30, v32
	v_fma_f32 v32, v30, v31, -v34
	v_fmac_f32_e32 v33, v29, v31
	v_mov_b32_e32 v30, v32
	v_mov_b32_e32 v29, v33
	ds_write_b64 v12, v[32:33]
.LBB156_676:
	s_or_b64 exec, exec, s[0:1]
	s_waitcnt lgkmcnt(0)
	s_barrier
	s_and_saveexec_b64 s[0:1], s[40:41]
	s_cbranch_execz .LBB156_678
; %bb.677:
	v_mov_b32_e32 v31, 0
	ds_read_b64 v[31:32], v31 offset:19768
	ds_read_b64 v[33:34], v12
	s_waitcnt lgkmcnt(0)
	v_mul_f32_e32 v35, v34, v32
	v_mul_f32_e32 v32, v33, v32
	v_fma_f32 v33, v33, v31, -v35
	v_fmac_f32_e32 v32, v34, v31
	v_add_f32_e32 v30, v30, v33
	v_add_f32_e32 v29, v29, v32
.LBB156_678:
	s_or_b64 exec, exec, s[0:1]
	s_barrier
	s_and_saveexec_b64 s[0:1], s[40:41]
	s_cbranch_execz .LBB156_680
; %bb.679:
	v_mov_b32_e32 v31, 0
	ds_read_b64 v[31:32], v31 offset:20280
	s_waitcnt lgkmcnt(0)
	v_mul_f32_e32 v34, v29, v32
	v_mul_f32_e32 v33, v30, v32
	v_fma_f32 v32, v30, v31, -v34
	v_fmac_f32_e32 v33, v29, v31
	v_mov_b32_e32 v30, v32
	v_mov_b32_e32 v29, v33
	ds_write_b64 v12, v[32:33]
.LBB156_680:
	s_or_b64 exec, exec, s[0:1]
	s_waitcnt lgkmcnt(0)
	s_barrier
	s_barrier
	s_and_saveexec_b64 s[0:1], s[2:3]
; %bb.681:
	v_xor_b32_e32 v31, 0x80000000, v29
	v_xor_b32_e32 v30, 0x80000000, v30
	ds_write_b64 v11, v[30:31] offset:18736
; %bb.682:
	s_or_b64 exec, exec, s[0:1]
	s_waitcnt lgkmcnt(0)
	s_barrier
	s_barrier
	s_and_saveexec_b64 s[0:1], s[44:45]
	s_cbranch_execz .LBB156_684
; %bb.683:
	v_lshlrev_b32_e32 v31, 3, v0
	s_movk_i32 s12, 0x1f8
	v_mad_u32_u24 v32, v0, s12, v31
	ds_read_b64 v[29:30], v32 offset:18736
	s_waitcnt lgkmcnt(0)
	ds_write_b64 v31, v[29:30] offset:19744
	ds_read_b64 v[29:30], v32 offset:18744
	s_waitcnt lgkmcnt(0)
	ds_write_b64 v31, v[29:30] offset:20256
.LBB156_684:
	s_or_b64 exec, exec, s[0:1]
	s_waitcnt lgkmcnt(0)
	s_barrier
	s_and_saveexec_b64 s[0:1], vcc
	s_cbranch_execz .LBB156_686
; %bb.685:
	v_mov_b32_e32 v33, 0
	ds_read_b128 v[29:32], v33 offset:19760
	ds_read_b64 v[33:34], v33 offset:20280
	s_movk_i32 s12, 0x4800
	s_waitcnt lgkmcnt(0)
	v_mul_f32_e32 v35, v34, v30
	v_mul_f32_e32 v36, v33, v30
	v_fma_f32 v33, v33, v29, -v35
	v_fmac_f32_e32 v36, v34, v29
	v_mul_f32_e32 v29, v36, v32
	v_mul_f32_e32 v30, v33, v32
	v_fma_f32 v29, v33, v31, -v29
	v_fmac_f32_e32 v30, v36, v31
	v_add_u32_e64 v31, s12, 0
	ds_write2_b64 v31, v[29:30], v[29:30] offset0:167 offset1:230
.LBB156_686:
	s_or_b64 exec, exec, s[0:1]
	v_mov_b32_e32 v29, 0
	v_mov_b32_e32 v30, 0
	s_waitcnt lgkmcnt(0)
	s_barrier
	s_and_saveexec_b64 s[0:1], s[8:9]
	s_cbranch_execz .LBB156_696
; %bb.687:
	v_mul_u32_u24_e32 v30, 0x208, v23
	ds_read_b64 v[31:32], v19 offset:16704
	ds_read_b64 v[33:34], v30 offset:16640
	v_cmp_gt_u32_e64 s[12:13], 56, v1
	s_waitcnt lgkmcnt(0)
	v_mul_f32_e32 v29, v34, v32
	v_mul_f32_e32 v32, v33, v32
	v_fma_f32 v29, v33, v31, -v29
	v_fmac_f32_e32 v32, v34, v31
	v_add_f32_e32 v29, 0, v29
	v_add_f32_e32 v31, 0, v32
	s_and_saveexec_b64 s[14:15], s[12:13]
	s_cbranch_execnz .LBB156_1152
; %bb.688:
	s_or_b64 exec, exec, s[14:15]
	v_cmp_gt_u32_e64 s[12:13], 48, v1
	s_and_saveexec_b64 s[14:15], s[12:13]
	s_cbranch_execnz .LBB156_1153
.LBB156_689:
	s_or_b64 exec, exec, s[14:15]
	v_cmp_gt_u32_e64 s[12:13], 40, v1
	s_and_saveexec_b64 s[14:15], s[12:13]
	s_cbranch_execnz .LBB156_1154
.LBB156_690:
	s_or_b64 exec, exec, s[14:15]
	v_cmp_gt_u32_e64 s[12:13], 32, v1
	s_and_saveexec_b64 s[14:15], s[12:13]
	s_cbranch_execnz .LBB156_1155
.LBB156_691:
	s_or_b64 exec, exec, s[14:15]
	v_cmp_gt_u32_e64 s[12:13], 24, v1
	s_and_saveexec_b64 s[14:15], s[12:13]
	s_cbranch_execnz .LBB156_1156
.LBB156_692:
	s_or_b64 exec, exec, s[14:15]
	v_cmp_gt_u32_e64 s[12:13], 16, v1
	s_and_saveexec_b64 s[14:15], s[12:13]
	s_cbranch_execnz .LBB156_1157
.LBB156_693:
	s_or_b64 exec, exec, s[14:15]
	v_cmp_gt_u32_e64 s[12:13], 8, v1
	s_and_saveexec_b64 s[14:15], s[12:13]
	s_cbranch_execz .LBB156_695
.LBB156_694:
	v_lshlrev_b32_e32 v30, 3, v0
	v_mov_b32_e32 v34, 0
	ds_read_b64 v[32:33], v30 offset:20288
	ds_read_b64 v[34:35], v34 offset:16696
	s_waitcnt lgkmcnt(0)
	v_mul_f32_e32 v30, v35, v33
	v_mul_f32_e32 v33, v34, v33
	v_fma_f32 v30, v34, v32, -v30
	v_fmac_f32_e32 v33, v35, v32
	v_add_f32_e32 v29, v29, v30
	v_add_f32_e32 v31, v31, v33
.LBB156_695:
	s_or_b64 exec, exec, s[14:15]
	v_xor_b32_e32 v30, 0x80000000, v29
	v_xor_b32_e32 v29, 0x80000000, v31
.LBB156_696:
	s_or_b64 exec, exec, s[0:1]
	s_and_saveexec_b64 s[0:1], s[62:63]
	s_cbranch_execz .LBB156_698
; %bb.697:
	v_mov_b32_e32 v31, 0
	ds_read_b64 v[31:32], v31 offset:20800
	s_waitcnt lgkmcnt(0)
	v_mul_f32_e32 v34, v29, v32
	v_mul_f32_e32 v33, v30, v32
	v_fma_f32 v32, v30, v31, -v34
	v_fmac_f32_e32 v33, v29, v31
	v_mov_b32_e32 v30, v32
	v_mov_b32_e32 v29, v33
	ds_write_b64 v21, v[32:33]
.LBB156_698:
	s_or_b64 exec, exec, s[0:1]
	s_waitcnt lgkmcnt(0)
	s_barrier
	s_and_saveexec_b64 s[0:1], s[64:65]
	s_cbranch_execz .LBB156_700
; %bb.699:
	ds_read_b64 v[31:32], v20 offset:20800
	ds_read_b64 v[33:34], v21
	s_waitcnt lgkmcnt(0)
	v_mul_f32_e32 v35, v34, v32
	v_mul_f32_e32 v32, v33, v32
	v_fma_f32 v33, v33, v31, -v35
	v_fmac_f32_e32 v32, v34, v31
	v_add_f32_e32 v30, v30, v33
	v_add_f32_e32 v29, v29, v32
.LBB156_700:
	s_or_b64 exec, exec, s[0:1]
	s_barrier
	s_and_saveexec_b64 s[0:1], s[66:67]
	s_cbranch_execz .LBB156_702
; %bb.701:
	v_mov_b32_e32 v31, 0
	ds_read_b64 v[31:32], v31 offset:21320
	s_waitcnt lgkmcnt(0)
	v_mul_f32_e32 v34, v29, v32
	v_mul_f32_e32 v33, v30, v32
	v_fma_f32 v32, v30, v31, -v34
	v_fmac_f32_e32 v33, v29, v31
	v_mov_b32_e32 v30, v32
	v_mov_b32_e32 v29, v33
	ds_write_b64 v21, v[32:33]
.LBB156_702:
	s_or_b64 exec, exec, s[0:1]
	s_waitcnt lgkmcnt(0)
	s_barrier
	s_and_saveexec_b64 s[0:1], s[68:69]
	s_cbranch_execz .LBB156_704
; %bb.703:
	ds_read_b64 v[31:32], v20 offset:21312
	ds_read_b64 v[33:34], v21
	s_waitcnt lgkmcnt(0)
	v_mul_f32_e32 v35, v34, v32
	v_mul_f32_e32 v32, v33, v32
	v_fma_f32 v33, v33, v31, -v35
	v_fmac_f32_e32 v32, v34, v31
	v_add_f32_e32 v30, v30, v33
	v_add_f32_e32 v29, v29, v32
.LBB156_704:
	s_or_b64 exec, exec, s[0:1]
	s_barrier
	;; [unrolled: 32-line block ×6, first 2 shown]
	s_and_saveexec_b64 s[0:1], s[86:87]
	s_cbranch_execz .LBB156_722
; %bb.721:
	v_mov_b32_e32 v31, 0
	ds_read_b64 v[31:32], v31 offset:23920
	s_waitcnt lgkmcnt(0)
	v_mul_f32_e32 v34, v29, v32
	v_mul_f32_e32 v33, v30, v32
	v_fma_f32 v32, v30, v31, -v34
	v_fmac_f32_e32 v33, v29, v31
	v_mov_b32_e32 v30, v32
	v_mov_b32_e32 v29, v33
	ds_write_b64 v21, v[32:33]
.LBB156_722:
	s_or_b64 exec, exec, s[0:1]
	s_waitcnt lgkmcnt(0)
	s_barrier
	s_and_saveexec_b64 s[0:1], s[60:61]
	s_cbranch_execz .LBB156_724
; %bb.723:
	v_mov_b32_e32 v31, 0
	ds_read_b64 v[31:32], v31 offset:23928
	ds_read_b64 v[33:34], v21
	s_waitcnt lgkmcnt(0)
	v_mul_f32_e32 v35, v34, v32
	v_mul_f32_e32 v32, v33, v32
	v_fma_f32 v33, v33, v31, -v35
	v_fmac_f32_e32 v32, v34, v31
	v_add_f32_e32 v30, v30, v33
	v_add_f32_e32 v29, v29, v32
.LBB156_724:
	s_or_b64 exec, exec, s[0:1]
	s_barrier
	s_and_saveexec_b64 s[0:1], s[60:61]
	s_cbranch_execz .LBB156_726
; %bb.725:
	v_mov_b32_e32 v31, 0
	ds_read_b64 v[31:32], v31 offset:24440
	s_waitcnt lgkmcnt(0)
	v_mul_f32_e32 v34, v29, v32
	v_mul_f32_e32 v33, v30, v32
	v_fma_f32 v32, v30, v31, -v34
	v_fmac_f32_e32 v33, v29, v31
	v_mov_b32_e32 v30, v32
	v_mov_b32_e32 v29, v33
	ds_write_b64 v21, v[32:33]
.LBB156_726:
	s_or_b64 exec, exec, s[0:1]
	s_waitcnt lgkmcnt(0)
	s_barrier
	s_barrier
	s_and_saveexec_b64 s[0:1], s[8:9]
; %bb.727:
	v_xor_b32_e32 v31, 0x80000000, v29
	v_xor_b32_e32 v30, 0x80000000, v30
	ds_write_b64 v19, v[30:31] offset:16704
; %bb.728:
	s_or_b64 exec, exec, s[0:1]
	s_waitcnt lgkmcnt(0)
	s_barrier
	s_barrier
	s_and_saveexec_b64 s[0:1], s[88:89]
	s_cbranch_execz .LBB156_730
; %bb.729:
	v_lshlrev_b32_e32 v31, 9, v0
	ds_read_b64 v[29:30], v31 offset:16704
	s_movk_i32 s12, 0xfe08
	v_mad_i32_i24 v32, v0, s12, v31
	s_waitcnt lgkmcnt(0)
	ds_write_b64 v32, v[29:30] offset:20736
	ds_read_b64 v[29:30], v31 offset:16712
	s_waitcnt lgkmcnt(0)
	ds_write_b64 v32, v[29:30] offset:21248
	ds_read_b64 v[29:30], v31 offset:16720
	s_waitcnt lgkmcnt(0)
	ds_write_b64 v32, v[29:30] offset:21760
	ds_read_b64 v[29:30], v31 offset:16728
	s_waitcnt lgkmcnt(0)
	ds_write_b64 v32, v[29:30] offset:22272
	ds_read_b64 v[29:30], v31 offset:16736
	s_waitcnt lgkmcnt(0)
	ds_write_b64 v32, v[29:30] offset:22784
	ds_read_b64 v[29:30], v31 offset:16744
	s_waitcnt lgkmcnt(0)
	ds_write_b64 v32, v[29:30] offset:23296
	ds_read_b64 v[29:30], v31 offset:16752
	s_waitcnt lgkmcnt(0)
	ds_write_b64 v32, v[29:30] offset:23808
	ds_read_b64 v[29:30], v31 offset:16760
	s_waitcnt lgkmcnt(0)
	ds_write_b64 v32, v[29:30] offset:24320
.LBB156_730:
	s_or_b64 exec, exec, s[0:1]
	s_waitcnt lgkmcnt(0)
	s_barrier
	s_and_saveexec_b64 s[0:1], vcc
	s_cbranch_execz .LBB156_732
; %bb.731:
	v_mov_b32_e32 v33, 0
	ds_read_b128 v[29:32], v33 offset:20800
	ds_read_b64 v[33:34], v33 offset:21320
	s_movk_i32 s12, 0x5000
	s_waitcnt lgkmcnt(0)
	v_mul_f32_e32 v35, v34, v30
	v_mul_f32_e32 v36, v33, v30
	v_fma_f32 v33, v33, v29, -v35
	v_fmac_f32_e32 v36, v34, v29
	v_mul_f32_e32 v29, v36, v32
	v_mul_f32_e32 v30, v33, v32
	v_fma_f32 v29, v33, v31, -v29
	v_fmac_f32_e32 v30, v36, v31
	v_add_u32_e64 v31, s12, 0
	ds_write2_b64 v31, v[29:30], v[29:30] offset0:41 offset1:104
.LBB156_732:
	s_or_b64 exec, exec, s[0:1]
	v_mov_b32_e32 v29, 0
	v_mov_b32_e32 v30, 0
	s_waitcnt lgkmcnt(0)
	s_barrier
	s_and_saveexec_b64 s[0:1], s[2:3]
	s_cbranch_execz .LBB156_736
; %bb.733:
	v_mul_u32_u24_e32 v31, 0x208, v13
	ds_read_b64 v[29:30], v11 offset:20816
	ds_read_b64 v[31:32], v31 offset:20800
	v_cmp_gt_u32_e64 s[12:13], 2, v1
	s_waitcnt lgkmcnt(0)
	v_mul_f32_e32 v33, v32, v30
	v_mul_f32_e32 v30, v31, v30
	v_fma_f32 v31, v31, v29, -v33
	v_fmac_f32_e32 v30, v32, v29
	v_add_f32_e32 v29, 0, v31
	v_add_f32_e32 v31, 0, v30
	s_and_saveexec_b64 s[14:15], s[12:13]
	s_cbranch_execz .LBB156_735
; %bb.734:
	v_lshlrev_b32_e32 v30, 3, v0
	v_mov_b32_e32 v34, 0
	ds_read_b64 v[32:33], v30 offset:21328
	ds_read_b64 v[34:35], v34 offset:20808
	s_waitcnt lgkmcnt(0)
	v_mul_f32_e32 v30, v35, v33
	v_mul_f32_e32 v33, v34, v33
	v_fma_f32 v30, v34, v32, -v30
	v_fmac_f32_e32 v33, v35, v32
	v_add_f32_e32 v29, v29, v30
	v_add_f32_e32 v31, v31, v33
.LBB156_735:
	s_or_b64 exec, exec, s[14:15]
	v_xor_b32_e32 v30, 0x80000000, v29
	v_xor_b32_e32 v29, 0x80000000, v31
.LBB156_736:
	s_or_b64 exec, exec, s[0:1]
	s_and_saveexec_b64 s[0:1], s[42:43]
	s_cbranch_execz .LBB156_738
; %bb.737:
	v_mov_b32_e32 v31, 0
	ds_read_b64 v[31:32], v31 offset:21840
	s_waitcnt lgkmcnt(0)
	v_mul_f32_e32 v34, v29, v32
	v_mul_f32_e32 v33, v30, v32
	v_fma_f32 v32, v30, v31, -v34
	v_fmac_f32_e32 v33, v29, v31
	v_mov_b32_e32 v30, v32
	v_mov_b32_e32 v29, v33
	ds_write_b64 v12, v[32:33]
.LBB156_738:
	s_or_b64 exec, exec, s[0:1]
	s_waitcnt lgkmcnt(0)
	s_barrier
	s_and_saveexec_b64 s[0:1], s[40:41]
	s_cbranch_execz .LBB156_740
; %bb.739:
	v_mov_b32_e32 v31, 0
	ds_read_b64 v[31:32], v31 offset:21848
	ds_read_b64 v[33:34], v12
	s_waitcnt lgkmcnt(0)
	v_mul_f32_e32 v35, v34, v32
	v_mul_f32_e32 v32, v33, v32
	v_fma_f32 v33, v33, v31, -v35
	v_fmac_f32_e32 v32, v34, v31
	v_add_f32_e32 v30, v30, v33
	v_add_f32_e32 v29, v29, v32
.LBB156_740:
	s_or_b64 exec, exec, s[0:1]
	s_barrier
	s_and_saveexec_b64 s[0:1], s[40:41]
	s_cbranch_execz .LBB156_742
; %bb.741:
	v_mov_b32_e32 v31, 0
	ds_read_b64 v[31:32], v31 offset:22360
	s_waitcnt lgkmcnt(0)
	v_mul_f32_e32 v34, v29, v32
	v_mul_f32_e32 v33, v30, v32
	v_fma_f32 v32, v30, v31, -v34
	v_fmac_f32_e32 v33, v29, v31
	v_mov_b32_e32 v30, v32
	v_mov_b32_e32 v29, v33
	ds_write_b64 v12, v[32:33]
.LBB156_742:
	s_or_b64 exec, exec, s[0:1]
	s_waitcnt lgkmcnt(0)
	s_barrier
	s_barrier
	s_and_saveexec_b64 s[0:1], s[2:3]
; %bb.743:
	v_xor_b32_e32 v31, 0x80000000, v29
	v_xor_b32_e32 v30, 0x80000000, v30
	ds_write_b64 v11, v[30:31] offset:20816
; %bb.744:
	s_or_b64 exec, exec, s[0:1]
	s_waitcnt lgkmcnt(0)
	s_barrier
	s_barrier
	s_and_saveexec_b64 s[0:1], s[44:45]
	s_cbranch_execz .LBB156_746
; %bb.745:
	v_lshlrev_b32_e32 v31, 3, v0
	s_movk_i32 s12, 0x1f8
	v_mad_u32_u24 v32, v0, s12, v31
	ds_read_b64 v[29:30], v32 offset:20816
	s_waitcnt lgkmcnt(0)
	ds_write_b64 v31, v[29:30] offset:21824
	ds_read_b64 v[29:30], v32 offset:20824
	s_waitcnt lgkmcnt(0)
	ds_write_b64 v31, v[29:30] offset:22336
.LBB156_746:
	s_or_b64 exec, exec, s[0:1]
	s_waitcnt lgkmcnt(0)
	s_barrier
	s_and_saveexec_b64 s[0:1], vcc
	s_cbranch_execz .LBB156_748
; %bb.747:
	v_mov_b32_e32 v33, 0
	ds_read_b128 v[29:32], v33 offset:21840
	ds_read_b64 v[33:34], v33 offset:22360
	s_movk_i32 s12, 0x5000
	s_waitcnt lgkmcnt(0)
	v_mul_f32_e32 v35, v34, v30
	v_mul_f32_e32 v36, v33, v30
	v_fma_f32 v33, v33, v29, -v35
	v_fmac_f32_e32 v36, v34, v29
	v_mul_f32_e32 v29, v36, v32
	v_mul_f32_e32 v30, v33, v32
	v_fma_f32 v29, v33, v31, -v29
	v_fmac_f32_e32 v30, v36, v31
	v_add_u32_e64 v31, s12, 0
	ds_write2_b64 v31, v[29:30], v[29:30] offset0:171 offset1:234
.LBB156_748:
	s_or_b64 exec, exec, s[0:1]
	v_mov_b32_e32 v29, 0
	v_mov_b32_e32 v30, 0
	s_waitcnt lgkmcnt(0)
	s_barrier
	s_and_saveexec_b64 s[0:1], s[18:19]
	s_cbranch_execz .LBB156_754
; %bb.749:
	v_mul_u32_u24_e32 v30, 0x208, v18
	ds_read_b64 v[31:32], v14 offset:20832
	ds_read_b64 v[33:34], v30 offset:20800
	v_cmp_gt_u32_e64 s[12:13], 12, v1
	s_waitcnt lgkmcnt(0)
	v_mul_f32_e32 v29, v34, v32
	v_mul_f32_e32 v32, v33, v32
	v_fma_f32 v29, v33, v31, -v29
	v_fmac_f32_e32 v32, v34, v31
	v_add_f32_e32 v29, 0, v29
	v_add_f32_e32 v31, 0, v32
	s_and_saveexec_b64 s[14:15], s[12:13]
	s_cbranch_execnz .LBB156_1158
; %bb.750:
	s_or_b64 exec, exec, s[14:15]
	v_cmp_gt_u32_e64 s[12:13], 8, v1
	s_and_saveexec_b64 s[14:15], s[12:13]
	s_cbranch_execnz .LBB156_1159
.LBB156_751:
	s_or_b64 exec, exec, s[14:15]
	v_cmp_gt_u32_e64 s[12:13], 4, v1
	s_and_saveexec_b64 s[14:15], s[12:13]
	s_cbranch_execz .LBB156_753
.LBB156_752:
	v_lshlrev_b32_e32 v30, 3, v0
	v_mov_b32_e32 v34, 0
	ds_read_b64 v[32:33], v30 offset:22368
	ds_read_b64 v[34:35], v34 offset:20824
	s_waitcnt lgkmcnt(0)
	v_mul_f32_e32 v30, v35, v33
	v_mul_f32_e32 v33, v34, v33
	v_fma_f32 v30, v34, v32, -v30
	v_fmac_f32_e32 v33, v35, v32
	v_add_f32_e32 v29, v29, v30
	v_add_f32_e32 v31, v31, v33
.LBB156_753:
	s_or_b64 exec, exec, s[14:15]
	v_xor_b32_e32 v30, 0x80000000, v29
	v_xor_b32_e32 v29, 0x80000000, v31
.LBB156_754:
	s_or_b64 exec, exec, s[0:1]
	s_and_saveexec_b64 s[0:1], s[48:49]
	s_cbranch_execz .LBB156_756
; %bb.755:
	v_mov_b32_e32 v31, 0
	ds_read_b64 v[31:32], v31 offset:22880
	s_waitcnt lgkmcnt(0)
	v_mul_f32_e32 v34, v29, v32
	v_mul_f32_e32 v33, v30, v32
	v_fma_f32 v32, v30, v31, -v34
	v_fmac_f32_e32 v33, v29, v31
	v_mov_b32_e32 v30, v32
	v_mov_b32_e32 v29, v33
	ds_write_b64 v16, v[32:33]
.LBB156_756:
	s_or_b64 exec, exec, s[0:1]
	s_waitcnt lgkmcnt(0)
	s_barrier
	s_and_saveexec_b64 s[0:1], s[50:51]
	s_cbranch_execz .LBB156_758
; %bb.757:
	ds_read_b64 v[31:32], v15 offset:22880
	ds_read_b64 v[33:34], v16
	s_waitcnt lgkmcnt(0)
	v_mul_f32_e32 v35, v34, v32
	v_mul_f32_e32 v32, v33, v32
	v_fma_f32 v33, v33, v31, -v35
	v_fmac_f32_e32 v32, v34, v31
	v_add_f32_e32 v30, v30, v33
	v_add_f32_e32 v29, v29, v32
.LBB156_758:
	s_or_b64 exec, exec, s[0:1]
	s_barrier
	s_and_saveexec_b64 s[0:1], s[52:53]
	s_cbranch_execz .LBB156_760
; %bb.759:
	v_mov_b32_e32 v31, 0
	ds_read_b64 v[31:32], v31 offset:23400
	s_waitcnt lgkmcnt(0)
	v_mul_f32_e32 v34, v29, v32
	v_mul_f32_e32 v33, v30, v32
	v_fma_f32 v32, v30, v31, -v34
	v_fmac_f32_e32 v33, v29, v31
	v_mov_b32_e32 v30, v32
	v_mov_b32_e32 v29, v33
	ds_write_b64 v16, v[32:33]
.LBB156_760:
	s_or_b64 exec, exec, s[0:1]
	s_waitcnt lgkmcnt(0)
	s_barrier
	s_and_saveexec_b64 s[0:1], s[54:55]
	s_cbranch_execz .LBB156_762
; %bb.761:
	ds_read_b64 v[31:32], v15 offset:23392
	ds_read_b64 v[33:34], v16
	s_waitcnt lgkmcnt(0)
	v_mul_f32_e32 v35, v34, v32
	v_mul_f32_e32 v32, v33, v32
	v_fma_f32 v33, v33, v31, -v35
	v_fmac_f32_e32 v32, v34, v31
	v_add_f32_e32 v30, v30, v33
	v_add_f32_e32 v29, v29, v32
.LBB156_762:
	s_or_b64 exec, exec, s[0:1]
	s_barrier
	s_and_saveexec_b64 s[0:1], s[56:57]
	s_cbranch_execz .LBB156_764
; %bb.763:
	v_mov_b32_e32 v31, 0
	ds_read_b64 v[31:32], v31 offset:23920
	s_waitcnt lgkmcnt(0)
	v_mul_f32_e32 v34, v29, v32
	v_mul_f32_e32 v33, v30, v32
	v_fma_f32 v32, v30, v31, -v34
	v_fmac_f32_e32 v33, v29, v31
	v_mov_b32_e32 v30, v32
	v_mov_b32_e32 v29, v33
	ds_write_b64 v16, v[32:33]
.LBB156_764:
	s_or_b64 exec, exec, s[0:1]
	s_waitcnt lgkmcnt(0)
	s_barrier
	s_and_saveexec_b64 s[0:1], s[46:47]
	s_cbranch_execz .LBB156_766
; %bb.765:
	v_mov_b32_e32 v31, 0
	ds_read_b64 v[31:32], v31 offset:23928
	ds_read_b64 v[33:34], v16
	s_waitcnt lgkmcnt(0)
	v_mul_f32_e32 v35, v34, v32
	v_mul_f32_e32 v32, v33, v32
	v_fma_f32 v33, v33, v31, -v35
	v_fmac_f32_e32 v32, v34, v31
	v_add_f32_e32 v30, v30, v33
	v_add_f32_e32 v29, v29, v32
.LBB156_766:
	s_or_b64 exec, exec, s[0:1]
	s_barrier
	s_and_saveexec_b64 s[0:1], s[46:47]
	s_cbranch_execz .LBB156_768
; %bb.767:
	v_mov_b32_e32 v31, 0
	ds_read_b64 v[31:32], v31 offset:24440
	s_waitcnt lgkmcnt(0)
	v_mul_f32_e32 v34, v29, v32
	v_mul_f32_e32 v33, v30, v32
	v_fma_f32 v32, v30, v31, -v34
	v_fmac_f32_e32 v33, v29, v31
	v_mov_b32_e32 v30, v32
	v_mov_b32_e32 v29, v33
	ds_write_b64 v16, v[32:33]
.LBB156_768:
	s_or_b64 exec, exec, s[0:1]
	s_waitcnt lgkmcnt(0)
	s_barrier
	s_barrier
	s_and_saveexec_b64 s[0:1], s[18:19]
; %bb.769:
	v_xor_b32_e32 v30, 0x80000000, v30
	v_xor_b32_e32 v31, 0x80000000, v29
	ds_write_b64 v14, v[30:31] offset:20832
; %bb.770:
	s_or_b64 exec, exec, s[0:1]
	s_waitcnt lgkmcnt(0)
	s_barrier
	s_barrier
	s_and_saveexec_b64 s[0:1], s[58:59]
	s_cbranch_execz .LBB156_772
; %bb.771:
	v_lshlrev_b32_e32 v31, 9, v0
	ds_read_b64 v[29:30], v31 offset:20832
	s_movk_i32 s12, 0xfe08
	v_mad_i32_i24 v32, v0, s12, v31
	s_waitcnt lgkmcnt(0)
	ds_write_b64 v32, v[29:30] offset:22848
	ds_read_b64 v[29:30], v31 offset:20840
	s_waitcnt lgkmcnt(0)
	ds_write_b64 v32, v[29:30] offset:23360
	ds_read_b64 v[29:30], v31 offset:20848
	;; [unrolled: 3-line block ×3, first 2 shown]
	s_waitcnt lgkmcnt(0)
	ds_write_b64 v32, v[29:30] offset:24384
.LBB156_772:
	s_or_b64 exec, exec, s[0:1]
	s_waitcnt lgkmcnt(0)
	s_barrier
	s_and_saveexec_b64 s[0:1], vcc
	s_cbranch_execz .LBB156_774
; %bb.773:
	v_mov_b32_e32 v33, 0
	ds_read_b128 v[29:32], v33 offset:22880
	ds_read_b64 v[33:34], v33 offset:23400
	s_movk_i32 s12, 0x5800
	s_waitcnt lgkmcnt(0)
	v_mul_f32_e32 v35, v34, v30
	v_mul_f32_e32 v36, v33, v30
	v_fma_f32 v33, v33, v29, -v35
	v_fmac_f32_e32 v36, v34, v29
	v_mul_f32_e32 v29, v36, v32
	v_mul_f32_e32 v30, v33, v32
	v_fma_f32 v29, v33, v31, -v29
	v_fmac_f32_e32 v30, v36, v31
	v_add_u32_e64 v31, s12, 0
	ds_write2_b64 v31, v[29:30], v[29:30] offset0:45 offset1:108
.LBB156_774:
	s_or_b64 exec, exec, s[0:1]
	v_mov_b32_e32 v29, 0
	v_mov_b32_e32 v30, 0
	s_waitcnt lgkmcnt(0)
	s_barrier
	s_and_saveexec_b64 s[0:1], s[2:3]
	s_cbranch_execz .LBB156_778
; %bb.775:
	v_mul_u32_u24_e32 v31, 0x208, v13
	ds_read_b64 v[29:30], v11 offset:22896
	ds_read_b64 v[31:32], v31 offset:22880
	v_cmp_gt_u32_e64 s[12:13], 2, v1
	s_waitcnt lgkmcnt(0)
	v_mul_f32_e32 v33, v32, v30
	v_mul_f32_e32 v30, v31, v30
	v_fma_f32 v31, v31, v29, -v33
	v_fmac_f32_e32 v30, v32, v29
	v_add_f32_e32 v29, 0, v31
	v_add_f32_e32 v31, 0, v30
	s_and_saveexec_b64 s[14:15], s[12:13]
	s_cbranch_execz .LBB156_777
; %bb.776:
	v_lshlrev_b32_e32 v30, 3, v0
	v_mov_b32_e32 v34, 0
	ds_read_b64 v[32:33], v30 offset:23408
	ds_read_b64 v[34:35], v34 offset:22888
	s_waitcnt lgkmcnt(0)
	v_mul_f32_e32 v30, v35, v33
	v_mul_f32_e32 v33, v34, v33
	v_fma_f32 v30, v34, v32, -v30
	v_fmac_f32_e32 v33, v35, v32
	v_add_f32_e32 v29, v29, v30
	v_add_f32_e32 v31, v31, v33
.LBB156_777:
	s_or_b64 exec, exec, s[14:15]
	v_xor_b32_e32 v30, 0x80000000, v29
	v_xor_b32_e32 v29, 0x80000000, v31
.LBB156_778:
	s_or_b64 exec, exec, s[0:1]
	s_and_saveexec_b64 s[0:1], s[42:43]
	s_cbranch_execz .LBB156_780
; %bb.779:
	v_mov_b32_e32 v31, 0
	ds_read_b64 v[31:32], v31 offset:23920
	s_waitcnt lgkmcnt(0)
	v_mul_f32_e32 v34, v29, v32
	v_mul_f32_e32 v33, v30, v32
	v_fma_f32 v32, v30, v31, -v34
	v_fmac_f32_e32 v33, v29, v31
	v_mov_b32_e32 v30, v32
	v_mov_b32_e32 v29, v33
	ds_write_b64 v12, v[32:33]
.LBB156_780:
	s_or_b64 exec, exec, s[0:1]
	s_waitcnt lgkmcnt(0)
	s_barrier
	s_and_saveexec_b64 s[0:1], s[40:41]
	s_cbranch_execz .LBB156_782
; %bb.781:
	v_mov_b32_e32 v31, 0
	ds_read_b64 v[31:32], v31 offset:23928
	ds_read_b64 v[33:34], v12
	s_waitcnt lgkmcnt(0)
	v_mul_f32_e32 v35, v34, v32
	v_mul_f32_e32 v32, v33, v32
	v_fma_f32 v33, v33, v31, -v35
	v_fmac_f32_e32 v32, v34, v31
	v_add_f32_e32 v30, v30, v33
	v_add_f32_e32 v29, v29, v32
.LBB156_782:
	s_or_b64 exec, exec, s[0:1]
	s_barrier
	s_and_saveexec_b64 s[0:1], s[40:41]
	s_cbranch_execz .LBB156_784
; %bb.783:
	v_mov_b32_e32 v31, 0
	ds_read_b64 v[31:32], v31 offset:24440
	s_waitcnt lgkmcnt(0)
	v_mul_f32_e32 v34, v29, v32
	v_mul_f32_e32 v33, v30, v32
	v_fma_f32 v32, v30, v31, -v34
	v_fmac_f32_e32 v33, v29, v31
	v_mov_b32_e32 v30, v32
	v_mov_b32_e32 v29, v33
	ds_write_b64 v12, v[32:33]
.LBB156_784:
	s_or_b64 exec, exec, s[0:1]
	s_waitcnt lgkmcnt(0)
	s_barrier
	s_barrier
	s_and_saveexec_b64 s[0:1], s[2:3]
; %bb.785:
	v_xor_b32_e32 v31, 0x80000000, v29
	v_xor_b32_e32 v30, 0x80000000, v30
	ds_write_b64 v11, v[30:31] offset:22896
; %bb.786:
	s_or_b64 exec, exec, s[0:1]
	s_waitcnt lgkmcnt(0)
	s_barrier
	s_barrier
	s_and_saveexec_b64 s[0:1], s[44:45]
	s_cbranch_execz .LBB156_788
; %bb.787:
	v_lshlrev_b32_e32 v31, 3, v0
	s_movk_i32 s12, 0x1f8
	v_mad_u32_u24 v32, v0, s12, v31
	ds_read_b64 v[29:30], v32 offset:22896
	s_waitcnt lgkmcnt(0)
	ds_write_b64 v31, v[29:30] offset:23904
	ds_read_b64 v[29:30], v32 offset:22904
	s_waitcnt lgkmcnt(0)
	ds_write_b64 v31, v[29:30] offset:24416
.LBB156_788:
	s_or_b64 exec, exec, s[0:1]
	s_waitcnt lgkmcnt(0)
	s_barrier
	s_and_saveexec_b64 s[0:1], vcc
	s_cbranch_execz .LBB156_790
; %bb.789:
	v_mov_b32_e32 v33, 0
	ds_read_b128 v[29:32], v33 offset:23920
	ds_read_b64 v[33:34], v33 offset:24440
	s_movk_i32 s12, 0x5800
	s_waitcnt lgkmcnt(0)
	v_mul_f32_e32 v35, v34, v30
	v_mul_f32_e32 v36, v33, v30
	v_fma_f32 v33, v33, v29, -v35
	v_fmac_f32_e32 v36, v34, v29
	v_mul_f32_e32 v29, v36, v32
	v_mul_f32_e32 v30, v33, v32
	v_fma_f32 v29, v33, v31, -v29
	v_fmac_f32_e32 v30, v36, v31
	v_add_u32_e64 v31, s12, 0
	ds_write2_b64 v31, v[29:30], v[29:30] offset0:175 offset1:238
.LBB156_790:
	s_or_b64 exec, exec, s[0:1]
	v_mov_b32_e32 v29, 0
	v_mov_b32_e32 v30, 0
	s_waitcnt lgkmcnt(0)
	s_barrier
	s_and_saveexec_b64 s[0:1], s[10:11]
	s_cbranch_execz .LBB156_818
; %bb.791:
	v_mul_u32_u24_e32 v30, 0x208, v28
	ds_read_b64 v[31:32], v24 offset:16768
	ds_read_b64 v[33:34], v30 offset:16640
	s_movk_i32 s12, 0xf0
	v_cmp_gt_u32_e64 s[12:13], s12, v1
	s_waitcnt lgkmcnt(0)
	v_mul_f32_e32 v29, v34, v32
	v_mul_f32_e32 v32, v33, v32
	v_fma_f32 v29, v33, v31, -v29
	v_fmac_f32_e32 v32, v34, v31
	v_add_f32_e32 v29, 0, v29
	v_add_f32_e32 v31, 0, v32
	s_and_saveexec_b64 s[14:15], s[12:13]
	s_cbranch_execz .LBB156_793
; %bb.792:
	v_lshlrev_b32_e32 v32, 3, v28
	v_sub_u32_e32 v32, v30, v32
	v_lshl_add_u32 v32, v25, 3, v32
	ds_read_b64 v[32:33], v32 offset:17280
	ds_read_b64 v[34:35], v30 offset:16648
	s_waitcnt lgkmcnt(0)
	v_mul_f32_e32 v36, v35, v33
	v_mul_f32_e32 v33, v34, v33
	v_fma_f32 v34, v34, v32, -v36
	v_fmac_f32_e32 v33, v35, v32
	v_add_f32_e32 v29, v29, v34
	v_add_f32_e32 v31, v31, v33
.LBB156_793:
	s_or_b64 exec, exec, s[14:15]
	s_movk_i32 s12, 0xe0
	v_cmp_gt_u32_e64 s[12:13], s12, v1
	s_and_saveexec_b64 s[14:15], s[12:13]
	s_cbranch_execz .LBB156_795
; %bb.794:
	v_lshlrev_b32_e32 v32, 3, v28
	v_sub_u32_e32 v32, v30, v32
	v_lshl_add_u32 v32, v25, 3, v32
	ds_read_b64 v[32:33], v32 offset:17792
	ds_read_b64 v[34:35], v30 offset:16656
	s_waitcnt lgkmcnt(0)
	v_mul_f32_e32 v36, v35, v33
	v_mul_f32_e32 v33, v34, v33
	v_fma_f32 v34, v34, v32, -v36
	v_fmac_f32_e32 v33, v35, v32
	v_add_f32_e32 v29, v29, v34
	v_add_f32_e32 v31, v31, v33
.LBB156_795:
	s_or_b64 exec, exec, s[14:15]
	s_movk_i32 s12, 0xd0
	v_cmp_gt_u32_e64 s[12:13], s12, v1
	;; [unrolled: 19-line block ×6, first 2 shown]
	s_and_saveexec_b64 s[14:15], s[12:13]
	s_cbranch_execz .LBB156_805
; %bb.804:
	v_lshlrev_b32_e32 v28, 3, v25
	v_lshl_add_u32 v28, v27, 3, v28
	ds_read_b64 v[32:33], v28 offset:20352
	ds_read_b64 v[34:35], v30 offset:16696
	s_waitcnt lgkmcnt(0)
	v_mul_f32_e32 v28, v35, v33
	v_mul_f32_e32 v33, v34, v33
	v_fma_f32 v28, v34, v32, -v28
	v_fmac_f32_e32 v33, v35, v32
	v_add_f32_e32 v29, v29, v28
	v_add_f32_e32 v31, v31, v33
.LBB156_805:
	s_or_b64 exec, exec, s[14:15]
	s_movk_i32 s12, 0x80
	v_cmp_gt_u32_e64 s[12:13], s12, v1
	s_and_saveexec_b64 s[14:15], s[12:13]
	s_cbranch_execz .LBB156_807
; %bb.806:
	ds_read_b64 v[32:33], v24 offset:20864
	ds_read_b64 v[34:35], v30 offset:16704
	s_waitcnt lgkmcnt(0)
	v_mul_f32_e32 v28, v35, v33
	v_mul_f32_e32 v33, v34, v33
	v_fma_f32 v28, v34, v32, -v28
	v_fmac_f32_e32 v33, v35, v32
	v_add_f32_e32 v29, v29, v28
	v_add_f32_e32 v31, v31, v33
.LBB156_807:
	s_or_b64 exec, exec, s[14:15]
	s_movk_i32 s12, 0x70
	v_cmp_gt_u32_e64 s[12:13], s12, v1
	s_and_saveexec_b64 s[14:15], s[12:13]
	s_cbranch_execz .LBB156_809
; %bb.808:
	v_lshlrev_b32_e32 v28, 3, v25
	v_lshl_add_u32 v28, v27, 3, v28
	ds_read_b64 v[32:33], v28 offset:21376
	ds_read_b64 v[34:35], v30 offset:16712
	s_waitcnt lgkmcnt(0)
	v_mul_f32_e32 v28, v35, v33
	v_mul_f32_e32 v33, v34, v33
	v_fma_f32 v28, v34, v32, -v28
	v_fmac_f32_e32 v33, v35, v32
	v_add_f32_e32 v29, v29, v28
	v_add_f32_e32 v31, v31, v33
.LBB156_809:
	s_or_b64 exec, exec, s[14:15]
	s_movk_i32 s12, 0x60
	v_cmp_gt_u32_e64 s[12:13], s12, v1
	s_and_saveexec_b64 s[14:15], s[12:13]
	s_cbranch_execz .LBB156_811
; %bb.810:
	v_lshlrev_b32_e32 v28, 3, v25
	v_lshl_add_u32 v28, v27, 3, v28
	ds_read_b64 v[32:33], v28 offset:21888
	ds_read_b64 v[34:35], v30 offset:16720
	s_waitcnt lgkmcnt(0)
	v_mul_f32_e32 v28, v35, v33
	v_mul_f32_e32 v33, v34, v33
	v_fma_f32 v28, v34, v32, -v28
	v_fmac_f32_e32 v33, v35, v32
	v_add_f32_e32 v29, v29, v28
	v_add_f32_e32 v31, v31, v33
.LBB156_811:
	s_or_b64 exec, exec, s[14:15]
	s_movk_i32 s12, 0x50
	v_cmp_gt_u32_e64 s[12:13], s12, v1
	s_and_saveexec_b64 s[14:15], s[12:13]
	s_cbranch_execnz .LBB156_1160
; %bb.812:
	s_or_b64 exec, exec, s[14:15]
	v_cmp_gt_u32_e64 s[12:13], 64, v1
	s_and_saveexec_b64 s[14:15], s[12:13]
	s_cbranch_execnz .LBB156_1161
.LBB156_813:
	s_or_b64 exec, exec, s[14:15]
	v_cmp_gt_u32_e64 s[12:13], 48, v1
	s_and_saveexec_b64 s[14:15], s[12:13]
	s_cbranch_execnz .LBB156_1162
.LBB156_814:
	s_or_b64 exec, exec, s[14:15]
	v_cmp_gt_u32_e64 s[12:13], 32, v1
	s_and_saveexec_b64 s[14:15], s[12:13]
	s_cbranch_execnz .LBB156_1163
.LBB156_815:
	s_or_b64 exec, exec, s[14:15]
	v_cmp_gt_u32_e64 s[12:13], 16, v1
	s_and_saveexec_b64 s[14:15], s[12:13]
	s_cbranch_execz .LBB156_817
.LBB156_816:
	v_lshlrev_b32_e32 v27, 3, v0
	v_mov_b32_e32 v30, 0
	ds_read_b64 v[27:28], v27 offset:24448
	ds_read_b64 v[32:33], v30 offset:16760
	s_waitcnt lgkmcnt(0)
	v_mul_f32_e32 v30, v33, v28
	v_mul_f32_e32 v28, v32, v28
	v_fma_f32 v30, v32, v27, -v30
	v_fmac_f32_e32 v28, v33, v27
	v_add_f32_e32 v29, v29, v30
	v_add_f32_e32 v31, v31, v28
.LBB156_817:
	s_or_b64 exec, exec, s[14:15]
	v_xor_b32_e32 v30, 0x80000000, v29
	v_xor_b32_e32 v29, 0x80000000, v31
.LBB156_818:
	s_or_b64 exec, exec, s[0:1]
	s_mov_b64 s[0:1], exec
	v_readlane_b32 s12, v43, 7
	v_readlane_b32 s13, v43, 8
	s_and_b64 s[12:13], s[0:1], s[12:13]
	s_mov_b64 exec, s[12:13]
	s_cbranch_execz .LBB156_820
; %bb.819:
	v_mov_b32_e32 v27, 0
	ds_read_b64 v[27:28], v27 offset:24960
	s_waitcnt lgkmcnt(0)
	v_mul_f32_e32 v31, v30, v28
	v_mul_f32_e32 v32, v29, v28
	v_fmac_f32_e32 v31, v29, v27
	v_fma_f32 v30, v30, v27, -v32
	v_mov_b32_e32 v29, v31
	ds_write_b64 v26, v[30:31]
.LBB156_820:
	s_or_b64 exec, exec, s[0:1]
	s_waitcnt lgkmcnt(0)
	s_barrier
	s_mov_b64 s[0:1], exec
	v_readlane_b32 s12, v43, 9
	v_readlane_b32 s13, v43, 10
	s_and_b64 s[12:13], s[0:1], s[12:13]
	s_mov_b64 exec, s[12:13]
	s_cbranch_execz .LBB156_822
; %bb.821:
	v_lshlrev_b32_e32 v27, 3, v25
	ds_read_b64 v[27:28], v27 offset:24960
	ds_read_b64 v[31:32], v26
	s_waitcnt lgkmcnt(0)
	v_mul_f32_e32 v33, v32, v28
	v_mul_f32_e32 v28, v31, v28
	v_fma_f32 v31, v31, v27, -v33
	v_fmac_f32_e32 v28, v32, v27
	v_add_f32_e32 v30, v30, v31
	v_add_f32_e32 v29, v29, v28
.LBB156_822:
	s_or_b64 exec, exec, s[0:1]
	s_barrier
	s_mov_b64 s[0:1], exec
	v_readlane_b32 s12, v43, 11
	v_readlane_b32 s13, v43, 12
	s_and_b64 s[12:13], s[0:1], s[12:13]
	s_mov_b64 exec, s[12:13]
	s_cbranch_execz .LBB156_824
; %bb.823:
	v_mov_b32_e32 v27, 0
	ds_read_b64 v[27:28], v27 offset:25480
	s_waitcnt lgkmcnt(0)
	v_mul_f32_e32 v31, v30, v28
	v_mul_f32_e32 v32, v29, v28
	v_fmac_f32_e32 v31, v29, v27
	v_fma_f32 v30, v30, v27, -v32
	v_mov_b32_e32 v29, v31
	ds_write_b64 v26, v[30:31]
.LBB156_824:
	s_or_b64 exec, exec, s[0:1]
	s_waitcnt lgkmcnt(0)
	s_barrier
	s_mov_b64 s[0:1], exec
	v_readlane_b32 s12, v43, 13
	v_readlane_b32 s13, v43, 14
	s_and_b64 s[12:13], s[0:1], s[12:13]
	s_mov_b64 exec, s[12:13]
	s_cbranch_execz .LBB156_826
; %bb.825:
	v_lshlrev_b32_e32 v27, 3, v25
	ds_read_b64 v[27:28], v27 offset:25472
	ds_read_b64 v[31:32], v26
	s_waitcnt lgkmcnt(0)
	v_mul_f32_e32 v33, v32, v28
	v_mul_f32_e32 v28, v31, v28
	v_fma_f32 v31, v31, v27, -v33
	v_fmac_f32_e32 v28, v32, v27
	v_add_f32_e32 v30, v30, v31
	v_add_f32_e32 v29, v29, v28
.LBB156_826:
	s_or_b64 exec, exec, s[0:1]
	s_barrier
	;; [unrolled: 40-line block ×14, first 2 shown]
	s_mov_b64 s[0:1], exec
	v_readlane_b32 s12, v43, 63
	v_readlane_b32 s13, v42, 0
	s_and_b64 s[12:13], s[0:1], s[12:13]
	s_mov_b64 exec, s[12:13]
	s_cbranch_execz .LBB156_876
; %bb.875:
	v_mov_b32_e32 v25, 0
	ds_read_b64 v[27:28], v25 offset:32240
	s_waitcnt lgkmcnt(0)
	v_mul_f32_e32 v31, v30, v28
	v_mul_f32_e32 v25, v29, v28
	v_fmac_f32_e32 v31, v29, v27
	v_fma_f32 v30, v30, v27, -v25
	v_mov_b32_e32 v29, v31
	ds_write_b64 v26, v[30:31]
.LBB156_876:
	s_or_b64 exec, exec, s[0:1]
	s_waitcnt lgkmcnt(0)
	s_barrier
	s_and_saveexec_b64 s[0:1], s[90:91]
	s_cbranch_execz .LBB156_878
; %bb.877:
	v_mov_b32_e32 v25, 0
	ds_read_b64 v[27:28], v25 offset:32248
	ds_read_b64 v[31:32], v26
	s_waitcnt lgkmcnt(0)
	v_mul_f32_e32 v25, v32, v28
	v_mul_f32_e32 v28, v31, v28
	v_fma_f32 v25, v31, v27, -v25
	v_fmac_f32_e32 v28, v32, v27
	v_add_f32_e32 v30, v30, v25
	v_add_f32_e32 v29, v29, v28
.LBB156_878:
	s_or_b64 exec, exec, s[0:1]
	s_barrier
	s_and_saveexec_b64 s[0:1], s[90:91]
	s_cbranch_execz .LBB156_880
; %bb.879:
	v_mov_b32_e32 v25, 0
	ds_read_b64 v[27:28], v25 offset:32760
	s_waitcnt lgkmcnt(0)
	v_mul_f32_e32 v31, v30, v28
	v_mul_f32_e32 v25, v29, v28
	v_fmac_f32_e32 v31, v29, v27
	v_fma_f32 v30, v30, v27, -v25
	v_mov_b32_e32 v29, v31
	ds_write_b64 v26, v[30:31]
.LBB156_880:
	s_or_b64 exec, exec, s[0:1]
	s_waitcnt lgkmcnt(0)
	s_barrier
	s_barrier
	s_and_saveexec_b64 s[0:1], s[10:11]
; %bb.881:
	v_xor_b32_e32 v25, 0x80000000, v30
	v_xor_b32_e32 v26, 0x80000000, v29
	ds_write_b64 v24, v[25:26] offset:16768
; %bb.882:
	s_or_b64 exec, exec, s[0:1]
	s_waitcnt lgkmcnt(0)
	s_barrier
	s_barrier
	s_and_saveexec_b64 s[0:1], s[94:95]
	s_cbranch_execz .LBB156_884
; %bb.883:
	v_lshlrev_b32_e32 v26, 9, v0
	ds_read_b64 v[24:25], v26 offset:16768
	s_movk_i32 s10, 0xfe08
	v_mad_i32_i24 v27, v0, s10, v26
	s_waitcnt lgkmcnt(0)
	ds_write_b64 v27, v[24:25] offset:24832
	ds_read_b64 v[24:25], v26 offset:16776
	s_waitcnt lgkmcnt(0)
	ds_write_b64 v27, v[24:25] offset:25344
	ds_read_b64 v[24:25], v26 offset:16784
	;; [unrolled: 3-line block ×15, first 2 shown]
	s_waitcnt lgkmcnt(0)
	ds_write_b64 v27, v[24:25] offset:32512
.LBB156_884:
	s_or_b64 exec, exec, s[0:1]
	s_waitcnt lgkmcnt(0)
	s_barrier
	s_and_saveexec_b64 s[0:1], vcc
	s_cbranch_execz .LBB156_886
; %bb.885:
	v_mov_b32_e32 v28, 0
	ds_read_b128 v[24:27], v28 offset:24960
	ds_read_b64 v[28:29], v28 offset:25480
	s_movk_i32 s10, 0x6000
	s_waitcnt lgkmcnt(0)
	v_mul_f32_e32 v30, v29, v25
	v_mul_f32_e32 v31, v28, v25
	v_fma_f32 v28, v28, v24, -v30
	v_fmac_f32_e32 v31, v29, v24
	v_mul_f32_e32 v24, v31, v27
	v_mul_f32_e32 v25, v28, v27
	v_fma_f32 v24, v28, v26, -v24
	v_fmac_f32_e32 v25, v31, v26
	v_add_u32_e64 v26, s10, 0
	ds_write2_b64 v26, v[24:25], v[24:25] offset0:49 offset1:112
.LBB156_886:
	s_or_b64 exec, exec, s[0:1]
	v_mov_b32_e32 v24, 0
	v_mov_b32_e32 v25, 0
	s_waitcnt lgkmcnt(0)
	s_barrier
	s_and_saveexec_b64 s[0:1], s[2:3]
	s_cbranch_execz .LBB156_890
; %bb.887:
	v_mul_u32_u24_e32 v26, 0x208, v13
	ds_read_b64 v[24:25], v11 offset:24976
	ds_read_b64 v[26:27], v26 offset:24960
	v_cmp_gt_u32_e64 s[10:11], 2, v1
	s_waitcnt lgkmcnt(0)
	v_mul_f32_e32 v28, v27, v25
	v_mul_f32_e32 v25, v26, v25
	v_fma_f32 v26, v26, v24, -v28
	v_fmac_f32_e32 v25, v27, v24
	v_add_f32_e32 v24, 0, v26
	v_add_f32_e32 v26, 0, v25
	s_and_saveexec_b64 s[12:13], s[10:11]
	s_cbranch_execz .LBB156_889
; %bb.888:
	v_lshlrev_b32_e32 v25, 3, v0
	v_mov_b32_e32 v29, 0
	ds_read_b64 v[27:28], v25 offset:25488
	ds_read_b64 v[29:30], v29 offset:24968
	s_waitcnt lgkmcnt(0)
	v_mul_f32_e32 v25, v30, v28
	v_mul_f32_e32 v28, v29, v28
	v_fma_f32 v25, v29, v27, -v25
	v_fmac_f32_e32 v28, v30, v27
	v_add_f32_e32 v24, v24, v25
	v_add_f32_e32 v26, v26, v28
.LBB156_889:
	s_or_b64 exec, exec, s[12:13]
	v_xor_b32_e32 v25, 0x80000000, v24
	v_xor_b32_e32 v24, 0x80000000, v26
.LBB156_890:
	s_or_b64 exec, exec, s[0:1]
	s_and_saveexec_b64 s[0:1], s[42:43]
	s_cbranch_execz .LBB156_892
; %bb.891:
	v_mov_b32_e32 v26, 0
	ds_read_b64 v[26:27], v26 offset:26000
	s_waitcnt lgkmcnt(0)
	v_mul_f32_e32 v29, v24, v27
	v_mul_f32_e32 v28, v25, v27
	v_fma_f32 v27, v25, v26, -v29
	v_fmac_f32_e32 v28, v24, v26
	v_mov_b32_e32 v25, v27
	v_mov_b32_e32 v24, v28
	ds_write_b64 v12, v[27:28]
.LBB156_892:
	s_or_b64 exec, exec, s[0:1]
	s_waitcnt lgkmcnt(0)
	s_barrier
	s_and_saveexec_b64 s[0:1], s[40:41]
	s_cbranch_execz .LBB156_894
; %bb.893:
	v_mov_b32_e32 v26, 0
	ds_read_b64 v[26:27], v26 offset:26008
	ds_read_b64 v[28:29], v12
	s_waitcnt lgkmcnt(0)
	v_mul_f32_e32 v30, v29, v27
	v_mul_f32_e32 v27, v28, v27
	v_fma_f32 v28, v28, v26, -v30
	v_fmac_f32_e32 v27, v29, v26
	v_add_f32_e32 v25, v25, v28
	v_add_f32_e32 v24, v24, v27
.LBB156_894:
	s_or_b64 exec, exec, s[0:1]
	s_barrier
	s_and_saveexec_b64 s[0:1], s[40:41]
	s_cbranch_execz .LBB156_896
; %bb.895:
	v_mov_b32_e32 v26, 0
	ds_read_b64 v[26:27], v26 offset:26520
	s_waitcnt lgkmcnt(0)
	v_mul_f32_e32 v29, v24, v27
	v_mul_f32_e32 v28, v25, v27
	v_fma_f32 v27, v25, v26, -v29
	v_fmac_f32_e32 v28, v24, v26
	v_mov_b32_e32 v25, v27
	v_mov_b32_e32 v24, v28
	ds_write_b64 v12, v[27:28]
.LBB156_896:
	s_or_b64 exec, exec, s[0:1]
	s_waitcnt lgkmcnt(0)
	s_barrier
	s_barrier
	s_and_saveexec_b64 s[0:1], s[2:3]
; %bb.897:
	v_xor_b32_e32 v26, 0x80000000, v24
	v_xor_b32_e32 v25, 0x80000000, v25
	ds_write_b64 v11, v[25:26] offset:24976
; %bb.898:
	s_or_b64 exec, exec, s[0:1]
	s_waitcnt lgkmcnt(0)
	s_barrier
	s_barrier
	s_and_saveexec_b64 s[0:1], s[44:45]
	s_cbranch_execz .LBB156_900
; %bb.899:
	v_lshlrev_b32_e32 v26, 3, v0
	s_movk_i32 s10, 0x1f8
	v_mad_u32_u24 v27, v0, s10, v26
	ds_read_b64 v[24:25], v27 offset:24976
	s_waitcnt lgkmcnt(0)
	ds_write_b64 v26, v[24:25] offset:25984
	ds_read_b64 v[24:25], v27 offset:24984
	s_waitcnt lgkmcnt(0)
	ds_write_b64 v26, v[24:25] offset:26496
.LBB156_900:
	s_or_b64 exec, exec, s[0:1]
	s_waitcnt lgkmcnt(0)
	s_barrier
	s_and_saveexec_b64 s[0:1], vcc
	s_cbranch_execz .LBB156_902
; %bb.901:
	v_mov_b32_e32 v28, 0
	ds_read_b128 v[24:27], v28 offset:26000
	ds_read_b64 v[28:29], v28 offset:26520
	s_movk_i32 s10, 0x6000
	s_waitcnt lgkmcnt(0)
	v_mul_f32_e32 v30, v29, v25
	v_mul_f32_e32 v31, v28, v25
	v_fma_f32 v28, v28, v24, -v30
	v_fmac_f32_e32 v31, v29, v24
	v_mul_f32_e32 v24, v31, v27
	v_mul_f32_e32 v25, v28, v27
	v_fma_f32 v24, v28, v26, -v24
	v_fmac_f32_e32 v25, v31, v26
	v_add_u32_e64 v26, s10, 0
	ds_write2_b64 v26, v[24:25], v[24:25] offset0:179 offset1:242
.LBB156_902:
	s_or_b64 exec, exec, s[0:1]
	v_mov_b32_e32 v24, 0
	v_mov_b32_e32 v25, 0
	s_waitcnt lgkmcnt(0)
	s_barrier
	s_and_saveexec_b64 s[0:1], s[18:19]
	s_cbranch_execz .LBB156_908
; %bb.903:
	v_mul_u32_u24_e32 v25, 0x208, v18
	ds_read_b64 v[26:27], v14 offset:24992
	ds_read_b64 v[28:29], v25 offset:24960
	v_cmp_gt_u32_e64 s[10:11], 12, v1
	s_waitcnt lgkmcnt(0)
	v_mul_f32_e32 v24, v29, v27
	v_mul_f32_e32 v27, v28, v27
	v_fma_f32 v24, v28, v26, -v24
	v_fmac_f32_e32 v27, v29, v26
	v_add_f32_e32 v24, 0, v24
	v_add_f32_e32 v26, 0, v27
	s_and_saveexec_b64 s[12:13], s[10:11]
	s_cbranch_execnz .LBB156_1164
; %bb.904:
	s_or_b64 exec, exec, s[12:13]
	v_cmp_gt_u32_e64 s[10:11], 8, v1
	s_and_saveexec_b64 s[12:13], s[10:11]
	s_cbranch_execnz .LBB156_1165
.LBB156_905:
	s_or_b64 exec, exec, s[12:13]
	v_cmp_gt_u32_e64 s[10:11], 4, v1
	s_and_saveexec_b64 s[12:13], s[10:11]
	s_cbranch_execz .LBB156_907
.LBB156_906:
	v_lshlrev_b32_e32 v25, 3, v0
	v_mov_b32_e32 v29, 0
	ds_read_b64 v[27:28], v25 offset:26528
	ds_read_b64 v[29:30], v29 offset:24984
	s_waitcnt lgkmcnt(0)
	v_mul_f32_e32 v25, v30, v28
	v_mul_f32_e32 v28, v29, v28
	v_fma_f32 v25, v29, v27, -v25
	v_fmac_f32_e32 v28, v30, v27
	v_add_f32_e32 v24, v24, v25
	v_add_f32_e32 v26, v26, v28
.LBB156_907:
	s_or_b64 exec, exec, s[12:13]
	v_xor_b32_e32 v25, 0x80000000, v24
	v_xor_b32_e32 v24, 0x80000000, v26
.LBB156_908:
	s_or_b64 exec, exec, s[0:1]
	s_and_saveexec_b64 s[0:1], s[48:49]
	s_cbranch_execz .LBB156_910
; %bb.909:
	v_mov_b32_e32 v26, 0
	ds_read_b64 v[26:27], v26 offset:27040
	s_waitcnt lgkmcnt(0)
	v_mul_f32_e32 v29, v24, v27
	v_mul_f32_e32 v28, v25, v27
	v_fma_f32 v27, v25, v26, -v29
	v_fmac_f32_e32 v28, v24, v26
	v_mov_b32_e32 v25, v27
	v_mov_b32_e32 v24, v28
	ds_write_b64 v16, v[27:28]
.LBB156_910:
	s_or_b64 exec, exec, s[0:1]
	s_waitcnt lgkmcnt(0)
	s_barrier
	s_and_saveexec_b64 s[0:1], s[50:51]
	s_cbranch_execz .LBB156_912
; %bb.911:
	ds_read_b64 v[26:27], v15 offset:27040
	ds_read_b64 v[28:29], v16
	s_waitcnt lgkmcnt(0)
	v_mul_f32_e32 v30, v29, v27
	v_mul_f32_e32 v27, v28, v27
	v_fma_f32 v28, v28, v26, -v30
	v_fmac_f32_e32 v27, v29, v26
	v_add_f32_e32 v25, v25, v28
	v_add_f32_e32 v24, v24, v27
.LBB156_912:
	s_or_b64 exec, exec, s[0:1]
	s_barrier
	s_and_saveexec_b64 s[0:1], s[52:53]
	s_cbranch_execz .LBB156_914
; %bb.913:
	v_mov_b32_e32 v26, 0
	ds_read_b64 v[26:27], v26 offset:27560
	s_waitcnt lgkmcnt(0)
	v_mul_f32_e32 v29, v24, v27
	v_mul_f32_e32 v28, v25, v27
	v_fma_f32 v27, v25, v26, -v29
	v_fmac_f32_e32 v28, v24, v26
	v_mov_b32_e32 v25, v27
	v_mov_b32_e32 v24, v28
	ds_write_b64 v16, v[27:28]
.LBB156_914:
	s_or_b64 exec, exec, s[0:1]
	s_waitcnt lgkmcnt(0)
	s_barrier
	s_and_saveexec_b64 s[0:1], s[54:55]
	s_cbranch_execz .LBB156_916
; %bb.915:
	ds_read_b64 v[26:27], v15 offset:27552
	ds_read_b64 v[28:29], v16
	s_waitcnt lgkmcnt(0)
	v_mul_f32_e32 v30, v29, v27
	v_mul_f32_e32 v27, v28, v27
	v_fma_f32 v28, v28, v26, -v30
	v_fmac_f32_e32 v27, v29, v26
	v_add_f32_e32 v25, v25, v28
	v_add_f32_e32 v24, v24, v27
.LBB156_916:
	s_or_b64 exec, exec, s[0:1]
	s_barrier
	s_and_saveexec_b64 s[0:1], s[56:57]
	s_cbranch_execz .LBB156_918
; %bb.917:
	v_mov_b32_e32 v26, 0
	ds_read_b64 v[26:27], v26 offset:28080
	s_waitcnt lgkmcnt(0)
	v_mul_f32_e32 v29, v24, v27
	v_mul_f32_e32 v28, v25, v27
	v_fma_f32 v27, v25, v26, -v29
	v_fmac_f32_e32 v28, v24, v26
	v_mov_b32_e32 v25, v27
	v_mov_b32_e32 v24, v28
	ds_write_b64 v16, v[27:28]
.LBB156_918:
	s_or_b64 exec, exec, s[0:1]
	s_waitcnt lgkmcnt(0)
	s_barrier
	s_and_saveexec_b64 s[0:1], s[46:47]
	s_cbranch_execz .LBB156_920
; %bb.919:
	v_mov_b32_e32 v26, 0
	ds_read_b64 v[26:27], v26 offset:28088
	ds_read_b64 v[28:29], v16
	s_waitcnt lgkmcnt(0)
	v_mul_f32_e32 v30, v29, v27
	v_mul_f32_e32 v27, v28, v27
	v_fma_f32 v28, v28, v26, -v30
	v_fmac_f32_e32 v27, v29, v26
	v_add_f32_e32 v25, v25, v28
	v_add_f32_e32 v24, v24, v27
.LBB156_920:
	s_or_b64 exec, exec, s[0:1]
	s_barrier
	s_and_saveexec_b64 s[0:1], s[46:47]
	s_cbranch_execz .LBB156_922
; %bb.921:
	v_mov_b32_e32 v26, 0
	ds_read_b64 v[26:27], v26 offset:28600
	s_waitcnt lgkmcnt(0)
	v_mul_f32_e32 v29, v24, v27
	v_mul_f32_e32 v28, v25, v27
	v_fma_f32 v27, v25, v26, -v29
	v_fmac_f32_e32 v28, v24, v26
	v_mov_b32_e32 v25, v27
	v_mov_b32_e32 v24, v28
	ds_write_b64 v16, v[27:28]
.LBB156_922:
	s_or_b64 exec, exec, s[0:1]
	s_waitcnt lgkmcnt(0)
	s_barrier
	s_barrier
	s_and_saveexec_b64 s[0:1], s[18:19]
; %bb.923:
	v_xor_b32_e32 v25, 0x80000000, v25
	v_xor_b32_e32 v26, 0x80000000, v24
	ds_write_b64 v14, v[25:26] offset:24992
; %bb.924:
	s_or_b64 exec, exec, s[0:1]
	s_waitcnt lgkmcnt(0)
	s_barrier
	s_barrier
	s_and_saveexec_b64 s[0:1], s[58:59]
	s_cbranch_execz .LBB156_926
; %bb.925:
	v_lshlrev_b32_e32 v26, 9, v0
	ds_read_b64 v[24:25], v26 offset:24992
	s_movk_i32 s10, 0xfe08
	v_mad_i32_i24 v27, v0, s10, v26
	s_waitcnt lgkmcnt(0)
	ds_write_b64 v27, v[24:25] offset:27008
	ds_read_b64 v[24:25], v26 offset:25000
	s_waitcnt lgkmcnt(0)
	ds_write_b64 v27, v[24:25] offset:27520
	ds_read_b64 v[24:25], v26 offset:25008
	;; [unrolled: 3-line block ×3, first 2 shown]
	s_waitcnt lgkmcnt(0)
	ds_write_b64 v27, v[24:25] offset:28544
.LBB156_926:
	s_or_b64 exec, exec, s[0:1]
	s_waitcnt lgkmcnt(0)
	s_barrier
	s_and_saveexec_b64 s[0:1], vcc
	s_cbranch_execz .LBB156_928
; %bb.927:
	v_mov_b32_e32 v28, 0
	ds_read_b128 v[24:27], v28 offset:27040
	ds_read_b64 v[28:29], v28 offset:27560
	s_movk_i32 s10, 0x6800
	s_waitcnt lgkmcnt(0)
	v_mul_f32_e32 v30, v29, v25
	v_mul_f32_e32 v31, v28, v25
	v_fma_f32 v28, v28, v24, -v30
	v_fmac_f32_e32 v31, v29, v24
	v_mul_f32_e32 v24, v31, v27
	v_mul_f32_e32 v25, v28, v27
	v_fma_f32 v24, v28, v26, -v24
	v_fmac_f32_e32 v25, v31, v26
	v_add_u32_e64 v26, s10, 0
	ds_write2_b64 v26, v[24:25], v[24:25] offset0:53 offset1:116
.LBB156_928:
	s_or_b64 exec, exec, s[0:1]
	v_mov_b32_e32 v24, 0
	v_mov_b32_e32 v25, 0
	s_waitcnt lgkmcnt(0)
	s_barrier
	s_and_saveexec_b64 s[0:1], s[2:3]
	s_cbranch_execz .LBB156_932
; %bb.929:
	v_mul_u32_u24_e32 v26, 0x208, v13
	ds_read_b64 v[24:25], v11 offset:27056
	ds_read_b64 v[26:27], v26 offset:27040
	v_cmp_gt_u32_e64 s[10:11], 2, v1
	s_waitcnt lgkmcnt(0)
	v_mul_f32_e32 v28, v27, v25
	v_mul_f32_e32 v25, v26, v25
	v_fma_f32 v26, v26, v24, -v28
	v_fmac_f32_e32 v25, v27, v24
	v_add_f32_e32 v24, 0, v26
	v_add_f32_e32 v26, 0, v25
	s_and_saveexec_b64 s[12:13], s[10:11]
	s_cbranch_execz .LBB156_931
; %bb.930:
	v_lshlrev_b32_e32 v25, 3, v0
	v_mov_b32_e32 v29, 0
	ds_read_b64 v[27:28], v25 offset:27568
	ds_read_b64 v[29:30], v29 offset:27048
	s_waitcnt lgkmcnt(0)
	v_mul_f32_e32 v25, v30, v28
	v_mul_f32_e32 v28, v29, v28
	v_fma_f32 v25, v29, v27, -v25
	v_fmac_f32_e32 v28, v30, v27
	v_add_f32_e32 v24, v24, v25
	v_add_f32_e32 v26, v26, v28
.LBB156_931:
	s_or_b64 exec, exec, s[12:13]
	v_xor_b32_e32 v25, 0x80000000, v24
	v_xor_b32_e32 v24, 0x80000000, v26
.LBB156_932:
	s_or_b64 exec, exec, s[0:1]
	s_and_saveexec_b64 s[0:1], s[42:43]
	s_cbranch_execz .LBB156_934
; %bb.933:
	v_mov_b32_e32 v26, 0
	ds_read_b64 v[26:27], v26 offset:28080
	s_waitcnt lgkmcnt(0)
	v_mul_f32_e32 v29, v24, v27
	v_mul_f32_e32 v28, v25, v27
	v_fma_f32 v27, v25, v26, -v29
	v_fmac_f32_e32 v28, v24, v26
	v_mov_b32_e32 v25, v27
	v_mov_b32_e32 v24, v28
	ds_write_b64 v12, v[27:28]
.LBB156_934:
	s_or_b64 exec, exec, s[0:1]
	s_waitcnt lgkmcnt(0)
	s_barrier
	s_and_saveexec_b64 s[0:1], s[40:41]
	s_cbranch_execz .LBB156_936
; %bb.935:
	v_mov_b32_e32 v26, 0
	ds_read_b64 v[26:27], v26 offset:28088
	ds_read_b64 v[28:29], v12
	s_waitcnt lgkmcnt(0)
	v_mul_f32_e32 v30, v29, v27
	v_mul_f32_e32 v27, v28, v27
	v_fma_f32 v28, v28, v26, -v30
	v_fmac_f32_e32 v27, v29, v26
	v_add_f32_e32 v25, v25, v28
	v_add_f32_e32 v24, v24, v27
.LBB156_936:
	s_or_b64 exec, exec, s[0:1]
	s_barrier
	s_and_saveexec_b64 s[0:1], s[40:41]
	s_cbranch_execz .LBB156_938
; %bb.937:
	v_mov_b32_e32 v26, 0
	ds_read_b64 v[26:27], v26 offset:28600
	s_waitcnt lgkmcnt(0)
	v_mul_f32_e32 v29, v24, v27
	v_mul_f32_e32 v28, v25, v27
	v_fma_f32 v27, v25, v26, -v29
	v_fmac_f32_e32 v28, v24, v26
	v_mov_b32_e32 v25, v27
	v_mov_b32_e32 v24, v28
	ds_write_b64 v12, v[27:28]
.LBB156_938:
	s_or_b64 exec, exec, s[0:1]
	s_waitcnt lgkmcnt(0)
	s_barrier
	s_barrier
	s_and_saveexec_b64 s[0:1], s[2:3]
; %bb.939:
	v_xor_b32_e32 v26, 0x80000000, v24
	v_xor_b32_e32 v25, 0x80000000, v25
	ds_write_b64 v11, v[25:26] offset:27056
; %bb.940:
	s_or_b64 exec, exec, s[0:1]
	s_waitcnt lgkmcnt(0)
	s_barrier
	s_barrier
	s_and_saveexec_b64 s[0:1], s[44:45]
	s_cbranch_execz .LBB156_942
; %bb.941:
	v_lshlrev_b32_e32 v26, 3, v0
	s_movk_i32 s10, 0x1f8
	v_mad_u32_u24 v27, v0, s10, v26
	ds_read_b64 v[24:25], v27 offset:27056
	s_waitcnt lgkmcnt(0)
	ds_write_b64 v26, v[24:25] offset:28064
	ds_read_b64 v[24:25], v27 offset:27064
	s_waitcnt lgkmcnt(0)
	ds_write_b64 v26, v[24:25] offset:28576
.LBB156_942:
	s_or_b64 exec, exec, s[0:1]
	s_waitcnt lgkmcnt(0)
	s_barrier
	s_and_saveexec_b64 s[0:1], vcc
	s_cbranch_execz .LBB156_944
; %bb.943:
	v_mov_b32_e32 v28, 0
	ds_read_b128 v[24:27], v28 offset:28080
	ds_read_b64 v[28:29], v28 offset:28600
	s_movk_i32 s10, 0x6800
	s_waitcnt lgkmcnt(0)
	v_mul_f32_e32 v30, v29, v25
	v_mul_f32_e32 v31, v28, v25
	v_fma_f32 v28, v28, v24, -v30
	v_fmac_f32_e32 v31, v29, v24
	v_mul_f32_e32 v24, v31, v27
	v_mul_f32_e32 v25, v28, v27
	v_fma_f32 v24, v28, v26, -v24
	v_fmac_f32_e32 v25, v31, v26
	v_add_u32_e64 v26, s10, 0
	ds_write2_b64 v26, v[24:25], v[24:25] offset0:183 offset1:246
.LBB156_944:
	s_or_b64 exec, exec, s[0:1]
	v_mov_b32_e32 v24, 0
	v_mov_b32_e32 v25, 0
	s_waitcnt lgkmcnt(0)
	s_barrier
	s_and_saveexec_b64 s[0:1], s[8:9]
	s_cbranch_execz .LBB156_954
; %bb.945:
	v_mul_u32_u24_e32 v25, 0x208, v23
	ds_read_b64 v[26:27], v19 offset:25024
	ds_read_b64 v[28:29], v25 offset:24960
	v_cmp_gt_u32_e64 s[10:11], 56, v1
	s_waitcnt lgkmcnt(0)
	v_mul_f32_e32 v24, v29, v27
	v_mul_f32_e32 v27, v28, v27
	v_fma_f32 v24, v28, v26, -v24
	v_fmac_f32_e32 v27, v29, v26
	v_add_f32_e32 v24, 0, v24
	v_add_f32_e32 v26, 0, v27
	s_and_saveexec_b64 s[12:13], s[10:11]
	s_cbranch_execnz .LBB156_1166
; %bb.946:
	s_or_b64 exec, exec, s[12:13]
	v_cmp_gt_u32_e64 s[10:11], 48, v1
	s_and_saveexec_b64 s[12:13], s[10:11]
	s_cbranch_execnz .LBB156_1167
.LBB156_947:
	s_or_b64 exec, exec, s[12:13]
	v_cmp_gt_u32_e64 s[10:11], 40, v1
	s_and_saveexec_b64 s[12:13], s[10:11]
	s_cbranch_execnz .LBB156_1168
.LBB156_948:
	s_or_b64 exec, exec, s[12:13]
	v_cmp_gt_u32_e64 s[10:11], 32, v1
	s_and_saveexec_b64 s[12:13], s[10:11]
	s_cbranch_execnz .LBB156_1169
.LBB156_949:
	s_or_b64 exec, exec, s[12:13]
	v_cmp_gt_u32_e64 s[10:11], 24, v1
	s_and_saveexec_b64 s[12:13], s[10:11]
	s_cbranch_execnz .LBB156_1170
.LBB156_950:
	s_or_b64 exec, exec, s[12:13]
	v_cmp_gt_u32_e64 s[10:11], 16, v1
	s_and_saveexec_b64 s[12:13], s[10:11]
	s_cbranch_execnz .LBB156_1171
.LBB156_951:
	s_or_b64 exec, exec, s[12:13]
	v_cmp_gt_u32_e64 s[10:11], 8, v1
	s_and_saveexec_b64 s[12:13], s[10:11]
	s_cbranch_execz .LBB156_953
.LBB156_952:
	v_lshlrev_b32_e32 v22, 3, v0
	v_mov_b32_e32 v25, 0
	ds_read_b64 v[22:23], v22 offset:28608
	ds_read_b64 v[27:28], v25 offset:25016
	s_waitcnt lgkmcnt(0)
	v_mul_f32_e32 v25, v28, v23
	v_mul_f32_e32 v23, v27, v23
	v_fma_f32 v25, v27, v22, -v25
	v_fmac_f32_e32 v23, v28, v22
	v_add_f32_e32 v24, v24, v25
	v_add_f32_e32 v26, v26, v23
.LBB156_953:
	s_or_b64 exec, exec, s[12:13]
	v_xor_b32_e32 v25, 0x80000000, v24
	v_xor_b32_e32 v24, 0x80000000, v26
.LBB156_954:
	s_or_b64 exec, exec, s[0:1]
	s_and_saveexec_b64 s[0:1], s[62:63]
	s_cbranch_execz .LBB156_956
; %bb.955:
	v_mov_b32_e32 v22, 0
	ds_read_b64 v[22:23], v22 offset:29120
	s_waitcnt lgkmcnt(0)
	v_mul_f32_e32 v26, v25, v23
	v_mul_f32_e32 v27, v24, v23
	v_fmac_f32_e32 v26, v24, v22
	v_fma_f32 v25, v25, v22, -v27
	v_mov_b32_e32 v24, v26
	ds_write_b64 v21, v[25:26]
.LBB156_956:
	s_or_b64 exec, exec, s[0:1]
	s_waitcnt lgkmcnt(0)
	s_barrier
	s_and_saveexec_b64 s[0:1], s[64:65]
	v_readlane_b32 s62, v43, 5
	v_readlane_b32 s63, v43, 6
	s_cbranch_execz .LBB156_958
; %bb.957:
	ds_read_b64 v[22:23], v20 offset:29120
	ds_read_b64 v[26:27], v21
	s_waitcnt lgkmcnt(0)
	v_mul_f32_e32 v28, v27, v23
	v_mul_f32_e32 v23, v26, v23
	v_fma_f32 v26, v26, v22, -v28
	v_fmac_f32_e32 v23, v27, v22
	v_add_f32_e32 v25, v25, v26
	v_add_f32_e32 v24, v24, v23
.LBB156_958:
	s_or_b64 exec, exec, s[0:1]
	s_barrier
	s_and_saveexec_b64 s[0:1], s[66:67]
	s_cbranch_execz .LBB156_960
; %bb.959:
	v_mov_b32_e32 v22, 0
	ds_read_b64 v[22:23], v22 offset:29640
	s_waitcnt lgkmcnt(0)
	v_mul_f32_e32 v26, v25, v23
	v_mul_f32_e32 v27, v24, v23
	v_fmac_f32_e32 v26, v24, v22
	v_fma_f32 v25, v25, v22, -v27
	v_mov_b32_e32 v24, v26
	ds_write_b64 v21, v[25:26]
.LBB156_960:
	s_or_b64 exec, exec, s[0:1]
	s_waitcnt lgkmcnt(0)
	s_barrier
	s_and_saveexec_b64 s[0:1], s[68:69]
	s_cbranch_execz .LBB156_962
; %bb.961:
	ds_read_b64 v[22:23], v20 offset:29632
	ds_read_b64 v[26:27], v21
	s_waitcnt lgkmcnt(0)
	v_mul_f32_e32 v28, v27, v23
	v_mul_f32_e32 v23, v26, v23
	v_fma_f32 v26, v26, v22, -v28
	v_fmac_f32_e32 v23, v27, v22
	v_add_f32_e32 v25, v25, v26
	v_add_f32_e32 v24, v24, v23
.LBB156_962:
	s_or_b64 exec, exec, s[0:1]
	s_barrier
	s_and_saveexec_b64 s[0:1], s[70:71]
	s_cbranch_execz .LBB156_964
; %bb.963:
	v_mov_b32_e32 v22, 0
	ds_read_b64 v[22:23], v22 offset:30160
	s_waitcnt lgkmcnt(0)
	v_mul_f32_e32 v26, v25, v23
	v_mul_f32_e32 v27, v24, v23
	v_fmac_f32_e32 v26, v24, v22
	v_fma_f32 v25, v25, v22, -v27
	v_mov_b32_e32 v24, v26
	ds_write_b64 v21, v[25:26]
.LBB156_964:
	s_or_b64 exec, exec, s[0:1]
	s_waitcnt lgkmcnt(0)
	s_barrier
	s_and_saveexec_b64 s[0:1], s[72:73]
	;; [unrolled: 31-line block ×6, first 2 shown]
	s_cbranch_execz .LBB156_982
; %bb.981:
	v_mov_b32_e32 v20, 0
	ds_read_b64 v[22:23], v20 offset:32248
	ds_read_b64 v[26:27], v21
	s_waitcnt lgkmcnt(0)
	v_mul_f32_e32 v20, v27, v23
	v_mul_f32_e32 v23, v26, v23
	v_fma_f32 v20, v26, v22, -v20
	v_fmac_f32_e32 v23, v27, v22
	v_add_f32_e32 v25, v25, v20
	v_add_f32_e32 v24, v24, v23
.LBB156_982:
	s_or_b64 exec, exec, s[0:1]
	s_barrier
	s_and_saveexec_b64 s[0:1], s[60:61]
	s_cbranch_execz .LBB156_984
; %bb.983:
	v_mov_b32_e32 v20, 0
	ds_read_b64 v[22:23], v20 offset:32760
	s_waitcnt lgkmcnt(0)
	v_mul_f32_e32 v26, v25, v23
	v_mul_f32_e32 v20, v24, v23
	v_fmac_f32_e32 v26, v24, v22
	v_fma_f32 v25, v25, v22, -v20
	v_mov_b32_e32 v24, v26
	ds_write_b64 v21, v[25:26]
.LBB156_984:
	s_or_b64 exec, exec, s[0:1]
	s_waitcnt lgkmcnt(0)
	s_barrier
	s_barrier
	s_and_saveexec_b64 s[0:1], s[8:9]
; %bb.985:
	v_xor_b32_e32 v21, 0x80000000, v24
	v_xor_b32_e32 v20, 0x80000000, v25
	ds_write_b64 v19, v[20:21] offset:25024
; %bb.986:
	s_or_b64 exec, exec, s[0:1]
	s_waitcnt lgkmcnt(0)
	s_barrier
	s_barrier
	s_and_saveexec_b64 s[0:1], s[88:89]
	s_cbranch_execz .LBB156_988
; %bb.987:
	v_lshlrev_b32_e32 v21, 9, v0
	ds_read_b64 v[19:20], v21 offset:25024
	s_movk_i32 s8, 0xfe08
	v_mad_i32_i24 v22, v0, s8, v21
	s_waitcnt lgkmcnt(0)
	ds_write_b64 v22, v[19:20] offset:29056
	ds_read_b64 v[19:20], v21 offset:25032
	s_waitcnt lgkmcnt(0)
	ds_write_b64 v22, v[19:20] offset:29568
	ds_read_b64 v[19:20], v21 offset:25040
	s_waitcnt lgkmcnt(0)
	ds_write_b64 v22, v[19:20] offset:30080
	ds_read_b64 v[19:20], v21 offset:25048
	s_waitcnt lgkmcnt(0)
	ds_write_b64 v22, v[19:20] offset:30592
	ds_read_b64 v[19:20], v21 offset:25056
	s_waitcnt lgkmcnt(0)
	ds_write_b64 v22, v[19:20] offset:31104
	ds_read_b64 v[19:20], v21 offset:25064
	s_waitcnt lgkmcnt(0)
	ds_write_b64 v22, v[19:20] offset:31616
	ds_read_b64 v[19:20], v21 offset:25072
	s_waitcnt lgkmcnt(0)
	ds_write_b64 v22, v[19:20] offset:32128
	ds_read_b64 v[19:20], v21 offset:25080
	s_waitcnt lgkmcnt(0)
	ds_write_b64 v22, v[19:20] offset:32640
.LBB156_988:
	s_or_b64 exec, exec, s[0:1]
	s_waitcnt lgkmcnt(0)
	s_barrier
	s_and_saveexec_b64 s[0:1], vcc
	s_cbranch_execz .LBB156_990
; %bb.989:
	v_mov_b32_e32 v23, 0
	ds_read_b128 v[19:22], v23 offset:29120
	ds_read_b64 v[23:24], v23 offset:29640
	s_movk_i32 s8, 0x7000
	s_waitcnt lgkmcnt(0)
	v_mul_f32_e32 v25, v24, v20
	v_mul_f32_e32 v26, v23, v20
	v_fma_f32 v23, v23, v19, -v25
	v_fmac_f32_e32 v26, v24, v19
	v_mul_f32_e32 v19, v26, v22
	v_mul_f32_e32 v20, v23, v22
	v_fma_f32 v19, v23, v21, -v19
	v_fmac_f32_e32 v20, v26, v21
	v_add_u32_e64 v21, s8, 0
	ds_write2_b64 v21, v[19:20], v[19:20] offset0:57 offset1:120
.LBB156_990:
	s_or_b64 exec, exec, s[0:1]
	v_mov_b32_e32 v19, 0
	v_mov_b32_e32 v20, 0
	s_waitcnt lgkmcnt(0)
	s_barrier
	s_and_saveexec_b64 s[0:1], s[2:3]
	s_cbranch_execz .LBB156_994
; %bb.991:
	v_mul_u32_u24_e32 v21, 0x208, v13
	ds_read_b64 v[19:20], v11 offset:29136
	ds_read_b64 v[21:22], v21 offset:29120
	v_cmp_gt_u32_e64 s[8:9], 2, v1
	s_waitcnt lgkmcnt(0)
	v_mul_f32_e32 v23, v22, v20
	v_mul_f32_e32 v20, v21, v20
	v_fma_f32 v21, v21, v19, -v23
	v_fmac_f32_e32 v20, v22, v19
	v_add_f32_e32 v19, 0, v21
	v_add_f32_e32 v21, 0, v20
	s_and_saveexec_b64 s[10:11], s[8:9]
	s_cbranch_execz .LBB156_993
; %bb.992:
	v_lshlrev_b32_e32 v20, 3, v0
	v_mov_b32_e32 v24, 0
	ds_read_b64 v[22:23], v20 offset:29648
	ds_read_b64 v[24:25], v24 offset:29128
	s_waitcnt lgkmcnt(0)
	v_mul_f32_e32 v20, v25, v23
	v_mul_f32_e32 v23, v24, v23
	v_fma_f32 v20, v24, v22, -v20
	v_fmac_f32_e32 v23, v25, v22
	v_add_f32_e32 v19, v19, v20
	v_add_f32_e32 v21, v21, v23
.LBB156_993:
	s_or_b64 exec, exec, s[10:11]
	v_xor_b32_e32 v20, 0x80000000, v19
	v_xor_b32_e32 v19, 0x80000000, v21
.LBB156_994:
	s_or_b64 exec, exec, s[0:1]
	s_and_saveexec_b64 s[0:1], s[42:43]
	s_cbranch_execz .LBB156_996
; %bb.995:
	v_mov_b32_e32 v21, 0
	ds_read_b64 v[21:22], v21 offset:30160
	s_waitcnt lgkmcnt(0)
	v_mul_f32_e32 v24, v19, v22
	v_mul_f32_e32 v23, v20, v22
	v_fma_f32 v22, v20, v21, -v24
	v_fmac_f32_e32 v23, v19, v21
	v_mov_b32_e32 v20, v22
	v_mov_b32_e32 v19, v23
	ds_write_b64 v12, v[22:23]
.LBB156_996:
	s_or_b64 exec, exec, s[0:1]
	s_waitcnt lgkmcnt(0)
	s_barrier
	s_and_saveexec_b64 s[0:1], s[40:41]
	s_cbranch_execz .LBB156_998
; %bb.997:
	v_mov_b32_e32 v21, 0
	ds_read_b64 v[21:22], v21 offset:30168
	ds_read_b64 v[23:24], v12
	s_waitcnt lgkmcnt(0)
	v_mul_f32_e32 v25, v24, v22
	v_mul_f32_e32 v22, v23, v22
	v_fma_f32 v23, v23, v21, -v25
	v_fmac_f32_e32 v22, v24, v21
	v_add_f32_e32 v20, v20, v23
	v_add_f32_e32 v19, v19, v22
.LBB156_998:
	s_or_b64 exec, exec, s[0:1]
	s_barrier
	s_and_saveexec_b64 s[0:1], s[40:41]
	s_cbranch_execz .LBB156_1000
; %bb.999:
	v_mov_b32_e32 v21, 0
	ds_read_b64 v[21:22], v21 offset:30680
	s_waitcnt lgkmcnt(0)
	v_mul_f32_e32 v24, v19, v22
	v_mul_f32_e32 v23, v20, v22
	v_fma_f32 v22, v20, v21, -v24
	v_fmac_f32_e32 v23, v19, v21
	v_mov_b32_e32 v20, v22
	v_mov_b32_e32 v19, v23
	ds_write_b64 v12, v[22:23]
.LBB156_1000:
	s_or_b64 exec, exec, s[0:1]
	s_waitcnt lgkmcnt(0)
	s_barrier
	s_barrier
	s_and_saveexec_b64 s[0:1], s[2:3]
; %bb.1001:
	v_xor_b32_e32 v21, 0x80000000, v19
	v_xor_b32_e32 v20, 0x80000000, v20
	ds_write_b64 v11, v[20:21] offset:29136
; %bb.1002:
	s_or_b64 exec, exec, s[0:1]
	s_waitcnt lgkmcnt(0)
	s_barrier
	s_barrier
	s_and_saveexec_b64 s[0:1], s[44:45]
	s_cbranch_execz .LBB156_1004
; %bb.1003:
	v_lshlrev_b32_e32 v21, 3, v0
	s_movk_i32 s8, 0x1f8
	v_mad_u32_u24 v22, v0, s8, v21
	ds_read_b64 v[19:20], v22 offset:29136
	s_waitcnt lgkmcnt(0)
	ds_write_b64 v21, v[19:20] offset:30144
	ds_read_b64 v[19:20], v22 offset:29144
	s_waitcnt lgkmcnt(0)
	ds_write_b64 v21, v[19:20] offset:30656
.LBB156_1004:
	s_or_b64 exec, exec, s[0:1]
	s_waitcnt lgkmcnt(0)
	s_barrier
	s_and_saveexec_b64 s[0:1], vcc
	s_cbranch_execz .LBB156_1006
; %bb.1005:
	v_mov_b32_e32 v23, 0
	ds_read_b128 v[19:22], v23 offset:30160
	ds_read_b64 v[23:24], v23 offset:30680
	s_movk_i32 s8, 0x7000
	s_waitcnt lgkmcnt(0)
	v_mul_f32_e32 v25, v24, v20
	v_mul_f32_e32 v26, v23, v20
	v_fma_f32 v23, v23, v19, -v25
	v_fmac_f32_e32 v26, v24, v19
	v_mul_f32_e32 v19, v26, v22
	v_mul_f32_e32 v20, v23, v22
	v_fma_f32 v19, v23, v21, -v19
	v_fmac_f32_e32 v20, v26, v21
	v_add_u32_e64 v21, s8, 0
	ds_write2_b64 v21, v[19:20], v[19:20] offset0:187 offset1:250
.LBB156_1006:
	s_or_b64 exec, exec, s[0:1]
	v_mov_b32_e32 v19, 0
	v_mov_b32_e32 v20, 0
	s_waitcnt lgkmcnt(0)
	s_barrier
	s_and_saveexec_b64 s[0:1], s[18:19]
	s_cbranch_execz .LBB156_1012
; %bb.1007:
	v_mul_u32_u24_e32 v20, 0x208, v18
	ds_read_b64 v[21:22], v14 offset:29152
	ds_read_b64 v[23:24], v20 offset:29120
	v_cmp_gt_u32_e64 s[8:9], 12, v1
	s_waitcnt lgkmcnt(0)
	v_mul_f32_e32 v19, v24, v22
	v_mul_f32_e32 v22, v23, v22
	v_fma_f32 v19, v23, v21, -v19
	v_fmac_f32_e32 v22, v24, v21
	v_add_f32_e32 v19, 0, v19
	v_add_f32_e32 v21, 0, v22
	s_and_saveexec_b64 s[10:11], s[8:9]
	s_cbranch_execnz .LBB156_1172
; %bb.1008:
	s_or_b64 exec, exec, s[10:11]
	v_cmp_gt_u32_e64 s[8:9], 8, v1
	s_and_saveexec_b64 s[10:11], s[8:9]
	s_cbranch_execnz .LBB156_1173
.LBB156_1009:
	s_or_b64 exec, exec, s[10:11]
	v_cmp_gt_u32_e64 s[8:9], 4, v1
	s_and_saveexec_b64 s[10:11], s[8:9]
	s_cbranch_execz .LBB156_1011
.LBB156_1010:
	v_lshlrev_b32_e32 v17, 3, v0
	v_mov_b32_e32 v20, 0
	ds_read_b64 v[17:18], v17 offset:30688
	ds_read_b64 v[22:23], v20 offset:29144
	s_waitcnt lgkmcnt(0)
	v_mul_f32_e32 v20, v23, v18
	v_mul_f32_e32 v18, v22, v18
	v_fma_f32 v20, v22, v17, -v20
	v_fmac_f32_e32 v18, v23, v17
	v_add_f32_e32 v19, v19, v20
	v_add_f32_e32 v21, v21, v18
.LBB156_1011:
	s_or_b64 exec, exec, s[10:11]
	v_xor_b32_e32 v20, 0x80000000, v19
	v_xor_b32_e32 v19, 0x80000000, v21
.LBB156_1012:
	s_or_b64 exec, exec, s[0:1]
	s_and_saveexec_b64 s[0:1], s[48:49]
	s_cbranch_execz .LBB156_1014
; %bb.1013:
	v_mov_b32_e32 v17, 0
	ds_read_b64 v[17:18], v17 offset:31200
	s_waitcnt lgkmcnt(0)
	v_mul_f32_e32 v21, v20, v18
	v_mul_f32_e32 v22, v19, v18
	v_fmac_f32_e32 v21, v19, v17
	v_fma_f32 v20, v20, v17, -v22
	v_mov_b32_e32 v19, v21
	ds_write_b64 v16, v[20:21]
.LBB156_1014:
	s_or_b64 exec, exec, s[0:1]
	s_waitcnt lgkmcnt(0)
	s_barrier
	s_and_saveexec_b64 s[0:1], s[50:51]
	v_readlane_b32 s48, v43, 3
	v_readlane_b32 s49, v43, 4
	s_cbranch_execz .LBB156_1016
; %bb.1015:
	ds_read_b64 v[17:18], v15 offset:31200
	ds_read_b64 v[21:22], v16
	s_waitcnt lgkmcnt(0)
	v_mul_f32_e32 v23, v22, v18
	v_mul_f32_e32 v18, v21, v18
	v_fma_f32 v21, v21, v17, -v23
	v_fmac_f32_e32 v18, v22, v17
	v_add_f32_e32 v20, v20, v21
	v_add_f32_e32 v19, v19, v18
.LBB156_1016:
	s_or_b64 exec, exec, s[0:1]
	s_barrier
	s_and_saveexec_b64 s[0:1], s[52:53]
	s_cbranch_execz .LBB156_1018
; %bb.1017:
	v_mov_b32_e32 v17, 0
	ds_read_b64 v[17:18], v17 offset:31720
	s_waitcnt lgkmcnt(0)
	v_mul_f32_e32 v21, v20, v18
	v_mul_f32_e32 v22, v19, v18
	v_fmac_f32_e32 v21, v19, v17
	v_fma_f32 v20, v20, v17, -v22
	v_mov_b32_e32 v19, v21
	ds_write_b64 v16, v[20:21]
.LBB156_1018:
	s_or_b64 exec, exec, s[0:1]
	s_waitcnt lgkmcnt(0)
	s_barrier
	s_and_saveexec_b64 s[0:1], s[54:55]
	s_cbranch_execz .LBB156_1020
; %bb.1019:
	ds_read_b64 v[17:18], v15 offset:31712
	ds_read_b64 v[21:22], v16
	s_waitcnt lgkmcnt(0)
	v_mul_f32_e32 v15, v22, v18
	v_mul_f32_e32 v18, v21, v18
	v_fma_f32 v15, v21, v17, -v15
	v_fmac_f32_e32 v18, v22, v17
	v_add_f32_e32 v20, v20, v15
	v_add_f32_e32 v19, v19, v18
.LBB156_1020:
	s_or_b64 exec, exec, s[0:1]
	s_barrier
	s_and_saveexec_b64 s[0:1], s[56:57]
	s_cbranch_execz .LBB156_1022
; %bb.1021:
	v_mov_b32_e32 v15, 0
	ds_read_b64 v[17:18], v15 offset:32240
	s_waitcnt lgkmcnt(0)
	v_mul_f32_e32 v21, v20, v18
	v_mul_f32_e32 v15, v19, v18
	v_fmac_f32_e32 v21, v19, v17
	v_fma_f32 v20, v20, v17, -v15
	v_mov_b32_e32 v19, v21
	ds_write_b64 v16, v[20:21]
.LBB156_1022:
	s_or_b64 exec, exec, s[0:1]
	s_waitcnt lgkmcnt(0)
	s_barrier
	s_and_saveexec_b64 s[0:1], s[46:47]
	s_cbranch_execz .LBB156_1024
; %bb.1023:
	v_mov_b32_e32 v15, 0
	ds_read_b64 v[17:18], v15 offset:32248
	ds_read_b64 v[21:22], v16
	s_waitcnt lgkmcnt(0)
	v_mul_f32_e32 v15, v22, v18
	v_mul_f32_e32 v18, v21, v18
	v_fma_f32 v15, v21, v17, -v15
	v_fmac_f32_e32 v18, v22, v17
	v_add_f32_e32 v20, v20, v15
	v_add_f32_e32 v19, v19, v18
.LBB156_1024:
	s_or_b64 exec, exec, s[0:1]
	s_barrier
	s_and_saveexec_b64 s[0:1], s[46:47]
	s_cbranch_execz .LBB156_1026
; %bb.1025:
	v_mov_b32_e32 v15, 0
	ds_read_b64 v[17:18], v15 offset:32760
	s_waitcnt lgkmcnt(0)
	v_mul_f32_e32 v21, v20, v18
	v_mul_f32_e32 v15, v19, v18
	v_fmac_f32_e32 v21, v19, v17
	v_fma_f32 v20, v20, v17, -v15
	v_mov_b32_e32 v19, v21
	ds_write_b64 v16, v[20:21]
.LBB156_1026:
	s_or_b64 exec, exec, s[0:1]
	s_waitcnt lgkmcnt(0)
	s_barrier
	s_barrier
	s_and_saveexec_b64 s[0:1], s[18:19]
; %bb.1027:
	v_xor_b32_e32 v15, 0x80000000, v20
	v_xor_b32_e32 v16, 0x80000000, v19
	ds_write_b64 v14, v[15:16] offset:29152
; %bb.1028:
	s_or_b64 exec, exec, s[0:1]
	s_waitcnt lgkmcnt(0)
	s_barrier
	s_barrier
	s_and_saveexec_b64 s[0:1], s[58:59]
	s_cbranch_execz .LBB156_1030
; %bb.1029:
	v_lshlrev_b32_e32 v16, 9, v0
	ds_read_b64 v[14:15], v16 offset:29152
	s_movk_i32 s8, 0xfe08
	v_mad_i32_i24 v17, v0, s8, v16
	s_waitcnt lgkmcnt(0)
	ds_write_b64 v17, v[14:15] offset:31168
	ds_read_b64 v[14:15], v16 offset:29160
	s_waitcnt lgkmcnt(0)
	ds_write_b64 v17, v[14:15] offset:31680
	ds_read_b64 v[14:15], v16 offset:29168
	s_waitcnt lgkmcnt(0)
	ds_write_b64 v17, v[14:15] offset:32192
	ds_read_b64 v[14:15], v16 offset:29176
	s_waitcnt lgkmcnt(0)
	ds_write_b64 v17, v[14:15] offset:32704
.LBB156_1030:
	s_or_b64 exec, exec, s[0:1]
	s_waitcnt lgkmcnt(0)
	s_barrier
	s_and_saveexec_b64 s[0:1], vcc
	s_cbranch_execz .LBB156_1032
; %bb.1031:
	v_mov_b32_e32 v18, 0
	ds_read_b128 v[14:17], v18 offset:31200
	ds_read_b64 v[18:19], v18 offset:31720
	s_movk_i32 s8, 0x7800
	s_waitcnt lgkmcnt(0)
	v_mul_f32_e32 v20, v19, v15
	v_mul_f32_e32 v21, v18, v15
	v_fma_f32 v18, v18, v14, -v20
	v_fmac_f32_e32 v21, v19, v14
	v_mul_f32_e32 v14, v21, v17
	v_mul_f32_e32 v15, v18, v17
	v_fma_f32 v14, v18, v16, -v14
	v_fmac_f32_e32 v15, v21, v16
	v_add_u32_e64 v16, s8, 0
	ds_write2_b64 v16, v[14:15], v[14:15] offset0:61 offset1:124
.LBB156_1032:
	s_or_b64 exec, exec, s[0:1]
	v_mov_b32_e32 v14, 0
	v_mov_b32_e32 v15, 0
	s_waitcnt lgkmcnt(0)
	s_barrier
	s_and_saveexec_b64 s[0:1], s[2:3]
	s_cbranch_execz .LBB156_1036
; %bb.1033:
	v_mul_u32_u24_e32 v15, 0x208, v13
	ds_read_b64 v[13:14], v11 offset:31216
	ds_read_b64 v[15:16], v15 offset:31200
	v_cmp_gt_u32_e64 s[8:9], 2, v1
	s_waitcnt lgkmcnt(0)
	v_mul_f32_e32 v17, v16, v14
	v_mul_f32_e32 v14, v15, v14
	v_fma_f32 v15, v15, v13, -v17
	v_fmac_f32_e32 v14, v16, v13
	v_add_f32_e32 v13, 0, v15
	v_add_f32_e32 v14, 0, v14
	s_and_saveexec_b64 s[10:11], s[8:9]
	s_cbranch_execz .LBB156_1035
; %bb.1034:
	v_lshlrev_b32_e32 v15, 3, v0
	v_mov_b32_e32 v17, 0
	ds_read_b64 v[15:16], v15 offset:31728
	ds_read_b64 v[17:18], v17 offset:31208
	s_waitcnt lgkmcnt(0)
	v_mul_f32_e32 v19, v18, v16
	v_mul_f32_e32 v16, v17, v16
	v_fma_f32 v17, v17, v15, -v19
	v_fmac_f32_e32 v16, v18, v15
	v_add_f32_e32 v13, v13, v17
	v_add_f32_e32 v14, v14, v16
.LBB156_1035:
	s_or_b64 exec, exec, s[10:11]
	v_xor_b32_e32 v15, 0x80000000, v13
	v_xor_b32_e32 v14, 0x80000000, v14
.LBB156_1036:
	s_or_b64 exec, exec, s[0:1]
	s_and_saveexec_b64 s[0:1], s[42:43]
	s_cbranch_execz .LBB156_1038
; %bb.1037:
	v_mov_b32_e32 v13, 0
	ds_read_b64 v[16:17], v13 offset:32240
	s_waitcnt lgkmcnt(0)
	v_mul_f32_e32 v13, v14, v17
	v_mul_f32_e32 v18, v15, v17
	v_fma_f32 v17, v15, v16, -v13
	v_fmac_f32_e32 v18, v14, v16
	v_mov_b32_e32 v15, v17
	v_mov_b32_e32 v14, v18
	ds_write_b64 v12, v[17:18]
.LBB156_1038:
	s_or_b64 exec, exec, s[0:1]
	s_waitcnt lgkmcnt(0)
	s_barrier
	s_and_saveexec_b64 s[0:1], s[40:41]
	s_load_dword s36, s[4:5], 0x6c
	v_readlane_b32 s42, v43, 2
	s_cbranch_execz .LBB156_1040
; %bb.1039:
	v_mov_b32_e32 v13, 0
	ds_read_b64 v[16:17], v13 offset:32248
	ds_read_b64 v[18:19], v12
	s_waitcnt lgkmcnt(0)
	v_mul_f32_e32 v13, v19, v17
	v_mul_f32_e32 v17, v18, v17
	v_fma_f32 v13, v18, v16, -v13
	v_fmac_f32_e32 v17, v19, v16
	v_add_f32_e32 v15, v15, v13
	v_add_f32_e32 v14, v14, v17
.LBB156_1040:
	s_or_b64 exec, exec, s[0:1]
	s_waitcnt lgkmcnt(0)
	s_barrier
	s_and_saveexec_b64 s[0:1], s[40:41]
	s_cbranch_execz .LBB156_1042
; %bb.1041:
	v_mov_b32_e32 v13, 0
	ds_read_b64 v[16:17], v13 offset:32760
	s_waitcnt lgkmcnt(0)
	v_mul_f32_e32 v13, v14, v17
	v_mul_f32_e32 v18, v15, v17
	v_fma_f32 v17, v15, v16, -v13
	v_fmac_f32_e32 v18, v14, v16
	v_mov_b32_e32 v15, v17
	v_mov_b32_e32 v14, v18
	ds_write_b64 v12, v[17:18]
.LBB156_1042:
	s_or_b64 exec, exec, s[0:1]
	s_waitcnt lgkmcnt(0)
	s_barrier
	s_barrier
	s_and_saveexec_b64 s[0:1], s[2:3]
; %bb.1043:
	v_xor_b32_e32 v13, 0x80000000, v14
	v_xor_b32_e32 v12, 0x80000000, v15
	ds_write_b64 v11, v[12:13] offset:31216
; %bb.1044:
	s_or_b64 exec, exec, s[0:1]
	s_waitcnt lgkmcnt(0)
	s_barrier
	s_barrier
	s_and_saveexec_b64 s[0:1], s[44:45]
	s_cbranch_execz .LBB156_1046
; %bb.1045:
	v_lshlrev_b32_e32 v13, 3, v0
	s_movk_i32 s2, 0x1f8
	v_mad_u32_u24 v14, v0, s2, v13
	ds_read_b64 v[11:12], v14 offset:31216
	s_waitcnt lgkmcnt(0)
	ds_write_b64 v13, v[11:12] offset:32224
	ds_read_b64 v[11:12], v14 offset:31224
	s_waitcnt lgkmcnt(0)
	ds_write_b64 v13, v[11:12] offset:32736
.LBB156_1046:
	s_or_b64 exec, exec, s[0:1]
	s_waitcnt lgkmcnt(0)
	s_barrier
	s_and_saveexec_b64 s[0:1], vcc
	s_cbranch_execz .LBB156_1048
; %bb.1047:
	v_mov_b32_e32 v15, 0
	ds_read_b128 v[11:14], v15 offset:32240
	ds_read_b64 v[15:16], v15 offset:32760
	s_movk_i32 s2, 0x7800
	s_waitcnt lgkmcnt(0)
	v_mul_f32_e32 v17, v16, v12
	v_mul_f32_e32 v18, v15, v12
	v_fma_f32 v15, v15, v11, -v17
	v_fmac_f32_e32 v18, v16, v11
	v_mul_f32_e32 v11, v18, v14
	v_mul_f32_e32 v12, v15, v14
	v_fma_f32 v11, v15, v13, -v11
	v_fmac_f32_e32 v12, v18, v13
	v_add_u32_e64 v13, s2, 0
	ds_write2_b64 v13, v[11:12], v[11:12] offset0:191 offset1:254
.LBB156_1048:
	s_or_b64 exec, exec, s[0:1]
.LBB156_1049:
	s_lshl_b64 s[0:1], s[24:25], 3
	s_add_u32 s20, s62, s0
	v_cmp_le_i32_e32 vcc, s38, v0
	s_addc_u32 s21, s63, s1
	s_and_b64 s[14:15], vcc, s[22:23]
	v_cmp_eq_u32_e64 s[2:3], 0, v2
	s_xor_b64 s[0:1], s[14:15], -1
	s_and_b64 s[8:9], s[2:3], s[0:1]
	v_mov_b32_e32 v11, 0
	v_add_u32_e32 v13, s33, v0
	v_mov_b32_e32 v12, 0
	s_waitcnt lgkmcnt(0)
	s_barrier
	s_and_saveexec_b64 s[0:1], s[8:9]
	s_cbranch_execz .LBB156_1051
; %bb.1050:
	v_ashrrev_i32_e32 v14, 31, v13
	v_mul_lo_u32 v15, s27, v13
	v_mad_u64_u32 v[11:12], s[8:9], s26, v13, 0
	v_mul_lo_u32 v14, s26, v14
	v_add3_u32 v12, v12, v14, v15
	v_lshlrev_b64 v[11:12], 3, v[11:12]
	v_mov_b32_e32 v14, s21
	v_add_co_u32_e32 v11, vcc, s20, v11
	v_addc_co_u32_e32 v12, vcc, v14, v12, vcc
	flat_load_dwordx2 v[14:15], v[11:12]
	s_waitcnt vmcnt(0) lgkmcnt(0)
	v_mul_f32_e32 v11, s48, v14
	v_mul_f32_e32 v12, s48, v15
	v_fma_f32 v11, s49, v15, -v11
	v_fma_f32 v12, v14, -s49, -v12
.LBB156_1051:
	s_or_b64 exec, exec, s[0:1]
	s_load_dwordx2 s[0:1], s[4:5], 0x50
	s_and_b32 s4, 0xffff, s36
	v_mad_u32_u24 v18, v2, s4, v0
	s_cmp_lt_i32 s6, 1
	v_cmp_eq_u32_e64 s[4:5], 0, v18
	s_cbranch_scc1 .LBB156_1086
; %bb.1052:
	v_ashrrev_i32_e32 v16, 31, v13
	v_mul_lo_u32 v17, s35, v13
	v_mad_u64_u32 v[14:15], s[8:9], s34, v13, 0
	v_mul_lo_u32 v16, s34, v16
	s_lshl_b64 s[8:9], s[28:29], 2
	s_waitcnt lgkmcnt(0)
	s_add_u32 s16, s0, s8
	s_addc_u32 s17, s1, s9
	v_add3_u32 v15, v15, v16, v17
	v_cmp_gt_i32_e64 s[8:9], s30, v13
	v_lshlrev_b64 v[13:14], 3, v[14:15]
	v_mov_b32_e32 v16, 0xa000
	v_mov_b32_e32 v15, s92
	v_add_co_u32_e32 v21, vcc, s39, v13
	s_mov_b32 s24, 0
	v_cmp_gt_u32_e64 s[12:13], 64, v18
	v_lshl_add_u32 v19, v18, 3, v16
	v_lshl_or_b32 v20, v2, 3, v16
	s_add_i32 s93, s93, 1
	v_addc_co_u32_e32 v22, vcc, v15, v14, vcc
	v_mov_b32_e32 v23, -1
	v_mov_b32_e32 v13, 0
	s_branch .LBB156_1055
.LBB156_1053:                           ;   in Loop: Header=BB156_1055 Depth=1
	ds_read_b64 v[14:15], v20 offset:384
	s_waitcnt vmcnt(0) lgkmcnt(0)
	v_mul_f32_e32 v24, v17, v15
	v_mul_f32_e32 v17, v17, v14
	v_fmac_f32_e32 v24, v16, v14
	v_fma_f32 v14, v16, v15, -v17
	v_add_f32_e32 v11, v11, v24
	v_add_f32_e32 v12, v12, v14
.LBB156_1054:                           ;   in Loop: Header=BB156_1055 Depth=1
	s_or_b64 exec, exec, s[18:19]
	s_add_i32 s24, s24, 1
	s_cmp_eq_u32 s24, s6
	s_cbranch_scc1 .LBB156_1086
.LBB156_1055:                           ; =>This Loop Header: Depth=1
                                        ;     Child Loop BB156_1057 Depth 2
	v_cmp_gt_i32_e32 vcc, s24, v23
	s_and_b64 s[18:19], s[4:5], vcc
	s_and_saveexec_b64 s[10:11], s[18:19]
	s_cbranch_execz .LBB156_1058
; %bb.1056:                             ;   in Loop: Header=BB156_1055 Depth=1
	global_load_dword v23, v13, s[16:17]
	s_waitcnt vmcnt(0)
	v_cmp_le_i32_e32 vcc, s24, v23
	s_cbranch_vccnz .LBB156_1058
.LBB156_1057:                           ;   Parent Loop BB156_1055 Depth=1
                                        ; =>  This Inner Loop Header: Depth=2
	buffer_wbinvl1_vol
	global_load_dword v23, v13, s[16:17]
	s_waitcnt vmcnt(0)
	v_cmp_gt_i32_e32 vcc, s24, v23
	s_cbranch_vccnz .LBB156_1057
.LBB156_1058:                           ;   in Loop: Header=BB156_1055 Depth=1
	s_or_b64 exec, exec, s[10:11]
	s_sub_i32 s25, s7, s24
	s_lshl_b32 s34, s25, 6
	buffer_wbinvl1_vol
	s_barrier
	s_and_saveexec_b64 s[10:11], s[12:13]
	s_cbranch_execz .LBB156_1063
; %bb.1059:                             ;   in Loop: Header=BB156_1055 Depth=1
	s_ashr_i32 s18, s34, 31
	v_mov_b32_e32 v15, s18
	v_or_b32_e32 v14, s34, v18
	v_cmp_le_i64_e32 vcc, s[30:31], v[14:15]
	s_and_saveexec_b64 s[18:19], vcc
	s_xor_b64 s[18:19], exec, s[18:19]
; %bb.1060:                             ;   in Loop: Header=BB156_1055 Depth=1
	v_mov_b32_e32 v14, v13
	ds_write_b64 v19, v[13:14]
                                        ; implicit-def: $vgpr14_vgpr15
; %bb.1061:                             ;   in Loop: Header=BB156_1055 Depth=1
	s_andn2_saveexec_b64 s[18:19], s[18:19]
	s_cbranch_execz .LBB156_1063
; %bb.1062:                             ;   in Loop: Header=BB156_1055 Depth=1
	v_mul_lo_u32 v16, v15, s26
	v_mul_lo_u32 v17, v14, s27
	v_mad_u64_u32 v[14:15], s[18:19], v14, s26, 0
	v_add3_u32 v15, v15, v17, v16
	v_lshlrev_b64 v[14:15], 3, v[14:15]
	v_mov_b32_e32 v16, s21
	v_add_co_u32_e32 v14, vcc, s20, v14
	v_addc_co_u32_e32 v15, vcc, v16, v15, vcc
	flat_load_dwordx2 v[14:15], v[14:15]
	s_waitcnt vmcnt(0) lgkmcnt(0)
	ds_write_b64 v19, v[14:15]
.LBB156_1063:                           ;   in Loop: Header=BB156_1055 Depth=1
	s_or_b64 exec, exec, s[10:11]
	v_add_u32_e32 v16, s34, v2
	v_ashrrev_i32_e32 v17, 31, v16
	v_lshlrev_b64 v[14:15], 3, v[16:17]
	s_cmp_lg_u32 s25, s93
	v_add_co_u32_e32 v14, vcc, v21, v14
	s_cselect_b64 s[10:11], -1, 0
	v_addc_co_u32_e32 v15, vcc, v22, v15, vcc
	v_cmp_gt_i32_e32 vcc, s30, v16
	v_cndmask_b32_e64 v17, 0, 1, s[10:11]
	s_and_b64 s[34:35], vcc, s[8:9]
	v_cmp_ne_u32_e64 s[10:11], 1, v17
	s_waitcnt lgkmcnt(0)
	s_barrier
	s_and_saveexec_b64 s[18:19], s[34:35]
	s_cbranch_execz .LBB156_1069
; %bb.1064:                             ;   in Loop: Header=BB156_1055 Depth=1
	s_and_b64 vcc, exec, s[10:11]
	v_mov_b32_e32 v17, v5
	s_cbranch_vccnz .LBB156_1066
; %bb.1065:                             ;   in Loop: Header=BB156_1055 Depth=1
	flat_load_dword v17, v[14:15]
.LBB156_1066:                           ;   in Loop: Header=BB156_1055 Depth=1
	s_and_b64 vcc, exec, s[10:11]
	v_mov_b32_e32 v24, v6
	s_cbranch_vccnz .LBB156_1068
; %bb.1067:                             ;   in Loop: Header=BB156_1055 Depth=1
	flat_load_dword v24, v[14:15] offset:4
.LBB156_1068:                           ;   in Loop: Header=BB156_1055 Depth=1
	ds_read_b64 v[25:26], v20
	s_waitcnt vmcnt(0) lgkmcnt(0)
	v_mul_f32_e32 v27, v24, v26
	v_mul_f32_e32 v24, v24, v25
	v_fmac_f32_e32 v27, v17, v25
	v_fma_f32 v17, v17, v26, -v24
	v_add_f32_e32 v11, v11, v27
	v_add_f32_e32 v12, v12, v17
.LBB156_1069:                           ;   in Loop: Header=BB156_1055 Depth=1
	s_or_b64 exec, exec, s[18:19]
	v_add_u32_e32 v17, 16, v16
	v_cmp_gt_i32_e32 vcc, s30, v17
	s_and_b64 s[34:35], vcc, s[8:9]
	s_and_saveexec_b64 s[18:19], s[34:35]
	s_cbranch_execz .LBB156_1075
; %bb.1070:                             ;   in Loop: Header=BB156_1055 Depth=1
	s_and_b64 vcc, exec, s[10:11]
	v_mov_b32_e32 v17, v3
	s_cbranch_vccnz .LBB156_1072
; %bb.1071:                             ;   in Loop: Header=BB156_1055 Depth=1
	flat_load_dword v17, v[14:15] offset:128
.LBB156_1072:                           ;   in Loop: Header=BB156_1055 Depth=1
	s_and_b64 vcc, exec, s[10:11]
	v_mov_b32_e32 v24, v4
	s_cbranch_vccnz .LBB156_1074
; %bb.1073:                             ;   in Loop: Header=BB156_1055 Depth=1
	flat_load_dword v24, v[14:15] offset:132
.LBB156_1074:                           ;   in Loop: Header=BB156_1055 Depth=1
	ds_read_b64 v[25:26], v20 offset:128
	s_waitcnt vmcnt(0) lgkmcnt(0)
	v_mul_f32_e32 v27, v24, v26
	v_mul_f32_e32 v24, v24, v25
	v_fmac_f32_e32 v27, v17, v25
	v_fma_f32 v17, v17, v26, -v24
	v_add_f32_e32 v11, v11, v27
	v_add_f32_e32 v12, v12, v17
.LBB156_1075:                           ;   in Loop: Header=BB156_1055 Depth=1
	s_or_b64 exec, exec, s[18:19]
	v_add_u32_e32 v17, 32, v16
	v_cmp_gt_i32_e32 vcc, s30, v17
	s_and_b64 s[34:35], vcc, s[8:9]
	s_and_saveexec_b64 s[18:19], s[34:35]
	s_cbranch_execz .LBB156_1081
; %bb.1076:                             ;   in Loop: Header=BB156_1055 Depth=1
	s_and_b64 vcc, exec, s[10:11]
	v_mov_b32_e32 v17, v9
	s_cbranch_vccnz .LBB156_1078
; %bb.1077:                             ;   in Loop: Header=BB156_1055 Depth=1
	flat_load_dword v17, v[14:15] offset:256
.LBB156_1078:                           ;   in Loop: Header=BB156_1055 Depth=1
	s_and_b64 vcc, exec, s[10:11]
	v_mov_b32_e32 v24, v10
	s_cbranch_vccnz .LBB156_1080
; %bb.1079:                             ;   in Loop: Header=BB156_1055 Depth=1
	flat_load_dword v24, v[14:15] offset:260
.LBB156_1080:                           ;   in Loop: Header=BB156_1055 Depth=1
	ds_read_b64 v[25:26], v20 offset:256
	s_waitcnt vmcnt(0) lgkmcnt(0)
	v_mul_f32_e32 v27, v24, v26
	v_mul_f32_e32 v24, v24, v25
	v_fmac_f32_e32 v27, v17, v25
	v_fma_f32 v17, v17, v26, -v24
	v_add_f32_e32 v11, v11, v27
	v_add_f32_e32 v12, v12, v17
.LBB156_1081:                           ;   in Loop: Header=BB156_1055 Depth=1
	s_or_b64 exec, exec, s[18:19]
	v_add_u32_e32 v16, 48, v16
	v_cmp_gt_i32_e32 vcc, s30, v16
	s_and_b64 s[34:35], vcc, s[8:9]
	s_and_saveexec_b64 s[18:19], s[34:35]
	s_cbranch_execz .LBB156_1054
; %bb.1082:                             ;   in Loop: Header=BB156_1055 Depth=1
	s_and_b64 vcc, exec, s[10:11]
	v_mov_b32_e32 v16, v7
	s_cbranch_vccnz .LBB156_1084
; %bb.1083:                             ;   in Loop: Header=BB156_1055 Depth=1
	flat_load_dword v16, v[14:15] offset:384
.LBB156_1084:                           ;   in Loop: Header=BB156_1055 Depth=1
	s_and_b64 vcc, exec, s[10:11]
	v_mov_b32_e32 v17, v8
	s_cbranch_vccnz .LBB156_1053
; %bb.1085:                             ;   in Loop: Header=BB156_1055 Depth=1
	flat_load_dword v17, v[14:15] offset:388
	s_branch .LBB156_1053
.LBB156_1086:
	s_xor_b64 s[4:5], s[22:23], -1
	v_lshlrev_b32_e32 v1, 3, v1
	ds_write_b64 v1, v[11:12] offset:32768
	s_waitcnt lgkmcnt(0)
	s_barrier
	s_and_saveexec_b64 s[6:7], s[2:3]
	s_cbranch_execz .LBB156_1088
; %bb.1087:
	v_lshlrev_b32_e32 v15, 3, v0
	ds_read2st64_b64 v[3:6], v15 offset0:65 offset1:66
	ds_read2st64_b64 v[7:10], v15 offset0:67 offset1:68
	ds_read_b64 v[13:14], v15 offset:40448
	s_waitcnt lgkmcnt(2)
	v_add_f32_e32 v3, v11, v3
	v_add_f32_e32 v4, v12, v4
	;; [unrolled: 1-line block ×4, first 2 shown]
	ds_read2st64_b64 v[3:6], v15 offset0:69 offset1:70
	s_waitcnt lgkmcnt(2)
	v_add_f32_e32 v7, v11, v7
	v_add_f32_e32 v8, v12, v8
	;; [unrolled: 1-line block ×4, first 2 shown]
	s_waitcnt lgkmcnt(0)
	v_add_f32_e32 v3, v7, v3
	ds_read2st64_b64 v[7:10], v15 offset0:71 offset1:72
	v_add_f32_e32 v4, v11, v4
	v_add_f32_e32 v11, v3, v5
	;; [unrolled: 1-line block ×3, first 2 shown]
	ds_read2st64_b64 v[3:6], v15 offset0:73 offset1:74
	s_waitcnt lgkmcnt(1)
	v_add_f32_e32 v7, v11, v7
	v_add_f32_e32 v8, v12, v8
	;; [unrolled: 1-line block ×4, first 2 shown]
	s_waitcnt lgkmcnt(0)
	v_add_f32_e32 v3, v7, v3
	ds_read2st64_b64 v[7:10], v15 offset0:75 offset1:76
	v_add_f32_e32 v4, v11, v4
	v_add_f32_e32 v11, v3, v5
	;; [unrolled: 1-line block ×3, first 2 shown]
	ds_read2st64_b64 v[3:6], v15 offset0:77 offset1:78
	s_waitcnt lgkmcnt(1)
	v_add_f32_e32 v7, v11, v7
	v_add_f32_e32 v8, v12, v8
	;; [unrolled: 1-line block ×4, first 2 shown]
	s_waitcnt lgkmcnt(0)
	v_add_f32_e32 v3, v7, v3
	v_add_f32_e32 v4, v8, v4
	;; [unrolled: 1-line block ×6, first 2 shown]
	v_cndmask_b32_e64 v11, -v3, 0, s[14:15]
	v_cndmask_b32_e64 v12, -v4, 0, s[14:15]
.LBB156_1088:
	s_or_b64 exec, exec, s[6:7]
	v_readlane_b32 s6, v43, 0
	v_readlane_b32 s7, v43, 1
	s_and_b64 vcc, exec, s[6:7]
	s_cbranch_vccnz .LBB156_1101
; %bb.1089:
	v_mov_b32_e32 v3, 0xa000
	v_lshl_or_b32 v5, v2, 3, v3
	s_and_saveexec_b64 s[6:7], s[2:3]
; %bb.1090:
	v_lshl_add_u32 v3, v0, 3, v5
	ds_write_b64 v3, v[11:12]
; %bb.1091:
	s_or_b64 exec, exec, s[6:7]
	v_cmp_le_u32_e32 vcc, v0, v2
	v_mov_b32_e32 v3, 0
	v_mov_b32_e32 v4, 0
	s_waitcnt lgkmcnt(0)
	s_barrier
	s_and_saveexec_b64 s[6:7], vcc
	s_cbranch_execz .LBB156_1093
; %bb.1092:
	ds_read_b64 v[3:4], v1
	ds_read_b64 v[6:7], v5
	s_waitcnt lgkmcnt(0)
	v_mul_f32_e32 v8, v7, v4
	v_mul_f32_e32 v4, v6, v4
	v_fma_f32 v6, v6, v3, -v8
	v_fmac_f32_e32 v4, v7, v3
	v_add_f32_e32 v3, 0, v6
	v_add_f32_e32 v4, 0, v4
.LBB156_1093:
	s_or_b64 exec, exec, s[6:7]
	v_add_u32_e32 v6, 16, v2
	v_cmp_le_u32_e32 vcc, v0, v6
	s_and_saveexec_b64 s[6:7], vcc
	s_cbranch_execz .LBB156_1095
; %bb.1094:
	ds_read_b64 v[6:7], v1 offset:8192
	ds_read_b64 v[8:9], v5 offset:128
	s_waitcnt lgkmcnt(0)
	v_mul_f32_e32 v10, v9, v7
	v_mul_f32_e32 v7, v8, v7
	v_fma_f32 v8, v8, v6, -v10
	v_fmac_f32_e32 v7, v9, v6
	v_add_f32_e32 v3, v3, v8
	v_add_f32_e32 v4, v4, v7
.LBB156_1095:
	s_or_b64 exec, exec, s[6:7]
	v_add_u32_e32 v6, 32, v2
	v_cmp_le_u32_e32 vcc, v0, v6
	s_and_saveexec_b64 s[6:7], vcc
	s_cbranch_execz .LBB156_1097
; %bb.1096:
	ds_read_b64 v[6:7], v1 offset:16384
	ds_read_b64 v[8:9], v5 offset:256
	s_waitcnt lgkmcnt(0)
	v_mul_f32_e32 v10, v9, v7
	v_mul_f32_e32 v7, v8, v7
	v_fma_f32 v8, v8, v6, -v10
	v_fmac_f32_e32 v7, v9, v6
	v_add_f32_e32 v3, v3, v8
	v_add_f32_e32 v4, v4, v7
.LBB156_1097:
	s_or_b64 exec, exec, s[6:7]
	v_add_u32_e32 v2, 48, v2
	v_add_u32_e32 v6, 0x8000, v1
	v_cmp_le_u32_e32 vcc, v0, v2
	s_and_saveexec_b64 s[6:7], vcc
	s_cbranch_execz .LBB156_1099
; %bb.1098:
	ds_read_b64 v[1:2], v1 offset:24576
	ds_read_b64 v[7:8], v5 offset:384
	s_waitcnt lgkmcnt(0)
	v_mul_f32_e32 v5, v8, v2
	v_mul_f32_e32 v2, v7, v2
	v_fma_f32 v5, v7, v1, -v5
	v_fmac_f32_e32 v2, v8, v1
	v_add_f32_e32 v3, v3, v5
	v_add_f32_e32 v4, v4, v2
.LBB156_1099:
	s_or_b64 exec, exec, s[6:7]
	s_mov_b64 s[8:9], 0
	s_mov_b64 s[6:7], 0
	ds_write_b64 v6, v[3:4]
	s_waitcnt lgkmcnt(0)
	s_barrier
                                        ; implicit-def: $vgpr1
                                        ; implicit-def: $vgpr2
	s_and_saveexec_b64 s[10:11], s[2:3]
	s_cbranch_execz .LBB156_1120
; %bb.1100:
	v_lshlrev_b32_e32 v17, 3, v0
	ds_read2st64_b64 v[5:8], v17 offset0:65 offset1:66
	ds_read2st64_b64 v[13:16], v17 offset0:67 offset1:68
	ds_read_b64 v[9:10], v17 offset:40448
	s_mov_b64 s[6:7], exec
	s_waitcnt lgkmcnt(2)
	v_add_f32_e32 v1, v3, v5
	v_add_f32_e32 v2, v4, v6
	;; [unrolled: 1-line block ×4, first 2 shown]
	ds_read2st64_b64 v[1:4], v17 offset0:69 offset1:70
	s_waitcnt lgkmcnt(2)
	v_add_f32_e32 v5, v5, v13
	v_add_f32_e32 v6, v6, v14
	;; [unrolled: 1-line block ×4, first 2 shown]
	s_waitcnt lgkmcnt(0)
	v_add_f32_e32 v1, v5, v1
	ds_read2st64_b64 v[5:8], v17 offset0:71 offset1:72
	v_add_f32_e32 v2, v13, v2
	v_add_f32_e32 v13, v1, v3
	;; [unrolled: 1-line block ×3, first 2 shown]
	ds_read2st64_b64 v[1:4], v17 offset0:73 offset1:74
	s_waitcnt lgkmcnt(1)
	v_add_f32_e32 v5, v13, v5
	v_add_f32_e32 v6, v14, v6
	v_add_f32_e32 v5, v5, v7
	v_add_f32_e32 v13, v6, v8
	s_waitcnt lgkmcnt(0)
	v_add_f32_e32 v1, v5, v1
	ds_read2st64_b64 v[5:8], v17 offset0:75 offset1:76
	v_add_f32_e32 v2, v13, v2
	v_add_f32_e32 v13, v1, v3
	;; [unrolled: 1-line block ×3, first 2 shown]
	ds_read2st64_b64 v[1:4], v17 offset0:77 offset1:78
	s_waitcnt lgkmcnt(1)
	v_add_f32_e32 v5, v13, v5
	v_add_f32_e32 v6, v14, v6
	;; [unrolled: 1-line block ×4, first 2 shown]
	s_waitcnt lgkmcnt(0)
	v_add_f32_e32 v1, v5, v1
	v_add_f32_e32 v2, v6, v2
	;; [unrolled: 1-line block ×6, first 2 shown]
	s_or_b64 exec, exec, s[10:11]
	s_and_b64 vcc, exec, s[8:9]
	s_cbranch_vccnz .LBB156_1102
	s_branch .LBB156_1121
.LBB156_1101:
	s_mov_b64 s[6:7], 0
                                        ; implicit-def: $vgpr1
                                        ; implicit-def: $vgpr2
	s_cbranch_execz .LBB156_1121
.LBB156_1102:
	s_movk_i32 s8, 0x208
	v_lshlrev_b32_e32 v2, 9, v0
	v_mov_b32_e32 v3, 0x7c00
	v_mul_u32_u24_e32 v1, 0x208, v0
	v_sub_u32_e32 v2, 0, v2
	v_mad_u32_u24 v3, v0, s8, v3
	s_mov_b32 s10, 63
	s_movk_i32 s11, 0x8200
	v_mov_b32_e32 v4, 0
	s_branch .LBB156_1104
.LBB156_1103:                           ;   in Loop: Header=BB156_1104 Depth=1
	s_or_b64 exec, exec, s[8:9]
	s_add_i32 s10, s10, -2
	s_cmp_lg_u32 s12, 0
	v_add_u32_e32 v2, 0xfffffc00, v2
	s_barrier
	s_cbranch_scc0 .LBB156_1112
.LBB156_1104:                           ; =>This Inner Loop Header: Depth=1
	v_cmp_eq_u32_e32 vcc, s11, v2
	s_and_b64 s[12:13], s[2:3], vcc
	s_and_saveexec_b64 s[8:9], s[12:13]
	s_cbranch_execz .LBB156_1106
; %bb.1105:                             ;   in Loop: Header=BB156_1104 Depth=1
	ds_read_b64 v[5:6], v1
	s_waitcnt lgkmcnt(0)
	v_mul_f32_e32 v8, v12, v6
	v_mul_f32_e32 v7, v11, v6
	v_fma_f32 v6, v11, v5, -v8
	v_fmac_f32_e32 v7, v12, v5
	v_mov_b32_e32 v11, v6
	v_mov_b32_e32 v12, v7
	ds_write_b64 v4, v[6:7] offset:41472
.LBB156_1106:                           ;   in Loop: Header=BB156_1104 Depth=1
	s_or_b64 exec, exec, s[8:9]
	v_cmp_gt_u32_e32 vcc, s10, v0
	s_and_b64 s[12:13], s[2:3], vcc
	v_add_u32_e32 v5, v3, v2
	s_waitcnt lgkmcnt(0)
	s_barrier
	s_and_saveexec_b64 s[8:9], s[12:13]
	s_cbranch_execz .LBB156_1108
; %bb.1107:                             ;   in Loop: Header=BB156_1104 Depth=1
	ds_read_b64 v[6:7], v5 offset:512
	ds_read_b64 v[8:9], v4 offset:41472
	s_waitcnt lgkmcnt(0)
	v_mul_f32_e32 v10, v9, v7
	v_mul_f32_e32 v7, v8, v7
	v_fma_f32 v8, v8, v6, -v10
	v_fmac_f32_e32 v7, v9, v6
	v_add_f32_e32 v11, v11, v8
	v_add_f32_e32 v12, v12, v7
.LBB156_1108:                           ;   in Loop: Header=BB156_1104 Depth=1
	s_or_b64 exec, exec, s[8:9]
	s_add_i32 s12, s10, -1
	v_cmp_eq_u32_e32 vcc, s12, v0
	s_and_b64 s[14:15], s[2:3], vcc
	s_barrier
	s_and_saveexec_b64 s[8:9], s[14:15]
	s_cbranch_execz .LBB156_1110
; %bb.1109:                             ;   in Loop: Header=BB156_1104 Depth=1
	ds_read_b64 v[6:7], v1
	s_waitcnt lgkmcnt(0)
	v_mul_f32_e32 v9, v12, v7
	v_mul_f32_e32 v8, v11, v7
	v_fma_f32 v7, v11, v6, -v9
	v_fmac_f32_e32 v8, v12, v6
	v_mov_b32_e32 v11, v7
	v_mov_b32_e32 v12, v8
	ds_write_b64 v4, v[7:8] offset:41472
.LBB156_1110:                           ;   in Loop: Header=BB156_1104 Depth=1
	s_or_b64 exec, exec, s[8:9]
	v_cmp_gt_u32_e32 vcc, s12, v0
	s_and_b64 s[14:15], s[2:3], vcc
	s_waitcnt lgkmcnt(0)
	s_barrier
	s_and_saveexec_b64 s[8:9], s[14:15]
	s_cbranch_execz .LBB156_1103
; %bb.1111:                             ;   in Loop: Header=BB156_1104 Depth=1
	ds_read_b64 v[5:6], v5
	ds_read_b64 v[7:8], v4 offset:41472
	s_waitcnt lgkmcnt(0)
	v_mul_f32_e32 v9, v8, v6
	v_mul_f32_e32 v6, v7, v6
	v_fma_f32 v7, v7, v5, -v9
	v_fmac_f32_e32 v6, v8, v5
	v_add_f32_e32 v11, v11, v7
	v_add_f32_e32 v12, v12, v6
	s_branch .LBB156_1103
.LBB156_1112:
	s_mov_b64 s[8:9], -1
	s_and_b64 vcc, exec, s[4:5]
	s_cbranch_vccnz .LBB156_1122
; %bb.1113:
	s_andn2_b64 vcc, exec, s[8:9]
	s_cbranch_vccz .LBB156_1123
.LBB156_1114:
	s_and_saveexec_b64 s[2:3], s[6:7]
	s_cbranch_execz .LBB156_1116
.LBB156_1115:
	v_mov_b32_e32 v0, s42
	v_add_co_u32_e32 v1, vcc, s33, v18
	v_addc_co_u32_e32 v0, vcc, 0, v0, vcc
	v_mul_lo_u32 v2, v0, s26
	v_mul_lo_u32 v3, v1, s27
	v_mad_u64_u32 v[0:1], s[4:5], v1, s26, 0
	v_add3_u32 v1, v1, v3, v2
	v_lshlrev_b64 v[0:1], 3, v[0:1]
	v_mov_b32_e32 v2, s21
	v_add_co_u32_e32 v0, vcc, s20, v0
	v_addc_co_u32_e32 v1, vcc, v2, v1, vcc
	flat_store_dwordx2 v[0:1], v[11:12]
.LBB156_1116:
	s_or_b64 exec, exec, s[2:3]
	v_cmp_eq_u32_e32 vcc, 0, v18
	s_waitcnt vmcnt(0) lgkmcnt(0)
	buffer_wbinvl1_vol
	s_barrier
	s_and_saveexec_b64 s[2:3], vcc
	s_cbranch_execz .LBB156_1118
; %bb.1117:
	s_lshl_b64 s[4:5], s[28:29], 2
	s_add_u32 s0, s0, s4
	s_addc_u32 s1, s1, s5
	v_mov_b32_e32 v0, 0
	global_load_dword v1, v0, s[0:1]
	s_waitcnt vmcnt(0)
	v_add_u32_e32 v1, 1, v1
	global_store_dword v0, v1, s[0:1]
.LBB156_1118:
	s_or_b64 exec, exec, s[2:3]
	s_waitcnt vmcnt(0)
	buffer_wbinvl1_vol
	s_endpgm
.LBB156_1119:
                                        ; implicit-def: $vgpr8
                                        ; implicit-def: $vgpr10
                                        ; implicit-def: $vgpr4
                                        ; implicit-def: $vgpr6
                                        ; implicit-def: $sgpr33
	s_cbranch_execnz .LBB156_10
	s_branch .LBB156_11
.LBB156_1120:
	s_or_b64 exec, exec, s[10:11]
	s_and_b64 vcc, exec, s[8:9]
	s_cbranch_vccnz .LBB156_1102
.LBB156_1121:
	v_mov_b32_e32 v12, v1
	v_mov_b32_e32 v11, v2
	s_and_saveexec_b64 s[2:3], s[6:7]
	s_cbranch_execnz .LBB156_1115
	s_branch .LBB156_1116
.LBB156_1122:
	s_andn2_b64 s[4:5], s[6:7], exec
	s_and_b64 s[6:7], s[2:3], exec
	s_or_b64 s[6:7], s[4:5], s[6:7]
	s_cbranch_execnz .LBB156_1114
.LBB156_1123:
	v_cmp_gt_i32_e32 vcc, s38, v0
	s_and_b64 s[2:3], s[2:3], vcc
	s_andn2_b64 s[4:5], s[6:7], exec
	s_and_b64 s[2:3], s[2:3], exec
	s_or_b64 s[6:7], s[4:5], s[2:3]
	s_and_saveexec_b64 s[2:3], s[6:7]
	s_cbranch_execnz .LBB156_1115
	s_branch .LBB156_1116
.LBB156_1124:
	v_lshlrev_b32_e32 v21, 3, v18
	v_sub_u32_e32 v21, v20, v21
	v_lshl_add_u32 v21, v17, 3, v21
	ds_read_b64 v[21:22], v21 offset:544
	ds_read_b64 v[23:24], v20 offset:8
	s_waitcnt lgkmcnt(0)
	v_mul_f32_e32 v25, v24, v22
	v_mul_f32_e32 v22, v23, v22
	v_fma_f32 v23, v23, v21, -v25
	v_fmac_f32_e32 v22, v24, v21
	v_add_f32_e32 v16, v16, v23
	v_add_f32_e32 v19, v19, v22
	s_or_b64 exec, exec, s[14:15]
	v_cmp_gt_u32_e64 s[10:11], 8, v1
	s_and_saveexec_b64 s[14:15], s[10:11]
	s_cbranch_execz .LBB156_149
.LBB156_1125:
	ds_read_b64 v[21:22], v14 offset:1056
	ds_read_b64 v[23:24], v20 offset:16
	s_waitcnt lgkmcnt(0)
	v_mul_f32_e32 v20, v24, v22
	v_mul_f32_e32 v22, v23, v22
	v_fma_f32 v20, v23, v21, -v20
	v_fmac_f32_e32 v22, v24, v21
	v_add_f32_e32 v16, v16, v20
	v_add_f32_e32 v19, v19, v22
	s_or_b64 exec, exec, s[14:15]
	v_cmp_gt_u32_e64 s[10:11], 4, v1
	s_and_saveexec_b64 s[14:15], s[10:11]
	s_cbranch_execnz .LBB156_150
	s_branch .LBB156_151
.LBB156_1126:
	v_lshlrev_b32_e32 v26, 3, v23
	v_sub_u32_e32 v26, v25, v26
	v_lshl_add_u32 v26, v22, 3, v26
	ds_read_b64 v[26:27], v26 offset:576
	ds_read_b64 v[28:29], v25 offset:8
	s_waitcnt lgkmcnt(0)
	v_mul_f32_e32 v30, v29, v27
	v_mul_f32_e32 v27, v28, v27
	v_fma_f32 v28, v28, v26, -v30
	v_fmac_f32_e32 v27, v29, v26
	v_add_f32_e32 v21, v21, v28
	v_add_f32_e32 v24, v24, v27
	s_or_b64 exec, exec, s[16:17]
	v_cmp_gt_u32_e64 s[14:15], 48, v1
	s_and_saveexec_b64 s[16:17], s[14:15]
	s_cbranch_execz .LBB156_191
.LBB156_1127:
	v_lshlrev_b32_e32 v26, 3, v23
	v_sub_u32_e32 v26, v25, v26
	v_lshl_add_u32 v26, v22, 3, v26
	ds_read_b64 v[26:27], v26 offset:1088
	ds_read_b64 v[28:29], v25 offset:16
	s_waitcnt lgkmcnt(0)
	v_mul_f32_e32 v30, v29, v27
	v_mul_f32_e32 v27, v28, v27
	v_fma_f32 v28, v28, v26, -v30
	v_fmac_f32_e32 v27, v29, v26
	v_add_f32_e32 v21, v21, v28
	v_add_f32_e32 v24, v24, v27
	s_or_b64 exec, exec, s[16:17]
	v_cmp_gt_u32_e64 s[14:15], 40, v1
	s_and_saveexec_b64 s[16:17], s[14:15]
	s_cbranch_execz .LBB156_192
.LBB156_1128:
	v_lshlrev_b32_e32 v26, 3, v23
	v_sub_u32_e32 v26, v25, v26
	v_lshl_add_u32 v26, v22, 3, v26
	ds_read_b64 v[26:27], v26 offset:1600
	ds_read_b64 v[28:29], v25 offset:24
	s_waitcnt lgkmcnt(0)
	v_mul_f32_e32 v30, v29, v27
	v_mul_f32_e32 v27, v28, v27
	v_fma_f32 v28, v28, v26, -v30
	v_fmac_f32_e32 v27, v29, v26
	v_add_f32_e32 v21, v21, v28
	v_add_f32_e32 v24, v24, v27
	s_or_b64 exec, exec, s[16:17]
	v_cmp_gt_u32_e64 s[14:15], 32, v1
	s_and_saveexec_b64 s[16:17], s[14:15]
	s_cbranch_execz .LBB156_193
.LBB156_1129:
	ds_read_b64 v[26:27], v19 offset:2112
	ds_read_b64 v[28:29], v25 offset:32
	s_waitcnt lgkmcnt(0)
	v_mul_f32_e32 v30, v29, v27
	v_mul_f32_e32 v27, v28, v27
	v_fma_f32 v28, v28, v26, -v30
	v_fmac_f32_e32 v27, v29, v26
	v_add_f32_e32 v21, v21, v28
	v_add_f32_e32 v24, v24, v27
	s_or_b64 exec, exec, s[16:17]
	v_cmp_gt_u32_e64 s[14:15], 24, v1
	s_and_saveexec_b64 s[16:17], s[14:15]
	s_cbranch_execz .LBB156_194
.LBB156_1130:
	v_lshlrev_b32_e32 v26, 3, v23
	v_sub_u32_e32 v26, v25, v26
	v_lshl_add_u32 v26, v22, 3, v26
	ds_read_b64 v[26:27], v26 offset:2624
	ds_read_b64 v[28:29], v25 offset:40
	s_waitcnt lgkmcnt(0)
	v_mul_f32_e32 v30, v29, v27
	v_mul_f32_e32 v27, v28, v27
	v_fma_f32 v28, v28, v26, -v30
	v_fmac_f32_e32 v27, v29, v26
	v_add_f32_e32 v21, v21, v28
	v_add_f32_e32 v24, v24, v27
	s_or_b64 exec, exec, s[16:17]
	v_cmp_gt_u32_e64 s[14:15], 16, v1
	s_and_saveexec_b64 s[16:17], s[14:15]
	s_cbranch_execz .LBB156_195
.LBB156_1131:
	ds_read_b64 v[26:27], v19 offset:3136
	ds_read_b64 v[28:29], v25 offset:48
	s_waitcnt lgkmcnt(0)
	v_mul_f32_e32 v25, v29, v27
	v_mul_f32_e32 v27, v28, v27
	v_fma_f32 v25, v28, v26, -v25
	v_fmac_f32_e32 v27, v29, v26
	v_add_f32_e32 v21, v21, v25
	v_add_f32_e32 v24, v24, v27
	s_or_b64 exec, exec, s[16:17]
	v_cmp_gt_u32_e64 s[14:15], 8, v1
	s_and_saveexec_b64 s[16:17], s[14:15]
	s_cbranch_execnz .LBB156_196
	s_branch .LBB156_197
.LBB156_1132:
	v_lshlrev_b32_e32 v27, 3, v18
	v_sub_u32_e32 v27, v25, v27
	v_lshl_add_u32 v27, v17, 3, v27
	ds_read_b64 v[27:28], v27 offset:4704
	ds_read_b64 v[29:30], v25 offset:4168
	s_waitcnt lgkmcnt(0)
	v_mul_f32_e32 v31, v30, v28
	v_mul_f32_e32 v28, v29, v28
	v_fma_f32 v29, v29, v27, -v31
	v_fmac_f32_e32 v28, v30, v27
	v_add_f32_e32 v24, v24, v29
	v_add_f32_e32 v26, v26, v28
	s_or_b64 exec, exec, s[14:15]
	v_cmp_gt_u32_e64 s[10:11], 8, v1
	s_and_saveexec_b64 s[14:15], s[10:11]
	s_cbranch_execz .LBB156_253
.LBB156_1133:
	ds_read_b64 v[27:28], v14 offset:5216
	ds_read_b64 v[29:30], v25 offset:4176
	s_waitcnt lgkmcnt(0)
	v_mul_f32_e32 v25, v30, v28
	v_mul_f32_e32 v28, v29, v28
	v_fma_f32 v25, v29, v27, -v25
	v_fmac_f32_e32 v28, v30, v27
	v_add_f32_e32 v24, v24, v25
	v_add_f32_e32 v26, v26, v28
	s_or_b64 exec, exec, s[14:15]
	v_cmp_gt_u32_e64 s[10:11], 4, v1
	s_and_saveexec_b64 s[14:15], s[10:11]
	s_cbranch_execnz .LBB156_254
	s_branch .LBB156_255
.LBB156_1134:
	v_lshlrev_b32_e32 v31, 3, v25
	v_lshl_add_u32 v31, v27, 3, v31
	ds_read_b64 v[31:32], v31 offset:5760
	ds_read_b64 v[33:34], v30 offset:88
	s_waitcnt lgkmcnt(0)
	v_mul_f32_e32 v35, v34, v32
	v_mul_f32_e32 v32, v33, v32
	v_fma_f32 v33, v33, v31, -v35
	v_fmac_f32_e32 v32, v34, v31
	v_add_f32_e32 v26, v26, v33
	v_add_f32_e32 v29, v29, v32
	s_or_b64 exec, exec, s[20:21]
	v_cmp_gt_u32_e64 s[16:17], 64, v1
	s_and_saveexec_b64 s[20:21], s[16:17]
	s_cbranch_execz .LBB156_315
.LBB156_1135:
	ds_read_b64 v[31:32], v24 offset:6272
	ds_read_b64 v[33:34], v30 offset:96
	s_waitcnt lgkmcnt(0)
	v_mul_f32_e32 v35, v34, v32
	v_mul_f32_e32 v32, v33, v32
	v_fma_f32 v33, v33, v31, -v35
	v_fmac_f32_e32 v32, v34, v31
	v_add_f32_e32 v26, v26, v33
	v_add_f32_e32 v29, v29, v32
	s_or_b64 exec, exec, s[20:21]
	v_cmp_gt_u32_e64 s[16:17], 48, v1
	s_and_saveexec_b64 s[20:21], s[16:17]
	s_cbranch_execz .LBB156_316
.LBB156_1136:
	v_lshlrev_b32_e32 v31, 3, v25
	v_lshl_add_u32 v31, v27, 3, v31
	ds_read_b64 v[31:32], v31 offset:6784
	ds_read_b64 v[33:34], v30 offset:104
	s_waitcnt lgkmcnt(0)
	v_mul_f32_e32 v35, v34, v32
	v_mul_f32_e32 v32, v33, v32
	v_fma_f32 v33, v33, v31, -v35
	v_fmac_f32_e32 v32, v34, v31
	v_add_f32_e32 v26, v26, v33
	v_add_f32_e32 v29, v29, v32
	s_or_b64 exec, exec, s[20:21]
	v_cmp_gt_u32_e64 s[16:17], 32, v1
	s_and_saveexec_b64 s[20:21], s[16:17]
	s_cbranch_execz .LBB156_317
.LBB156_1137:
	ds_read_b64 v[31:32], v24 offset:7296
	ds_read_b64 v[33:34], v30 offset:112
	s_waitcnt lgkmcnt(0)
	v_mul_f32_e32 v30, v34, v32
	v_mul_f32_e32 v32, v33, v32
	v_fma_f32 v30, v33, v31, -v30
	v_fmac_f32_e32 v32, v34, v31
	v_add_f32_e32 v26, v26, v30
	v_add_f32_e32 v29, v29, v32
	s_or_b64 exec, exec, s[20:21]
	v_cmp_gt_u32_e64 s[16:17], 16, v1
	s_and_saveexec_b64 s[20:21], s[16:17]
	s_cbranch_execnz .LBB156_318
	s_branch .LBB156_319
.LBB156_1138:
	v_lshlrev_b32_e32 v32, 3, v18
	v_sub_u32_e32 v32, v30, v32
	v_lshl_add_u32 v32, v17, 3, v32
	ds_read_b64 v[32:33], v32 offset:8864
	ds_read_b64 v[34:35], v30 offset:8328
	s_waitcnt lgkmcnt(0)
	v_mul_f32_e32 v36, v35, v33
	v_mul_f32_e32 v33, v34, v33
	v_fma_f32 v34, v34, v32, -v36
	v_fmac_f32_e32 v33, v35, v32
	v_add_f32_e32 v29, v29, v34
	v_add_f32_e32 v31, v31, v33
	s_or_b64 exec, exec, s[16:17]
	v_cmp_gt_u32_e64 s[14:15], 8, v1
	s_and_saveexec_b64 s[16:17], s[14:15]
	s_cbranch_execz .LBB156_407
.LBB156_1139:
	ds_read_b64 v[32:33], v14 offset:9376
	ds_read_b64 v[34:35], v30 offset:8336
	s_waitcnt lgkmcnt(0)
	v_mul_f32_e32 v30, v35, v33
	v_mul_f32_e32 v33, v34, v33
	v_fma_f32 v30, v34, v32, -v30
	v_fmac_f32_e32 v33, v35, v32
	v_add_f32_e32 v29, v29, v30
	v_add_f32_e32 v31, v31, v33
	s_or_b64 exec, exec, s[16:17]
	v_cmp_gt_u32_e64 s[14:15], 4, v1
	s_and_saveexec_b64 s[16:17], s[14:15]
	s_cbranch_execnz .LBB156_408
	s_branch .LBB156_409
.LBB156_1140:
	v_lshlrev_b32_e32 v32, 3, v23
	v_sub_u32_e32 v32, v30, v32
	v_lshl_add_u32 v32, v22, 3, v32
	ds_read_b64 v[32:33], v32 offset:8896
	ds_read_b64 v[34:35], v30 offset:8328
	s_waitcnt lgkmcnt(0)
	v_mul_f32_e32 v36, v35, v33
	v_mul_f32_e32 v33, v34, v33
	v_fma_f32 v34, v34, v32, -v36
	v_fmac_f32_e32 v33, v35, v32
	v_add_f32_e32 v29, v29, v34
	v_add_f32_e32 v31, v31, v33
	s_or_b64 exec, exec, s[16:17]
	v_cmp_gt_u32_e64 s[14:15], 48, v1
	s_and_saveexec_b64 s[16:17], s[14:15]
	s_cbranch_execz .LBB156_449
.LBB156_1141:
	v_lshlrev_b32_e32 v32, 3, v23
	v_sub_u32_e32 v32, v30, v32
	v_lshl_add_u32 v32, v22, 3, v32
	ds_read_b64 v[32:33], v32 offset:9408
	ds_read_b64 v[34:35], v30 offset:8336
	s_waitcnt lgkmcnt(0)
	v_mul_f32_e32 v36, v35, v33
	v_mul_f32_e32 v33, v34, v33
	v_fma_f32 v34, v34, v32, -v36
	v_fmac_f32_e32 v33, v35, v32
	v_add_f32_e32 v29, v29, v34
	v_add_f32_e32 v31, v31, v33
	s_or_b64 exec, exec, s[16:17]
	v_cmp_gt_u32_e64 s[14:15], 40, v1
	s_and_saveexec_b64 s[16:17], s[14:15]
	s_cbranch_execz .LBB156_450
.LBB156_1142:
	v_lshlrev_b32_e32 v32, 3, v23
	v_sub_u32_e32 v32, v30, v32
	v_lshl_add_u32 v32, v22, 3, v32
	ds_read_b64 v[32:33], v32 offset:9920
	ds_read_b64 v[34:35], v30 offset:8344
	s_waitcnt lgkmcnt(0)
	v_mul_f32_e32 v36, v35, v33
	v_mul_f32_e32 v33, v34, v33
	v_fma_f32 v34, v34, v32, -v36
	v_fmac_f32_e32 v33, v35, v32
	v_add_f32_e32 v29, v29, v34
	v_add_f32_e32 v31, v31, v33
	s_or_b64 exec, exec, s[16:17]
	v_cmp_gt_u32_e64 s[14:15], 32, v1
	s_and_saveexec_b64 s[16:17], s[14:15]
	s_cbranch_execz .LBB156_451
.LBB156_1143:
	ds_read_b64 v[32:33], v19 offset:10432
	ds_read_b64 v[34:35], v30 offset:8352
	s_waitcnt lgkmcnt(0)
	v_mul_f32_e32 v36, v35, v33
	v_mul_f32_e32 v33, v34, v33
	v_fma_f32 v34, v34, v32, -v36
	v_fmac_f32_e32 v33, v35, v32
	v_add_f32_e32 v29, v29, v34
	v_add_f32_e32 v31, v31, v33
	s_or_b64 exec, exec, s[16:17]
	v_cmp_gt_u32_e64 s[14:15], 24, v1
	s_and_saveexec_b64 s[16:17], s[14:15]
	s_cbranch_execz .LBB156_452
.LBB156_1144:
	v_lshlrev_b32_e32 v32, 3, v23
	v_sub_u32_e32 v32, v30, v32
	v_lshl_add_u32 v32, v22, 3, v32
	ds_read_b64 v[32:33], v32 offset:10944
	ds_read_b64 v[34:35], v30 offset:8360
	s_waitcnt lgkmcnt(0)
	v_mul_f32_e32 v36, v35, v33
	v_mul_f32_e32 v33, v34, v33
	v_fma_f32 v34, v34, v32, -v36
	v_fmac_f32_e32 v33, v35, v32
	v_add_f32_e32 v29, v29, v34
	v_add_f32_e32 v31, v31, v33
	s_or_b64 exec, exec, s[16:17]
	v_cmp_gt_u32_e64 s[14:15], 16, v1
	s_and_saveexec_b64 s[16:17], s[14:15]
	s_cbranch_execz .LBB156_453
.LBB156_1145:
	ds_read_b64 v[32:33], v19 offset:11456
	ds_read_b64 v[34:35], v30 offset:8368
	s_waitcnt lgkmcnt(0)
	v_mul_f32_e32 v30, v35, v33
	v_mul_f32_e32 v33, v34, v33
	v_fma_f32 v30, v34, v32, -v30
	v_fmac_f32_e32 v33, v35, v32
	v_add_f32_e32 v29, v29, v30
	v_add_f32_e32 v31, v31, v33
	s_or_b64 exec, exec, s[16:17]
	v_cmp_gt_u32_e64 s[14:15], 8, v1
	s_and_saveexec_b64 s[16:17], s[14:15]
	s_cbranch_execnz .LBB156_454
	s_branch .LBB156_455
.LBB156_1146:
	v_lshlrev_b32_e32 v32, 3, v18
	v_sub_u32_e32 v32, v30, v32
	v_lshl_add_u32 v32, v17, 3, v32
	ds_read_b64 v[32:33], v32 offset:13024
	ds_read_b64 v[34:35], v30 offset:12488
	s_waitcnt lgkmcnt(0)
	v_mul_f32_e32 v36, v35, v33
	v_mul_f32_e32 v33, v34, v33
	v_fma_f32 v34, v34, v32, -v36
	v_fmac_f32_e32 v33, v35, v32
	v_add_f32_e32 v29, v29, v34
	v_add_f32_e32 v31, v31, v33
	s_or_b64 exec, exec, s[16:17]
	v_cmp_gt_u32_e64 s[14:15], 8, v1
	s_and_saveexec_b64 s[16:17], s[14:15]
	s_cbranch_execz .LBB156_511
.LBB156_1147:
	ds_read_b64 v[32:33], v14 offset:13536
	ds_read_b64 v[34:35], v30 offset:12496
	s_waitcnt lgkmcnt(0)
	v_mul_f32_e32 v30, v35, v33
	v_mul_f32_e32 v33, v34, v33
	v_fma_f32 v30, v34, v32, -v30
	v_fmac_f32_e32 v33, v35, v32
	v_add_f32_e32 v29, v29, v30
	v_add_f32_e32 v31, v31, v33
	s_or_b64 exec, exec, s[16:17]
	v_cmp_gt_u32_e64 s[14:15], 4, v1
	s_and_saveexec_b64 s[16:17], s[14:15]
	s_cbranch_execnz .LBB156_512
	s_branch .LBB156_513
.LBB156_1148:
	ds_read_b64 v[37:38], v36 offset:15104
	ds_read_b64 v[39:40], v35 offset:232
	s_waitcnt lgkmcnt(0)
	v_mul_f32_e32 v41, v40, v38
	v_mul_f32_e32 v38, v39, v38
	v_fma_f32 v39, v39, v37, -v41
	v_fmac_f32_e32 v38, v40, v37
	v_add_f32_e32 v32, v32, v39
	v_add_f32_e32 v33, v33, v38
	s_or_b64 exec, exec, s[36:37]
	v_cmp_gt_u32_e64 s[20:21], 64, v1
	s_and_saveexec_b64 s[36:37], s[20:21]
	s_cbranch_execz .LBB156_609
.LBB156_1149:
	ds_read_b64 v[36:37], v36 offset:15616
	ds_read_b64 v[38:39], v35 offset:240
	s_waitcnt lgkmcnt(0)
	v_mul_f32_e32 v40, v39, v37
	v_mul_f32_e32 v37, v38, v37
	v_fma_f32 v38, v38, v36, -v40
	v_fmac_f32_e32 v37, v39, v36
	v_add_f32_e32 v32, v32, v38
	v_add_f32_e32 v33, v33, v37
	s_or_b64 exec, exec, s[36:37]
	v_cmp_gt_u32_e64 s[20:21], 32, v1
	s_and_saveexec_b64 s[36:37], s[20:21]
	s_cbranch_execnz .LBB156_610
	s_branch .LBB156_611
.LBB156_1150:
	v_lshlrev_b32_e32 v32, 3, v18
	v_sub_u32_e32 v32, v30, v32
	v_lshl_add_u32 v32, v17, 3, v32
	ds_read_b64 v[32:33], v32 offset:17184
	ds_read_b64 v[34:35], v30 offset:16648
	s_waitcnt lgkmcnt(0)
	v_mul_f32_e32 v36, v35, v33
	v_mul_f32_e32 v33, v34, v33
	v_fma_f32 v34, v34, v32, -v36
	v_fmac_f32_e32 v33, v35, v32
	v_add_f32_e32 v29, v29, v34
	v_add_f32_e32 v31, v31, v33
	s_or_b64 exec, exec, s[14:15]
	v_cmp_gt_u32_e64 s[12:13], 8, v1
	s_and_saveexec_b64 s[14:15], s[12:13]
	s_cbranch_execz .LBB156_647
.LBB156_1151:
	ds_read_b64 v[32:33], v14 offset:17696
	ds_read_b64 v[34:35], v30 offset:16656
	s_waitcnt lgkmcnt(0)
	v_mul_f32_e32 v30, v35, v33
	v_mul_f32_e32 v33, v34, v33
	v_fma_f32 v30, v34, v32, -v30
	v_fmac_f32_e32 v33, v35, v32
	v_add_f32_e32 v29, v29, v30
	v_add_f32_e32 v31, v31, v33
	s_or_b64 exec, exec, s[14:15]
	v_cmp_gt_u32_e64 s[12:13], 4, v1
	s_and_saveexec_b64 s[14:15], s[12:13]
	s_cbranch_execnz .LBB156_648
	s_branch .LBB156_649
.LBB156_1152:
	v_lshlrev_b32_e32 v32, 3, v23
	v_sub_u32_e32 v32, v30, v32
	v_lshl_add_u32 v32, v22, 3, v32
	ds_read_b64 v[32:33], v32 offset:17216
	ds_read_b64 v[34:35], v30 offset:16648
	s_waitcnt lgkmcnt(0)
	v_mul_f32_e32 v36, v35, v33
	v_mul_f32_e32 v33, v34, v33
	v_fma_f32 v34, v34, v32, -v36
	v_fmac_f32_e32 v33, v35, v32
	v_add_f32_e32 v29, v29, v34
	v_add_f32_e32 v31, v31, v33
	s_or_b64 exec, exec, s[14:15]
	v_cmp_gt_u32_e64 s[12:13], 48, v1
	s_and_saveexec_b64 s[14:15], s[12:13]
	s_cbranch_execz .LBB156_689
.LBB156_1153:
	v_lshlrev_b32_e32 v32, 3, v23
	v_sub_u32_e32 v32, v30, v32
	v_lshl_add_u32 v32, v22, 3, v32
	ds_read_b64 v[32:33], v32 offset:17728
	ds_read_b64 v[34:35], v30 offset:16656
	s_waitcnt lgkmcnt(0)
	v_mul_f32_e32 v36, v35, v33
	v_mul_f32_e32 v33, v34, v33
	v_fma_f32 v34, v34, v32, -v36
	v_fmac_f32_e32 v33, v35, v32
	v_add_f32_e32 v29, v29, v34
	v_add_f32_e32 v31, v31, v33
	s_or_b64 exec, exec, s[14:15]
	v_cmp_gt_u32_e64 s[12:13], 40, v1
	s_and_saveexec_b64 s[14:15], s[12:13]
	s_cbranch_execz .LBB156_690
.LBB156_1154:
	v_lshlrev_b32_e32 v32, 3, v23
	v_sub_u32_e32 v32, v30, v32
	v_lshl_add_u32 v32, v22, 3, v32
	ds_read_b64 v[32:33], v32 offset:18240
	ds_read_b64 v[34:35], v30 offset:16664
	s_waitcnt lgkmcnt(0)
	v_mul_f32_e32 v36, v35, v33
	v_mul_f32_e32 v33, v34, v33
	v_fma_f32 v34, v34, v32, -v36
	v_fmac_f32_e32 v33, v35, v32
	v_add_f32_e32 v29, v29, v34
	v_add_f32_e32 v31, v31, v33
	s_or_b64 exec, exec, s[14:15]
	v_cmp_gt_u32_e64 s[12:13], 32, v1
	s_and_saveexec_b64 s[14:15], s[12:13]
	s_cbranch_execz .LBB156_691
.LBB156_1155:
	ds_read_b64 v[32:33], v19 offset:18752
	ds_read_b64 v[34:35], v30 offset:16672
	s_waitcnt lgkmcnt(0)
	v_mul_f32_e32 v36, v35, v33
	v_mul_f32_e32 v33, v34, v33
	v_fma_f32 v34, v34, v32, -v36
	v_fmac_f32_e32 v33, v35, v32
	v_add_f32_e32 v29, v29, v34
	v_add_f32_e32 v31, v31, v33
	s_or_b64 exec, exec, s[14:15]
	v_cmp_gt_u32_e64 s[12:13], 24, v1
	s_and_saveexec_b64 s[14:15], s[12:13]
	s_cbranch_execz .LBB156_692
.LBB156_1156:
	v_lshlrev_b32_e32 v32, 3, v23
	v_sub_u32_e32 v32, v30, v32
	v_lshl_add_u32 v32, v22, 3, v32
	ds_read_b64 v[32:33], v32 offset:19264
	ds_read_b64 v[34:35], v30 offset:16680
	s_waitcnt lgkmcnt(0)
	v_mul_f32_e32 v36, v35, v33
	v_mul_f32_e32 v33, v34, v33
	v_fma_f32 v34, v34, v32, -v36
	v_fmac_f32_e32 v33, v35, v32
	v_add_f32_e32 v29, v29, v34
	v_add_f32_e32 v31, v31, v33
	s_or_b64 exec, exec, s[14:15]
	v_cmp_gt_u32_e64 s[12:13], 16, v1
	s_and_saveexec_b64 s[14:15], s[12:13]
	s_cbranch_execz .LBB156_693
.LBB156_1157:
	ds_read_b64 v[32:33], v19 offset:19776
	ds_read_b64 v[34:35], v30 offset:16688
	s_waitcnt lgkmcnt(0)
	v_mul_f32_e32 v30, v35, v33
	v_mul_f32_e32 v33, v34, v33
	v_fma_f32 v30, v34, v32, -v30
	v_fmac_f32_e32 v33, v35, v32
	v_add_f32_e32 v29, v29, v30
	v_add_f32_e32 v31, v31, v33
	s_or_b64 exec, exec, s[14:15]
	v_cmp_gt_u32_e64 s[12:13], 8, v1
	s_and_saveexec_b64 s[14:15], s[12:13]
	s_cbranch_execnz .LBB156_694
	s_branch .LBB156_695
.LBB156_1158:
	v_lshlrev_b32_e32 v32, 3, v18
	v_sub_u32_e32 v32, v30, v32
	v_lshl_add_u32 v32, v17, 3, v32
	ds_read_b64 v[32:33], v32 offset:21344
	ds_read_b64 v[34:35], v30 offset:20808
	s_waitcnt lgkmcnt(0)
	v_mul_f32_e32 v36, v35, v33
	v_mul_f32_e32 v33, v34, v33
	v_fma_f32 v34, v34, v32, -v36
	v_fmac_f32_e32 v33, v35, v32
	v_add_f32_e32 v29, v29, v34
	v_add_f32_e32 v31, v31, v33
	s_or_b64 exec, exec, s[14:15]
	v_cmp_gt_u32_e64 s[12:13], 8, v1
	s_and_saveexec_b64 s[14:15], s[12:13]
	s_cbranch_execz .LBB156_751
.LBB156_1159:
	ds_read_b64 v[32:33], v14 offset:21856
	ds_read_b64 v[34:35], v30 offset:20816
	s_waitcnt lgkmcnt(0)
	v_mul_f32_e32 v30, v35, v33
	v_mul_f32_e32 v33, v34, v33
	v_fma_f32 v30, v34, v32, -v30
	v_fmac_f32_e32 v33, v35, v32
	v_add_f32_e32 v29, v29, v30
	v_add_f32_e32 v31, v31, v33
	s_or_b64 exec, exec, s[14:15]
	v_cmp_gt_u32_e64 s[12:13], 4, v1
	s_and_saveexec_b64 s[14:15], s[12:13]
	s_cbranch_execnz .LBB156_752
	s_branch .LBB156_753
.LBB156_1160:
	v_lshlrev_b32_e32 v28, 3, v25
	v_lshl_add_u32 v28, v27, 3, v28
	ds_read_b64 v[32:33], v28 offset:22400
	ds_read_b64 v[34:35], v30 offset:16728
	s_waitcnt lgkmcnt(0)
	v_mul_f32_e32 v28, v35, v33
	v_mul_f32_e32 v33, v34, v33
	v_fma_f32 v28, v34, v32, -v28
	v_fmac_f32_e32 v33, v35, v32
	v_add_f32_e32 v29, v29, v28
	v_add_f32_e32 v31, v31, v33
	s_or_b64 exec, exec, s[14:15]
	v_cmp_gt_u32_e64 s[12:13], 64, v1
	s_and_saveexec_b64 s[14:15], s[12:13]
	s_cbranch_execz .LBB156_813
.LBB156_1161:
	ds_read_b64 v[32:33], v24 offset:22912
	ds_read_b64 v[34:35], v30 offset:16736
	s_waitcnt lgkmcnt(0)
	v_mul_f32_e32 v28, v35, v33
	v_mul_f32_e32 v33, v34, v33
	v_fma_f32 v28, v34, v32, -v28
	v_fmac_f32_e32 v33, v35, v32
	v_add_f32_e32 v29, v29, v28
	v_add_f32_e32 v31, v31, v33
	s_or_b64 exec, exec, s[14:15]
	v_cmp_gt_u32_e64 s[12:13], 48, v1
	s_and_saveexec_b64 s[14:15], s[12:13]
	s_cbranch_execz .LBB156_814
.LBB156_1162:
	v_lshlrev_b32_e32 v28, 3, v25
	v_lshl_add_u32 v27, v27, 3, v28
	ds_read_b64 v[27:28], v27 offset:23424
	ds_read_b64 v[32:33], v30 offset:16744
	s_waitcnt lgkmcnt(0)
	v_mul_f32_e32 v34, v33, v28
	v_mul_f32_e32 v28, v32, v28
	v_fma_f32 v32, v32, v27, -v34
	v_fmac_f32_e32 v28, v33, v27
	v_add_f32_e32 v29, v29, v32
	v_add_f32_e32 v31, v31, v28
	s_or_b64 exec, exec, s[14:15]
	v_cmp_gt_u32_e64 s[12:13], 32, v1
	s_and_saveexec_b64 s[14:15], s[12:13]
	s_cbranch_execz .LBB156_815
.LBB156_1163:
	ds_read_b64 v[27:28], v24 offset:23936
	ds_read_b64 v[32:33], v30 offset:16752
	s_waitcnt lgkmcnt(0)
	v_mul_f32_e32 v30, v33, v28
	v_mul_f32_e32 v28, v32, v28
	v_fma_f32 v30, v32, v27, -v30
	v_fmac_f32_e32 v28, v33, v27
	v_add_f32_e32 v29, v29, v30
	v_add_f32_e32 v31, v31, v28
	s_or_b64 exec, exec, s[14:15]
	v_cmp_gt_u32_e64 s[12:13], 16, v1
	s_and_saveexec_b64 s[14:15], s[12:13]
	s_cbranch_execnz .LBB156_816
	s_branch .LBB156_817
.LBB156_1164:
	v_lshlrev_b32_e32 v27, 3, v18
	v_sub_u32_e32 v27, v25, v27
	v_lshl_add_u32 v27, v17, 3, v27
	ds_read_b64 v[27:28], v27 offset:25504
	ds_read_b64 v[29:30], v25 offset:24968
	s_waitcnt lgkmcnt(0)
	v_mul_f32_e32 v31, v30, v28
	v_mul_f32_e32 v28, v29, v28
	v_fma_f32 v29, v29, v27, -v31
	v_fmac_f32_e32 v28, v30, v27
	v_add_f32_e32 v24, v24, v29
	v_add_f32_e32 v26, v26, v28
	s_or_b64 exec, exec, s[12:13]
	v_cmp_gt_u32_e64 s[10:11], 8, v1
	s_and_saveexec_b64 s[12:13], s[10:11]
	s_cbranch_execz .LBB156_905
.LBB156_1165:
	ds_read_b64 v[27:28], v14 offset:26016
	ds_read_b64 v[29:30], v25 offset:24976
	s_waitcnt lgkmcnt(0)
	v_mul_f32_e32 v25, v30, v28
	v_mul_f32_e32 v28, v29, v28
	v_fma_f32 v25, v29, v27, -v25
	v_fmac_f32_e32 v28, v30, v27
	v_add_f32_e32 v24, v24, v25
	v_add_f32_e32 v26, v26, v28
	s_or_b64 exec, exec, s[12:13]
	v_cmp_gt_u32_e64 s[10:11], 4, v1
	s_and_saveexec_b64 s[12:13], s[10:11]
	s_cbranch_execnz .LBB156_906
	s_branch .LBB156_907
.LBB156_1166:
	v_lshlrev_b32_e32 v27, 3, v23
	v_sub_u32_e32 v27, v25, v27
	v_lshl_add_u32 v27, v22, 3, v27
	ds_read_b64 v[27:28], v27 offset:25536
	ds_read_b64 v[29:30], v25 offset:24968
	s_waitcnt lgkmcnt(0)
	v_mul_f32_e32 v31, v30, v28
	v_mul_f32_e32 v28, v29, v28
	v_fma_f32 v29, v29, v27, -v31
	v_fmac_f32_e32 v28, v30, v27
	v_add_f32_e32 v24, v24, v29
	v_add_f32_e32 v26, v26, v28
	s_or_b64 exec, exec, s[12:13]
	v_cmp_gt_u32_e64 s[10:11], 48, v1
	s_and_saveexec_b64 s[12:13], s[10:11]
	s_cbranch_execz .LBB156_947
.LBB156_1167:
	v_lshlrev_b32_e32 v27, 3, v23
	v_sub_u32_e32 v27, v25, v27
	v_lshl_add_u32 v27, v22, 3, v27
	ds_read_b64 v[27:28], v27 offset:26048
	ds_read_b64 v[29:30], v25 offset:24976
	s_waitcnt lgkmcnt(0)
	v_mul_f32_e32 v31, v30, v28
	v_mul_f32_e32 v28, v29, v28
	v_fma_f32 v29, v29, v27, -v31
	v_fmac_f32_e32 v28, v30, v27
	v_add_f32_e32 v24, v24, v29
	v_add_f32_e32 v26, v26, v28
	s_or_b64 exec, exec, s[12:13]
	v_cmp_gt_u32_e64 s[10:11], 40, v1
	s_and_saveexec_b64 s[12:13], s[10:11]
	s_cbranch_execz .LBB156_948
.LBB156_1168:
	v_lshlrev_b32_e32 v27, 3, v23
	v_sub_u32_e32 v27, v25, v27
	v_lshl_add_u32 v27, v22, 3, v27
	ds_read_b64 v[27:28], v27 offset:26560
	ds_read_b64 v[29:30], v25 offset:24984
	s_waitcnt lgkmcnt(0)
	v_mul_f32_e32 v31, v30, v28
	v_mul_f32_e32 v28, v29, v28
	v_fma_f32 v29, v29, v27, -v31
	v_fmac_f32_e32 v28, v30, v27
	v_add_f32_e32 v24, v24, v29
	v_add_f32_e32 v26, v26, v28
	s_or_b64 exec, exec, s[12:13]
	v_cmp_gt_u32_e64 s[10:11], 32, v1
	s_and_saveexec_b64 s[12:13], s[10:11]
	s_cbranch_execz .LBB156_949
.LBB156_1169:
	ds_read_b64 v[27:28], v19 offset:27072
	ds_read_b64 v[29:30], v25 offset:24992
	s_waitcnt lgkmcnt(0)
	v_mul_f32_e32 v31, v30, v28
	v_mul_f32_e32 v28, v29, v28
	v_fma_f32 v29, v29, v27, -v31
	v_fmac_f32_e32 v28, v30, v27
	v_add_f32_e32 v24, v24, v29
	v_add_f32_e32 v26, v26, v28
	s_or_b64 exec, exec, s[12:13]
	v_cmp_gt_u32_e64 s[10:11], 24, v1
	s_and_saveexec_b64 s[12:13], s[10:11]
	s_cbranch_execz .LBB156_950
.LBB156_1170:
	v_lshlrev_b32_e32 v23, 3, v23
	v_sub_u32_e32 v23, v25, v23
	v_lshl_add_u32 v22, v22, 3, v23
	ds_read_b64 v[22:23], v22 offset:27584
	ds_read_b64 v[27:28], v25 offset:25000
	s_waitcnt lgkmcnt(0)
	v_mul_f32_e32 v29, v28, v23
	v_mul_f32_e32 v23, v27, v23
	v_fma_f32 v27, v27, v22, -v29
	v_fmac_f32_e32 v23, v28, v22
	v_add_f32_e32 v24, v24, v27
	v_add_f32_e32 v26, v26, v23
	s_or_b64 exec, exec, s[12:13]
	v_cmp_gt_u32_e64 s[10:11], 16, v1
	s_and_saveexec_b64 s[12:13], s[10:11]
	s_cbranch_execz .LBB156_951
.LBB156_1171:
	ds_read_b64 v[22:23], v19 offset:28096
	ds_read_b64 v[27:28], v25 offset:25008
	s_waitcnt lgkmcnt(0)
	v_mul_f32_e32 v25, v28, v23
	v_mul_f32_e32 v23, v27, v23
	v_fma_f32 v25, v27, v22, -v25
	v_fmac_f32_e32 v23, v28, v22
	v_add_f32_e32 v24, v24, v25
	v_add_f32_e32 v26, v26, v23
	s_or_b64 exec, exec, s[12:13]
	v_cmp_gt_u32_e64 s[10:11], 8, v1
	s_and_saveexec_b64 s[12:13], s[10:11]
	s_cbranch_execnz .LBB156_952
	s_branch .LBB156_953
.LBB156_1172:
	v_lshlrev_b32_e32 v18, 3, v18
	v_sub_u32_e32 v18, v20, v18
	v_lshl_add_u32 v17, v17, 3, v18
	ds_read_b64 v[17:18], v17 offset:29664
	ds_read_b64 v[22:23], v20 offset:29128
	s_waitcnt lgkmcnt(0)
	v_mul_f32_e32 v24, v23, v18
	v_mul_f32_e32 v18, v22, v18
	v_fma_f32 v22, v22, v17, -v24
	v_fmac_f32_e32 v18, v23, v17
	v_add_f32_e32 v19, v19, v22
	v_add_f32_e32 v21, v21, v18
	s_or_b64 exec, exec, s[10:11]
	v_cmp_gt_u32_e64 s[8:9], 8, v1
	s_and_saveexec_b64 s[10:11], s[8:9]
	s_cbranch_execz .LBB156_1009
.LBB156_1173:
	ds_read_b64 v[17:18], v14 offset:30176
	ds_read_b64 v[22:23], v20 offset:29136
	s_waitcnt lgkmcnt(0)
	v_mul_f32_e32 v20, v23, v18
	v_mul_f32_e32 v18, v22, v18
	v_fma_f32 v20, v22, v17, -v20
	v_fmac_f32_e32 v18, v23, v17
	v_add_f32_e32 v19, v19, v20
	v_add_f32_e32 v21, v21, v18
	s_or_b64 exec, exec, s[10:11]
	v_cmp_gt_u32_e64 s[8:9], 4, v1
	s_and_saveexec_b64 s[10:11], s[8:9]
	s_cbranch_execnz .LBB156_1010
	s_branch .LBB156_1011
	.section	.rodata,"a",@progbits
	.p2align	6, 0x0
	.amdhsa_kernel _ZL19rocblas_trsv_deviceILi64ELi16ELb1ELb1ELb1ELb0E19rocblas_complex_numIfEPKS1_PKS3_PKPS1_EviT7_lllT6_T8_lllPii
		.amdhsa_group_segment_fixed_size 41480
		.amdhsa_private_segment_fixed_size 0
		.amdhsa_kernarg_size 352
		.amdhsa_user_sgpr_count 6
		.amdhsa_user_sgpr_private_segment_buffer 1
		.amdhsa_user_sgpr_dispatch_ptr 0
		.amdhsa_user_sgpr_queue_ptr 0
		.amdhsa_user_sgpr_kernarg_segment_ptr 1
		.amdhsa_user_sgpr_dispatch_id 0
		.amdhsa_user_sgpr_flat_scratch_init 0
		.amdhsa_user_sgpr_private_segment_size 0
		.amdhsa_uses_dynamic_stack 0
		.amdhsa_system_sgpr_private_segment_wavefront_offset 0
		.amdhsa_system_sgpr_workgroup_id_x 1
		.amdhsa_system_sgpr_workgroup_id_y 0
		.amdhsa_system_sgpr_workgroup_id_z 1
		.amdhsa_system_sgpr_workgroup_info 0
		.amdhsa_system_vgpr_workitem_id 1
		.amdhsa_next_free_vgpr 49
		.amdhsa_next_free_sgpr 98
		.amdhsa_reserve_vcc 1
		.amdhsa_reserve_flat_scratch 0
		.amdhsa_float_round_mode_32 0
		.amdhsa_float_round_mode_16_64 0
		.amdhsa_float_denorm_mode_32 3
		.amdhsa_float_denorm_mode_16_64 3
		.amdhsa_dx10_clamp 1
		.amdhsa_ieee_mode 1
		.amdhsa_fp16_overflow 0
		.amdhsa_exception_fp_ieee_invalid_op 0
		.amdhsa_exception_fp_denorm_src 0
		.amdhsa_exception_fp_ieee_div_zero 0
		.amdhsa_exception_fp_ieee_overflow 0
		.amdhsa_exception_fp_ieee_underflow 0
		.amdhsa_exception_fp_ieee_inexact 0
		.amdhsa_exception_int_div_zero 0
	.end_amdhsa_kernel
	.section	.text._ZL19rocblas_trsv_deviceILi64ELi16ELb1ELb1ELb1ELb0E19rocblas_complex_numIfEPKS1_PKS3_PKPS1_EviT7_lllT6_T8_lllPii,"axG",@progbits,_ZL19rocblas_trsv_deviceILi64ELi16ELb1ELb1ELb1ELb0E19rocblas_complex_numIfEPKS1_PKS3_PKPS1_EviT7_lllT6_T8_lllPii,comdat
.Lfunc_end156:
	.size	_ZL19rocblas_trsv_deviceILi64ELi16ELb1ELb1ELb1ELb0E19rocblas_complex_numIfEPKS1_PKS3_PKPS1_EviT7_lllT6_T8_lllPii, .Lfunc_end156-_ZL19rocblas_trsv_deviceILi64ELi16ELb1ELb1ELb1ELb0E19rocblas_complex_numIfEPKS1_PKS3_PKPS1_EviT7_lllT6_T8_lllPii
                                        ; -- End function
	.set _ZL19rocblas_trsv_deviceILi64ELi16ELb1ELb1ELb1ELb0E19rocblas_complex_numIfEPKS1_PKS3_PKPS1_EviT7_lllT6_T8_lllPii.num_vgpr, 44
	.set _ZL19rocblas_trsv_deviceILi64ELi16ELb1ELb1ELb1ELb0E19rocblas_complex_numIfEPKS1_PKS3_PKPS1_EviT7_lllT6_T8_lllPii.num_agpr, 0
	.set _ZL19rocblas_trsv_deviceILi64ELi16ELb1ELb1ELb1ELb0E19rocblas_complex_numIfEPKS1_PKS3_PKPS1_EviT7_lllT6_T8_lllPii.numbered_sgpr, 96
	.set _ZL19rocblas_trsv_deviceILi64ELi16ELb1ELb1ELb1ELb0E19rocblas_complex_numIfEPKS1_PKS3_PKPS1_EviT7_lllT6_T8_lllPii.num_named_barrier, 0
	.set _ZL19rocblas_trsv_deviceILi64ELi16ELb1ELb1ELb1ELb0E19rocblas_complex_numIfEPKS1_PKS3_PKPS1_EviT7_lllT6_T8_lllPii.private_seg_size, 0
	.set _ZL19rocblas_trsv_deviceILi64ELi16ELb1ELb1ELb1ELb0E19rocblas_complex_numIfEPKS1_PKS3_PKPS1_EviT7_lllT6_T8_lllPii.uses_vcc, 1
	.set _ZL19rocblas_trsv_deviceILi64ELi16ELb1ELb1ELb1ELb0E19rocblas_complex_numIfEPKS1_PKS3_PKPS1_EviT7_lllT6_T8_lllPii.uses_flat_scratch, 0
	.set _ZL19rocblas_trsv_deviceILi64ELi16ELb1ELb1ELb1ELb0E19rocblas_complex_numIfEPKS1_PKS3_PKPS1_EviT7_lllT6_T8_lllPii.has_dyn_sized_stack, 0
	.set _ZL19rocblas_trsv_deviceILi64ELi16ELb1ELb1ELb1ELb0E19rocblas_complex_numIfEPKS1_PKS3_PKPS1_EviT7_lllT6_T8_lllPii.has_recursion, 0
	.set _ZL19rocblas_trsv_deviceILi64ELi16ELb1ELb1ELb1ELb0E19rocblas_complex_numIfEPKS1_PKS3_PKPS1_EviT7_lllT6_T8_lllPii.has_indirect_call, 0
	.section	.AMDGPU.csdata,"",@progbits
; Kernel info:
; codeLenInByte = 49440
; TotalNumSgprs: 100
; NumVgprs: 44
; ScratchSize: 0
; MemoryBound: 0
; FloatMode: 240
; IeeeMode: 1
; LDSByteSize: 41480 bytes/workgroup (compile time only)
; SGPRBlocks: 12
; VGPRBlocks: 12
; NumSGPRsForWavesPerEU: 102
; NumVGPRsForWavesPerEU: 49
; Occupancy: 4
; WaveLimiterHint : 1
; COMPUTE_PGM_RSRC2:SCRATCH_EN: 0
; COMPUTE_PGM_RSRC2:USER_SGPR: 6
; COMPUTE_PGM_RSRC2:TRAP_HANDLER: 0
; COMPUTE_PGM_RSRC2:TGID_X_EN: 1
; COMPUTE_PGM_RSRC2:TGID_Y_EN: 0
; COMPUTE_PGM_RSRC2:TGID_Z_EN: 1
; COMPUTE_PGM_RSRC2:TIDIG_COMP_CNT: 1
	.section	.text._ZL19rocblas_trsv_deviceILi64ELi16ELb0ELb0ELb0ELb1E19rocblas_complex_numIfES1_PKPKS1_PKPS1_EviT7_lllT6_T8_lllPii,"axG",@progbits,_ZL19rocblas_trsv_deviceILi64ELi16ELb0ELb0ELb0ELb1E19rocblas_complex_numIfES1_PKPKS1_PKPS1_EviT7_lllT6_T8_lllPii,comdat
	.globl	_ZL19rocblas_trsv_deviceILi64ELi16ELb0ELb0ELb0ELb1E19rocblas_complex_numIfES1_PKPKS1_PKPS1_EviT7_lllT6_T8_lllPii ; -- Begin function _ZL19rocblas_trsv_deviceILi64ELi16ELb0ELb0ELb0ELb1E19rocblas_complex_numIfES1_PKPKS1_PKPS1_EviT7_lllT6_T8_lllPii
	.p2align	8
	.type	_ZL19rocblas_trsv_deviceILi64ELi16ELb0ELb0ELb0ELb1E19rocblas_complex_numIfES1_PKPKS1_PKPS1_EviT7_lllT6_T8_lllPii,@function
_ZL19rocblas_trsv_deviceILi64ELi16ELb0ELb0ELb0ELb1E19rocblas_complex_numIfES1_PKPKS1_PKPS1_EviT7_lllT6_T8_lllPii: ; @_ZL19rocblas_trsv_deviceILi64ELi16ELb0ELb0ELb0ELb1E19rocblas_complex_numIfES1_PKPKS1_PKPS1_EviT7_lllT6_T8_lllPii
; %bb.0:
	s_load_dwordx4 s[12:15], s[4:5], 0x8
	s_add_u32 flat_scratch_lo, s6, s10
	s_addc_u32 flat_scratch_hi, s7, 0
	s_add_u32 s0, s0, s10
	s_mov_b32 s24, s9
	s_mov_b32 s25, 0
	s_addc_u32 s1, s1, 0
	s_lshl_b64 s[6:7], s[24:25], 3
	s_waitcnt lgkmcnt(0)
	s_add_u32 s10, s12, s6
	s_addc_u32 s11, s13, s7
	s_load_dwordx2 s[12:13], s[10:11], 0x0
	s_load_dword s28, s[4:5], 0x0
	s_load_dwordx2 s[30:31], s[4:5], 0x18
	s_load_dwordx4 s[16:19], s[4:5], 0x30
	s_lshl_b64 s[10:11], s[14:15], 3
	s_waitcnt lgkmcnt(0)
	s_add_u32 s97, s12, s10
	s_addc_u32 s98, s13, s11
	s_load_dword s9, s[4:5], 0x60
	s_add_u32 s6, s16, s6
	s_addc_u32 s7, s17, s7
	s_load_dwordx2 s[36:37], s[6:7], 0x0
	s_load_dword s99, s[4:5], 0x6c
	s_waitcnt lgkmcnt(0)
	s_add_i32 s9, s9, -1
	s_sub_i32 s33, s9, s8
	s_cmp_eq_u32 s8, 0
	s_cbranch_scc1 .LBB157_18
; %bb.1:
	s_lshl_b32 s10, s33, 6
	v_add3_u32 v4, v1, s10, 64
	v_ashrrev_i32_e32 v2, 31, v4
	v_mul_lo_u32 v7, s30, v2
	v_mul_lo_u32 v8, s31, v4
	v_mad_u64_u32 v[2:3], s[6:7], s30, v4, 0
	v_add_u32_e32 v5, s10, v0
	v_ashrrev_i32_e32 v6, 31, v5
	v_add3_u32 v3, v3, v7, v8
	v_lshlrev_b64 v[2:3], 3, v[2:3]
	v_mov_b32_e32 v7, s98
	v_add_co_u32_e64 v8, s[6:7], s97, v2
	v_addc_co_u32_e64 v7, s[6:7], v7, v3, s[6:7]
	v_lshlrev_b64 v[2:3], 3, v[5:6]
	v_cmp_gt_i32_e32 vcc, s28, v5
	v_add_co_u32_e64 v2, s[6:7], v8, v2
	v_addc_co_u32_e64 v3, s[6:7], v7, v3, s[6:7]
	v_max_i32_e32 v5, v5, v4
	v_cmp_le_i32_e64 s[6:7], s28, v5
	s_barrier
	s_and_saveexec_b64 s[10:11], s[6:7]
	s_xor_b64 s[6:7], exec, s[10:11]
	s_cbranch_execz .LBB157_3
; %bb.2:
	v_mov_b32_e32 v5, 0
	buffer_store_dword v5, off, s[0:3], 0
	buffer_store_dword v5, off, s[0:3], 0 offset:4
.LBB157_3:
	s_andn2_saveexec_b64 s[6:7], s[6:7]
	s_cbranch_execz .LBB157_5
; %bb.4:
	flat_load_dwordx2 v[5:6], v[2:3]
	s_waitcnt vmcnt(0) lgkmcnt(0)
	buffer_store_dword v6, off, s[0:3], 0 offset:4
	buffer_store_dword v5, off, s[0:3], 0
.LBB157_5:
	s_or_b64 exec, exec, s[6:7]
	v_add_u32_e32 v5, 16, v4
	v_cmp_le_i32_e64 s[6:7], s28, v5
	s_xor_b64 s[10:11], vcc, -1
	s_or_b64 s[6:7], s[10:11], s[6:7]
	s_waitcnt vmcnt(0)
	s_barrier
	s_and_saveexec_b64 s[12:13], s[6:7]
	s_xor_b64 s[6:7], exec, s[12:13]
	s_cbranch_execz .LBB157_7
; %bb.6:
	v_mov_b32_e32 v5, 0
	buffer_store_dword v5, off, s[0:3], 0 offset:8
	buffer_store_dword v5, off, s[0:3], 0 offset:12
.LBB157_7:
	s_andn2_saveexec_b64 s[6:7], s[6:7]
	s_cbranch_execz .LBB157_9
; %bb.8:
	s_lshl_b64 s[12:13], s[30:31], 7
	v_mov_b32_e32 v6, s13
	v_add_co_u32_e32 v5, vcc, s12, v2
	v_addc_co_u32_e32 v6, vcc, v3, v6, vcc
	flat_load_dwordx2 v[5:6], v[5:6]
	s_waitcnt vmcnt(0) lgkmcnt(0)
	buffer_store_dword v6, off, s[0:3], 0 offset:12
	buffer_store_dword v5, off, s[0:3], 0 offset:8
.LBB157_9:
	s_or_b64 exec, exec, s[6:7]
	v_add_u32_e32 v5, 32, v4
	v_cmp_le_i32_e32 vcc, s28, v5
	s_or_b64 s[6:7], s[10:11], vcc
	s_waitcnt vmcnt(0)
	s_barrier
	s_and_saveexec_b64 s[12:13], s[6:7]
	s_xor_b64 s[6:7], exec, s[12:13]
	s_cbranch_execz .LBB157_11
; %bb.10:
	v_mov_b32_e32 v5, 0
	buffer_store_dword v5, off, s[0:3], 0 offset:16
	buffer_store_dword v5, off, s[0:3], 0 offset:20
.LBB157_11:
	s_andn2_saveexec_b64 s[6:7], s[6:7]
	s_cbranch_execz .LBB157_13
; %bb.12:
	s_lshl_b64 s[12:13], s[30:31], 8
	v_mov_b32_e32 v6, s13
	v_add_co_u32_e32 v5, vcc, s12, v2
	v_addc_co_u32_e32 v6, vcc, v3, v6, vcc
	flat_load_dwordx2 v[5:6], v[5:6]
	s_waitcnt vmcnt(0) lgkmcnt(0)
	buffer_store_dword v6, off, s[0:3], 0 offset:20
	buffer_store_dword v5, off, s[0:3], 0 offset:16
.LBB157_13:
	s_or_b64 exec, exec, s[6:7]
	v_add_u32_e32 v4, 48, v4
	v_cmp_le_i32_e32 vcc, s28, v4
	s_or_b64 s[6:7], s[10:11], vcc
	s_waitcnt vmcnt(0)
	s_barrier
	s_and_saveexec_b64 s[10:11], s[6:7]
	s_xor_b64 s[6:7], exec, s[10:11]
	s_cbranch_execz .LBB157_15
; %bb.14:
	v_mov_b32_e32 v2, 0
	buffer_store_dword v2, off, s[0:3], 0 offset:24
	buffer_store_dword v2, off, s[0:3], 0 offset:28
                                        ; implicit-def: $vgpr2_vgpr3
.LBB157_15:
	s_andn2_saveexec_b64 s[6:7], s[6:7]
	s_cbranch_execz .LBB157_17
; %bb.16:
	v_mov_b32_e32 v4, 0x180
	v_mad_u64_u32 v[2:3], s[10:11], s30, v4, v[2:3]
	s_mul_i32 s10, s31, 0x180
	v_add_u32_e32 v3, s10, v3
	flat_load_dwordx2 v[2:3], v[2:3]
	s_waitcnt vmcnt(0) lgkmcnt(0)
	buffer_store_dword v3, off, s[0:3], 0 offset:28
	buffer_store_dword v2, off, s[0:3], 0 offset:24
.LBB157_17:
	s_or_b64 exec, exec, s[6:7]
.LBB157_18:
	s_ashr_i32 s29, s28, 31
	s_lshr_b32 s6, s29, 26
	s_add_i32 s6, s28, s6
	s_andn2_b32 s6, s6, 63
	s_sub_i32 s96, s28, s6
	s_add_i32 s6, s28, -1
	s_ashr_i32 s7, s6, 31
	s_lshr_b32 s7, s7, 26
	s_add_i32 s6, s6, s7
	s_ashr_i32 s6, s6, 6
	s_load_dwordx2 s[26:27], s[4:5], 0x40
	s_cmp_eq_u32 s6, s33
	s_cselect_b64 s[6:7], -1, 0
	s_cmp_lg_u32 s96, 0
	s_cselect_b64 s[10:11], -1, 0
	s_and_b64 s[34:35], s[10:11], s[6:7]
	s_mov_b64 s[10:11], -1
	s_and_b64 vcc, exec, s[34:35]
	v_cmp_le_u32_e64 s[6:7], v1, v0
	v_lshl_add_u32 v7, v1, 6, v0
	s_cbranch_vccnz .LBB157_44
; %bb.19:
	s_add_u32 s10, s30, 1
	s_addc_u32 s11, s31, 0
	s_lshl_b32 s12, s33, 6
	s_ashr_i32 s13, s12, 31
	s_mul_hi_u32 s14, s10, s12
	s_mul_i32 s13, s10, s13
	s_add_i32 s13, s14, s13
	s_mul_i32 s11, s11, s12
	s_add_i32 s11, s13, s11
	s_mul_i32 s10, s10, s12
	s_lshl_b64 s[10:11], s[10:11], 3
	s_add_u32 s10, s97, s10
	s_addc_u32 s11, s98, s11
	v_lshlrev_b32_e32 v2, 3, v0
	v_mov_b32_e32 v3, s11
	v_add_co_u32_e32 v2, vcc, s10, v2
	v_addc_co_u32_e32 v3, vcc, 0, v3, vcc
	s_and_saveexec_b64 s[10:11], s[6:7]
	s_xor_b64 s[6:7], exec, s[10:11]
	s_cbranch_execz .LBB157_23
; %bb.20:
	v_or_b32_e32 v4, v1, v0
	v_cmp_gt_u32_e32 vcc, 64, v4
	s_and_saveexec_b64 s[10:11], vcc
; %bb.21:
	v_mov_b32_e32 v4, 0
	v_lshlrev_b32_e32 v6, 3, v7
	v_mov_b32_e32 v5, v4
	ds_write_b64 v6, v[4:5]
; %bb.22:
	s_or_b64 exec, exec, s[10:11]
.LBB157_23:
	s_andn2_saveexec_b64 s[6:7], s[6:7]
	s_cbranch_execz .LBB157_25
; %bb.24:
	v_mad_u64_u32 v[4:5], s[10:11], s30, v1, 0
	v_mad_u64_u32 v[5:6], s[10:11], s31, v1, v[5:6]
	v_lshlrev_b32_e32 v6, 3, v7
	v_lshlrev_b64 v[4:5], 3, v[4:5]
	v_add_co_u32_e32 v4, vcc, v2, v4
	v_addc_co_u32_e32 v5, vcc, v3, v5, vcc
	flat_load_dwordx2 v[4:5], v[4:5]
	s_waitcnt vmcnt(0) lgkmcnt(0)
	v_xor_b32_e32 v4, 0x80000000, v4
	v_xor_b32_e32 v5, 0x80000000, v5
	ds_write_b64 v6, v[4:5]
.LBB157_25:
	s_or_b64 exec, exec, s[6:7]
	v_add_u32_e32 v5, 16, v1
	v_lshl_add_u32 v4, v5, 6, v0
	v_cmp_le_u32_e32 vcc, v5, v0
	s_and_saveexec_b64 s[6:7], vcc
	s_xor_b64 s[6:7], exec, s[6:7]
	s_cbranch_execz .LBB157_29
; %bb.26:
	v_or_b32_e32 v5, v5, v0
	v_cmp_gt_u32_e32 vcc, 64, v5
	s_and_saveexec_b64 s[10:11], vcc
; %bb.27:
	v_lshlrev_b32_e32 v6, 3, v4
	v_mov_b32_e32 v4, 0
	v_mov_b32_e32 v5, v4
	ds_write_b64 v6, v[4:5]
; %bb.28:
	s_or_b64 exec, exec, s[10:11]
                                        ; implicit-def: $vgpr5
                                        ; implicit-def: $vgpr4
.LBB157_29:
	s_andn2_saveexec_b64 s[6:7], s[6:7]
	s_cbranch_execz .LBB157_31
; %bb.30:
	v_mad_u64_u32 v[8:9], s[10:11], s30, v5, 0
	v_lshlrev_b32_e32 v4, 3, v4
	v_mov_b32_e32 v6, v9
	v_mad_u64_u32 v[5:6], s[10:11], s31, v5, v[6:7]
	v_mov_b32_e32 v9, v5
	v_lshlrev_b64 v[5:6], 3, v[8:9]
	v_add_co_u32_e32 v5, vcc, v2, v5
	v_addc_co_u32_e32 v6, vcc, v3, v6, vcc
	flat_load_dwordx2 v[5:6], v[5:6]
	s_waitcnt vmcnt(0) lgkmcnt(0)
	v_xor_b32_e32 v5, 0x80000000, v5
	v_xor_b32_e32 v6, 0x80000000, v6
	ds_write_b64 v4, v[5:6]
.LBB157_31:
	s_or_b64 exec, exec, s[6:7]
	v_add_u32_e32 v5, 32, v1
	v_lshl_add_u32 v4, v5, 6, v0
	v_cmp_le_u32_e32 vcc, v5, v0
	s_and_saveexec_b64 s[6:7], vcc
	s_xor_b64 s[6:7], exec, s[6:7]
	s_cbranch_execz .LBB157_35
; %bb.32:
	v_or_b32_e32 v5, v5, v0
	v_cmp_gt_u32_e32 vcc, 64, v5
	s_and_saveexec_b64 s[10:11], vcc
; %bb.33:
	v_lshlrev_b32_e32 v6, 3, v4
	v_mov_b32_e32 v4, 0
	v_mov_b32_e32 v5, v4
	ds_write_b64 v6, v[4:5]
; %bb.34:
	s_or_b64 exec, exec, s[10:11]
                                        ; implicit-def: $vgpr5
                                        ; implicit-def: $vgpr4
.LBB157_35:
	s_andn2_saveexec_b64 s[6:7], s[6:7]
	s_cbranch_execz .LBB157_37
; %bb.36:
	v_mad_u64_u32 v[8:9], s[10:11], s30, v5, 0
	v_lshlrev_b32_e32 v4, 3, v4
	v_mov_b32_e32 v6, v9
	v_mad_u64_u32 v[5:6], s[10:11], s31, v5, v[6:7]
	v_mov_b32_e32 v9, v5
	v_lshlrev_b64 v[5:6], 3, v[8:9]
	v_add_co_u32_e32 v5, vcc, v2, v5
	v_addc_co_u32_e32 v6, vcc, v3, v6, vcc
	flat_load_dwordx2 v[5:6], v[5:6]
	s_waitcnt vmcnt(0) lgkmcnt(0)
	v_xor_b32_e32 v5, 0x80000000, v5
	v_xor_b32_e32 v6, 0x80000000, v6
	ds_write_b64 v4, v[5:6]
.LBB157_37:
	s_or_b64 exec, exec, s[6:7]
	v_add_u32_e32 v5, 48, v1
	v_lshl_add_u32 v4, v5, 6, v0
	v_cmp_le_u32_e32 vcc, v5, v0
	s_and_saveexec_b64 s[6:7], vcc
	s_xor_b64 s[6:7], exec, s[6:7]
	s_cbranch_execz .LBB157_41
; %bb.38:
	v_or_b32_e32 v2, v5, v0
	v_cmp_gt_u32_e32 vcc, 64, v2
	s_and_saveexec_b64 s[10:11], vcc
; %bb.39:
	v_mov_b32_e32 v2, 0
	v_lshlrev_b32_e32 v4, 3, v4
	v_mov_b32_e32 v3, v2
	ds_write_b64 v4, v[2:3]
; %bb.40:
	s_or_b64 exec, exec, s[10:11]
                                        ; implicit-def: $vgpr5
                                        ; implicit-def: $vgpr2
                                        ; implicit-def: $vgpr3
                                        ; implicit-def: $vgpr4
.LBB157_41:
	s_andn2_saveexec_b64 s[6:7], s[6:7]
	s_cbranch_execz .LBB157_43
; %bb.42:
	v_mad_u64_u32 v[8:9], s[10:11], s30, v5, 0
	v_lshlrev_b32_e32 v4, 3, v4
	v_mov_b32_e32 v6, v9
	v_mad_u64_u32 v[5:6], s[10:11], s31, v5, v[6:7]
	v_mov_b32_e32 v9, v5
	v_lshlrev_b64 v[5:6], 3, v[8:9]
	v_add_co_u32_e32 v2, vcc, v2, v5
	v_addc_co_u32_e32 v3, vcc, v3, v6, vcc
	flat_load_dwordx2 v[2:3], v[2:3]
	s_waitcnt vmcnt(0) lgkmcnt(0)
	v_xor_b32_e32 v2, 0x80000000, v2
	v_xor_b32_e32 v3, 0x80000000, v3
	ds_write_b64 v4, v[2:3]
.LBB157_43:
	s_or_b64 exec, exec, s[6:7]
	s_mov_b64 s[10:11], 0
.LBB157_44:
	s_and_b64 vcc, exec, s[10:11]
	s_cbranch_vccz .LBB157_70
; %bb.45:
	s_add_u32 s6, s30, 1
	s_addc_u32 s7, s31, 0
	s_lshl_b32 s10, s33, 6
	s_ashr_i32 s11, s10, 31
	s_mul_hi_u32 s12, s6, s10
	s_mul_i32 s11, s6, s11
	s_add_i32 s11, s12, s11
	s_mul_i32 s7, s7, s10
	s_add_i32 s7, s11, s7
	s_mul_i32 s6, s6, s10
	s_lshl_b64 s[6:7], s[6:7], 3
	s_add_u32 s6, s97, s6
	s_addc_u32 s7, s98, s7
	v_lshlrev_b32_e32 v2, 3, v0
	v_mov_b32_e32 v3, s7
	v_add_co_u32_e64 v2, s[6:7], s6, v2
	v_addc_co_u32_e64 v3, s[6:7], 0, v3, s[6:7]
	v_max_i32_e32 v4, v1, v0
	v_cmp_le_u32_e64 s[6:7], v1, v0
	v_cmp_le_i32_e64 s[10:11], s96, v4
	v_cmp_gt_i32_e32 vcc, s96, v0
	s_or_b64 s[6:7], s[10:11], s[6:7]
	s_and_saveexec_b64 s[10:11], s[6:7]
	s_xor_b64 s[10:11], exec, s[10:11]
	s_cbranch_execz .LBB157_49
; %bb.46:
	v_or_b32_e32 v4, v1, v0
	v_cmp_gt_u32_e64 s[6:7], 64, v4
	s_and_saveexec_b64 s[12:13], s[6:7]
; %bb.47:
	v_mov_b32_e32 v4, 0
	v_lshlrev_b32_e32 v6, 3, v7
	v_mov_b32_e32 v5, v4
	ds_write_b64 v6, v[4:5]
; %bb.48:
	s_or_b64 exec, exec, s[12:13]
.LBB157_49:
	s_andn2_saveexec_b64 s[10:11], s[10:11]
	s_cbranch_execz .LBB157_51
; %bb.50:
	v_mad_u64_u32 v[4:5], s[6:7], s30, v1, 0
	v_mad_u64_u32 v[5:6], s[6:7], s31, v1, v[5:6]
	v_lshlrev_b32_e32 v6, 3, v7
	v_lshlrev_b64 v[4:5], 3, v[4:5]
	v_add_co_u32_e64 v4, s[6:7], v2, v4
	v_addc_co_u32_e64 v5, s[6:7], v3, v5, s[6:7]
	flat_load_dwordx2 v[4:5], v[4:5]
	s_waitcnt vmcnt(0) lgkmcnt(0)
	v_xor_b32_e32 v4, 0x80000000, v4
	v_xor_b32_e32 v5, 0x80000000, v5
	ds_write_b64 v6, v[4:5]
.LBB157_51:
	s_or_b64 exec, exec, s[10:11]
	v_add_u32_e32 v5, 16, v1
	v_cmp_gt_u32_e64 s[6:7], v5, v0
	v_cmp_gt_i32_e64 s[10:11], s96, v5
	s_and_b64 s[6:7], s[6:7], s[10:11]
	s_and_b64 s[6:7], s[6:7], vcc
	v_lshl_add_u32 v4, v5, 6, v0
	s_xor_b64 s[6:7], s[6:7], -1
	s_and_saveexec_b64 s[10:11], s[6:7]
	s_xor_b64 s[10:11], exec, s[10:11]
	s_cbranch_execz .LBB157_55
; %bb.52:
	v_or_b32_e32 v5, v5, v0
	v_cmp_gt_u32_e64 s[6:7], 64, v5
	s_and_saveexec_b64 s[12:13], s[6:7]
; %bb.53:
	v_lshlrev_b32_e32 v6, 3, v4
	v_mov_b32_e32 v4, 0
	v_mov_b32_e32 v5, v4
	ds_write_b64 v6, v[4:5]
; %bb.54:
	s_or_b64 exec, exec, s[12:13]
                                        ; implicit-def: $vgpr5
                                        ; implicit-def: $vgpr4
.LBB157_55:
	s_andn2_saveexec_b64 s[10:11], s[10:11]
	s_cbranch_execz .LBB157_57
; %bb.56:
	v_mad_u64_u32 v[8:9], s[6:7], s30, v5, 0
	v_lshlrev_b32_e32 v4, 3, v4
	v_mov_b32_e32 v6, v9
	v_mad_u64_u32 v[5:6], s[6:7], s31, v5, v[6:7]
	v_mov_b32_e32 v9, v5
	v_lshlrev_b64 v[5:6], 3, v[8:9]
	v_add_co_u32_e64 v5, s[6:7], v2, v5
	v_addc_co_u32_e64 v6, s[6:7], v3, v6, s[6:7]
	flat_load_dwordx2 v[5:6], v[5:6]
	s_waitcnt vmcnt(0) lgkmcnt(0)
	v_xor_b32_e32 v5, 0x80000000, v5
	v_xor_b32_e32 v6, 0x80000000, v6
	ds_write_b64 v4, v[5:6]
.LBB157_57:
	s_or_b64 exec, exec, s[10:11]
	v_add_u32_e32 v5, 32, v1
	v_cmp_gt_u32_e64 s[6:7], v5, v0
	v_cmp_gt_i32_e64 s[10:11], s96, v5
	s_and_b64 s[6:7], s[6:7], s[10:11]
	s_and_b64 s[6:7], s[6:7], vcc
	v_lshl_add_u32 v4, v5, 6, v0
	s_xor_b64 s[6:7], s[6:7], -1
	s_and_saveexec_b64 s[10:11], s[6:7]
	s_xor_b64 s[10:11], exec, s[10:11]
	s_cbranch_execz .LBB157_61
; %bb.58:
	v_or_b32_e32 v5, v5, v0
	v_cmp_gt_u32_e64 s[6:7], 64, v5
	s_and_saveexec_b64 s[12:13], s[6:7]
; %bb.59:
	v_lshlrev_b32_e32 v6, 3, v4
	v_mov_b32_e32 v4, 0
	v_mov_b32_e32 v5, v4
	ds_write_b64 v6, v[4:5]
; %bb.60:
	s_or_b64 exec, exec, s[12:13]
                                        ; implicit-def: $vgpr5
                                        ; implicit-def: $vgpr4
.LBB157_61:
	s_andn2_saveexec_b64 s[10:11], s[10:11]
	s_cbranch_execz .LBB157_63
; %bb.62:
	v_mad_u64_u32 v[8:9], s[6:7], s30, v5, 0
	v_lshlrev_b32_e32 v4, 3, v4
	v_mov_b32_e32 v6, v9
	v_mad_u64_u32 v[5:6], s[6:7], s31, v5, v[6:7]
	v_mov_b32_e32 v9, v5
	v_lshlrev_b64 v[5:6], 3, v[8:9]
	v_add_co_u32_e64 v5, s[6:7], v2, v5
	v_addc_co_u32_e64 v6, s[6:7], v3, v6, s[6:7]
	flat_load_dwordx2 v[5:6], v[5:6]
	s_waitcnt vmcnt(0) lgkmcnt(0)
	v_xor_b32_e32 v5, 0x80000000, v5
	v_xor_b32_e32 v6, 0x80000000, v6
	ds_write_b64 v4, v[5:6]
.LBB157_63:
	s_or_b64 exec, exec, s[10:11]
	v_add_u32_e32 v5, 48, v1
	v_cmp_gt_u32_e64 s[6:7], v5, v0
	v_cmp_gt_i32_e64 s[10:11], s96, v5
	s_and_b64 s[6:7], s[6:7], s[10:11]
	s_and_b64 s[6:7], s[6:7], vcc
	v_lshl_add_u32 v4, v5, 6, v0
	s_xor_b64 s[6:7], s[6:7], -1
	s_and_saveexec_b64 s[10:11], s[6:7]
	s_xor_b64 s[6:7], exec, s[10:11]
	s_cbranch_execz .LBB157_67
; %bb.64:
	v_or_b32_e32 v2, v5, v0
	v_cmp_gt_u32_e32 vcc, 64, v2
	s_and_saveexec_b64 s[10:11], vcc
; %bb.65:
	v_mov_b32_e32 v2, 0
	v_lshlrev_b32_e32 v4, 3, v4
	v_mov_b32_e32 v3, v2
	ds_write_b64 v4, v[2:3]
; %bb.66:
	s_or_b64 exec, exec, s[10:11]
                                        ; implicit-def: $vgpr5
                                        ; implicit-def: $vgpr2
                                        ; implicit-def: $vgpr3
                                        ; implicit-def: $vgpr4
.LBB157_67:
	s_andn2_saveexec_b64 s[6:7], s[6:7]
	s_cbranch_execz .LBB157_69
; %bb.68:
	v_mad_u64_u32 v[8:9], s[10:11], s30, v5, 0
	v_lshlrev_b32_e32 v4, 3, v4
	v_mov_b32_e32 v6, v9
	v_mad_u64_u32 v[5:6], s[10:11], s31, v5, v[6:7]
	v_mov_b32_e32 v9, v5
	v_lshlrev_b64 v[5:6], 3, v[8:9]
	v_add_co_u32_e32 v2, vcc, v2, v5
	v_addc_co_u32_e32 v3, vcc, v3, v6, vcc
	flat_load_dwordx2 v[2:3], v[2:3]
	s_waitcnt vmcnt(0) lgkmcnt(0)
	v_xor_b32_e32 v2, 0x80000000, v2
	v_xor_b32_e32 v3, 0x80000000, v3
	ds_write_b64 v4, v[2:3]
.LBB157_69:
	s_or_b64 exec, exec, s[6:7]
.LBB157_70:
	s_cmp_lt_i32 s8, 5
	s_cselect_b64 s[6:7], -1, 0
	s_or_b64 s[38:39], s[6:7], s[34:35]
	s_and_b64 vcc, exec, s[38:39]
	s_waitcnt vmcnt(0) lgkmcnt(0)
	s_barrier
	s_cbranch_vccnz .LBB157_930
; %bb.71:
	v_or_b32_e32 v2, v0, v1
	s_mov_b32 s11, 0
	v_cmp_eq_u32_e32 vcc, 0, v2
	s_and_saveexec_b64 s[6:7], vcc
	s_cbranch_execz .LBB157_73
; %bb.72:
	s_mov_b32 s10, 1.0
	v_mov_b32_e32 v2, s10
	v_mov_b32_e32 v3, s11
	s_movk_i32 s10, 0x7800
	v_add_u32_e64 v4, s10, 0
	ds_write2_b64 v4, v[2:3], v[2:3] offset0:190 offset1:255
.LBB157_73:
	s_or_b64 exec, exec, s[6:7]
	v_lshlrev_b32_e32 v2, 6, v1
	v_add_u32_e32 v8, v2, v0
	v_and_b32_e32 v3, v2, v0
	v_xor_b32_e32 v2, v2, v0
	v_lshrrev_b16_e32 v2, 1, v2
	v_add_u16_e32 v6, v3, v2
	v_and_b32_e32 v4, 1, v0
	v_sub_u32_e32 v5, 1, v6
	v_cmp_lt_u32_e64 s[10:11], 3, v8
	v_cmp_gt_u32_e64 s[6:7], 4, v8
	v_mov_b32_e32 v2, 0
	v_mov_b32_e32 v3, 0
	s_waitcnt lgkmcnt(0)
	s_barrier
	buffer_wbinvl1_vol
	s_and_saveexec_b64 s[14:15], s[6:7]
	s_cbranch_execz .LBB157_77
; %bb.74:
	v_lshlrev_b32_e32 v2, 3, v4
	v_lshlrev_b32_e32 v9, 9, v5
	ds_read_b64 v[2:3], v2 offset:32224
	ds_read_b64 v[9:10], v9 offset:32240
	v_cmp_gt_u32_e64 s[12:13], 2, v8
	s_waitcnt lgkmcnt(0)
	v_mul_f32_e32 v11, v10, v3
	v_mul_f32_e32 v3, v9, v3
	v_fma_f32 v9, v9, v2, -v11
	v_fmac_f32_e32 v3, v10, v2
	v_add_f32_e32 v2, 0, v9
	v_add_f32_e32 v3, 0, v3
	s_and_saveexec_b64 s[16:17], s[12:13]
	s_cbranch_execz .LBB157_76
; %bb.75:
	v_lshlrev_b32_e32 v9, 3, v0
	v_mov_b32_e32 v11, 0
	ds_read_b64 v[9:10], v9 offset:32736
	ds_read_b64 v[11:12], v11 offset:32760
	s_waitcnt lgkmcnt(0)
	v_mul_f32_e32 v13, v12, v10
	v_mul_f32_e32 v10, v11, v10
	v_fma_f32 v11, v11, v9, -v13
	v_fmac_f32_e32 v10, v12, v9
	v_add_f32_e32 v2, v2, v11
	v_add_f32_e32 v3, v3, v10
.LBB157_76:
	s_or_b64 exec, exec, s[16:17]
.LBB157_77:
	s_or_b64 exec, exec, s[14:15]
	v_mov_b32_e32 v9, 0x8000
	v_cmp_ne_u32_e64 s[12:13], 0, v4
	s_xor_b64 s[14:15], s[10:11], -1
	v_lshl_add_u32 v6, v6, 3, v9
	s_and_b64 s[42:43], s[12:13], s[14:15]
	s_and_saveexec_b64 s[10:11], s[42:43]
; %bb.78:
	v_xor_b32_e32 v10, 0x80000000, v3
	v_xor_b32_e32 v9, 0x80000000, v2
	ds_write_b64 v6, v[9:10]
; %bb.79:
	s_or_b64 exec, exec, s[10:11]
	v_cmp_eq_u32_e64 s[10:11], 0, v4
	s_and_b64 s[40:41], s[10:11], s[14:15]
	s_waitcnt lgkmcnt(0)
	s_barrier
	s_and_saveexec_b64 s[10:11], s[40:41]
	s_cbranch_execz .LBB157_81
; %bb.80:
	v_mov_b32_e32 v9, 0
	ds_read_b64 v[9:10], v9 offset:31712
	ds_read_b64 v[11:12], v6
	s_waitcnt lgkmcnt(0)
	v_mul_f32_e32 v13, v11, v9
	v_mul_f32_e32 v11, v11, v10
	v_fmac_f32_e32 v11, v12, v9
	v_fma_f32 v9, v12, v10, -v13
	v_add_f32_e32 v2, v2, v9
	v_sub_f32_e32 v3, v3, v11
.LBB157_81:
	s_or_b64 exec, exec, s[10:11]
	s_barrier
	s_and_saveexec_b64 s[10:11], s[40:41]
; %bb.82:
	v_xor_b32_e32 v10, 0x80000000, v3
	v_xor_b32_e32 v9, 0x80000000, v2
	ds_write_b64 v6, v[9:10]
; %bb.83:
	s_or_b64 exec, exec, s[10:11]
	s_waitcnt lgkmcnt(0)
	s_barrier
	s_barrier
	s_and_saveexec_b64 s[10:11], s[6:7]
; %bb.84:
	v_lshlrev_b32_e32 v9, 3, v4
	v_lshl_or_b32 v9, v5, 9, v9
	ds_write_b64 v9, v[2:3] offset:32224
; %bb.85:
	s_or_b64 exec, exec, s[10:11]
	s_waitcnt lgkmcnt(0)
	s_barrier
	s_barrier
	s_and_saveexec_b64 s[10:11], vcc
	s_cbranch_execz .LBB157_87
; %bb.86:
	s_mov_b64 s[12:13], 0x3f800000
	v_mov_b32_e32 v2, s12
	v_mov_b32_e32 v3, s13
	s_movk_i32 s12, 0x7800
	v_add_u32_e64 v9, s12, 0
	ds_write2_b64 v9, v[2:3], v[2:3] offset0:60 offset1:125
.LBB157_87:
	s_or_b64 exec, exec, s[10:11]
	v_lshrrev_b32_e32 v11, 2, v8
	v_and_b32_e32 v9, 3, v0
	v_sub_u32_e32 v10, 3, v11
	v_cmp_lt_u32_e64 s[10:11], 15, v8
	v_cmp_gt_u32_e64 s[18:19], 16, v8
	v_mov_b32_e32 v3, 0
	v_mov_b32_e32 v2, 0
	s_waitcnt lgkmcnt(0)
	s_barrier
	buffer_wbinvl1_vol
	s_and_saveexec_b64 s[14:15], s[18:19]
	s_cbranch_execz .LBB157_93
; %bb.88:
	v_lshlrev_b32_e32 v12, 3, v9
	v_lshlrev_b32_e32 v13, 9, v10
	ds_read_b64 v[2:3], v12 offset:31168
	ds_read_b64 v[14:15], v13 offset:31200
	v_cmp_gt_u32_e64 s[12:13], 12, v8
	s_waitcnt lgkmcnt(0)
	v_mul_f32_e32 v16, v15, v3
	v_mul_f32_e32 v3, v14, v3
	v_fma_f32 v14, v14, v2, -v16
	v_fmac_f32_e32 v3, v15, v2
	v_add_f32_e32 v2, 0, v14
	v_add_f32_e32 v3, 0, v3
	s_and_saveexec_b64 s[16:17], s[12:13]
	s_cbranch_execnz .LBB157_988
; %bb.89:
	s_or_b64 exec, exec, s[16:17]
	v_cmp_gt_u32_e64 s[12:13], 8, v8
	s_and_saveexec_b64 s[16:17], s[12:13]
	s_cbranch_execnz .LBB157_989
.LBB157_90:
	s_or_b64 exec, exec, s[16:17]
	v_cmp_gt_u32_e64 s[12:13], 4, v8
	s_and_saveexec_b64 s[16:17], s[12:13]
	s_cbranch_execz .LBB157_92
.LBB157_91:
	v_lshlrev_b32_e32 v12, 3, v0
	v_mov_b32_e32 v14, 0
	ds_read_b64 v[12:13], v12 offset:32704
	ds_read_b64 v[14:15], v14 offset:32760
	s_waitcnt lgkmcnt(0)
	v_mul_f32_e32 v16, v15, v13
	v_mul_f32_e32 v13, v14, v13
	v_fma_f32 v14, v14, v12, -v16
	v_fmac_f32_e32 v13, v15, v12
	v_add_f32_e32 v2, v2, v14
	v_add_f32_e32 v3, v3, v13
.LBB157_92:
	s_or_b64 exec, exec, s[16:17]
.LBB157_93:
	s_or_b64 exec, exec, s[14:15]
	v_mov_b32_e32 v12, 0x8000
	v_cmp_eq_u32_e64 s[12:13], 3, v9
	s_xor_b64 s[14:15], s[10:11], -1
	v_lshl_add_u32 v11, v11, 3, v12
	s_and_b64 s[46:47], s[12:13], s[14:15]
	s_and_saveexec_b64 s[10:11], s[46:47]
; %bb.94:
	v_xor_b32_e32 v12, 0x80000000, v2
	v_xor_b32_e32 v13, 0x80000000, v3
	ds_write_b64 v11, v[12:13]
; %bb.95:
	s_or_b64 exec, exec, s[10:11]
	v_cmp_ne_u32_e64 s[10:11], 3, v9
	s_and_b64 s[48:49], s[10:11], s[14:15]
	s_waitcnt lgkmcnt(0)
	s_barrier
	s_and_saveexec_b64 s[10:11], s[48:49]
	s_cbranch_execz .LBB157_97
; %bb.96:
	v_lshlrev_b32_e32 v12, 3, v9
	ds_read_b64 v[12:13], v12 offset:30656
	ds_read_b64 v[14:15], v11
	s_waitcnt lgkmcnt(0)
	v_mul_f32_e32 v16, v15, v13
	v_mul_f32_e32 v13, v14, v13
	v_fma_f32 v14, v14, v12, -v16
	v_fmac_f32_e32 v13, v15, v12
	v_sub_f32_e32 v2, v2, v14
	v_sub_f32_e32 v3, v3, v13
.LBB157_97:
	s_or_b64 exec, exec, s[10:11]
	v_cmp_eq_u32_e64 s[10:11], 2, v9
	s_and_b64 s[50:51], s[10:11], s[14:15]
	s_barrier
	s_and_saveexec_b64 s[10:11], s[50:51]
; %bb.98:
	v_xor_b32_e32 v12, 0x80000000, v2
	v_xor_b32_e32 v13, 0x80000000, v3
	ds_write_b64 v11, v[12:13]
; %bb.99:
	s_or_b64 exec, exec, s[10:11]
	v_cmp_gt_u32_e64 s[10:11], 2, v9
	s_and_b64 s[52:53], s[10:11], s[14:15]
	s_waitcnt lgkmcnt(0)
	s_barrier
	s_and_saveexec_b64 s[10:11], s[52:53]
	s_cbranch_execz .LBB157_101
; %bb.100:
	v_lshlrev_b32_e32 v12, 3, v9
	ds_read_b64 v[12:13], v12 offset:30144
	ds_read_b64 v[14:15], v11
	s_waitcnt lgkmcnt(0)
	v_mul_f32_e32 v16, v15, v13
	v_mul_f32_e32 v13, v14, v13
	v_fma_f32 v14, v14, v12, -v16
	v_fmac_f32_e32 v13, v15, v12
	v_sub_f32_e32 v2, v2, v14
	v_sub_f32_e32 v3, v3, v13
.LBB157_101:
	s_or_b64 exec, exec, s[10:11]
	v_cmp_eq_u32_e64 s[10:11], 1, v9
	s_and_b64 s[54:55], s[10:11], s[14:15]
	s_barrier
	s_and_saveexec_b64 s[10:11], s[54:55]
; %bb.102:
	v_xor_b32_e32 v12, 0x80000000, v2
	v_xor_b32_e32 v13, 0x80000000, v3
	ds_write_b64 v11, v[12:13]
; %bb.103:
	s_or_b64 exec, exec, s[10:11]
	v_cmp_eq_u32_e64 s[10:11], 0, v9
	s_and_b64 s[44:45], s[10:11], s[14:15]
	s_waitcnt lgkmcnt(0)
	s_barrier
	s_and_saveexec_b64 s[10:11], s[44:45]
	s_cbranch_execz .LBB157_105
; %bb.104:
	v_mov_b32_e32 v12, 0
	ds_read_b64 v[12:13], v12 offset:29632
	ds_read_b64 v[14:15], v11
	s_waitcnt lgkmcnt(0)
	v_mul_f32_e32 v16, v15, v13
	v_mul_f32_e32 v13, v14, v13
	v_fma_f32 v14, v14, v12, -v16
	v_fmac_f32_e32 v13, v15, v12
	v_sub_f32_e32 v2, v2, v14
	v_sub_f32_e32 v3, v3, v13
.LBB157_105:
	s_or_b64 exec, exec, s[10:11]
	s_barrier
	s_and_saveexec_b64 s[10:11], s[44:45]
; %bb.106:
	v_xor_b32_e32 v12, 0x80000000, v2
	v_xor_b32_e32 v13, 0x80000000, v3
	ds_write_b64 v11, v[12:13]
; %bb.107:
	s_or_b64 exec, exec, s[10:11]
	s_waitcnt lgkmcnt(0)
	s_barrier
	s_barrier
	s_and_saveexec_b64 s[10:11], s[18:19]
; %bb.108:
	v_lshlrev_b32_e32 v12, 3, v9
	v_lshl_or_b32 v12, v10, 9, v12
	ds_write_b64 v12, v[2:3] offset:31168
; %bb.109:
	s_or_b64 exec, exec, s[10:11]
	s_waitcnt lgkmcnt(0)
	s_barrier
	s_barrier
	s_and_saveexec_b64 s[10:11], vcc
	s_cbranch_execz .LBB157_111
; %bb.110:
	s_mov_b64 s[12:13], 0x3f800000
	v_mov_b32_e32 v2, s12
	v_mov_b32_e32 v3, s13
	s_movk_i32 s12, 0x7000
	v_add_u32_e64 v12, s12, 0
	ds_write2_b64 v12, v[2:3], v[2:3] offset0:186 offset1:251
.LBB157_111:
	s_or_b64 exec, exec, s[10:11]
	v_mov_b32_e32 v2, 0
	v_mov_b32_e32 v3, 0
	s_waitcnt lgkmcnt(0)
	s_barrier
	buffer_wbinvl1_vol
	s_and_saveexec_b64 s[12:13], s[6:7]
	s_cbranch_execz .LBB157_115
; %bb.112:
	v_lshlrev_b32_e32 v2, 3, v4
	v_lshlrev_b32_e32 v12, 9, v5
	ds_read_b64 v[2:3], v2 offset:30144
	ds_read_b64 v[12:13], v12 offset:30160
	v_cmp_gt_u32_e64 s[10:11], 2, v8
	s_waitcnt lgkmcnt(0)
	v_mul_f32_e32 v14, v13, v3
	v_mul_f32_e32 v3, v12, v3
	v_fma_f32 v12, v12, v2, -v14
	v_fmac_f32_e32 v3, v13, v2
	v_add_f32_e32 v2, 0, v12
	v_add_f32_e32 v3, 0, v3
	s_and_saveexec_b64 s[14:15], s[10:11]
	s_cbranch_execz .LBB157_114
; %bb.113:
	v_lshlrev_b32_e32 v12, 3, v0
	v_mov_b32_e32 v14, 0
	ds_read_b64 v[12:13], v12 offset:30656
	ds_read_b64 v[14:15], v14 offset:30680
	s_waitcnt lgkmcnt(0)
	v_mul_f32_e32 v16, v15, v13
	v_mul_f32_e32 v13, v14, v13
	v_fma_f32 v14, v14, v12, -v16
	v_fmac_f32_e32 v13, v15, v12
	v_add_f32_e32 v2, v2, v14
	v_add_f32_e32 v3, v3, v13
.LBB157_114:
	s_or_b64 exec, exec, s[14:15]
.LBB157_115:
	s_or_b64 exec, exec, s[12:13]
	s_and_saveexec_b64 s[10:11], s[42:43]
; %bb.116:
	v_xor_b32_e32 v13, 0x80000000, v3
	v_xor_b32_e32 v12, 0x80000000, v2
	ds_write_b64 v6, v[12:13]
; %bb.117:
	s_or_b64 exec, exec, s[10:11]
	s_waitcnt lgkmcnt(0)
	s_barrier
	s_and_saveexec_b64 s[10:11], s[40:41]
	s_cbranch_execz .LBB157_119
; %bb.118:
	v_mov_b32_e32 v12, 0
	ds_read_b64 v[12:13], v12 offset:29632
	ds_read_b64 v[14:15], v6
	s_waitcnt lgkmcnt(0)
	v_mul_f32_e32 v16, v14, v12
	v_mul_f32_e32 v14, v14, v13
	v_fmac_f32_e32 v14, v15, v12
	v_fma_f32 v12, v15, v13, -v16
	v_add_f32_e32 v2, v2, v12
	v_sub_f32_e32 v3, v3, v14
.LBB157_119:
	s_or_b64 exec, exec, s[10:11]
	s_barrier
	s_and_saveexec_b64 s[10:11], s[40:41]
; %bb.120:
	v_xor_b32_e32 v13, 0x80000000, v3
	v_xor_b32_e32 v12, 0x80000000, v2
	ds_write_b64 v6, v[12:13]
; %bb.121:
	s_or_b64 exec, exec, s[10:11]
	s_waitcnt lgkmcnt(0)
	s_barrier
	s_barrier
	s_and_saveexec_b64 s[10:11], s[6:7]
; %bb.122:
	v_lshlrev_b32_e32 v12, 3, v4
	v_lshl_or_b32 v12, v5, 9, v12
	ds_write_b64 v12, v[2:3] offset:30144
; %bb.123:
	s_or_b64 exec, exec, s[10:11]
	s_waitcnt lgkmcnt(0)
	s_barrier
	s_barrier
	s_and_saveexec_b64 s[10:11], vcc
	s_cbranch_execz .LBB157_125
; %bb.124:
	s_mov_b64 s[12:13], 0x3f800000
	v_mov_b32_e32 v2, s12
	v_mov_b32_e32 v3, s13
	s_movk_i32 s12, 0x7000
	v_add_u32_e64 v12, s12, 0
	ds_write2_b64 v12, v[2:3], v[2:3] offset0:56 offset1:121
.LBB157_125:
	s_or_b64 exec, exec, s[10:11]
	v_lshrrev_b32_e32 v14, 3, v8
	v_and_b32_e32 v12, 7, v0
	v_sub_u32_e32 v13, 7, v14
	v_cmp_lt_u32_e64 s[12:13], 63, v8
	v_cmp_gt_u32_e64 s[10:11], 64, v8
	v_mov_b32_e32 v3, 0
	v_mov_b32_e32 v2, 0
	s_waitcnt lgkmcnt(0)
	s_barrier
	buffer_wbinvl1_vol
	s_and_saveexec_b64 s[16:17], s[10:11]
	s_cbranch_execz .LBB157_135
; %bb.126:
	v_lshlrev_b32_e32 v15, 3, v12
	v_lshlrev_b32_e32 v16, 9, v13
	ds_read_b64 v[2:3], v15 offset:29056
	ds_read_b64 v[17:18], v16 offset:29120
	v_cmp_gt_u32_e64 s[14:15], 56, v8
	s_waitcnt lgkmcnt(0)
	v_mul_f32_e32 v19, v18, v3
	v_mul_f32_e32 v3, v17, v3
	v_fma_f32 v17, v17, v2, -v19
	v_fmac_f32_e32 v3, v18, v2
	v_add_f32_e32 v2, 0, v17
	v_add_f32_e32 v3, 0, v3
	s_and_saveexec_b64 s[20:21], s[14:15]
	s_cbranch_execnz .LBB157_990
; %bb.127:
	s_or_b64 exec, exec, s[20:21]
	v_cmp_gt_u32_e64 s[14:15], 48, v8
	s_and_saveexec_b64 s[20:21], s[14:15]
	s_cbranch_execnz .LBB157_991
.LBB157_128:
	s_or_b64 exec, exec, s[20:21]
	v_cmp_gt_u32_e64 s[14:15], 40, v8
	s_and_saveexec_b64 s[20:21], s[14:15]
	s_cbranch_execnz .LBB157_992
.LBB157_129:
	s_or_b64 exec, exec, s[20:21]
	v_cmp_gt_u32_e64 s[14:15], 32, v8
	s_and_saveexec_b64 s[20:21], s[14:15]
	s_cbranch_execnz .LBB157_993
.LBB157_130:
	s_or_b64 exec, exec, s[20:21]
	v_cmp_gt_u32_e64 s[14:15], 24, v8
	s_and_saveexec_b64 s[20:21], s[14:15]
	s_cbranch_execnz .LBB157_994
.LBB157_131:
	s_or_b64 exec, exec, s[20:21]
	s_and_saveexec_b64 s[14:15], s[18:19]
	s_cbranch_execnz .LBB157_995
.LBB157_132:
	s_or_b64 exec, exec, s[14:15]
	v_cmp_gt_u32_e64 s[14:15], 8, v8
	s_and_saveexec_b64 s[20:21], s[14:15]
	s_cbranch_execz .LBB157_134
.LBB157_133:
	v_lshlrev_b32_e32 v15, 3, v0
	v_mov_b32_e32 v17, 0
	ds_read_b64 v[15:16], v15 offset:32640
	ds_read_b64 v[17:18], v17 offset:32760
	s_waitcnt lgkmcnt(0)
	v_mul_f32_e32 v19, v18, v16
	v_mul_f32_e32 v16, v17, v16
	v_fma_f32 v17, v17, v15, -v19
	v_fmac_f32_e32 v16, v18, v15
	v_add_f32_e32 v2, v2, v17
	v_add_f32_e32 v3, v3, v16
.LBB157_134:
	s_or_b64 exec, exec, s[20:21]
.LBB157_135:
	s_or_b64 exec, exec, s[16:17]
	v_mov_b32_e32 v15, 0x8000
	v_cmp_eq_u32_e64 s[14:15], 7, v12
	s_xor_b64 s[16:17], s[12:13], -1
	v_lshl_add_u32 v14, v14, 3, v15
	s_and_b64 s[58:59], s[14:15], s[16:17]
	s_and_saveexec_b64 s[12:13], s[58:59]
; %bb.136:
	v_xor_b32_e32 v16, 0x80000000, v3
	v_xor_b32_e32 v15, 0x80000000, v2
	ds_write_b64 v14, v[15:16]
; %bb.137:
	s_or_b64 exec, exec, s[12:13]
	v_cmp_ne_u32_e64 s[12:13], 7, v12
	s_and_b64 s[60:61], s[12:13], s[16:17]
	s_waitcnt lgkmcnt(0)
	s_barrier
	s_and_saveexec_b64 s[12:13], s[60:61]
	s_cbranch_execz .LBB157_139
; %bb.138:
	v_lshlrev_b32_e32 v15, 3, v12
	ds_read_b64 v[15:16], v15 offset:28544
	ds_read_b64 v[17:18], v14
	s_waitcnt lgkmcnt(0)
	v_mul_f32_e32 v19, v18, v16
	v_mul_f32_e32 v16, v17, v16
	v_fma_f32 v17, v17, v15, -v19
	v_fmac_f32_e32 v16, v18, v15
	v_sub_f32_e32 v2, v2, v17
	v_sub_f32_e32 v3, v3, v16
.LBB157_139:
	s_or_b64 exec, exec, s[12:13]
	v_cmp_eq_u32_e64 s[12:13], 6, v12
	s_and_b64 s[62:63], s[12:13], s[16:17]
	s_barrier
	s_and_saveexec_b64 s[12:13], s[62:63]
; %bb.140:
	v_xor_b32_e32 v16, 0x80000000, v3
	v_xor_b32_e32 v15, 0x80000000, v2
	ds_write_b64 v14, v[15:16]
; %bb.141:
	s_or_b64 exec, exec, s[12:13]
	v_cmp_gt_u32_e64 s[12:13], 6, v12
	s_and_b64 s[64:65], s[12:13], s[16:17]
	s_waitcnt lgkmcnt(0)
	s_barrier
	s_and_saveexec_b64 s[12:13], s[64:65]
	s_cbranch_execz .LBB157_143
; %bb.142:
	v_lshlrev_b32_e32 v15, 3, v12
	ds_read_b64 v[15:16], v15 offset:28032
	ds_read_b64 v[17:18], v14
	s_waitcnt lgkmcnt(0)
	v_mul_f32_e32 v19, v18, v16
	v_mul_f32_e32 v16, v17, v16
	v_fma_f32 v17, v17, v15, -v19
	v_fmac_f32_e32 v16, v18, v15
	v_sub_f32_e32 v2, v2, v17
	v_sub_f32_e32 v3, v3, v16
.LBB157_143:
	s_or_b64 exec, exec, s[12:13]
	v_cmp_eq_u32_e64 s[12:13], 5, v12
	s_and_b64 s[66:67], s[12:13], s[16:17]
	s_barrier
	s_and_saveexec_b64 s[12:13], s[66:67]
; %bb.144:
	v_xor_b32_e32 v16, 0x80000000, v3
	v_xor_b32_e32 v15, 0x80000000, v2
	ds_write_b64 v14, v[15:16]
; %bb.145:
	s_or_b64 exec, exec, s[12:13]
	v_cmp_gt_u32_e64 s[12:13], 5, v12
	;; [unrolled: 29-line block ×5, first 2 shown]
	s_and_b64 s[80:81], s[12:13], s[16:17]
	s_waitcnt lgkmcnt(0)
	s_barrier
	s_and_saveexec_b64 s[12:13], s[80:81]
	s_cbranch_execz .LBB157_159
; %bb.158:
	v_lshlrev_b32_e32 v15, 3, v12
	ds_read_b64 v[15:16], v15 offset:25984
	ds_read_b64 v[17:18], v14
	s_waitcnt lgkmcnt(0)
	v_mul_f32_e32 v19, v18, v16
	v_mul_f32_e32 v16, v17, v16
	v_fma_f32 v17, v17, v15, -v19
	v_fmac_f32_e32 v16, v18, v15
	v_sub_f32_e32 v2, v2, v17
	v_sub_f32_e32 v3, v3, v16
.LBB157_159:
	s_or_b64 exec, exec, s[12:13]
	v_cmp_eq_u32_e64 s[12:13], 1, v12
	s_and_b64 s[82:83], s[12:13], s[16:17]
	s_barrier
	s_and_saveexec_b64 s[12:13], s[82:83]
; %bb.160:
	v_xor_b32_e32 v16, 0x80000000, v3
	v_xor_b32_e32 v15, 0x80000000, v2
	ds_write_b64 v14, v[15:16]
; %bb.161:
	s_or_b64 exec, exec, s[12:13]
	v_cmp_eq_u32_e64 s[12:13], 0, v12
	s_and_b64 s[56:57], s[12:13], s[16:17]
	s_waitcnt lgkmcnt(0)
	s_barrier
	s_and_saveexec_b64 s[12:13], s[56:57]
	s_cbranch_execz .LBB157_163
; %bb.162:
	v_mov_b32_e32 v15, 0
	ds_read_b64 v[15:16], v15 offset:25472
	ds_read_b64 v[17:18], v14
	s_waitcnt lgkmcnt(0)
	v_mul_f32_e32 v19, v18, v16
	v_mul_f32_e32 v16, v17, v16
	v_fma_f32 v17, v17, v15, -v19
	v_fmac_f32_e32 v16, v18, v15
	v_sub_f32_e32 v2, v2, v17
	v_sub_f32_e32 v3, v3, v16
.LBB157_163:
	s_or_b64 exec, exec, s[12:13]
	s_barrier
	s_and_saveexec_b64 s[12:13], s[56:57]
; %bb.164:
	v_xor_b32_e32 v16, 0x80000000, v3
	v_xor_b32_e32 v15, 0x80000000, v2
	ds_write_b64 v14, v[15:16]
; %bb.165:
	s_or_b64 exec, exec, s[12:13]
	s_waitcnt lgkmcnt(0)
	s_barrier
	s_barrier
	s_and_saveexec_b64 s[12:13], s[10:11]
; %bb.166:
	v_lshlrev_b32_e32 v15, 3, v12
	v_lshl_or_b32 v15, v13, 9, v15
	ds_write_b64 v15, v[2:3] offset:29056
; %bb.167:
	s_or_b64 exec, exec, s[12:13]
	s_waitcnt lgkmcnt(0)
	s_barrier
	s_barrier
	s_and_saveexec_b64 s[12:13], vcc
	s_cbranch_execz .LBB157_169
; %bb.168:
	s_mov_b64 s[14:15], 0x3f800000
	v_mov_b32_e32 v2, s14
	v_mov_b32_e32 v3, s15
	s_movk_i32 s14, 0x6800
	v_add_u32_e64 v15, s14, 0
	ds_write2_b64 v15, v[2:3], v[2:3] offset0:182 offset1:247
.LBB157_169:
	s_or_b64 exec, exec, s[12:13]
	v_mov_b32_e32 v2, 0
	v_mov_b32_e32 v3, 0
	s_waitcnt lgkmcnt(0)
	s_barrier
	buffer_wbinvl1_vol
	s_and_saveexec_b64 s[14:15], s[6:7]
	s_cbranch_execz .LBB157_173
; %bb.170:
	v_lshlrev_b32_e32 v2, 3, v4
	v_lshlrev_b32_e32 v15, 9, v5
	ds_read_b64 v[2:3], v2 offset:28064
	ds_read_b64 v[15:16], v15 offset:28080
	v_cmp_gt_u32_e64 s[12:13], 2, v8
	s_waitcnt lgkmcnt(0)
	v_mul_f32_e32 v17, v16, v3
	v_mul_f32_e32 v3, v15, v3
	v_fma_f32 v15, v15, v2, -v17
	v_fmac_f32_e32 v3, v16, v2
	v_add_f32_e32 v2, 0, v15
	v_add_f32_e32 v3, 0, v3
	s_and_saveexec_b64 s[16:17], s[12:13]
	s_cbranch_execz .LBB157_172
; %bb.171:
	v_lshlrev_b32_e32 v15, 3, v0
	v_mov_b32_e32 v17, 0
	ds_read_b64 v[15:16], v15 offset:28576
	ds_read_b64 v[17:18], v17 offset:28600
	s_waitcnt lgkmcnt(0)
	v_mul_f32_e32 v19, v18, v16
	v_mul_f32_e32 v16, v17, v16
	v_fma_f32 v17, v17, v15, -v19
	v_fmac_f32_e32 v16, v18, v15
	v_add_f32_e32 v2, v2, v17
	v_add_f32_e32 v3, v3, v16
.LBB157_172:
	s_or_b64 exec, exec, s[16:17]
.LBB157_173:
	s_or_b64 exec, exec, s[14:15]
	s_and_saveexec_b64 s[12:13], s[42:43]
; %bb.174:
	v_xor_b32_e32 v16, 0x80000000, v3
	v_xor_b32_e32 v15, 0x80000000, v2
	ds_write_b64 v6, v[15:16]
; %bb.175:
	s_or_b64 exec, exec, s[12:13]
	s_waitcnt lgkmcnt(0)
	s_barrier
	s_and_saveexec_b64 s[12:13], s[40:41]
	s_cbranch_execz .LBB157_177
; %bb.176:
	v_mov_b32_e32 v15, 0
	ds_read_b64 v[15:16], v15 offset:27552
	ds_read_b64 v[17:18], v6
	s_waitcnt lgkmcnt(0)
	v_mul_f32_e32 v19, v17, v15
	v_mul_f32_e32 v17, v17, v16
	v_fmac_f32_e32 v17, v18, v15
	v_fma_f32 v15, v18, v16, -v19
	v_add_f32_e32 v2, v2, v15
	v_sub_f32_e32 v3, v3, v17
.LBB157_177:
	s_or_b64 exec, exec, s[12:13]
	s_barrier
	s_and_saveexec_b64 s[12:13], s[40:41]
; %bb.178:
	v_xor_b32_e32 v16, 0x80000000, v3
	v_xor_b32_e32 v15, 0x80000000, v2
	ds_write_b64 v6, v[15:16]
; %bb.179:
	s_or_b64 exec, exec, s[12:13]
	s_waitcnt lgkmcnt(0)
	s_barrier
	s_barrier
	s_and_saveexec_b64 s[12:13], s[6:7]
; %bb.180:
	v_lshlrev_b32_e32 v15, 3, v4
	v_lshl_or_b32 v15, v5, 9, v15
	ds_write_b64 v15, v[2:3] offset:28064
; %bb.181:
	s_or_b64 exec, exec, s[12:13]
	s_waitcnt lgkmcnt(0)
	s_barrier
	s_barrier
	s_and_saveexec_b64 s[12:13], vcc
	s_cbranch_execz .LBB157_183
; %bb.182:
	s_mov_b64 s[14:15], 0x3f800000
	v_mov_b32_e32 v2, s14
	v_mov_b32_e32 v3, s15
	s_movk_i32 s14, 0x6800
	v_add_u32_e64 v15, s14, 0
	ds_write2_b64 v15, v[2:3], v[2:3] offset0:52 offset1:117
.LBB157_183:
	s_or_b64 exec, exec, s[12:13]
	v_mov_b32_e32 v3, 0
	v_mov_b32_e32 v2, 0
	s_waitcnt lgkmcnt(0)
	s_barrier
	buffer_wbinvl1_vol
	s_and_saveexec_b64 s[14:15], s[18:19]
	s_cbranch_execz .LBB157_189
; %bb.184:
	v_lshlrev_b32_e32 v15, 3, v9
	v_lshlrev_b32_e32 v16, 9, v10
	ds_read_b64 v[2:3], v15 offset:27008
	ds_read_b64 v[17:18], v16 offset:27040
	v_cmp_gt_u32_e64 s[12:13], 12, v8
	s_waitcnt lgkmcnt(0)
	v_mul_f32_e32 v19, v18, v3
	v_mul_f32_e32 v3, v17, v3
	v_fma_f32 v17, v17, v2, -v19
	v_fmac_f32_e32 v3, v18, v2
	v_add_f32_e32 v2, 0, v17
	v_add_f32_e32 v3, 0, v3
	s_and_saveexec_b64 s[16:17], s[12:13]
	s_cbranch_execnz .LBB157_996
; %bb.185:
	s_or_b64 exec, exec, s[16:17]
	v_cmp_gt_u32_e64 s[12:13], 8, v8
	s_and_saveexec_b64 s[16:17], s[12:13]
	s_cbranch_execnz .LBB157_997
.LBB157_186:
	s_or_b64 exec, exec, s[16:17]
	v_cmp_gt_u32_e64 s[12:13], 4, v8
	s_and_saveexec_b64 s[16:17], s[12:13]
	s_cbranch_execz .LBB157_188
.LBB157_187:
	v_lshlrev_b32_e32 v15, 3, v0
	v_mov_b32_e32 v17, 0
	ds_read_b64 v[15:16], v15 offset:28544
	ds_read_b64 v[17:18], v17 offset:28600
	s_waitcnt lgkmcnt(0)
	v_mul_f32_e32 v19, v18, v16
	v_mul_f32_e32 v16, v17, v16
	v_fma_f32 v17, v17, v15, -v19
	v_fmac_f32_e32 v16, v18, v15
	v_add_f32_e32 v2, v2, v17
	v_add_f32_e32 v3, v3, v16
.LBB157_188:
	s_or_b64 exec, exec, s[16:17]
.LBB157_189:
	s_or_b64 exec, exec, s[14:15]
	s_and_saveexec_b64 s[12:13], s[46:47]
; %bb.190:
	v_xor_b32_e32 v15, 0x80000000, v2
	v_xor_b32_e32 v16, 0x80000000, v3
	ds_write_b64 v11, v[15:16]
; %bb.191:
	s_or_b64 exec, exec, s[12:13]
	s_waitcnt lgkmcnt(0)
	s_barrier
	s_and_saveexec_b64 s[12:13], s[48:49]
	s_cbranch_execz .LBB157_193
; %bb.192:
	v_lshlrev_b32_e32 v15, 3, v9
	ds_read_b64 v[15:16], v15 offset:26496
	ds_read_b64 v[17:18], v11
	s_waitcnt lgkmcnt(0)
	v_mul_f32_e32 v19, v18, v16
	v_mul_f32_e32 v16, v17, v16
	v_fma_f32 v17, v17, v15, -v19
	v_fmac_f32_e32 v16, v18, v15
	v_sub_f32_e32 v2, v2, v17
	v_sub_f32_e32 v3, v3, v16
.LBB157_193:
	s_or_b64 exec, exec, s[12:13]
	s_barrier
	s_and_saveexec_b64 s[12:13], s[50:51]
; %bb.194:
	v_xor_b32_e32 v15, 0x80000000, v2
	v_xor_b32_e32 v16, 0x80000000, v3
	ds_write_b64 v11, v[15:16]
; %bb.195:
	s_or_b64 exec, exec, s[12:13]
	s_waitcnt lgkmcnt(0)
	s_barrier
	s_and_saveexec_b64 s[12:13], s[52:53]
	s_cbranch_execz .LBB157_197
; %bb.196:
	v_lshlrev_b32_e32 v15, 3, v9
	ds_read_b64 v[15:16], v15 offset:25984
	ds_read_b64 v[17:18], v11
	s_waitcnt lgkmcnt(0)
	v_mul_f32_e32 v19, v18, v16
	v_mul_f32_e32 v16, v17, v16
	v_fma_f32 v17, v17, v15, -v19
	v_fmac_f32_e32 v16, v18, v15
	v_sub_f32_e32 v2, v2, v17
	v_sub_f32_e32 v3, v3, v16
.LBB157_197:
	s_or_b64 exec, exec, s[12:13]
	s_barrier
	s_and_saveexec_b64 s[12:13], s[54:55]
; %bb.198:
	v_xor_b32_e32 v15, 0x80000000, v2
	v_xor_b32_e32 v16, 0x80000000, v3
	ds_write_b64 v11, v[15:16]
; %bb.199:
	s_or_b64 exec, exec, s[12:13]
	s_waitcnt lgkmcnt(0)
	s_barrier
	s_and_saveexec_b64 s[12:13], s[44:45]
	s_cbranch_execz .LBB157_201
; %bb.200:
	v_mov_b32_e32 v15, 0
	ds_read_b64 v[15:16], v15 offset:25472
	ds_read_b64 v[17:18], v11
	s_waitcnt lgkmcnt(0)
	v_mul_f32_e32 v19, v18, v16
	v_mul_f32_e32 v16, v17, v16
	v_fma_f32 v17, v17, v15, -v19
	v_fmac_f32_e32 v16, v18, v15
	v_sub_f32_e32 v2, v2, v17
	v_sub_f32_e32 v3, v3, v16
.LBB157_201:
	s_or_b64 exec, exec, s[12:13]
	s_barrier
	s_and_saveexec_b64 s[12:13], s[44:45]
; %bb.202:
	v_xor_b32_e32 v15, 0x80000000, v2
	v_xor_b32_e32 v16, 0x80000000, v3
	ds_write_b64 v11, v[15:16]
; %bb.203:
	s_or_b64 exec, exec, s[12:13]
	s_waitcnt lgkmcnt(0)
	s_barrier
	s_barrier
	s_and_saveexec_b64 s[12:13], s[18:19]
; %bb.204:
	v_lshlrev_b32_e32 v15, 3, v9
	v_lshl_or_b32 v15, v10, 9, v15
	ds_write_b64 v15, v[2:3] offset:27008
; %bb.205:
	s_or_b64 exec, exec, s[12:13]
	s_waitcnt lgkmcnt(0)
	s_barrier
	s_barrier
	s_and_saveexec_b64 s[12:13], vcc
	s_cbranch_execz .LBB157_207
; %bb.206:
	s_mov_b64 s[14:15], 0x3f800000
	v_mov_b32_e32 v2, s14
	v_mov_b32_e32 v3, s15
	s_movk_i32 s14, 0x6000
	v_add_u32_e64 v15, s14, 0
	ds_write2_b64 v15, v[2:3], v[2:3] offset0:178 offset1:243
.LBB157_207:
	s_or_b64 exec, exec, s[12:13]
	v_mov_b32_e32 v2, 0
	v_mov_b32_e32 v3, 0
	s_waitcnt lgkmcnt(0)
	s_barrier
	buffer_wbinvl1_vol
	s_and_saveexec_b64 s[14:15], s[6:7]
	s_cbranch_execz .LBB157_211
; %bb.208:
	v_lshlrev_b32_e32 v2, 3, v4
	v_lshlrev_b32_e32 v15, 9, v5
	ds_read_b64 v[2:3], v2 offset:25984
	ds_read_b64 v[15:16], v15 offset:26000
	v_cmp_gt_u32_e64 s[12:13], 2, v8
	s_waitcnt lgkmcnt(0)
	v_mul_f32_e32 v17, v16, v3
	v_mul_f32_e32 v3, v15, v3
	v_fma_f32 v15, v15, v2, -v17
	v_fmac_f32_e32 v3, v16, v2
	v_add_f32_e32 v2, 0, v15
	v_add_f32_e32 v3, 0, v3
	s_and_saveexec_b64 s[16:17], s[12:13]
	s_cbranch_execz .LBB157_210
; %bb.209:
	v_lshlrev_b32_e32 v15, 3, v0
	v_mov_b32_e32 v17, 0
	ds_read_b64 v[15:16], v15 offset:26496
	ds_read_b64 v[17:18], v17 offset:26520
	s_waitcnt lgkmcnt(0)
	v_mul_f32_e32 v19, v18, v16
	v_mul_f32_e32 v16, v17, v16
	v_fma_f32 v17, v17, v15, -v19
	v_fmac_f32_e32 v16, v18, v15
	v_add_f32_e32 v2, v2, v17
	v_add_f32_e32 v3, v3, v16
.LBB157_210:
	s_or_b64 exec, exec, s[16:17]
.LBB157_211:
	s_or_b64 exec, exec, s[14:15]
	s_and_saveexec_b64 s[12:13], s[42:43]
; %bb.212:
	v_xor_b32_e32 v16, 0x80000000, v3
	v_xor_b32_e32 v15, 0x80000000, v2
	ds_write_b64 v6, v[15:16]
; %bb.213:
	s_or_b64 exec, exec, s[12:13]
	s_waitcnt lgkmcnt(0)
	s_barrier
	s_and_saveexec_b64 s[12:13], s[40:41]
	s_cbranch_execz .LBB157_215
; %bb.214:
	v_mov_b32_e32 v15, 0
	ds_read_b64 v[15:16], v15 offset:25472
	ds_read_b64 v[17:18], v6
	s_waitcnt lgkmcnt(0)
	v_mul_f32_e32 v19, v17, v15
	v_mul_f32_e32 v17, v17, v16
	v_fmac_f32_e32 v17, v18, v15
	v_fma_f32 v15, v18, v16, -v19
	v_add_f32_e32 v2, v2, v15
	v_sub_f32_e32 v3, v3, v17
.LBB157_215:
	s_or_b64 exec, exec, s[12:13]
	s_barrier
	s_and_saveexec_b64 s[12:13], s[40:41]
; %bb.216:
	v_xor_b32_e32 v16, 0x80000000, v3
	v_xor_b32_e32 v15, 0x80000000, v2
	ds_write_b64 v6, v[15:16]
; %bb.217:
	s_or_b64 exec, exec, s[12:13]
	s_waitcnt lgkmcnt(0)
	s_barrier
	s_barrier
	s_and_saveexec_b64 s[12:13], s[6:7]
; %bb.218:
	v_lshlrev_b32_e32 v15, 3, v4
	v_lshl_or_b32 v15, v5, 9, v15
	ds_write_b64 v15, v[2:3] offset:25984
; %bb.219:
	s_or_b64 exec, exec, s[12:13]
	s_waitcnt lgkmcnt(0)
	s_barrier
	s_barrier
	s_and_saveexec_b64 s[12:13], vcc
	s_cbranch_execz .LBB157_221
; %bb.220:
	s_mov_b64 s[14:15], 0x3f800000
	v_mov_b32_e32 v2, s14
	v_mov_b32_e32 v3, s15
	s_movk_i32 s14, 0x6000
	v_add_u32_e64 v15, s14, 0
	ds_write2_b64 v15, v[2:3], v[2:3] offset0:48 offset1:113
.LBB157_221:
	s_or_b64 exec, exec, s[12:13]
	s_movk_i32 s12, 0xff
	v_lshrrev_b32_e32 v17, 4, v8
	v_cmp_lt_u32_e64 s[14:15], s12, v8
	s_movk_i32 s12, 0x100
	v_and_b32_e32 v15, 15, v0
	v_sub_u32_e32 v16, 15, v17
	v_cmp_gt_u32_e64 s[12:13], s12, v8
	v_mov_b32_e32 v3, 0
	v_mov_b32_e32 v2, 0
	s_waitcnt lgkmcnt(0)
	s_barrier
	buffer_wbinvl1_vol
	s_and_saveexec_b64 s[20:21], s[12:13]
	s_cbranch_execz .LBB157_249
; %bb.222:
	v_lshlrev_b32_e32 v18, 3, v15
	v_lshlrev_b32_e32 v19, 9, v16
	ds_read_b64 v[2:3], v18 offset:24832
	ds_read_b64 v[20:21], v19 offset:24960
	s_movk_i32 s16, 0xf0
	v_cmp_gt_u32_e64 s[16:17], s16, v8
	s_waitcnt lgkmcnt(0)
	v_mul_f32_e32 v22, v21, v3
	v_mul_f32_e32 v3, v20, v3
	v_fma_f32 v20, v20, v2, -v22
	v_fmac_f32_e32 v3, v21, v2
	v_add_f32_e32 v2, 0, v20
	v_add_f32_e32 v3, 0, v3
	s_and_saveexec_b64 s[22:23], s[16:17]
	s_cbranch_execz .LBB157_224
; %bb.223:
	ds_read_b64 v[20:21], v18 offset:25344
	ds_read_b64 v[22:23], v19 offset:24968
	s_waitcnt lgkmcnt(0)
	v_mul_f32_e32 v24, v23, v21
	v_mul_f32_e32 v21, v22, v21
	v_fma_f32 v22, v22, v20, -v24
	v_fmac_f32_e32 v21, v23, v20
	v_add_f32_e32 v2, v2, v22
	v_add_f32_e32 v3, v3, v21
.LBB157_224:
	s_or_b64 exec, exec, s[22:23]
	s_movk_i32 s16, 0xe0
	v_cmp_gt_u32_e64 s[16:17], s16, v8
	s_and_saveexec_b64 s[22:23], s[16:17]
	s_cbranch_execz .LBB157_226
; %bb.225:
	ds_read_b64 v[20:21], v18 offset:25856
	ds_read_b64 v[22:23], v19 offset:24976
	s_waitcnt lgkmcnt(0)
	v_mul_f32_e32 v24, v23, v21
	v_mul_f32_e32 v21, v22, v21
	v_fma_f32 v22, v22, v20, -v24
	v_fmac_f32_e32 v21, v23, v20
	v_add_f32_e32 v2, v2, v22
	v_add_f32_e32 v3, v3, v21
.LBB157_226:
	s_or_b64 exec, exec, s[22:23]
	s_movk_i32 s16, 0xd0
	v_cmp_gt_u32_e64 s[16:17], s16, v8
	s_and_saveexec_b64 s[22:23], s[16:17]
	s_cbranch_execz .LBB157_228
; %bb.227:
	ds_read_b64 v[20:21], v18 offset:26368
	ds_read_b64 v[22:23], v19 offset:24984
	s_waitcnt lgkmcnt(0)
	v_mul_f32_e32 v24, v23, v21
	v_mul_f32_e32 v21, v22, v21
	v_fma_f32 v22, v22, v20, -v24
	v_fmac_f32_e32 v21, v23, v20
	v_add_f32_e32 v2, v2, v22
	v_add_f32_e32 v3, v3, v21
.LBB157_228:
	s_or_b64 exec, exec, s[22:23]
	s_movk_i32 s16, 0xc0
	v_cmp_gt_u32_e64 s[16:17], s16, v8
	s_and_saveexec_b64 s[22:23], s[16:17]
	s_cbranch_execz .LBB157_230
; %bb.229:
	ds_read_b64 v[20:21], v18 offset:26880
	ds_read_b64 v[22:23], v19 offset:24992
	s_waitcnt lgkmcnt(0)
	v_mul_f32_e32 v24, v23, v21
	v_mul_f32_e32 v21, v22, v21
	v_fma_f32 v22, v22, v20, -v24
	v_fmac_f32_e32 v21, v23, v20
	v_add_f32_e32 v2, v2, v22
	v_add_f32_e32 v3, v3, v21
.LBB157_230:
	s_or_b64 exec, exec, s[22:23]
	s_movk_i32 s16, 0xb0
	v_cmp_gt_u32_e64 s[16:17], s16, v8
	s_and_saveexec_b64 s[22:23], s[16:17]
	s_cbranch_execz .LBB157_232
; %bb.231:
	ds_read_b64 v[20:21], v18 offset:27392
	ds_read_b64 v[22:23], v19 offset:25000
	s_waitcnt lgkmcnt(0)
	v_mul_f32_e32 v24, v23, v21
	v_mul_f32_e32 v21, v22, v21
	v_fma_f32 v22, v22, v20, -v24
	v_fmac_f32_e32 v21, v23, v20
	v_add_f32_e32 v2, v2, v22
	v_add_f32_e32 v3, v3, v21
.LBB157_232:
	s_or_b64 exec, exec, s[22:23]
	s_movk_i32 s16, 0xa0
	v_cmp_gt_u32_e64 s[16:17], s16, v8
	s_and_saveexec_b64 s[22:23], s[16:17]
	s_cbranch_execz .LBB157_234
; %bb.233:
	ds_read_b64 v[20:21], v18 offset:27904
	ds_read_b64 v[22:23], v19 offset:25008
	s_waitcnt lgkmcnt(0)
	v_mul_f32_e32 v24, v23, v21
	v_mul_f32_e32 v21, v22, v21
	v_fma_f32 v22, v22, v20, -v24
	v_fmac_f32_e32 v21, v23, v20
	v_add_f32_e32 v2, v2, v22
	v_add_f32_e32 v3, v3, v21
.LBB157_234:
	s_or_b64 exec, exec, s[22:23]
	s_movk_i32 s16, 0x90
	v_cmp_gt_u32_e64 s[16:17], s16, v8
	s_and_saveexec_b64 s[22:23], s[16:17]
	s_cbranch_execz .LBB157_236
; %bb.235:
	ds_read_b64 v[20:21], v18 offset:28416
	ds_read_b64 v[22:23], v19 offset:25016
	s_waitcnt lgkmcnt(0)
	v_mul_f32_e32 v24, v23, v21
	v_mul_f32_e32 v21, v22, v21
	v_fma_f32 v22, v22, v20, -v24
	v_fmac_f32_e32 v21, v23, v20
	v_add_f32_e32 v2, v2, v22
	v_add_f32_e32 v3, v3, v21
.LBB157_236:
	s_or_b64 exec, exec, s[22:23]
	s_movk_i32 s16, 0x80
	v_cmp_gt_u32_e64 s[16:17], s16, v8
	s_and_saveexec_b64 s[22:23], s[16:17]
	s_cbranch_execz .LBB157_238
; %bb.237:
	ds_read_b64 v[20:21], v18 offset:28928
	ds_read_b64 v[22:23], v19 offset:25024
	s_waitcnt lgkmcnt(0)
	v_mul_f32_e32 v24, v23, v21
	v_mul_f32_e32 v21, v22, v21
	v_fma_f32 v22, v22, v20, -v24
	v_fmac_f32_e32 v21, v23, v20
	v_add_f32_e32 v2, v2, v22
	v_add_f32_e32 v3, v3, v21
.LBB157_238:
	s_or_b64 exec, exec, s[22:23]
	s_movk_i32 s16, 0x70
	v_cmp_gt_u32_e64 s[16:17], s16, v8
	s_and_saveexec_b64 s[22:23], s[16:17]
	s_cbranch_execz .LBB157_240
; %bb.239:
	ds_read_b64 v[20:21], v18 offset:29440
	ds_read_b64 v[22:23], v19 offset:25032
	s_waitcnt lgkmcnt(0)
	v_mul_f32_e32 v24, v23, v21
	v_mul_f32_e32 v21, v22, v21
	v_fma_f32 v22, v22, v20, -v24
	v_fmac_f32_e32 v21, v23, v20
	v_add_f32_e32 v2, v2, v22
	v_add_f32_e32 v3, v3, v21
.LBB157_240:
	s_or_b64 exec, exec, s[22:23]
	s_movk_i32 s16, 0x60
	v_cmp_gt_u32_e64 s[16:17], s16, v8
	s_and_saveexec_b64 s[22:23], s[16:17]
	s_cbranch_execz .LBB157_242
; %bb.241:
	ds_read_b64 v[20:21], v18 offset:29952
	ds_read_b64 v[22:23], v19 offset:25040
	s_waitcnt lgkmcnt(0)
	v_mul_f32_e32 v24, v23, v21
	v_mul_f32_e32 v21, v22, v21
	v_fma_f32 v22, v22, v20, -v24
	v_fmac_f32_e32 v21, v23, v20
	v_add_f32_e32 v2, v2, v22
	v_add_f32_e32 v3, v3, v21
.LBB157_242:
	s_or_b64 exec, exec, s[22:23]
	s_movk_i32 s16, 0x50
	v_cmp_gt_u32_e64 s[16:17], s16, v8
	s_and_saveexec_b64 s[22:23], s[16:17]
	s_cbranch_execnz .LBB157_998
; %bb.243:
	s_or_b64 exec, exec, s[22:23]
	s_and_saveexec_b64 s[16:17], s[10:11]
	s_cbranch_execnz .LBB157_999
.LBB157_244:
	s_or_b64 exec, exec, s[16:17]
	v_cmp_gt_u32_e64 s[16:17], 48, v8
	s_and_saveexec_b64 s[22:23], s[16:17]
	s_cbranch_execnz .LBB157_1000
.LBB157_245:
	s_or_b64 exec, exec, s[22:23]
	v_cmp_gt_u32_e64 s[16:17], 32, v8
	s_and_saveexec_b64 s[22:23], s[16:17]
	s_cbranch_execnz .LBB157_1001
.LBB157_246:
	s_or_b64 exec, exec, s[22:23]
	v_cmp_gt_u32_e64 s[16:17], 16, v8
	s_and_saveexec_b64 s[22:23], s[16:17]
	s_cbranch_execz .LBB157_248
.LBB157_247:
	v_lshlrev_b32_e32 v18, 3, v0
	v_mov_b32_e32 v20, 0
	ds_read_b64 v[18:19], v18 offset:32512
	ds_read_b64 v[20:21], v20 offset:32760
	s_waitcnt lgkmcnt(0)
	v_mul_f32_e32 v22, v21, v19
	v_mul_f32_e32 v19, v20, v19
	v_fma_f32 v20, v20, v18, -v22
	v_fmac_f32_e32 v19, v21, v18
	v_add_f32_e32 v2, v2, v20
	v_add_f32_e32 v3, v3, v19
.LBB157_248:
	s_or_b64 exec, exec, s[22:23]
.LBB157_249:
	s_or_b64 exec, exec, s[20:21]
	v_mov_b32_e32 v18, 0x8000
	v_lshl_add_u32 v17, v17, 3, v18
	v_cmp_eq_u32_e64 s[16:17], 15, v15
	s_xor_b64 s[20:21], s[14:15], -1
	s_and_b64 s[16:17], s[16:17], s[20:21]
	s_mov_b64 s[14:15], exec
                                        ; implicit-def: $vgpr28 : SGPR spill to VGPR lane
	v_writelane_b32 v28, s16, 0
	v_writelane_b32 v28, s17, 1
	s_and_b64 s[16:17], s[14:15], s[16:17]
	s_mov_b64 exec, s[16:17]
; %bb.250:
	v_xor_b32_e32 v18, 0x80000000, v2
	v_xor_b32_e32 v19, 0x80000000, v3
	ds_write_b64 v17, v[18:19]
; %bb.251:
	s_or_b64 exec, exec, s[14:15]
	v_cmp_ne_u32_e64 s[14:15], 15, v15
	s_waitcnt lgkmcnt(0)
	s_barrier
	s_and_b64 s[16:17], s[14:15], s[20:21]
	s_mov_b64 s[14:15], exec
	v_writelane_b32 v28, s16, 2
	v_writelane_b32 v28, s17, 3
	s_and_b64 s[16:17], s[14:15], s[16:17]
	s_mov_b64 exec, s[16:17]
	s_cbranch_execz .LBB157_253
; %bb.252:
	v_lshlrev_b32_e32 v18, 3, v15
	ds_read_b64 v[18:19], v18 offset:24320
	ds_read_b64 v[20:21], v17
	s_waitcnt lgkmcnt(0)
	v_mul_f32_e32 v22, v21, v19
	v_mul_f32_e32 v19, v20, v19
	v_fma_f32 v20, v20, v18, -v22
	v_fmac_f32_e32 v19, v21, v18
	v_sub_f32_e32 v2, v2, v20
	v_sub_f32_e32 v3, v3, v19
.LBB157_253:
	s_or_b64 exec, exec, s[14:15]
	v_cmp_eq_u32_e64 s[14:15], 14, v15
	s_barrier
	s_and_b64 s[16:17], s[14:15], s[20:21]
	s_mov_b64 s[14:15], exec
	v_writelane_b32 v28, s16, 4
	v_writelane_b32 v28, s17, 5
	s_and_b64 s[16:17], s[14:15], s[16:17]
	s_mov_b64 exec, s[16:17]
; %bb.254:
	v_xor_b32_e32 v18, 0x80000000, v2
	v_xor_b32_e32 v19, 0x80000000, v3
	ds_write_b64 v17, v[18:19]
; %bb.255:
	s_or_b64 exec, exec, s[14:15]
	v_cmp_gt_u32_e64 s[14:15], 14, v15
	s_waitcnt lgkmcnt(0)
	s_barrier
	s_and_b64 s[16:17], s[14:15], s[20:21]
	s_mov_b64 s[14:15], exec
	v_writelane_b32 v28, s16, 6
	v_writelane_b32 v28, s17, 7
	s_and_b64 s[16:17], s[14:15], s[16:17]
	s_mov_b64 exec, s[16:17]
	s_cbranch_execz .LBB157_257
; %bb.256:
	v_lshlrev_b32_e32 v18, 3, v15
	ds_read_b64 v[18:19], v18 offset:23808
	ds_read_b64 v[20:21], v17
	s_waitcnt lgkmcnt(0)
	v_mul_f32_e32 v22, v21, v19
	v_mul_f32_e32 v19, v20, v19
	v_fma_f32 v20, v20, v18, -v22
	v_fmac_f32_e32 v19, v21, v18
	v_sub_f32_e32 v2, v2, v20
	v_sub_f32_e32 v3, v3, v19
.LBB157_257:
	s_or_b64 exec, exec, s[14:15]
	v_cmp_eq_u32_e64 s[14:15], 13, v15
	s_barrier
	s_and_b64 s[16:17], s[14:15], s[20:21]
	s_mov_b64 s[14:15], exec
	v_writelane_b32 v28, s16, 8
	v_writelane_b32 v28, s17, 9
	s_and_b64 s[16:17], s[14:15], s[16:17]
	s_mov_b64 exec, s[16:17]
; %bb.258:
	v_xor_b32_e32 v18, 0x80000000, v2
	v_xor_b32_e32 v19, 0x80000000, v3
	ds_write_b64 v17, v[18:19]
; %bb.259:
	s_or_b64 exec, exec, s[14:15]
	v_cmp_gt_u32_e64 s[14:15], 13, v15
	;; [unrolled: 37-line block ×11, first 2 shown]
	s_waitcnt lgkmcnt(0)
	s_barrier
	s_and_b64 s[16:17], s[14:15], s[20:21]
	s_mov_b64 s[14:15], exec
	v_writelane_b32 v28, s16, 46
	v_writelane_b32 v28, s17, 47
	s_and_b64 s[16:17], s[14:15], s[16:17]
	s_mov_b64 exec, s[16:17]
	s_cbranch_execz .LBB157_297
; %bb.296:
	v_lshlrev_b32_e32 v18, 3, v15
	ds_read_b64 v[18:19], v18 offset:18688
	ds_read_b64 v[20:21], v17
	s_waitcnt lgkmcnt(0)
	v_mul_f32_e32 v22, v21, v19
	v_mul_f32_e32 v19, v20, v19
	v_fma_f32 v20, v20, v18, -v22
	v_fmac_f32_e32 v19, v21, v18
	v_sub_f32_e32 v2, v2, v20
	v_sub_f32_e32 v3, v3, v19
.LBB157_297:
	s_or_b64 exec, exec, s[14:15]
	v_cmp_eq_u32_e64 s[14:15], 3, v15
	s_and_b64 s[22:23], s[14:15], s[20:21]
	s_barrier
	s_and_saveexec_b64 s[14:15], s[22:23]
; %bb.298:
	v_xor_b32_e32 v18, 0x80000000, v2
	v_xor_b32_e32 v19, 0x80000000, v3
	ds_write_b64 v17, v[18:19]
; %bb.299:
	s_or_b64 exec, exec, s[14:15]
	v_cmp_gt_u32_e64 s[14:15], 3, v15
	s_waitcnt lgkmcnt(0)
	s_barrier
	s_and_b64 s[16:17], s[14:15], s[20:21]
	s_mov_b64 s[14:15], exec
	v_writelane_b32 v28, s16, 48
	v_writelane_b32 v28, s17, 49
	s_and_b64 s[16:17], s[14:15], s[16:17]
	s_mov_b64 exec, s[16:17]
	s_cbranch_execz .LBB157_301
; %bb.300:
	v_lshlrev_b32_e32 v18, 3, v15
	ds_read_b64 v[18:19], v18 offset:18176
	ds_read_b64 v[20:21], v17
	s_waitcnt lgkmcnt(0)
	v_mul_f32_e32 v22, v21, v19
	v_mul_f32_e32 v19, v20, v19
	v_fma_f32 v20, v20, v18, -v22
	v_fmac_f32_e32 v19, v21, v18
	v_sub_f32_e32 v2, v2, v20
	v_sub_f32_e32 v3, v3, v19
.LBB157_301:
	s_or_b64 exec, exec, s[14:15]
	v_cmp_eq_u32_e64 s[14:15], 2, v15
	s_and_b64 s[84:85], s[14:15], s[20:21]
	s_barrier
	s_and_saveexec_b64 s[14:15], s[84:85]
; %bb.302:
	v_xor_b32_e32 v18, 0x80000000, v2
	v_xor_b32_e32 v19, 0x80000000, v3
	ds_write_b64 v17, v[18:19]
; %bb.303:
	s_or_b64 exec, exec, s[14:15]
	v_cmp_gt_u32_e64 s[14:15], 2, v15
	s_and_b64 s[86:87], s[14:15], s[20:21]
	s_waitcnt lgkmcnt(0)
	s_barrier
	s_and_saveexec_b64 s[14:15], s[86:87]
	s_cbranch_execz .LBB157_305
; %bb.304:
	v_lshlrev_b32_e32 v18, 3, v15
	ds_read_b64 v[18:19], v18 offset:17664
	ds_read_b64 v[20:21], v17
	s_waitcnt lgkmcnt(0)
	v_mul_f32_e32 v22, v21, v19
	v_mul_f32_e32 v19, v20, v19
	v_fma_f32 v20, v20, v18, -v22
	v_fmac_f32_e32 v19, v21, v18
	v_sub_f32_e32 v2, v2, v20
	v_sub_f32_e32 v3, v3, v19
.LBB157_305:
	s_or_b64 exec, exec, s[14:15]
	v_cmp_eq_u32_e64 s[14:15], 1, v15
	s_and_b64 s[90:91], s[14:15], s[20:21]
	s_barrier
	s_and_saveexec_b64 s[14:15], s[90:91]
; %bb.306:
	v_xor_b32_e32 v18, 0x80000000, v2
	v_xor_b32_e32 v19, 0x80000000, v3
	ds_write_b64 v17, v[18:19]
; %bb.307:
	s_or_b64 exec, exec, s[14:15]
	v_cmp_eq_u32_e64 s[14:15], 0, v15
	s_and_b64 s[88:89], s[14:15], s[20:21]
	s_waitcnt lgkmcnt(0)
	s_barrier
	s_and_saveexec_b64 s[14:15], s[88:89]
	s_cbranch_execz .LBB157_309
; %bb.308:
	v_mov_b32_e32 v18, 0
	ds_read_b64 v[18:19], v18 offset:17152
	ds_read_b64 v[20:21], v17
	s_waitcnt lgkmcnt(0)
	v_mul_f32_e32 v22, v21, v19
	v_mul_f32_e32 v19, v20, v19
	v_fma_f32 v20, v20, v18, -v22
	v_fmac_f32_e32 v19, v21, v18
	v_sub_f32_e32 v2, v2, v20
	v_sub_f32_e32 v3, v3, v19
.LBB157_309:
	s_or_b64 exec, exec, s[14:15]
	s_barrier
	s_and_saveexec_b64 s[14:15], s[88:89]
; %bb.310:
	v_xor_b32_e32 v18, 0x80000000, v2
	v_xor_b32_e32 v19, 0x80000000, v3
	ds_write_b64 v17, v[18:19]
; %bb.311:
	s_or_b64 exec, exec, s[14:15]
	s_waitcnt lgkmcnt(0)
	s_barrier
	s_barrier
	s_and_saveexec_b64 s[14:15], s[12:13]
; %bb.312:
	v_lshlrev_b32_e32 v18, 3, v15
	v_lshl_or_b32 v18, v16, 9, v18
	ds_write_b64 v18, v[2:3] offset:24832
; %bb.313:
	s_or_b64 exec, exec, s[14:15]
	s_waitcnt lgkmcnt(0)
	s_barrier
	s_barrier
	s_and_saveexec_b64 s[14:15], vcc
	s_cbranch_execz .LBB157_315
; %bb.314:
	s_mov_b64 s[16:17], 0x3f800000
	v_mov_b32_e32 v2, s16
	v_mov_b32_e32 v3, s17
	s_movk_i32 s16, 0x5800
	v_add_u32_e64 v18, s16, 0
	ds_write2_b64 v18, v[2:3], v[2:3] offset0:174 offset1:239
.LBB157_315:
	s_or_b64 exec, exec, s[14:15]
	v_mov_b32_e32 v2, 0
	v_mov_b32_e32 v3, 0
	s_waitcnt lgkmcnt(0)
	s_barrier
	buffer_wbinvl1_vol
	s_and_saveexec_b64 s[16:17], s[6:7]
	s_cbranch_execz .LBB157_319
; %bb.316:
	v_lshlrev_b32_e32 v2, 3, v4
	v_lshlrev_b32_e32 v18, 9, v5
	ds_read_b64 v[2:3], v2 offset:23904
	ds_read_b64 v[18:19], v18 offset:23920
	v_cmp_gt_u32_e64 s[14:15], 2, v8
	s_waitcnt lgkmcnt(0)
	v_mul_f32_e32 v20, v19, v3
	v_mul_f32_e32 v3, v18, v3
	v_fma_f32 v18, v18, v2, -v20
	v_fmac_f32_e32 v3, v19, v2
	v_add_f32_e32 v2, 0, v18
	v_add_f32_e32 v3, 0, v3
	s_and_saveexec_b64 s[20:21], s[14:15]
	s_cbranch_execz .LBB157_318
; %bb.317:
	v_lshlrev_b32_e32 v18, 3, v0
	v_mov_b32_e32 v20, 0
	ds_read_b64 v[18:19], v18 offset:24416
	ds_read_b64 v[20:21], v20 offset:24440
	s_waitcnt lgkmcnt(0)
	v_mul_f32_e32 v22, v21, v19
	v_mul_f32_e32 v19, v20, v19
	v_fma_f32 v20, v20, v18, -v22
	v_fmac_f32_e32 v19, v21, v18
	v_add_f32_e32 v2, v2, v20
	v_add_f32_e32 v3, v3, v19
.LBB157_318:
	s_or_b64 exec, exec, s[20:21]
.LBB157_319:
	s_or_b64 exec, exec, s[16:17]
	s_and_saveexec_b64 s[14:15], s[42:43]
; %bb.320:
	v_xor_b32_e32 v19, 0x80000000, v3
	v_xor_b32_e32 v18, 0x80000000, v2
	ds_write_b64 v6, v[18:19]
; %bb.321:
	s_or_b64 exec, exec, s[14:15]
	s_waitcnt lgkmcnt(0)
	s_barrier
	s_and_saveexec_b64 s[14:15], s[40:41]
	s_cbranch_execz .LBB157_323
; %bb.322:
	v_mov_b32_e32 v18, 0
	ds_read_b64 v[18:19], v18 offset:23392
	ds_read_b64 v[20:21], v6
	s_waitcnt lgkmcnt(0)
	v_mul_f32_e32 v22, v20, v18
	v_mul_f32_e32 v20, v20, v19
	v_fmac_f32_e32 v20, v21, v18
	v_fma_f32 v18, v21, v19, -v22
	v_add_f32_e32 v2, v2, v18
	v_sub_f32_e32 v3, v3, v20
.LBB157_323:
	s_or_b64 exec, exec, s[14:15]
	s_barrier
	s_and_saveexec_b64 s[14:15], s[40:41]
; %bb.324:
	v_xor_b32_e32 v19, 0x80000000, v3
	v_xor_b32_e32 v18, 0x80000000, v2
	ds_write_b64 v6, v[18:19]
; %bb.325:
	s_or_b64 exec, exec, s[14:15]
	s_waitcnt lgkmcnt(0)
	s_barrier
	s_barrier
	s_and_saveexec_b64 s[14:15], s[6:7]
; %bb.326:
	v_lshlrev_b32_e32 v18, 3, v4
	v_lshl_or_b32 v18, v5, 9, v18
	ds_write_b64 v18, v[2:3] offset:23904
; %bb.327:
	s_or_b64 exec, exec, s[14:15]
	s_waitcnt lgkmcnt(0)
	s_barrier
	s_barrier
	s_and_saveexec_b64 s[14:15], vcc
	s_cbranch_execz .LBB157_329
; %bb.328:
	s_mov_b64 s[16:17], 0x3f800000
	v_mov_b32_e32 v2, s16
	v_mov_b32_e32 v3, s17
	s_movk_i32 s16, 0x5800
	v_add_u32_e64 v18, s16, 0
	ds_write2_b64 v18, v[2:3], v[2:3] offset0:44 offset1:109
.LBB157_329:
	s_or_b64 exec, exec, s[14:15]
	v_mov_b32_e32 v3, 0
	v_mov_b32_e32 v2, 0
	s_waitcnt lgkmcnt(0)
	s_barrier
	buffer_wbinvl1_vol
	s_and_saveexec_b64 s[16:17], s[18:19]
	s_cbranch_execz .LBB157_335
; %bb.330:
	v_lshlrev_b32_e32 v18, 3, v9
	v_lshlrev_b32_e32 v19, 9, v10
	ds_read_b64 v[2:3], v18 offset:22848
	ds_read_b64 v[20:21], v19 offset:22880
	v_cmp_gt_u32_e64 s[14:15], 12, v8
	s_waitcnt lgkmcnt(0)
	v_mul_f32_e32 v22, v21, v3
	v_mul_f32_e32 v3, v20, v3
	v_fma_f32 v20, v20, v2, -v22
	v_fmac_f32_e32 v3, v21, v2
	v_add_f32_e32 v2, 0, v20
	v_add_f32_e32 v3, 0, v3
	s_and_saveexec_b64 s[20:21], s[14:15]
	s_cbranch_execnz .LBB157_1002
; %bb.331:
	s_or_b64 exec, exec, s[20:21]
	v_cmp_gt_u32_e64 s[14:15], 8, v8
	s_and_saveexec_b64 s[20:21], s[14:15]
	s_cbranch_execnz .LBB157_1003
.LBB157_332:
	s_or_b64 exec, exec, s[20:21]
	v_cmp_gt_u32_e64 s[14:15], 4, v8
	s_and_saveexec_b64 s[20:21], s[14:15]
	s_cbranch_execz .LBB157_334
.LBB157_333:
	v_lshlrev_b32_e32 v18, 3, v0
	v_mov_b32_e32 v20, 0
	ds_read_b64 v[18:19], v18 offset:24384
	ds_read_b64 v[20:21], v20 offset:24440
	s_waitcnt lgkmcnt(0)
	v_mul_f32_e32 v22, v21, v19
	v_mul_f32_e32 v19, v20, v19
	v_fma_f32 v20, v20, v18, -v22
	v_fmac_f32_e32 v19, v21, v18
	v_add_f32_e32 v2, v2, v20
	v_add_f32_e32 v3, v3, v19
.LBB157_334:
	s_or_b64 exec, exec, s[20:21]
.LBB157_335:
	s_or_b64 exec, exec, s[16:17]
	s_and_saveexec_b64 s[14:15], s[46:47]
; %bb.336:
	v_xor_b32_e32 v18, 0x80000000, v2
	v_xor_b32_e32 v19, 0x80000000, v3
	ds_write_b64 v11, v[18:19]
; %bb.337:
	s_or_b64 exec, exec, s[14:15]
	s_waitcnt lgkmcnt(0)
	s_barrier
	s_and_saveexec_b64 s[14:15], s[48:49]
	s_cbranch_execz .LBB157_339
; %bb.338:
	v_lshlrev_b32_e32 v18, 3, v9
	ds_read_b64 v[18:19], v18 offset:22336
	ds_read_b64 v[20:21], v11
	s_waitcnt lgkmcnt(0)
	v_mul_f32_e32 v22, v21, v19
	v_mul_f32_e32 v19, v20, v19
	v_fma_f32 v20, v20, v18, -v22
	v_fmac_f32_e32 v19, v21, v18
	v_sub_f32_e32 v2, v2, v20
	v_sub_f32_e32 v3, v3, v19
.LBB157_339:
	s_or_b64 exec, exec, s[14:15]
	s_barrier
	s_and_saveexec_b64 s[14:15], s[50:51]
; %bb.340:
	v_xor_b32_e32 v18, 0x80000000, v2
	v_xor_b32_e32 v19, 0x80000000, v3
	ds_write_b64 v11, v[18:19]
; %bb.341:
	s_or_b64 exec, exec, s[14:15]
	s_waitcnt lgkmcnt(0)
	s_barrier
	s_and_saveexec_b64 s[14:15], s[52:53]
	s_cbranch_execz .LBB157_343
; %bb.342:
	v_lshlrev_b32_e32 v18, 3, v9
	ds_read_b64 v[18:19], v18 offset:21824
	ds_read_b64 v[20:21], v11
	s_waitcnt lgkmcnt(0)
	v_mul_f32_e32 v22, v21, v19
	v_mul_f32_e32 v19, v20, v19
	v_fma_f32 v20, v20, v18, -v22
	v_fmac_f32_e32 v19, v21, v18
	v_sub_f32_e32 v2, v2, v20
	v_sub_f32_e32 v3, v3, v19
.LBB157_343:
	s_or_b64 exec, exec, s[14:15]
	s_barrier
	s_and_saveexec_b64 s[14:15], s[54:55]
; %bb.344:
	v_xor_b32_e32 v18, 0x80000000, v2
	v_xor_b32_e32 v19, 0x80000000, v3
	ds_write_b64 v11, v[18:19]
; %bb.345:
	s_or_b64 exec, exec, s[14:15]
	s_waitcnt lgkmcnt(0)
	s_barrier
	s_and_saveexec_b64 s[14:15], s[44:45]
	s_cbranch_execz .LBB157_347
; %bb.346:
	v_mov_b32_e32 v18, 0
	ds_read_b64 v[18:19], v18 offset:21312
	ds_read_b64 v[20:21], v11
	s_waitcnt lgkmcnt(0)
	v_mul_f32_e32 v22, v21, v19
	v_mul_f32_e32 v19, v20, v19
	v_fma_f32 v20, v20, v18, -v22
	v_fmac_f32_e32 v19, v21, v18
	v_sub_f32_e32 v2, v2, v20
	v_sub_f32_e32 v3, v3, v19
.LBB157_347:
	s_or_b64 exec, exec, s[14:15]
	s_barrier
	s_and_saveexec_b64 s[14:15], s[44:45]
; %bb.348:
	v_xor_b32_e32 v18, 0x80000000, v2
	v_xor_b32_e32 v19, 0x80000000, v3
	ds_write_b64 v11, v[18:19]
; %bb.349:
	s_or_b64 exec, exec, s[14:15]
	s_waitcnt lgkmcnt(0)
	s_barrier
	s_barrier
	s_and_saveexec_b64 s[14:15], s[18:19]
; %bb.350:
	v_lshlrev_b32_e32 v18, 3, v9
	v_lshl_or_b32 v18, v10, 9, v18
	ds_write_b64 v18, v[2:3] offset:22848
; %bb.351:
	s_or_b64 exec, exec, s[14:15]
	s_waitcnt lgkmcnt(0)
	s_barrier
	s_barrier
	s_and_saveexec_b64 s[14:15], vcc
	s_cbranch_execz .LBB157_353
; %bb.352:
	s_mov_b64 s[16:17], 0x3f800000
	v_mov_b32_e32 v2, s16
	v_mov_b32_e32 v3, s17
	s_movk_i32 s16, 0x5000
	v_add_u32_e64 v18, s16, 0
	ds_write2_b64 v18, v[2:3], v[2:3] offset0:170 offset1:235
.LBB157_353:
	s_or_b64 exec, exec, s[14:15]
	v_mov_b32_e32 v2, 0
	v_mov_b32_e32 v3, 0
	s_waitcnt lgkmcnt(0)
	s_barrier
	buffer_wbinvl1_vol
	s_and_saveexec_b64 s[16:17], s[6:7]
	s_cbranch_execz .LBB157_357
; %bb.354:
	v_lshlrev_b32_e32 v2, 3, v4
	v_lshlrev_b32_e32 v18, 9, v5
	ds_read_b64 v[2:3], v2 offset:21824
	ds_read_b64 v[18:19], v18 offset:21840
	v_cmp_gt_u32_e64 s[14:15], 2, v8
	s_waitcnt lgkmcnt(0)
	v_mul_f32_e32 v20, v19, v3
	v_mul_f32_e32 v3, v18, v3
	v_fma_f32 v18, v18, v2, -v20
	v_fmac_f32_e32 v3, v19, v2
	v_add_f32_e32 v2, 0, v18
	v_add_f32_e32 v3, 0, v3
	s_and_saveexec_b64 s[20:21], s[14:15]
	s_cbranch_execz .LBB157_356
; %bb.355:
	v_lshlrev_b32_e32 v18, 3, v0
	v_mov_b32_e32 v20, 0
	ds_read_b64 v[18:19], v18 offset:22336
	ds_read_b64 v[20:21], v20 offset:22360
	s_waitcnt lgkmcnt(0)
	v_mul_f32_e32 v22, v21, v19
	v_mul_f32_e32 v19, v20, v19
	v_fma_f32 v20, v20, v18, -v22
	v_fmac_f32_e32 v19, v21, v18
	v_add_f32_e32 v2, v2, v20
	v_add_f32_e32 v3, v3, v19
.LBB157_356:
	s_or_b64 exec, exec, s[20:21]
.LBB157_357:
	s_or_b64 exec, exec, s[16:17]
	s_and_saveexec_b64 s[14:15], s[42:43]
; %bb.358:
	v_xor_b32_e32 v19, 0x80000000, v3
	v_xor_b32_e32 v18, 0x80000000, v2
	ds_write_b64 v6, v[18:19]
; %bb.359:
	s_or_b64 exec, exec, s[14:15]
	s_waitcnt lgkmcnt(0)
	s_barrier
	s_and_saveexec_b64 s[14:15], s[40:41]
	s_cbranch_execz .LBB157_361
; %bb.360:
	v_mov_b32_e32 v18, 0
	ds_read_b64 v[18:19], v18 offset:21312
	ds_read_b64 v[20:21], v6
	s_waitcnt lgkmcnt(0)
	v_mul_f32_e32 v22, v20, v18
	v_mul_f32_e32 v20, v20, v19
	v_fmac_f32_e32 v20, v21, v18
	v_fma_f32 v18, v21, v19, -v22
	v_add_f32_e32 v2, v2, v18
	v_sub_f32_e32 v3, v3, v20
.LBB157_361:
	s_or_b64 exec, exec, s[14:15]
	s_barrier
	s_and_saveexec_b64 s[14:15], s[40:41]
; %bb.362:
	v_xor_b32_e32 v19, 0x80000000, v3
	v_xor_b32_e32 v18, 0x80000000, v2
	ds_write_b64 v6, v[18:19]
; %bb.363:
	s_or_b64 exec, exec, s[14:15]
	s_waitcnt lgkmcnt(0)
	s_barrier
	s_barrier
	s_and_saveexec_b64 s[14:15], s[6:7]
; %bb.364:
	v_lshlrev_b32_e32 v18, 3, v4
	v_lshl_or_b32 v18, v5, 9, v18
	ds_write_b64 v18, v[2:3] offset:21824
; %bb.365:
	s_or_b64 exec, exec, s[14:15]
	s_waitcnt lgkmcnt(0)
	s_barrier
	s_barrier
	s_and_saveexec_b64 s[14:15], vcc
	s_cbranch_execz .LBB157_367
; %bb.366:
	s_mov_b64 s[16:17], 0x3f800000
	v_mov_b32_e32 v2, s16
	v_mov_b32_e32 v3, s17
	s_movk_i32 s16, 0x5000
	v_add_u32_e64 v18, s16, 0
	ds_write2_b64 v18, v[2:3], v[2:3] offset0:40 offset1:105
.LBB157_367:
	s_or_b64 exec, exec, s[14:15]
	v_mov_b32_e32 v3, 0
	v_mov_b32_e32 v2, 0
	s_waitcnt lgkmcnt(0)
	s_barrier
	buffer_wbinvl1_vol
	s_and_saveexec_b64 s[16:17], s[10:11]
	s_cbranch_execz .LBB157_377
; %bb.368:
	v_lshlrev_b32_e32 v18, 3, v12
	v_lshlrev_b32_e32 v19, 9, v13
	ds_read_b64 v[2:3], v18 offset:20736
	ds_read_b64 v[20:21], v19 offset:20800
	v_cmp_gt_u32_e64 s[14:15], 56, v8
	s_waitcnt lgkmcnt(0)
	v_mul_f32_e32 v22, v21, v3
	v_mul_f32_e32 v3, v20, v3
	v_fma_f32 v20, v20, v2, -v22
	v_fmac_f32_e32 v3, v21, v2
	v_add_f32_e32 v2, 0, v20
	v_add_f32_e32 v3, 0, v3
	s_and_saveexec_b64 s[20:21], s[14:15]
	s_cbranch_execnz .LBB157_1004
; %bb.369:
	s_or_b64 exec, exec, s[20:21]
	v_cmp_gt_u32_e64 s[14:15], 48, v8
	s_and_saveexec_b64 s[20:21], s[14:15]
	s_cbranch_execnz .LBB157_1005
.LBB157_370:
	s_or_b64 exec, exec, s[20:21]
	v_cmp_gt_u32_e64 s[14:15], 40, v8
	s_and_saveexec_b64 s[20:21], s[14:15]
	s_cbranch_execnz .LBB157_1006
.LBB157_371:
	s_or_b64 exec, exec, s[20:21]
	v_cmp_gt_u32_e64 s[14:15], 32, v8
	s_and_saveexec_b64 s[20:21], s[14:15]
	s_cbranch_execnz .LBB157_1007
.LBB157_372:
	s_or_b64 exec, exec, s[20:21]
	v_cmp_gt_u32_e64 s[14:15], 24, v8
	s_and_saveexec_b64 s[20:21], s[14:15]
	s_cbranch_execnz .LBB157_1008
.LBB157_373:
	s_or_b64 exec, exec, s[20:21]
	s_and_saveexec_b64 s[14:15], s[18:19]
	s_cbranch_execnz .LBB157_1009
.LBB157_374:
	s_or_b64 exec, exec, s[14:15]
	v_cmp_gt_u32_e64 s[14:15], 8, v8
	s_and_saveexec_b64 s[20:21], s[14:15]
	s_cbranch_execz .LBB157_376
.LBB157_375:
	v_lshlrev_b32_e32 v18, 3, v0
	v_mov_b32_e32 v20, 0
	ds_read_b64 v[18:19], v18 offset:24320
	ds_read_b64 v[20:21], v20 offset:24440
	s_waitcnt lgkmcnt(0)
	v_mul_f32_e32 v22, v21, v19
	v_mul_f32_e32 v19, v20, v19
	v_fma_f32 v20, v20, v18, -v22
	v_fmac_f32_e32 v19, v21, v18
	v_add_f32_e32 v2, v2, v20
	v_add_f32_e32 v3, v3, v19
.LBB157_376:
	s_or_b64 exec, exec, s[20:21]
.LBB157_377:
	s_or_b64 exec, exec, s[16:17]
	s_and_saveexec_b64 s[14:15], s[58:59]
; %bb.378:
	v_xor_b32_e32 v19, 0x80000000, v3
	v_xor_b32_e32 v18, 0x80000000, v2
	ds_write_b64 v14, v[18:19]
; %bb.379:
	s_or_b64 exec, exec, s[14:15]
	s_waitcnt lgkmcnt(0)
	s_barrier
	s_and_saveexec_b64 s[14:15], s[60:61]
	s_cbranch_execz .LBB157_381
; %bb.380:
	v_lshlrev_b32_e32 v18, 3, v12
	ds_read_b64 v[18:19], v18 offset:20224
	ds_read_b64 v[20:21], v14
	s_waitcnt lgkmcnt(0)
	v_mul_f32_e32 v22, v21, v19
	v_mul_f32_e32 v19, v20, v19
	v_fma_f32 v20, v20, v18, -v22
	v_fmac_f32_e32 v19, v21, v18
	v_sub_f32_e32 v2, v2, v20
	v_sub_f32_e32 v3, v3, v19
.LBB157_381:
	s_or_b64 exec, exec, s[14:15]
	s_barrier
	s_and_saveexec_b64 s[14:15], s[62:63]
; %bb.382:
	v_xor_b32_e32 v19, 0x80000000, v3
	v_xor_b32_e32 v18, 0x80000000, v2
	ds_write_b64 v14, v[18:19]
; %bb.383:
	s_or_b64 exec, exec, s[14:15]
	s_waitcnt lgkmcnt(0)
	s_barrier
	s_and_saveexec_b64 s[14:15], s[64:65]
	s_cbranch_execz .LBB157_385
; %bb.384:
	v_lshlrev_b32_e32 v18, 3, v12
	ds_read_b64 v[18:19], v18 offset:19712
	ds_read_b64 v[20:21], v14
	s_waitcnt lgkmcnt(0)
	v_mul_f32_e32 v22, v21, v19
	v_mul_f32_e32 v19, v20, v19
	v_fma_f32 v20, v20, v18, -v22
	v_fmac_f32_e32 v19, v21, v18
	v_sub_f32_e32 v2, v2, v20
	v_sub_f32_e32 v3, v3, v19
.LBB157_385:
	s_or_b64 exec, exec, s[14:15]
	s_barrier
	;; [unrolled: 25-line block ×6, first 2 shown]
	s_and_saveexec_b64 s[14:15], s[82:83]
; %bb.402:
	v_xor_b32_e32 v19, 0x80000000, v3
	v_xor_b32_e32 v18, 0x80000000, v2
	ds_write_b64 v14, v[18:19]
; %bb.403:
	s_or_b64 exec, exec, s[14:15]
	s_waitcnt lgkmcnt(0)
	s_barrier
	s_and_saveexec_b64 s[14:15], s[56:57]
	s_cbranch_execz .LBB157_405
; %bb.404:
	v_mov_b32_e32 v18, 0
	ds_read_b64 v[18:19], v18 offset:17152
	ds_read_b64 v[20:21], v14
	s_waitcnt lgkmcnt(0)
	v_mul_f32_e32 v22, v21, v19
	v_mul_f32_e32 v19, v20, v19
	v_fma_f32 v20, v20, v18, -v22
	v_fmac_f32_e32 v19, v21, v18
	v_sub_f32_e32 v2, v2, v20
	v_sub_f32_e32 v3, v3, v19
.LBB157_405:
	s_or_b64 exec, exec, s[14:15]
	s_barrier
	s_and_saveexec_b64 s[14:15], s[56:57]
; %bb.406:
	v_xor_b32_e32 v19, 0x80000000, v3
	v_xor_b32_e32 v18, 0x80000000, v2
	ds_write_b64 v14, v[18:19]
; %bb.407:
	s_or_b64 exec, exec, s[14:15]
	s_waitcnt lgkmcnt(0)
	s_barrier
	s_barrier
	s_and_saveexec_b64 s[14:15], s[10:11]
; %bb.408:
	v_lshlrev_b32_e32 v18, 3, v12
	v_lshl_or_b32 v18, v13, 9, v18
	ds_write_b64 v18, v[2:3] offset:20736
; %bb.409:
	s_or_b64 exec, exec, s[14:15]
	s_waitcnt lgkmcnt(0)
	s_barrier
	s_barrier
	s_and_saveexec_b64 s[14:15], vcc
	s_cbranch_execz .LBB157_411
; %bb.410:
	s_mov_b64 s[16:17], 0x3f800000
	v_mov_b32_e32 v2, s16
	v_mov_b32_e32 v3, s17
	s_movk_i32 s16, 0x4800
	v_add_u32_e64 v18, s16, 0
	ds_write2_b64 v18, v[2:3], v[2:3] offset0:166 offset1:231
.LBB157_411:
	s_or_b64 exec, exec, s[14:15]
	v_mov_b32_e32 v2, 0
	v_mov_b32_e32 v3, 0
	s_waitcnt lgkmcnt(0)
	s_barrier
	buffer_wbinvl1_vol
	s_and_saveexec_b64 s[16:17], s[6:7]
	s_cbranch_execz .LBB157_415
; %bb.412:
	v_lshlrev_b32_e32 v2, 3, v4
	v_lshlrev_b32_e32 v18, 9, v5
	ds_read_b64 v[2:3], v2 offset:19744
	ds_read_b64 v[18:19], v18 offset:19760
	v_cmp_gt_u32_e64 s[14:15], 2, v8
	s_waitcnt lgkmcnt(0)
	v_mul_f32_e32 v20, v19, v3
	v_mul_f32_e32 v3, v18, v3
	v_fma_f32 v18, v18, v2, -v20
	v_fmac_f32_e32 v3, v19, v2
	v_add_f32_e32 v2, 0, v18
	v_add_f32_e32 v3, 0, v3
	s_and_saveexec_b64 s[20:21], s[14:15]
	s_cbranch_execz .LBB157_414
; %bb.413:
	v_lshlrev_b32_e32 v18, 3, v0
	v_mov_b32_e32 v20, 0
	ds_read_b64 v[18:19], v18 offset:20256
	ds_read_b64 v[20:21], v20 offset:20280
	s_waitcnt lgkmcnt(0)
	v_mul_f32_e32 v22, v21, v19
	v_mul_f32_e32 v19, v20, v19
	v_fma_f32 v20, v20, v18, -v22
	v_fmac_f32_e32 v19, v21, v18
	v_add_f32_e32 v2, v2, v20
	v_add_f32_e32 v3, v3, v19
.LBB157_414:
	s_or_b64 exec, exec, s[20:21]
.LBB157_415:
	s_or_b64 exec, exec, s[16:17]
	s_and_saveexec_b64 s[14:15], s[42:43]
; %bb.416:
	v_xor_b32_e32 v19, 0x80000000, v3
	v_xor_b32_e32 v18, 0x80000000, v2
	ds_write_b64 v6, v[18:19]
; %bb.417:
	s_or_b64 exec, exec, s[14:15]
	s_waitcnt lgkmcnt(0)
	s_barrier
	s_and_saveexec_b64 s[14:15], s[40:41]
	s_cbranch_execz .LBB157_419
; %bb.418:
	v_mov_b32_e32 v18, 0
	ds_read_b64 v[18:19], v18 offset:19232
	ds_read_b64 v[20:21], v6
	s_waitcnt lgkmcnt(0)
	v_mul_f32_e32 v22, v20, v18
	v_mul_f32_e32 v20, v20, v19
	v_fmac_f32_e32 v20, v21, v18
	v_fma_f32 v18, v21, v19, -v22
	v_add_f32_e32 v2, v2, v18
	v_sub_f32_e32 v3, v3, v20
.LBB157_419:
	s_or_b64 exec, exec, s[14:15]
	s_barrier
	s_and_saveexec_b64 s[14:15], s[40:41]
; %bb.420:
	v_xor_b32_e32 v19, 0x80000000, v3
	v_xor_b32_e32 v18, 0x80000000, v2
	ds_write_b64 v6, v[18:19]
; %bb.421:
	s_or_b64 exec, exec, s[14:15]
	s_waitcnt lgkmcnt(0)
	s_barrier
	s_barrier
	s_and_saveexec_b64 s[14:15], s[6:7]
; %bb.422:
	v_lshlrev_b32_e32 v18, 3, v4
	v_lshl_or_b32 v18, v5, 9, v18
	ds_write_b64 v18, v[2:3] offset:19744
; %bb.423:
	s_or_b64 exec, exec, s[14:15]
	s_waitcnt lgkmcnt(0)
	s_barrier
	s_barrier
	s_and_saveexec_b64 s[14:15], vcc
	s_cbranch_execz .LBB157_425
; %bb.424:
	s_mov_b64 s[16:17], 0x3f800000
	v_mov_b32_e32 v2, s16
	v_mov_b32_e32 v3, s17
	s_movk_i32 s16, 0x4800
	v_add_u32_e64 v18, s16, 0
	ds_write2_b64 v18, v[2:3], v[2:3] offset0:36 offset1:101
.LBB157_425:
	s_or_b64 exec, exec, s[14:15]
	v_mov_b32_e32 v3, 0
	v_mov_b32_e32 v2, 0
	s_waitcnt lgkmcnt(0)
	s_barrier
	buffer_wbinvl1_vol
	s_and_saveexec_b64 s[16:17], s[18:19]
	s_cbranch_execz .LBB157_431
; %bb.426:
	v_lshlrev_b32_e32 v18, 3, v9
	v_lshlrev_b32_e32 v19, 9, v10
	ds_read_b64 v[2:3], v18 offset:18688
	ds_read_b64 v[20:21], v19 offset:18720
	v_cmp_gt_u32_e64 s[14:15], 12, v8
	s_waitcnt lgkmcnt(0)
	v_mul_f32_e32 v22, v21, v3
	v_mul_f32_e32 v3, v20, v3
	v_fma_f32 v20, v20, v2, -v22
	v_fmac_f32_e32 v3, v21, v2
	v_add_f32_e32 v2, 0, v20
	v_add_f32_e32 v3, 0, v3
	s_and_saveexec_b64 s[20:21], s[14:15]
	s_cbranch_execnz .LBB157_1010
; %bb.427:
	s_or_b64 exec, exec, s[20:21]
	v_cmp_gt_u32_e64 s[14:15], 8, v8
	s_and_saveexec_b64 s[20:21], s[14:15]
	s_cbranch_execnz .LBB157_1011
.LBB157_428:
	s_or_b64 exec, exec, s[20:21]
	v_cmp_gt_u32_e64 s[14:15], 4, v8
	s_and_saveexec_b64 s[20:21], s[14:15]
	s_cbranch_execz .LBB157_430
.LBB157_429:
	v_lshlrev_b32_e32 v18, 3, v0
	v_mov_b32_e32 v20, 0
	ds_read_b64 v[18:19], v18 offset:20224
	ds_read_b64 v[20:21], v20 offset:20280
	s_waitcnt lgkmcnt(0)
	v_mul_f32_e32 v22, v21, v19
	v_mul_f32_e32 v19, v20, v19
	v_fma_f32 v20, v20, v18, -v22
	v_fmac_f32_e32 v19, v21, v18
	v_add_f32_e32 v2, v2, v20
	v_add_f32_e32 v3, v3, v19
.LBB157_430:
	s_or_b64 exec, exec, s[20:21]
.LBB157_431:
	s_or_b64 exec, exec, s[16:17]
	s_and_saveexec_b64 s[14:15], s[46:47]
; %bb.432:
	v_xor_b32_e32 v18, 0x80000000, v2
	v_xor_b32_e32 v19, 0x80000000, v3
	ds_write_b64 v11, v[18:19]
; %bb.433:
	s_or_b64 exec, exec, s[14:15]
	s_waitcnt lgkmcnt(0)
	s_barrier
	s_and_saveexec_b64 s[14:15], s[48:49]
	s_cbranch_execz .LBB157_435
; %bb.434:
	v_lshlrev_b32_e32 v18, 3, v9
	ds_read_b64 v[18:19], v18 offset:18176
	ds_read_b64 v[20:21], v11
	s_waitcnt lgkmcnt(0)
	v_mul_f32_e32 v22, v21, v19
	v_mul_f32_e32 v19, v20, v19
	v_fma_f32 v20, v20, v18, -v22
	v_fmac_f32_e32 v19, v21, v18
	v_sub_f32_e32 v2, v2, v20
	v_sub_f32_e32 v3, v3, v19
.LBB157_435:
	s_or_b64 exec, exec, s[14:15]
	s_barrier
	s_and_saveexec_b64 s[14:15], s[50:51]
; %bb.436:
	v_xor_b32_e32 v18, 0x80000000, v2
	v_xor_b32_e32 v19, 0x80000000, v3
	ds_write_b64 v11, v[18:19]
; %bb.437:
	s_or_b64 exec, exec, s[14:15]
	s_waitcnt lgkmcnt(0)
	s_barrier
	s_and_saveexec_b64 s[14:15], s[52:53]
	s_cbranch_execz .LBB157_439
; %bb.438:
	v_lshlrev_b32_e32 v18, 3, v9
	ds_read_b64 v[18:19], v18 offset:17664
	ds_read_b64 v[20:21], v11
	s_waitcnt lgkmcnt(0)
	v_mul_f32_e32 v22, v21, v19
	v_mul_f32_e32 v19, v20, v19
	v_fma_f32 v20, v20, v18, -v22
	v_fmac_f32_e32 v19, v21, v18
	v_sub_f32_e32 v2, v2, v20
	v_sub_f32_e32 v3, v3, v19
.LBB157_439:
	s_or_b64 exec, exec, s[14:15]
	s_barrier
	s_and_saveexec_b64 s[14:15], s[54:55]
; %bb.440:
	v_xor_b32_e32 v18, 0x80000000, v2
	v_xor_b32_e32 v19, 0x80000000, v3
	ds_write_b64 v11, v[18:19]
; %bb.441:
	s_or_b64 exec, exec, s[14:15]
	s_waitcnt lgkmcnt(0)
	s_barrier
	s_and_saveexec_b64 s[14:15], s[44:45]
	s_cbranch_execz .LBB157_443
; %bb.442:
	v_mov_b32_e32 v18, 0
	ds_read_b64 v[18:19], v18 offset:17152
	ds_read_b64 v[20:21], v11
	s_waitcnt lgkmcnt(0)
	v_mul_f32_e32 v22, v21, v19
	v_mul_f32_e32 v19, v20, v19
	v_fma_f32 v20, v20, v18, -v22
	v_fmac_f32_e32 v19, v21, v18
	v_sub_f32_e32 v2, v2, v20
	v_sub_f32_e32 v3, v3, v19
.LBB157_443:
	s_or_b64 exec, exec, s[14:15]
	s_barrier
	s_and_saveexec_b64 s[14:15], s[44:45]
; %bb.444:
	v_xor_b32_e32 v18, 0x80000000, v2
	v_xor_b32_e32 v19, 0x80000000, v3
	ds_write_b64 v11, v[18:19]
; %bb.445:
	s_or_b64 exec, exec, s[14:15]
	s_waitcnt lgkmcnt(0)
	s_barrier
	s_barrier
	s_and_saveexec_b64 s[14:15], s[18:19]
; %bb.446:
	v_lshlrev_b32_e32 v18, 3, v9
	v_lshl_or_b32 v18, v10, 9, v18
	ds_write_b64 v18, v[2:3] offset:18688
; %bb.447:
	s_or_b64 exec, exec, s[14:15]
	s_waitcnt lgkmcnt(0)
	s_barrier
	s_barrier
	s_and_saveexec_b64 s[14:15], vcc
	s_cbranch_execz .LBB157_449
; %bb.448:
	s_mov_b64 s[16:17], 0x3f800000
	v_mov_b32_e32 v2, s16
	v_mov_b32_e32 v3, s17
	s_movk_i32 s16, 0x4000
	v_add_u32_e64 v18, s16, 0
	ds_write2_b64 v18, v[2:3], v[2:3] offset0:162 offset1:227
.LBB157_449:
	s_or_b64 exec, exec, s[14:15]
	v_mov_b32_e32 v2, 0
	v_mov_b32_e32 v3, 0
	s_waitcnt lgkmcnt(0)
	s_barrier
	buffer_wbinvl1_vol
	s_and_saveexec_b64 s[16:17], s[6:7]
	s_cbranch_execz .LBB157_453
; %bb.450:
	v_lshlrev_b32_e32 v2, 3, v4
	v_lshlrev_b32_e32 v18, 9, v5
	ds_read_b64 v[2:3], v2 offset:17664
	ds_read_b64 v[18:19], v18 offset:17680
	v_cmp_gt_u32_e64 s[14:15], 2, v8
	s_waitcnt lgkmcnt(0)
	v_mul_f32_e32 v20, v19, v3
	v_mul_f32_e32 v3, v18, v3
	v_fma_f32 v18, v18, v2, -v20
	v_fmac_f32_e32 v3, v19, v2
	v_add_f32_e32 v2, 0, v18
	v_add_f32_e32 v3, 0, v3
	s_and_saveexec_b64 s[20:21], s[14:15]
	s_cbranch_execz .LBB157_452
; %bb.451:
	v_lshlrev_b32_e32 v18, 3, v0
	v_mov_b32_e32 v20, 0
	ds_read_b64 v[18:19], v18 offset:18176
	ds_read_b64 v[20:21], v20 offset:18200
	s_waitcnt lgkmcnt(0)
	v_mul_f32_e32 v22, v21, v19
	v_mul_f32_e32 v19, v20, v19
	v_fma_f32 v20, v20, v18, -v22
	v_fmac_f32_e32 v19, v21, v18
	v_add_f32_e32 v2, v2, v20
	v_add_f32_e32 v3, v3, v19
.LBB157_452:
	s_or_b64 exec, exec, s[20:21]
.LBB157_453:
	s_or_b64 exec, exec, s[16:17]
	s_and_saveexec_b64 s[14:15], s[42:43]
; %bb.454:
	v_xor_b32_e32 v19, 0x80000000, v3
	v_xor_b32_e32 v18, 0x80000000, v2
	ds_write_b64 v6, v[18:19]
; %bb.455:
	s_or_b64 exec, exec, s[14:15]
	s_waitcnt lgkmcnt(0)
	s_barrier
	s_and_saveexec_b64 s[14:15], s[40:41]
	s_cbranch_execz .LBB157_457
; %bb.456:
	v_mov_b32_e32 v18, 0
	ds_read_b64 v[18:19], v18 offset:17152
	ds_read_b64 v[20:21], v6
	s_waitcnt lgkmcnt(0)
	v_mul_f32_e32 v22, v20, v18
	v_mul_f32_e32 v20, v20, v19
	v_fmac_f32_e32 v20, v21, v18
	v_fma_f32 v18, v21, v19, -v22
	v_add_f32_e32 v2, v2, v18
	v_sub_f32_e32 v3, v3, v20
.LBB157_457:
	s_or_b64 exec, exec, s[14:15]
	s_barrier
	s_and_saveexec_b64 s[14:15], s[40:41]
; %bb.458:
	v_xor_b32_e32 v19, 0x80000000, v3
	v_xor_b32_e32 v18, 0x80000000, v2
	ds_write_b64 v6, v[18:19]
; %bb.459:
	s_or_b64 exec, exec, s[14:15]
	s_waitcnt lgkmcnt(0)
	s_barrier
	s_barrier
	s_and_saveexec_b64 s[14:15], s[6:7]
; %bb.460:
	v_lshlrev_b32_e32 v18, 3, v4
	v_lshl_or_b32 v18, v5, 9, v18
	ds_write_b64 v18, v[2:3] offset:17664
; %bb.461:
	s_or_b64 exec, exec, s[14:15]
	s_waitcnt lgkmcnt(0)
	s_barrier
	s_barrier
	s_and_saveexec_b64 s[14:15], vcc
	s_cbranch_execz .LBB157_463
; %bb.462:
	s_mov_b64 s[16:17], 0x3f800000
	v_mov_b32_e32 v2, s16
	v_mov_b32_e32 v3, s17
	s_movk_i32 s16, 0x4000
	v_add_u32_e64 v18, s16, 0
	ds_write2_b64 v18, v[2:3], v[2:3] offset0:32 offset1:97
.LBB157_463:
	s_or_b64 exec, exec, s[14:15]
	s_movk_i32 s14, 0x3ff
	v_lshrrev_b32_e32 v20, 5, v8
	v_cmp_lt_u32_e64 s[16:17], s14, v8
	s_movk_i32 s14, 0x400
	v_and_b32_e32 v18, 31, v0
	v_sub_u32_e32 v19, 31, v20
	v_cmp_gt_u32_e64 s[14:15], s14, v8
	v_mov_b32_e32 v3, 0
	v_mov_b32_e32 v2, 0
	s_waitcnt lgkmcnt(0)
	s_barrier
	buffer_wbinvl1_vol
	s_and_saveexec_b64 s[92:93], s[14:15]
	s_cbranch_execz .LBB157_525
; %bb.464:
	v_lshlrev_b32_e32 v21, 3, v18
	v_lshlrev_b32_e32 v22, 9, v19
	ds_read_b64 v[2:3], v21 offset:16384
	ds_read_b64 v[23:24], v22 offset:16640
	s_movk_i32 s20, 0x3e0
	v_cmp_gt_u32_e64 s[20:21], s20, v8
	s_waitcnt lgkmcnt(0)
	v_mul_f32_e32 v25, v24, v3
	v_mul_f32_e32 v3, v23, v3
	v_fma_f32 v23, v23, v2, -v25
	v_fmac_f32_e32 v3, v24, v2
	v_add_f32_e32 v2, 0, v23
	v_add_f32_e32 v3, 0, v3
	s_and_saveexec_b64 s[94:95], s[20:21]
	s_cbranch_execz .LBB157_466
; %bb.465:
	ds_read_b64 v[23:24], v21 offset:16896
	ds_read_b64 v[25:26], v22 offset:16648
	s_waitcnt lgkmcnt(0)
	v_mul_f32_e32 v27, v26, v24
	v_mul_f32_e32 v24, v25, v24
	v_fma_f32 v25, v25, v23, -v27
	v_fmac_f32_e32 v24, v26, v23
	v_add_f32_e32 v2, v2, v25
	v_add_f32_e32 v3, v3, v24
.LBB157_466:
	s_or_b64 exec, exec, s[94:95]
	s_movk_i32 s20, 0x3c0
	v_cmp_gt_u32_e64 s[20:21], s20, v8
	s_and_saveexec_b64 s[94:95], s[20:21]
	s_cbranch_execz .LBB157_468
; %bb.467:
	ds_read_b64 v[23:24], v21 offset:17408
	ds_read_b64 v[25:26], v22 offset:16656
	s_waitcnt lgkmcnt(0)
	v_mul_f32_e32 v27, v26, v24
	v_mul_f32_e32 v24, v25, v24
	v_fma_f32 v25, v25, v23, -v27
	v_fmac_f32_e32 v24, v26, v23
	v_add_f32_e32 v2, v2, v25
	v_add_f32_e32 v3, v3, v24
.LBB157_468:
	s_or_b64 exec, exec, s[94:95]
	s_movk_i32 s20, 0x3a0
	v_cmp_gt_u32_e64 s[20:21], s20, v8
	;; [unrolled: 16-line block ×22, first 2 shown]
	s_and_saveexec_b64 s[94:95], s[20:21]
	s_cbranch_execz .LBB157_510
; %bb.509:
	ds_read_b64 v[23:24], v21 offset:28160
	ds_read_b64 v[25:26], v22 offset:16824
	s_waitcnt lgkmcnt(0)
	v_mul_f32_e32 v27, v26, v24
	v_mul_f32_e32 v24, v25, v24
	v_fma_f32 v25, v25, v23, -v27
	v_fmac_f32_e32 v24, v26, v23
	v_add_f32_e32 v2, v2, v25
	v_add_f32_e32 v3, v3, v24
.LBB157_510:
	s_or_b64 exec, exec, s[94:95]
	s_and_saveexec_b64 s[20:21], s[12:13]
	s_cbranch_execz .LBB157_512
; %bb.511:
	ds_read_b64 v[23:24], v21 offset:28672
	ds_read_b64 v[25:26], v22 offset:16832
	s_waitcnt lgkmcnt(0)
	v_mul_f32_e32 v27, v26, v24
	v_mul_f32_e32 v24, v25, v24
	v_fma_f32 v25, v25, v23, -v27
	v_fmac_f32_e32 v24, v26, v23
	v_add_f32_e32 v2, v2, v25
	v_add_f32_e32 v3, v3, v24
.LBB157_512:
	s_or_b64 exec, exec, s[20:21]
	s_movk_i32 s20, 0xe0
	v_cmp_gt_u32_e64 s[20:21], s20, v8
	s_and_saveexec_b64 s[94:95], s[20:21]
	s_cbranch_execz .LBB157_514
; %bb.513:
	ds_read_b64 v[23:24], v21 offset:29184
	ds_read_b64 v[25:26], v22 offset:16840
	s_waitcnt lgkmcnt(0)
	v_mul_f32_e32 v27, v26, v24
	v_mul_f32_e32 v24, v25, v24
	v_fma_f32 v25, v25, v23, -v27
	v_fmac_f32_e32 v24, v26, v23
	v_add_f32_e32 v2, v2, v25
	v_add_f32_e32 v3, v3, v24
.LBB157_514:
	s_or_b64 exec, exec, s[94:95]
	s_movk_i32 s20, 0xc0
	v_cmp_gt_u32_e64 s[20:21], s20, v8
	;; [unrolled: 16-line block ×5, first 2 shown]
	s_and_saveexec_b64 s[94:95], s[20:21]
	s_cbranch_execnz .LBB157_1012
; %bb.521:
	s_or_b64 exec, exec, s[94:95]
	s_and_saveexec_b64 s[20:21], s[10:11]
	s_cbranch_execnz .LBB157_1013
.LBB157_522:
	s_or_b64 exec, exec, s[20:21]
	v_cmp_gt_u32_e64 s[20:21], 32, v8
	s_and_saveexec_b64 s[94:95], s[20:21]
	s_cbranch_execz .LBB157_524
.LBB157_523:
	ds_read_b64 v[23:24], v21 offset:32256
	ds_read_b64 v[21:22], v22 offset:16888
	s_waitcnt lgkmcnt(0)
	v_mul_f32_e32 v25, v22, v24
	v_mul_f32_e32 v24, v21, v24
	v_fma_f32 v21, v21, v23, -v25
	v_fmac_f32_e32 v24, v22, v23
	v_add_f32_e32 v2, v2, v21
	v_add_f32_e32 v3, v3, v24
.LBB157_524:
	s_or_b64 exec, exec, s[94:95]
.LBB157_525:
	s_or_b64 exec, exec, s[92:93]
	v_mov_b32_e32 v21, 0x8000
	v_lshl_add_u32 v20, v20, 3, v21
	v_mov_b32_e32 v21, 0x3c00
	v_lshl_or_b32 v21, v18, 3, v21
	s_mov_b32 s92, 31
	v_subrev_u32_e32 v22, 31, v18
	s_xor_b64 s[20:21], s[16:17], -1
	s_branch .LBB157_527
.LBB157_526:                            ;   in Loop: Header=BB157_527 Depth=1
	s_or_b64 exec, exec, s[16:17]
	s_add_i32 s92, s92, -2
	v_add_u32_e32 v21, 0xfffffc00, v21
	s_cmp_eq_u32 s93, 0
	v_add_u32_e32 v22, 2, v22
	s_barrier
	s_cbranch_scc1 .LBB157_535
.LBB157_527:                            ; =>This Inner Loop Header: Depth=1
	v_cmp_eq_u32_e64 s[16:17], 0, v22
	s_and_b64 s[94:95], s[20:21], s[16:17]
	s_and_saveexec_b64 s[16:17], s[94:95]
; %bb.528:                              ;   in Loop: Header=BB157_527 Depth=1
	v_xor_b32_e32 v24, 0x80000000, v3
	v_xor_b32_e32 v23, 0x80000000, v2
	ds_write_b64 v20, v[23:24]
; %bb.529:                              ;   in Loop: Header=BB157_527 Depth=1
	s_or_b64 exec, exec, s[16:17]
	v_cmp_gt_u32_e64 s[16:17], s92, v18
	s_and_b64 s[94:95], s[20:21], s[16:17]
	s_waitcnt lgkmcnt(0)
	s_barrier
	s_and_saveexec_b64 s[16:17], s[94:95]
	s_cbranch_execz .LBB157_531
; %bb.530:                              ;   in Loop: Header=BB157_527 Depth=1
	ds_read_b64 v[23:24], v21 offset:512
	ds_read_b64 v[25:26], v20
	s_waitcnt lgkmcnt(0)
	v_mul_f32_e32 v27, v26, v24
	v_mul_f32_e32 v24, v25, v24
	v_fma_f32 v25, v25, v23, -v27
	v_fmac_f32_e32 v24, v26, v23
	v_sub_f32_e32 v2, v2, v25
	v_sub_f32_e32 v3, v3, v24
.LBB157_531:                            ;   in Loop: Header=BB157_527 Depth=1
	s_or_b64 exec, exec, s[16:17]
	s_add_i32 s93, s92, -1
	v_cmp_eq_u32_e64 s[16:17], s93, v18
	s_and_b64 s[94:95], s[20:21], s[16:17]
	s_barrier
	s_and_saveexec_b64 s[16:17], s[94:95]
; %bb.532:                              ;   in Loop: Header=BB157_527 Depth=1
	v_xor_b32_e32 v24, 0x80000000, v3
	v_xor_b32_e32 v23, 0x80000000, v2
	ds_write_b64 v20, v[23:24]
; %bb.533:                              ;   in Loop: Header=BB157_527 Depth=1
	s_or_b64 exec, exec, s[16:17]
	v_cmp_gt_u32_e64 s[16:17], s93, v18
	s_and_b64 s[94:95], s[20:21], s[16:17]
	s_waitcnt lgkmcnt(0)
	s_barrier
	s_and_saveexec_b64 s[16:17], s[94:95]
	s_cbranch_execz .LBB157_526
; %bb.534:                              ;   in Loop: Header=BB157_527 Depth=1
	ds_read_b64 v[23:24], v21
	ds_read_b64 v[25:26], v20
	s_waitcnt lgkmcnt(0)
	v_mul_f32_e32 v27, v26, v24
	v_mul_f32_e32 v24, v25, v24
	v_fma_f32 v25, v25, v23, -v27
	v_fmac_f32_e32 v24, v26, v23
	v_sub_f32_e32 v2, v2, v25
	v_sub_f32_e32 v3, v3, v24
	s_branch .LBB157_526
.LBB157_535:
	s_and_saveexec_b64 s[16:17], s[14:15]
; %bb.536:
	v_lshlrev_b32_e32 v18, 3, v18
	v_lshl_or_b32 v18, v19, 9, v18
	ds_write_b64 v18, v[2:3] offset:16384
; %bb.537:
	s_or_b64 exec, exec, s[16:17]
	s_waitcnt lgkmcnt(0)
	s_barrier
	s_barrier
	s_and_saveexec_b64 s[14:15], vcc
	s_cbranch_execz .LBB157_539
; %bb.538:
	s_mov_b64 s[16:17], 0x3f800000
	v_mov_b32_e32 v2, s16
	v_mov_b32_e32 v3, s17
	s_movk_i32 s16, 0x3800
	v_add_u32_e64 v18, s16, 0
	ds_write2_b64 v18, v[2:3], v[2:3] offset0:158 offset1:223
.LBB157_539:
	s_or_b64 exec, exec, s[14:15]
	v_mov_b32_e32 v2, 0
	v_mov_b32_e32 v3, 0
	s_waitcnt lgkmcnt(0)
	s_barrier
	buffer_wbinvl1_vol
	s_and_saveexec_b64 s[16:17], s[6:7]
	s_cbranch_execz .LBB157_543
; %bb.540:
	v_lshlrev_b32_e32 v2, 3, v4
	v_lshlrev_b32_e32 v18, 9, v5
	ds_read_b64 v[2:3], v2 offset:15584
	ds_read_b64 v[18:19], v18 offset:15600
	v_cmp_gt_u32_e64 s[14:15], 2, v8
	s_waitcnt lgkmcnt(0)
	v_mul_f32_e32 v20, v19, v3
	v_mul_f32_e32 v3, v18, v3
	v_fma_f32 v18, v18, v2, -v20
	v_fmac_f32_e32 v3, v19, v2
	v_add_f32_e32 v2, 0, v18
	v_add_f32_e32 v3, 0, v3
	s_and_saveexec_b64 s[20:21], s[14:15]
	s_cbranch_execz .LBB157_542
; %bb.541:
	v_lshlrev_b32_e32 v18, 3, v0
	v_mov_b32_e32 v20, 0
	ds_read_b64 v[18:19], v18 offset:16096
	ds_read_b64 v[20:21], v20 offset:16120
	s_waitcnt lgkmcnt(0)
	v_mul_f32_e32 v22, v21, v19
	v_mul_f32_e32 v19, v20, v19
	v_fma_f32 v20, v20, v18, -v22
	v_fmac_f32_e32 v19, v21, v18
	v_add_f32_e32 v2, v2, v20
	v_add_f32_e32 v3, v3, v19
.LBB157_542:
	s_or_b64 exec, exec, s[20:21]
.LBB157_543:
	s_or_b64 exec, exec, s[16:17]
	s_and_saveexec_b64 s[14:15], s[42:43]
; %bb.544:
	v_xor_b32_e32 v19, 0x80000000, v3
	v_xor_b32_e32 v18, 0x80000000, v2
	ds_write_b64 v6, v[18:19]
; %bb.545:
	s_or_b64 exec, exec, s[14:15]
	s_waitcnt lgkmcnt(0)
	s_barrier
	s_and_saveexec_b64 s[14:15], s[40:41]
	s_cbranch_execz .LBB157_547
; %bb.546:
	v_mov_b32_e32 v18, 0
	ds_read_b64 v[18:19], v18 offset:15072
	ds_read_b64 v[20:21], v6
	s_waitcnt lgkmcnt(0)
	v_mul_f32_e32 v22, v20, v18
	v_mul_f32_e32 v20, v20, v19
	v_fmac_f32_e32 v20, v21, v18
	v_fma_f32 v18, v21, v19, -v22
	v_add_f32_e32 v2, v2, v18
	v_sub_f32_e32 v3, v3, v20
.LBB157_547:
	s_or_b64 exec, exec, s[14:15]
	s_barrier
	s_and_saveexec_b64 s[14:15], s[40:41]
; %bb.548:
	v_xor_b32_e32 v19, 0x80000000, v3
	v_xor_b32_e32 v18, 0x80000000, v2
	ds_write_b64 v6, v[18:19]
; %bb.549:
	s_or_b64 exec, exec, s[14:15]
	s_waitcnt lgkmcnt(0)
	s_barrier
	s_barrier
	s_and_saveexec_b64 s[14:15], s[6:7]
; %bb.550:
	v_lshlrev_b32_e32 v18, 3, v4
	v_lshl_or_b32 v18, v5, 9, v18
	ds_write_b64 v18, v[2:3] offset:15584
; %bb.551:
	s_or_b64 exec, exec, s[14:15]
	s_waitcnt lgkmcnt(0)
	s_barrier
	s_barrier
	s_and_saveexec_b64 s[14:15], vcc
	s_cbranch_execz .LBB157_553
; %bb.552:
	s_mov_b64 s[16:17], 0x3f800000
	v_mov_b32_e32 v2, s16
	v_mov_b32_e32 v3, s17
	s_movk_i32 s16, 0x3800
	v_add_u32_e64 v18, s16, 0
	ds_write2_b64 v18, v[2:3], v[2:3] offset0:28 offset1:93
.LBB157_553:
	s_or_b64 exec, exec, s[14:15]
	v_mov_b32_e32 v3, 0
	v_mov_b32_e32 v2, 0
	s_waitcnt lgkmcnt(0)
	s_barrier
	buffer_wbinvl1_vol
	s_and_saveexec_b64 s[16:17], s[18:19]
	s_cbranch_execz .LBB157_559
; %bb.554:
	v_lshlrev_b32_e32 v18, 3, v9
	v_lshlrev_b32_e32 v19, 9, v10
	ds_read_b64 v[2:3], v18 offset:14528
	ds_read_b64 v[20:21], v19 offset:14560
	v_cmp_gt_u32_e64 s[14:15], 12, v8
	s_waitcnt lgkmcnt(0)
	v_mul_f32_e32 v22, v21, v3
	v_mul_f32_e32 v3, v20, v3
	v_fma_f32 v20, v20, v2, -v22
	v_fmac_f32_e32 v3, v21, v2
	v_add_f32_e32 v2, 0, v20
	v_add_f32_e32 v3, 0, v3
	s_and_saveexec_b64 s[20:21], s[14:15]
	s_cbranch_execnz .LBB157_1014
; %bb.555:
	s_or_b64 exec, exec, s[20:21]
	v_cmp_gt_u32_e64 s[14:15], 8, v8
	s_and_saveexec_b64 s[20:21], s[14:15]
	s_cbranch_execnz .LBB157_1015
.LBB157_556:
	s_or_b64 exec, exec, s[20:21]
	v_cmp_gt_u32_e64 s[14:15], 4, v8
	s_and_saveexec_b64 s[20:21], s[14:15]
	s_cbranch_execz .LBB157_558
.LBB157_557:
	v_lshlrev_b32_e32 v18, 3, v0
	v_mov_b32_e32 v20, 0
	ds_read_b64 v[18:19], v18 offset:16064
	ds_read_b64 v[20:21], v20 offset:16120
	s_waitcnt lgkmcnt(0)
	v_mul_f32_e32 v22, v21, v19
	v_mul_f32_e32 v19, v20, v19
	v_fma_f32 v20, v20, v18, -v22
	v_fmac_f32_e32 v19, v21, v18
	v_add_f32_e32 v2, v2, v20
	v_add_f32_e32 v3, v3, v19
.LBB157_558:
	s_or_b64 exec, exec, s[20:21]
.LBB157_559:
	s_or_b64 exec, exec, s[16:17]
	s_and_saveexec_b64 s[14:15], s[46:47]
; %bb.560:
	v_xor_b32_e32 v18, 0x80000000, v2
	v_xor_b32_e32 v19, 0x80000000, v3
	ds_write_b64 v11, v[18:19]
; %bb.561:
	s_or_b64 exec, exec, s[14:15]
	s_waitcnt lgkmcnt(0)
	s_barrier
	s_and_saveexec_b64 s[14:15], s[48:49]
	s_cbranch_execz .LBB157_563
; %bb.562:
	v_lshlrev_b32_e32 v18, 3, v9
	ds_read_b64 v[18:19], v18 offset:14016
	ds_read_b64 v[20:21], v11
	s_waitcnt lgkmcnt(0)
	v_mul_f32_e32 v22, v21, v19
	v_mul_f32_e32 v19, v20, v19
	v_fma_f32 v20, v20, v18, -v22
	v_fmac_f32_e32 v19, v21, v18
	v_sub_f32_e32 v2, v2, v20
	v_sub_f32_e32 v3, v3, v19
.LBB157_563:
	s_or_b64 exec, exec, s[14:15]
	s_barrier
	s_and_saveexec_b64 s[14:15], s[50:51]
; %bb.564:
	v_xor_b32_e32 v18, 0x80000000, v2
	v_xor_b32_e32 v19, 0x80000000, v3
	ds_write_b64 v11, v[18:19]
; %bb.565:
	s_or_b64 exec, exec, s[14:15]
	s_waitcnt lgkmcnt(0)
	s_barrier
	s_and_saveexec_b64 s[14:15], s[52:53]
	s_cbranch_execz .LBB157_567
; %bb.566:
	v_lshlrev_b32_e32 v18, 3, v9
	ds_read_b64 v[18:19], v18 offset:13504
	ds_read_b64 v[20:21], v11
	s_waitcnt lgkmcnt(0)
	v_mul_f32_e32 v22, v21, v19
	v_mul_f32_e32 v19, v20, v19
	v_fma_f32 v20, v20, v18, -v22
	v_fmac_f32_e32 v19, v21, v18
	v_sub_f32_e32 v2, v2, v20
	v_sub_f32_e32 v3, v3, v19
.LBB157_567:
	s_or_b64 exec, exec, s[14:15]
	s_barrier
	s_and_saveexec_b64 s[14:15], s[54:55]
; %bb.568:
	v_xor_b32_e32 v18, 0x80000000, v2
	v_xor_b32_e32 v19, 0x80000000, v3
	ds_write_b64 v11, v[18:19]
; %bb.569:
	s_or_b64 exec, exec, s[14:15]
	s_waitcnt lgkmcnt(0)
	s_barrier
	s_and_saveexec_b64 s[14:15], s[44:45]
	s_cbranch_execz .LBB157_571
; %bb.570:
	v_mov_b32_e32 v18, 0
	ds_read_b64 v[18:19], v18 offset:12992
	ds_read_b64 v[20:21], v11
	s_waitcnt lgkmcnt(0)
	v_mul_f32_e32 v22, v21, v19
	v_mul_f32_e32 v19, v20, v19
	v_fma_f32 v20, v20, v18, -v22
	v_fmac_f32_e32 v19, v21, v18
	v_sub_f32_e32 v2, v2, v20
	v_sub_f32_e32 v3, v3, v19
.LBB157_571:
	s_or_b64 exec, exec, s[14:15]
	s_barrier
	s_and_saveexec_b64 s[14:15], s[44:45]
; %bb.572:
	v_xor_b32_e32 v18, 0x80000000, v2
	v_xor_b32_e32 v19, 0x80000000, v3
	ds_write_b64 v11, v[18:19]
; %bb.573:
	s_or_b64 exec, exec, s[14:15]
	s_waitcnt lgkmcnt(0)
	s_barrier
	s_barrier
	s_and_saveexec_b64 s[14:15], s[18:19]
; %bb.574:
	v_lshlrev_b32_e32 v18, 3, v9
	v_lshl_or_b32 v18, v10, 9, v18
	ds_write_b64 v18, v[2:3] offset:14528
; %bb.575:
	s_or_b64 exec, exec, s[14:15]
	s_waitcnt lgkmcnt(0)
	s_barrier
	s_barrier
	s_and_saveexec_b64 s[14:15], vcc
	s_cbranch_execz .LBB157_577
; %bb.576:
	s_mov_b64 s[16:17], 0x3f800000
	v_mov_b32_e32 v2, s16
	v_mov_b32_e32 v3, s17
	s_movk_i32 s16, 0x3000
	v_add_u32_e64 v18, s16, 0
	ds_write2_b64 v18, v[2:3], v[2:3] offset0:154 offset1:219
.LBB157_577:
	s_or_b64 exec, exec, s[14:15]
	v_mov_b32_e32 v2, 0
	v_mov_b32_e32 v3, 0
	s_waitcnt lgkmcnt(0)
	s_barrier
	buffer_wbinvl1_vol
	s_and_saveexec_b64 s[16:17], s[6:7]
	s_cbranch_execz .LBB157_581
; %bb.578:
	v_lshlrev_b32_e32 v2, 3, v4
	v_lshlrev_b32_e32 v18, 9, v5
	ds_read_b64 v[2:3], v2 offset:13504
	ds_read_b64 v[18:19], v18 offset:13520
	v_cmp_gt_u32_e64 s[14:15], 2, v8
	s_waitcnt lgkmcnt(0)
	v_mul_f32_e32 v20, v19, v3
	v_mul_f32_e32 v3, v18, v3
	v_fma_f32 v18, v18, v2, -v20
	v_fmac_f32_e32 v3, v19, v2
	v_add_f32_e32 v2, 0, v18
	v_add_f32_e32 v3, 0, v3
	s_and_saveexec_b64 s[20:21], s[14:15]
	s_cbranch_execz .LBB157_580
; %bb.579:
	v_lshlrev_b32_e32 v18, 3, v0
	v_mov_b32_e32 v20, 0
	ds_read_b64 v[18:19], v18 offset:14016
	ds_read_b64 v[20:21], v20 offset:14040
	s_waitcnt lgkmcnt(0)
	v_mul_f32_e32 v22, v21, v19
	v_mul_f32_e32 v19, v20, v19
	v_fma_f32 v20, v20, v18, -v22
	v_fmac_f32_e32 v19, v21, v18
	v_add_f32_e32 v2, v2, v20
	v_add_f32_e32 v3, v3, v19
.LBB157_580:
	s_or_b64 exec, exec, s[20:21]
.LBB157_581:
	s_or_b64 exec, exec, s[16:17]
	s_and_saveexec_b64 s[14:15], s[42:43]
; %bb.582:
	v_xor_b32_e32 v19, 0x80000000, v3
	v_xor_b32_e32 v18, 0x80000000, v2
	ds_write_b64 v6, v[18:19]
; %bb.583:
	s_or_b64 exec, exec, s[14:15]
	s_waitcnt lgkmcnt(0)
	s_barrier
	s_and_saveexec_b64 s[14:15], s[40:41]
	s_cbranch_execz .LBB157_585
; %bb.584:
	v_mov_b32_e32 v18, 0
	ds_read_b64 v[18:19], v18 offset:12992
	ds_read_b64 v[20:21], v6
	s_waitcnt lgkmcnt(0)
	v_mul_f32_e32 v22, v20, v18
	v_mul_f32_e32 v20, v20, v19
	v_fmac_f32_e32 v20, v21, v18
	v_fma_f32 v18, v21, v19, -v22
	v_add_f32_e32 v2, v2, v18
	v_sub_f32_e32 v3, v3, v20
.LBB157_585:
	s_or_b64 exec, exec, s[14:15]
	s_barrier
	s_and_saveexec_b64 s[14:15], s[40:41]
; %bb.586:
	v_xor_b32_e32 v19, 0x80000000, v3
	v_xor_b32_e32 v18, 0x80000000, v2
	ds_write_b64 v6, v[18:19]
; %bb.587:
	s_or_b64 exec, exec, s[14:15]
	s_waitcnt lgkmcnt(0)
	s_barrier
	s_barrier
	s_and_saveexec_b64 s[14:15], s[6:7]
; %bb.588:
	v_lshlrev_b32_e32 v18, 3, v4
	v_lshl_or_b32 v18, v5, 9, v18
	ds_write_b64 v18, v[2:3] offset:13504
; %bb.589:
	s_or_b64 exec, exec, s[14:15]
	s_waitcnt lgkmcnt(0)
	s_barrier
	s_barrier
	s_and_saveexec_b64 s[14:15], vcc
	s_cbranch_execz .LBB157_591
; %bb.590:
	s_mov_b64 s[16:17], 0x3f800000
	v_mov_b32_e32 v2, s16
	v_mov_b32_e32 v3, s17
	s_movk_i32 s16, 0x3000
	v_add_u32_e64 v18, s16, 0
	ds_write2_b64 v18, v[2:3], v[2:3] offset0:24 offset1:89
.LBB157_591:
	s_or_b64 exec, exec, s[14:15]
	v_mov_b32_e32 v3, 0
	v_mov_b32_e32 v2, 0
	s_waitcnt lgkmcnt(0)
	s_barrier
	buffer_wbinvl1_vol
	s_and_saveexec_b64 s[16:17], s[10:11]
	s_cbranch_execz .LBB157_601
; %bb.592:
	v_lshlrev_b32_e32 v18, 3, v12
	v_lshlrev_b32_e32 v19, 9, v13
	ds_read_b64 v[2:3], v18 offset:12416
	ds_read_b64 v[20:21], v19 offset:12480
	v_cmp_gt_u32_e64 s[14:15], 56, v8
	s_waitcnt lgkmcnt(0)
	v_mul_f32_e32 v22, v21, v3
	v_mul_f32_e32 v3, v20, v3
	v_fma_f32 v20, v20, v2, -v22
	v_fmac_f32_e32 v3, v21, v2
	v_add_f32_e32 v2, 0, v20
	v_add_f32_e32 v3, 0, v3
	s_and_saveexec_b64 s[20:21], s[14:15]
	s_cbranch_execnz .LBB157_1016
; %bb.593:
	s_or_b64 exec, exec, s[20:21]
	v_cmp_gt_u32_e64 s[14:15], 48, v8
	s_and_saveexec_b64 s[20:21], s[14:15]
	s_cbranch_execnz .LBB157_1017
.LBB157_594:
	s_or_b64 exec, exec, s[20:21]
	v_cmp_gt_u32_e64 s[14:15], 40, v8
	s_and_saveexec_b64 s[20:21], s[14:15]
	s_cbranch_execnz .LBB157_1018
.LBB157_595:
	s_or_b64 exec, exec, s[20:21]
	v_cmp_gt_u32_e64 s[14:15], 32, v8
	s_and_saveexec_b64 s[20:21], s[14:15]
	s_cbranch_execnz .LBB157_1019
.LBB157_596:
	s_or_b64 exec, exec, s[20:21]
	v_cmp_gt_u32_e64 s[14:15], 24, v8
	s_and_saveexec_b64 s[20:21], s[14:15]
	s_cbranch_execnz .LBB157_1020
.LBB157_597:
	s_or_b64 exec, exec, s[20:21]
	s_and_saveexec_b64 s[14:15], s[18:19]
	s_cbranch_execnz .LBB157_1021
.LBB157_598:
	s_or_b64 exec, exec, s[14:15]
	v_cmp_gt_u32_e64 s[14:15], 8, v8
	s_and_saveexec_b64 s[20:21], s[14:15]
	s_cbranch_execz .LBB157_600
.LBB157_599:
	v_lshlrev_b32_e32 v18, 3, v0
	v_mov_b32_e32 v20, 0
	ds_read_b64 v[18:19], v18 offset:16000
	ds_read_b64 v[20:21], v20 offset:16120
	s_waitcnt lgkmcnt(0)
	v_mul_f32_e32 v22, v21, v19
	v_mul_f32_e32 v19, v20, v19
	v_fma_f32 v20, v20, v18, -v22
	v_fmac_f32_e32 v19, v21, v18
	v_add_f32_e32 v2, v2, v20
	v_add_f32_e32 v3, v3, v19
.LBB157_600:
	s_or_b64 exec, exec, s[20:21]
.LBB157_601:
	s_or_b64 exec, exec, s[16:17]
	s_and_saveexec_b64 s[14:15], s[58:59]
; %bb.602:
	v_xor_b32_e32 v19, 0x80000000, v3
	v_xor_b32_e32 v18, 0x80000000, v2
	ds_write_b64 v14, v[18:19]
; %bb.603:
	s_or_b64 exec, exec, s[14:15]
	s_waitcnt lgkmcnt(0)
	s_barrier
	s_and_saveexec_b64 s[14:15], s[60:61]
	s_cbranch_execz .LBB157_605
; %bb.604:
	v_lshlrev_b32_e32 v18, 3, v12
	ds_read_b64 v[18:19], v18 offset:11904
	ds_read_b64 v[20:21], v14
	s_waitcnt lgkmcnt(0)
	v_mul_f32_e32 v22, v21, v19
	v_mul_f32_e32 v19, v20, v19
	v_fma_f32 v20, v20, v18, -v22
	v_fmac_f32_e32 v19, v21, v18
	v_sub_f32_e32 v2, v2, v20
	v_sub_f32_e32 v3, v3, v19
.LBB157_605:
	s_or_b64 exec, exec, s[14:15]
	s_barrier
	s_and_saveexec_b64 s[14:15], s[62:63]
; %bb.606:
	v_xor_b32_e32 v19, 0x80000000, v3
	v_xor_b32_e32 v18, 0x80000000, v2
	ds_write_b64 v14, v[18:19]
; %bb.607:
	s_or_b64 exec, exec, s[14:15]
	s_waitcnt lgkmcnt(0)
	s_barrier
	s_and_saveexec_b64 s[14:15], s[64:65]
	s_cbranch_execz .LBB157_609
; %bb.608:
	v_lshlrev_b32_e32 v18, 3, v12
	ds_read_b64 v[18:19], v18 offset:11392
	ds_read_b64 v[20:21], v14
	s_waitcnt lgkmcnt(0)
	v_mul_f32_e32 v22, v21, v19
	v_mul_f32_e32 v19, v20, v19
	v_fma_f32 v20, v20, v18, -v22
	v_fmac_f32_e32 v19, v21, v18
	v_sub_f32_e32 v2, v2, v20
	v_sub_f32_e32 v3, v3, v19
.LBB157_609:
	s_or_b64 exec, exec, s[14:15]
	s_barrier
	;; [unrolled: 25-line block ×6, first 2 shown]
	s_and_saveexec_b64 s[14:15], s[82:83]
; %bb.626:
	v_xor_b32_e32 v19, 0x80000000, v3
	v_xor_b32_e32 v18, 0x80000000, v2
	ds_write_b64 v14, v[18:19]
; %bb.627:
	s_or_b64 exec, exec, s[14:15]
	s_waitcnt lgkmcnt(0)
	s_barrier
	s_and_saveexec_b64 s[14:15], s[56:57]
	s_cbranch_execz .LBB157_629
; %bb.628:
	v_mov_b32_e32 v18, 0
	ds_read_b64 v[18:19], v18 offset:8832
	ds_read_b64 v[20:21], v14
	s_waitcnt lgkmcnt(0)
	v_mul_f32_e32 v22, v21, v19
	v_mul_f32_e32 v19, v20, v19
	v_fma_f32 v20, v20, v18, -v22
	v_fmac_f32_e32 v19, v21, v18
	v_sub_f32_e32 v2, v2, v20
	v_sub_f32_e32 v3, v3, v19
.LBB157_629:
	s_or_b64 exec, exec, s[14:15]
	s_barrier
	s_and_saveexec_b64 s[14:15], s[56:57]
; %bb.630:
	v_xor_b32_e32 v19, 0x80000000, v3
	v_xor_b32_e32 v18, 0x80000000, v2
	ds_write_b64 v14, v[18:19]
; %bb.631:
	s_or_b64 exec, exec, s[14:15]
	s_waitcnt lgkmcnt(0)
	s_barrier
	s_barrier
	s_and_saveexec_b64 s[14:15], s[10:11]
; %bb.632:
	v_lshlrev_b32_e32 v18, 3, v12
	v_lshl_or_b32 v18, v13, 9, v18
	ds_write_b64 v18, v[2:3] offset:12416
; %bb.633:
	s_or_b64 exec, exec, s[14:15]
	s_waitcnt lgkmcnt(0)
	s_barrier
	s_barrier
	s_and_saveexec_b64 s[14:15], vcc
	s_cbranch_execz .LBB157_635
; %bb.634:
	s_mov_b64 s[16:17], 0x3f800000
	v_mov_b32_e32 v2, s16
	v_mov_b32_e32 v3, s17
	s_movk_i32 s16, 0x2800
	v_add_u32_e64 v18, s16, 0
	ds_write2_b64 v18, v[2:3], v[2:3] offset0:150 offset1:215
.LBB157_635:
	s_or_b64 exec, exec, s[14:15]
	v_mov_b32_e32 v2, 0
	v_mov_b32_e32 v3, 0
	s_waitcnt lgkmcnt(0)
	s_barrier
	buffer_wbinvl1_vol
	s_and_saveexec_b64 s[16:17], s[6:7]
	s_cbranch_execz .LBB157_639
; %bb.636:
	v_lshlrev_b32_e32 v2, 3, v4
	v_lshlrev_b32_e32 v18, 9, v5
	ds_read_b64 v[2:3], v2 offset:11424
	ds_read_b64 v[18:19], v18 offset:11440
	v_cmp_gt_u32_e64 s[14:15], 2, v8
	s_waitcnt lgkmcnt(0)
	v_mul_f32_e32 v20, v19, v3
	v_mul_f32_e32 v3, v18, v3
	v_fma_f32 v18, v18, v2, -v20
	v_fmac_f32_e32 v3, v19, v2
	v_add_f32_e32 v2, 0, v18
	v_add_f32_e32 v3, 0, v3
	s_and_saveexec_b64 s[20:21], s[14:15]
	s_cbranch_execz .LBB157_638
; %bb.637:
	v_lshlrev_b32_e32 v18, 3, v0
	v_mov_b32_e32 v20, 0
	ds_read_b64 v[18:19], v18 offset:11936
	ds_read_b64 v[20:21], v20 offset:11960
	s_waitcnt lgkmcnt(0)
	v_mul_f32_e32 v22, v21, v19
	v_mul_f32_e32 v19, v20, v19
	v_fma_f32 v20, v20, v18, -v22
	v_fmac_f32_e32 v19, v21, v18
	v_add_f32_e32 v2, v2, v20
	v_add_f32_e32 v3, v3, v19
.LBB157_638:
	s_or_b64 exec, exec, s[20:21]
.LBB157_639:
	s_or_b64 exec, exec, s[16:17]
	s_and_saveexec_b64 s[14:15], s[42:43]
; %bb.640:
	v_xor_b32_e32 v19, 0x80000000, v3
	v_xor_b32_e32 v18, 0x80000000, v2
	ds_write_b64 v6, v[18:19]
; %bb.641:
	s_or_b64 exec, exec, s[14:15]
	s_waitcnt lgkmcnt(0)
	s_barrier
	s_and_saveexec_b64 s[14:15], s[40:41]
	s_cbranch_execz .LBB157_643
; %bb.642:
	v_mov_b32_e32 v18, 0
	ds_read_b64 v[18:19], v18 offset:10912
	ds_read_b64 v[20:21], v6
	s_waitcnt lgkmcnt(0)
	v_mul_f32_e32 v22, v20, v18
	v_mul_f32_e32 v20, v20, v19
	v_fmac_f32_e32 v20, v21, v18
	v_fma_f32 v18, v21, v19, -v22
	v_add_f32_e32 v2, v2, v18
	v_sub_f32_e32 v3, v3, v20
.LBB157_643:
	s_or_b64 exec, exec, s[14:15]
	s_barrier
	s_and_saveexec_b64 s[14:15], s[40:41]
; %bb.644:
	v_xor_b32_e32 v19, 0x80000000, v3
	v_xor_b32_e32 v18, 0x80000000, v2
	ds_write_b64 v6, v[18:19]
; %bb.645:
	s_or_b64 exec, exec, s[14:15]
	s_waitcnt lgkmcnt(0)
	s_barrier
	s_barrier
	s_and_saveexec_b64 s[14:15], s[6:7]
; %bb.646:
	v_lshlrev_b32_e32 v18, 3, v4
	v_lshl_or_b32 v18, v5, 9, v18
	ds_write_b64 v18, v[2:3] offset:11424
; %bb.647:
	s_or_b64 exec, exec, s[14:15]
	s_waitcnt lgkmcnt(0)
	s_barrier
	s_barrier
	s_and_saveexec_b64 s[14:15], vcc
	s_cbranch_execz .LBB157_649
; %bb.648:
	s_mov_b64 s[16:17], 0x3f800000
	v_mov_b32_e32 v2, s16
	v_mov_b32_e32 v3, s17
	s_movk_i32 s16, 0x2800
	v_add_u32_e64 v18, s16, 0
	ds_write2_b64 v18, v[2:3], v[2:3] offset0:20 offset1:85
.LBB157_649:
	s_or_b64 exec, exec, s[14:15]
	v_mov_b32_e32 v3, 0
	v_mov_b32_e32 v2, 0
	s_waitcnt lgkmcnt(0)
	s_barrier
	buffer_wbinvl1_vol
	s_and_saveexec_b64 s[16:17], s[18:19]
	s_cbranch_execz .LBB157_655
; %bb.650:
	v_lshlrev_b32_e32 v18, 3, v9
	v_lshlrev_b32_e32 v19, 9, v10
	ds_read_b64 v[2:3], v18 offset:10368
	ds_read_b64 v[20:21], v19 offset:10400
	v_cmp_gt_u32_e64 s[14:15], 12, v8
	s_waitcnt lgkmcnt(0)
	v_mul_f32_e32 v22, v21, v3
	v_mul_f32_e32 v3, v20, v3
	v_fma_f32 v20, v20, v2, -v22
	v_fmac_f32_e32 v3, v21, v2
	v_add_f32_e32 v2, 0, v20
	v_add_f32_e32 v3, 0, v3
	s_and_saveexec_b64 s[20:21], s[14:15]
	s_cbranch_execnz .LBB157_1022
; %bb.651:
	s_or_b64 exec, exec, s[20:21]
	v_cmp_gt_u32_e64 s[14:15], 8, v8
	s_and_saveexec_b64 s[20:21], s[14:15]
	s_cbranch_execnz .LBB157_1023
.LBB157_652:
	s_or_b64 exec, exec, s[20:21]
	v_cmp_gt_u32_e64 s[14:15], 4, v8
	s_and_saveexec_b64 s[20:21], s[14:15]
	s_cbranch_execz .LBB157_654
.LBB157_653:
	v_lshlrev_b32_e32 v18, 3, v0
	v_mov_b32_e32 v20, 0
	ds_read_b64 v[18:19], v18 offset:11904
	ds_read_b64 v[20:21], v20 offset:11960
	s_waitcnt lgkmcnt(0)
	v_mul_f32_e32 v22, v21, v19
	v_mul_f32_e32 v19, v20, v19
	v_fma_f32 v20, v20, v18, -v22
	v_fmac_f32_e32 v19, v21, v18
	v_add_f32_e32 v2, v2, v20
	v_add_f32_e32 v3, v3, v19
.LBB157_654:
	s_or_b64 exec, exec, s[20:21]
.LBB157_655:
	s_or_b64 exec, exec, s[16:17]
	s_and_saveexec_b64 s[14:15], s[46:47]
; %bb.656:
	v_xor_b32_e32 v18, 0x80000000, v2
	v_xor_b32_e32 v19, 0x80000000, v3
	ds_write_b64 v11, v[18:19]
; %bb.657:
	s_or_b64 exec, exec, s[14:15]
	s_waitcnt lgkmcnt(0)
	s_barrier
	s_and_saveexec_b64 s[14:15], s[48:49]
	s_cbranch_execz .LBB157_659
; %bb.658:
	v_lshlrev_b32_e32 v18, 3, v9
	ds_read_b64 v[18:19], v18 offset:9856
	ds_read_b64 v[20:21], v11
	s_waitcnt lgkmcnt(0)
	v_mul_f32_e32 v22, v21, v19
	v_mul_f32_e32 v19, v20, v19
	v_fma_f32 v20, v20, v18, -v22
	v_fmac_f32_e32 v19, v21, v18
	v_sub_f32_e32 v2, v2, v20
	v_sub_f32_e32 v3, v3, v19
.LBB157_659:
	s_or_b64 exec, exec, s[14:15]
	s_barrier
	s_and_saveexec_b64 s[14:15], s[50:51]
; %bb.660:
	v_xor_b32_e32 v18, 0x80000000, v2
	v_xor_b32_e32 v19, 0x80000000, v3
	ds_write_b64 v11, v[18:19]
; %bb.661:
	s_or_b64 exec, exec, s[14:15]
	s_waitcnt lgkmcnt(0)
	s_barrier
	s_and_saveexec_b64 s[14:15], s[52:53]
	s_cbranch_execz .LBB157_663
; %bb.662:
	v_lshlrev_b32_e32 v18, 3, v9
	ds_read_b64 v[18:19], v18 offset:9344
	ds_read_b64 v[20:21], v11
	s_waitcnt lgkmcnt(0)
	v_mul_f32_e32 v22, v21, v19
	v_mul_f32_e32 v19, v20, v19
	v_fma_f32 v20, v20, v18, -v22
	v_fmac_f32_e32 v19, v21, v18
	v_sub_f32_e32 v2, v2, v20
	v_sub_f32_e32 v3, v3, v19
.LBB157_663:
	s_or_b64 exec, exec, s[14:15]
	s_barrier
	s_and_saveexec_b64 s[14:15], s[54:55]
; %bb.664:
	v_xor_b32_e32 v18, 0x80000000, v2
	v_xor_b32_e32 v19, 0x80000000, v3
	ds_write_b64 v11, v[18:19]
; %bb.665:
	s_or_b64 exec, exec, s[14:15]
	s_waitcnt lgkmcnt(0)
	s_barrier
	s_and_saveexec_b64 s[14:15], s[44:45]
	s_cbranch_execz .LBB157_667
; %bb.666:
	v_mov_b32_e32 v18, 0
	ds_read_b64 v[18:19], v18 offset:8832
	ds_read_b64 v[20:21], v11
	s_waitcnt lgkmcnt(0)
	v_mul_f32_e32 v22, v21, v19
	v_mul_f32_e32 v19, v20, v19
	v_fma_f32 v20, v20, v18, -v22
	v_fmac_f32_e32 v19, v21, v18
	v_sub_f32_e32 v2, v2, v20
	v_sub_f32_e32 v3, v3, v19
.LBB157_667:
	s_or_b64 exec, exec, s[14:15]
	s_barrier
	s_and_saveexec_b64 s[14:15], s[44:45]
; %bb.668:
	v_xor_b32_e32 v18, 0x80000000, v2
	v_xor_b32_e32 v19, 0x80000000, v3
	ds_write_b64 v11, v[18:19]
; %bb.669:
	s_or_b64 exec, exec, s[14:15]
	s_waitcnt lgkmcnt(0)
	s_barrier
	s_barrier
	s_and_saveexec_b64 s[14:15], s[18:19]
; %bb.670:
	v_lshlrev_b32_e32 v18, 3, v9
	v_lshl_or_b32 v18, v10, 9, v18
	ds_write_b64 v18, v[2:3] offset:10368
; %bb.671:
	s_or_b64 exec, exec, s[14:15]
	s_waitcnt lgkmcnt(0)
	s_barrier
	s_barrier
	s_and_saveexec_b64 s[14:15], vcc
	s_cbranch_execz .LBB157_673
; %bb.672:
	s_mov_b64 s[16:17], 0x3f800000
	v_mov_b32_e32 v2, s16
	v_mov_b32_e32 v3, s17
	s_movk_i32 s16, 0x2000
	v_add_u32_e64 v18, s16, 0
	ds_write2_b64 v18, v[2:3], v[2:3] offset0:146 offset1:211
.LBB157_673:
	s_or_b64 exec, exec, s[14:15]
	v_mov_b32_e32 v2, 0
	v_mov_b32_e32 v3, 0
	s_waitcnt lgkmcnt(0)
	s_barrier
	buffer_wbinvl1_vol
	s_and_saveexec_b64 s[16:17], s[6:7]
	s_cbranch_execz .LBB157_677
; %bb.674:
	v_lshlrev_b32_e32 v2, 3, v4
	v_lshlrev_b32_e32 v18, 9, v5
	ds_read_b64 v[2:3], v2 offset:9344
	ds_read_b64 v[18:19], v18 offset:9360
	v_cmp_gt_u32_e64 s[14:15], 2, v8
	s_waitcnt lgkmcnt(0)
	v_mul_f32_e32 v20, v19, v3
	v_mul_f32_e32 v3, v18, v3
	v_fma_f32 v18, v18, v2, -v20
	v_fmac_f32_e32 v3, v19, v2
	v_add_f32_e32 v2, 0, v18
	v_add_f32_e32 v3, 0, v3
	s_and_saveexec_b64 s[20:21], s[14:15]
	s_cbranch_execz .LBB157_676
; %bb.675:
	v_lshlrev_b32_e32 v18, 3, v0
	v_mov_b32_e32 v20, 0
	ds_read_b64 v[18:19], v18 offset:9856
	ds_read_b64 v[20:21], v20 offset:9880
	s_waitcnt lgkmcnt(0)
	v_mul_f32_e32 v22, v21, v19
	v_mul_f32_e32 v19, v20, v19
	v_fma_f32 v20, v20, v18, -v22
	v_fmac_f32_e32 v19, v21, v18
	v_add_f32_e32 v2, v2, v20
	v_add_f32_e32 v3, v3, v19
.LBB157_676:
	s_or_b64 exec, exec, s[20:21]
.LBB157_677:
	s_or_b64 exec, exec, s[16:17]
	s_and_saveexec_b64 s[14:15], s[42:43]
; %bb.678:
	v_xor_b32_e32 v19, 0x80000000, v3
	v_xor_b32_e32 v18, 0x80000000, v2
	ds_write_b64 v6, v[18:19]
; %bb.679:
	s_or_b64 exec, exec, s[14:15]
	s_waitcnt lgkmcnt(0)
	s_barrier
	s_and_saveexec_b64 s[14:15], s[40:41]
	s_cbranch_execz .LBB157_681
; %bb.680:
	v_mov_b32_e32 v18, 0
	ds_read_b64 v[18:19], v18 offset:8832
	ds_read_b64 v[20:21], v6
	s_waitcnt lgkmcnt(0)
	v_mul_f32_e32 v22, v20, v18
	v_mul_f32_e32 v20, v20, v19
	v_fmac_f32_e32 v20, v21, v18
	v_fma_f32 v18, v21, v19, -v22
	v_add_f32_e32 v2, v2, v18
	v_sub_f32_e32 v3, v3, v20
.LBB157_681:
	s_or_b64 exec, exec, s[14:15]
	s_barrier
	s_and_saveexec_b64 s[14:15], s[40:41]
; %bb.682:
	v_xor_b32_e32 v19, 0x80000000, v3
	v_xor_b32_e32 v18, 0x80000000, v2
	ds_write_b64 v6, v[18:19]
; %bb.683:
	s_or_b64 exec, exec, s[14:15]
	s_waitcnt lgkmcnt(0)
	s_barrier
	s_barrier
	s_and_saveexec_b64 s[14:15], s[6:7]
; %bb.684:
	v_lshlrev_b32_e32 v18, 3, v4
	v_lshl_or_b32 v18, v5, 9, v18
	ds_write_b64 v18, v[2:3] offset:9344
; %bb.685:
	s_or_b64 exec, exec, s[14:15]
	s_waitcnt lgkmcnt(0)
	s_barrier
	s_barrier
	s_and_saveexec_b64 s[14:15], vcc
	s_cbranch_execz .LBB157_687
; %bb.686:
	s_mov_b64 s[16:17], 0x3f800000
	v_mov_b32_e32 v2, s16
	v_mov_b32_e32 v3, s17
	s_movk_i32 s16, 0x2000
	v_add_u32_e64 v18, s16, 0
	ds_write2_b64 v18, v[2:3], v[2:3] offset0:16 offset1:81
.LBB157_687:
	s_or_b64 exec, exec, s[14:15]
	v_mov_b32_e32 v3, 0
	v_mov_b32_e32 v2, 0
	s_waitcnt lgkmcnt(0)
	s_barrier
	buffer_wbinvl1_vol
	s_and_saveexec_b64 s[16:17], s[12:13]
	s_cbranch_execz .LBB157_715
; %bb.688:
	v_lshlrev_b32_e32 v18, 3, v15
	v_lshlrev_b32_e32 v19, 9, v16
	ds_read_b64 v[2:3], v18 offset:8192
	ds_read_b64 v[20:21], v19 offset:8320
	s_movk_i32 s14, 0xf0
	v_cmp_gt_u32_e64 s[14:15], s14, v8
	s_waitcnt lgkmcnt(0)
	v_mul_f32_e32 v22, v21, v3
	v_mul_f32_e32 v3, v20, v3
	v_fma_f32 v20, v20, v2, -v22
	v_fmac_f32_e32 v3, v21, v2
	v_add_f32_e32 v2, 0, v20
	v_add_f32_e32 v3, 0, v3
	s_and_saveexec_b64 s[20:21], s[14:15]
	s_cbranch_execz .LBB157_690
; %bb.689:
	ds_read_b64 v[20:21], v18 offset:8704
	ds_read_b64 v[22:23], v19 offset:8328
	s_waitcnt lgkmcnt(0)
	v_mul_f32_e32 v24, v23, v21
	v_mul_f32_e32 v21, v22, v21
	v_fma_f32 v22, v22, v20, -v24
	v_fmac_f32_e32 v21, v23, v20
	v_add_f32_e32 v2, v2, v22
	v_add_f32_e32 v3, v3, v21
.LBB157_690:
	s_or_b64 exec, exec, s[20:21]
	s_movk_i32 s14, 0xe0
	v_cmp_gt_u32_e64 s[14:15], s14, v8
	s_and_saveexec_b64 s[20:21], s[14:15]
	s_cbranch_execz .LBB157_692
; %bb.691:
	ds_read_b64 v[20:21], v18 offset:9216
	ds_read_b64 v[22:23], v19 offset:8336
	s_waitcnt lgkmcnt(0)
	v_mul_f32_e32 v24, v23, v21
	v_mul_f32_e32 v21, v22, v21
	v_fma_f32 v22, v22, v20, -v24
	v_fmac_f32_e32 v21, v23, v20
	v_add_f32_e32 v2, v2, v22
	v_add_f32_e32 v3, v3, v21
.LBB157_692:
	s_or_b64 exec, exec, s[20:21]
	s_movk_i32 s14, 0xd0
	v_cmp_gt_u32_e64 s[14:15], s14, v8
	;; [unrolled: 16-line block ×10, first 2 shown]
	s_and_saveexec_b64 s[20:21], s[14:15]
	s_cbranch_execnz .LBB157_1024
; %bb.709:
	s_or_b64 exec, exec, s[20:21]
	s_and_saveexec_b64 s[14:15], s[10:11]
	s_cbranch_execnz .LBB157_1025
.LBB157_710:
	s_or_b64 exec, exec, s[14:15]
	v_cmp_gt_u32_e64 s[14:15], 48, v8
	s_and_saveexec_b64 s[20:21], s[14:15]
	s_cbranch_execnz .LBB157_1026
.LBB157_711:
	s_or_b64 exec, exec, s[20:21]
	v_cmp_gt_u32_e64 s[14:15], 32, v8
	s_and_saveexec_b64 s[20:21], s[14:15]
	s_cbranch_execnz .LBB157_1027
.LBB157_712:
	s_or_b64 exec, exec, s[20:21]
	v_cmp_gt_u32_e64 s[14:15], 16, v8
	s_and_saveexec_b64 s[20:21], s[14:15]
	s_cbranch_execz .LBB157_714
.LBB157_713:
	v_lshlrev_b32_e32 v18, 3, v0
	v_mov_b32_e32 v20, 0
	ds_read_b64 v[18:19], v18 offset:15872
	ds_read_b64 v[20:21], v20 offset:16120
	s_waitcnt lgkmcnt(0)
	v_mul_f32_e32 v22, v21, v19
	v_mul_f32_e32 v19, v20, v19
	v_fma_f32 v20, v20, v18, -v22
	v_fmac_f32_e32 v19, v21, v18
	v_add_f32_e32 v2, v2, v20
	v_add_f32_e32 v3, v3, v19
.LBB157_714:
	s_or_b64 exec, exec, s[20:21]
.LBB157_715:
	s_or_b64 exec, exec, s[16:17]
	s_mov_b64 s[14:15], exec
	v_readlane_b32 s16, v28, 0
	v_readlane_b32 s17, v28, 1
	s_and_b64 s[16:17], s[14:15], s[16:17]
	s_mov_b64 exec, s[16:17]
; %bb.716:
	v_xor_b32_e32 v18, 0x80000000, v2
	v_xor_b32_e32 v19, 0x80000000, v3
	ds_write_b64 v17, v[18:19]
; %bb.717:
	s_or_b64 exec, exec, s[14:15]
	s_waitcnt lgkmcnt(0)
	s_barrier
	s_mov_b64 s[14:15], exec
	v_readlane_b32 s16, v28, 2
	v_readlane_b32 s17, v28, 3
	s_and_b64 s[16:17], s[14:15], s[16:17]
	s_mov_b64 exec, s[16:17]
	s_cbranch_execz .LBB157_719
; %bb.718:
	v_lshlrev_b32_e32 v18, 3, v15
	ds_read_b64 v[18:19], v18 offset:7680
	ds_read_b64 v[20:21], v17
	s_waitcnt lgkmcnt(0)
	v_mul_f32_e32 v22, v21, v19
	v_mul_f32_e32 v19, v20, v19
	v_fma_f32 v20, v20, v18, -v22
	v_fmac_f32_e32 v19, v21, v18
	v_sub_f32_e32 v2, v2, v20
	v_sub_f32_e32 v3, v3, v19
.LBB157_719:
	s_or_b64 exec, exec, s[14:15]
	s_barrier
	s_mov_b64 s[14:15], exec
	v_readlane_b32 s16, v28, 4
	v_readlane_b32 s17, v28, 5
	s_and_b64 s[16:17], s[14:15], s[16:17]
	s_mov_b64 exec, s[16:17]
; %bb.720:
	v_xor_b32_e32 v18, 0x80000000, v2
	v_xor_b32_e32 v19, 0x80000000, v3
	ds_write_b64 v17, v[18:19]
; %bb.721:
	s_or_b64 exec, exec, s[14:15]
	s_waitcnt lgkmcnt(0)
	s_barrier
	s_mov_b64 s[14:15], exec
	v_readlane_b32 s16, v28, 6
	v_readlane_b32 s17, v28, 7
	s_and_b64 s[16:17], s[14:15], s[16:17]
	s_mov_b64 exec, s[16:17]
	s_cbranch_execz .LBB157_723
; %bb.722:
	v_lshlrev_b32_e32 v18, 3, v15
	ds_read_b64 v[18:19], v18 offset:7168
	ds_read_b64 v[20:21], v17
	s_waitcnt lgkmcnt(0)
	v_mul_f32_e32 v22, v21, v19
	v_mul_f32_e32 v19, v20, v19
	v_fma_f32 v20, v20, v18, -v22
	v_fmac_f32_e32 v19, v21, v18
	v_sub_f32_e32 v2, v2, v20
	v_sub_f32_e32 v3, v3, v19
.LBB157_723:
	s_or_b64 exec, exec, s[14:15]
	s_barrier
	;; [unrolled: 33-line block ×12, first 2 shown]
	s_and_saveexec_b64 s[14:15], s[22:23]
; %bb.764:
	v_xor_b32_e32 v18, 0x80000000, v2
	v_xor_b32_e32 v19, 0x80000000, v3
	ds_write_b64 v17, v[18:19]
; %bb.765:
	s_or_b64 exec, exec, s[14:15]
	s_waitcnt lgkmcnt(0)
	s_barrier
	s_mov_b64 s[14:15], exec
	v_readlane_b32 s16, v28, 48
	v_readlane_b32 s17, v28, 49
	s_and_b64 s[16:17], s[14:15], s[16:17]
	s_mov_b64 exec, s[16:17]
	s_cbranch_execz .LBB157_767
; %bb.766:
	v_lshlrev_b32_e32 v18, 3, v15
	ds_read_b64 v[18:19], v18 offset:1536
	ds_read_b64 v[20:21], v17
	s_waitcnt lgkmcnt(0)
	v_mul_f32_e32 v22, v21, v19
	v_mul_f32_e32 v19, v20, v19
	v_fma_f32 v20, v20, v18, -v22
	v_fmac_f32_e32 v19, v21, v18
	v_sub_f32_e32 v2, v2, v20
	v_sub_f32_e32 v3, v3, v19
.LBB157_767:
	s_or_b64 exec, exec, s[14:15]
	s_barrier
	s_and_saveexec_b64 s[14:15], s[84:85]
; %bb.768:
	v_xor_b32_e32 v18, 0x80000000, v2
	v_xor_b32_e32 v19, 0x80000000, v3
	ds_write_b64 v17, v[18:19]
; %bb.769:
	s_or_b64 exec, exec, s[14:15]
	s_waitcnt lgkmcnt(0)
	s_barrier
	s_and_saveexec_b64 s[14:15], s[86:87]
	s_cbranch_execz .LBB157_771
; %bb.770:
	v_lshlrev_b32_e32 v18, 3, v15
	ds_read_b64 v[18:19], v18 offset:1024
	ds_read_b64 v[20:21], v17
	s_waitcnt lgkmcnt(0)
	v_mul_f32_e32 v22, v21, v19
	v_mul_f32_e32 v19, v20, v19
	v_fma_f32 v20, v20, v18, -v22
	v_fmac_f32_e32 v19, v21, v18
	v_sub_f32_e32 v2, v2, v20
	v_sub_f32_e32 v3, v3, v19
.LBB157_771:
	s_or_b64 exec, exec, s[14:15]
	s_barrier
	s_and_saveexec_b64 s[14:15], s[90:91]
; %bb.772:
	v_xor_b32_e32 v18, 0x80000000, v2
	v_xor_b32_e32 v19, 0x80000000, v3
	ds_write_b64 v17, v[18:19]
; %bb.773:
	s_or_b64 exec, exec, s[14:15]
	s_waitcnt lgkmcnt(0)
	s_barrier
	s_and_saveexec_b64 s[14:15], s[88:89]
	s_cbranch_execz .LBB157_775
; %bb.774:
	v_mov_b32_e32 v18, 0
	ds_read_b64 v[18:19], v18 offset:512
	ds_read_b64 v[20:21], v17
	s_waitcnt lgkmcnt(0)
	v_mul_f32_e32 v22, v21, v19
	v_mul_f32_e32 v19, v20, v19
	v_fma_f32 v20, v20, v18, -v22
	v_fmac_f32_e32 v19, v21, v18
	v_sub_f32_e32 v2, v2, v20
	v_sub_f32_e32 v3, v3, v19
.LBB157_775:
	s_or_b64 exec, exec, s[14:15]
	s_barrier
	s_and_saveexec_b64 s[14:15], s[88:89]
; %bb.776:
	v_xor_b32_e32 v18, 0x80000000, v2
	v_xor_b32_e32 v19, 0x80000000, v3
	ds_write_b64 v17, v[18:19]
; %bb.777:
	s_or_b64 exec, exec, s[14:15]
	s_waitcnt lgkmcnt(0)
	s_barrier
	s_barrier
	s_and_saveexec_b64 s[14:15], s[12:13]
; %bb.778:
	v_lshlrev_b32_e32 v15, 3, v15
	v_lshl_or_b32 v15, v16, 9, v15
	ds_write_b64 v15, v[2:3] offset:8192
; %bb.779:
	s_or_b64 exec, exec, s[14:15]
	s_waitcnt lgkmcnt(0)
	s_barrier
	s_barrier
	s_and_saveexec_b64 s[12:13], vcc
	s_cbranch_execz .LBB157_781
; %bb.780:
	s_mov_b64 s[14:15], 0x3f800000
	v_mov_b32_e32 v2, s14
	v_mov_b32_e32 v3, s15
	s_movk_i32 s14, 0x1800
	v_add_u32_e64 v15, s14, 0
	ds_write2_b64 v15, v[2:3], v[2:3] offset0:142 offset1:207
.LBB157_781:
	s_or_b64 exec, exec, s[12:13]
	v_mov_b32_e32 v2, 0
	v_mov_b32_e32 v3, 0
	s_waitcnt lgkmcnt(0)
	s_barrier
	buffer_wbinvl1_vol
	s_and_saveexec_b64 s[14:15], s[6:7]
	s_cbranch_execz .LBB157_785
; %bb.782:
	v_lshlrev_b32_e32 v2, 3, v4
	v_lshlrev_b32_e32 v15, 9, v5
	ds_read_b64 v[2:3], v2 offset:7264
	ds_read_b64 v[15:16], v15 offset:7280
	v_cmp_gt_u32_e64 s[12:13], 2, v8
	s_waitcnt lgkmcnt(0)
	v_mul_f32_e32 v17, v16, v3
	v_mul_f32_e32 v3, v15, v3
	v_fma_f32 v15, v15, v2, -v17
	v_fmac_f32_e32 v3, v16, v2
	v_add_f32_e32 v2, 0, v15
	v_add_f32_e32 v3, 0, v3
	s_and_saveexec_b64 s[16:17], s[12:13]
	s_cbranch_execz .LBB157_784
; %bb.783:
	v_lshlrev_b32_e32 v15, 3, v0
	v_mov_b32_e32 v17, 0
	ds_read_b64 v[15:16], v15 offset:7776
	ds_read_b64 v[17:18], v17 offset:7800
	s_waitcnt lgkmcnt(0)
	v_mul_f32_e32 v19, v18, v16
	v_mul_f32_e32 v16, v17, v16
	v_fma_f32 v17, v17, v15, -v19
	v_fmac_f32_e32 v16, v18, v15
	v_add_f32_e32 v2, v2, v17
	v_add_f32_e32 v3, v3, v16
.LBB157_784:
	s_or_b64 exec, exec, s[16:17]
.LBB157_785:
	s_or_b64 exec, exec, s[14:15]
	s_and_saveexec_b64 s[12:13], s[42:43]
; %bb.786:
	v_xor_b32_e32 v16, 0x80000000, v3
	v_xor_b32_e32 v15, 0x80000000, v2
	ds_write_b64 v6, v[15:16]
; %bb.787:
	s_or_b64 exec, exec, s[12:13]
	s_waitcnt lgkmcnt(0)
	s_barrier
	s_and_saveexec_b64 s[12:13], s[40:41]
	s_cbranch_execz .LBB157_789
; %bb.788:
	v_mov_b32_e32 v15, 0
	ds_read_b64 v[15:16], v15 offset:6752
	ds_read_b64 v[17:18], v6
	s_waitcnt lgkmcnt(0)
	v_mul_f32_e32 v19, v17, v15
	v_mul_f32_e32 v17, v17, v16
	v_fmac_f32_e32 v17, v18, v15
	v_fma_f32 v15, v18, v16, -v19
	v_add_f32_e32 v2, v2, v15
	v_sub_f32_e32 v3, v3, v17
.LBB157_789:
	s_or_b64 exec, exec, s[12:13]
	s_barrier
	s_and_saveexec_b64 s[12:13], s[40:41]
; %bb.790:
	v_xor_b32_e32 v16, 0x80000000, v3
	v_xor_b32_e32 v15, 0x80000000, v2
	ds_write_b64 v6, v[15:16]
; %bb.791:
	s_or_b64 exec, exec, s[12:13]
	s_waitcnt lgkmcnt(0)
	s_barrier
	s_barrier
	s_and_saveexec_b64 s[12:13], s[6:7]
; %bb.792:
	v_lshlrev_b32_e32 v15, 3, v4
	v_lshl_or_b32 v15, v5, 9, v15
	ds_write_b64 v15, v[2:3] offset:7264
; %bb.793:
	s_or_b64 exec, exec, s[12:13]
	s_waitcnt lgkmcnt(0)
	s_barrier
	s_barrier
	s_and_saveexec_b64 s[12:13], vcc
	s_cbranch_execz .LBB157_795
; %bb.794:
	s_mov_b64 s[14:15], 0x3f800000
	v_mov_b32_e32 v2, s14
	v_mov_b32_e32 v3, s15
	s_movk_i32 s14, 0x1800
	v_add_u32_e64 v15, s14, 0
	ds_write2_b64 v15, v[2:3], v[2:3] offset0:12 offset1:77
.LBB157_795:
	s_or_b64 exec, exec, s[12:13]
	v_mov_b32_e32 v3, 0
	v_mov_b32_e32 v2, 0
	s_waitcnt lgkmcnt(0)
	s_barrier
	buffer_wbinvl1_vol
	s_and_saveexec_b64 s[14:15], s[18:19]
	s_cbranch_execz .LBB157_801
; %bb.796:
	v_lshlrev_b32_e32 v15, 3, v9
	v_lshlrev_b32_e32 v16, 9, v10
	ds_read_b64 v[2:3], v15 offset:6208
	ds_read_b64 v[17:18], v16 offset:6240
	v_cmp_gt_u32_e64 s[12:13], 12, v8
	s_waitcnt lgkmcnt(0)
	v_mul_f32_e32 v19, v18, v3
	v_mul_f32_e32 v3, v17, v3
	v_fma_f32 v17, v17, v2, -v19
	v_fmac_f32_e32 v3, v18, v2
	v_add_f32_e32 v2, 0, v17
	v_add_f32_e32 v3, 0, v3
	s_and_saveexec_b64 s[16:17], s[12:13]
	s_cbranch_execnz .LBB157_1028
; %bb.797:
	s_or_b64 exec, exec, s[16:17]
	v_cmp_gt_u32_e64 s[12:13], 8, v8
	s_and_saveexec_b64 s[16:17], s[12:13]
	s_cbranch_execnz .LBB157_1029
.LBB157_798:
	s_or_b64 exec, exec, s[16:17]
	v_cmp_gt_u32_e64 s[12:13], 4, v8
	s_and_saveexec_b64 s[16:17], s[12:13]
	s_cbranch_execz .LBB157_800
.LBB157_799:
	v_lshlrev_b32_e32 v15, 3, v0
	v_mov_b32_e32 v17, 0
	ds_read_b64 v[15:16], v15 offset:7744
	ds_read_b64 v[17:18], v17 offset:7800
	s_waitcnt lgkmcnt(0)
	v_mul_f32_e32 v19, v18, v16
	v_mul_f32_e32 v16, v17, v16
	v_fma_f32 v17, v17, v15, -v19
	v_fmac_f32_e32 v16, v18, v15
	v_add_f32_e32 v2, v2, v17
	v_add_f32_e32 v3, v3, v16
.LBB157_800:
	s_or_b64 exec, exec, s[16:17]
.LBB157_801:
	s_or_b64 exec, exec, s[14:15]
	s_and_saveexec_b64 s[12:13], s[46:47]
; %bb.802:
	v_xor_b32_e32 v15, 0x80000000, v2
	v_xor_b32_e32 v16, 0x80000000, v3
	ds_write_b64 v11, v[15:16]
; %bb.803:
	s_or_b64 exec, exec, s[12:13]
	s_waitcnt lgkmcnt(0)
	s_barrier
	s_and_saveexec_b64 s[12:13], s[48:49]
	s_cbranch_execz .LBB157_805
; %bb.804:
	v_lshlrev_b32_e32 v15, 3, v9
	ds_read_b64 v[15:16], v15 offset:5696
	ds_read_b64 v[17:18], v11
	s_waitcnt lgkmcnt(0)
	v_mul_f32_e32 v19, v18, v16
	v_mul_f32_e32 v16, v17, v16
	v_fma_f32 v17, v17, v15, -v19
	v_fmac_f32_e32 v16, v18, v15
	v_sub_f32_e32 v2, v2, v17
	v_sub_f32_e32 v3, v3, v16
.LBB157_805:
	s_or_b64 exec, exec, s[12:13]
	s_barrier
	s_and_saveexec_b64 s[12:13], s[50:51]
; %bb.806:
	v_xor_b32_e32 v15, 0x80000000, v2
	v_xor_b32_e32 v16, 0x80000000, v3
	ds_write_b64 v11, v[15:16]
; %bb.807:
	s_or_b64 exec, exec, s[12:13]
	s_waitcnt lgkmcnt(0)
	s_barrier
	s_and_saveexec_b64 s[12:13], s[52:53]
	s_cbranch_execz .LBB157_809
; %bb.808:
	v_lshlrev_b32_e32 v15, 3, v9
	ds_read_b64 v[15:16], v15 offset:5184
	ds_read_b64 v[17:18], v11
	s_waitcnt lgkmcnt(0)
	v_mul_f32_e32 v19, v18, v16
	v_mul_f32_e32 v16, v17, v16
	v_fma_f32 v17, v17, v15, -v19
	v_fmac_f32_e32 v16, v18, v15
	v_sub_f32_e32 v2, v2, v17
	v_sub_f32_e32 v3, v3, v16
.LBB157_809:
	s_or_b64 exec, exec, s[12:13]
	s_barrier
	s_and_saveexec_b64 s[12:13], s[54:55]
; %bb.810:
	v_xor_b32_e32 v15, 0x80000000, v2
	v_xor_b32_e32 v16, 0x80000000, v3
	ds_write_b64 v11, v[15:16]
; %bb.811:
	s_or_b64 exec, exec, s[12:13]
	s_waitcnt lgkmcnt(0)
	s_barrier
	s_and_saveexec_b64 s[12:13], s[44:45]
	s_cbranch_execz .LBB157_813
; %bb.812:
	v_mov_b32_e32 v15, 0
	ds_read_b64 v[15:16], v15 offset:4672
	ds_read_b64 v[17:18], v11
	s_waitcnt lgkmcnt(0)
	v_mul_f32_e32 v19, v18, v16
	v_mul_f32_e32 v16, v17, v16
	v_fma_f32 v17, v17, v15, -v19
	v_fmac_f32_e32 v16, v18, v15
	v_sub_f32_e32 v2, v2, v17
	v_sub_f32_e32 v3, v3, v16
.LBB157_813:
	s_or_b64 exec, exec, s[12:13]
	s_barrier
	s_and_saveexec_b64 s[12:13], s[44:45]
; %bb.814:
	v_xor_b32_e32 v15, 0x80000000, v2
	v_xor_b32_e32 v16, 0x80000000, v3
	ds_write_b64 v11, v[15:16]
; %bb.815:
	s_or_b64 exec, exec, s[12:13]
	s_waitcnt lgkmcnt(0)
	s_barrier
	s_barrier
	s_and_saveexec_b64 s[12:13], s[18:19]
; %bb.816:
	v_lshlrev_b32_e32 v15, 3, v9
	v_lshl_or_b32 v15, v10, 9, v15
	ds_write_b64 v15, v[2:3] offset:6208
; %bb.817:
	s_or_b64 exec, exec, s[12:13]
	s_waitcnt lgkmcnt(0)
	s_barrier
	s_barrier
	s_and_saveexec_b64 s[12:13], vcc
	s_cbranch_execz .LBB157_819
; %bb.818:
	s_mov_b64 s[14:15], 0x3f800000
	v_mov_b32_e32 v2, s14
	v_mov_b32_e32 v3, s15
	s_movk_i32 s14, 0x1000
	v_add_u32_e64 v15, s14, 0
	ds_write2_b64 v15, v[2:3], v[2:3] offset0:138 offset1:203
.LBB157_819:
	s_or_b64 exec, exec, s[12:13]
	v_mov_b32_e32 v2, 0
	v_mov_b32_e32 v3, 0
	s_waitcnt lgkmcnt(0)
	s_barrier
	buffer_wbinvl1_vol
	s_and_saveexec_b64 s[14:15], s[6:7]
	s_cbranch_execz .LBB157_823
; %bb.820:
	v_lshlrev_b32_e32 v2, 3, v4
	v_lshlrev_b32_e32 v15, 9, v5
	ds_read_b64 v[2:3], v2 offset:5184
	ds_read_b64 v[15:16], v15 offset:5200
	v_cmp_gt_u32_e64 s[12:13], 2, v8
	s_waitcnt lgkmcnt(0)
	v_mul_f32_e32 v17, v16, v3
	v_mul_f32_e32 v3, v15, v3
	v_fma_f32 v15, v15, v2, -v17
	v_fmac_f32_e32 v3, v16, v2
	v_add_f32_e32 v2, 0, v15
	v_add_f32_e32 v3, 0, v3
	s_and_saveexec_b64 s[16:17], s[12:13]
	s_cbranch_execz .LBB157_822
; %bb.821:
	v_lshlrev_b32_e32 v15, 3, v0
	v_mov_b32_e32 v17, 0
	ds_read_b64 v[15:16], v15 offset:5696
	ds_read_b64 v[17:18], v17 offset:5720
	s_waitcnt lgkmcnt(0)
	v_mul_f32_e32 v19, v18, v16
	v_mul_f32_e32 v16, v17, v16
	v_fma_f32 v17, v17, v15, -v19
	v_fmac_f32_e32 v16, v18, v15
	v_add_f32_e32 v2, v2, v17
	v_add_f32_e32 v3, v3, v16
.LBB157_822:
	s_or_b64 exec, exec, s[16:17]
.LBB157_823:
	s_or_b64 exec, exec, s[14:15]
	s_and_saveexec_b64 s[12:13], s[42:43]
; %bb.824:
	v_xor_b32_e32 v16, 0x80000000, v3
	v_xor_b32_e32 v15, 0x80000000, v2
	ds_write_b64 v6, v[15:16]
; %bb.825:
	s_or_b64 exec, exec, s[12:13]
	s_waitcnt lgkmcnt(0)
	s_barrier
	s_and_saveexec_b64 s[12:13], s[40:41]
	s_cbranch_execz .LBB157_827
; %bb.826:
	v_mov_b32_e32 v15, 0
	ds_read_b64 v[15:16], v15 offset:4672
	ds_read_b64 v[17:18], v6
	s_waitcnt lgkmcnt(0)
	v_mul_f32_e32 v19, v17, v15
	v_mul_f32_e32 v17, v17, v16
	v_fmac_f32_e32 v17, v18, v15
	v_fma_f32 v15, v18, v16, -v19
	v_add_f32_e32 v2, v2, v15
	v_sub_f32_e32 v3, v3, v17
.LBB157_827:
	s_or_b64 exec, exec, s[12:13]
	s_barrier
	s_and_saveexec_b64 s[12:13], s[40:41]
; %bb.828:
	v_xor_b32_e32 v16, 0x80000000, v3
	v_xor_b32_e32 v15, 0x80000000, v2
	ds_write_b64 v6, v[15:16]
; %bb.829:
	s_or_b64 exec, exec, s[12:13]
	s_waitcnt lgkmcnt(0)
	s_barrier
	s_barrier
	s_and_saveexec_b64 s[12:13], s[6:7]
; %bb.830:
	v_lshlrev_b32_e32 v15, 3, v4
	v_lshl_or_b32 v15, v5, 9, v15
	ds_write_b64 v15, v[2:3] offset:5184
; %bb.831:
	s_or_b64 exec, exec, s[12:13]
	s_waitcnt lgkmcnt(0)
	s_barrier
	s_barrier
	s_and_saveexec_b64 s[12:13], vcc
	s_cbranch_execz .LBB157_833
; %bb.832:
	s_mov_b64 s[14:15], 0x3f800000
	v_mov_b32_e32 v2, s14
	v_mov_b32_e32 v3, s15
	s_movk_i32 s14, 0x1000
	v_add_u32_e64 v15, s14, 0
	ds_write2_b64 v15, v[2:3], v[2:3] offset0:8 offset1:73
.LBB157_833:
	s_or_b64 exec, exec, s[12:13]
	v_mov_b32_e32 v3, 0
	v_mov_b32_e32 v2, 0
	s_waitcnt lgkmcnt(0)
	s_barrier
	buffer_wbinvl1_vol
	s_and_saveexec_b64 s[14:15], s[10:11]
	s_cbranch_execz .LBB157_843
; %bb.834:
	v_lshlrev_b32_e32 v15, 3, v12
	v_lshlrev_b32_e32 v16, 9, v13
	ds_read_b64 v[2:3], v15 offset:4096
	ds_read_b64 v[17:18], v16 offset:4160
	v_cmp_gt_u32_e64 s[12:13], 56, v8
	s_waitcnt lgkmcnt(0)
	v_mul_f32_e32 v19, v18, v3
	v_mul_f32_e32 v3, v17, v3
	v_fma_f32 v17, v17, v2, -v19
	v_fmac_f32_e32 v3, v18, v2
	v_add_f32_e32 v2, 0, v17
	v_add_f32_e32 v3, 0, v3
	s_and_saveexec_b64 s[16:17], s[12:13]
	s_cbranch_execnz .LBB157_1030
; %bb.835:
	s_or_b64 exec, exec, s[16:17]
	v_cmp_gt_u32_e64 s[12:13], 48, v8
	s_and_saveexec_b64 s[16:17], s[12:13]
	s_cbranch_execnz .LBB157_1031
.LBB157_836:
	s_or_b64 exec, exec, s[16:17]
	v_cmp_gt_u32_e64 s[12:13], 40, v8
	s_and_saveexec_b64 s[16:17], s[12:13]
	s_cbranch_execnz .LBB157_1032
.LBB157_837:
	s_or_b64 exec, exec, s[16:17]
	v_cmp_gt_u32_e64 s[12:13], 32, v8
	s_and_saveexec_b64 s[16:17], s[12:13]
	s_cbranch_execnz .LBB157_1033
.LBB157_838:
	s_or_b64 exec, exec, s[16:17]
	v_cmp_gt_u32_e64 s[12:13], 24, v8
	s_and_saveexec_b64 s[16:17], s[12:13]
	s_cbranch_execnz .LBB157_1034
.LBB157_839:
	s_or_b64 exec, exec, s[16:17]
	s_and_saveexec_b64 s[12:13], s[18:19]
	s_cbranch_execnz .LBB157_1035
.LBB157_840:
	s_or_b64 exec, exec, s[12:13]
	v_cmp_gt_u32_e64 s[12:13], 8, v8
	s_and_saveexec_b64 s[16:17], s[12:13]
	s_cbranch_execz .LBB157_842
.LBB157_841:
	v_lshlrev_b32_e32 v15, 3, v0
	v_mov_b32_e32 v17, 0
	ds_read_b64 v[15:16], v15 offset:7680
	ds_read_b64 v[17:18], v17 offset:7800
	s_waitcnt lgkmcnt(0)
	v_mul_f32_e32 v19, v18, v16
	v_mul_f32_e32 v16, v17, v16
	v_fma_f32 v17, v17, v15, -v19
	v_fmac_f32_e32 v16, v18, v15
	v_add_f32_e32 v2, v2, v17
	v_add_f32_e32 v3, v3, v16
.LBB157_842:
	s_or_b64 exec, exec, s[16:17]
.LBB157_843:
	s_or_b64 exec, exec, s[14:15]
	s_and_saveexec_b64 s[12:13], s[58:59]
; %bb.844:
	v_xor_b32_e32 v16, 0x80000000, v3
	v_xor_b32_e32 v15, 0x80000000, v2
	ds_write_b64 v14, v[15:16]
; %bb.845:
	s_or_b64 exec, exec, s[12:13]
	s_waitcnt lgkmcnt(0)
	s_barrier
	s_and_saveexec_b64 s[12:13], s[60:61]
	s_cbranch_execz .LBB157_847
; %bb.846:
	v_lshlrev_b32_e32 v15, 3, v12
	ds_read_b64 v[15:16], v15 offset:3584
	ds_read_b64 v[17:18], v14
	s_waitcnt lgkmcnt(0)
	v_mul_f32_e32 v19, v18, v16
	v_mul_f32_e32 v16, v17, v16
	v_fma_f32 v17, v17, v15, -v19
	v_fmac_f32_e32 v16, v18, v15
	v_sub_f32_e32 v2, v2, v17
	v_sub_f32_e32 v3, v3, v16
.LBB157_847:
	s_or_b64 exec, exec, s[12:13]
	s_barrier
	s_and_saveexec_b64 s[12:13], s[62:63]
; %bb.848:
	v_xor_b32_e32 v16, 0x80000000, v3
	v_xor_b32_e32 v15, 0x80000000, v2
	ds_write_b64 v14, v[15:16]
; %bb.849:
	s_or_b64 exec, exec, s[12:13]
	s_waitcnt lgkmcnt(0)
	s_barrier
	s_and_saveexec_b64 s[12:13], s[64:65]
	s_cbranch_execz .LBB157_851
; %bb.850:
	v_lshlrev_b32_e32 v15, 3, v12
	ds_read_b64 v[15:16], v15 offset:3072
	ds_read_b64 v[17:18], v14
	s_waitcnt lgkmcnt(0)
	v_mul_f32_e32 v19, v18, v16
	v_mul_f32_e32 v16, v17, v16
	v_fma_f32 v17, v17, v15, -v19
	v_fmac_f32_e32 v16, v18, v15
	v_sub_f32_e32 v2, v2, v17
	v_sub_f32_e32 v3, v3, v16
.LBB157_851:
	s_or_b64 exec, exec, s[12:13]
	s_barrier
	;; [unrolled: 25-line block ×6, first 2 shown]
	s_and_saveexec_b64 s[12:13], s[82:83]
; %bb.868:
	v_xor_b32_e32 v16, 0x80000000, v3
	v_xor_b32_e32 v15, 0x80000000, v2
	ds_write_b64 v14, v[15:16]
; %bb.869:
	s_or_b64 exec, exec, s[12:13]
	s_waitcnt lgkmcnt(0)
	s_barrier
	s_and_saveexec_b64 s[12:13], s[56:57]
	s_cbranch_execz .LBB157_871
; %bb.870:
	v_mov_b32_e32 v15, 0
	ds_read_b64 v[15:16], v15 offset:512
	ds_read_b64 v[17:18], v14
	s_waitcnt lgkmcnt(0)
	v_mul_f32_e32 v19, v18, v16
	v_mul_f32_e32 v16, v17, v16
	v_fma_f32 v17, v17, v15, -v19
	v_fmac_f32_e32 v16, v18, v15
	v_sub_f32_e32 v2, v2, v17
	v_sub_f32_e32 v3, v3, v16
.LBB157_871:
	s_or_b64 exec, exec, s[12:13]
	s_barrier
	s_and_saveexec_b64 s[12:13], s[56:57]
; %bb.872:
	v_xor_b32_e32 v16, 0x80000000, v3
	v_xor_b32_e32 v15, 0x80000000, v2
	ds_write_b64 v14, v[15:16]
; %bb.873:
	s_or_b64 exec, exec, s[12:13]
	s_waitcnt lgkmcnt(0)
	s_barrier
	s_barrier
	s_and_saveexec_b64 s[12:13], s[10:11]
; %bb.874:
	v_lshlrev_b32_e32 v12, 3, v12
	v_lshl_or_b32 v12, v13, 9, v12
	ds_write_b64 v12, v[2:3] offset:4096
; %bb.875:
	s_or_b64 exec, exec, s[12:13]
	s_waitcnt lgkmcnt(0)
	s_barrier
	s_barrier
	s_and_saveexec_b64 s[10:11], vcc
	s_cbranch_execz .LBB157_877
; %bb.876:
	s_mov_b64 s[12:13], 0x3f800000
	v_mov_b32_e32 v2, s12
	v_mov_b32_e32 v3, s13
	s_movk_i32 s12, 0x800
	v_add_u32_e64 v12, s12, 0
	ds_write2_b64 v12, v[2:3], v[2:3] offset0:134 offset1:199
.LBB157_877:
	s_or_b64 exec, exec, s[10:11]
	v_mov_b32_e32 v2, 0
	v_mov_b32_e32 v3, 0
	s_waitcnt lgkmcnt(0)
	s_barrier
	buffer_wbinvl1_vol
	s_and_saveexec_b64 s[12:13], s[6:7]
	s_cbranch_execz .LBB157_881
; %bb.878:
	v_lshlrev_b32_e32 v2, 3, v4
	v_lshlrev_b32_e32 v12, 9, v5
	ds_read_b64 v[2:3], v2 offset:3104
	ds_read_b64 v[12:13], v12 offset:3120
	v_cmp_gt_u32_e64 s[10:11], 2, v8
	s_waitcnt lgkmcnt(0)
	v_mul_f32_e32 v14, v13, v3
	v_mul_f32_e32 v3, v12, v3
	v_fma_f32 v12, v12, v2, -v14
	v_fmac_f32_e32 v3, v13, v2
	v_add_f32_e32 v2, 0, v12
	v_add_f32_e32 v3, 0, v3
	s_and_saveexec_b64 s[14:15], s[10:11]
	s_cbranch_execz .LBB157_880
; %bb.879:
	v_lshlrev_b32_e32 v12, 3, v0
	v_mov_b32_e32 v14, 0
	ds_read_b64 v[12:13], v12 offset:3616
	ds_read_b64 v[14:15], v14 offset:3640
	s_waitcnt lgkmcnt(0)
	v_mul_f32_e32 v16, v15, v13
	v_mul_f32_e32 v13, v14, v13
	v_fma_f32 v14, v14, v12, -v16
	v_fmac_f32_e32 v13, v15, v12
	v_add_f32_e32 v2, v2, v14
	v_add_f32_e32 v3, v3, v13
.LBB157_880:
	s_or_b64 exec, exec, s[14:15]
.LBB157_881:
	s_or_b64 exec, exec, s[12:13]
	s_and_saveexec_b64 s[10:11], s[42:43]
; %bb.882:
	v_xor_b32_e32 v13, 0x80000000, v3
	v_xor_b32_e32 v12, 0x80000000, v2
	ds_write_b64 v6, v[12:13]
; %bb.883:
	s_or_b64 exec, exec, s[10:11]
	s_waitcnt lgkmcnt(0)
	s_barrier
	s_and_saveexec_b64 s[10:11], s[40:41]
	s_cbranch_execz .LBB157_885
; %bb.884:
	v_mov_b32_e32 v12, 0
	ds_read_b64 v[12:13], v12 offset:2592
	ds_read_b64 v[14:15], v6
	s_waitcnt lgkmcnt(0)
	v_mul_f32_e32 v16, v14, v12
	v_mul_f32_e32 v14, v14, v13
	v_fmac_f32_e32 v14, v15, v12
	v_fma_f32 v12, v15, v13, -v16
	v_add_f32_e32 v2, v2, v12
	v_sub_f32_e32 v3, v3, v14
.LBB157_885:
	s_or_b64 exec, exec, s[10:11]
	s_barrier
	s_and_saveexec_b64 s[10:11], s[40:41]
; %bb.886:
	v_xor_b32_e32 v13, 0x80000000, v3
	v_xor_b32_e32 v12, 0x80000000, v2
	ds_write_b64 v6, v[12:13]
; %bb.887:
	s_or_b64 exec, exec, s[10:11]
	s_waitcnt lgkmcnt(0)
	s_barrier
	s_barrier
	s_and_saveexec_b64 s[10:11], s[6:7]
; %bb.888:
	v_lshlrev_b32_e32 v12, 3, v4
	v_lshl_or_b32 v12, v5, 9, v12
	ds_write_b64 v12, v[2:3] offset:3104
; %bb.889:
	s_or_b64 exec, exec, s[10:11]
	s_waitcnt lgkmcnt(0)
	s_barrier
	s_barrier
	s_and_saveexec_b64 s[10:11], vcc
	s_cbranch_execz .LBB157_891
; %bb.890:
	s_mov_b64 s[12:13], 0x3f800000
	v_mov_b32_e32 v2, s12
	v_mov_b32_e32 v3, s13
	s_movk_i32 s12, 0x800
	v_add_u32_e64 v12, s12, 0
	ds_write2_b64 v12, v[2:3], v[2:3] offset0:4 offset1:69
.LBB157_891:
	s_or_b64 exec, exec, s[10:11]
	v_mov_b32_e32 v3, 0
	v_mov_b32_e32 v2, 0
	s_waitcnt lgkmcnt(0)
	s_barrier
	buffer_wbinvl1_vol
	s_and_saveexec_b64 s[12:13], s[18:19]
	s_cbranch_execz .LBB157_897
; %bb.892:
	v_lshlrev_b32_e32 v12, 3, v9
	v_lshlrev_b32_e32 v13, 9, v10
	ds_read_b64 v[2:3], v12 offset:2048
	ds_read_b64 v[14:15], v13 offset:2080
	v_cmp_gt_u32_e64 s[10:11], 12, v8
	s_waitcnt lgkmcnt(0)
	v_mul_f32_e32 v16, v15, v3
	v_mul_f32_e32 v3, v14, v3
	v_fma_f32 v14, v14, v2, -v16
	v_fmac_f32_e32 v3, v15, v2
	v_add_f32_e32 v2, 0, v14
	v_add_f32_e32 v3, 0, v3
	s_and_saveexec_b64 s[14:15], s[10:11]
	s_cbranch_execnz .LBB157_1036
; %bb.893:
	s_or_b64 exec, exec, s[14:15]
	v_cmp_gt_u32_e64 s[10:11], 8, v8
	s_and_saveexec_b64 s[14:15], s[10:11]
	s_cbranch_execnz .LBB157_1037
.LBB157_894:
	s_or_b64 exec, exec, s[14:15]
	v_cmp_gt_u32_e64 s[10:11], 4, v8
	s_and_saveexec_b64 s[14:15], s[10:11]
	s_cbranch_execz .LBB157_896
.LBB157_895:
	v_lshlrev_b32_e32 v12, 3, v0
	v_mov_b32_e32 v14, 0
	ds_read_b64 v[12:13], v12 offset:3584
	ds_read_b64 v[14:15], v14 offset:3640
	s_waitcnt lgkmcnt(0)
	v_mul_f32_e32 v16, v15, v13
	v_mul_f32_e32 v13, v14, v13
	v_fma_f32 v14, v14, v12, -v16
	v_fmac_f32_e32 v13, v15, v12
	v_add_f32_e32 v2, v2, v14
	v_add_f32_e32 v3, v3, v13
.LBB157_896:
	s_or_b64 exec, exec, s[14:15]
.LBB157_897:
	s_or_b64 exec, exec, s[12:13]
	s_and_saveexec_b64 s[10:11], s[46:47]
; %bb.898:
	v_xor_b32_e32 v12, 0x80000000, v2
	v_xor_b32_e32 v13, 0x80000000, v3
	ds_write_b64 v11, v[12:13]
; %bb.899:
	s_or_b64 exec, exec, s[10:11]
	s_waitcnt lgkmcnt(0)
	s_barrier
	s_and_saveexec_b64 s[10:11], s[48:49]
	s_cbranch_execz .LBB157_901
; %bb.900:
	v_lshlrev_b32_e32 v12, 3, v9
	ds_read_b64 v[12:13], v12 offset:1536
	ds_read_b64 v[14:15], v11
	s_waitcnt lgkmcnt(0)
	v_mul_f32_e32 v16, v15, v13
	v_mul_f32_e32 v13, v14, v13
	v_fma_f32 v14, v14, v12, -v16
	v_fmac_f32_e32 v13, v15, v12
	v_sub_f32_e32 v2, v2, v14
	v_sub_f32_e32 v3, v3, v13
.LBB157_901:
	s_or_b64 exec, exec, s[10:11]
	s_barrier
	s_and_saveexec_b64 s[10:11], s[50:51]
; %bb.902:
	v_xor_b32_e32 v12, 0x80000000, v2
	v_xor_b32_e32 v13, 0x80000000, v3
	ds_write_b64 v11, v[12:13]
; %bb.903:
	s_or_b64 exec, exec, s[10:11]
	s_waitcnt lgkmcnt(0)
	s_barrier
	s_and_saveexec_b64 s[10:11], s[52:53]
	s_cbranch_execz .LBB157_905
; %bb.904:
	v_lshlrev_b32_e32 v12, 3, v9
	ds_read_b64 v[12:13], v12 offset:1024
	ds_read_b64 v[14:15], v11
	s_waitcnt lgkmcnt(0)
	v_mul_f32_e32 v16, v15, v13
	v_mul_f32_e32 v13, v14, v13
	v_fma_f32 v14, v14, v12, -v16
	v_fmac_f32_e32 v13, v15, v12
	v_sub_f32_e32 v2, v2, v14
	v_sub_f32_e32 v3, v3, v13
.LBB157_905:
	s_or_b64 exec, exec, s[10:11]
	s_barrier
	s_and_saveexec_b64 s[10:11], s[54:55]
; %bb.906:
	v_xor_b32_e32 v12, 0x80000000, v2
	v_xor_b32_e32 v13, 0x80000000, v3
	ds_write_b64 v11, v[12:13]
; %bb.907:
	s_or_b64 exec, exec, s[10:11]
	s_waitcnt lgkmcnt(0)
	s_barrier
	s_and_saveexec_b64 s[10:11], s[44:45]
	s_cbranch_execz .LBB157_909
; %bb.908:
	v_mov_b32_e32 v12, 0
	ds_read_b64 v[12:13], v12 offset:512
	ds_read_b64 v[14:15], v11
	s_waitcnt lgkmcnt(0)
	v_mul_f32_e32 v16, v15, v13
	v_mul_f32_e32 v13, v14, v13
	v_fma_f32 v14, v14, v12, -v16
	v_fmac_f32_e32 v13, v15, v12
	v_sub_f32_e32 v2, v2, v14
	v_sub_f32_e32 v3, v3, v13
.LBB157_909:
	s_or_b64 exec, exec, s[10:11]
	s_barrier
	s_and_saveexec_b64 s[10:11], s[44:45]
; %bb.910:
	v_xor_b32_e32 v12, 0x80000000, v2
	v_xor_b32_e32 v13, 0x80000000, v3
	ds_write_b64 v11, v[12:13]
; %bb.911:
	s_or_b64 exec, exec, s[10:11]
	s_waitcnt lgkmcnt(0)
	s_barrier
	s_barrier
	s_and_saveexec_b64 s[10:11], s[18:19]
; %bb.912:
	v_lshlrev_b32_e32 v9, 3, v9
	v_lshl_or_b32 v9, v10, 9, v9
	ds_write_b64 v9, v[2:3] offset:2048
; %bb.913:
	s_or_b64 exec, exec, s[10:11]
	s_waitcnt lgkmcnt(0)
	s_barrier
	s_barrier
	s_and_saveexec_b64 s[10:11], vcc
; %bb.914:
	s_mov_b64 s[12:13], 0x3f800000
	v_mov_b32_e32 v2, s12
	v_mov_b32_e32 v9, 0
	;; [unrolled: 1-line block ×3, first 2 shown]
	ds_write2_b64 v9, v[2:3], v[2:3] offset0:130 offset1:195
; %bb.915:
	s_or_b64 exec, exec, s[10:11]
	v_mov_b32_e32 v2, 0
	v_mov_b32_e32 v3, 0
	s_waitcnt lgkmcnt(0)
	s_barrier
	buffer_wbinvl1_vol
	s_and_saveexec_b64 s[12:13], s[6:7]
	s_cbranch_execz .LBB157_919
; %bb.916:
	v_lshlrev_b32_e32 v2, 3, v4
	v_lshlrev_b32_e32 v9, 9, v5
	ds_read_b64 v[2:3], v2 offset:1024
	ds_read_b64 v[9:10], v9 offset:1040
	v_cmp_gt_u32_e64 s[10:11], 2, v8
	s_waitcnt lgkmcnt(0)
	v_mul_f32_e32 v11, v10, v3
	v_mul_f32_e32 v3, v9, v3
	v_fma_f32 v9, v9, v2, -v11
	v_fmac_f32_e32 v3, v10, v2
	v_add_f32_e32 v2, 0, v9
	v_add_f32_e32 v3, 0, v3
	s_and_saveexec_b64 s[14:15], s[10:11]
	s_cbranch_execz .LBB157_918
; %bb.917:
	v_lshlrev_b32_e32 v8, 3, v0
	v_mov_b32_e32 v10, 0
	ds_read_b64 v[8:9], v8 offset:1536
	ds_read_b64 v[10:11], v10 offset:1560
	s_waitcnt lgkmcnt(0)
	v_mul_f32_e32 v12, v11, v9
	v_mul_f32_e32 v9, v10, v9
	v_fma_f32 v10, v10, v8, -v12
	v_fmac_f32_e32 v9, v11, v8
	v_add_f32_e32 v2, v2, v10
	v_add_f32_e32 v3, v3, v9
.LBB157_918:
	s_or_b64 exec, exec, s[14:15]
.LBB157_919:
	s_or_b64 exec, exec, s[12:13]
	s_and_saveexec_b64 s[10:11], s[42:43]
; %bb.920:
	v_xor_b32_e32 v9, 0x80000000, v3
	v_xor_b32_e32 v8, 0x80000000, v2
	ds_write_b64 v6, v[8:9]
; %bb.921:
	s_or_b64 exec, exec, s[10:11]
	s_waitcnt lgkmcnt(0)
	s_barrier
	s_and_saveexec_b64 s[10:11], s[40:41]
	s_cbranch_execz .LBB157_923
; %bb.922:
	v_mov_b32_e32 v8, 0
	ds_read_b64 v[8:9], v8 offset:512
	ds_read_b64 v[10:11], v6
	s_waitcnt lgkmcnt(0)
	v_mul_f32_e32 v12, v10, v8
	v_mul_f32_e32 v10, v10, v9
	v_fmac_f32_e32 v10, v11, v8
	v_fma_f32 v8, v11, v9, -v12
	v_add_f32_e32 v2, v2, v8
	v_sub_f32_e32 v3, v3, v10
.LBB157_923:
	s_or_b64 exec, exec, s[10:11]
	s_barrier
	s_and_saveexec_b64 s[10:11], s[40:41]
; %bb.924:
	v_xor_b32_e32 v9, 0x80000000, v3
	v_xor_b32_e32 v8, 0x80000000, v2
	ds_write_b64 v6, v[8:9]
; %bb.925:
	s_or_b64 exec, exec, s[10:11]
	s_waitcnt lgkmcnt(0)
	s_barrier
	s_barrier
	s_and_saveexec_b64 s[10:11], s[6:7]
; %bb.926:
	v_lshlrev_b32_e32 v4, 3, v4
	v_lshl_or_b32 v4, v5, 9, v4
	ds_write_b64 v4, v[2:3] offset:1024
; %bb.927:
	s_or_b64 exec, exec, s[10:11]
	s_waitcnt lgkmcnt(0)
	s_barrier
	s_barrier
	s_and_saveexec_b64 s[6:7], vcc
; %bb.928:
	s_mov_b64 s[10:11], 0x3f800000
	v_mov_b32_e32 v2, s10
	v_mov_b32_e32 v4, 0
	;; [unrolled: 1-line block ×3, first 2 shown]
	ds_write2_b64 v4, v[2:3], v[2:3] offset1:65
; %bb.929:
	s_or_b64 exec, exec, s[6:7]
.LBB157_930:
	s_load_dwordx4 s[12:15], s[4:5], 0x30
	v_cmp_le_i32_e32 vcc, s96, v0
	v_mov_b32_e32 v2, 0
	v_lshl_add_u32 v4, s33, 6, v0
	v_mov_b32_e32 v3, v2
	s_waitcnt lgkmcnt(0)
	s_lshl_b64 s[6:7], s[14:15], 3
	s_add_u32 s44, s36, s6
	s_addc_u32 s45, s37, s7
	s_and_b64 s[18:19], vcc, s[34:35]
	v_cmp_eq_u32_e64 s[6:7], 0, v1
	s_xor_b64 s[10:11], s[18:19], -1
	s_and_b64 s[12:13], s[6:7], s[10:11]
	s_barrier
	s_and_saveexec_b64 s[10:11], s[12:13]
	s_cbranch_execz .LBB157_932
; %bb.931:
	v_ashrrev_i32_e32 v5, 31, v4
	v_mul_lo_u32 v6, s27, v4
	v_mad_u64_u32 v[2:3], s[12:13], s26, v4, 0
	v_mul_lo_u32 v5, s26, v5
	s_load_dwordx2 s[12:13], s[4:5], 0x28
	v_add3_u32 v3, v3, v5, v6
	v_lshlrev_b64 v[2:3], 3, v[2:3]
	v_mov_b32_e32 v5, s45
	v_add_co_u32_e32 v2, vcc, s44, v2
	v_addc_co_u32_e32 v3, vcc, v5, v3, vcc
	flat_load_dwordx2 v[5:6], v[2:3]
	s_waitcnt vmcnt(0) lgkmcnt(0)
	v_mul_f32_e32 v2, s12, v5
	v_mul_f32_e32 v3, s12, v6
	v_fma_f32 v2, s13, v6, -v2
	v_fma_f32 v3, v5, -s13, -v3
.LBB157_932:
	s_or_b64 exec, exec, s[10:11]
	s_load_dwordx2 s[16:17], s[4:5], 0x50
	s_and_b32 s4, 0xffff, s99
	v_mad_u32_u24 v8, v1, s4, v0
	s_cmp_lt_i32 s8, 1
	v_cmp_eq_u32_e64 s[4:5], 0, v8
	s_cbranch_scc1 .LBB157_951
; %bb.933:
	s_lshl_b64 s[10:11], s[24:25], 2
	v_ashrrev_i32_e32 v5, 31, v4
	s_waitcnt lgkmcnt(0)
	s_add_u32 s22, s16, s10
	s_addc_u32 s23, s17, s11
	v_cmp_gt_i32_e64 s[10:11], s28, v4
	v_lshlrev_b64 v[4:5], 3, v[4:5]
	v_mov_b32_e32 v6, 0xa000
	s_mov_b64 s[20:21], src_private_base
	v_lshl_add_u32 v9, v8, 3, v6
	v_lshl_or_b32 v10, v1, 3, v6
	v_mov_b32_e32 v6, s98
	v_add_co_u32_e32 v11, vcc, s97, v4
	s_mul_i32 s14, s31, 0x180
	s_mul_hi_u32 s15, s30, 0x180
	s_mov_b32 s20, 0
	v_cmp_gt_u32_e64 s[12:13], 64, v8
	s_add_i32 s46, s33, 1
	v_addc_co_u32_e32 v12, vcc, v6, v5, vcc
	s_lshl_b64 s[36:37], s[30:31], 7
	s_lshl_b64 s[40:41], s[30:31], 8
	s_add_i32 s47, s15, s14
	s_mul_i32 s48, s30, 0x180
	v_mov_b32_e32 v15, -1
	v_mov_b32_e32 v4, 0
	v_mov_b32_e32 v13, 0
	;; [unrolled: 1-line block ×5, first 2 shown]
	s_branch .LBB157_935
.LBB157_934:                            ;   in Loop: Header=BB157_935 Depth=1
	s_or_b64 exec, exec, s[42:43]
	s_add_i32 s20, s20, 1
	s_cmp_eq_u32 s20, s8
	s_cbranch_scc1 .LBB157_951
.LBB157_935:                            ; =>This Loop Header: Depth=1
                                        ;     Child Loop BB157_937 Depth 2
	v_cmp_gt_i32_e32 vcc, s20, v15
	s_and_b64 s[42:43], s[4:5], vcc
	s_and_saveexec_b64 s[14:15], s[42:43]
	s_cbranch_execz .LBB157_938
; %bb.936:                              ;   in Loop: Header=BB157_935 Depth=1
	global_load_dword v15, v4, s[22:23]
	s_waitcnt vmcnt(0)
	v_cmp_le_i32_e32 vcc, s20, v15
	s_cbranch_vccnz .LBB157_938
.LBB157_937:                            ;   Parent Loop BB157_935 Depth=1
                                        ; =>  This Inner Loop Header: Depth=2
	buffer_wbinvl1_vol
	global_load_dword v15, v4, s[22:23]
	s_waitcnt vmcnt(0)
	v_cmp_gt_i32_e32 vcc, s20, v15
	s_cbranch_vccnz .LBB157_937
.LBB157_938:                            ;   in Loop: Header=BB157_935 Depth=1
	s_or_b64 exec, exec, s[14:15]
	s_sub_i32 s49, s9, s20
	s_lshl_b32 s50, s49, 6
	buffer_wbinvl1_vol
	s_barrier
	s_and_saveexec_b64 s[14:15], s[12:13]
	s_cbranch_execz .LBB157_943
; %bb.939:                              ;   in Loop: Header=BB157_935 Depth=1
	s_ashr_i32 s42, s50, 31
	v_mov_b32_e32 v6, s42
	v_or_b32_e32 v5, s50, v8
	v_cmp_le_i64_e32 vcc, s[28:29], v[5:6]
	s_and_saveexec_b64 s[42:43], vcc
	s_xor_b64 s[42:43], exec, s[42:43]
; %bb.940:                              ;   in Loop: Header=BB157_935 Depth=1
	v_mov_b32_e32 v5, v4
	ds_write_b64 v9, v[4:5]
                                        ; implicit-def: $vgpr5_vgpr6
; %bb.941:                              ;   in Loop: Header=BB157_935 Depth=1
	s_andn2_saveexec_b64 s[42:43], s[42:43]
	s_cbranch_execz .LBB157_943
; %bb.942:                              ;   in Loop: Header=BB157_935 Depth=1
	v_mul_lo_u32 v18, v6, s26
	v_mul_lo_u32 v19, v5, s27
	v_mad_u64_u32 v[5:6], s[42:43], v5, s26, 0
	v_add3_u32 v6, v6, v19, v18
	v_lshlrev_b64 v[5:6], 3, v[5:6]
	v_mov_b32_e32 v18, s45
	v_add_co_u32_e32 v5, vcc, s44, v5
	v_addc_co_u32_e32 v6, vcc, v18, v6, vcc
	flat_load_dwordx2 v[5:6], v[5:6]
	s_waitcnt vmcnt(0) lgkmcnt(0)
	ds_write_b64 v9, v[5:6]
.LBB157_943:                            ;   in Loop: Header=BB157_935 Depth=1
	s_or_b64 exec, exec, s[14:15]
	v_add_u32_e32 v5, s50, v1
	v_ashrrev_i32_e32 v6, 31, v5
	v_mul_lo_u32 v20, s31, v5
	v_mad_u64_u32 v[18:19], s[14:15], s30, v5, 0
	v_mul_lo_u32 v6, s30, v6
	s_cmp_eq_u32 s49, s46
	s_cselect_b64 vcc, -1, 0
	s_waitcnt lgkmcnt(0)
	v_add3_u32 v19, v19, v6, v20
	v_lshlrev_b64 v[18:19], 3, v[18:19]
	s_barrier
	v_add_co_u32_e64 v6, s[14:15], v11, v18
	v_addc_co_u32_e64 v18, s[14:15], v12, v19, s[14:15]
	v_cmp_gt_i32_e64 s[14:15], s28, v5
	s_and_b64 s[42:43], s[10:11], s[14:15]
	s_and_saveexec_b64 s[14:15], s[42:43]
	s_cbranch_execz .LBB157_945
; %bb.944:                              ;   in Loop: Header=BB157_935 Depth=1
	v_mov_b32_e32 v19, s21
	v_cndmask_b32_e32 v20, v18, v19, vcc
	v_cndmask_b32_e32 v19, v6, v13, vcc
	flat_load_dwordx2 v[19:20], v[19:20]
	ds_read_b64 v[21:22], v10
	s_waitcnt vmcnt(0) lgkmcnt(0)
	v_mul_f32_e32 v23, v22, v20
	v_mul_f32_e32 v20, v21, v20
	v_fma_f32 v21, v21, v19, -v23
	v_fmac_f32_e32 v20, v22, v19
	v_add_f32_e32 v2, v2, v21
	v_add_f32_e32 v3, v3, v20
.LBB157_945:                            ;   in Loop: Header=BB157_935 Depth=1
	s_or_b64 exec, exec, s[14:15]
	v_add_u32_e32 v19, 16, v5
	v_cmp_gt_i32_e64 s[14:15], s28, v19
	s_and_b64 s[14:15], s[10:11], s[14:15]
	s_and_saveexec_b64 s[42:43], s[14:15]
	s_cbranch_execz .LBB157_947
; %bb.946:                              ;   in Loop: Header=BB157_935 Depth=1
	v_mov_b32_e32 v19, s37
	v_add_co_u32_e64 v21, s[14:15], s36, v6
	v_addc_co_u32_e64 v19, s[14:15], v18, v19, s[14:15]
	v_mov_b32_e32 v20, s21
	v_cndmask_b32_e32 v20, v19, v20, vcc
	v_cndmask_b32_e32 v19, v21, v14, vcc
	flat_load_dwordx2 v[19:20], v[19:20]
	ds_read_b64 v[21:22], v10 offset:128
	s_waitcnt vmcnt(0) lgkmcnt(0)
	v_mul_f32_e32 v23, v22, v20
	v_mul_f32_e32 v20, v21, v20
	v_fma_f32 v21, v21, v19, -v23
	v_fmac_f32_e32 v20, v22, v19
	v_add_f32_e32 v2, v2, v21
	v_add_f32_e32 v3, v3, v20
.LBB157_947:                            ;   in Loop: Header=BB157_935 Depth=1
	s_or_b64 exec, exec, s[42:43]
	v_add_u32_e32 v19, 32, v5
	v_cmp_gt_i32_e64 s[14:15], s28, v19
	s_and_b64 s[14:15], s[10:11], s[14:15]
	s_and_saveexec_b64 s[42:43], s[14:15]
	s_cbranch_execz .LBB157_949
; %bb.948:                              ;   in Loop: Header=BB157_935 Depth=1
	v_mov_b32_e32 v19, s41
	v_add_co_u32_e64 v21, s[14:15], s40, v6
	v_addc_co_u32_e64 v19, s[14:15], v18, v19, s[14:15]
	v_mov_b32_e32 v20, s21
	v_cndmask_b32_e32 v20, v19, v20, vcc
	v_cndmask_b32_e32 v19, v21, v16, vcc
	flat_load_dwordx2 v[19:20], v[19:20]
	ds_read_b64 v[21:22], v10 offset:256
	s_waitcnt vmcnt(0) lgkmcnt(0)
	v_mul_f32_e32 v23, v22, v20
	v_mul_f32_e32 v20, v21, v20
	v_fma_f32 v21, v21, v19, -v23
	v_fmac_f32_e32 v20, v22, v19
	v_add_f32_e32 v2, v2, v21
	v_add_f32_e32 v3, v3, v20
.LBB157_949:                            ;   in Loop: Header=BB157_935 Depth=1
	s_or_b64 exec, exec, s[42:43]
	v_add_u32_e32 v5, 48, v5
	v_cmp_gt_i32_e64 s[14:15], s28, v5
	s_and_b64 s[14:15], s[10:11], s[14:15]
	s_and_saveexec_b64 s[42:43], s[14:15]
	s_cbranch_execz .LBB157_934
; %bb.950:                              ;   in Loop: Header=BB157_935 Depth=1
	v_mov_b32_e32 v5, s47
	v_add_co_u32_e64 v19, s[14:15], s48, v6
	v_addc_co_u32_e64 v5, s[14:15], v18, v5, s[14:15]
	v_mov_b32_e32 v6, s21
	v_cndmask_b32_e32 v6, v5, v6, vcc
	v_cndmask_b32_e32 v5, v19, v17, vcc
	flat_load_dwordx2 v[5:6], v[5:6]
	ds_read_b64 v[18:19], v10 offset:384
	s_waitcnt vmcnt(0) lgkmcnt(0)
	v_mul_f32_e32 v20, v19, v6
	v_mul_f32_e32 v6, v18, v6
	v_fma_f32 v18, v18, v5, -v20
	v_fmac_f32_e32 v6, v19, v5
	v_add_f32_e32 v2, v2, v18
	v_add_f32_e32 v3, v3, v6
	s_branch .LBB157_934
.LBB157_951:
	s_xor_b64 s[4:5], s[34:35], -1
	s_xor_b64 s[8:9], s[38:39], -1
	v_lshlrev_b32_e32 v6, 3, v7
	ds_write_b64 v6, v[2:3] offset:32768
	s_waitcnt lgkmcnt(0)
	s_barrier
	s_and_saveexec_b64 s[10:11], s[6:7]
	s_cbranch_execz .LBB157_953
; %bb.952:
	v_lshlrev_b32_e32 v7, 3, v0
	ds_read2st64_b64 v[9:12], v7 offset0:65 offset1:66
	ds_read2st64_b64 v[13:16], v7 offset0:67 offset1:68
	ds_read_b64 v[17:18], v7 offset:40448
	s_waitcnt lgkmcnt(2)
	v_add_f32_e32 v2, v2, v9
	v_add_f32_e32 v3, v3, v10
	;; [unrolled: 1-line block ×4, first 2 shown]
	ds_read2st64_b64 v[2:5], v7 offset0:69 offset1:70
	s_waitcnt lgkmcnt(2)
	v_add_f32_e32 v9, v9, v13
	v_add_f32_e32 v10, v10, v14
	;; [unrolled: 1-line block ×4, first 2 shown]
	s_waitcnt lgkmcnt(0)
	v_add_f32_e32 v2, v9, v2
	ds_read2st64_b64 v[9:12], v7 offset0:71 offset1:72
	v_add_f32_e32 v3, v13, v3
	v_add_f32_e32 v13, v2, v4
	;; [unrolled: 1-line block ×3, first 2 shown]
	ds_read2st64_b64 v[2:5], v7 offset0:73 offset1:74
	s_waitcnt lgkmcnt(1)
	v_add_f32_e32 v9, v13, v9
	v_add_f32_e32 v10, v14, v10
	;; [unrolled: 1-line block ×4, first 2 shown]
	s_waitcnt lgkmcnt(0)
	v_add_f32_e32 v2, v9, v2
	ds_read2st64_b64 v[9:12], v7 offset0:75 offset1:76
	v_add_f32_e32 v3, v13, v3
	v_add_f32_e32 v13, v2, v4
	;; [unrolled: 1-line block ×3, first 2 shown]
	ds_read2st64_b64 v[2:5], v7 offset0:77 offset1:78
	s_waitcnt lgkmcnt(1)
	v_add_f32_e32 v7, v13, v9
	v_add_f32_e32 v9, v14, v10
	;; [unrolled: 1-line block ×4, first 2 shown]
	s_waitcnt lgkmcnt(0)
	v_add_f32_e32 v2, v7, v2
	v_add_f32_e32 v3, v9, v3
	;; [unrolled: 1-line block ×6, first 2 shown]
	v_cndmask_b32_e64 v2, -v2, 0, s[18:19]
	v_cndmask_b32_e64 v3, -v3, 0, s[18:19]
.LBB157_953:
	s_or_b64 exec, exec, s[10:11]
	s_andn2_b64 vcc, exec, s[8:9]
	s_cbranch_vccnz .LBB157_966
; %bb.954:
	v_mov_b32_e32 v4, 0xa000
	v_lshl_or_b32 v7, v1, 3, v4
	s_and_saveexec_b64 s[8:9], s[6:7]
; %bb.955:
	v_lshl_add_u32 v4, v0, 3, v7
	ds_write_b64 v4, v[2:3]
; %bb.956:
	s_or_b64 exec, exec, s[8:9]
	v_cmp_le_u32_e32 vcc, v0, v1
	v_mov_b32_e32 v4, 0
	v_mov_b32_e32 v5, 0
	s_waitcnt lgkmcnt(0)
	s_barrier
	s_and_saveexec_b64 s[8:9], vcc
	s_cbranch_execz .LBB157_958
; %bb.957:
	ds_read_b64 v[4:5], v6
	ds_read_b64 v[9:10], v7
	s_waitcnt lgkmcnt(0)
	v_mul_f32_e32 v11, v10, v5
	v_mul_f32_e32 v5, v9, v5
	v_fma_f32 v9, v9, v4, -v11
	v_fmac_f32_e32 v5, v10, v4
	v_add_f32_e32 v4, 0, v9
	v_add_f32_e32 v5, 0, v5
.LBB157_958:
	s_or_b64 exec, exec, s[8:9]
	v_add_u32_e32 v9, 16, v1
	v_cmp_le_u32_e32 vcc, v0, v9
	s_and_saveexec_b64 s[8:9], vcc
	s_cbranch_execz .LBB157_960
; %bb.959:
	ds_read_b64 v[9:10], v6 offset:8192
	ds_read_b64 v[11:12], v7 offset:128
	s_waitcnt lgkmcnt(0)
	v_mul_f32_e32 v13, v12, v10
	v_mul_f32_e32 v10, v11, v10
	v_fma_f32 v11, v11, v9, -v13
	v_fmac_f32_e32 v10, v12, v9
	v_add_f32_e32 v4, v4, v11
	v_add_f32_e32 v5, v5, v10
.LBB157_960:
	s_or_b64 exec, exec, s[8:9]
	v_add_u32_e32 v9, 32, v1
	v_cmp_le_u32_e32 vcc, v0, v9
	s_and_saveexec_b64 s[8:9], vcc
	s_cbranch_execz .LBB157_962
; %bb.961:
	ds_read_b64 v[9:10], v6 offset:16384
	ds_read_b64 v[11:12], v7 offset:256
	s_waitcnt lgkmcnt(0)
	v_mul_f32_e32 v13, v12, v10
	v_mul_f32_e32 v10, v11, v10
	v_fma_f32 v11, v11, v9, -v13
	v_fmac_f32_e32 v10, v12, v9
	v_add_f32_e32 v4, v4, v11
	v_add_f32_e32 v5, v5, v10
.LBB157_962:
	s_or_b64 exec, exec, s[8:9]
	v_add_u32_e32 v1, 48, v1
	v_add_u32_e32 v9, 0x8000, v6
	v_cmp_le_u32_e32 vcc, v0, v1
	s_and_saveexec_b64 s[8:9], vcc
	s_cbranch_execz .LBB157_964
; %bb.963:
	ds_read_b64 v[10:11], v6 offset:24576
	ds_read_b64 v[6:7], v7 offset:384
	s_waitcnt lgkmcnt(0)
	v_mul_f32_e32 v1, v7, v11
	v_mul_f32_e32 v11, v6, v11
	v_fma_f32 v1, v6, v10, -v1
	v_fmac_f32_e32 v11, v7, v10
	v_add_f32_e32 v4, v4, v1
	v_add_f32_e32 v5, v5, v11
.LBB157_964:
	s_or_b64 exec, exec, s[8:9]
	s_mov_b64 s[10:11], 0
	s_mov_b64 s[8:9], 0
	ds_write_b64 v9, v[4:5]
	s_waitcnt lgkmcnt(0)
	s_barrier
                                        ; implicit-def: $vgpr1
                                        ; implicit-def: $vgpr6
	s_and_saveexec_b64 s[12:13], s[6:7]
	s_cbranch_execz .LBB157_984
; %bb.965:
	v_lshlrev_b32_e32 v1, 3, v0
	ds_read2st64_b64 v[9:12], v1 offset0:65 offset1:66
	ds_read2st64_b64 v[13:16], v1 offset0:67 offset1:68
	ds_read_b64 v[17:18], v1 offset:40448
	s_mov_b64 s[8:9], exec
	s_waitcnt lgkmcnt(2)
	v_add_f32_e32 v4, v4, v9
	v_add_f32_e32 v5, v5, v10
	;; [unrolled: 1-line block ×4, first 2 shown]
	ds_read2st64_b64 v[4:7], v1 offset0:69 offset1:70
	s_waitcnt lgkmcnt(2)
	v_add_f32_e32 v9, v9, v13
	v_add_f32_e32 v10, v10, v14
	;; [unrolled: 1-line block ×4, first 2 shown]
	s_waitcnt lgkmcnt(0)
	v_add_f32_e32 v4, v9, v4
	ds_read2st64_b64 v[9:12], v1 offset0:71 offset1:72
	v_add_f32_e32 v5, v13, v5
	v_add_f32_e32 v13, v4, v6
	;; [unrolled: 1-line block ×3, first 2 shown]
	ds_read2st64_b64 v[4:7], v1 offset0:73 offset1:74
	s_waitcnt lgkmcnt(1)
	v_add_f32_e32 v9, v13, v9
	v_add_f32_e32 v10, v14, v10
	;; [unrolled: 1-line block ×4, first 2 shown]
	s_waitcnt lgkmcnt(0)
	v_add_f32_e32 v4, v9, v4
	ds_read2st64_b64 v[9:12], v1 offset0:75 offset1:76
	v_add_f32_e32 v5, v13, v5
	v_add_f32_e32 v13, v4, v6
	;; [unrolled: 1-line block ×3, first 2 shown]
	ds_read2st64_b64 v[4:7], v1 offset0:77 offset1:78
	s_waitcnt lgkmcnt(1)
	v_add_f32_e32 v1, v13, v9
	v_add_f32_e32 v9, v14, v10
	;; [unrolled: 1-line block ×4, first 2 shown]
	s_waitcnt lgkmcnt(0)
	v_add_f32_e32 v1, v1, v4
	v_add_f32_e32 v4, v9, v5
	;; [unrolled: 1-line block ×6, first 2 shown]
	s_or_b64 exec, exec, s[12:13]
	s_and_b64 vcc, exec, s[10:11]
	s_cbranch_vccnz .LBB157_967
	s_branch .LBB157_985
.LBB157_966:
	s_mov_b64 s[8:9], 0
                                        ; implicit-def: $vgpr1
                                        ; implicit-def: $vgpr6
	s_cbranch_execz .LBB157_985
.LBB157_967:
	v_mov_b32_e32 v1, 0x7c00
	v_lshl_add_u32 v1, v0, 3, v1
	v_mov_b32_e32 v5, 63
	v_mov_b32_e32 v4, 0
	s_branch .LBB157_969
.LBB157_968:                            ;   in Loop: Header=BB157_969 Depth=1
	s_or_b64 exec, exec, s[10:11]
	v_subrev_co_u32_e32 v5, vcc, 1, v5
	s_andn2_b64 vcc, exec, vcc
	v_add_u32_e32 v1, 0xfffffc00, v1
	s_barrier
	s_cbranch_vccz .LBB157_977
.LBB157_969:                            ; =>This Inner Loop Header: Depth=1
	v_cmp_eq_u32_e32 vcc, v0, v5
	s_and_b64 s[12:13], s[6:7], vcc
	s_and_saveexec_b64 s[10:11], s[12:13]
; %bb.970:                              ;   in Loop: Header=BB157_969 Depth=1
	ds_write_b64 v4, v[2:3] offset:41472
; %bb.971:                              ;   in Loop: Header=BB157_969 Depth=1
	s_or_b64 exec, exec, s[10:11]
	v_cmp_lt_u32_e32 vcc, v0, v5
	s_and_b64 s[12:13], s[6:7], vcc
	s_waitcnt lgkmcnt(0)
	s_barrier
	s_and_saveexec_b64 s[10:11], s[12:13]
	s_cbranch_execz .LBB157_973
; %bb.972:                              ;   in Loop: Header=BB157_969 Depth=1
	ds_read_b64 v[6:7], v1 offset:512
	ds_read_b64 v[9:10], v4 offset:41472
	s_waitcnt lgkmcnt(0)
	v_mul_f32_e32 v11, v10, v7
	v_mul_f32_e32 v7, v9, v7
	v_fma_f32 v9, v9, v6, -v11
	v_fmac_f32_e32 v7, v10, v6
	v_add_f32_e32 v2, v2, v9
	v_add_f32_e32 v3, v3, v7
.LBB157_973:                            ;   in Loop: Header=BB157_969 Depth=1
	s_or_b64 exec, exec, s[10:11]
	v_add_u32_e32 v5, -1, v5
	v_cmp_eq_u32_e32 vcc, v0, v5
	s_and_b64 s[12:13], s[6:7], vcc
	s_barrier
	s_and_saveexec_b64 s[10:11], s[12:13]
; %bb.974:                              ;   in Loop: Header=BB157_969 Depth=1
	ds_write_b64 v4, v[2:3] offset:41472
; %bb.975:                              ;   in Loop: Header=BB157_969 Depth=1
	s_or_b64 exec, exec, s[10:11]
	v_cmp_lt_u32_e32 vcc, v0, v5
	s_and_b64 s[12:13], s[6:7], vcc
	s_waitcnt lgkmcnt(0)
	s_barrier
	s_and_saveexec_b64 s[10:11], s[12:13]
	s_cbranch_execz .LBB157_968
; %bb.976:                              ;   in Loop: Header=BB157_969 Depth=1
	ds_read_b64 v[6:7], v1
	ds_read_b64 v[9:10], v4 offset:41472
	s_waitcnt lgkmcnt(0)
	v_mul_f32_e32 v11, v10, v7
	v_mul_f32_e32 v7, v9, v7
	v_fma_f32 v9, v9, v6, -v11
	v_fmac_f32_e32 v7, v10, v6
	v_add_f32_e32 v2, v2, v9
	v_add_f32_e32 v3, v3, v7
	s_branch .LBB157_968
.LBB157_977:
	s_mov_b64 s[10:11], -1
	s_and_b64 vcc, exec, s[4:5]
	s_cbranch_vccnz .LBB157_986
; %bb.978:
	s_andn2_b64 vcc, exec, s[10:11]
	s_cbranch_vccz .LBB157_987
.LBB157_979:
	s_and_saveexec_b64 s[4:5], s[8:9]
	s_cbranch_execz .LBB157_981
.LBB157_980:
	s_lshl_b32 s6, s33, 6
	s_ashr_i32 s7, s6, 31
	v_mov_b32_e32 v0, s7
	v_add_co_u32_e32 v1, vcc, s6, v8
	v_addc_co_u32_e32 v0, vcc, 0, v0, vcc
	v_mul_lo_u32 v4, v0, s26
	v_mul_lo_u32 v5, v1, s27
	v_mad_u64_u32 v[0:1], s[6:7], v1, s26, 0
	v_add3_u32 v1, v1, v5, v4
	v_lshlrev_b64 v[0:1], 3, v[0:1]
	v_mov_b32_e32 v4, s45
	v_add_co_u32_e32 v0, vcc, s44, v0
	v_addc_co_u32_e32 v1, vcc, v4, v1, vcc
	flat_store_dwordx2 v[0:1], v[2:3]
.LBB157_981:
	s_or_b64 exec, exec, s[4:5]
	v_cmp_eq_u32_e32 vcc, 0, v8
	s_waitcnt vmcnt(0) lgkmcnt(0)
	buffer_wbinvl1_vol
	s_barrier
	s_and_saveexec_b64 s[4:5], vcc
	s_cbranch_execz .LBB157_983
; %bb.982:
	s_lshl_b64 s[6:7], s[24:25], 2
	s_add_u32 s6, s16, s6
	s_addc_u32 s7, s17, s7
	v_mov_b32_e32 v0, 0
	global_load_dword v1, v0, s[6:7]
	s_waitcnt vmcnt(0)
	v_add_u32_e32 v1, 1, v1
	global_store_dword v0, v1, s[6:7]
.LBB157_983:
	s_or_b64 exec, exec, s[4:5]
	s_waitcnt vmcnt(0)
	buffer_wbinvl1_vol
	s_endpgm
.LBB157_984:
	s_or_b64 exec, exec, s[12:13]
	s_and_b64 vcc, exec, s[10:11]
	s_cbranch_vccnz .LBB157_967
.LBB157_985:
	v_mov_b32_e32 v3, v1
	v_mov_b32_e32 v2, v6
	s_and_saveexec_b64 s[4:5], s[8:9]
	s_cbranch_execnz .LBB157_980
	s_branch .LBB157_981
.LBB157_986:
	s_andn2_b64 s[4:5], s[8:9], exec
	s_and_b64 s[8:9], s[6:7], exec
	s_or_b64 s[8:9], s[4:5], s[8:9]
	s_cbranch_execnz .LBB157_979
.LBB157_987:
	v_cmp_gt_i32_e32 vcc, s96, v0
	s_and_b64 s[4:5], s[6:7], vcc
	s_andn2_b64 s[6:7], s[8:9], exec
	s_and_b64 s[4:5], s[4:5], exec
	s_or_b64 s[8:9], s[6:7], s[4:5]
	s_and_saveexec_b64 s[4:5], s[8:9]
	s_cbranch_execnz .LBB157_980
	s_branch .LBB157_981
.LBB157_988:
	ds_read_b64 v[14:15], v12 offset:31680
	ds_read_b64 v[16:17], v13 offset:31208
	s_waitcnt lgkmcnt(0)
	v_mul_f32_e32 v18, v17, v15
	v_mul_f32_e32 v15, v16, v15
	v_fma_f32 v16, v16, v14, -v18
	v_fmac_f32_e32 v15, v17, v14
	v_add_f32_e32 v2, v2, v16
	v_add_f32_e32 v3, v3, v15
	s_or_b64 exec, exec, s[16:17]
	v_cmp_gt_u32_e64 s[12:13], 8, v8
	s_and_saveexec_b64 s[16:17], s[12:13]
	s_cbranch_execz .LBB157_90
.LBB157_989:
	ds_read_b64 v[14:15], v12 offset:32192
	ds_read_b64 v[12:13], v13 offset:31216
	s_waitcnt lgkmcnt(0)
	v_mul_f32_e32 v16, v13, v15
	v_mul_f32_e32 v15, v12, v15
	v_fma_f32 v12, v12, v14, -v16
	v_fmac_f32_e32 v15, v13, v14
	v_add_f32_e32 v2, v2, v12
	v_add_f32_e32 v3, v3, v15
	s_or_b64 exec, exec, s[16:17]
	v_cmp_gt_u32_e64 s[12:13], 4, v8
	s_and_saveexec_b64 s[16:17], s[12:13]
	s_cbranch_execnz .LBB157_91
	s_branch .LBB157_92
.LBB157_990:
	ds_read_b64 v[17:18], v15 offset:29568
	ds_read_b64 v[19:20], v16 offset:29128
	s_waitcnt lgkmcnt(0)
	v_mul_f32_e32 v21, v20, v18
	v_mul_f32_e32 v18, v19, v18
	v_fma_f32 v19, v19, v17, -v21
	v_fmac_f32_e32 v18, v20, v17
	v_add_f32_e32 v2, v2, v19
	v_add_f32_e32 v3, v3, v18
	s_or_b64 exec, exec, s[20:21]
	v_cmp_gt_u32_e64 s[14:15], 48, v8
	s_and_saveexec_b64 s[20:21], s[14:15]
	s_cbranch_execz .LBB157_128
.LBB157_991:
	ds_read_b64 v[17:18], v15 offset:30080
	ds_read_b64 v[19:20], v16 offset:29136
	s_waitcnt lgkmcnt(0)
	v_mul_f32_e32 v21, v20, v18
	v_mul_f32_e32 v18, v19, v18
	v_fma_f32 v19, v19, v17, -v21
	v_fmac_f32_e32 v18, v20, v17
	v_add_f32_e32 v2, v2, v19
	v_add_f32_e32 v3, v3, v18
	s_or_b64 exec, exec, s[20:21]
	v_cmp_gt_u32_e64 s[14:15], 40, v8
	s_and_saveexec_b64 s[20:21], s[14:15]
	s_cbranch_execz .LBB157_129
.LBB157_992:
	ds_read_b64 v[17:18], v15 offset:30592
	ds_read_b64 v[19:20], v16 offset:29144
	s_waitcnt lgkmcnt(0)
	v_mul_f32_e32 v21, v20, v18
	v_mul_f32_e32 v18, v19, v18
	v_fma_f32 v19, v19, v17, -v21
	v_fmac_f32_e32 v18, v20, v17
	v_add_f32_e32 v2, v2, v19
	v_add_f32_e32 v3, v3, v18
	s_or_b64 exec, exec, s[20:21]
	v_cmp_gt_u32_e64 s[14:15], 32, v8
	s_and_saveexec_b64 s[20:21], s[14:15]
	s_cbranch_execz .LBB157_130
.LBB157_993:
	ds_read_b64 v[17:18], v15 offset:31104
	ds_read_b64 v[19:20], v16 offset:29152
	s_waitcnt lgkmcnt(0)
	v_mul_f32_e32 v21, v20, v18
	v_mul_f32_e32 v18, v19, v18
	v_fma_f32 v19, v19, v17, -v21
	v_fmac_f32_e32 v18, v20, v17
	v_add_f32_e32 v2, v2, v19
	v_add_f32_e32 v3, v3, v18
	s_or_b64 exec, exec, s[20:21]
	v_cmp_gt_u32_e64 s[14:15], 24, v8
	s_and_saveexec_b64 s[20:21], s[14:15]
	s_cbranch_execz .LBB157_131
.LBB157_994:
	ds_read_b64 v[17:18], v15 offset:31616
	ds_read_b64 v[19:20], v16 offset:29160
	s_waitcnt lgkmcnt(0)
	v_mul_f32_e32 v21, v20, v18
	v_mul_f32_e32 v18, v19, v18
	v_fma_f32 v19, v19, v17, -v21
	v_fmac_f32_e32 v18, v20, v17
	v_add_f32_e32 v2, v2, v19
	v_add_f32_e32 v3, v3, v18
	s_or_b64 exec, exec, s[20:21]
	s_and_saveexec_b64 s[14:15], s[18:19]
	s_cbranch_execz .LBB157_132
.LBB157_995:
	ds_read_b64 v[17:18], v15 offset:32128
	ds_read_b64 v[15:16], v16 offset:29168
	s_waitcnt lgkmcnt(0)
	v_mul_f32_e32 v19, v16, v18
	v_mul_f32_e32 v18, v15, v18
	v_fma_f32 v15, v15, v17, -v19
	v_fmac_f32_e32 v18, v16, v17
	v_add_f32_e32 v2, v2, v15
	v_add_f32_e32 v3, v3, v18
	s_or_b64 exec, exec, s[14:15]
	v_cmp_gt_u32_e64 s[14:15], 8, v8
	s_and_saveexec_b64 s[20:21], s[14:15]
	s_cbranch_execnz .LBB157_133
	s_branch .LBB157_134
.LBB157_996:
	ds_read_b64 v[17:18], v15 offset:27520
	ds_read_b64 v[19:20], v16 offset:27048
	s_waitcnt lgkmcnt(0)
	v_mul_f32_e32 v21, v20, v18
	v_mul_f32_e32 v18, v19, v18
	v_fma_f32 v19, v19, v17, -v21
	v_fmac_f32_e32 v18, v20, v17
	v_add_f32_e32 v2, v2, v19
	v_add_f32_e32 v3, v3, v18
	s_or_b64 exec, exec, s[16:17]
	v_cmp_gt_u32_e64 s[12:13], 8, v8
	s_and_saveexec_b64 s[16:17], s[12:13]
	s_cbranch_execz .LBB157_186
.LBB157_997:
	ds_read_b64 v[17:18], v15 offset:28032
	ds_read_b64 v[15:16], v16 offset:27056
	s_waitcnt lgkmcnt(0)
	v_mul_f32_e32 v19, v16, v18
	v_mul_f32_e32 v18, v15, v18
	v_fma_f32 v15, v15, v17, -v19
	v_fmac_f32_e32 v18, v16, v17
	v_add_f32_e32 v2, v2, v15
	v_add_f32_e32 v3, v3, v18
	s_or_b64 exec, exec, s[16:17]
	v_cmp_gt_u32_e64 s[12:13], 4, v8
	s_and_saveexec_b64 s[16:17], s[12:13]
	s_cbranch_execnz .LBB157_187
	s_branch .LBB157_188
.LBB157_998:
	ds_read_b64 v[20:21], v18 offset:30464
	ds_read_b64 v[22:23], v19 offset:25048
	s_waitcnt lgkmcnt(0)
	v_mul_f32_e32 v24, v23, v21
	v_mul_f32_e32 v21, v22, v21
	v_fma_f32 v22, v22, v20, -v24
	v_fmac_f32_e32 v21, v23, v20
	v_add_f32_e32 v2, v2, v22
	v_add_f32_e32 v3, v3, v21
	s_or_b64 exec, exec, s[22:23]
	s_and_saveexec_b64 s[16:17], s[10:11]
	s_cbranch_execz .LBB157_244
.LBB157_999:
	ds_read_b64 v[20:21], v18 offset:30976
	ds_read_b64 v[22:23], v19 offset:25056
	s_waitcnt lgkmcnt(0)
	v_mul_f32_e32 v24, v23, v21
	v_mul_f32_e32 v21, v22, v21
	v_fma_f32 v22, v22, v20, -v24
	v_fmac_f32_e32 v21, v23, v20
	v_add_f32_e32 v2, v2, v22
	v_add_f32_e32 v3, v3, v21
	s_or_b64 exec, exec, s[16:17]
	v_cmp_gt_u32_e64 s[16:17], 48, v8
	s_and_saveexec_b64 s[22:23], s[16:17]
	s_cbranch_execz .LBB157_245
.LBB157_1000:
	ds_read_b64 v[20:21], v18 offset:31488
	ds_read_b64 v[22:23], v19 offset:25064
	s_waitcnt lgkmcnt(0)
	v_mul_f32_e32 v24, v23, v21
	v_mul_f32_e32 v21, v22, v21
	v_fma_f32 v22, v22, v20, -v24
	v_fmac_f32_e32 v21, v23, v20
	v_add_f32_e32 v2, v2, v22
	v_add_f32_e32 v3, v3, v21
	s_or_b64 exec, exec, s[22:23]
	v_cmp_gt_u32_e64 s[16:17], 32, v8
	s_and_saveexec_b64 s[22:23], s[16:17]
	s_cbranch_execz .LBB157_246
.LBB157_1001:
	ds_read_b64 v[20:21], v18 offset:32000
	ds_read_b64 v[18:19], v19 offset:25072
	s_waitcnt lgkmcnt(0)
	v_mul_f32_e32 v22, v19, v21
	v_mul_f32_e32 v21, v18, v21
	v_fma_f32 v18, v18, v20, -v22
	v_fmac_f32_e32 v21, v19, v20
	v_add_f32_e32 v2, v2, v18
	v_add_f32_e32 v3, v3, v21
	s_or_b64 exec, exec, s[22:23]
	v_cmp_gt_u32_e64 s[16:17], 16, v8
	s_and_saveexec_b64 s[22:23], s[16:17]
	s_cbranch_execnz .LBB157_247
	s_branch .LBB157_248
.LBB157_1002:
	ds_read_b64 v[20:21], v18 offset:23360
	ds_read_b64 v[22:23], v19 offset:22888
	s_waitcnt lgkmcnt(0)
	v_mul_f32_e32 v24, v23, v21
	v_mul_f32_e32 v21, v22, v21
	v_fma_f32 v22, v22, v20, -v24
	v_fmac_f32_e32 v21, v23, v20
	v_add_f32_e32 v2, v2, v22
	v_add_f32_e32 v3, v3, v21
	s_or_b64 exec, exec, s[20:21]
	v_cmp_gt_u32_e64 s[14:15], 8, v8
	s_and_saveexec_b64 s[20:21], s[14:15]
	s_cbranch_execz .LBB157_332
.LBB157_1003:
	ds_read_b64 v[20:21], v18 offset:23872
	ds_read_b64 v[18:19], v19 offset:22896
	s_waitcnt lgkmcnt(0)
	v_mul_f32_e32 v22, v19, v21
	v_mul_f32_e32 v21, v18, v21
	v_fma_f32 v18, v18, v20, -v22
	v_fmac_f32_e32 v21, v19, v20
	v_add_f32_e32 v2, v2, v18
	v_add_f32_e32 v3, v3, v21
	s_or_b64 exec, exec, s[20:21]
	v_cmp_gt_u32_e64 s[14:15], 4, v8
	s_and_saveexec_b64 s[20:21], s[14:15]
	s_cbranch_execnz .LBB157_333
	s_branch .LBB157_334
.LBB157_1004:
	ds_read_b64 v[20:21], v18 offset:21248
	ds_read_b64 v[22:23], v19 offset:20808
	s_waitcnt lgkmcnt(0)
	v_mul_f32_e32 v24, v23, v21
	v_mul_f32_e32 v21, v22, v21
	v_fma_f32 v22, v22, v20, -v24
	v_fmac_f32_e32 v21, v23, v20
	v_add_f32_e32 v2, v2, v22
	v_add_f32_e32 v3, v3, v21
	s_or_b64 exec, exec, s[20:21]
	v_cmp_gt_u32_e64 s[14:15], 48, v8
	s_and_saveexec_b64 s[20:21], s[14:15]
	s_cbranch_execz .LBB157_370
.LBB157_1005:
	ds_read_b64 v[20:21], v18 offset:21760
	ds_read_b64 v[22:23], v19 offset:20816
	s_waitcnt lgkmcnt(0)
	v_mul_f32_e32 v24, v23, v21
	v_mul_f32_e32 v21, v22, v21
	v_fma_f32 v22, v22, v20, -v24
	v_fmac_f32_e32 v21, v23, v20
	v_add_f32_e32 v2, v2, v22
	v_add_f32_e32 v3, v3, v21
	s_or_b64 exec, exec, s[20:21]
	v_cmp_gt_u32_e64 s[14:15], 40, v8
	s_and_saveexec_b64 s[20:21], s[14:15]
	s_cbranch_execz .LBB157_371
.LBB157_1006:
	ds_read_b64 v[20:21], v18 offset:22272
	ds_read_b64 v[22:23], v19 offset:20824
	s_waitcnt lgkmcnt(0)
	v_mul_f32_e32 v24, v23, v21
	v_mul_f32_e32 v21, v22, v21
	v_fma_f32 v22, v22, v20, -v24
	v_fmac_f32_e32 v21, v23, v20
	v_add_f32_e32 v2, v2, v22
	v_add_f32_e32 v3, v3, v21
	s_or_b64 exec, exec, s[20:21]
	v_cmp_gt_u32_e64 s[14:15], 32, v8
	s_and_saveexec_b64 s[20:21], s[14:15]
	s_cbranch_execz .LBB157_372
.LBB157_1007:
	ds_read_b64 v[20:21], v18 offset:22784
	ds_read_b64 v[22:23], v19 offset:20832
	s_waitcnt lgkmcnt(0)
	v_mul_f32_e32 v24, v23, v21
	v_mul_f32_e32 v21, v22, v21
	v_fma_f32 v22, v22, v20, -v24
	v_fmac_f32_e32 v21, v23, v20
	v_add_f32_e32 v2, v2, v22
	v_add_f32_e32 v3, v3, v21
	s_or_b64 exec, exec, s[20:21]
	v_cmp_gt_u32_e64 s[14:15], 24, v8
	s_and_saveexec_b64 s[20:21], s[14:15]
	s_cbranch_execz .LBB157_373
.LBB157_1008:
	ds_read_b64 v[20:21], v18 offset:23296
	ds_read_b64 v[22:23], v19 offset:20840
	s_waitcnt lgkmcnt(0)
	v_mul_f32_e32 v24, v23, v21
	v_mul_f32_e32 v21, v22, v21
	v_fma_f32 v22, v22, v20, -v24
	v_fmac_f32_e32 v21, v23, v20
	v_add_f32_e32 v2, v2, v22
	v_add_f32_e32 v3, v3, v21
	s_or_b64 exec, exec, s[20:21]
	s_and_saveexec_b64 s[14:15], s[18:19]
	s_cbranch_execz .LBB157_374
.LBB157_1009:
	ds_read_b64 v[20:21], v18 offset:23808
	ds_read_b64 v[18:19], v19 offset:20848
	s_waitcnt lgkmcnt(0)
	v_mul_f32_e32 v22, v19, v21
	v_mul_f32_e32 v21, v18, v21
	v_fma_f32 v18, v18, v20, -v22
	v_fmac_f32_e32 v21, v19, v20
	v_add_f32_e32 v2, v2, v18
	v_add_f32_e32 v3, v3, v21
	s_or_b64 exec, exec, s[14:15]
	v_cmp_gt_u32_e64 s[14:15], 8, v8
	s_and_saveexec_b64 s[20:21], s[14:15]
	s_cbranch_execnz .LBB157_375
	s_branch .LBB157_376
.LBB157_1010:
	ds_read_b64 v[20:21], v18 offset:19200
	ds_read_b64 v[22:23], v19 offset:18728
	s_waitcnt lgkmcnt(0)
	v_mul_f32_e32 v24, v23, v21
	v_mul_f32_e32 v21, v22, v21
	v_fma_f32 v22, v22, v20, -v24
	v_fmac_f32_e32 v21, v23, v20
	v_add_f32_e32 v2, v2, v22
	v_add_f32_e32 v3, v3, v21
	s_or_b64 exec, exec, s[20:21]
	v_cmp_gt_u32_e64 s[14:15], 8, v8
	s_and_saveexec_b64 s[20:21], s[14:15]
	s_cbranch_execz .LBB157_428
.LBB157_1011:
	ds_read_b64 v[20:21], v18 offset:19712
	ds_read_b64 v[18:19], v19 offset:18736
	s_waitcnt lgkmcnt(0)
	v_mul_f32_e32 v22, v19, v21
	v_mul_f32_e32 v21, v18, v21
	v_fma_f32 v18, v18, v20, -v22
	v_fmac_f32_e32 v21, v19, v20
	v_add_f32_e32 v2, v2, v18
	v_add_f32_e32 v3, v3, v21
	s_or_b64 exec, exec, s[20:21]
	v_cmp_gt_u32_e64 s[14:15], 4, v8
	s_and_saveexec_b64 s[20:21], s[14:15]
	s_cbranch_execnz .LBB157_429
	s_branch .LBB157_430
.LBB157_1012:
	ds_read_b64 v[23:24], v21 offset:31232
	ds_read_b64 v[25:26], v22 offset:16872
	s_waitcnt lgkmcnt(0)
	v_mul_f32_e32 v27, v26, v24
	v_mul_f32_e32 v24, v25, v24
	v_fma_f32 v25, v25, v23, -v27
	v_fmac_f32_e32 v24, v26, v23
	v_add_f32_e32 v2, v2, v25
	v_add_f32_e32 v3, v3, v24
	s_or_b64 exec, exec, s[94:95]
	s_and_saveexec_b64 s[20:21], s[10:11]
	s_cbranch_execz .LBB157_522
.LBB157_1013:
	ds_read_b64 v[23:24], v21 offset:31744
	ds_read_b64 v[25:26], v22 offset:16880
	s_waitcnt lgkmcnt(0)
	v_mul_f32_e32 v27, v26, v24
	v_mul_f32_e32 v24, v25, v24
	v_fma_f32 v25, v25, v23, -v27
	v_fmac_f32_e32 v24, v26, v23
	v_add_f32_e32 v2, v2, v25
	v_add_f32_e32 v3, v3, v24
	s_or_b64 exec, exec, s[20:21]
	v_cmp_gt_u32_e64 s[20:21], 32, v8
	s_and_saveexec_b64 s[94:95], s[20:21]
	s_cbranch_execnz .LBB157_523
	s_branch .LBB157_524
.LBB157_1014:
	ds_read_b64 v[20:21], v18 offset:15040
	ds_read_b64 v[22:23], v19 offset:14568
	s_waitcnt lgkmcnt(0)
	v_mul_f32_e32 v24, v23, v21
	v_mul_f32_e32 v21, v22, v21
	v_fma_f32 v22, v22, v20, -v24
	v_fmac_f32_e32 v21, v23, v20
	v_add_f32_e32 v2, v2, v22
	v_add_f32_e32 v3, v3, v21
	s_or_b64 exec, exec, s[20:21]
	v_cmp_gt_u32_e64 s[14:15], 8, v8
	s_and_saveexec_b64 s[20:21], s[14:15]
	s_cbranch_execz .LBB157_556
.LBB157_1015:
	ds_read_b64 v[20:21], v18 offset:15552
	ds_read_b64 v[18:19], v19 offset:14576
	s_waitcnt lgkmcnt(0)
	v_mul_f32_e32 v22, v19, v21
	v_mul_f32_e32 v21, v18, v21
	v_fma_f32 v18, v18, v20, -v22
	v_fmac_f32_e32 v21, v19, v20
	v_add_f32_e32 v2, v2, v18
	v_add_f32_e32 v3, v3, v21
	s_or_b64 exec, exec, s[20:21]
	v_cmp_gt_u32_e64 s[14:15], 4, v8
	s_and_saveexec_b64 s[20:21], s[14:15]
	s_cbranch_execnz .LBB157_557
	s_branch .LBB157_558
.LBB157_1016:
	ds_read_b64 v[20:21], v18 offset:12928
	ds_read_b64 v[22:23], v19 offset:12488
	s_waitcnt lgkmcnt(0)
	v_mul_f32_e32 v24, v23, v21
	v_mul_f32_e32 v21, v22, v21
	v_fma_f32 v22, v22, v20, -v24
	v_fmac_f32_e32 v21, v23, v20
	v_add_f32_e32 v2, v2, v22
	v_add_f32_e32 v3, v3, v21
	s_or_b64 exec, exec, s[20:21]
	v_cmp_gt_u32_e64 s[14:15], 48, v8
	s_and_saveexec_b64 s[20:21], s[14:15]
	s_cbranch_execz .LBB157_594
.LBB157_1017:
	ds_read_b64 v[20:21], v18 offset:13440
	ds_read_b64 v[22:23], v19 offset:12496
	s_waitcnt lgkmcnt(0)
	v_mul_f32_e32 v24, v23, v21
	v_mul_f32_e32 v21, v22, v21
	v_fma_f32 v22, v22, v20, -v24
	v_fmac_f32_e32 v21, v23, v20
	v_add_f32_e32 v2, v2, v22
	v_add_f32_e32 v3, v3, v21
	s_or_b64 exec, exec, s[20:21]
	v_cmp_gt_u32_e64 s[14:15], 40, v8
	s_and_saveexec_b64 s[20:21], s[14:15]
	s_cbranch_execz .LBB157_595
.LBB157_1018:
	ds_read_b64 v[20:21], v18 offset:13952
	ds_read_b64 v[22:23], v19 offset:12504
	s_waitcnt lgkmcnt(0)
	v_mul_f32_e32 v24, v23, v21
	v_mul_f32_e32 v21, v22, v21
	v_fma_f32 v22, v22, v20, -v24
	v_fmac_f32_e32 v21, v23, v20
	v_add_f32_e32 v2, v2, v22
	v_add_f32_e32 v3, v3, v21
	s_or_b64 exec, exec, s[20:21]
	v_cmp_gt_u32_e64 s[14:15], 32, v8
	s_and_saveexec_b64 s[20:21], s[14:15]
	s_cbranch_execz .LBB157_596
.LBB157_1019:
	ds_read_b64 v[20:21], v18 offset:14464
	ds_read_b64 v[22:23], v19 offset:12512
	s_waitcnt lgkmcnt(0)
	v_mul_f32_e32 v24, v23, v21
	v_mul_f32_e32 v21, v22, v21
	v_fma_f32 v22, v22, v20, -v24
	v_fmac_f32_e32 v21, v23, v20
	v_add_f32_e32 v2, v2, v22
	v_add_f32_e32 v3, v3, v21
	s_or_b64 exec, exec, s[20:21]
	v_cmp_gt_u32_e64 s[14:15], 24, v8
	s_and_saveexec_b64 s[20:21], s[14:15]
	s_cbranch_execz .LBB157_597
.LBB157_1020:
	ds_read_b64 v[20:21], v18 offset:14976
	ds_read_b64 v[22:23], v19 offset:12520
	s_waitcnt lgkmcnt(0)
	v_mul_f32_e32 v24, v23, v21
	v_mul_f32_e32 v21, v22, v21
	v_fma_f32 v22, v22, v20, -v24
	v_fmac_f32_e32 v21, v23, v20
	v_add_f32_e32 v2, v2, v22
	v_add_f32_e32 v3, v3, v21
	s_or_b64 exec, exec, s[20:21]
	s_and_saveexec_b64 s[14:15], s[18:19]
	s_cbranch_execz .LBB157_598
.LBB157_1021:
	ds_read_b64 v[20:21], v18 offset:15488
	ds_read_b64 v[18:19], v19 offset:12528
	s_waitcnt lgkmcnt(0)
	v_mul_f32_e32 v22, v19, v21
	v_mul_f32_e32 v21, v18, v21
	v_fma_f32 v18, v18, v20, -v22
	v_fmac_f32_e32 v21, v19, v20
	v_add_f32_e32 v2, v2, v18
	v_add_f32_e32 v3, v3, v21
	s_or_b64 exec, exec, s[14:15]
	v_cmp_gt_u32_e64 s[14:15], 8, v8
	s_and_saveexec_b64 s[20:21], s[14:15]
	s_cbranch_execnz .LBB157_599
	s_branch .LBB157_600
.LBB157_1022:
	ds_read_b64 v[20:21], v18 offset:10880
	ds_read_b64 v[22:23], v19 offset:10408
	s_waitcnt lgkmcnt(0)
	v_mul_f32_e32 v24, v23, v21
	v_mul_f32_e32 v21, v22, v21
	v_fma_f32 v22, v22, v20, -v24
	v_fmac_f32_e32 v21, v23, v20
	v_add_f32_e32 v2, v2, v22
	v_add_f32_e32 v3, v3, v21
	s_or_b64 exec, exec, s[20:21]
	v_cmp_gt_u32_e64 s[14:15], 8, v8
	s_and_saveexec_b64 s[20:21], s[14:15]
	s_cbranch_execz .LBB157_652
.LBB157_1023:
	ds_read_b64 v[20:21], v18 offset:11392
	ds_read_b64 v[18:19], v19 offset:10416
	s_waitcnt lgkmcnt(0)
	v_mul_f32_e32 v22, v19, v21
	v_mul_f32_e32 v21, v18, v21
	v_fma_f32 v18, v18, v20, -v22
	v_fmac_f32_e32 v21, v19, v20
	v_add_f32_e32 v2, v2, v18
	v_add_f32_e32 v3, v3, v21
	s_or_b64 exec, exec, s[20:21]
	v_cmp_gt_u32_e64 s[14:15], 4, v8
	s_and_saveexec_b64 s[20:21], s[14:15]
	s_cbranch_execnz .LBB157_653
	s_branch .LBB157_654
.LBB157_1024:
	ds_read_b64 v[20:21], v18 offset:13824
	ds_read_b64 v[22:23], v19 offset:8408
	s_waitcnt lgkmcnt(0)
	v_mul_f32_e32 v24, v23, v21
	v_mul_f32_e32 v21, v22, v21
	v_fma_f32 v22, v22, v20, -v24
	v_fmac_f32_e32 v21, v23, v20
	v_add_f32_e32 v2, v2, v22
	v_add_f32_e32 v3, v3, v21
	s_or_b64 exec, exec, s[20:21]
	s_and_saveexec_b64 s[14:15], s[10:11]
	s_cbranch_execz .LBB157_710
.LBB157_1025:
	ds_read_b64 v[20:21], v18 offset:14336
	ds_read_b64 v[22:23], v19 offset:8416
	s_waitcnt lgkmcnt(0)
	v_mul_f32_e32 v24, v23, v21
	v_mul_f32_e32 v21, v22, v21
	v_fma_f32 v22, v22, v20, -v24
	v_fmac_f32_e32 v21, v23, v20
	v_add_f32_e32 v2, v2, v22
	v_add_f32_e32 v3, v3, v21
	s_or_b64 exec, exec, s[14:15]
	v_cmp_gt_u32_e64 s[14:15], 48, v8
	s_and_saveexec_b64 s[20:21], s[14:15]
	s_cbranch_execz .LBB157_711
.LBB157_1026:
	ds_read_b64 v[20:21], v18 offset:14848
	ds_read_b64 v[22:23], v19 offset:8424
	s_waitcnt lgkmcnt(0)
	v_mul_f32_e32 v24, v23, v21
	v_mul_f32_e32 v21, v22, v21
	v_fma_f32 v22, v22, v20, -v24
	v_fmac_f32_e32 v21, v23, v20
	v_add_f32_e32 v2, v2, v22
	v_add_f32_e32 v3, v3, v21
	s_or_b64 exec, exec, s[20:21]
	v_cmp_gt_u32_e64 s[14:15], 32, v8
	s_and_saveexec_b64 s[20:21], s[14:15]
	s_cbranch_execz .LBB157_712
.LBB157_1027:
	ds_read_b64 v[20:21], v18 offset:15360
	ds_read_b64 v[18:19], v19 offset:8432
	s_waitcnt lgkmcnt(0)
	v_mul_f32_e32 v22, v19, v21
	v_mul_f32_e32 v21, v18, v21
	v_fma_f32 v18, v18, v20, -v22
	v_fmac_f32_e32 v21, v19, v20
	v_add_f32_e32 v2, v2, v18
	v_add_f32_e32 v3, v3, v21
	s_or_b64 exec, exec, s[20:21]
	v_cmp_gt_u32_e64 s[14:15], 16, v8
	s_and_saveexec_b64 s[20:21], s[14:15]
	s_cbranch_execnz .LBB157_713
	s_branch .LBB157_714
.LBB157_1028:
	ds_read_b64 v[17:18], v15 offset:6720
	ds_read_b64 v[19:20], v16 offset:6248
	s_waitcnt lgkmcnt(0)
	v_mul_f32_e32 v21, v20, v18
	v_mul_f32_e32 v18, v19, v18
	v_fma_f32 v19, v19, v17, -v21
	v_fmac_f32_e32 v18, v20, v17
	v_add_f32_e32 v2, v2, v19
	v_add_f32_e32 v3, v3, v18
	s_or_b64 exec, exec, s[16:17]
	v_cmp_gt_u32_e64 s[12:13], 8, v8
	s_and_saveexec_b64 s[16:17], s[12:13]
	s_cbranch_execz .LBB157_798
.LBB157_1029:
	ds_read_b64 v[17:18], v15 offset:7232
	ds_read_b64 v[15:16], v16 offset:6256
	s_waitcnt lgkmcnt(0)
	v_mul_f32_e32 v19, v16, v18
	v_mul_f32_e32 v18, v15, v18
	v_fma_f32 v15, v15, v17, -v19
	v_fmac_f32_e32 v18, v16, v17
	v_add_f32_e32 v2, v2, v15
	v_add_f32_e32 v3, v3, v18
	s_or_b64 exec, exec, s[16:17]
	v_cmp_gt_u32_e64 s[12:13], 4, v8
	s_and_saveexec_b64 s[16:17], s[12:13]
	s_cbranch_execnz .LBB157_799
	s_branch .LBB157_800
.LBB157_1030:
	ds_read_b64 v[17:18], v15 offset:4608
	ds_read_b64 v[19:20], v16 offset:4168
	s_waitcnt lgkmcnt(0)
	v_mul_f32_e32 v21, v20, v18
	v_mul_f32_e32 v18, v19, v18
	v_fma_f32 v19, v19, v17, -v21
	v_fmac_f32_e32 v18, v20, v17
	v_add_f32_e32 v2, v2, v19
	v_add_f32_e32 v3, v3, v18
	s_or_b64 exec, exec, s[16:17]
	v_cmp_gt_u32_e64 s[12:13], 48, v8
	s_and_saveexec_b64 s[16:17], s[12:13]
	s_cbranch_execz .LBB157_836
.LBB157_1031:
	ds_read_b64 v[17:18], v15 offset:5120
	ds_read_b64 v[19:20], v16 offset:4176
	s_waitcnt lgkmcnt(0)
	v_mul_f32_e32 v21, v20, v18
	v_mul_f32_e32 v18, v19, v18
	v_fma_f32 v19, v19, v17, -v21
	v_fmac_f32_e32 v18, v20, v17
	v_add_f32_e32 v2, v2, v19
	v_add_f32_e32 v3, v3, v18
	s_or_b64 exec, exec, s[16:17]
	v_cmp_gt_u32_e64 s[12:13], 40, v8
	s_and_saveexec_b64 s[16:17], s[12:13]
	s_cbranch_execz .LBB157_837
.LBB157_1032:
	ds_read_b64 v[17:18], v15 offset:5632
	ds_read_b64 v[19:20], v16 offset:4184
	s_waitcnt lgkmcnt(0)
	v_mul_f32_e32 v21, v20, v18
	v_mul_f32_e32 v18, v19, v18
	v_fma_f32 v19, v19, v17, -v21
	v_fmac_f32_e32 v18, v20, v17
	v_add_f32_e32 v2, v2, v19
	v_add_f32_e32 v3, v3, v18
	s_or_b64 exec, exec, s[16:17]
	v_cmp_gt_u32_e64 s[12:13], 32, v8
	s_and_saveexec_b64 s[16:17], s[12:13]
	s_cbranch_execz .LBB157_838
.LBB157_1033:
	ds_read_b64 v[17:18], v15 offset:6144
	ds_read_b64 v[19:20], v16 offset:4192
	s_waitcnt lgkmcnt(0)
	v_mul_f32_e32 v21, v20, v18
	v_mul_f32_e32 v18, v19, v18
	v_fma_f32 v19, v19, v17, -v21
	v_fmac_f32_e32 v18, v20, v17
	v_add_f32_e32 v2, v2, v19
	v_add_f32_e32 v3, v3, v18
	s_or_b64 exec, exec, s[16:17]
	v_cmp_gt_u32_e64 s[12:13], 24, v8
	s_and_saveexec_b64 s[16:17], s[12:13]
	s_cbranch_execz .LBB157_839
.LBB157_1034:
	ds_read_b64 v[17:18], v15 offset:6656
	ds_read_b64 v[19:20], v16 offset:4200
	s_waitcnt lgkmcnt(0)
	v_mul_f32_e32 v21, v20, v18
	v_mul_f32_e32 v18, v19, v18
	v_fma_f32 v19, v19, v17, -v21
	v_fmac_f32_e32 v18, v20, v17
	v_add_f32_e32 v2, v2, v19
	v_add_f32_e32 v3, v3, v18
	s_or_b64 exec, exec, s[16:17]
	s_and_saveexec_b64 s[12:13], s[18:19]
	s_cbranch_execz .LBB157_840
.LBB157_1035:
	ds_read_b64 v[17:18], v15 offset:7168
	ds_read_b64 v[15:16], v16 offset:4208
	s_waitcnt lgkmcnt(0)
	v_mul_f32_e32 v19, v16, v18
	v_mul_f32_e32 v18, v15, v18
	v_fma_f32 v15, v15, v17, -v19
	v_fmac_f32_e32 v18, v16, v17
	v_add_f32_e32 v2, v2, v15
	v_add_f32_e32 v3, v3, v18
	s_or_b64 exec, exec, s[12:13]
	v_cmp_gt_u32_e64 s[12:13], 8, v8
	s_and_saveexec_b64 s[16:17], s[12:13]
	s_cbranch_execnz .LBB157_841
	s_branch .LBB157_842
.LBB157_1036:
	ds_read_b64 v[14:15], v12 offset:2560
	ds_read_b64 v[16:17], v13 offset:2088
	s_waitcnt lgkmcnt(0)
	v_mul_f32_e32 v18, v17, v15
	v_mul_f32_e32 v15, v16, v15
	v_fma_f32 v16, v16, v14, -v18
	v_fmac_f32_e32 v15, v17, v14
	v_add_f32_e32 v2, v2, v16
	v_add_f32_e32 v3, v3, v15
	s_or_b64 exec, exec, s[14:15]
	v_cmp_gt_u32_e64 s[10:11], 8, v8
	s_and_saveexec_b64 s[14:15], s[10:11]
	s_cbranch_execz .LBB157_894
.LBB157_1037:
	ds_read_b64 v[14:15], v12 offset:3072
	ds_read_b64 v[12:13], v13 offset:2096
	s_waitcnt lgkmcnt(0)
	v_mul_f32_e32 v16, v13, v15
	v_mul_f32_e32 v15, v12, v15
	v_fma_f32 v12, v12, v14, -v16
	v_fmac_f32_e32 v15, v13, v14
	v_add_f32_e32 v2, v2, v12
	v_add_f32_e32 v3, v3, v15
	s_or_b64 exec, exec, s[14:15]
	v_cmp_gt_u32_e64 s[10:11], 4, v8
	s_and_saveexec_b64 s[14:15], s[10:11]
	s_cbranch_execnz .LBB157_895
	s_branch .LBB157_896
	.section	.rodata,"a",@progbits
	.p2align	6, 0x0
	.amdhsa_kernel _ZL19rocblas_trsv_deviceILi64ELi16ELb0ELb0ELb0ELb1E19rocblas_complex_numIfES1_PKPKS1_PKPS1_EviT7_lllT6_T8_lllPii
		.amdhsa_group_segment_fixed_size 41480
		.amdhsa_private_segment_fixed_size 48
		.amdhsa_kernarg_size 352
		.amdhsa_user_sgpr_count 8
		.amdhsa_user_sgpr_private_segment_buffer 1
		.amdhsa_user_sgpr_dispatch_ptr 0
		.amdhsa_user_sgpr_queue_ptr 0
		.amdhsa_user_sgpr_kernarg_segment_ptr 1
		.amdhsa_user_sgpr_dispatch_id 0
		.amdhsa_user_sgpr_flat_scratch_init 1
		.amdhsa_user_sgpr_private_segment_size 0
		.amdhsa_uses_dynamic_stack 0
		.amdhsa_system_sgpr_private_segment_wavefront_offset 1
		.amdhsa_system_sgpr_workgroup_id_x 1
		.amdhsa_system_sgpr_workgroup_id_y 0
		.amdhsa_system_sgpr_workgroup_id_z 1
		.amdhsa_system_sgpr_workgroup_info 0
		.amdhsa_system_vgpr_workitem_id 1
		.amdhsa_next_free_vgpr 49
		.amdhsa_next_free_sgpr 100
		.amdhsa_reserve_vcc 1
		.amdhsa_reserve_flat_scratch 1
		.amdhsa_float_round_mode_32 0
		.amdhsa_float_round_mode_16_64 0
		.amdhsa_float_denorm_mode_32 3
		.amdhsa_float_denorm_mode_16_64 3
		.amdhsa_dx10_clamp 1
		.amdhsa_ieee_mode 1
		.amdhsa_fp16_overflow 0
		.amdhsa_exception_fp_ieee_invalid_op 0
		.amdhsa_exception_fp_denorm_src 0
		.amdhsa_exception_fp_ieee_div_zero 0
		.amdhsa_exception_fp_ieee_overflow 0
		.amdhsa_exception_fp_ieee_underflow 0
		.amdhsa_exception_fp_ieee_inexact 0
		.amdhsa_exception_int_div_zero 0
	.end_amdhsa_kernel
	.section	.text._ZL19rocblas_trsv_deviceILi64ELi16ELb0ELb0ELb0ELb1E19rocblas_complex_numIfES1_PKPKS1_PKPS1_EviT7_lllT6_T8_lllPii,"axG",@progbits,_ZL19rocblas_trsv_deviceILi64ELi16ELb0ELb0ELb0ELb1E19rocblas_complex_numIfES1_PKPKS1_PKPS1_EviT7_lllT6_T8_lllPii,comdat
.Lfunc_end157:
	.size	_ZL19rocblas_trsv_deviceILi64ELi16ELb0ELb0ELb0ELb1E19rocblas_complex_numIfES1_PKPKS1_PKPS1_EviT7_lllT6_T8_lllPii, .Lfunc_end157-_ZL19rocblas_trsv_deviceILi64ELi16ELb0ELb0ELb0ELb1E19rocblas_complex_numIfES1_PKPKS1_PKPS1_EviT7_lllT6_T8_lllPii
                                        ; -- End function
	.set _ZL19rocblas_trsv_deviceILi64ELi16ELb0ELb0ELb0ELb1E19rocblas_complex_numIfES1_PKPKS1_PKPS1_EviT7_lllT6_T8_lllPii.num_vgpr, 29
	.set _ZL19rocblas_trsv_deviceILi64ELi16ELb0ELb0ELb0ELb1E19rocblas_complex_numIfES1_PKPKS1_PKPS1_EviT7_lllT6_T8_lllPii.num_agpr, 0
	.set _ZL19rocblas_trsv_deviceILi64ELi16ELb0ELb0ELb0ELb1E19rocblas_complex_numIfES1_PKPKS1_PKPS1_EviT7_lllT6_T8_lllPii.numbered_sgpr, 100
	.set _ZL19rocblas_trsv_deviceILi64ELi16ELb0ELb0ELb0ELb1E19rocblas_complex_numIfES1_PKPKS1_PKPS1_EviT7_lllT6_T8_lllPii.num_named_barrier, 0
	.set _ZL19rocblas_trsv_deviceILi64ELi16ELb0ELb0ELb0ELb1E19rocblas_complex_numIfES1_PKPKS1_PKPS1_EviT7_lllT6_T8_lllPii.private_seg_size, 48
	.set _ZL19rocblas_trsv_deviceILi64ELi16ELb0ELb0ELb0ELb1E19rocblas_complex_numIfES1_PKPKS1_PKPS1_EviT7_lllT6_T8_lllPii.uses_vcc, 1
	.set _ZL19rocblas_trsv_deviceILi64ELi16ELb0ELb0ELb0ELb1E19rocblas_complex_numIfES1_PKPKS1_PKPS1_EviT7_lllT6_T8_lllPii.uses_flat_scratch, 1
	.set _ZL19rocblas_trsv_deviceILi64ELi16ELb0ELb0ELb0ELb1E19rocblas_complex_numIfES1_PKPKS1_PKPS1_EviT7_lllT6_T8_lllPii.has_dyn_sized_stack, 0
	.set _ZL19rocblas_trsv_deviceILi64ELi16ELb0ELb0ELb0ELb1E19rocblas_complex_numIfES1_PKPKS1_PKPS1_EviT7_lllT6_T8_lllPii.has_recursion, 0
	.set _ZL19rocblas_trsv_deviceILi64ELi16ELb0ELb0ELb0ELb1E19rocblas_complex_numIfES1_PKPKS1_PKPS1_EviT7_lllT6_T8_lllPii.has_indirect_call, 0
	.section	.AMDGPU.csdata,"",@progbits
; Kernel info:
; codeLenInByte = 34920
; TotalNumSgprs: 106
; NumVgprs: 29
; ScratchSize: 48
; MemoryBound: 1
; FloatMode: 240
; IeeeMode: 1
; LDSByteSize: 41480 bytes/workgroup (compile time only)
; SGPRBlocks: 13
; VGPRBlocks: 12
; NumSGPRsForWavesPerEU: 106
; NumVGPRsForWavesPerEU: 49
; Occupancy: 4
; WaveLimiterHint : 1
; COMPUTE_PGM_RSRC2:SCRATCH_EN: 1
; COMPUTE_PGM_RSRC2:USER_SGPR: 8
; COMPUTE_PGM_RSRC2:TRAP_HANDLER: 0
; COMPUTE_PGM_RSRC2:TGID_X_EN: 1
; COMPUTE_PGM_RSRC2:TGID_Y_EN: 0
; COMPUTE_PGM_RSRC2:TGID_Z_EN: 1
; COMPUTE_PGM_RSRC2:TIDIG_COMP_CNT: 1
	.section	.text._ZL19rocblas_trsv_deviceILi64ELi16ELb0ELb1ELb0ELb1E19rocblas_complex_numIfES1_PKPKS1_PKPS1_EviT7_lllT6_T8_lllPii,"axG",@progbits,_ZL19rocblas_trsv_deviceILi64ELi16ELb0ELb1ELb0ELb1E19rocblas_complex_numIfES1_PKPKS1_PKPS1_EviT7_lllT6_T8_lllPii,comdat
	.globl	_ZL19rocblas_trsv_deviceILi64ELi16ELb0ELb1ELb0ELb1E19rocblas_complex_numIfES1_PKPKS1_PKPS1_EviT7_lllT6_T8_lllPii ; -- Begin function _ZL19rocblas_trsv_deviceILi64ELi16ELb0ELb1ELb0ELb1E19rocblas_complex_numIfES1_PKPKS1_PKPS1_EviT7_lllT6_T8_lllPii
	.p2align	8
	.type	_ZL19rocblas_trsv_deviceILi64ELi16ELb0ELb1ELb0ELb1E19rocblas_complex_numIfES1_PKPKS1_PKPS1_EviT7_lllT6_T8_lllPii,@function
_ZL19rocblas_trsv_deviceILi64ELi16ELb0ELb1ELb0ELb1E19rocblas_complex_numIfES1_PKPKS1_PKPS1_EviT7_lllT6_T8_lllPii: ; @_ZL19rocblas_trsv_deviceILi64ELi16ELb0ELb1ELb0ELb1E19rocblas_complex_numIfES1_PKPKS1_PKPS1_EviT7_lllT6_T8_lllPii
; %bb.0:
	s_load_dwordx4 s[12:15], s[4:5], 0x8
	s_add_u32 flat_scratch_lo, s6, s10
	s_addc_u32 flat_scratch_hi, s7, 0
	s_add_u32 s0, s0, s10
	s_mov_b32 s28, s9
	s_mov_b32 s29, 0
	s_addc_u32 s1, s1, 0
	s_lshl_b64 s[6:7], s[28:29], 3
	s_waitcnt lgkmcnt(0)
	s_add_u32 s10, s12, s6
	s_addc_u32 s11, s13, s7
	s_load_dwordx2 s[12:13], s[10:11], 0x0
	s_load_dword s33, s[4:5], 0x0
	s_load_dwordx4 s[16:19], s[4:5], 0x30
	s_load_dwordx2 s[36:37], s[4:5], 0x18
	s_lshl_b64 s[10:11], s[14:15], 3
	s_waitcnt lgkmcnt(0)
	s_add_u32 s90, s12, s10
	s_addc_u32 s91, s13, s11
	s_add_u32 s6, s16, s6
	s_addc_u32 s7, s17, s7
	s_load_dwordx2 s[38:39], s[6:7], 0x0
	s_load_dword s20, s[4:5], 0x6c
	s_cmp_eq_u32 s8, 0
	s_cbranch_scc1 .LBB158_18
; %bb.1:
	s_lshl_b32 s9, s8, 6
	v_add_u32_e32 v6, s9, v0
	v_ashrrev_i32_e32 v2, 31, v6
	v_mul_lo_u32 v7, s36, v2
	v_mul_lo_u32 v8, s37, v6
	v_mad_u64_u32 v[2:3], s[6:7], s36, v6, 0
	v_add_u32_e32 v4, s9, v1
	v_subrev_u32_e32 v4, 64, v4
	v_add3_u32 v3, v3, v7, v8
	v_lshlrev_b64 v[2:3], 3, v[2:3]
	v_ashrrev_i32_e32 v5, 31, v4
	v_mov_b32_e32 v7, s91
	v_add_co_u32_e64 v8, s[6:7], s90, v2
	v_addc_co_u32_e64 v7, s[6:7], v7, v3, s[6:7]
	v_lshlrev_b64 v[2:3], 3, v[4:5]
	v_max_i32_e32 v5, v4, v6
	v_add_co_u32_e64 v2, s[6:7], v8, v2
	v_addc_co_u32_e64 v3, s[6:7], v7, v3, s[6:7]
	v_cmp_gt_i32_e32 vcc, s33, v6
	v_cmp_le_i32_e64 s[6:7], s33, v5
	s_waitcnt lgkmcnt(0)
	s_barrier
	s_and_saveexec_b64 s[10:11], s[6:7]
	s_xor_b64 s[6:7], exec, s[10:11]
	s_cbranch_execz .LBB158_3
; %bb.2:
	v_mov_b32_e32 v5, 0
	buffer_store_dword v5, off, s[0:3], 0
	buffer_store_dword v5, off, s[0:3], 0 offset:4
.LBB158_3:
	s_andn2_saveexec_b64 s[6:7], s[6:7]
	s_cbranch_execz .LBB158_5
; %bb.4:
	flat_load_dwordx2 v[5:6], v[2:3]
	s_waitcnt vmcnt(0) lgkmcnt(0)
	buffer_store_dword v6, off, s[0:3], 0 offset:4
	buffer_store_dword v5, off, s[0:3], 0
.LBB158_5:
	s_or_b64 exec, exec, s[6:7]
	v_add_u32_e32 v5, 16, v4
	v_cmp_le_i32_e64 s[6:7], s33, v5
	s_xor_b64 s[10:11], vcc, -1
	s_or_b64 s[6:7], s[6:7], s[10:11]
	s_waitcnt vmcnt(0)
	s_barrier
	s_and_saveexec_b64 s[12:13], s[6:7]
	s_xor_b64 s[6:7], exec, s[12:13]
	s_cbranch_execz .LBB158_7
; %bb.6:
	v_mov_b32_e32 v5, 0
	buffer_store_dword v5, off, s[0:3], 0 offset:8
	buffer_store_dword v5, off, s[0:3], 0 offset:12
.LBB158_7:
	s_andn2_saveexec_b64 s[6:7], s[6:7]
	s_cbranch_execz .LBB158_9
; %bb.8:
	flat_load_dwordx2 v[5:6], v[2:3] offset:128
	s_waitcnt vmcnt(0) lgkmcnt(0)
	buffer_store_dword v6, off, s[0:3], 0 offset:12
	buffer_store_dword v5, off, s[0:3], 0 offset:8
.LBB158_9:
	s_or_b64 exec, exec, s[6:7]
	v_add_u32_e32 v5, 32, v4
	v_cmp_le_i32_e32 vcc, s33, v5
	s_or_b64 s[6:7], vcc, s[10:11]
	s_waitcnt vmcnt(0)
	s_barrier
	s_and_saveexec_b64 s[12:13], s[6:7]
	s_xor_b64 s[6:7], exec, s[12:13]
	s_cbranch_execz .LBB158_11
; %bb.10:
	v_mov_b32_e32 v5, 0
	buffer_store_dword v5, off, s[0:3], 0 offset:16
	buffer_store_dword v5, off, s[0:3], 0 offset:20
.LBB158_11:
	s_andn2_saveexec_b64 s[6:7], s[6:7]
	s_cbranch_execz .LBB158_13
; %bb.12:
	flat_load_dwordx2 v[5:6], v[2:3] offset:256
	s_waitcnt vmcnt(0) lgkmcnt(0)
	buffer_store_dword v6, off, s[0:3], 0 offset:20
	buffer_store_dword v5, off, s[0:3], 0 offset:16
.LBB158_13:
	s_or_b64 exec, exec, s[6:7]
	v_add_u32_e32 v4, 48, v4
	v_cmp_le_i32_e32 vcc, s33, v4
	s_or_b64 s[6:7], vcc, s[10:11]
	s_waitcnt vmcnt(0)
	s_barrier
	s_and_saveexec_b64 s[10:11], s[6:7]
	s_xor_b64 s[6:7], exec, s[10:11]
	s_cbranch_execz .LBB158_15
; %bb.14:
	v_mov_b32_e32 v2, 0
	buffer_store_dword v2, off, s[0:3], 0 offset:24
	buffer_store_dword v2, off, s[0:3], 0 offset:28
                                        ; implicit-def: $vgpr2_vgpr3
.LBB158_15:
	s_andn2_saveexec_b64 s[6:7], s[6:7]
	s_cbranch_execz .LBB158_17
; %bb.16:
	flat_load_dwordx2 v[2:3], v[2:3] offset:384
	s_waitcnt vmcnt(0) lgkmcnt(0)
	buffer_store_dword v3, off, s[0:3], 0 offset:28
	buffer_store_dword v2, off, s[0:3], 0 offset:24
.LBB158_17:
	s_or_b64 exec, exec, s[6:7]
.LBB158_18:
	s_ashr_i32 s6, s33, 31
	s_lshr_b32 s6, s6, 26
	s_add_i32 s6, s33, s6
	s_andn2_b32 s6, s6, 63
	s_sub_i32 s9, s33, s6
	s_add_i32 s6, s33, -1
	s_ashr_i32 s7, s6, 31
	s_lshr_b32 s7, s7, 26
	s_add_i32 s6, s6, s7
	s_ashr_i32 s6, s6, 6
	s_cmp_eq_u32 s6, s8
	s_cselect_b64 s[6:7], -1, 0
	s_cmp_lg_u32 s9, 0
	s_load_dwordx2 s[30:31], s[4:5], 0x40
	s_cselect_b64 s[10:11], -1, 0
	s_and_b64 s[34:35], s[10:11], s[6:7]
	s_cmp_lt_i32 s8, 5
	s_cselect_b64 s[12:13], -1, 0
	v_lshlrev_b32_e32 v2, 6, v0
	s_mov_b64 s[16:17], -1
	s_or_b64 s[6:7], s[12:13], s[34:35]
	s_and_b64 vcc, exec, s[34:35]
	v_add_u32_e32 v3, v1, v2
	v_cmp_le_u32_e64 s[10:11], v1, v0
	v_lshlrev_b32_e32 v8, 3, v0
	v_lshl_add_u32 v6, v1, 6, v0
	s_cbranch_vccnz .LBB158_44
; %bb.19:
	s_add_u32 s14, s36, 1
	s_addc_u32 s15, s37, 0
	s_lshl_b32 s16, s8, 6
	s_ashr_i32 s17, s16, 31
	s_mul_hi_u32 s18, s14, s16
	s_mul_i32 s17, s14, s17
	s_add_i32 s17, s18, s17
	s_mul_i32 s15, s15, s16
	s_add_i32 s15, s17, s15
	s_mul_i32 s14, s14, s16
	s_lshl_b64 s[14:15], s[14:15], 3
	s_add_u32 s14, s90, s14
	s_addc_u32 s15, s91, s15
	v_lshlrev_b32_e32 v4, 3, v0
	v_mov_b32_e32 v5, s15
	v_add_co_u32_e32 v4, vcc, s14, v4
	v_addc_co_u32_e32 v5, vcc, 0, v5, vcc
	v_cndmask_b32_e64 v7, v6, v3, s[12:13]
	s_and_saveexec_b64 s[12:13], s[10:11]
	s_xor_b64 s[10:11], exec, s[12:13]
	s_cbranch_execz .LBB158_23
; %bb.20:
	v_or_b32_e32 v9, v1, v0
	v_cmp_gt_u32_e32 vcc, 64, v9
	s_and_saveexec_b64 s[12:13], vcc
; %bb.21:
	v_mov_b32_e32 v9, 0
	v_lshlrev_b32_e32 v7, 3, v7
	v_mov_b32_e32 v10, v9
	ds_write_b64 v7, v[9:10]
; %bb.22:
	s_or_b64 exec, exec, s[12:13]
                                        ; implicit-def: $vgpr7
.LBB158_23:
	s_andn2_saveexec_b64 s[10:11], s[10:11]
	s_cbranch_execz .LBB158_25
; %bb.24:
	v_mad_u64_u32 v[9:10], s[12:13], s36, v1, 0
	v_lshlrev_b32_e32 v7, 3, v7
	v_mad_u64_u32 v[10:11], s[12:13], s37, v1, v[10:11]
	v_lshlrev_b64 v[9:10], 3, v[9:10]
	v_add_co_u32_e32 v9, vcc, v4, v9
	v_addc_co_u32_e32 v10, vcc, v5, v10, vcc
	flat_load_dwordx2 v[9:10], v[9:10]
	s_waitcnt vmcnt(0) lgkmcnt(0)
	v_xor_b32_e32 v9, 0x80000000, v9
	v_xor_b32_e32 v10, 0x80000000, v10
	ds_write_b64 v7, v[9:10]
.LBB158_25:
	s_or_b64 exec, exec, s[10:11]
	v_add_u32_e32 v9, 16, v1
	v_add_u32_e32 v7, v9, v2
	v_lshl_add_u32 v10, v9, 6, v0
	v_cndmask_b32_e64 v7, v10, v7, s[6:7]
	v_cmp_le_u32_e32 vcc, v9, v0
	s_and_saveexec_b64 s[10:11], vcc
	s_xor_b64 s[10:11], exec, s[10:11]
	s_cbranch_execz .LBB158_29
; %bb.26:
	v_or_b32_e32 v9, v9, v0
	v_cmp_gt_u32_e32 vcc, 64, v9
	s_and_saveexec_b64 s[12:13], vcc
; %bb.27:
	v_mov_b32_e32 v9, 0
	v_lshlrev_b32_e32 v7, 3, v7
	v_mov_b32_e32 v10, v9
	ds_write_b64 v7, v[9:10]
; %bb.28:
	s_or_b64 exec, exec, s[12:13]
                                        ; implicit-def: $vgpr9
                                        ; implicit-def: $vgpr7
.LBB158_29:
	s_andn2_saveexec_b64 s[10:11], s[10:11]
	s_cbranch_execz .LBB158_31
; %bb.30:
	v_mad_u64_u32 v[10:11], s[12:13], s36, v9, 0
	v_lshlrev_b32_e32 v7, 3, v7
	v_mad_u64_u32 v[11:12], s[12:13], s37, v9, v[11:12]
	v_lshlrev_b64 v[9:10], 3, v[10:11]
	v_add_co_u32_e32 v9, vcc, v4, v9
	v_addc_co_u32_e32 v10, vcc, v5, v10, vcc
	flat_load_dwordx2 v[9:10], v[9:10]
	s_waitcnt vmcnt(0) lgkmcnt(0)
	v_xor_b32_e32 v9, 0x80000000, v9
	v_xor_b32_e32 v10, 0x80000000, v10
	ds_write_b64 v7, v[9:10]
.LBB158_31:
	s_or_b64 exec, exec, s[10:11]
	v_add_u32_e32 v9, 32, v1
	v_add_u32_e32 v7, v9, v2
	v_lshl_add_u32 v10, v9, 6, v0
	v_cndmask_b32_e64 v7, v10, v7, s[6:7]
	v_cmp_le_u32_e32 vcc, v9, v0
	s_and_saveexec_b64 s[10:11], vcc
	s_xor_b64 s[10:11], exec, s[10:11]
	s_cbranch_execz .LBB158_35
; %bb.32:
	v_or_b32_e32 v9, v9, v0
	v_cmp_gt_u32_e32 vcc, 64, v9
	s_and_saveexec_b64 s[12:13], vcc
; %bb.33:
	v_mov_b32_e32 v9, 0
	v_lshlrev_b32_e32 v7, 3, v7
	v_mov_b32_e32 v10, v9
	ds_write_b64 v7, v[9:10]
; %bb.34:
	s_or_b64 exec, exec, s[12:13]
                                        ; implicit-def: $vgpr9
                                        ; implicit-def: $vgpr7
.LBB158_35:
	s_andn2_saveexec_b64 s[10:11], s[10:11]
	s_cbranch_execz .LBB158_37
; %bb.36:
	v_mad_u64_u32 v[10:11], s[12:13], s36, v9, 0
	v_lshlrev_b32_e32 v7, 3, v7
	v_mad_u64_u32 v[11:12], s[12:13], s37, v9, v[11:12]
	v_lshlrev_b64 v[9:10], 3, v[10:11]
	v_add_co_u32_e32 v9, vcc, v4, v9
	v_addc_co_u32_e32 v10, vcc, v5, v10, vcc
	flat_load_dwordx2 v[9:10], v[9:10]
	s_waitcnt vmcnt(0) lgkmcnt(0)
	v_xor_b32_e32 v9, 0x80000000, v9
	v_xor_b32_e32 v10, 0x80000000, v10
	ds_write_b64 v7, v[9:10]
.LBB158_37:
	s_or_b64 exec, exec, s[10:11]
	v_add_u32_e32 v9, 48, v1
	v_add_u32_e32 v7, v9, v2
	v_lshl_add_u32 v10, v9, 6, v0
	v_cndmask_b32_e64 v7, v10, v7, s[6:7]
	v_cmp_le_u32_e32 vcc, v9, v0
	s_and_saveexec_b64 s[10:11], vcc
	s_xor_b64 s[10:11], exec, s[10:11]
	s_cbranch_execz .LBB158_41
; %bb.38:
	v_or_b32_e32 v4, v9, v0
	v_cmp_gt_u32_e32 vcc, 64, v4
	s_and_saveexec_b64 s[12:13], vcc
; %bb.39:
	v_mov_b32_e32 v4, 0
	v_lshlrev_b32_e32 v7, 3, v7
	v_mov_b32_e32 v5, v4
	ds_write_b64 v7, v[4:5]
; %bb.40:
	s_or_b64 exec, exec, s[12:13]
                                        ; implicit-def: $vgpr9
                                        ; implicit-def: $vgpr4
                                        ; implicit-def: $vgpr5
                                        ; implicit-def: $vgpr7
.LBB158_41:
	s_andn2_saveexec_b64 s[10:11], s[10:11]
	s_cbranch_execz .LBB158_43
; %bb.42:
	v_mad_u64_u32 v[10:11], s[12:13], s36, v9, 0
	v_lshlrev_b32_e32 v7, 3, v7
	v_mad_u64_u32 v[11:12], s[12:13], s37, v9, v[11:12]
	v_lshlrev_b64 v[9:10], 3, v[10:11]
	v_add_co_u32_e32 v4, vcc, v4, v9
	v_addc_co_u32_e32 v5, vcc, v5, v10, vcc
	flat_load_dwordx2 v[4:5], v[4:5]
	s_waitcnt vmcnt(0) lgkmcnt(0)
	v_xor_b32_e32 v4, 0x80000000, v4
	v_xor_b32_e32 v5, 0x80000000, v5
	ds_write_b64 v7, v[4:5]
.LBB158_43:
	s_or_b64 exec, exec, s[10:11]
	s_mov_b64 s[16:17], 0
.LBB158_44:
	s_xor_b64 s[14:15], s[6:7], -1
	s_and_b64 vcc, exec, s[16:17]
	s_cbranch_vccz .LBB158_70
; %bb.45:
	s_add_u32 s10, s36, 1
	s_addc_u32 s11, s37, 0
	s_lshl_b32 s12, s8, 6
	s_ashr_i32 s13, s12, 31
	s_mul_hi_u32 s16, s10, s12
	s_mul_i32 s13, s10, s13
	s_add_i32 s13, s16, s13
	s_mul_i32 s11, s11, s12
	s_add_i32 s11, s13, s11
	s_mul_i32 s10, s10, s12
	s_lshl_b64 s[10:11], s[10:11], 3
	s_add_u32 s10, s90, s10
	s_addc_u32 s11, s91, s11
	v_lshlrev_b32_e32 v4, 3, v0
	v_mov_b32_e32 v5, s11
	v_add_co_u32_e64 v4, s[10:11], s10, v4
	v_addc_co_u32_e64 v5, s[10:11], 0, v5, s[10:11]
	v_max_i32_e32 v7, v1, v0
	v_cmp_le_u32_e64 s[10:11], v1, v0
	v_cmp_le_i32_e64 s[12:13], s9, v7
	v_cmp_gt_i32_e32 vcc, s9, v0
	s_or_b64 s[10:11], s[12:13], s[10:11]
	s_and_saveexec_b64 s[12:13], s[10:11]
	s_xor_b64 s[12:13], exec, s[12:13]
	s_cbranch_execz .LBB158_49
; %bb.46:
	v_or_b32_e32 v7, v1, v0
	v_cmp_gt_u32_e64 s[10:11], 64, v7
	s_and_saveexec_b64 s[16:17], s[10:11]
; %bb.47:
	v_mov_b32_e32 v9, 0
	v_lshlrev_b32_e32 v3, 3, v3
	v_mov_b32_e32 v10, v9
	ds_write_b64 v3, v[9:10]
; %bb.48:
	s_or_b64 exec, exec, s[16:17]
                                        ; implicit-def: $vgpr3
.LBB158_49:
	s_andn2_saveexec_b64 s[12:13], s[12:13]
	s_cbranch_execz .LBB158_51
; %bb.50:
	v_mad_u64_u32 v[9:10], s[10:11], s36, v1, 0
	v_lshlrev_b32_e32 v3, 3, v3
	v_mov_b32_e32 v7, v10
	v_mad_u64_u32 v[10:11], s[10:11], s37, v1, v[7:8]
	v_lshlrev_b64 v[9:10], 3, v[9:10]
	v_add_co_u32_e64 v9, s[10:11], v4, v9
	v_addc_co_u32_e64 v10, s[10:11], v5, v10, s[10:11]
	flat_load_dwordx2 v[9:10], v[9:10]
	s_waitcnt vmcnt(0) lgkmcnt(0)
	v_xor_b32_e32 v9, 0x80000000, v9
	v_xor_b32_e32 v10, 0x80000000, v10
	ds_write_b64 v3, v[9:10]
.LBB158_51:
	s_or_b64 exec, exec, s[12:13]
	v_add_u32_e32 v7, 16, v1
	v_cmp_gt_u32_e64 s[10:11], v7, v0
	v_cmp_gt_i32_e64 s[12:13], s9, v7
	s_and_b64 s[10:11], s[10:11], s[12:13]
	v_add_u32_e32 v3, v7, v2
	v_lshl_add_u32 v9, v7, 6, v0
	s_and_b64 s[10:11], s[10:11], vcc
	v_cndmask_b32_e64 v3, v9, v3, s[6:7]
	s_xor_b64 s[10:11], s[10:11], -1
	s_and_saveexec_b64 s[12:13], s[10:11]
	s_xor_b64 s[12:13], exec, s[12:13]
	s_cbranch_execz .LBB158_55
; %bb.52:
	v_or_b32_e32 v7, v7, v0
	v_cmp_gt_u32_e64 s[10:11], 64, v7
	s_and_saveexec_b64 s[16:17], s[10:11]
; %bb.53:
	v_mov_b32_e32 v9, 0
	v_lshlrev_b32_e32 v3, 3, v3
	v_mov_b32_e32 v10, v9
	ds_write_b64 v3, v[9:10]
; %bb.54:
	s_or_b64 exec, exec, s[16:17]
                                        ; implicit-def: $vgpr7
                                        ; implicit-def: $vgpr3
.LBB158_55:
	s_andn2_saveexec_b64 s[12:13], s[12:13]
	s_cbranch_execz .LBB158_57
; %bb.56:
	v_mad_u64_u32 v[9:10], s[10:11], s36, v7, 0
	v_lshlrev_b32_e32 v3, 3, v3
	v_mad_u64_u32 v[10:11], s[10:11], s37, v7, v[10:11]
	v_lshlrev_b64 v[9:10], 3, v[9:10]
	v_add_co_u32_e64 v9, s[10:11], v4, v9
	v_addc_co_u32_e64 v10, s[10:11], v5, v10, s[10:11]
	flat_load_dwordx2 v[9:10], v[9:10]
	s_waitcnt vmcnt(0) lgkmcnt(0)
	v_xor_b32_e32 v9, 0x80000000, v9
	v_xor_b32_e32 v10, 0x80000000, v10
	ds_write_b64 v3, v[9:10]
.LBB158_57:
	s_or_b64 exec, exec, s[12:13]
	v_add_u32_e32 v7, 32, v1
	v_cmp_gt_u32_e64 s[10:11], v7, v0
	v_cmp_gt_i32_e64 s[12:13], s9, v7
	s_and_b64 s[10:11], s[10:11], s[12:13]
	v_add_u32_e32 v3, v7, v2
	v_lshl_add_u32 v9, v7, 6, v0
	s_and_b64 s[10:11], s[10:11], vcc
	v_cndmask_b32_e64 v3, v9, v3, s[6:7]
	s_xor_b64 s[10:11], s[10:11], -1
	s_and_saveexec_b64 s[12:13], s[10:11]
	s_xor_b64 s[12:13], exec, s[12:13]
	s_cbranch_execz .LBB158_61
; %bb.58:
	v_or_b32_e32 v7, v7, v0
	v_cmp_gt_u32_e64 s[10:11], 64, v7
	s_and_saveexec_b64 s[16:17], s[10:11]
; %bb.59:
	v_mov_b32_e32 v9, 0
	v_lshlrev_b32_e32 v3, 3, v3
	v_mov_b32_e32 v10, v9
	ds_write_b64 v3, v[9:10]
; %bb.60:
	s_or_b64 exec, exec, s[16:17]
                                        ; implicit-def: $vgpr7
                                        ; implicit-def: $vgpr3
.LBB158_61:
	s_andn2_saveexec_b64 s[12:13], s[12:13]
	s_cbranch_execz .LBB158_63
; %bb.62:
	v_mad_u64_u32 v[9:10], s[10:11], s36, v7, 0
	v_lshlrev_b32_e32 v3, 3, v3
	v_mad_u64_u32 v[10:11], s[10:11], s37, v7, v[10:11]
	v_lshlrev_b64 v[9:10], 3, v[9:10]
	v_add_co_u32_e64 v9, s[10:11], v4, v9
	v_addc_co_u32_e64 v10, s[10:11], v5, v10, s[10:11]
	flat_load_dwordx2 v[9:10], v[9:10]
	s_waitcnt vmcnt(0) lgkmcnt(0)
	v_xor_b32_e32 v9, 0x80000000, v9
	v_xor_b32_e32 v10, 0x80000000, v10
	ds_write_b64 v3, v[9:10]
.LBB158_63:
	s_or_b64 exec, exec, s[12:13]
	v_add_u32_e32 v3, 48, v1
	v_add_u32_e32 v2, v3, v2
	v_lshl_add_u32 v7, v3, 6, v0
	v_cndmask_b32_e64 v2, v7, v2, s[6:7]
	v_cmp_gt_u32_e64 s[6:7], v3, v0
	v_cmp_gt_i32_e64 s[10:11], s9, v3
	s_and_b64 s[6:7], s[6:7], s[10:11]
	s_and_b64 s[6:7], s[6:7], vcc
	s_xor_b64 s[6:7], s[6:7], -1
	s_and_saveexec_b64 s[10:11], s[6:7]
	s_xor_b64 s[6:7], exec, s[10:11]
	s_cbranch_execz .LBB158_67
; %bb.64:
	v_or_b32_e32 v3, v3, v0
	v_cmp_gt_u32_e32 vcc, 64, v3
	s_and_saveexec_b64 s[10:11], vcc
; %bb.65:
	v_lshlrev_b32_e32 v4, 3, v2
	v_mov_b32_e32 v2, 0
	v_mov_b32_e32 v3, v2
	ds_write_b64 v4, v[2:3]
; %bb.66:
	s_or_b64 exec, exec, s[10:11]
                                        ; implicit-def: $vgpr3
                                        ; implicit-def: $vgpr4
                                        ; implicit-def: $vgpr5
                                        ; implicit-def: $vgpr2
.LBB158_67:
	s_andn2_saveexec_b64 s[6:7], s[6:7]
	s_cbranch_execz .LBB158_69
; %bb.68:
	v_mad_u64_u32 v[9:10], s[10:11], s36, v3, 0
	v_lshlrev_b32_e32 v2, 3, v2
	v_mov_b32_e32 v7, v10
	v_mad_u64_u32 v[10:11], s[10:11], s37, v3, v[7:8]
	v_lshlrev_b64 v[9:10], 3, v[9:10]
	v_add_co_u32_e32 v3, vcc, v4, v9
	v_addc_co_u32_e32 v4, vcc, v5, v10, vcc
	flat_load_dwordx2 v[3:4], v[3:4]
	s_waitcnt vmcnt(0) lgkmcnt(0)
	v_xor_b32_e32 v3, 0x80000000, v3
	v_xor_b32_e32 v4, 0x80000000, v4
	ds_write_b64 v2, v[3:4]
.LBB158_69:
	s_or_b64 exec, exec, s[6:7]
.LBB158_70:
	v_cndmask_b32_e64 v2, 0, 1, s[14:15]
	v_cmp_ne_u32_e64 s[48:49], 1, v2
	s_andn2_b64 vcc, exec, s[14:15]
	s_waitcnt vmcnt(0) lgkmcnt(0)
	s_barrier
	s_cbranch_vccnz .LBB158_992
; %bb.71:
	v_or_b32_e32 v2, v0, v1
	s_mov_b32 s11, 0
	v_cmp_eq_u32_e32 vcc, 0, v2
	s_and_saveexec_b64 s[6:7], vcc
	s_cbranch_execz .LBB158_73
; %bb.72:
	v_mov_b32_e32 v7, 0
	ds_read_b64 v[2:3], v7 offset:32752
	s_mov_b32 s10, 1.0
	v_mov_b32_e32 v4, s10
	v_mov_b32_e32 v5, s11
	s_movk_i32 s10, 0x7800
	ds_write_b64 v7, v[4:5] offset:32760
	v_add_u32_e64 v7, s10, 0
	s_waitcnt lgkmcnt(1)
	ds_write2_b64 v7, v[4:5], v[2:3] offset0:190 offset1:191
.LBB158_73:
	s_or_b64 exec, exec, s[6:7]
	v_lshlrev_b32_e32 v2, 6, v1
	v_add_u32_e32 v9, v2, v0
	v_and_b32_e32 v3, v2, v0
	v_xor_b32_e32 v2, v2, v0
	v_lshrrev_b16_e32 v2, 1, v2
	v_add_u16_e32 v7, v3, v2
	v_and_b32_e32 v4, 1, v0
	v_sub_u32_e32 v5, 1, v7
	v_cmp_lt_u32_e64 s[10:11], 3, v9
	v_cmp_gt_u32_e64 s[22:23], 4, v9
	v_mov_b32_e32 v2, 0
	v_mov_b32_e32 v3, 0
	s_waitcnt lgkmcnt(0)
	s_barrier
	buffer_wbinvl1_vol
	s_and_saveexec_b64 s[6:7], s[22:23]
	s_cbranch_execz .LBB158_77
; %bb.74:
	v_lshlrev_b32_e32 v2, 3, v4
	v_lshlrev_b32_e32 v10, 9, v5
	ds_read_b64 v[2:3], v2 offset:32224
	ds_read_b64 v[10:11], v10 offset:32240
	v_cmp_gt_u32_e64 s[12:13], 2, v9
	s_waitcnt lgkmcnt(0)
	v_mul_f32_e32 v12, v11, v3
	v_mul_f32_e32 v3, v10, v3
	v_fma_f32 v10, v10, v2, -v12
	v_fmac_f32_e32 v3, v11, v2
	v_add_f32_e32 v2, 0, v10
	v_add_f32_e32 v3, 0, v3
	s_and_saveexec_b64 s[14:15], s[12:13]
	s_cbranch_execz .LBB158_76
; %bb.75:
	v_lshlrev_b32_e32 v10, 3, v0
	v_mov_b32_e32 v12, 0
	ds_read_b64 v[10:11], v10 offset:32736
	ds_read_b64 v[12:13], v12 offset:32760
	s_waitcnt lgkmcnt(0)
	v_mul_f32_e32 v14, v13, v11
	v_mul_f32_e32 v11, v12, v11
	v_fma_f32 v12, v12, v10, -v14
	v_fmac_f32_e32 v11, v13, v10
	v_add_f32_e32 v2, v2, v12
	v_add_f32_e32 v3, v3, v11
.LBB158_76:
	s_or_b64 exec, exec, s[14:15]
.LBB158_77:
	s_or_b64 exec, exec, s[6:7]
	v_mov_b32_e32 v10, 0x8000
	v_cmp_ne_u32_e64 s[12:13], 0, v4
	s_xor_b64 s[6:7], s[10:11], -1
	v_lshl_add_u32 v7, v7, 3, v10
	s_and_b64 s[42:43], s[12:13], s[6:7]
	s_and_saveexec_b64 s[10:11], s[42:43]
; %bb.78:
	v_xor_b32_e32 v11, 0x80000000, v3
	v_xor_b32_e32 v10, 0x80000000, v2
	ds_write_b64 v7, v[10:11]
; %bb.79:
	s_or_b64 exec, exec, s[10:11]
	v_cmp_eq_u32_e64 s[10:11], 0, v4
	s_and_b64 s[40:41], s[10:11], s[6:7]
	s_waitcnt lgkmcnt(0)
	s_barrier
	s_and_saveexec_b64 s[6:7], s[40:41]
	s_cbranch_execz .LBB158_81
; %bb.80:
	v_mov_b32_e32 v10, 0
	ds_read_b64 v[10:11], v10 offset:31712
	ds_read_b64 v[12:13], v7
	s_waitcnt lgkmcnt(0)
	v_mul_f32_e32 v14, v12, v10
	v_mul_f32_e32 v12, v12, v11
	v_fmac_f32_e32 v12, v13, v10
	v_fma_f32 v10, v13, v11, -v14
	v_add_f32_e32 v2, v2, v10
	v_sub_f32_e32 v3, v3, v12
.LBB158_81:
	s_or_b64 exec, exec, s[6:7]
	s_barrier
	s_and_saveexec_b64 s[6:7], s[40:41]
; %bb.82:
	v_xor_b32_e32 v11, 0x80000000, v3
	v_xor_b32_e32 v10, 0x80000000, v2
	ds_write_b64 v7, v[10:11]
; %bb.83:
	s_or_b64 exec, exec, s[6:7]
	s_waitcnt lgkmcnt(0)
	s_barrier
	s_barrier
	s_and_saveexec_b64 s[6:7], s[22:23]
; %bb.84:
	v_lshlrev_b32_e32 v10, 3, v4
	v_lshl_or_b32 v10, v5, 9, v10
	ds_write_b64 v10, v[2:3] offset:32224
; %bb.85:
	s_or_b64 exec, exec, s[6:7]
	v_cmp_eq_u32_e64 s[16:17], 0, v1
	v_cmp_gt_u32_e64 s[10:11], 2, v0
	s_and_b64 s[44:45], s[16:17], s[10:11]
	s_waitcnt lgkmcnt(0)
	s_barrier
	s_barrier
	s_and_saveexec_b64 s[6:7], s[44:45]
	s_cbranch_execz .LBB158_87
; %bb.86:
	v_lshlrev_b32_e32 v10, 3, v0
	s_movk_i32 s10, 0x1f8
	v_mad_u32_u24 v11, v0, s10, v10
	ds_read_b64 v[2:3], v11 offset:32224
	s_waitcnt lgkmcnt(0)
	ds_write_b64 v10, v[2:3] offset:31216
	ds_read_b64 v[2:3], v11 offset:32232
	s_waitcnt lgkmcnt(0)
	ds_write_b64 v10, v[2:3] offset:31728
.LBB158_87:
	s_or_b64 exec, exec, s[6:7]
	s_waitcnt lgkmcnt(0)
	s_barrier
	s_and_saveexec_b64 s[6:7], vcc
	s_cbranch_execz .LBB158_89
; %bb.88:
	v_mov_b32_e32 v12, 0
	ds_read_b64 v[2:3], v12 offset:31712
	s_mov_b64 s[10:11], 0x3f800000
	v_mov_b32_e32 v10, s10
	v_mov_b32_e32 v11, s11
	s_movk_i32 s10, 0x7800
	ds_write_b64 v12, v[10:11] offset:31720
	v_add_u32_e64 v12, s10, 0
	s_waitcnt lgkmcnt(1)
	ds_write2_b64 v12, v[10:11], v[2:3] offset0:60 offset1:61
.LBB158_89:
	s_or_b64 exec, exec, s[6:7]
	v_lshrrev_b32_e32 v12, 2, v9
	v_and_b32_e32 v10, 3, v0
	v_sub_u32_e32 v11, 3, v12
	v_cmp_lt_u32_e64 s[12:13], 15, v9
	v_cmp_gt_u32_e64 s[10:11], 16, v9
	v_mov_b32_e32 v3, 0
	v_mov_b32_e32 v2, 0
	s_waitcnt lgkmcnt(0)
	s_barrier
	buffer_wbinvl1_vol
	s_and_saveexec_b64 s[6:7], s[10:11]
	s_cbranch_execz .LBB158_95
; %bb.90:
	v_lshlrev_b32_e32 v13, 3, v10
	v_lshlrev_b32_e32 v14, 9, v11
	ds_read_b64 v[2:3], v13 offset:31168
	ds_read_b64 v[15:16], v14 offset:31200
	v_cmp_gt_u32_e64 s[14:15], 12, v9
	s_waitcnt lgkmcnt(0)
	v_mul_f32_e32 v17, v16, v3
	v_mul_f32_e32 v3, v15, v3
	v_fma_f32 v15, v15, v2, -v17
	v_fmac_f32_e32 v3, v16, v2
	v_add_f32_e32 v2, 0, v15
	v_add_f32_e32 v3, 0, v3
	s_and_saveexec_b64 s[18:19], s[14:15]
	s_cbranch_execnz .LBB158_1052
; %bb.91:
	s_or_b64 exec, exec, s[18:19]
	v_cmp_gt_u32_e64 s[14:15], 8, v9
	s_and_saveexec_b64 s[18:19], s[14:15]
	s_cbranch_execnz .LBB158_1053
.LBB158_92:
	s_or_b64 exec, exec, s[18:19]
	v_cmp_gt_u32_e64 s[14:15], 4, v9
	s_and_saveexec_b64 s[18:19], s[14:15]
	s_cbranch_execz .LBB158_94
.LBB158_93:
	v_lshlrev_b32_e32 v13, 3, v0
	v_mov_b32_e32 v15, 0
	ds_read_b64 v[13:14], v13 offset:32704
	ds_read_b64 v[15:16], v15 offset:32760
	s_waitcnt lgkmcnt(0)
	v_mul_f32_e32 v17, v16, v14
	v_mul_f32_e32 v14, v15, v14
	v_fma_f32 v15, v15, v13, -v17
	v_fmac_f32_e32 v14, v16, v13
	v_add_f32_e32 v2, v2, v15
	v_add_f32_e32 v3, v3, v14
.LBB158_94:
	s_or_b64 exec, exec, s[18:19]
.LBB158_95:
                                        ; implicit-def: $vgpr29 : SGPR spill to VGPR lane
	v_writelane_b32 v29, s48, 0
	v_writelane_b32 v29, s49, 1
	s_or_b64 exec, exec, s[6:7]
	v_mov_b32_e32 v13, 0x8000
	v_cmp_eq_u32_e64 s[14:15], 3, v10
	s_xor_b64 s[6:7], s[12:13], -1
	v_lshl_add_u32 v12, v12, 3, v13
	s_and_b64 s[48:49], s[14:15], s[6:7]
	s_and_saveexec_b64 s[12:13], s[48:49]
; %bb.96:
	v_xor_b32_e32 v13, 0x80000000, v2
	v_xor_b32_e32 v14, 0x80000000, v3
	ds_write_b64 v12, v[13:14]
; %bb.97:
	s_or_b64 exec, exec, s[12:13]
	v_cmp_ne_u32_e64 s[12:13], 3, v10
	s_and_b64 s[50:51], s[12:13], s[6:7]
	s_waitcnt lgkmcnt(0)
	s_barrier
	s_and_saveexec_b64 s[12:13], s[50:51]
	s_cbranch_execz .LBB158_99
; %bb.98:
	v_lshlrev_b32_e32 v13, 3, v10
	ds_read_b64 v[13:14], v13 offset:30656
	ds_read_b64 v[15:16], v12
	s_waitcnt lgkmcnt(0)
	v_mul_f32_e32 v17, v16, v14
	v_mul_f32_e32 v14, v15, v14
	v_fma_f32 v15, v15, v13, -v17
	v_fmac_f32_e32 v14, v16, v13
	v_sub_f32_e32 v2, v2, v15
	v_sub_f32_e32 v3, v3, v14
.LBB158_99:
	s_or_b64 exec, exec, s[12:13]
	v_cmp_eq_u32_e64 s[12:13], 2, v10
	s_and_b64 s[52:53], s[12:13], s[6:7]
	s_barrier
	s_and_saveexec_b64 s[12:13], s[52:53]
; %bb.100:
	v_xor_b32_e32 v13, 0x80000000, v2
	v_xor_b32_e32 v14, 0x80000000, v3
	ds_write_b64 v12, v[13:14]
; %bb.101:
	s_or_b64 exec, exec, s[12:13]
	v_cmp_gt_u32_e64 s[12:13], 2, v10
	s_and_b64 s[54:55], s[12:13], s[6:7]
	s_waitcnt lgkmcnt(0)
	s_barrier
	s_and_saveexec_b64 s[12:13], s[54:55]
	s_cbranch_execz .LBB158_103
; %bb.102:
	v_lshlrev_b32_e32 v13, 3, v10
	ds_read_b64 v[13:14], v13 offset:30144
	ds_read_b64 v[15:16], v12
	s_waitcnt lgkmcnt(0)
	v_mul_f32_e32 v17, v16, v14
	v_mul_f32_e32 v14, v15, v14
	v_fma_f32 v15, v15, v13, -v17
	v_fmac_f32_e32 v14, v16, v13
	v_sub_f32_e32 v2, v2, v15
	v_sub_f32_e32 v3, v3, v14
.LBB158_103:
	s_or_b64 exec, exec, s[12:13]
	v_cmp_eq_u32_e64 s[12:13], 1, v10
	s_and_b64 s[56:57], s[12:13], s[6:7]
	s_barrier
	s_and_saveexec_b64 s[12:13], s[56:57]
; %bb.104:
	v_xor_b32_e32 v13, 0x80000000, v2
	v_xor_b32_e32 v14, 0x80000000, v3
	ds_write_b64 v12, v[13:14]
; %bb.105:
	s_or_b64 exec, exec, s[12:13]
	v_cmp_eq_u32_e64 s[12:13], 0, v10
	s_and_b64 s[46:47], s[12:13], s[6:7]
	s_waitcnt lgkmcnt(0)
	s_barrier
	s_and_saveexec_b64 s[6:7], s[46:47]
	s_cbranch_execz .LBB158_107
; %bb.106:
	v_mov_b32_e32 v13, 0
	ds_read_b64 v[13:14], v13 offset:29632
	ds_read_b64 v[15:16], v12
	s_waitcnt lgkmcnt(0)
	v_mul_f32_e32 v17, v16, v14
	v_mul_f32_e32 v14, v15, v14
	v_fma_f32 v15, v15, v13, -v17
	v_fmac_f32_e32 v14, v16, v13
	v_sub_f32_e32 v2, v2, v15
	v_sub_f32_e32 v3, v3, v14
.LBB158_107:
	s_or_b64 exec, exec, s[6:7]
	s_barrier
	s_and_saveexec_b64 s[6:7], s[46:47]
; %bb.108:
	v_xor_b32_e32 v13, 0x80000000, v2
	v_xor_b32_e32 v14, 0x80000000, v3
	ds_write_b64 v12, v[13:14]
; %bb.109:
	s_or_b64 exec, exec, s[6:7]
	s_waitcnt lgkmcnt(0)
	s_barrier
	s_barrier
	s_and_saveexec_b64 s[6:7], s[10:11]
; %bb.110:
	v_lshlrev_b32_e32 v13, 3, v10
	v_lshl_or_b32 v13, v11, 9, v13
	ds_write_b64 v13, v[2:3] offset:31168
; %bb.111:
	s_or_b64 exec, exec, s[6:7]
	v_cmp_gt_u32_e64 s[12:13], 4, v0
	s_and_b64 s[58:59], s[16:17], s[12:13]
	s_waitcnt lgkmcnt(0)
	s_barrier
	s_barrier
	s_and_saveexec_b64 s[6:7], s[58:59]
	s_cbranch_execz .LBB158_113
; %bb.112:
	v_lshlrev_b32_e32 v13, 9, v0
	ds_read_b64 v[2:3], v13 offset:31168
	s_movk_i32 s12, 0xfe08
	v_mad_i32_i24 v14, v0, s12, v13
	s_waitcnt lgkmcnt(0)
	ds_write_b64 v14, v[2:3] offset:29152
	ds_read_b64 v[2:3], v13 offset:31176
	s_waitcnt lgkmcnt(0)
	ds_write_b64 v14, v[2:3] offset:29664
	ds_read_b64 v[2:3], v13 offset:31184
	;; [unrolled: 3-line block ×3, first 2 shown]
	s_waitcnt lgkmcnt(0)
	ds_write_b64 v14, v[2:3] offset:30688
.LBB158_113:
	s_or_b64 exec, exec, s[6:7]
	s_waitcnt lgkmcnt(0)
	s_barrier
	s_and_saveexec_b64 s[6:7], vcc
	s_cbranch_execz .LBB158_115
; %bb.114:
	v_mov_b32_e32 v15, 0
	ds_read_b64 v[2:3], v15 offset:30672
	s_mov_b64 s[12:13], 0x3f800000
	v_mov_b32_e32 v14, s13
	v_mov_b32_e32 v13, s12
	s_movk_i32 s12, 0x7000
	ds_write_b64 v15, v[13:14] offset:30680
	v_add_u32_e64 v15, s12, 0
	s_waitcnt lgkmcnt(1)
	ds_write2_b64 v15, v[13:14], v[2:3] offset0:186 offset1:187
.LBB158_115:
	s_or_b64 exec, exec, s[6:7]
	v_mov_b32_e32 v2, 0
	v_mov_b32_e32 v3, 0
	s_waitcnt lgkmcnt(0)
	s_barrier
	buffer_wbinvl1_vol
	s_and_saveexec_b64 s[6:7], s[22:23]
	s_cbranch_execz .LBB158_119
; %bb.116:
	v_lshlrev_b32_e32 v2, 3, v4
	v_lshlrev_b32_e32 v13, 9, v5
	ds_read_b64 v[2:3], v2 offset:30144
	ds_read_b64 v[13:14], v13 offset:30160
	v_cmp_gt_u32_e64 s[12:13], 2, v9
	s_waitcnt lgkmcnt(0)
	v_mul_f32_e32 v15, v14, v3
	v_mul_f32_e32 v3, v13, v3
	v_fma_f32 v13, v13, v2, -v15
	v_fmac_f32_e32 v3, v14, v2
	v_add_f32_e32 v2, 0, v13
	v_add_f32_e32 v3, 0, v3
	s_and_saveexec_b64 s[14:15], s[12:13]
	s_cbranch_execz .LBB158_118
; %bb.117:
	v_lshlrev_b32_e32 v13, 3, v0
	v_mov_b32_e32 v15, 0
	ds_read_b64 v[13:14], v13 offset:30656
	ds_read_b64 v[15:16], v15 offset:30680
	s_waitcnt lgkmcnt(0)
	v_mul_f32_e32 v17, v16, v14
	v_mul_f32_e32 v14, v15, v14
	v_fma_f32 v15, v15, v13, -v17
	v_fmac_f32_e32 v14, v16, v13
	v_add_f32_e32 v2, v2, v15
	v_add_f32_e32 v3, v3, v14
.LBB158_118:
	s_or_b64 exec, exec, s[14:15]
.LBB158_119:
	s_or_b64 exec, exec, s[6:7]
	s_and_saveexec_b64 s[6:7], s[42:43]
; %bb.120:
	v_xor_b32_e32 v14, 0x80000000, v3
	v_xor_b32_e32 v13, 0x80000000, v2
	ds_write_b64 v7, v[13:14]
; %bb.121:
	s_or_b64 exec, exec, s[6:7]
	s_waitcnt lgkmcnt(0)
	s_barrier
	s_and_saveexec_b64 s[6:7], s[40:41]
	s_cbranch_execz .LBB158_123
; %bb.122:
	v_mov_b32_e32 v13, 0
	ds_read_b64 v[13:14], v13 offset:29632
	ds_read_b64 v[15:16], v7
	s_waitcnt lgkmcnt(0)
	v_mul_f32_e32 v17, v15, v13
	v_mul_f32_e32 v15, v15, v14
	v_fmac_f32_e32 v15, v16, v13
	v_fma_f32 v13, v16, v14, -v17
	v_add_f32_e32 v2, v2, v13
	v_sub_f32_e32 v3, v3, v15
.LBB158_123:
	s_or_b64 exec, exec, s[6:7]
	s_barrier
	s_and_saveexec_b64 s[6:7], s[40:41]
; %bb.124:
	v_xor_b32_e32 v14, 0x80000000, v3
	v_xor_b32_e32 v13, 0x80000000, v2
	ds_write_b64 v7, v[13:14]
; %bb.125:
	s_or_b64 exec, exec, s[6:7]
	s_waitcnt lgkmcnt(0)
	s_barrier
	s_barrier
	s_and_saveexec_b64 s[6:7], s[22:23]
; %bb.126:
	v_lshlrev_b32_e32 v13, 3, v4
	v_lshl_or_b32 v13, v5, 9, v13
	ds_write_b64 v13, v[2:3] offset:30144
; %bb.127:
	s_or_b64 exec, exec, s[6:7]
	s_waitcnt lgkmcnt(0)
	s_barrier
	s_barrier
	s_and_saveexec_b64 s[6:7], s[44:45]
	s_cbranch_execz .LBB158_129
; %bb.128:
	v_lshlrev_b32_e32 v13, 3, v0
	s_movk_i32 s12, 0x1f8
	v_mad_u32_u24 v14, v0, s12, v13
	ds_read_b64 v[2:3], v14 offset:30144
	s_waitcnt lgkmcnt(0)
	ds_write_b64 v13, v[2:3] offset:29136
	ds_read_b64 v[2:3], v14 offset:30152
	s_waitcnt lgkmcnt(0)
	ds_write_b64 v13, v[2:3] offset:29648
.LBB158_129:
	s_or_b64 exec, exec, s[6:7]
	s_waitcnt lgkmcnt(0)
	s_barrier
	s_and_saveexec_b64 s[6:7], vcc
	s_cbranch_execz .LBB158_131
; %bb.130:
	v_mov_b32_e32 v15, 0
	ds_read_b64 v[2:3], v15 offset:29632
	s_mov_b64 s[12:13], 0x3f800000
	v_mov_b32_e32 v14, s13
	v_mov_b32_e32 v13, s12
	s_movk_i32 s12, 0x7000
	ds_write_b64 v15, v[13:14] offset:29640
	v_add_u32_e64 v15, s12, 0
	s_waitcnt lgkmcnt(1)
	ds_write2_b64 v15, v[13:14], v[2:3] offset0:56 offset1:57
.LBB158_131:
	s_or_b64 exec, exec, s[6:7]
	v_lshrrev_b32_e32 v15, 3, v9
	v_and_b32_e32 v13, 7, v0
	v_sub_u32_e32 v14, 7, v15
	v_cmp_lt_u32_e64 s[14:15], 63, v9
	v_cmp_gt_u32_e64 s[12:13], 64, v9
	v_mov_b32_e32 v3, 0
	v_mov_b32_e32 v2, 0
	s_waitcnt lgkmcnt(0)
	s_barrier
	buffer_wbinvl1_vol
	s_and_saveexec_b64 s[6:7], s[12:13]
	s_cbranch_execz .LBB158_141
; %bb.132:
	v_lshlrev_b32_e32 v16, 3, v13
	v_lshlrev_b32_e32 v17, 9, v14
	ds_read_b64 v[2:3], v16 offset:29056
	ds_read_b64 v[18:19], v17 offset:29120
	v_cmp_gt_u32_e64 s[18:19], 56, v9
	s_waitcnt lgkmcnt(0)
	v_mul_f32_e32 v20, v19, v3
	v_mul_f32_e32 v3, v18, v3
	v_fma_f32 v18, v18, v2, -v20
	v_fmac_f32_e32 v3, v19, v2
	v_add_f32_e32 v2, 0, v18
	v_add_f32_e32 v3, 0, v3
	s_and_saveexec_b64 s[20:21], s[18:19]
	s_cbranch_execnz .LBB158_1054
; %bb.133:
	s_or_b64 exec, exec, s[20:21]
	v_cmp_gt_u32_e64 s[18:19], 48, v9
	s_and_saveexec_b64 s[20:21], s[18:19]
	s_cbranch_execnz .LBB158_1055
.LBB158_134:
	s_or_b64 exec, exec, s[20:21]
	v_cmp_gt_u32_e64 s[18:19], 40, v9
	s_and_saveexec_b64 s[20:21], s[18:19]
	s_cbranch_execnz .LBB158_1056
.LBB158_135:
	s_or_b64 exec, exec, s[20:21]
	v_cmp_gt_u32_e64 s[18:19], 32, v9
	s_and_saveexec_b64 s[20:21], s[18:19]
	s_cbranch_execnz .LBB158_1057
.LBB158_136:
	s_or_b64 exec, exec, s[20:21]
	v_cmp_gt_u32_e64 s[18:19], 24, v9
	s_and_saveexec_b64 s[20:21], s[18:19]
	s_cbranch_execnz .LBB158_1058
.LBB158_137:
	s_or_b64 exec, exec, s[20:21]
	s_and_saveexec_b64 s[18:19], s[10:11]
	s_cbranch_execnz .LBB158_1059
.LBB158_138:
	s_or_b64 exec, exec, s[18:19]
	v_cmp_gt_u32_e64 s[18:19], 8, v9
	s_and_saveexec_b64 s[20:21], s[18:19]
	s_cbranch_execz .LBB158_140
.LBB158_139:
	v_lshlrev_b32_e32 v16, 3, v0
	v_mov_b32_e32 v18, 0
	ds_read_b64 v[16:17], v16 offset:32640
	ds_read_b64 v[18:19], v18 offset:32760
	s_waitcnt lgkmcnt(0)
	v_mul_f32_e32 v20, v19, v17
	v_mul_f32_e32 v17, v18, v17
	v_fma_f32 v18, v18, v16, -v20
	v_fmac_f32_e32 v17, v19, v16
	v_add_f32_e32 v2, v2, v18
	v_add_f32_e32 v3, v3, v17
.LBB158_140:
	s_or_b64 exec, exec, s[20:21]
.LBB158_141:
	s_or_b64 exec, exec, s[6:7]
	v_mov_b32_e32 v16, 0x8000
	v_cmp_eq_u32_e64 s[18:19], 7, v13
	s_xor_b64 s[6:7], s[14:15], -1
	v_lshl_add_u32 v15, v15, 3, v16
	s_and_b64 s[62:63], s[18:19], s[6:7]
	s_and_saveexec_b64 s[14:15], s[62:63]
; %bb.142:
	v_xor_b32_e32 v17, 0x80000000, v3
	v_xor_b32_e32 v16, 0x80000000, v2
	ds_write_b64 v15, v[16:17]
; %bb.143:
	s_or_b64 exec, exec, s[14:15]
	v_cmp_ne_u32_e64 s[14:15], 7, v13
	s_and_b64 s[64:65], s[14:15], s[6:7]
	s_waitcnt lgkmcnt(0)
	s_barrier
	s_and_saveexec_b64 s[14:15], s[64:65]
	s_cbranch_execz .LBB158_145
; %bb.144:
	v_lshlrev_b32_e32 v16, 3, v13
	ds_read_b64 v[16:17], v16 offset:28544
	ds_read_b64 v[18:19], v15
	s_waitcnt lgkmcnt(0)
	v_mul_f32_e32 v20, v19, v17
	v_mul_f32_e32 v17, v18, v17
	v_fma_f32 v18, v18, v16, -v20
	v_fmac_f32_e32 v17, v19, v16
	v_sub_f32_e32 v2, v2, v18
	v_sub_f32_e32 v3, v3, v17
.LBB158_145:
	s_or_b64 exec, exec, s[14:15]
	v_cmp_eq_u32_e64 s[14:15], 6, v13
	s_and_b64 s[66:67], s[14:15], s[6:7]
	s_barrier
	s_and_saveexec_b64 s[14:15], s[66:67]
; %bb.146:
	v_xor_b32_e32 v17, 0x80000000, v3
	v_xor_b32_e32 v16, 0x80000000, v2
	ds_write_b64 v15, v[16:17]
; %bb.147:
	s_or_b64 exec, exec, s[14:15]
	v_cmp_gt_u32_e64 s[14:15], 6, v13
	s_and_b64 s[68:69], s[14:15], s[6:7]
	s_waitcnt lgkmcnt(0)
	s_barrier
	s_and_saveexec_b64 s[14:15], s[68:69]
	s_cbranch_execz .LBB158_149
; %bb.148:
	v_lshlrev_b32_e32 v16, 3, v13
	ds_read_b64 v[16:17], v16 offset:28032
	ds_read_b64 v[18:19], v15
	s_waitcnt lgkmcnt(0)
	v_mul_f32_e32 v20, v19, v17
	v_mul_f32_e32 v17, v18, v17
	v_fma_f32 v18, v18, v16, -v20
	v_fmac_f32_e32 v17, v19, v16
	v_sub_f32_e32 v2, v2, v18
	v_sub_f32_e32 v3, v3, v17
.LBB158_149:
	s_or_b64 exec, exec, s[14:15]
	v_cmp_eq_u32_e64 s[14:15], 5, v13
	s_and_b64 s[70:71], s[14:15], s[6:7]
	s_barrier
	s_and_saveexec_b64 s[14:15], s[70:71]
; %bb.150:
	v_xor_b32_e32 v17, 0x80000000, v3
	v_xor_b32_e32 v16, 0x80000000, v2
	ds_write_b64 v15, v[16:17]
; %bb.151:
	s_or_b64 exec, exec, s[14:15]
	v_cmp_gt_u32_e64 s[14:15], 5, v13
	;; [unrolled: 29-line block ×5, first 2 shown]
	s_and_b64 s[84:85], s[14:15], s[6:7]
	s_waitcnt lgkmcnt(0)
	s_barrier
	s_and_saveexec_b64 s[14:15], s[84:85]
	s_cbranch_execz .LBB158_165
; %bb.164:
	v_lshlrev_b32_e32 v16, 3, v13
	ds_read_b64 v[16:17], v16 offset:25984
	ds_read_b64 v[18:19], v15
	s_waitcnt lgkmcnt(0)
	v_mul_f32_e32 v20, v19, v17
	v_mul_f32_e32 v17, v18, v17
	v_fma_f32 v18, v18, v16, -v20
	v_fmac_f32_e32 v17, v19, v16
	v_sub_f32_e32 v2, v2, v18
	v_sub_f32_e32 v3, v3, v17
.LBB158_165:
	s_or_b64 exec, exec, s[14:15]
	v_cmp_eq_u32_e64 s[14:15], 1, v13
	s_and_b64 s[86:87], s[14:15], s[6:7]
	s_barrier
	s_and_saveexec_b64 s[14:15], s[86:87]
; %bb.166:
	v_xor_b32_e32 v17, 0x80000000, v3
	v_xor_b32_e32 v16, 0x80000000, v2
	ds_write_b64 v15, v[16:17]
; %bb.167:
	s_or_b64 exec, exec, s[14:15]
	v_cmp_eq_u32_e64 s[14:15], 0, v13
	s_and_b64 s[60:61], s[14:15], s[6:7]
	s_waitcnt lgkmcnt(0)
	s_barrier
	s_and_saveexec_b64 s[6:7], s[60:61]
	s_cbranch_execz .LBB158_169
; %bb.168:
	v_mov_b32_e32 v16, 0
	ds_read_b64 v[16:17], v16 offset:25472
	ds_read_b64 v[18:19], v15
	s_waitcnt lgkmcnt(0)
	v_mul_f32_e32 v20, v19, v17
	v_mul_f32_e32 v17, v18, v17
	v_fma_f32 v18, v18, v16, -v20
	v_fmac_f32_e32 v17, v19, v16
	v_sub_f32_e32 v2, v2, v18
	v_sub_f32_e32 v3, v3, v17
.LBB158_169:
	s_or_b64 exec, exec, s[6:7]
	s_barrier
	s_and_saveexec_b64 s[6:7], s[60:61]
; %bb.170:
	v_xor_b32_e32 v17, 0x80000000, v3
	v_xor_b32_e32 v16, 0x80000000, v2
	ds_write_b64 v15, v[16:17]
; %bb.171:
	s_or_b64 exec, exec, s[6:7]
	s_waitcnt lgkmcnt(0)
	s_barrier
	s_barrier
	s_and_saveexec_b64 s[6:7], s[12:13]
; %bb.172:
	v_lshlrev_b32_e32 v16, 3, v13
	v_lshl_or_b32 v16, v14, 9, v16
	ds_write_b64 v16, v[2:3] offset:29056
; %bb.173:
	s_or_b64 exec, exec, s[6:7]
	v_cmp_gt_u32_e64 s[14:15], 8, v0
	s_and_b64 s[88:89], s[16:17], s[14:15]
	s_waitcnt lgkmcnt(0)
	s_barrier
	s_barrier
	s_and_saveexec_b64 s[6:7], s[88:89]
	s_cbranch_execz .LBB158_175
; %bb.174:
	v_lshlrev_b32_e32 v16, 9, v0
	ds_read_b64 v[2:3], v16 offset:29056
	s_movk_i32 s14, 0xfe08
	v_mad_i32_i24 v17, v0, s14, v16
	s_waitcnt lgkmcnt(0)
	ds_write_b64 v17, v[2:3] offset:25024
	ds_read_b64 v[2:3], v16 offset:29064
	s_waitcnt lgkmcnt(0)
	ds_write_b64 v17, v[2:3] offset:25536
	ds_read_b64 v[2:3], v16 offset:29072
	;; [unrolled: 3-line block ×7, first 2 shown]
	s_waitcnt lgkmcnt(0)
	ds_write_b64 v17, v[2:3] offset:28608
.LBB158_175:
	s_or_b64 exec, exec, s[6:7]
	s_waitcnt lgkmcnt(0)
	s_barrier
	s_and_saveexec_b64 s[6:7], vcc
	s_cbranch_execz .LBB158_177
; %bb.176:
	v_mov_b32_e32 v18, 0
	ds_read_b64 v[2:3], v18 offset:28592
	s_mov_b64 s[14:15], 0x3f800000
	v_mov_b32_e32 v17, s15
	v_mov_b32_e32 v16, s14
	s_movk_i32 s14, 0x6800
	ds_write_b64 v18, v[16:17] offset:28600
	v_add_u32_e64 v18, s14, 0
	s_waitcnt lgkmcnt(1)
	ds_write2_b64 v18, v[16:17], v[2:3] offset0:182 offset1:183
.LBB158_177:
	s_or_b64 exec, exec, s[6:7]
	v_mov_b32_e32 v2, 0
	v_mov_b32_e32 v3, 0
	s_waitcnt lgkmcnt(0)
	s_barrier
	buffer_wbinvl1_vol
	s_and_saveexec_b64 s[6:7], s[22:23]
	s_cbranch_execz .LBB158_181
; %bb.178:
	v_lshlrev_b32_e32 v2, 3, v4
	v_lshlrev_b32_e32 v16, 9, v5
	ds_read_b64 v[2:3], v2 offset:28064
	ds_read_b64 v[16:17], v16 offset:28080
	v_cmp_gt_u32_e64 s[14:15], 2, v9
	s_waitcnt lgkmcnt(0)
	v_mul_f32_e32 v18, v17, v3
	v_mul_f32_e32 v3, v16, v3
	v_fma_f32 v16, v16, v2, -v18
	v_fmac_f32_e32 v3, v17, v2
	v_add_f32_e32 v2, 0, v16
	v_add_f32_e32 v3, 0, v3
	s_and_saveexec_b64 s[18:19], s[14:15]
	s_cbranch_execz .LBB158_180
; %bb.179:
	v_lshlrev_b32_e32 v16, 3, v0
	v_mov_b32_e32 v18, 0
	ds_read_b64 v[16:17], v16 offset:28576
	ds_read_b64 v[18:19], v18 offset:28600
	s_waitcnt lgkmcnt(0)
	v_mul_f32_e32 v20, v19, v17
	v_mul_f32_e32 v17, v18, v17
	v_fma_f32 v18, v18, v16, -v20
	v_fmac_f32_e32 v17, v19, v16
	v_add_f32_e32 v2, v2, v18
	v_add_f32_e32 v3, v3, v17
.LBB158_180:
	s_or_b64 exec, exec, s[18:19]
.LBB158_181:
	s_or_b64 exec, exec, s[6:7]
	s_and_saveexec_b64 s[6:7], s[42:43]
; %bb.182:
	v_xor_b32_e32 v17, 0x80000000, v3
	v_xor_b32_e32 v16, 0x80000000, v2
	ds_write_b64 v7, v[16:17]
; %bb.183:
	s_or_b64 exec, exec, s[6:7]
	s_waitcnt lgkmcnt(0)
	s_barrier
	s_and_saveexec_b64 s[6:7], s[40:41]
	s_cbranch_execz .LBB158_185
; %bb.184:
	v_mov_b32_e32 v16, 0
	ds_read_b64 v[16:17], v16 offset:27552
	ds_read_b64 v[18:19], v7
	s_waitcnt lgkmcnt(0)
	v_mul_f32_e32 v20, v18, v16
	v_mul_f32_e32 v18, v18, v17
	v_fmac_f32_e32 v18, v19, v16
	v_fma_f32 v16, v19, v17, -v20
	v_add_f32_e32 v2, v2, v16
	v_sub_f32_e32 v3, v3, v18
.LBB158_185:
	s_or_b64 exec, exec, s[6:7]
	s_barrier
	s_and_saveexec_b64 s[6:7], s[40:41]
; %bb.186:
	v_xor_b32_e32 v17, 0x80000000, v3
	v_xor_b32_e32 v16, 0x80000000, v2
	ds_write_b64 v7, v[16:17]
; %bb.187:
	s_or_b64 exec, exec, s[6:7]
	s_waitcnt lgkmcnt(0)
	s_barrier
	s_barrier
	s_and_saveexec_b64 s[6:7], s[22:23]
; %bb.188:
	v_lshlrev_b32_e32 v16, 3, v4
	v_lshl_or_b32 v16, v5, 9, v16
	ds_write_b64 v16, v[2:3] offset:28064
; %bb.189:
	s_or_b64 exec, exec, s[6:7]
	s_waitcnt lgkmcnt(0)
	s_barrier
	s_barrier
	s_and_saveexec_b64 s[6:7], s[44:45]
	s_cbranch_execz .LBB158_191
; %bb.190:
	v_lshlrev_b32_e32 v16, 3, v0
	s_movk_i32 s14, 0x1f8
	v_mad_u32_u24 v17, v0, s14, v16
	ds_read_b64 v[2:3], v17 offset:28064
	s_waitcnt lgkmcnt(0)
	ds_write_b64 v16, v[2:3] offset:27056
	ds_read_b64 v[2:3], v17 offset:28072
	s_waitcnt lgkmcnt(0)
	ds_write_b64 v16, v[2:3] offset:27568
.LBB158_191:
	s_or_b64 exec, exec, s[6:7]
	s_waitcnt lgkmcnt(0)
	s_barrier
	s_and_saveexec_b64 s[6:7], vcc
	s_cbranch_execz .LBB158_193
; %bb.192:
	v_mov_b32_e32 v18, 0
	ds_read_b64 v[2:3], v18 offset:27552
	s_mov_b64 s[14:15], 0x3f800000
	v_mov_b32_e32 v17, s15
	v_mov_b32_e32 v16, s14
	s_movk_i32 s14, 0x6800
	ds_write_b64 v18, v[16:17] offset:27560
	v_add_u32_e64 v18, s14, 0
	s_waitcnt lgkmcnt(1)
	ds_write2_b64 v18, v[16:17], v[2:3] offset0:52 offset1:53
.LBB158_193:
	s_or_b64 exec, exec, s[6:7]
	v_mov_b32_e32 v3, 0
	v_mov_b32_e32 v2, 0
	s_waitcnt lgkmcnt(0)
	s_barrier
	buffer_wbinvl1_vol
	s_and_saveexec_b64 s[6:7], s[10:11]
	s_cbranch_execz .LBB158_199
; %bb.194:
	v_lshlrev_b32_e32 v16, 3, v10
	v_lshlrev_b32_e32 v17, 9, v11
	ds_read_b64 v[2:3], v16 offset:27008
	ds_read_b64 v[18:19], v17 offset:27040
	v_cmp_gt_u32_e64 s[14:15], 12, v9
	s_waitcnt lgkmcnt(0)
	v_mul_f32_e32 v20, v19, v3
	v_mul_f32_e32 v3, v18, v3
	v_fma_f32 v18, v18, v2, -v20
	v_fmac_f32_e32 v3, v19, v2
	v_add_f32_e32 v2, 0, v18
	v_add_f32_e32 v3, 0, v3
	s_and_saveexec_b64 s[18:19], s[14:15]
	s_cbranch_execnz .LBB158_1060
; %bb.195:
	s_or_b64 exec, exec, s[18:19]
	v_cmp_gt_u32_e64 s[14:15], 8, v9
	s_and_saveexec_b64 s[18:19], s[14:15]
	s_cbranch_execnz .LBB158_1061
.LBB158_196:
	s_or_b64 exec, exec, s[18:19]
	v_cmp_gt_u32_e64 s[14:15], 4, v9
	s_and_saveexec_b64 s[18:19], s[14:15]
	s_cbranch_execz .LBB158_198
.LBB158_197:
	v_lshlrev_b32_e32 v16, 3, v0
	v_mov_b32_e32 v18, 0
	ds_read_b64 v[16:17], v16 offset:28544
	ds_read_b64 v[18:19], v18 offset:28600
	s_waitcnt lgkmcnt(0)
	v_mul_f32_e32 v20, v19, v17
	v_mul_f32_e32 v17, v18, v17
	v_fma_f32 v18, v18, v16, -v20
	v_fmac_f32_e32 v17, v19, v16
	v_add_f32_e32 v2, v2, v18
	v_add_f32_e32 v3, v3, v17
.LBB158_198:
	s_or_b64 exec, exec, s[18:19]
.LBB158_199:
	s_or_b64 exec, exec, s[6:7]
	s_and_saveexec_b64 s[6:7], s[48:49]
; %bb.200:
	v_xor_b32_e32 v16, 0x80000000, v2
	v_xor_b32_e32 v17, 0x80000000, v3
	ds_write_b64 v12, v[16:17]
; %bb.201:
	s_or_b64 exec, exec, s[6:7]
	s_waitcnt lgkmcnt(0)
	s_barrier
	s_and_saveexec_b64 s[6:7], s[50:51]
	s_cbranch_execz .LBB158_203
; %bb.202:
	v_lshlrev_b32_e32 v16, 3, v10
	ds_read_b64 v[16:17], v16 offset:26496
	ds_read_b64 v[18:19], v12
	s_waitcnt lgkmcnt(0)
	v_mul_f32_e32 v20, v19, v17
	v_mul_f32_e32 v17, v18, v17
	v_fma_f32 v18, v18, v16, -v20
	v_fmac_f32_e32 v17, v19, v16
	v_sub_f32_e32 v2, v2, v18
	v_sub_f32_e32 v3, v3, v17
.LBB158_203:
	s_or_b64 exec, exec, s[6:7]
	s_barrier
	s_and_saveexec_b64 s[6:7], s[52:53]
; %bb.204:
	v_xor_b32_e32 v16, 0x80000000, v2
	v_xor_b32_e32 v17, 0x80000000, v3
	ds_write_b64 v12, v[16:17]
; %bb.205:
	s_or_b64 exec, exec, s[6:7]
	s_waitcnt lgkmcnt(0)
	s_barrier
	s_and_saveexec_b64 s[6:7], s[54:55]
	s_cbranch_execz .LBB158_207
; %bb.206:
	v_lshlrev_b32_e32 v16, 3, v10
	ds_read_b64 v[16:17], v16 offset:25984
	ds_read_b64 v[18:19], v12
	s_waitcnt lgkmcnt(0)
	v_mul_f32_e32 v20, v19, v17
	v_mul_f32_e32 v17, v18, v17
	v_fma_f32 v18, v18, v16, -v20
	v_fmac_f32_e32 v17, v19, v16
	v_sub_f32_e32 v2, v2, v18
	v_sub_f32_e32 v3, v3, v17
.LBB158_207:
	s_or_b64 exec, exec, s[6:7]
	s_barrier
	s_and_saveexec_b64 s[6:7], s[56:57]
; %bb.208:
	v_xor_b32_e32 v16, 0x80000000, v2
	v_xor_b32_e32 v17, 0x80000000, v3
	ds_write_b64 v12, v[16:17]
; %bb.209:
	s_or_b64 exec, exec, s[6:7]
	s_waitcnt lgkmcnt(0)
	s_barrier
	s_and_saveexec_b64 s[6:7], s[46:47]
	s_cbranch_execz .LBB158_211
; %bb.210:
	v_mov_b32_e32 v16, 0
	ds_read_b64 v[16:17], v16 offset:25472
	ds_read_b64 v[18:19], v12
	s_waitcnt lgkmcnt(0)
	v_mul_f32_e32 v20, v19, v17
	v_mul_f32_e32 v17, v18, v17
	v_fma_f32 v18, v18, v16, -v20
	v_fmac_f32_e32 v17, v19, v16
	v_sub_f32_e32 v2, v2, v18
	v_sub_f32_e32 v3, v3, v17
.LBB158_211:
	s_or_b64 exec, exec, s[6:7]
	s_barrier
	s_and_saveexec_b64 s[6:7], s[46:47]
; %bb.212:
	v_xor_b32_e32 v16, 0x80000000, v2
	v_xor_b32_e32 v17, 0x80000000, v3
	ds_write_b64 v12, v[16:17]
; %bb.213:
	s_or_b64 exec, exec, s[6:7]
	s_waitcnt lgkmcnt(0)
	s_barrier
	s_barrier
	s_and_saveexec_b64 s[6:7], s[10:11]
; %bb.214:
	v_lshlrev_b32_e32 v16, 3, v10
	v_lshl_or_b32 v16, v11, 9, v16
	ds_write_b64 v16, v[2:3] offset:27008
; %bb.215:
	s_or_b64 exec, exec, s[6:7]
	s_waitcnt lgkmcnt(0)
	s_barrier
	s_barrier
	s_and_saveexec_b64 s[6:7], s[58:59]
	s_cbranch_execz .LBB158_217
; %bb.216:
	v_lshlrev_b32_e32 v16, 9, v0
	ds_read_b64 v[2:3], v16 offset:27008
	s_movk_i32 s14, 0xfe08
	v_mad_i32_i24 v17, v0, s14, v16
	s_waitcnt lgkmcnt(0)
	ds_write_b64 v17, v[2:3] offset:24992
	ds_read_b64 v[2:3], v16 offset:27016
	s_waitcnt lgkmcnt(0)
	ds_write_b64 v17, v[2:3] offset:25504
	ds_read_b64 v[2:3], v16 offset:27024
	;; [unrolled: 3-line block ×3, first 2 shown]
	s_waitcnt lgkmcnt(0)
	ds_write_b64 v17, v[2:3] offset:26528
.LBB158_217:
	s_or_b64 exec, exec, s[6:7]
	s_waitcnt lgkmcnt(0)
	s_barrier
	s_and_saveexec_b64 s[6:7], vcc
	s_cbranch_execz .LBB158_219
; %bb.218:
	v_mov_b32_e32 v18, 0
	ds_read_b64 v[2:3], v18 offset:26512
	s_mov_b64 s[14:15], 0x3f800000
	v_mov_b32_e32 v17, s15
	v_mov_b32_e32 v16, s14
	s_movk_i32 s14, 0x6000
	ds_write_b64 v18, v[16:17] offset:26520
	v_add_u32_e64 v18, s14, 0
	s_waitcnt lgkmcnt(1)
	ds_write2_b64 v18, v[16:17], v[2:3] offset0:178 offset1:179
.LBB158_219:
	s_or_b64 exec, exec, s[6:7]
	v_mov_b32_e32 v2, 0
	v_mov_b32_e32 v3, 0
	s_waitcnt lgkmcnt(0)
	s_barrier
	buffer_wbinvl1_vol
	s_and_saveexec_b64 s[6:7], s[22:23]
	s_cbranch_execz .LBB158_223
; %bb.220:
	v_lshlrev_b32_e32 v2, 3, v4
	v_lshlrev_b32_e32 v16, 9, v5
	ds_read_b64 v[2:3], v2 offset:25984
	ds_read_b64 v[16:17], v16 offset:26000
	v_cmp_gt_u32_e64 s[14:15], 2, v9
	s_waitcnt lgkmcnt(0)
	v_mul_f32_e32 v18, v17, v3
	v_mul_f32_e32 v3, v16, v3
	v_fma_f32 v16, v16, v2, -v18
	v_fmac_f32_e32 v3, v17, v2
	v_add_f32_e32 v2, 0, v16
	v_add_f32_e32 v3, 0, v3
	s_and_saveexec_b64 s[18:19], s[14:15]
	s_cbranch_execz .LBB158_222
; %bb.221:
	v_lshlrev_b32_e32 v16, 3, v0
	v_mov_b32_e32 v18, 0
	ds_read_b64 v[16:17], v16 offset:26496
	ds_read_b64 v[18:19], v18 offset:26520
	s_waitcnt lgkmcnt(0)
	v_mul_f32_e32 v20, v19, v17
	v_mul_f32_e32 v17, v18, v17
	v_fma_f32 v18, v18, v16, -v20
	v_fmac_f32_e32 v17, v19, v16
	v_add_f32_e32 v2, v2, v18
	v_add_f32_e32 v3, v3, v17
.LBB158_222:
	s_or_b64 exec, exec, s[18:19]
.LBB158_223:
	s_or_b64 exec, exec, s[6:7]
	s_and_saveexec_b64 s[6:7], s[42:43]
; %bb.224:
	v_xor_b32_e32 v17, 0x80000000, v3
	v_xor_b32_e32 v16, 0x80000000, v2
	ds_write_b64 v7, v[16:17]
; %bb.225:
	s_or_b64 exec, exec, s[6:7]
	s_waitcnt lgkmcnt(0)
	s_barrier
	s_and_saveexec_b64 s[6:7], s[40:41]
	s_cbranch_execz .LBB158_227
; %bb.226:
	v_mov_b32_e32 v16, 0
	ds_read_b64 v[16:17], v16 offset:25472
	ds_read_b64 v[18:19], v7
	s_waitcnt lgkmcnt(0)
	v_mul_f32_e32 v20, v18, v16
	v_mul_f32_e32 v18, v18, v17
	v_fmac_f32_e32 v18, v19, v16
	v_fma_f32 v16, v19, v17, -v20
	v_add_f32_e32 v2, v2, v16
	v_sub_f32_e32 v3, v3, v18
.LBB158_227:
	s_or_b64 exec, exec, s[6:7]
	s_barrier
	s_and_saveexec_b64 s[6:7], s[40:41]
; %bb.228:
	v_xor_b32_e32 v17, 0x80000000, v3
	v_xor_b32_e32 v16, 0x80000000, v2
	ds_write_b64 v7, v[16:17]
; %bb.229:
	s_or_b64 exec, exec, s[6:7]
	s_waitcnt lgkmcnt(0)
	s_barrier
	s_barrier
	s_and_saveexec_b64 s[6:7], s[22:23]
; %bb.230:
	v_lshlrev_b32_e32 v16, 3, v4
	v_lshl_or_b32 v16, v5, 9, v16
	ds_write_b64 v16, v[2:3] offset:25984
; %bb.231:
	s_or_b64 exec, exec, s[6:7]
	s_waitcnt lgkmcnt(0)
	s_barrier
	s_barrier
	s_and_saveexec_b64 s[6:7], s[44:45]
	s_cbranch_execz .LBB158_233
; %bb.232:
	v_lshlrev_b32_e32 v16, 3, v0
	s_movk_i32 s14, 0x1f8
	v_mad_u32_u24 v17, v0, s14, v16
	ds_read_b64 v[2:3], v17 offset:25984
	s_waitcnt lgkmcnt(0)
	ds_write_b64 v16, v[2:3] offset:24976
	ds_read_b64 v[2:3], v17 offset:25992
	s_waitcnt lgkmcnt(0)
	ds_write_b64 v16, v[2:3] offset:25488
.LBB158_233:
	s_or_b64 exec, exec, s[6:7]
	s_waitcnt lgkmcnt(0)
	s_barrier
	s_and_saveexec_b64 s[6:7], vcc
	s_cbranch_execz .LBB158_235
; %bb.234:
	v_mov_b32_e32 v18, 0
	ds_read_b64 v[2:3], v18 offset:25472
	s_mov_b64 s[14:15], 0x3f800000
	v_mov_b32_e32 v17, s15
	v_mov_b32_e32 v16, s14
	s_movk_i32 s14, 0x6000
	ds_write_b64 v18, v[16:17] offset:25480
	v_add_u32_e64 v18, s14, 0
	s_waitcnt lgkmcnt(1)
	ds_write2_b64 v18, v[16:17], v[2:3] offset0:48 offset1:49
.LBB158_235:
	s_or_b64 exec, exec, s[6:7]
	s_movk_i32 s6, 0xff
	v_lshrrev_b32_e32 v18, 4, v9
	v_cmp_lt_u32_e64 s[18:19], s6, v9
	s_movk_i32 s6, 0x100
	v_and_b32_e32 v16, 15, v0
	v_sub_u32_e32 v17, 15, v18
	v_cmp_gt_u32_e64 s[14:15], s6, v9
	v_mov_b32_e32 v3, 0
	v_mov_b32_e32 v2, 0
	s_waitcnt lgkmcnt(0)
	s_barrier
	buffer_wbinvl1_vol
	s_and_saveexec_b64 s[6:7], s[14:15]
	s_cbranch_execz .LBB158_263
; %bb.236:
	v_lshlrev_b32_e32 v19, 3, v16
	v_lshlrev_b32_e32 v20, 9, v17
	ds_read_b64 v[2:3], v19 offset:24832
	ds_read_b64 v[21:22], v20 offset:24960
	s_movk_i32 s20, 0xf0
	v_cmp_gt_u32_e64 s[20:21], s20, v9
	s_waitcnt lgkmcnt(0)
	v_mul_f32_e32 v23, v22, v3
	v_mul_f32_e32 v3, v21, v3
	v_fma_f32 v21, v21, v2, -v23
	v_fmac_f32_e32 v3, v22, v2
	v_add_f32_e32 v2, 0, v21
	v_add_f32_e32 v3, 0, v3
	s_and_saveexec_b64 s[24:25], s[20:21]
	s_cbranch_execz .LBB158_238
; %bb.237:
	ds_read_b64 v[21:22], v19 offset:25344
	ds_read_b64 v[23:24], v20 offset:24968
	s_waitcnt lgkmcnt(0)
	v_mul_f32_e32 v25, v24, v22
	v_mul_f32_e32 v22, v23, v22
	v_fma_f32 v23, v23, v21, -v25
	v_fmac_f32_e32 v22, v24, v21
	v_add_f32_e32 v2, v2, v23
	v_add_f32_e32 v3, v3, v22
.LBB158_238:
	s_or_b64 exec, exec, s[24:25]
	s_movk_i32 s20, 0xe0
	v_cmp_gt_u32_e64 s[20:21], s20, v9
	s_and_saveexec_b64 s[24:25], s[20:21]
	s_cbranch_execz .LBB158_240
; %bb.239:
	ds_read_b64 v[21:22], v19 offset:25856
	ds_read_b64 v[23:24], v20 offset:24976
	s_waitcnt lgkmcnt(0)
	v_mul_f32_e32 v25, v24, v22
	v_mul_f32_e32 v22, v23, v22
	v_fma_f32 v23, v23, v21, -v25
	v_fmac_f32_e32 v22, v24, v21
	v_add_f32_e32 v2, v2, v23
	v_add_f32_e32 v3, v3, v22
.LBB158_240:
	s_or_b64 exec, exec, s[24:25]
	s_movk_i32 s20, 0xd0
	v_cmp_gt_u32_e64 s[20:21], s20, v9
	;; [unrolled: 16-line block ×10, first 2 shown]
	s_and_saveexec_b64 s[24:25], s[20:21]
	s_cbranch_execnz .LBB158_1062
; %bb.257:
	s_or_b64 exec, exec, s[24:25]
	s_and_saveexec_b64 s[20:21], s[12:13]
	s_cbranch_execnz .LBB158_1063
.LBB158_258:
	s_or_b64 exec, exec, s[20:21]
	v_cmp_gt_u32_e64 s[20:21], 48, v9
	s_and_saveexec_b64 s[24:25], s[20:21]
	s_cbranch_execnz .LBB158_1064
.LBB158_259:
	s_or_b64 exec, exec, s[24:25]
	v_cmp_gt_u32_e64 s[20:21], 32, v9
	s_and_saveexec_b64 s[24:25], s[20:21]
	s_cbranch_execnz .LBB158_1065
.LBB158_260:
	s_or_b64 exec, exec, s[24:25]
	v_cmp_gt_u32_e64 s[20:21], 16, v9
	s_and_saveexec_b64 s[24:25], s[20:21]
	s_cbranch_execz .LBB158_262
.LBB158_261:
	v_lshlrev_b32_e32 v19, 3, v0
	v_mov_b32_e32 v21, 0
	ds_read_b64 v[19:20], v19 offset:32512
	ds_read_b64 v[21:22], v21 offset:32760
	s_waitcnt lgkmcnt(0)
	v_mul_f32_e32 v23, v22, v20
	v_mul_f32_e32 v20, v21, v20
	v_fma_f32 v21, v21, v19, -v23
	v_fmac_f32_e32 v20, v22, v19
	v_add_f32_e32 v2, v2, v21
	v_add_f32_e32 v3, v3, v20
.LBB158_262:
	s_or_b64 exec, exec, s[24:25]
.LBB158_263:
	s_or_b64 exec, exec, s[6:7]
	v_mov_b32_e32 v19, 0x8000
	v_lshl_add_u32 v18, v18, 3, v19
	v_cmp_eq_u32_e64 s[20:21], 15, v16
	s_xor_b64 s[6:7], s[18:19], -1
	s_and_b64 s[20:21], s[20:21], s[6:7]
	s_mov_b64 s[18:19], exec
	v_writelane_b32 v29, s20, 2
	v_writelane_b32 v29, s21, 3
	s_and_b64 s[20:21], s[18:19], s[20:21]
	s_mov_b64 exec, s[20:21]
; %bb.264:
	v_xor_b32_e32 v19, 0x80000000, v2
	v_xor_b32_e32 v20, 0x80000000, v3
	ds_write_b64 v18, v[19:20]
; %bb.265:
	s_or_b64 exec, exec, s[18:19]
	v_cmp_ne_u32_e64 s[18:19], 15, v16
	s_waitcnt lgkmcnt(0)
	s_barrier
	s_and_b64 s[20:21], s[18:19], s[6:7]
	s_mov_b64 s[18:19], exec
	v_writelane_b32 v29, s20, 4
	v_writelane_b32 v29, s21, 5
	s_and_b64 s[20:21], s[18:19], s[20:21]
	s_mov_b64 exec, s[20:21]
	s_cbranch_execz .LBB158_267
; %bb.266:
	v_lshlrev_b32_e32 v19, 3, v16
	ds_read_b64 v[19:20], v19 offset:24320
	ds_read_b64 v[21:22], v18
	s_waitcnt lgkmcnt(0)
	v_mul_f32_e32 v23, v22, v20
	v_mul_f32_e32 v20, v21, v20
	v_fma_f32 v21, v21, v19, -v23
	v_fmac_f32_e32 v20, v22, v19
	v_sub_f32_e32 v2, v2, v21
	v_sub_f32_e32 v3, v3, v20
.LBB158_267:
	s_or_b64 exec, exec, s[18:19]
	v_cmp_eq_u32_e64 s[18:19], 14, v16
	s_barrier
	s_and_b64 s[20:21], s[18:19], s[6:7]
	s_mov_b64 s[18:19], exec
	v_writelane_b32 v29, s20, 6
	v_writelane_b32 v29, s21, 7
	s_and_b64 s[20:21], s[18:19], s[20:21]
	s_mov_b64 exec, s[20:21]
; %bb.268:
	v_xor_b32_e32 v19, 0x80000000, v2
	v_xor_b32_e32 v20, 0x80000000, v3
	ds_write_b64 v18, v[19:20]
; %bb.269:
	s_or_b64 exec, exec, s[18:19]
	v_cmp_gt_u32_e64 s[18:19], 14, v16
	s_waitcnt lgkmcnt(0)
	s_barrier
	s_and_b64 s[20:21], s[18:19], s[6:7]
	s_mov_b64 s[18:19], exec
	v_writelane_b32 v29, s20, 8
	v_writelane_b32 v29, s21, 9
	s_and_b64 s[20:21], s[18:19], s[20:21]
	s_mov_b64 exec, s[20:21]
	s_cbranch_execz .LBB158_271
; %bb.270:
	v_lshlrev_b32_e32 v19, 3, v16
	ds_read_b64 v[19:20], v19 offset:23808
	ds_read_b64 v[21:22], v18
	s_waitcnt lgkmcnt(0)
	v_mul_f32_e32 v23, v22, v20
	v_mul_f32_e32 v20, v21, v20
	v_fma_f32 v21, v21, v19, -v23
	v_fmac_f32_e32 v20, v22, v19
	v_sub_f32_e32 v2, v2, v21
	v_sub_f32_e32 v3, v3, v20
.LBB158_271:
	s_or_b64 exec, exec, s[18:19]
	v_cmp_eq_u32_e64 s[18:19], 13, v16
	s_barrier
	s_and_b64 s[20:21], s[18:19], s[6:7]
	s_mov_b64 s[18:19], exec
	v_writelane_b32 v29, s20, 10
	v_writelane_b32 v29, s21, 11
	s_and_b64 s[20:21], s[18:19], s[20:21]
	s_mov_b64 exec, s[20:21]
; %bb.272:
	v_xor_b32_e32 v19, 0x80000000, v2
	v_xor_b32_e32 v20, 0x80000000, v3
	ds_write_b64 v18, v[19:20]
; %bb.273:
	s_or_b64 exec, exec, s[18:19]
	v_cmp_gt_u32_e64 s[18:19], 13, v16
	s_waitcnt lgkmcnt(0)
	s_barrier
	s_and_b64 s[20:21], s[18:19], s[6:7]
	s_mov_b64 s[18:19], exec
	v_writelane_b32 v29, s20, 12
	v_writelane_b32 v29, s21, 13
	s_and_b64 s[20:21], s[18:19], s[20:21]
	s_mov_b64 exec, s[20:21]
	s_cbranch_execz .LBB158_275
; %bb.274:
	v_lshlrev_b32_e32 v19, 3, v16
	ds_read_b64 v[19:20], v19 offset:23296
	ds_read_b64 v[21:22], v18
	s_waitcnt lgkmcnt(0)
	v_mul_f32_e32 v23, v22, v20
	v_mul_f32_e32 v20, v21, v20
	v_fma_f32 v21, v21, v19, -v23
	v_fmac_f32_e32 v20, v22, v19
	v_sub_f32_e32 v2, v2, v21
	v_sub_f32_e32 v3, v3, v20
.LBB158_275:
	s_or_b64 exec, exec, s[18:19]
	v_cmp_eq_u32_e64 s[18:19], 12, v16
	s_barrier
	s_and_b64 s[20:21], s[18:19], s[6:7]
	s_mov_b64 s[18:19], exec
	v_writelane_b32 v29, s20, 14
	v_writelane_b32 v29, s21, 15
	s_and_b64 s[20:21], s[18:19], s[20:21]
	s_mov_b64 exec, s[20:21]
; %bb.276:
	v_xor_b32_e32 v19, 0x80000000, v2
	v_xor_b32_e32 v20, 0x80000000, v3
	ds_write_b64 v18, v[19:20]
; %bb.277:
	s_or_b64 exec, exec, s[18:19]
	v_cmp_gt_u32_e64 s[18:19], 12, v16
	s_waitcnt lgkmcnt(0)
	s_barrier
	s_and_b64 s[20:21], s[18:19], s[6:7]
	s_mov_b64 s[18:19], exec
	v_writelane_b32 v29, s20, 16
	v_writelane_b32 v29, s21, 17
	s_and_b64 s[20:21], s[18:19], s[20:21]
	s_mov_b64 exec, s[20:21]
	s_cbranch_execz .LBB158_279
; %bb.278:
	v_lshlrev_b32_e32 v19, 3, v16
	ds_read_b64 v[19:20], v19 offset:22784
	ds_read_b64 v[21:22], v18
	s_waitcnt lgkmcnt(0)
	v_mul_f32_e32 v23, v22, v20
	v_mul_f32_e32 v20, v21, v20
	v_fma_f32 v21, v21, v19, -v23
	v_fmac_f32_e32 v20, v22, v19
	v_sub_f32_e32 v2, v2, v21
	v_sub_f32_e32 v3, v3, v20
.LBB158_279:
	s_or_b64 exec, exec, s[18:19]
	v_cmp_eq_u32_e64 s[18:19], 11, v16
	s_barrier
	s_and_b64 s[20:21], s[18:19], s[6:7]
	s_mov_b64 s[18:19], exec
	v_writelane_b32 v29, s20, 18
	v_writelane_b32 v29, s21, 19
	s_and_b64 s[20:21], s[18:19], s[20:21]
	s_mov_b64 exec, s[20:21]
; %bb.280:
	v_xor_b32_e32 v19, 0x80000000, v2
	v_xor_b32_e32 v20, 0x80000000, v3
	ds_write_b64 v18, v[19:20]
; %bb.281:
	s_or_b64 exec, exec, s[18:19]
	v_cmp_gt_u32_e64 s[18:19], 11, v16
	s_waitcnt lgkmcnt(0)
	s_barrier
	s_and_b64 s[20:21], s[18:19], s[6:7]
	s_mov_b64 s[18:19], exec
	v_writelane_b32 v29, s20, 20
	v_writelane_b32 v29, s21, 21
	s_and_b64 s[20:21], s[18:19], s[20:21]
	s_mov_b64 exec, s[20:21]
	s_cbranch_execz .LBB158_283
; %bb.282:
	v_lshlrev_b32_e32 v19, 3, v16
	ds_read_b64 v[19:20], v19 offset:22272
	ds_read_b64 v[21:22], v18
	s_waitcnt lgkmcnt(0)
	v_mul_f32_e32 v23, v22, v20
	v_mul_f32_e32 v20, v21, v20
	v_fma_f32 v21, v21, v19, -v23
	v_fmac_f32_e32 v20, v22, v19
	v_sub_f32_e32 v2, v2, v21
	v_sub_f32_e32 v3, v3, v20
.LBB158_283:
	s_or_b64 exec, exec, s[18:19]
	v_cmp_eq_u32_e64 s[18:19], 10, v16
	s_barrier
	s_and_b64 s[20:21], s[18:19], s[6:7]
	s_mov_b64 s[18:19], exec
	v_writelane_b32 v29, s20, 22
	v_writelane_b32 v29, s21, 23
	s_and_b64 s[20:21], s[18:19], s[20:21]
	s_mov_b64 exec, s[20:21]
; %bb.284:
	v_xor_b32_e32 v19, 0x80000000, v2
	v_xor_b32_e32 v20, 0x80000000, v3
	ds_write_b64 v18, v[19:20]
; %bb.285:
	s_or_b64 exec, exec, s[18:19]
	v_cmp_gt_u32_e64 s[18:19], 10, v16
	s_waitcnt lgkmcnt(0)
	s_barrier
	s_and_b64 s[20:21], s[18:19], s[6:7]
	s_mov_b64 s[18:19], exec
	v_writelane_b32 v29, s20, 24
	v_writelane_b32 v29, s21, 25
	s_and_b64 s[20:21], s[18:19], s[20:21]
	s_mov_b64 exec, s[20:21]
	s_cbranch_execz .LBB158_287
; %bb.286:
	v_lshlrev_b32_e32 v19, 3, v16
	ds_read_b64 v[19:20], v19 offset:21760
	ds_read_b64 v[21:22], v18
	s_waitcnt lgkmcnt(0)
	v_mul_f32_e32 v23, v22, v20
	v_mul_f32_e32 v20, v21, v20
	v_fma_f32 v21, v21, v19, -v23
	v_fmac_f32_e32 v20, v22, v19
	v_sub_f32_e32 v2, v2, v21
	v_sub_f32_e32 v3, v3, v20
.LBB158_287:
	s_or_b64 exec, exec, s[18:19]
	v_cmp_eq_u32_e64 s[18:19], 9, v16
	s_barrier
	s_and_b64 s[20:21], s[18:19], s[6:7]
	s_mov_b64 s[18:19], exec
	v_writelane_b32 v29, s20, 26
	v_writelane_b32 v29, s21, 27
	s_and_b64 s[20:21], s[18:19], s[20:21]
	s_mov_b64 exec, s[20:21]
; %bb.288:
	v_xor_b32_e32 v19, 0x80000000, v2
	v_xor_b32_e32 v20, 0x80000000, v3
	ds_write_b64 v18, v[19:20]
; %bb.289:
	s_or_b64 exec, exec, s[18:19]
	v_cmp_gt_u32_e64 s[18:19], 9, v16
	s_waitcnt lgkmcnt(0)
	s_barrier
	s_and_b64 s[20:21], s[18:19], s[6:7]
	s_mov_b64 s[18:19], exec
	v_writelane_b32 v29, s20, 28
	v_writelane_b32 v29, s21, 29
	s_and_b64 s[20:21], s[18:19], s[20:21]
	s_mov_b64 exec, s[20:21]
	s_cbranch_execz .LBB158_291
; %bb.290:
	v_lshlrev_b32_e32 v19, 3, v16
	ds_read_b64 v[19:20], v19 offset:21248
	ds_read_b64 v[21:22], v18
	s_waitcnt lgkmcnt(0)
	v_mul_f32_e32 v23, v22, v20
	v_mul_f32_e32 v20, v21, v20
	v_fma_f32 v21, v21, v19, -v23
	v_fmac_f32_e32 v20, v22, v19
	v_sub_f32_e32 v2, v2, v21
	v_sub_f32_e32 v3, v3, v20
.LBB158_291:
	s_or_b64 exec, exec, s[18:19]
	v_cmp_eq_u32_e64 s[18:19], 8, v16
	s_barrier
	s_and_b64 s[20:21], s[18:19], s[6:7]
	s_mov_b64 s[18:19], exec
	v_writelane_b32 v29, s20, 30
	v_writelane_b32 v29, s21, 31
	s_and_b64 s[20:21], s[18:19], s[20:21]
	s_mov_b64 exec, s[20:21]
; %bb.292:
	v_xor_b32_e32 v19, 0x80000000, v2
	v_xor_b32_e32 v20, 0x80000000, v3
	ds_write_b64 v18, v[19:20]
; %bb.293:
	s_or_b64 exec, exec, s[18:19]
	v_cmp_gt_u32_e64 s[18:19], 8, v16
	s_waitcnt lgkmcnt(0)
	s_barrier
	s_and_b64 s[20:21], s[18:19], s[6:7]
	s_mov_b64 s[18:19], exec
	v_writelane_b32 v29, s20, 32
	v_writelane_b32 v29, s21, 33
	s_and_b64 s[20:21], s[18:19], s[20:21]
	s_mov_b64 exec, s[20:21]
	s_cbranch_execz .LBB158_295
; %bb.294:
	v_lshlrev_b32_e32 v19, 3, v16
	ds_read_b64 v[19:20], v19 offset:20736
	ds_read_b64 v[21:22], v18
	s_waitcnt lgkmcnt(0)
	v_mul_f32_e32 v23, v22, v20
	v_mul_f32_e32 v20, v21, v20
	v_fma_f32 v21, v21, v19, -v23
	v_fmac_f32_e32 v20, v22, v19
	v_sub_f32_e32 v2, v2, v21
	v_sub_f32_e32 v3, v3, v20
.LBB158_295:
	s_or_b64 exec, exec, s[18:19]
	v_cmp_eq_u32_e64 s[18:19], 7, v16
	s_barrier
	s_and_b64 s[20:21], s[18:19], s[6:7]
	s_mov_b64 s[18:19], exec
	v_writelane_b32 v29, s20, 34
	v_writelane_b32 v29, s21, 35
	s_and_b64 s[20:21], s[18:19], s[20:21]
	s_mov_b64 exec, s[20:21]
; %bb.296:
	v_xor_b32_e32 v19, 0x80000000, v2
	v_xor_b32_e32 v20, 0x80000000, v3
	ds_write_b64 v18, v[19:20]
; %bb.297:
	s_or_b64 exec, exec, s[18:19]
	v_cmp_gt_u32_e64 s[18:19], 7, v16
	s_waitcnt lgkmcnt(0)
	s_barrier
	s_and_b64 s[20:21], s[18:19], s[6:7]
	s_mov_b64 s[18:19], exec
	v_writelane_b32 v29, s20, 36
	v_writelane_b32 v29, s21, 37
	s_and_b64 s[20:21], s[18:19], s[20:21]
	s_mov_b64 exec, s[20:21]
	s_cbranch_execz .LBB158_299
; %bb.298:
	v_lshlrev_b32_e32 v19, 3, v16
	ds_read_b64 v[19:20], v19 offset:20224
	ds_read_b64 v[21:22], v18
	s_waitcnt lgkmcnt(0)
	v_mul_f32_e32 v23, v22, v20
	v_mul_f32_e32 v20, v21, v20
	v_fma_f32 v21, v21, v19, -v23
	v_fmac_f32_e32 v20, v22, v19
	v_sub_f32_e32 v2, v2, v21
	v_sub_f32_e32 v3, v3, v20
.LBB158_299:
	s_or_b64 exec, exec, s[18:19]
	v_cmp_eq_u32_e64 s[18:19], 6, v16
	s_barrier
	s_and_b64 s[20:21], s[18:19], s[6:7]
	s_mov_b64 s[18:19], exec
	v_writelane_b32 v29, s20, 38
	v_writelane_b32 v29, s21, 39
	s_and_b64 s[20:21], s[18:19], s[20:21]
	s_mov_b64 exec, s[20:21]
; %bb.300:
	v_xor_b32_e32 v19, 0x80000000, v2
	v_xor_b32_e32 v20, 0x80000000, v3
	ds_write_b64 v18, v[19:20]
; %bb.301:
	s_or_b64 exec, exec, s[18:19]
	v_cmp_gt_u32_e64 s[18:19], 6, v16
	s_waitcnt lgkmcnt(0)
	s_barrier
	s_and_b64 s[20:21], s[18:19], s[6:7]
	s_mov_b64 s[18:19], exec
	v_writelane_b32 v29, s20, 40
	v_writelane_b32 v29, s21, 41
	s_and_b64 s[20:21], s[18:19], s[20:21]
	s_mov_b64 exec, s[20:21]
	s_cbranch_execz .LBB158_303
; %bb.302:
	v_lshlrev_b32_e32 v19, 3, v16
	ds_read_b64 v[19:20], v19 offset:19712
	ds_read_b64 v[21:22], v18
	s_waitcnt lgkmcnt(0)
	v_mul_f32_e32 v23, v22, v20
	v_mul_f32_e32 v20, v21, v20
	v_fma_f32 v21, v21, v19, -v23
	v_fmac_f32_e32 v20, v22, v19
	v_sub_f32_e32 v2, v2, v21
	v_sub_f32_e32 v3, v3, v20
.LBB158_303:
	s_or_b64 exec, exec, s[18:19]
	v_cmp_eq_u32_e64 s[18:19], 5, v16
	s_barrier
	s_and_b64 s[20:21], s[18:19], s[6:7]
	s_mov_b64 s[18:19], exec
	v_writelane_b32 v29, s20, 42
	v_writelane_b32 v29, s21, 43
	s_and_b64 s[20:21], s[18:19], s[20:21]
	s_mov_b64 exec, s[20:21]
; %bb.304:
	v_xor_b32_e32 v19, 0x80000000, v2
	v_xor_b32_e32 v20, 0x80000000, v3
	ds_write_b64 v18, v[19:20]
; %bb.305:
	s_or_b64 exec, exec, s[18:19]
	v_cmp_gt_u32_e64 s[18:19], 5, v16
	s_waitcnt lgkmcnt(0)
	s_barrier
	s_and_b64 s[20:21], s[18:19], s[6:7]
	s_mov_b64 s[18:19], exec
	v_writelane_b32 v29, s20, 44
	v_writelane_b32 v29, s21, 45
	s_and_b64 s[20:21], s[18:19], s[20:21]
	s_mov_b64 exec, s[20:21]
	s_cbranch_execz .LBB158_307
; %bb.306:
	v_lshlrev_b32_e32 v19, 3, v16
	ds_read_b64 v[19:20], v19 offset:19200
	ds_read_b64 v[21:22], v18
	s_waitcnt lgkmcnt(0)
	v_mul_f32_e32 v23, v22, v20
	v_mul_f32_e32 v20, v21, v20
	v_fma_f32 v21, v21, v19, -v23
	v_fmac_f32_e32 v20, v22, v19
	v_sub_f32_e32 v2, v2, v21
	v_sub_f32_e32 v3, v3, v20
.LBB158_307:
	s_or_b64 exec, exec, s[18:19]
	v_cmp_eq_u32_e64 s[18:19], 4, v16
	s_barrier
	s_and_b64 s[20:21], s[18:19], s[6:7]
	s_mov_b64 s[18:19], exec
	v_writelane_b32 v29, s20, 46
	v_writelane_b32 v29, s21, 47
	s_and_b64 s[20:21], s[18:19], s[20:21]
	s_mov_b64 exec, s[20:21]
; %bb.308:
	v_xor_b32_e32 v19, 0x80000000, v2
	v_xor_b32_e32 v20, 0x80000000, v3
	ds_write_b64 v18, v[19:20]
; %bb.309:
	s_or_b64 exec, exec, s[18:19]
	v_cmp_gt_u32_e64 s[18:19], 4, v16
	s_waitcnt lgkmcnt(0)
	s_barrier
	s_and_b64 s[20:21], s[18:19], s[6:7]
	s_mov_b64 s[18:19], exec
	v_writelane_b32 v29, s20, 48
	v_writelane_b32 v29, s21, 49
	s_and_b64 s[20:21], s[18:19], s[20:21]
	s_mov_b64 exec, s[20:21]
	s_cbranch_execz .LBB158_311
; %bb.310:
	v_lshlrev_b32_e32 v19, 3, v16
	ds_read_b64 v[19:20], v19 offset:18688
	ds_read_b64 v[21:22], v18
	s_waitcnt lgkmcnt(0)
	v_mul_f32_e32 v23, v22, v20
	v_mul_f32_e32 v20, v21, v20
	v_fma_f32 v21, v21, v19, -v23
	v_fmac_f32_e32 v20, v22, v19
	v_sub_f32_e32 v2, v2, v21
	v_sub_f32_e32 v3, v3, v20
.LBB158_311:
	s_or_b64 exec, exec, s[18:19]
	v_cmp_eq_u32_e64 s[18:19], 3, v16
	s_barrier
	s_and_b64 s[20:21], s[18:19], s[6:7]
	s_mov_b64 s[18:19], exec
	v_writelane_b32 v29, s20, 50
	v_writelane_b32 v29, s21, 51
	s_and_b64 s[20:21], s[18:19], s[20:21]
	s_mov_b64 exec, s[20:21]
; %bb.312:
	v_xor_b32_e32 v19, 0x80000000, v2
	v_xor_b32_e32 v20, 0x80000000, v3
	ds_write_b64 v18, v[19:20]
; %bb.313:
	s_or_b64 exec, exec, s[18:19]
	v_cmp_gt_u32_e64 s[18:19], 3, v16
	s_waitcnt lgkmcnt(0)
	s_barrier
	s_and_b64 s[20:21], s[18:19], s[6:7]
	s_mov_b64 s[18:19], exec
	v_writelane_b32 v29, s20, 52
	v_writelane_b32 v29, s21, 53
	s_and_b64 s[20:21], s[18:19], s[20:21]
	s_mov_b64 exec, s[20:21]
	s_cbranch_execz .LBB158_315
; %bb.314:
	v_lshlrev_b32_e32 v19, 3, v16
	ds_read_b64 v[19:20], v19 offset:18176
	ds_read_b64 v[21:22], v18
	s_waitcnt lgkmcnt(0)
	v_mul_f32_e32 v23, v22, v20
	v_mul_f32_e32 v20, v21, v20
	v_fma_f32 v21, v21, v19, -v23
	v_fmac_f32_e32 v20, v22, v19
	v_sub_f32_e32 v2, v2, v21
	v_sub_f32_e32 v3, v3, v20
.LBB158_315:
	s_or_b64 exec, exec, s[18:19]
	v_cmp_eq_u32_e64 s[18:19], 2, v16
	s_barrier
	s_and_b64 s[20:21], s[18:19], s[6:7]
	s_mov_b64 s[18:19], exec
	v_writelane_b32 v29, s20, 54
	v_writelane_b32 v29, s21, 55
	s_and_b64 s[20:21], s[18:19], s[20:21]
	s_mov_b64 exec, s[20:21]
; %bb.316:
	v_xor_b32_e32 v19, 0x80000000, v2
	v_xor_b32_e32 v20, 0x80000000, v3
	ds_write_b64 v18, v[19:20]
; %bb.317:
	s_or_b64 exec, exec, s[18:19]
	v_cmp_gt_u32_e64 s[18:19], 2, v16
	s_and_b64 s[92:93], s[18:19], s[6:7]
	s_waitcnt lgkmcnt(0)
	s_barrier
	s_and_saveexec_b64 s[18:19], s[92:93]
	s_cbranch_execz .LBB158_319
; %bb.318:
	v_lshlrev_b32_e32 v19, 3, v16
	ds_read_b64 v[19:20], v19 offset:17664
	ds_read_b64 v[21:22], v18
	s_waitcnt lgkmcnt(0)
	v_mul_f32_e32 v23, v22, v20
	v_mul_f32_e32 v20, v21, v20
	v_fma_f32 v21, v21, v19, -v23
	v_fmac_f32_e32 v20, v22, v19
	v_sub_f32_e32 v2, v2, v21
	v_sub_f32_e32 v3, v3, v20
.LBB158_319:
	s_or_b64 exec, exec, s[18:19]
	v_cmp_eq_u32_e64 s[18:19], 1, v16
	s_and_b64 s[26:27], s[18:19], s[6:7]
	s_barrier
	s_and_saveexec_b64 s[18:19], s[26:27]
; %bb.320:
	v_xor_b32_e32 v19, 0x80000000, v2
	v_xor_b32_e32 v20, 0x80000000, v3
	ds_write_b64 v18, v[19:20]
; %bb.321:
	s_or_b64 exec, exec, s[18:19]
	v_cmp_eq_u32_e64 s[18:19], 0, v16
	s_and_b64 s[98:99], s[18:19], s[6:7]
	s_waitcnt lgkmcnt(0)
	s_barrier
	s_and_saveexec_b64 s[6:7], s[98:99]
	s_cbranch_execz .LBB158_323
; %bb.322:
	v_mov_b32_e32 v19, 0
	ds_read_b64 v[19:20], v19 offset:17152
	ds_read_b64 v[21:22], v18
	s_waitcnt lgkmcnt(0)
	v_mul_f32_e32 v23, v22, v20
	v_mul_f32_e32 v20, v21, v20
	v_fma_f32 v21, v21, v19, -v23
	v_fmac_f32_e32 v20, v22, v19
	v_sub_f32_e32 v2, v2, v21
	v_sub_f32_e32 v3, v3, v20
.LBB158_323:
	s_or_b64 exec, exec, s[6:7]
	s_barrier
	s_and_saveexec_b64 s[6:7], s[98:99]
; %bb.324:
	v_xor_b32_e32 v19, 0x80000000, v2
	v_xor_b32_e32 v20, 0x80000000, v3
	ds_write_b64 v18, v[19:20]
; %bb.325:
	s_or_b64 exec, exec, s[6:7]
	s_waitcnt lgkmcnt(0)
	s_barrier
	s_barrier
	s_and_saveexec_b64 s[6:7], s[14:15]
; %bb.326:
	v_lshlrev_b32_e32 v19, 3, v16
	v_lshl_or_b32 v19, v17, 9, v19
	ds_write_b64 v19, v[2:3] offset:24832
; %bb.327:
	s_or_b64 exec, exec, s[6:7]
	v_cmp_gt_u32_e64 s[18:19], 16, v0
	s_and_b64 s[94:95], s[16:17], s[18:19]
	s_waitcnt lgkmcnt(0)
	s_barrier
	s_barrier
	s_and_saveexec_b64 s[6:7], s[94:95]
	s_cbranch_execz .LBB158_329
; %bb.328:
	v_lshlrev_b32_e32 v19, 9, v0
	ds_read_b64 v[2:3], v19 offset:24832
	s_movk_i32 s18, 0xfe08
	v_mad_i32_i24 v20, v0, s18, v19
	s_waitcnt lgkmcnt(0)
	ds_write_b64 v20, v[2:3] offset:16768
	ds_read_b64 v[2:3], v19 offset:24840
	s_waitcnt lgkmcnt(0)
	ds_write_b64 v20, v[2:3] offset:17280
	ds_read_b64 v[2:3], v19 offset:24848
	;; [unrolled: 3-line block ×15, first 2 shown]
	s_waitcnt lgkmcnt(0)
	ds_write_b64 v20, v[2:3] offset:24448
.LBB158_329:
	s_or_b64 exec, exec, s[6:7]
	s_waitcnt lgkmcnt(0)
	s_barrier
	s_and_saveexec_b64 s[6:7], vcc
	s_cbranch_execz .LBB158_331
; %bb.330:
	v_mov_b32_e32 v21, 0
	ds_read_b64 v[2:3], v21 offset:24432
	s_mov_b64 s[18:19], 0x3f800000
	v_mov_b32_e32 v20, s19
	v_mov_b32_e32 v19, s18
	s_movk_i32 s18, 0x5800
	ds_write_b64 v21, v[19:20] offset:24440
	v_add_u32_e64 v21, s18, 0
	s_waitcnt lgkmcnt(1)
	ds_write2_b64 v21, v[19:20], v[2:3] offset0:174 offset1:175
.LBB158_331:
	s_or_b64 exec, exec, s[6:7]
	v_mov_b32_e32 v2, 0
	v_mov_b32_e32 v3, 0
	s_waitcnt lgkmcnt(0)
	s_barrier
	buffer_wbinvl1_vol
	s_and_saveexec_b64 s[6:7], s[22:23]
	s_cbranch_execz .LBB158_335
; %bb.332:
	v_lshlrev_b32_e32 v2, 3, v4
	v_lshlrev_b32_e32 v19, 9, v5
	ds_read_b64 v[2:3], v2 offset:23904
	ds_read_b64 v[19:20], v19 offset:23920
	v_cmp_gt_u32_e64 s[18:19], 2, v9
	s_waitcnt lgkmcnt(0)
	v_mul_f32_e32 v21, v20, v3
	v_mul_f32_e32 v3, v19, v3
	v_fma_f32 v19, v19, v2, -v21
	v_fmac_f32_e32 v3, v20, v2
	v_add_f32_e32 v2, 0, v19
	v_add_f32_e32 v3, 0, v3
	s_and_saveexec_b64 s[20:21], s[18:19]
	s_cbranch_execz .LBB158_334
; %bb.333:
	v_lshlrev_b32_e32 v19, 3, v0
	v_mov_b32_e32 v21, 0
	ds_read_b64 v[19:20], v19 offset:24416
	ds_read_b64 v[21:22], v21 offset:24440
	s_waitcnt lgkmcnt(0)
	v_mul_f32_e32 v23, v22, v20
	v_mul_f32_e32 v20, v21, v20
	v_fma_f32 v21, v21, v19, -v23
	v_fmac_f32_e32 v20, v22, v19
	v_add_f32_e32 v2, v2, v21
	v_add_f32_e32 v3, v3, v20
.LBB158_334:
	s_or_b64 exec, exec, s[20:21]
.LBB158_335:
	s_or_b64 exec, exec, s[6:7]
	s_and_saveexec_b64 s[6:7], s[42:43]
; %bb.336:
	v_xor_b32_e32 v20, 0x80000000, v3
	v_xor_b32_e32 v19, 0x80000000, v2
	ds_write_b64 v7, v[19:20]
; %bb.337:
	s_or_b64 exec, exec, s[6:7]
	s_waitcnt lgkmcnt(0)
	s_barrier
	s_and_saveexec_b64 s[6:7], s[40:41]
	s_cbranch_execz .LBB158_339
; %bb.338:
	v_mov_b32_e32 v19, 0
	ds_read_b64 v[19:20], v19 offset:23392
	ds_read_b64 v[21:22], v7
	s_waitcnt lgkmcnt(0)
	v_mul_f32_e32 v23, v21, v19
	v_mul_f32_e32 v21, v21, v20
	v_fmac_f32_e32 v21, v22, v19
	v_fma_f32 v19, v22, v20, -v23
	v_add_f32_e32 v2, v2, v19
	v_sub_f32_e32 v3, v3, v21
.LBB158_339:
	s_or_b64 exec, exec, s[6:7]
	s_barrier
	s_and_saveexec_b64 s[6:7], s[40:41]
; %bb.340:
	v_xor_b32_e32 v20, 0x80000000, v3
	v_xor_b32_e32 v19, 0x80000000, v2
	ds_write_b64 v7, v[19:20]
; %bb.341:
	s_or_b64 exec, exec, s[6:7]
	s_waitcnt lgkmcnt(0)
	s_barrier
	s_barrier
	s_and_saveexec_b64 s[6:7], s[22:23]
; %bb.342:
	v_lshlrev_b32_e32 v19, 3, v4
	v_lshl_or_b32 v19, v5, 9, v19
	ds_write_b64 v19, v[2:3] offset:23904
; %bb.343:
	s_or_b64 exec, exec, s[6:7]
	s_waitcnt lgkmcnt(0)
	s_barrier
	s_barrier
	s_and_saveexec_b64 s[6:7], s[44:45]
	s_cbranch_execz .LBB158_345
; %bb.344:
	v_lshlrev_b32_e32 v19, 3, v0
	s_movk_i32 s18, 0x1f8
	v_mad_u32_u24 v20, v0, s18, v19
	ds_read_b64 v[2:3], v20 offset:23904
	s_waitcnt lgkmcnt(0)
	ds_write_b64 v19, v[2:3] offset:22896
	ds_read_b64 v[2:3], v20 offset:23912
	s_waitcnt lgkmcnt(0)
	ds_write_b64 v19, v[2:3] offset:23408
.LBB158_345:
	s_or_b64 exec, exec, s[6:7]
	s_waitcnt lgkmcnt(0)
	s_barrier
	s_and_saveexec_b64 s[6:7], vcc
	s_cbranch_execz .LBB158_347
; %bb.346:
	v_mov_b32_e32 v21, 0
	ds_read_b64 v[2:3], v21 offset:23392
	s_mov_b64 s[18:19], 0x3f800000
	v_mov_b32_e32 v20, s19
	v_mov_b32_e32 v19, s18
	s_movk_i32 s18, 0x5800
	ds_write_b64 v21, v[19:20] offset:23400
	v_add_u32_e64 v21, s18, 0
	s_waitcnt lgkmcnt(1)
	ds_write2_b64 v21, v[19:20], v[2:3] offset0:44 offset1:45
.LBB158_347:
	s_or_b64 exec, exec, s[6:7]
	v_mov_b32_e32 v3, 0
	v_mov_b32_e32 v2, 0
	s_waitcnt lgkmcnt(0)
	s_barrier
	buffer_wbinvl1_vol
	s_and_saveexec_b64 s[6:7], s[10:11]
	s_cbranch_execz .LBB158_353
; %bb.348:
	v_lshlrev_b32_e32 v19, 3, v10
	v_lshlrev_b32_e32 v20, 9, v11
	ds_read_b64 v[2:3], v19 offset:22848
	ds_read_b64 v[21:22], v20 offset:22880
	v_cmp_gt_u32_e64 s[18:19], 12, v9
	s_waitcnt lgkmcnt(0)
	v_mul_f32_e32 v23, v22, v3
	v_mul_f32_e32 v3, v21, v3
	v_fma_f32 v21, v21, v2, -v23
	v_fmac_f32_e32 v3, v22, v2
	v_add_f32_e32 v2, 0, v21
	v_add_f32_e32 v3, 0, v3
	s_and_saveexec_b64 s[20:21], s[18:19]
	s_cbranch_execnz .LBB158_1066
; %bb.349:
	s_or_b64 exec, exec, s[20:21]
	v_cmp_gt_u32_e64 s[18:19], 8, v9
	s_and_saveexec_b64 s[20:21], s[18:19]
	s_cbranch_execnz .LBB158_1067
.LBB158_350:
	s_or_b64 exec, exec, s[20:21]
	v_cmp_gt_u32_e64 s[18:19], 4, v9
	s_and_saveexec_b64 s[20:21], s[18:19]
	s_cbranch_execz .LBB158_352
.LBB158_351:
	v_lshlrev_b32_e32 v19, 3, v0
	v_mov_b32_e32 v21, 0
	ds_read_b64 v[19:20], v19 offset:24384
	ds_read_b64 v[21:22], v21 offset:24440
	s_waitcnt lgkmcnt(0)
	v_mul_f32_e32 v23, v22, v20
	v_mul_f32_e32 v20, v21, v20
	v_fma_f32 v21, v21, v19, -v23
	v_fmac_f32_e32 v20, v22, v19
	v_add_f32_e32 v2, v2, v21
	v_add_f32_e32 v3, v3, v20
.LBB158_352:
	s_or_b64 exec, exec, s[20:21]
.LBB158_353:
	s_or_b64 exec, exec, s[6:7]
	s_and_saveexec_b64 s[6:7], s[48:49]
; %bb.354:
	v_xor_b32_e32 v19, 0x80000000, v2
	v_xor_b32_e32 v20, 0x80000000, v3
	ds_write_b64 v12, v[19:20]
; %bb.355:
	s_or_b64 exec, exec, s[6:7]
	s_waitcnt lgkmcnt(0)
	s_barrier
	s_and_saveexec_b64 s[6:7], s[50:51]
	s_cbranch_execz .LBB158_357
; %bb.356:
	v_lshlrev_b32_e32 v19, 3, v10
	ds_read_b64 v[19:20], v19 offset:22336
	ds_read_b64 v[21:22], v12
	s_waitcnt lgkmcnt(0)
	v_mul_f32_e32 v23, v22, v20
	v_mul_f32_e32 v20, v21, v20
	v_fma_f32 v21, v21, v19, -v23
	v_fmac_f32_e32 v20, v22, v19
	v_sub_f32_e32 v2, v2, v21
	v_sub_f32_e32 v3, v3, v20
.LBB158_357:
	s_or_b64 exec, exec, s[6:7]
	s_barrier
	s_and_saveexec_b64 s[6:7], s[52:53]
; %bb.358:
	v_xor_b32_e32 v19, 0x80000000, v2
	v_xor_b32_e32 v20, 0x80000000, v3
	ds_write_b64 v12, v[19:20]
; %bb.359:
	s_or_b64 exec, exec, s[6:7]
	s_waitcnt lgkmcnt(0)
	s_barrier
	s_and_saveexec_b64 s[6:7], s[54:55]
	s_cbranch_execz .LBB158_361
; %bb.360:
	v_lshlrev_b32_e32 v19, 3, v10
	ds_read_b64 v[19:20], v19 offset:21824
	ds_read_b64 v[21:22], v12
	s_waitcnt lgkmcnt(0)
	v_mul_f32_e32 v23, v22, v20
	v_mul_f32_e32 v20, v21, v20
	v_fma_f32 v21, v21, v19, -v23
	v_fmac_f32_e32 v20, v22, v19
	v_sub_f32_e32 v2, v2, v21
	v_sub_f32_e32 v3, v3, v20
.LBB158_361:
	s_or_b64 exec, exec, s[6:7]
	s_barrier
	s_and_saveexec_b64 s[6:7], s[56:57]
; %bb.362:
	v_xor_b32_e32 v19, 0x80000000, v2
	v_xor_b32_e32 v20, 0x80000000, v3
	ds_write_b64 v12, v[19:20]
; %bb.363:
	s_or_b64 exec, exec, s[6:7]
	s_waitcnt lgkmcnt(0)
	s_barrier
	s_and_saveexec_b64 s[6:7], s[46:47]
	s_cbranch_execz .LBB158_365
; %bb.364:
	v_mov_b32_e32 v19, 0
	ds_read_b64 v[19:20], v19 offset:21312
	ds_read_b64 v[21:22], v12
	s_waitcnt lgkmcnt(0)
	v_mul_f32_e32 v23, v22, v20
	v_mul_f32_e32 v20, v21, v20
	v_fma_f32 v21, v21, v19, -v23
	v_fmac_f32_e32 v20, v22, v19
	v_sub_f32_e32 v2, v2, v21
	v_sub_f32_e32 v3, v3, v20
.LBB158_365:
	s_or_b64 exec, exec, s[6:7]
	s_barrier
	s_and_saveexec_b64 s[6:7], s[46:47]
; %bb.366:
	v_xor_b32_e32 v19, 0x80000000, v2
	v_xor_b32_e32 v20, 0x80000000, v3
	ds_write_b64 v12, v[19:20]
; %bb.367:
	s_or_b64 exec, exec, s[6:7]
	s_waitcnt lgkmcnt(0)
	s_barrier
	s_barrier
	s_and_saveexec_b64 s[6:7], s[10:11]
; %bb.368:
	v_lshlrev_b32_e32 v19, 3, v10
	v_lshl_or_b32 v19, v11, 9, v19
	ds_write_b64 v19, v[2:3] offset:22848
; %bb.369:
	s_or_b64 exec, exec, s[6:7]
	s_waitcnt lgkmcnt(0)
	s_barrier
	s_barrier
	s_and_saveexec_b64 s[6:7], s[58:59]
	s_cbranch_execz .LBB158_371
; %bb.370:
	v_lshlrev_b32_e32 v19, 9, v0
	ds_read_b64 v[2:3], v19 offset:22848
	s_movk_i32 s18, 0xfe08
	v_mad_i32_i24 v20, v0, s18, v19
	s_waitcnt lgkmcnt(0)
	ds_write_b64 v20, v[2:3] offset:20832
	ds_read_b64 v[2:3], v19 offset:22856
	s_waitcnt lgkmcnt(0)
	ds_write_b64 v20, v[2:3] offset:21344
	ds_read_b64 v[2:3], v19 offset:22864
	;; [unrolled: 3-line block ×3, first 2 shown]
	s_waitcnt lgkmcnt(0)
	ds_write_b64 v20, v[2:3] offset:22368
.LBB158_371:
	s_or_b64 exec, exec, s[6:7]
	s_waitcnt lgkmcnt(0)
	s_barrier
	s_and_saveexec_b64 s[6:7], vcc
	s_cbranch_execz .LBB158_373
; %bb.372:
	v_mov_b32_e32 v21, 0
	ds_read_b64 v[2:3], v21 offset:22352
	s_mov_b64 s[18:19], 0x3f800000
	v_mov_b32_e32 v20, s19
	v_mov_b32_e32 v19, s18
	s_movk_i32 s18, 0x5000
	ds_write_b64 v21, v[19:20] offset:22360
	v_add_u32_e64 v21, s18, 0
	s_waitcnt lgkmcnt(1)
	ds_write2_b64 v21, v[19:20], v[2:3] offset0:170 offset1:171
.LBB158_373:
	s_or_b64 exec, exec, s[6:7]
	v_mov_b32_e32 v2, 0
	v_mov_b32_e32 v3, 0
	s_waitcnt lgkmcnt(0)
	s_barrier
	buffer_wbinvl1_vol
	s_and_saveexec_b64 s[6:7], s[22:23]
	s_cbranch_execz .LBB158_377
; %bb.374:
	v_lshlrev_b32_e32 v2, 3, v4
	v_lshlrev_b32_e32 v19, 9, v5
	ds_read_b64 v[2:3], v2 offset:21824
	ds_read_b64 v[19:20], v19 offset:21840
	v_cmp_gt_u32_e64 s[18:19], 2, v9
	s_waitcnt lgkmcnt(0)
	v_mul_f32_e32 v21, v20, v3
	v_mul_f32_e32 v3, v19, v3
	v_fma_f32 v19, v19, v2, -v21
	v_fmac_f32_e32 v3, v20, v2
	v_add_f32_e32 v2, 0, v19
	v_add_f32_e32 v3, 0, v3
	s_and_saveexec_b64 s[20:21], s[18:19]
	s_cbranch_execz .LBB158_376
; %bb.375:
	v_lshlrev_b32_e32 v19, 3, v0
	v_mov_b32_e32 v21, 0
	ds_read_b64 v[19:20], v19 offset:22336
	ds_read_b64 v[21:22], v21 offset:22360
	s_waitcnt lgkmcnt(0)
	v_mul_f32_e32 v23, v22, v20
	v_mul_f32_e32 v20, v21, v20
	v_fma_f32 v21, v21, v19, -v23
	v_fmac_f32_e32 v20, v22, v19
	v_add_f32_e32 v2, v2, v21
	v_add_f32_e32 v3, v3, v20
.LBB158_376:
	s_or_b64 exec, exec, s[20:21]
.LBB158_377:
	s_or_b64 exec, exec, s[6:7]
	s_and_saveexec_b64 s[6:7], s[42:43]
; %bb.378:
	v_xor_b32_e32 v20, 0x80000000, v3
	v_xor_b32_e32 v19, 0x80000000, v2
	ds_write_b64 v7, v[19:20]
; %bb.379:
	s_or_b64 exec, exec, s[6:7]
	s_waitcnt lgkmcnt(0)
	s_barrier
	s_and_saveexec_b64 s[6:7], s[40:41]
	s_cbranch_execz .LBB158_381
; %bb.380:
	v_mov_b32_e32 v19, 0
	ds_read_b64 v[19:20], v19 offset:21312
	ds_read_b64 v[21:22], v7
	s_waitcnt lgkmcnt(0)
	v_mul_f32_e32 v23, v21, v19
	v_mul_f32_e32 v21, v21, v20
	v_fmac_f32_e32 v21, v22, v19
	v_fma_f32 v19, v22, v20, -v23
	v_add_f32_e32 v2, v2, v19
	v_sub_f32_e32 v3, v3, v21
.LBB158_381:
	s_or_b64 exec, exec, s[6:7]
	s_barrier
	s_and_saveexec_b64 s[6:7], s[40:41]
; %bb.382:
	v_xor_b32_e32 v20, 0x80000000, v3
	v_xor_b32_e32 v19, 0x80000000, v2
	ds_write_b64 v7, v[19:20]
; %bb.383:
	s_or_b64 exec, exec, s[6:7]
	s_waitcnt lgkmcnt(0)
	s_barrier
	s_barrier
	s_and_saveexec_b64 s[6:7], s[22:23]
; %bb.384:
	v_lshlrev_b32_e32 v19, 3, v4
	v_lshl_or_b32 v19, v5, 9, v19
	ds_write_b64 v19, v[2:3] offset:21824
; %bb.385:
	s_or_b64 exec, exec, s[6:7]
	s_waitcnt lgkmcnt(0)
	s_barrier
	s_barrier
	s_and_saveexec_b64 s[6:7], s[44:45]
	s_cbranch_execz .LBB158_387
; %bb.386:
	v_lshlrev_b32_e32 v19, 3, v0
	s_movk_i32 s18, 0x1f8
	v_mad_u32_u24 v20, v0, s18, v19
	ds_read_b64 v[2:3], v20 offset:21824
	s_waitcnt lgkmcnt(0)
	ds_write_b64 v19, v[2:3] offset:20816
	ds_read_b64 v[2:3], v20 offset:21832
	s_waitcnt lgkmcnt(0)
	ds_write_b64 v19, v[2:3] offset:21328
.LBB158_387:
	s_or_b64 exec, exec, s[6:7]
	s_waitcnt lgkmcnt(0)
	s_barrier
	s_and_saveexec_b64 s[6:7], vcc
	s_cbranch_execz .LBB158_389
; %bb.388:
	v_mov_b32_e32 v21, 0
	ds_read_b64 v[2:3], v21 offset:21312
	s_mov_b64 s[18:19], 0x3f800000
	v_mov_b32_e32 v20, s19
	v_mov_b32_e32 v19, s18
	s_movk_i32 s18, 0x5000
	ds_write_b64 v21, v[19:20] offset:21320
	v_add_u32_e64 v21, s18, 0
	s_waitcnt lgkmcnt(1)
	ds_write2_b64 v21, v[19:20], v[2:3] offset0:40 offset1:41
.LBB158_389:
	s_or_b64 exec, exec, s[6:7]
	v_mov_b32_e32 v3, 0
	v_mov_b32_e32 v2, 0
	s_waitcnt lgkmcnt(0)
	s_barrier
	buffer_wbinvl1_vol
	s_and_saveexec_b64 s[6:7], s[12:13]
	s_cbranch_execz .LBB158_399
; %bb.390:
	v_lshlrev_b32_e32 v19, 3, v13
	v_lshlrev_b32_e32 v20, 9, v14
	ds_read_b64 v[2:3], v19 offset:20736
	ds_read_b64 v[21:22], v20 offset:20800
	v_cmp_gt_u32_e64 s[18:19], 56, v9
	s_waitcnt lgkmcnt(0)
	v_mul_f32_e32 v23, v22, v3
	v_mul_f32_e32 v3, v21, v3
	v_fma_f32 v21, v21, v2, -v23
	v_fmac_f32_e32 v3, v22, v2
	v_add_f32_e32 v2, 0, v21
	v_add_f32_e32 v3, 0, v3
	s_and_saveexec_b64 s[20:21], s[18:19]
	s_cbranch_execnz .LBB158_1068
; %bb.391:
	s_or_b64 exec, exec, s[20:21]
	v_cmp_gt_u32_e64 s[18:19], 48, v9
	s_and_saveexec_b64 s[20:21], s[18:19]
	s_cbranch_execnz .LBB158_1069
.LBB158_392:
	s_or_b64 exec, exec, s[20:21]
	v_cmp_gt_u32_e64 s[18:19], 40, v9
	s_and_saveexec_b64 s[20:21], s[18:19]
	s_cbranch_execnz .LBB158_1070
.LBB158_393:
	s_or_b64 exec, exec, s[20:21]
	v_cmp_gt_u32_e64 s[18:19], 32, v9
	s_and_saveexec_b64 s[20:21], s[18:19]
	s_cbranch_execnz .LBB158_1071
.LBB158_394:
	s_or_b64 exec, exec, s[20:21]
	v_cmp_gt_u32_e64 s[18:19], 24, v9
	s_and_saveexec_b64 s[20:21], s[18:19]
	s_cbranch_execnz .LBB158_1072
.LBB158_395:
	s_or_b64 exec, exec, s[20:21]
	s_and_saveexec_b64 s[18:19], s[10:11]
	s_cbranch_execnz .LBB158_1073
.LBB158_396:
	s_or_b64 exec, exec, s[18:19]
	v_cmp_gt_u32_e64 s[18:19], 8, v9
	s_and_saveexec_b64 s[20:21], s[18:19]
	s_cbranch_execz .LBB158_398
.LBB158_397:
	v_lshlrev_b32_e32 v19, 3, v0
	v_mov_b32_e32 v21, 0
	ds_read_b64 v[19:20], v19 offset:24320
	ds_read_b64 v[21:22], v21 offset:24440
	s_waitcnt lgkmcnt(0)
	v_mul_f32_e32 v23, v22, v20
	v_mul_f32_e32 v20, v21, v20
	v_fma_f32 v21, v21, v19, -v23
	v_fmac_f32_e32 v20, v22, v19
	v_add_f32_e32 v2, v2, v21
	v_add_f32_e32 v3, v3, v20
.LBB158_398:
	s_or_b64 exec, exec, s[20:21]
.LBB158_399:
	s_or_b64 exec, exec, s[6:7]
	s_and_saveexec_b64 s[6:7], s[62:63]
; %bb.400:
	v_xor_b32_e32 v20, 0x80000000, v3
	v_xor_b32_e32 v19, 0x80000000, v2
	ds_write_b64 v15, v[19:20]
; %bb.401:
	s_or_b64 exec, exec, s[6:7]
	s_waitcnt lgkmcnt(0)
	s_barrier
	s_and_saveexec_b64 s[6:7], s[64:65]
	s_cbranch_execz .LBB158_403
; %bb.402:
	v_lshlrev_b32_e32 v19, 3, v13
	ds_read_b64 v[19:20], v19 offset:20224
	ds_read_b64 v[21:22], v15
	s_waitcnt lgkmcnt(0)
	v_mul_f32_e32 v23, v22, v20
	v_mul_f32_e32 v20, v21, v20
	v_fma_f32 v21, v21, v19, -v23
	v_fmac_f32_e32 v20, v22, v19
	v_sub_f32_e32 v2, v2, v21
	v_sub_f32_e32 v3, v3, v20
.LBB158_403:
	s_or_b64 exec, exec, s[6:7]
	s_barrier
	s_and_saveexec_b64 s[6:7], s[66:67]
; %bb.404:
	v_xor_b32_e32 v20, 0x80000000, v3
	v_xor_b32_e32 v19, 0x80000000, v2
	ds_write_b64 v15, v[19:20]
; %bb.405:
	s_or_b64 exec, exec, s[6:7]
	s_waitcnt lgkmcnt(0)
	s_barrier
	s_and_saveexec_b64 s[6:7], s[68:69]
	s_cbranch_execz .LBB158_407
; %bb.406:
	v_lshlrev_b32_e32 v19, 3, v13
	ds_read_b64 v[19:20], v19 offset:19712
	ds_read_b64 v[21:22], v15
	s_waitcnt lgkmcnt(0)
	v_mul_f32_e32 v23, v22, v20
	v_mul_f32_e32 v20, v21, v20
	v_fma_f32 v21, v21, v19, -v23
	v_fmac_f32_e32 v20, v22, v19
	v_sub_f32_e32 v2, v2, v21
	v_sub_f32_e32 v3, v3, v20
.LBB158_407:
	s_or_b64 exec, exec, s[6:7]
	s_barrier
	;; [unrolled: 25-line block ×6, first 2 shown]
	s_and_saveexec_b64 s[6:7], s[86:87]
; %bb.424:
	v_xor_b32_e32 v20, 0x80000000, v3
	v_xor_b32_e32 v19, 0x80000000, v2
	ds_write_b64 v15, v[19:20]
; %bb.425:
	s_or_b64 exec, exec, s[6:7]
	s_waitcnt lgkmcnt(0)
	s_barrier
	s_and_saveexec_b64 s[6:7], s[60:61]
	s_cbranch_execz .LBB158_427
; %bb.426:
	v_mov_b32_e32 v19, 0
	ds_read_b64 v[19:20], v19 offset:17152
	ds_read_b64 v[21:22], v15
	s_waitcnt lgkmcnt(0)
	v_mul_f32_e32 v23, v22, v20
	v_mul_f32_e32 v20, v21, v20
	v_fma_f32 v21, v21, v19, -v23
	v_fmac_f32_e32 v20, v22, v19
	v_sub_f32_e32 v2, v2, v21
	v_sub_f32_e32 v3, v3, v20
.LBB158_427:
	s_or_b64 exec, exec, s[6:7]
	s_barrier
	s_and_saveexec_b64 s[6:7], s[60:61]
; %bb.428:
	v_xor_b32_e32 v20, 0x80000000, v3
	v_xor_b32_e32 v19, 0x80000000, v2
	ds_write_b64 v15, v[19:20]
; %bb.429:
	s_or_b64 exec, exec, s[6:7]
	s_waitcnt lgkmcnt(0)
	s_barrier
	s_barrier
	s_and_saveexec_b64 s[6:7], s[12:13]
; %bb.430:
	v_lshlrev_b32_e32 v19, 3, v13
	v_lshl_or_b32 v19, v14, 9, v19
	ds_write_b64 v19, v[2:3] offset:20736
; %bb.431:
	s_or_b64 exec, exec, s[6:7]
	s_waitcnt lgkmcnt(0)
	s_barrier
	s_barrier
	s_and_saveexec_b64 s[6:7], s[88:89]
	s_cbranch_execz .LBB158_433
; %bb.432:
	v_lshlrev_b32_e32 v19, 9, v0
	ds_read_b64 v[2:3], v19 offset:20736
	s_movk_i32 s18, 0xfe08
	v_mad_i32_i24 v20, v0, s18, v19
	s_waitcnt lgkmcnt(0)
	ds_write_b64 v20, v[2:3] offset:16704
	ds_read_b64 v[2:3], v19 offset:20744
	s_waitcnt lgkmcnt(0)
	ds_write_b64 v20, v[2:3] offset:17216
	ds_read_b64 v[2:3], v19 offset:20752
	;; [unrolled: 3-line block ×7, first 2 shown]
	s_waitcnt lgkmcnt(0)
	ds_write_b64 v20, v[2:3] offset:20288
.LBB158_433:
	s_or_b64 exec, exec, s[6:7]
	s_waitcnt lgkmcnt(0)
	s_barrier
	s_and_saveexec_b64 s[6:7], vcc
	s_cbranch_execz .LBB158_435
; %bb.434:
	v_mov_b32_e32 v21, 0
	ds_read_b64 v[2:3], v21 offset:20272
	s_mov_b64 s[18:19], 0x3f800000
	v_mov_b32_e32 v20, s19
	v_mov_b32_e32 v19, s18
	s_movk_i32 s18, 0x4800
	ds_write_b64 v21, v[19:20] offset:20280
	v_add_u32_e64 v21, s18, 0
	s_waitcnt lgkmcnt(1)
	ds_write2_b64 v21, v[19:20], v[2:3] offset0:166 offset1:167
.LBB158_435:
	s_or_b64 exec, exec, s[6:7]
	v_mov_b32_e32 v2, 0
	v_mov_b32_e32 v3, 0
	s_waitcnt lgkmcnt(0)
	s_barrier
	buffer_wbinvl1_vol
	s_and_saveexec_b64 s[6:7], s[22:23]
	s_cbranch_execz .LBB158_439
; %bb.436:
	v_lshlrev_b32_e32 v2, 3, v4
	v_lshlrev_b32_e32 v19, 9, v5
	ds_read_b64 v[2:3], v2 offset:19744
	ds_read_b64 v[19:20], v19 offset:19760
	v_cmp_gt_u32_e64 s[18:19], 2, v9
	s_waitcnt lgkmcnt(0)
	v_mul_f32_e32 v21, v20, v3
	v_mul_f32_e32 v3, v19, v3
	v_fma_f32 v19, v19, v2, -v21
	v_fmac_f32_e32 v3, v20, v2
	v_add_f32_e32 v2, 0, v19
	v_add_f32_e32 v3, 0, v3
	s_and_saveexec_b64 s[20:21], s[18:19]
	s_cbranch_execz .LBB158_438
; %bb.437:
	v_lshlrev_b32_e32 v19, 3, v0
	v_mov_b32_e32 v21, 0
	ds_read_b64 v[19:20], v19 offset:20256
	ds_read_b64 v[21:22], v21 offset:20280
	s_waitcnt lgkmcnt(0)
	v_mul_f32_e32 v23, v22, v20
	v_mul_f32_e32 v20, v21, v20
	v_fma_f32 v21, v21, v19, -v23
	v_fmac_f32_e32 v20, v22, v19
	v_add_f32_e32 v2, v2, v21
	v_add_f32_e32 v3, v3, v20
.LBB158_438:
	s_or_b64 exec, exec, s[20:21]
.LBB158_439:
	s_or_b64 exec, exec, s[6:7]
	s_and_saveexec_b64 s[6:7], s[42:43]
; %bb.440:
	v_xor_b32_e32 v20, 0x80000000, v3
	v_xor_b32_e32 v19, 0x80000000, v2
	ds_write_b64 v7, v[19:20]
; %bb.441:
	s_or_b64 exec, exec, s[6:7]
	s_waitcnt lgkmcnt(0)
	s_barrier
	s_and_saveexec_b64 s[6:7], s[40:41]
	s_cbranch_execz .LBB158_443
; %bb.442:
	v_mov_b32_e32 v19, 0
	ds_read_b64 v[19:20], v19 offset:19232
	ds_read_b64 v[21:22], v7
	s_waitcnt lgkmcnt(0)
	v_mul_f32_e32 v23, v21, v19
	v_mul_f32_e32 v21, v21, v20
	v_fmac_f32_e32 v21, v22, v19
	v_fma_f32 v19, v22, v20, -v23
	v_add_f32_e32 v2, v2, v19
	v_sub_f32_e32 v3, v3, v21
.LBB158_443:
	s_or_b64 exec, exec, s[6:7]
	s_barrier
	s_and_saveexec_b64 s[6:7], s[40:41]
; %bb.444:
	v_xor_b32_e32 v20, 0x80000000, v3
	v_xor_b32_e32 v19, 0x80000000, v2
	ds_write_b64 v7, v[19:20]
; %bb.445:
	s_or_b64 exec, exec, s[6:7]
	s_waitcnt lgkmcnt(0)
	s_barrier
	s_barrier
	s_and_saveexec_b64 s[6:7], s[22:23]
; %bb.446:
	v_lshlrev_b32_e32 v19, 3, v4
	v_lshl_or_b32 v19, v5, 9, v19
	ds_write_b64 v19, v[2:3] offset:19744
; %bb.447:
	s_or_b64 exec, exec, s[6:7]
	s_waitcnt lgkmcnt(0)
	s_barrier
	s_barrier
	s_and_saveexec_b64 s[6:7], s[44:45]
	s_cbranch_execz .LBB158_449
; %bb.448:
	v_lshlrev_b32_e32 v19, 3, v0
	s_movk_i32 s18, 0x1f8
	v_mad_u32_u24 v20, v0, s18, v19
	ds_read_b64 v[2:3], v20 offset:19744
	s_waitcnt lgkmcnt(0)
	ds_write_b64 v19, v[2:3] offset:18736
	ds_read_b64 v[2:3], v20 offset:19752
	s_waitcnt lgkmcnt(0)
	ds_write_b64 v19, v[2:3] offset:19248
.LBB158_449:
	s_or_b64 exec, exec, s[6:7]
	s_waitcnt lgkmcnt(0)
	s_barrier
	s_and_saveexec_b64 s[6:7], vcc
	s_cbranch_execz .LBB158_451
; %bb.450:
	v_mov_b32_e32 v21, 0
	ds_read_b64 v[2:3], v21 offset:19232
	s_mov_b64 s[18:19], 0x3f800000
	v_mov_b32_e32 v20, s19
	v_mov_b32_e32 v19, s18
	s_movk_i32 s18, 0x4800
	ds_write_b64 v21, v[19:20] offset:19240
	v_add_u32_e64 v21, s18, 0
	s_waitcnt lgkmcnt(1)
	ds_write2_b64 v21, v[19:20], v[2:3] offset0:36 offset1:37
.LBB158_451:
	s_or_b64 exec, exec, s[6:7]
	v_mov_b32_e32 v3, 0
	v_mov_b32_e32 v2, 0
	s_waitcnt lgkmcnt(0)
	s_barrier
	buffer_wbinvl1_vol
	s_and_saveexec_b64 s[6:7], s[10:11]
	s_cbranch_execz .LBB158_457
; %bb.452:
	v_lshlrev_b32_e32 v19, 3, v10
	v_lshlrev_b32_e32 v20, 9, v11
	ds_read_b64 v[2:3], v19 offset:18688
	ds_read_b64 v[21:22], v20 offset:18720
	v_cmp_gt_u32_e64 s[18:19], 12, v9
	s_waitcnt lgkmcnt(0)
	v_mul_f32_e32 v23, v22, v3
	v_mul_f32_e32 v3, v21, v3
	v_fma_f32 v21, v21, v2, -v23
	v_fmac_f32_e32 v3, v22, v2
	v_add_f32_e32 v2, 0, v21
	v_add_f32_e32 v3, 0, v3
	s_and_saveexec_b64 s[20:21], s[18:19]
	s_cbranch_execnz .LBB158_1074
; %bb.453:
	s_or_b64 exec, exec, s[20:21]
	v_cmp_gt_u32_e64 s[18:19], 8, v9
	s_and_saveexec_b64 s[20:21], s[18:19]
	s_cbranch_execnz .LBB158_1075
.LBB158_454:
	s_or_b64 exec, exec, s[20:21]
	v_cmp_gt_u32_e64 s[18:19], 4, v9
	s_and_saveexec_b64 s[20:21], s[18:19]
	s_cbranch_execz .LBB158_456
.LBB158_455:
	v_lshlrev_b32_e32 v19, 3, v0
	v_mov_b32_e32 v21, 0
	ds_read_b64 v[19:20], v19 offset:20224
	ds_read_b64 v[21:22], v21 offset:20280
	s_waitcnt lgkmcnt(0)
	v_mul_f32_e32 v23, v22, v20
	v_mul_f32_e32 v20, v21, v20
	v_fma_f32 v21, v21, v19, -v23
	v_fmac_f32_e32 v20, v22, v19
	v_add_f32_e32 v2, v2, v21
	v_add_f32_e32 v3, v3, v20
.LBB158_456:
	s_or_b64 exec, exec, s[20:21]
.LBB158_457:
	s_or_b64 exec, exec, s[6:7]
	s_and_saveexec_b64 s[6:7], s[48:49]
; %bb.458:
	v_xor_b32_e32 v19, 0x80000000, v2
	v_xor_b32_e32 v20, 0x80000000, v3
	ds_write_b64 v12, v[19:20]
; %bb.459:
	s_or_b64 exec, exec, s[6:7]
	s_waitcnt lgkmcnt(0)
	s_barrier
	s_and_saveexec_b64 s[6:7], s[50:51]
	s_cbranch_execz .LBB158_461
; %bb.460:
	v_lshlrev_b32_e32 v19, 3, v10
	ds_read_b64 v[19:20], v19 offset:18176
	ds_read_b64 v[21:22], v12
	s_waitcnt lgkmcnt(0)
	v_mul_f32_e32 v23, v22, v20
	v_mul_f32_e32 v20, v21, v20
	v_fma_f32 v21, v21, v19, -v23
	v_fmac_f32_e32 v20, v22, v19
	v_sub_f32_e32 v2, v2, v21
	v_sub_f32_e32 v3, v3, v20
.LBB158_461:
	s_or_b64 exec, exec, s[6:7]
	s_barrier
	s_and_saveexec_b64 s[6:7], s[52:53]
; %bb.462:
	v_xor_b32_e32 v19, 0x80000000, v2
	v_xor_b32_e32 v20, 0x80000000, v3
	ds_write_b64 v12, v[19:20]
; %bb.463:
	s_or_b64 exec, exec, s[6:7]
	s_waitcnt lgkmcnt(0)
	s_barrier
	s_and_saveexec_b64 s[6:7], s[54:55]
	s_cbranch_execz .LBB158_465
; %bb.464:
	v_lshlrev_b32_e32 v19, 3, v10
	ds_read_b64 v[19:20], v19 offset:17664
	ds_read_b64 v[21:22], v12
	s_waitcnt lgkmcnt(0)
	v_mul_f32_e32 v23, v22, v20
	v_mul_f32_e32 v20, v21, v20
	v_fma_f32 v21, v21, v19, -v23
	v_fmac_f32_e32 v20, v22, v19
	v_sub_f32_e32 v2, v2, v21
	v_sub_f32_e32 v3, v3, v20
.LBB158_465:
	s_or_b64 exec, exec, s[6:7]
	s_barrier
	s_and_saveexec_b64 s[6:7], s[56:57]
; %bb.466:
	v_xor_b32_e32 v19, 0x80000000, v2
	v_xor_b32_e32 v20, 0x80000000, v3
	ds_write_b64 v12, v[19:20]
; %bb.467:
	s_or_b64 exec, exec, s[6:7]
	s_waitcnt lgkmcnt(0)
	s_barrier
	s_and_saveexec_b64 s[6:7], s[46:47]
	s_cbranch_execz .LBB158_469
; %bb.468:
	v_mov_b32_e32 v19, 0
	ds_read_b64 v[19:20], v19 offset:17152
	ds_read_b64 v[21:22], v12
	s_waitcnt lgkmcnt(0)
	v_mul_f32_e32 v23, v22, v20
	v_mul_f32_e32 v20, v21, v20
	v_fma_f32 v21, v21, v19, -v23
	v_fmac_f32_e32 v20, v22, v19
	v_sub_f32_e32 v2, v2, v21
	v_sub_f32_e32 v3, v3, v20
.LBB158_469:
	s_or_b64 exec, exec, s[6:7]
	s_barrier
	s_and_saveexec_b64 s[6:7], s[46:47]
; %bb.470:
	v_xor_b32_e32 v19, 0x80000000, v2
	v_xor_b32_e32 v20, 0x80000000, v3
	ds_write_b64 v12, v[19:20]
; %bb.471:
	s_or_b64 exec, exec, s[6:7]
	s_waitcnt lgkmcnt(0)
	s_barrier
	s_barrier
	s_and_saveexec_b64 s[6:7], s[10:11]
; %bb.472:
	v_lshlrev_b32_e32 v19, 3, v10
	v_lshl_or_b32 v19, v11, 9, v19
	ds_write_b64 v19, v[2:3] offset:18688
; %bb.473:
	s_or_b64 exec, exec, s[6:7]
	s_waitcnt lgkmcnt(0)
	s_barrier
	s_barrier
	s_and_saveexec_b64 s[6:7], s[58:59]
	s_cbranch_execz .LBB158_475
; %bb.474:
	v_lshlrev_b32_e32 v19, 9, v0
	ds_read_b64 v[2:3], v19 offset:18688
	s_movk_i32 s18, 0xfe08
	v_mad_i32_i24 v20, v0, s18, v19
	s_waitcnt lgkmcnt(0)
	ds_write_b64 v20, v[2:3] offset:16672
	ds_read_b64 v[2:3], v19 offset:18696
	s_waitcnt lgkmcnt(0)
	ds_write_b64 v20, v[2:3] offset:17184
	ds_read_b64 v[2:3], v19 offset:18704
	;; [unrolled: 3-line block ×3, first 2 shown]
	s_waitcnt lgkmcnt(0)
	ds_write_b64 v20, v[2:3] offset:18208
.LBB158_475:
	s_or_b64 exec, exec, s[6:7]
	s_waitcnt lgkmcnt(0)
	s_barrier
	s_and_saveexec_b64 s[6:7], vcc
	s_cbranch_execz .LBB158_477
; %bb.476:
	v_mov_b32_e32 v21, 0
	ds_read_b64 v[2:3], v21 offset:18192
	s_mov_b64 s[18:19], 0x3f800000
	v_mov_b32_e32 v20, s19
	v_mov_b32_e32 v19, s18
	s_movk_i32 s18, 0x4000
	ds_write_b64 v21, v[19:20] offset:18200
	v_add_u32_e64 v21, s18, 0
	s_waitcnt lgkmcnt(1)
	ds_write2_b64 v21, v[19:20], v[2:3] offset0:162 offset1:163
.LBB158_477:
	s_or_b64 exec, exec, s[6:7]
	v_mov_b32_e32 v2, 0
	v_mov_b32_e32 v3, 0
	s_waitcnt lgkmcnt(0)
	s_barrier
	buffer_wbinvl1_vol
	s_and_saveexec_b64 s[6:7], s[22:23]
	s_cbranch_execz .LBB158_481
; %bb.478:
	v_lshlrev_b32_e32 v2, 3, v4
	v_lshlrev_b32_e32 v19, 9, v5
	ds_read_b64 v[2:3], v2 offset:17664
	ds_read_b64 v[19:20], v19 offset:17680
	v_cmp_gt_u32_e64 s[18:19], 2, v9
	s_waitcnt lgkmcnt(0)
	v_mul_f32_e32 v21, v20, v3
	v_mul_f32_e32 v3, v19, v3
	v_fma_f32 v19, v19, v2, -v21
	v_fmac_f32_e32 v3, v20, v2
	v_add_f32_e32 v2, 0, v19
	v_add_f32_e32 v3, 0, v3
	s_and_saveexec_b64 s[20:21], s[18:19]
	s_cbranch_execz .LBB158_480
; %bb.479:
	v_lshlrev_b32_e32 v19, 3, v0
	v_mov_b32_e32 v21, 0
	ds_read_b64 v[19:20], v19 offset:18176
	ds_read_b64 v[21:22], v21 offset:18200
	s_waitcnt lgkmcnt(0)
	v_mul_f32_e32 v23, v22, v20
	v_mul_f32_e32 v20, v21, v20
	v_fma_f32 v21, v21, v19, -v23
	v_fmac_f32_e32 v20, v22, v19
	v_add_f32_e32 v2, v2, v21
	v_add_f32_e32 v3, v3, v20
.LBB158_480:
	s_or_b64 exec, exec, s[20:21]
.LBB158_481:
	s_or_b64 exec, exec, s[6:7]
	s_and_saveexec_b64 s[6:7], s[42:43]
; %bb.482:
	v_xor_b32_e32 v20, 0x80000000, v3
	v_xor_b32_e32 v19, 0x80000000, v2
	ds_write_b64 v7, v[19:20]
; %bb.483:
	s_or_b64 exec, exec, s[6:7]
	s_waitcnt lgkmcnt(0)
	s_barrier
	s_and_saveexec_b64 s[6:7], s[40:41]
	s_cbranch_execz .LBB158_485
; %bb.484:
	v_mov_b32_e32 v19, 0
	ds_read_b64 v[19:20], v19 offset:17152
	ds_read_b64 v[21:22], v7
	s_waitcnt lgkmcnt(0)
	v_mul_f32_e32 v23, v21, v19
	v_mul_f32_e32 v21, v21, v20
	v_fmac_f32_e32 v21, v22, v19
	v_fma_f32 v19, v22, v20, -v23
	v_add_f32_e32 v2, v2, v19
	v_sub_f32_e32 v3, v3, v21
.LBB158_485:
	s_or_b64 exec, exec, s[6:7]
	s_barrier
	s_and_saveexec_b64 s[6:7], s[40:41]
; %bb.486:
	v_xor_b32_e32 v20, 0x80000000, v3
	v_xor_b32_e32 v19, 0x80000000, v2
	ds_write_b64 v7, v[19:20]
; %bb.487:
	s_or_b64 exec, exec, s[6:7]
	s_waitcnt lgkmcnt(0)
	s_barrier
	s_barrier
	s_and_saveexec_b64 s[6:7], s[22:23]
; %bb.488:
	v_lshlrev_b32_e32 v19, 3, v4
	v_lshl_or_b32 v19, v5, 9, v19
	ds_write_b64 v19, v[2:3] offset:17664
; %bb.489:
	s_or_b64 exec, exec, s[6:7]
	s_waitcnt lgkmcnt(0)
	s_barrier
	s_barrier
	s_and_saveexec_b64 s[6:7], s[44:45]
	s_cbranch_execz .LBB158_491
; %bb.490:
	v_lshlrev_b32_e32 v19, 3, v0
	s_movk_i32 s18, 0x1f8
	v_mad_u32_u24 v20, v0, s18, v19
	ds_read_b64 v[2:3], v20 offset:17664
	s_waitcnt lgkmcnt(0)
	ds_write_b64 v19, v[2:3] offset:16656
	ds_read_b64 v[2:3], v20 offset:17672
	s_waitcnt lgkmcnt(0)
	ds_write_b64 v19, v[2:3] offset:17168
.LBB158_491:
	s_or_b64 exec, exec, s[6:7]
	s_waitcnt lgkmcnt(0)
	s_barrier
	s_and_saveexec_b64 s[6:7], vcc
	s_cbranch_execz .LBB158_493
; %bb.492:
	v_mov_b32_e32 v21, 0
	ds_read_b64 v[2:3], v21 offset:17152
	s_mov_b64 s[18:19], 0x3f800000
	v_mov_b32_e32 v20, s19
	v_mov_b32_e32 v19, s18
	s_movk_i32 s18, 0x4000
	ds_write_b64 v21, v[19:20] offset:17160
	v_add_u32_e64 v21, s18, 0
	s_waitcnt lgkmcnt(1)
	ds_write2_b64 v21, v[19:20], v[2:3] offset0:32 offset1:33
.LBB158_493:
	s_or_b64 exec, exec, s[6:7]
	s_movk_i32 s6, 0x3ff
	v_lshrrev_b32_e32 v21, 5, v9
	v_cmp_lt_u32_e64 s[20:21], s6, v9
	s_movk_i32 s6, 0x400
	v_and_b32_e32 v19, 31, v0
	v_sub_u32_e32 v20, 31, v21
	v_cmp_gt_u32_e64 s[18:19], s6, v9
	v_mov_b32_e32 v3, 0
	v_mov_b32_e32 v2, 0
	s_waitcnt lgkmcnt(0)
	s_barrier
	buffer_wbinvl1_vol
	s_and_saveexec_b64 s[6:7], s[18:19]
	s_cbranch_execz .LBB158_555
; %bb.494:
	v_lshlrev_b32_e32 v22, 3, v19
	v_lshlrev_b32_e32 v23, 9, v20
	ds_read_b64 v[2:3], v22 offset:16384
	ds_read_b64 v[24:25], v23 offset:16640
	s_movk_i32 s24, 0x3e0
	v_cmp_gt_u32_e64 s[24:25], s24, v9
	s_waitcnt lgkmcnt(0)
	v_mul_f32_e32 v26, v25, v3
	v_mul_f32_e32 v3, v24, v3
	v_fma_f32 v24, v24, v2, -v26
	v_fmac_f32_e32 v3, v25, v2
	v_add_f32_e32 v2, 0, v24
	v_add_f32_e32 v3, 0, v3
	s_and_saveexec_b64 s[96:97], s[24:25]
	s_cbranch_execz .LBB158_496
; %bb.495:
	ds_read_b64 v[24:25], v22 offset:16896
	ds_read_b64 v[26:27], v23 offset:16648
	s_waitcnt lgkmcnt(0)
	v_mul_f32_e32 v28, v27, v25
	v_mul_f32_e32 v25, v26, v25
	v_fma_f32 v26, v26, v24, -v28
	v_fmac_f32_e32 v25, v27, v24
	v_add_f32_e32 v2, v2, v26
	v_add_f32_e32 v3, v3, v25
.LBB158_496:
	s_or_b64 exec, exec, s[96:97]
	s_movk_i32 s24, 0x3c0
	v_cmp_gt_u32_e64 s[24:25], s24, v9
	s_and_saveexec_b64 s[96:97], s[24:25]
	s_cbranch_execz .LBB158_498
; %bb.497:
	ds_read_b64 v[24:25], v22 offset:17408
	ds_read_b64 v[26:27], v23 offset:16656
	s_waitcnt lgkmcnt(0)
	v_mul_f32_e32 v28, v27, v25
	v_mul_f32_e32 v25, v26, v25
	v_fma_f32 v26, v26, v24, -v28
	v_fmac_f32_e32 v25, v27, v24
	v_add_f32_e32 v2, v2, v26
	v_add_f32_e32 v3, v3, v25
.LBB158_498:
	s_or_b64 exec, exec, s[96:97]
	s_movk_i32 s24, 0x3a0
	v_cmp_gt_u32_e64 s[24:25], s24, v9
	s_and_saveexec_b64 s[96:97], s[24:25]
	s_cbranch_execz .LBB158_500
; %bb.499:
	ds_read_b64 v[24:25], v22 offset:17920
	ds_read_b64 v[26:27], v23 offset:16664
	s_waitcnt lgkmcnt(0)
	v_mul_f32_e32 v28, v27, v25
	v_mul_f32_e32 v25, v26, v25
	v_fma_f32 v26, v26, v24, -v28
	v_fmac_f32_e32 v25, v27, v24
	v_add_f32_e32 v2, v2, v26
	v_add_f32_e32 v3, v3, v25
.LBB158_500:
	s_or_b64 exec, exec, s[96:97]
	s_movk_i32 s24, 0x380
	v_cmp_gt_u32_e64 s[24:25], s24, v9
	s_and_saveexec_b64 s[96:97], s[24:25]
	s_cbranch_execz .LBB158_502
; %bb.501:
	ds_read_b64 v[24:25], v22 offset:18432
	ds_read_b64 v[26:27], v23 offset:16672
	s_waitcnt lgkmcnt(0)
	v_mul_f32_e32 v28, v27, v25
	v_mul_f32_e32 v25, v26, v25
	v_fma_f32 v26, v26, v24, -v28
	v_fmac_f32_e32 v25, v27, v24
	v_add_f32_e32 v2, v2, v26
	v_add_f32_e32 v3, v3, v25
.LBB158_502:
	s_or_b64 exec, exec, s[96:97]
	s_movk_i32 s24, 0x360
	v_cmp_gt_u32_e64 s[24:25], s24, v9
	s_and_saveexec_b64 s[96:97], s[24:25]
	s_cbranch_execz .LBB158_504
; %bb.503:
	ds_read_b64 v[24:25], v22 offset:18944
	ds_read_b64 v[26:27], v23 offset:16680
	s_waitcnt lgkmcnt(0)
	v_mul_f32_e32 v28, v27, v25
	v_mul_f32_e32 v25, v26, v25
	v_fma_f32 v26, v26, v24, -v28
	v_fmac_f32_e32 v25, v27, v24
	v_add_f32_e32 v2, v2, v26
	v_add_f32_e32 v3, v3, v25
.LBB158_504:
	s_or_b64 exec, exec, s[96:97]
	s_movk_i32 s24, 0x340
	v_cmp_gt_u32_e64 s[24:25], s24, v9
	s_and_saveexec_b64 s[96:97], s[24:25]
	s_cbranch_execz .LBB158_506
; %bb.505:
	ds_read_b64 v[24:25], v22 offset:19456
	ds_read_b64 v[26:27], v23 offset:16688
	s_waitcnt lgkmcnt(0)
	v_mul_f32_e32 v28, v27, v25
	v_mul_f32_e32 v25, v26, v25
	v_fma_f32 v26, v26, v24, -v28
	v_fmac_f32_e32 v25, v27, v24
	v_add_f32_e32 v2, v2, v26
	v_add_f32_e32 v3, v3, v25
.LBB158_506:
	s_or_b64 exec, exec, s[96:97]
	s_movk_i32 s24, 0x320
	v_cmp_gt_u32_e64 s[24:25], s24, v9
	s_and_saveexec_b64 s[96:97], s[24:25]
	s_cbranch_execz .LBB158_508
; %bb.507:
	ds_read_b64 v[24:25], v22 offset:19968
	ds_read_b64 v[26:27], v23 offset:16696
	s_waitcnt lgkmcnt(0)
	v_mul_f32_e32 v28, v27, v25
	v_mul_f32_e32 v25, v26, v25
	v_fma_f32 v26, v26, v24, -v28
	v_fmac_f32_e32 v25, v27, v24
	v_add_f32_e32 v2, v2, v26
	v_add_f32_e32 v3, v3, v25
.LBB158_508:
	s_or_b64 exec, exec, s[96:97]
	s_movk_i32 s24, 0x300
	v_cmp_gt_u32_e64 s[24:25], s24, v9
	s_and_saveexec_b64 s[96:97], s[24:25]
	s_cbranch_execz .LBB158_510
; %bb.509:
	ds_read_b64 v[24:25], v22 offset:20480
	ds_read_b64 v[26:27], v23 offset:16704
	s_waitcnt lgkmcnt(0)
	v_mul_f32_e32 v28, v27, v25
	v_mul_f32_e32 v25, v26, v25
	v_fma_f32 v26, v26, v24, -v28
	v_fmac_f32_e32 v25, v27, v24
	v_add_f32_e32 v2, v2, v26
	v_add_f32_e32 v3, v3, v25
.LBB158_510:
	s_or_b64 exec, exec, s[96:97]
	s_movk_i32 s24, 0x2e0
	v_cmp_gt_u32_e64 s[24:25], s24, v9
	s_and_saveexec_b64 s[96:97], s[24:25]
	s_cbranch_execz .LBB158_512
; %bb.511:
	ds_read_b64 v[24:25], v22 offset:20992
	ds_read_b64 v[26:27], v23 offset:16712
	s_waitcnt lgkmcnt(0)
	v_mul_f32_e32 v28, v27, v25
	v_mul_f32_e32 v25, v26, v25
	v_fma_f32 v26, v26, v24, -v28
	v_fmac_f32_e32 v25, v27, v24
	v_add_f32_e32 v2, v2, v26
	v_add_f32_e32 v3, v3, v25
.LBB158_512:
	s_or_b64 exec, exec, s[96:97]
	s_movk_i32 s24, 0x2c0
	v_cmp_gt_u32_e64 s[24:25], s24, v9
	s_and_saveexec_b64 s[96:97], s[24:25]
	s_cbranch_execz .LBB158_514
; %bb.513:
	ds_read_b64 v[24:25], v22 offset:21504
	ds_read_b64 v[26:27], v23 offset:16720
	s_waitcnt lgkmcnt(0)
	v_mul_f32_e32 v28, v27, v25
	v_mul_f32_e32 v25, v26, v25
	v_fma_f32 v26, v26, v24, -v28
	v_fmac_f32_e32 v25, v27, v24
	v_add_f32_e32 v2, v2, v26
	v_add_f32_e32 v3, v3, v25
.LBB158_514:
	s_or_b64 exec, exec, s[96:97]
	s_movk_i32 s24, 0x2a0
	v_cmp_gt_u32_e64 s[24:25], s24, v9
	s_and_saveexec_b64 s[96:97], s[24:25]
	s_cbranch_execz .LBB158_516
; %bb.515:
	ds_read_b64 v[24:25], v22 offset:22016
	ds_read_b64 v[26:27], v23 offset:16728
	s_waitcnt lgkmcnt(0)
	v_mul_f32_e32 v28, v27, v25
	v_mul_f32_e32 v25, v26, v25
	v_fma_f32 v26, v26, v24, -v28
	v_fmac_f32_e32 v25, v27, v24
	v_add_f32_e32 v2, v2, v26
	v_add_f32_e32 v3, v3, v25
.LBB158_516:
	s_or_b64 exec, exec, s[96:97]
	s_movk_i32 s24, 0x280
	v_cmp_gt_u32_e64 s[24:25], s24, v9
	s_and_saveexec_b64 s[96:97], s[24:25]
	s_cbranch_execz .LBB158_518
; %bb.517:
	ds_read_b64 v[24:25], v22 offset:22528
	ds_read_b64 v[26:27], v23 offset:16736
	s_waitcnt lgkmcnt(0)
	v_mul_f32_e32 v28, v27, v25
	v_mul_f32_e32 v25, v26, v25
	v_fma_f32 v26, v26, v24, -v28
	v_fmac_f32_e32 v25, v27, v24
	v_add_f32_e32 v2, v2, v26
	v_add_f32_e32 v3, v3, v25
.LBB158_518:
	s_or_b64 exec, exec, s[96:97]
	s_movk_i32 s24, 0x260
	v_cmp_gt_u32_e64 s[24:25], s24, v9
	s_and_saveexec_b64 s[96:97], s[24:25]
	s_cbranch_execz .LBB158_520
; %bb.519:
	ds_read_b64 v[24:25], v22 offset:23040
	ds_read_b64 v[26:27], v23 offset:16744
	s_waitcnt lgkmcnt(0)
	v_mul_f32_e32 v28, v27, v25
	v_mul_f32_e32 v25, v26, v25
	v_fma_f32 v26, v26, v24, -v28
	v_fmac_f32_e32 v25, v27, v24
	v_add_f32_e32 v2, v2, v26
	v_add_f32_e32 v3, v3, v25
.LBB158_520:
	s_or_b64 exec, exec, s[96:97]
	s_movk_i32 s24, 0x240
	v_cmp_gt_u32_e64 s[24:25], s24, v9
	s_and_saveexec_b64 s[96:97], s[24:25]
	s_cbranch_execz .LBB158_522
; %bb.521:
	ds_read_b64 v[24:25], v22 offset:23552
	ds_read_b64 v[26:27], v23 offset:16752
	s_waitcnt lgkmcnt(0)
	v_mul_f32_e32 v28, v27, v25
	v_mul_f32_e32 v25, v26, v25
	v_fma_f32 v26, v26, v24, -v28
	v_fmac_f32_e32 v25, v27, v24
	v_add_f32_e32 v2, v2, v26
	v_add_f32_e32 v3, v3, v25
.LBB158_522:
	s_or_b64 exec, exec, s[96:97]
	s_movk_i32 s24, 0x220
	v_cmp_gt_u32_e64 s[24:25], s24, v9
	s_and_saveexec_b64 s[96:97], s[24:25]
	s_cbranch_execz .LBB158_524
; %bb.523:
	ds_read_b64 v[24:25], v22 offset:24064
	ds_read_b64 v[26:27], v23 offset:16760
	s_waitcnt lgkmcnt(0)
	v_mul_f32_e32 v28, v27, v25
	v_mul_f32_e32 v25, v26, v25
	v_fma_f32 v26, v26, v24, -v28
	v_fmac_f32_e32 v25, v27, v24
	v_add_f32_e32 v2, v2, v26
	v_add_f32_e32 v3, v3, v25
.LBB158_524:
	s_or_b64 exec, exec, s[96:97]
	s_movk_i32 s24, 0x200
	v_cmp_gt_u32_e64 s[24:25], s24, v9
	s_and_saveexec_b64 s[96:97], s[24:25]
	s_cbranch_execz .LBB158_526
; %bb.525:
	ds_read_b64 v[24:25], v22 offset:24576
	ds_read_b64 v[26:27], v23 offset:16768
	s_waitcnt lgkmcnt(0)
	v_mul_f32_e32 v28, v27, v25
	v_mul_f32_e32 v25, v26, v25
	v_fma_f32 v26, v26, v24, -v28
	v_fmac_f32_e32 v25, v27, v24
	v_add_f32_e32 v2, v2, v26
	v_add_f32_e32 v3, v3, v25
.LBB158_526:
	s_or_b64 exec, exec, s[96:97]
	s_movk_i32 s24, 0x1e0
	v_cmp_gt_u32_e64 s[24:25], s24, v9
	s_and_saveexec_b64 s[96:97], s[24:25]
	s_cbranch_execz .LBB158_528
; %bb.527:
	ds_read_b64 v[24:25], v22 offset:25088
	ds_read_b64 v[26:27], v23 offset:16776
	s_waitcnt lgkmcnt(0)
	v_mul_f32_e32 v28, v27, v25
	v_mul_f32_e32 v25, v26, v25
	v_fma_f32 v26, v26, v24, -v28
	v_fmac_f32_e32 v25, v27, v24
	v_add_f32_e32 v2, v2, v26
	v_add_f32_e32 v3, v3, v25
.LBB158_528:
	s_or_b64 exec, exec, s[96:97]
	s_movk_i32 s24, 0x1c0
	v_cmp_gt_u32_e64 s[24:25], s24, v9
	s_and_saveexec_b64 s[96:97], s[24:25]
	s_cbranch_execz .LBB158_530
; %bb.529:
	ds_read_b64 v[24:25], v22 offset:25600
	ds_read_b64 v[26:27], v23 offset:16784
	s_waitcnt lgkmcnt(0)
	v_mul_f32_e32 v28, v27, v25
	v_mul_f32_e32 v25, v26, v25
	v_fma_f32 v26, v26, v24, -v28
	v_fmac_f32_e32 v25, v27, v24
	v_add_f32_e32 v2, v2, v26
	v_add_f32_e32 v3, v3, v25
.LBB158_530:
	s_or_b64 exec, exec, s[96:97]
	s_movk_i32 s24, 0x1a0
	v_cmp_gt_u32_e64 s[24:25], s24, v9
	s_and_saveexec_b64 s[96:97], s[24:25]
	s_cbranch_execz .LBB158_532
; %bb.531:
	ds_read_b64 v[24:25], v22 offset:26112
	ds_read_b64 v[26:27], v23 offset:16792
	s_waitcnt lgkmcnt(0)
	v_mul_f32_e32 v28, v27, v25
	v_mul_f32_e32 v25, v26, v25
	v_fma_f32 v26, v26, v24, -v28
	v_fmac_f32_e32 v25, v27, v24
	v_add_f32_e32 v2, v2, v26
	v_add_f32_e32 v3, v3, v25
.LBB158_532:
	s_or_b64 exec, exec, s[96:97]
	s_movk_i32 s24, 0x180
	v_cmp_gt_u32_e64 s[24:25], s24, v9
	s_and_saveexec_b64 s[96:97], s[24:25]
	s_cbranch_execz .LBB158_534
; %bb.533:
	ds_read_b64 v[24:25], v22 offset:26624
	ds_read_b64 v[26:27], v23 offset:16800
	s_waitcnt lgkmcnt(0)
	v_mul_f32_e32 v28, v27, v25
	v_mul_f32_e32 v25, v26, v25
	v_fma_f32 v26, v26, v24, -v28
	v_fmac_f32_e32 v25, v27, v24
	v_add_f32_e32 v2, v2, v26
	v_add_f32_e32 v3, v3, v25
.LBB158_534:
	s_or_b64 exec, exec, s[96:97]
	s_movk_i32 s24, 0x160
	v_cmp_gt_u32_e64 s[24:25], s24, v9
	s_and_saveexec_b64 s[96:97], s[24:25]
	s_cbranch_execz .LBB158_536
; %bb.535:
	ds_read_b64 v[24:25], v22 offset:27136
	ds_read_b64 v[26:27], v23 offset:16808
	s_waitcnt lgkmcnt(0)
	v_mul_f32_e32 v28, v27, v25
	v_mul_f32_e32 v25, v26, v25
	v_fma_f32 v26, v26, v24, -v28
	v_fmac_f32_e32 v25, v27, v24
	v_add_f32_e32 v2, v2, v26
	v_add_f32_e32 v3, v3, v25
.LBB158_536:
	s_or_b64 exec, exec, s[96:97]
	s_movk_i32 s24, 0x140
	v_cmp_gt_u32_e64 s[24:25], s24, v9
	s_and_saveexec_b64 s[96:97], s[24:25]
	s_cbranch_execz .LBB158_538
; %bb.537:
	ds_read_b64 v[24:25], v22 offset:27648
	ds_read_b64 v[26:27], v23 offset:16816
	s_waitcnt lgkmcnt(0)
	v_mul_f32_e32 v28, v27, v25
	v_mul_f32_e32 v25, v26, v25
	v_fma_f32 v26, v26, v24, -v28
	v_fmac_f32_e32 v25, v27, v24
	v_add_f32_e32 v2, v2, v26
	v_add_f32_e32 v3, v3, v25
.LBB158_538:
	s_or_b64 exec, exec, s[96:97]
	s_movk_i32 s24, 0x120
	v_cmp_gt_u32_e64 s[24:25], s24, v9
	s_and_saveexec_b64 s[96:97], s[24:25]
	s_cbranch_execz .LBB158_540
; %bb.539:
	ds_read_b64 v[24:25], v22 offset:28160
	ds_read_b64 v[26:27], v23 offset:16824
	s_waitcnt lgkmcnt(0)
	v_mul_f32_e32 v28, v27, v25
	v_mul_f32_e32 v25, v26, v25
	v_fma_f32 v26, v26, v24, -v28
	v_fmac_f32_e32 v25, v27, v24
	v_add_f32_e32 v2, v2, v26
	v_add_f32_e32 v3, v3, v25
.LBB158_540:
	s_or_b64 exec, exec, s[96:97]
	s_and_saveexec_b64 s[24:25], s[14:15]
	s_cbranch_execz .LBB158_542
; %bb.541:
	ds_read_b64 v[24:25], v22 offset:28672
	ds_read_b64 v[26:27], v23 offset:16832
	s_waitcnt lgkmcnt(0)
	v_mul_f32_e32 v28, v27, v25
	v_mul_f32_e32 v25, v26, v25
	v_fma_f32 v26, v26, v24, -v28
	v_fmac_f32_e32 v25, v27, v24
	v_add_f32_e32 v2, v2, v26
	v_add_f32_e32 v3, v3, v25
.LBB158_542:
	s_or_b64 exec, exec, s[24:25]
	s_movk_i32 s24, 0xe0
	v_cmp_gt_u32_e64 s[24:25], s24, v9
	s_and_saveexec_b64 s[96:97], s[24:25]
	s_cbranch_execz .LBB158_544
; %bb.543:
	ds_read_b64 v[24:25], v22 offset:29184
	ds_read_b64 v[26:27], v23 offset:16840
	s_waitcnt lgkmcnt(0)
	v_mul_f32_e32 v28, v27, v25
	v_mul_f32_e32 v25, v26, v25
	v_fma_f32 v26, v26, v24, -v28
	v_fmac_f32_e32 v25, v27, v24
	v_add_f32_e32 v2, v2, v26
	v_add_f32_e32 v3, v3, v25
.LBB158_544:
	s_or_b64 exec, exec, s[96:97]
	s_movk_i32 s24, 0xc0
	v_cmp_gt_u32_e64 s[24:25], s24, v9
	;; [unrolled: 16-line block ×5, first 2 shown]
	s_and_saveexec_b64 s[96:97], s[24:25]
	s_cbranch_execnz .LBB158_1076
; %bb.551:
	s_or_b64 exec, exec, s[96:97]
	s_and_saveexec_b64 s[24:25], s[12:13]
	s_cbranch_execnz .LBB158_1077
.LBB158_552:
	s_or_b64 exec, exec, s[24:25]
	v_cmp_gt_u32_e64 s[24:25], 32, v9
	s_and_saveexec_b64 s[96:97], s[24:25]
	s_cbranch_execz .LBB158_554
.LBB158_553:
	ds_read_b64 v[24:25], v22 offset:32256
	ds_read_b64 v[22:23], v23 offset:16888
	s_waitcnt lgkmcnt(0)
	v_mul_f32_e32 v26, v23, v25
	v_mul_f32_e32 v25, v22, v25
	v_fma_f32 v22, v22, v24, -v26
	v_fmac_f32_e32 v25, v23, v24
	v_add_f32_e32 v2, v2, v22
	v_add_f32_e32 v3, v3, v25
.LBB158_554:
	s_or_b64 exec, exec, s[96:97]
.LBB158_555:
	s_or_b64 exec, exec, s[6:7]
	v_mov_b32_e32 v22, 0x8000
	v_lshl_add_u32 v21, v21, 3, v22
	v_mov_b32_e32 v22, 0x3c00
	v_lshl_or_b32 v22, v19, 3, v22
	s_mov_b32 s24, 31
	v_subrev_u32_e32 v23, 31, v19
	s_xor_b64 s[6:7], s[20:21], -1
	s_branch .LBB158_557
.LBB158_556:                            ;   in Loop: Header=BB158_557 Depth=1
	s_or_b64 exec, exec, s[20:21]
	s_add_i32 s24, s24, -2
	v_add_u32_e32 v22, 0xfffffc00, v22
	s_cmp_eq_u32 s25, 0
	v_add_u32_e32 v23, 2, v23
	s_barrier
	s_cbranch_scc1 .LBB158_565
.LBB158_557:                            ; =>This Inner Loop Header: Depth=1
	v_cmp_eq_u32_e64 s[20:21], 0, v23
	s_and_b64 s[96:97], s[6:7], s[20:21]
	s_and_saveexec_b64 s[20:21], s[96:97]
; %bb.558:                              ;   in Loop: Header=BB158_557 Depth=1
	v_xor_b32_e32 v25, 0x80000000, v3
	v_xor_b32_e32 v24, 0x80000000, v2
	ds_write_b64 v21, v[24:25]
; %bb.559:                              ;   in Loop: Header=BB158_557 Depth=1
	s_or_b64 exec, exec, s[20:21]
	v_cmp_gt_u32_e64 s[20:21], s24, v19
	s_and_b64 s[96:97], s[6:7], s[20:21]
	s_waitcnt lgkmcnt(0)
	s_barrier
	s_and_saveexec_b64 s[20:21], s[96:97]
	s_cbranch_execz .LBB158_561
; %bb.560:                              ;   in Loop: Header=BB158_557 Depth=1
	ds_read_b64 v[24:25], v22 offset:512
	ds_read_b64 v[26:27], v21
	s_waitcnt lgkmcnt(0)
	v_mul_f32_e32 v28, v27, v25
	v_mul_f32_e32 v25, v26, v25
	v_fma_f32 v26, v26, v24, -v28
	v_fmac_f32_e32 v25, v27, v24
	v_sub_f32_e32 v2, v2, v26
	v_sub_f32_e32 v3, v3, v25
.LBB158_561:                            ;   in Loop: Header=BB158_557 Depth=1
	s_or_b64 exec, exec, s[20:21]
	s_add_i32 s25, s24, -1
	v_cmp_eq_u32_e64 s[20:21], s25, v19
	s_and_b64 s[96:97], s[6:7], s[20:21]
	s_barrier
	s_and_saveexec_b64 s[20:21], s[96:97]
; %bb.562:                              ;   in Loop: Header=BB158_557 Depth=1
	v_xor_b32_e32 v25, 0x80000000, v3
	v_xor_b32_e32 v24, 0x80000000, v2
	ds_write_b64 v21, v[24:25]
; %bb.563:                              ;   in Loop: Header=BB158_557 Depth=1
	s_or_b64 exec, exec, s[20:21]
	v_cmp_gt_u32_e64 s[20:21], s25, v19
	s_and_b64 s[96:97], s[6:7], s[20:21]
	s_waitcnt lgkmcnt(0)
	s_barrier
	s_and_saveexec_b64 s[20:21], s[96:97]
	s_cbranch_execz .LBB158_556
; %bb.564:                              ;   in Loop: Header=BB158_557 Depth=1
	ds_read_b64 v[24:25], v22
	ds_read_b64 v[26:27], v21
	s_waitcnt lgkmcnt(0)
	v_mul_f32_e32 v28, v27, v25
	v_mul_f32_e32 v25, v26, v25
	v_fma_f32 v26, v26, v24, -v28
	v_fmac_f32_e32 v25, v27, v24
	v_sub_f32_e32 v2, v2, v26
	v_sub_f32_e32 v3, v3, v25
	s_branch .LBB158_556
.LBB158_565:
	s_and_saveexec_b64 s[6:7], s[18:19]
; %bb.566:
	v_lshlrev_b32_e32 v19, 3, v19
	v_lshl_or_b32 v19, v20, 9, v19
	ds_write_b64 v19, v[2:3] offset:16384
; %bb.567:
	s_or_b64 exec, exec, s[6:7]
	v_cmp_gt_u32_e64 s[18:19], 32, v0
	s_and_b64 s[16:17], s[16:17], s[18:19]
	s_waitcnt lgkmcnt(0)
	s_barrier
	s_barrier
	s_and_saveexec_b64 s[6:7], s[16:17]
	s_cbranch_execz .LBB158_569
; %bb.568:
	v_lshlrev_b32_e32 v19, 9, v0
	ds_read_b64 v[2:3], v19 offset:16384
	s_movk_i32 s16, 0xfe08
	v_mad_i32_i24 v20, v0, s16, v19
	s_waitcnt lgkmcnt(0)
	ds_write_b64 v20, v[2:3] offset:256
	ds_read_b64 v[2:3], v19 offset:16392
	s_waitcnt lgkmcnt(0)
	ds_write_b64 v20, v[2:3] offset:768
	ds_read_b64 v[2:3], v19 offset:16400
	;; [unrolled: 3-line block ×31, first 2 shown]
	s_waitcnt lgkmcnt(0)
	ds_write_b64 v20, v[2:3] offset:16128
.LBB158_569:
	s_or_b64 exec, exec, s[6:7]
	s_waitcnt lgkmcnt(0)
	s_barrier
	s_and_saveexec_b64 s[6:7], vcc
	s_cbranch_execz .LBB158_571
; %bb.570:
	v_mov_b32_e32 v21, 0
	ds_read_b64 v[2:3], v21 offset:16112
	s_mov_b64 s[16:17], 0x3f800000
	v_mov_b32_e32 v20, s17
	v_mov_b32_e32 v19, s16
	s_movk_i32 s16, 0x3800
	ds_write_b64 v21, v[19:20] offset:16120
	v_add_u32_e64 v21, s16, 0
	s_waitcnt lgkmcnt(1)
	ds_write2_b64 v21, v[19:20], v[2:3] offset0:158 offset1:159
.LBB158_571:
	s_or_b64 exec, exec, s[6:7]
	v_mov_b32_e32 v2, 0
	v_mov_b32_e32 v3, 0
	s_waitcnt lgkmcnt(0)
	s_barrier
	buffer_wbinvl1_vol
	s_and_saveexec_b64 s[6:7], s[22:23]
	s_cbranch_execz .LBB158_575
; %bb.572:
	v_lshlrev_b32_e32 v2, 3, v4
	v_lshlrev_b32_e32 v19, 9, v5
	ds_read_b64 v[2:3], v2 offset:15584
	ds_read_b64 v[19:20], v19 offset:15600
	v_cmp_gt_u32_e64 s[16:17], 2, v9
	s_waitcnt lgkmcnt(0)
	v_mul_f32_e32 v21, v20, v3
	v_mul_f32_e32 v3, v19, v3
	v_fma_f32 v19, v19, v2, -v21
	v_fmac_f32_e32 v3, v20, v2
	v_add_f32_e32 v2, 0, v19
	v_add_f32_e32 v3, 0, v3
	s_and_saveexec_b64 s[18:19], s[16:17]
	s_cbranch_execz .LBB158_574
; %bb.573:
	v_lshlrev_b32_e32 v19, 3, v0
	v_mov_b32_e32 v21, 0
	ds_read_b64 v[19:20], v19 offset:16096
	ds_read_b64 v[21:22], v21 offset:16120
	s_waitcnt lgkmcnt(0)
	v_mul_f32_e32 v23, v22, v20
	v_mul_f32_e32 v20, v21, v20
	v_fma_f32 v21, v21, v19, -v23
	v_fmac_f32_e32 v20, v22, v19
	v_add_f32_e32 v2, v2, v21
	v_add_f32_e32 v3, v3, v20
.LBB158_574:
	s_or_b64 exec, exec, s[18:19]
.LBB158_575:
	s_or_b64 exec, exec, s[6:7]
	s_and_saveexec_b64 s[6:7], s[42:43]
; %bb.576:
	v_xor_b32_e32 v20, 0x80000000, v3
	v_xor_b32_e32 v19, 0x80000000, v2
	ds_write_b64 v7, v[19:20]
; %bb.577:
	s_or_b64 exec, exec, s[6:7]
	s_waitcnt lgkmcnt(0)
	s_barrier
	s_and_saveexec_b64 s[6:7], s[40:41]
	s_cbranch_execz .LBB158_579
; %bb.578:
	v_mov_b32_e32 v19, 0
	ds_read_b64 v[19:20], v19 offset:15072
	ds_read_b64 v[21:22], v7
	s_waitcnt lgkmcnt(0)
	v_mul_f32_e32 v23, v21, v19
	v_mul_f32_e32 v21, v21, v20
	v_fmac_f32_e32 v21, v22, v19
	v_fma_f32 v19, v22, v20, -v23
	v_add_f32_e32 v2, v2, v19
	v_sub_f32_e32 v3, v3, v21
.LBB158_579:
	s_or_b64 exec, exec, s[6:7]
	s_barrier
	s_and_saveexec_b64 s[6:7], s[40:41]
; %bb.580:
	v_xor_b32_e32 v20, 0x80000000, v3
	v_xor_b32_e32 v19, 0x80000000, v2
	ds_write_b64 v7, v[19:20]
; %bb.581:
	s_or_b64 exec, exec, s[6:7]
	s_waitcnt lgkmcnt(0)
	s_barrier
	s_barrier
	s_and_saveexec_b64 s[6:7], s[22:23]
; %bb.582:
	v_lshlrev_b32_e32 v19, 3, v4
	v_lshl_or_b32 v19, v5, 9, v19
	ds_write_b64 v19, v[2:3] offset:15584
; %bb.583:
	s_or_b64 exec, exec, s[6:7]
	s_waitcnt lgkmcnt(0)
	s_barrier
	s_barrier
	s_and_saveexec_b64 s[6:7], s[44:45]
	s_cbranch_execz .LBB158_585
; %bb.584:
	v_lshlrev_b32_e32 v19, 3, v0
	s_movk_i32 s16, 0x1f8
	v_mad_u32_u24 v20, v0, s16, v19
	ds_read_b64 v[2:3], v20 offset:15584
	s_waitcnt lgkmcnt(0)
	ds_write_b64 v19, v[2:3] offset:14576
	ds_read_b64 v[2:3], v20 offset:15592
	s_waitcnt lgkmcnt(0)
	ds_write_b64 v19, v[2:3] offset:15088
.LBB158_585:
	s_or_b64 exec, exec, s[6:7]
	s_waitcnt lgkmcnt(0)
	s_barrier
	s_and_saveexec_b64 s[6:7], vcc
	s_cbranch_execz .LBB158_587
; %bb.586:
	v_mov_b32_e32 v21, 0
	ds_read_b64 v[2:3], v21 offset:15072
	s_mov_b64 s[16:17], 0x3f800000
	v_mov_b32_e32 v20, s17
	v_mov_b32_e32 v19, s16
	s_movk_i32 s16, 0x3800
	ds_write_b64 v21, v[19:20] offset:15080
	v_add_u32_e64 v21, s16, 0
	s_waitcnt lgkmcnt(1)
	ds_write2_b64 v21, v[19:20], v[2:3] offset0:28 offset1:29
.LBB158_587:
	s_or_b64 exec, exec, s[6:7]
	v_mov_b32_e32 v3, 0
	v_mov_b32_e32 v2, 0
	s_waitcnt lgkmcnt(0)
	s_barrier
	buffer_wbinvl1_vol
	s_and_saveexec_b64 s[6:7], s[10:11]
	s_cbranch_execz .LBB158_593
; %bb.588:
	v_lshlrev_b32_e32 v19, 3, v10
	v_lshlrev_b32_e32 v20, 9, v11
	ds_read_b64 v[2:3], v19 offset:14528
	ds_read_b64 v[21:22], v20 offset:14560
	v_cmp_gt_u32_e64 s[16:17], 12, v9
	s_waitcnt lgkmcnt(0)
	v_mul_f32_e32 v23, v22, v3
	v_mul_f32_e32 v3, v21, v3
	v_fma_f32 v21, v21, v2, -v23
	v_fmac_f32_e32 v3, v22, v2
	v_add_f32_e32 v2, 0, v21
	v_add_f32_e32 v3, 0, v3
	s_and_saveexec_b64 s[18:19], s[16:17]
	s_cbranch_execnz .LBB158_1078
; %bb.589:
	s_or_b64 exec, exec, s[18:19]
	v_cmp_gt_u32_e64 s[16:17], 8, v9
	s_and_saveexec_b64 s[18:19], s[16:17]
	s_cbranch_execnz .LBB158_1079
.LBB158_590:
	s_or_b64 exec, exec, s[18:19]
	v_cmp_gt_u32_e64 s[16:17], 4, v9
	s_and_saveexec_b64 s[18:19], s[16:17]
	s_cbranch_execz .LBB158_592
.LBB158_591:
	v_lshlrev_b32_e32 v19, 3, v0
	v_mov_b32_e32 v21, 0
	ds_read_b64 v[19:20], v19 offset:16064
	ds_read_b64 v[21:22], v21 offset:16120
	s_waitcnt lgkmcnt(0)
	v_mul_f32_e32 v23, v22, v20
	v_mul_f32_e32 v20, v21, v20
	v_fma_f32 v21, v21, v19, -v23
	v_fmac_f32_e32 v20, v22, v19
	v_add_f32_e32 v2, v2, v21
	v_add_f32_e32 v3, v3, v20
.LBB158_592:
	s_or_b64 exec, exec, s[18:19]
.LBB158_593:
	s_or_b64 exec, exec, s[6:7]
	s_and_saveexec_b64 s[6:7], s[48:49]
; %bb.594:
	v_xor_b32_e32 v19, 0x80000000, v2
	v_xor_b32_e32 v20, 0x80000000, v3
	ds_write_b64 v12, v[19:20]
; %bb.595:
	s_or_b64 exec, exec, s[6:7]
	s_waitcnt lgkmcnt(0)
	s_barrier
	s_and_saveexec_b64 s[6:7], s[50:51]
	s_cbranch_execz .LBB158_597
; %bb.596:
	v_lshlrev_b32_e32 v19, 3, v10
	ds_read_b64 v[19:20], v19 offset:14016
	ds_read_b64 v[21:22], v12
	s_waitcnt lgkmcnt(0)
	v_mul_f32_e32 v23, v22, v20
	v_mul_f32_e32 v20, v21, v20
	v_fma_f32 v21, v21, v19, -v23
	v_fmac_f32_e32 v20, v22, v19
	v_sub_f32_e32 v2, v2, v21
	v_sub_f32_e32 v3, v3, v20
.LBB158_597:
	s_or_b64 exec, exec, s[6:7]
	s_barrier
	s_and_saveexec_b64 s[6:7], s[52:53]
; %bb.598:
	v_xor_b32_e32 v19, 0x80000000, v2
	v_xor_b32_e32 v20, 0x80000000, v3
	ds_write_b64 v12, v[19:20]
; %bb.599:
	s_or_b64 exec, exec, s[6:7]
	s_waitcnt lgkmcnt(0)
	s_barrier
	s_and_saveexec_b64 s[6:7], s[54:55]
	s_cbranch_execz .LBB158_601
; %bb.600:
	v_lshlrev_b32_e32 v19, 3, v10
	ds_read_b64 v[19:20], v19 offset:13504
	ds_read_b64 v[21:22], v12
	s_waitcnt lgkmcnt(0)
	v_mul_f32_e32 v23, v22, v20
	v_mul_f32_e32 v20, v21, v20
	v_fma_f32 v21, v21, v19, -v23
	v_fmac_f32_e32 v20, v22, v19
	v_sub_f32_e32 v2, v2, v21
	v_sub_f32_e32 v3, v3, v20
.LBB158_601:
	s_or_b64 exec, exec, s[6:7]
	s_barrier
	s_and_saveexec_b64 s[6:7], s[56:57]
; %bb.602:
	v_xor_b32_e32 v19, 0x80000000, v2
	v_xor_b32_e32 v20, 0x80000000, v3
	ds_write_b64 v12, v[19:20]
; %bb.603:
	s_or_b64 exec, exec, s[6:7]
	s_waitcnt lgkmcnt(0)
	s_barrier
	s_and_saveexec_b64 s[6:7], s[46:47]
	s_cbranch_execz .LBB158_605
; %bb.604:
	v_mov_b32_e32 v19, 0
	ds_read_b64 v[19:20], v19 offset:12992
	ds_read_b64 v[21:22], v12
	s_waitcnt lgkmcnt(0)
	v_mul_f32_e32 v23, v22, v20
	v_mul_f32_e32 v20, v21, v20
	v_fma_f32 v21, v21, v19, -v23
	v_fmac_f32_e32 v20, v22, v19
	v_sub_f32_e32 v2, v2, v21
	v_sub_f32_e32 v3, v3, v20
.LBB158_605:
	s_or_b64 exec, exec, s[6:7]
	s_barrier
	s_and_saveexec_b64 s[6:7], s[46:47]
; %bb.606:
	v_xor_b32_e32 v19, 0x80000000, v2
	v_xor_b32_e32 v20, 0x80000000, v3
	ds_write_b64 v12, v[19:20]
; %bb.607:
	s_or_b64 exec, exec, s[6:7]
	s_waitcnt lgkmcnt(0)
	s_barrier
	s_barrier
	s_and_saveexec_b64 s[6:7], s[10:11]
; %bb.608:
	v_lshlrev_b32_e32 v19, 3, v10
	v_lshl_or_b32 v19, v11, 9, v19
	ds_write_b64 v19, v[2:3] offset:14528
; %bb.609:
	s_or_b64 exec, exec, s[6:7]
	s_waitcnt lgkmcnt(0)
	s_barrier
	s_barrier
	s_and_saveexec_b64 s[6:7], s[58:59]
	s_cbranch_execz .LBB158_611
; %bb.610:
	v_lshlrev_b32_e32 v19, 9, v0
	ds_read_b64 v[2:3], v19 offset:14528
	s_movk_i32 s16, 0xfe08
	v_mad_i32_i24 v20, v0, s16, v19
	s_waitcnt lgkmcnt(0)
	ds_write_b64 v20, v[2:3] offset:12512
	ds_read_b64 v[2:3], v19 offset:14536
	s_waitcnt lgkmcnt(0)
	ds_write_b64 v20, v[2:3] offset:13024
	ds_read_b64 v[2:3], v19 offset:14544
	;; [unrolled: 3-line block ×3, first 2 shown]
	s_waitcnt lgkmcnt(0)
	ds_write_b64 v20, v[2:3] offset:14048
.LBB158_611:
	s_or_b64 exec, exec, s[6:7]
	s_waitcnt lgkmcnt(0)
	s_barrier
	s_and_saveexec_b64 s[6:7], vcc
	s_cbranch_execz .LBB158_613
; %bb.612:
	v_mov_b32_e32 v21, 0
	ds_read_b64 v[2:3], v21 offset:14032
	s_mov_b64 s[16:17], 0x3f800000
	v_mov_b32_e32 v20, s17
	v_mov_b32_e32 v19, s16
	s_movk_i32 s16, 0x3000
	ds_write_b64 v21, v[19:20] offset:14040
	v_add_u32_e64 v21, s16, 0
	s_waitcnt lgkmcnt(1)
	ds_write2_b64 v21, v[19:20], v[2:3] offset0:154 offset1:155
.LBB158_613:
	s_or_b64 exec, exec, s[6:7]
	v_mov_b32_e32 v2, 0
	v_mov_b32_e32 v3, 0
	s_waitcnt lgkmcnt(0)
	s_barrier
	buffer_wbinvl1_vol
	s_and_saveexec_b64 s[6:7], s[22:23]
	s_cbranch_execz .LBB158_617
; %bb.614:
	v_lshlrev_b32_e32 v2, 3, v4
	v_lshlrev_b32_e32 v19, 9, v5
	ds_read_b64 v[2:3], v2 offset:13504
	ds_read_b64 v[19:20], v19 offset:13520
	v_cmp_gt_u32_e64 s[16:17], 2, v9
	s_waitcnt lgkmcnt(0)
	v_mul_f32_e32 v21, v20, v3
	v_mul_f32_e32 v3, v19, v3
	v_fma_f32 v19, v19, v2, -v21
	v_fmac_f32_e32 v3, v20, v2
	v_add_f32_e32 v2, 0, v19
	v_add_f32_e32 v3, 0, v3
	s_and_saveexec_b64 s[18:19], s[16:17]
	s_cbranch_execz .LBB158_616
; %bb.615:
	v_lshlrev_b32_e32 v19, 3, v0
	v_mov_b32_e32 v21, 0
	ds_read_b64 v[19:20], v19 offset:14016
	ds_read_b64 v[21:22], v21 offset:14040
	s_waitcnt lgkmcnt(0)
	v_mul_f32_e32 v23, v22, v20
	v_mul_f32_e32 v20, v21, v20
	v_fma_f32 v21, v21, v19, -v23
	v_fmac_f32_e32 v20, v22, v19
	v_add_f32_e32 v2, v2, v21
	v_add_f32_e32 v3, v3, v20
.LBB158_616:
	s_or_b64 exec, exec, s[18:19]
.LBB158_617:
	s_or_b64 exec, exec, s[6:7]
	s_and_saveexec_b64 s[6:7], s[42:43]
; %bb.618:
	v_xor_b32_e32 v20, 0x80000000, v3
	v_xor_b32_e32 v19, 0x80000000, v2
	ds_write_b64 v7, v[19:20]
; %bb.619:
	s_or_b64 exec, exec, s[6:7]
	s_waitcnt lgkmcnt(0)
	s_barrier
	s_and_saveexec_b64 s[6:7], s[40:41]
	s_cbranch_execz .LBB158_621
; %bb.620:
	v_mov_b32_e32 v19, 0
	ds_read_b64 v[19:20], v19 offset:12992
	ds_read_b64 v[21:22], v7
	s_waitcnt lgkmcnt(0)
	v_mul_f32_e32 v23, v21, v19
	v_mul_f32_e32 v21, v21, v20
	v_fmac_f32_e32 v21, v22, v19
	v_fma_f32 v19, v22, v20, -v23
	v_add_f32_e32 v2, v2, v19
	v_sub_f32_e32 v3, v3, v21
.LBB158_621:
	s_or_b64 exec, exec, s[6:7]
	s_barrier
	s_and_saveexec_b64 s[6:7], s[40:41]
; %bb.622:
	v_xor_b32_e32 v20, 0x80000000, v3
	v_xor_b32_e32 v19, 0x80000000, v2
	ds_write_b64 v7, v[19:20]
; %bb.623:
	s_or_b64 exec, exec, s[6:7]
	s_waitcnt lgkmcnt(0)
	s_barrier
	s_barrier
	s_and_saveexec_b64 s[6:7], s[22:23]
; %bb.624:
	v_lshlrev_b32_e32 v19, 3, v4
	v_lshl_or_b32 v19, v5, 9, v19
	ds_write_b64 v19, v[2:3] offset:13504
; %bb.625:
	s_or_b64 exec, exec, s[6:7]
	s_waitcnt lgkmcnt(0)
	s_barrier
	s_barrier
	s_and_saveexec_b64 s[6:7], s[44:45]
	s_cbranch_execz .LBB158_627
; %bb.626:
	v_lshlrev_b32_e32 v19, 3, v0
	s_movk_i32 s16, 0x1f8
	v_mad_u32_u24 v20, v0, s16, v19
	ds_read_b64 v[2:3], v20 offset:13504
	s_waitcnt lgkmcnt(0)
	ds_write_b64 v19, v[2:3] offset:12496
	ds_read_b64 v[2:3], v20 offset:13512
	s_waitcnt lgkmcnt(0)
	ds_write_b64 v19, v[2:3] offset:13008
.LBB158_627:
	s_or_b64 exec, exec, s[6:7]
	s_waitcnt lgkmcnt(0)
	s_barrier
	s_and_saveexec_b64 s[6:7], vcc
	s_cbranch_execz .LBB158_629
; %bb.628:
	v_mov_b32_e32 v21, 0
	ds_read_b64 v[2:3], v21 offset:12992
	s_mov_b64 s[16:17], 0x3f800000
	v_mov_b32_e32 v20, s17
	v_mov_b32_e32 v19, s16
	s_movk_i32 s16, 0x3000
	ds_write_b64 v21, v[19:20] offset:13000
	v_add_u32_e64 v21, s16, 0
	s_waitcnt lgkmcnt(1)
	ds_write2_b64 v21, v[19:20], v[2:3] offset0:24 offset1:25
.LBB158_629:
	s_or_b64 exec, exec, s[6:7]
	v_mov_b32_e32 v3, 0
	v_mov_b32_e32 v2, 0
	s_waitcnt lgkmcnt(0)
	s_barrier
	buffer_wbinvl1_vol
	s_and_saveexec_b64 s[6:7], s[12:13]
	s_cbranch_execz .LBB158_639
; %bb.630:
	v_lshlrev_b32_e32 v19, 3, v13
	v_lshlrev_b32_e32 v20, 9, v14
	ds_read_b64 v[2:3], v19 offset:12416
	ds_read_b64 v[21:22], v20 offset:12480
	v_cmp_gt_u32_e64 s[16:17], 56, v9
	s_waitcnt lgkmcnt(0)
	v_mul_f32_e32 v23, v22, v3
	v_mul_f32_e32 v3, v21, v3
	v_fma_f32 v21, v21, v2, -v23
	v_fmac_f32_e32 v3, v22, v2
	v_add_f32_e32 v2, 0, v21
	v_add_f32_e32 v3, 0, v3
	s_and_saveexec_b64 s[18:19], s[16:17]
	s_cbranch_execnz .LBB158_1080
; %bb.631:
	s_or_b64 exec, exec, s[18:19]
	v_cmp_gt_u32_e64 s[16:17], 48, v9
	s_and_saveexec_b64 s[18:19], s[16:17]
	s_cbranch_execnz .LBB158_1081
.LBB158_632:
	s_or_b64 exec, exec, s[18:19]
	v_cmp_gt_u32_e64 s[16:17], 40, v9
	s_and_saveexec_b64 s[18:19], s[16:17]
	s_cbranch_execnz .LBB158_1082
.LBB158_633:
	s_or_b64 exec, exec, s[18:19]
	v_cmp_gt_u32_e64 s[16:17], 32, v9
	s_and_saveexec_b64 s[18:19], s[16:17]
	s_cbranch_execnz .LBB158_1083
.LBB158_634:
	s_or_b64 exec, exec, s[18:19]
	v_cmp_gt_u32_e64 s[16:17], 24, v9
	s_and_saveexec_b64 s[18:19], s[16:17]
	s_cbranch_execnz .LBB158_1084
.LBB158_635:
	s_or_b64 exec, exec, s[18:19]
	s_and_saveexec_b64 s[16:17], s[10:11]
	s_cbranch_execnz .LBB158_1085
.LBB158_636:
	s_or_b64 exec, exec, s[16:17]
	v_cmp_gt_u32_e64 s[16:17], 8, v9
	s_and_saveexec_b64 s[18:19], s[16:17]
	s_cbranch_execz .LBB158_638
.LBB158_637:
	v_lshlrev_b32_e32 v19, 3, v0
	v_mov_b32_e32 v21, 0
	ds_read_b64 v[19:20], v19 offset:16000
	ds_read_b64 v[21:22], v21 offset:16120
	s_waitcnt lgkmcnt(0)
	v_mul_f32_e32 v23, v22, v20
	v_mul_f32_e32 v20, v21, v20
	v_fma_f32 v21, v21, v19, -v23
	v_fmac_f32_e32 v20, v22, v19
	v_add_f32_e32 v2, v2, v21
	v_add_f32_e32 v3, v3, v20
.LBB158_638:
	s_or_b64 exec, exec, s[18:19]
.LBB158_639:
	s_or_b64 exec, exec, s[6:7]
	s_and_saveexec_b64 s[6:7], s[62:63]
; %bb.640:
	v_xor_b32_e32 v20, 0x80000000, v3
	v_xor_b32_e32 v19, 0x80000000, v2
	ds_write_b64 v15, v[19:20]
; %bb.641:
	s_or_b64 exec, exec, s[6:7]
	s_waitcnt lgkmcnt(0)
	s_barrier
	s_and_saveexec_b64 s[6:7], s[64:65]
	s_cbranch_execz .LBB158_643
; %bb.642:
	v_lshlrev_b32_e32 v19, 3, v13
	ds_read_b64 v[19:20], v19 offset:11904
	ds_read_b64 v[21:22], v15
	s_waitcnt lgkmcnt(0)
	v_mul_f32_e32 v23, v22, v20
	v_mul_f32_e32 v20, v21, v20
	v_fma_f32 v21, v21, v19, -v23
	v_fmac_f32_e32 v20, v22, v19
	v_sub_f32_e32 v2, v2, v21
	v_sub_f32_e32 v3, v3, v20
.LBB158_643:
	s_or_b64 exec, exec, s[6:7]
	s_barrier
	s_and_saveexec_b64 s[6:7], s[66:67]
; %bb.644:
	v_xor_b32_e32 v20, 0x80000000, v3
	v_xor_b32_e32 v19, 0x80000000, v2
	ds_write_b64 v15, v[19:20]
; %bb.645:
	s_or_b64 exec, exec, s[6:7]
	s_waitcnt lgkmcnt(0)
	s_barrier
	s_and_saveexec_b64 s[6:7], s[68:69]
	s_cbranch_execz .LBB158_647
; %bb.646:
	v_lshlrev_b32_e32 v19, 3, v13
	ds_read_b64 v[19:20], v19 offset:11392
	ds_read_b64 v[21:22], v15
	s_waitcnt lgkmcnt(0)
	v_mul_f32_e32 v23, v22, v20
	v_mul_f32_e32 v20, v21, v20
	v_fma_f32 v21, v21, v19, -v23
	v_fmac_f32_e32 v20, v22, v19
	v_sub_f32_e32 v2, v2, v21
	v_sub_f32_e32 v3, v3, v20
.LBB158_647:
	s_or_b64 exec, exec, s[6:7]
	s_barrier
	;; [unrolled: 25-line block ×6, first 2 shown]
	s_and_saveexec_b64 s[6:7], s[86:87]
; %bb.664:
	v_xor_b32_e32 v20, 0x80000000, v3
	v_xor_b32_e32 v19, 0x80000000, v2
	ds_write_b64 v15, v[19:20]
; %bb.665:
	s_or_b64 exec, exec, s[6:7]
	s_waitcnt lgkmcnt(0)
	s_barrier
	s_and_saveexec_b64 s[6:7], s[60:61]
	s_cbranch_execz .LBB158_667
; %bb.666:
	v_mov_b32_e32 v19, 0
	ds_read_b64 v[19:20], v19 offset:8832
	ds_read_b64 v[21:22], v15
	s_waitcnt lgkmcnt(0)
	v_mul_f32_e32 v23, v22, v20
	v_mul_f32_e32 v20, v21, v20
	v_fma_f32 v21, v21, v19, -v23
	v_fmac_f32_e32 v20, v22, v19
	v_sub_f32_e32 v2, v2, v21
	v_sub_f32_e32 v3, v3, v20
.LBB158_667:
	s_or_b64 exec, exec, s[6:7]
	s_barrier
	s_and_saveexec_b64 s[6:7], s[60:61]
; %bb.668:
	v_xor_b32_e32 v20, 0x80000000, v3
	v_xor_b32_e32 v19, 0x80000000, v2
	ds_write_b64 v15, v[19:20]
; %bb.669:
	s_or_b64 exec, exec, s[6:7]
	s_waitcnt lgkmcnt(0)
	s_barrier
	s_barrier
	s_and_saveexec_b64 s[6:7], s[12:13]
; %bb.670:
	v_lshlrev_b32_e32 v19, 3, v13
	v_lshl_or_b32 v19, v14, 9, v19
	ds_write_b64 v19, v[2:3] offset:12416
; %bb.671:
	s_or_b64 exec, exec, s[6:7]
	s_waitcnt lgkmcnt(0)
	s_barrier
	s_barrier
	s_and_saveexec_b64 s[6:7], s[88:89]
	s_cbranch_execz .LBB158_673
; %bb.672:
	v_lshlrev_b32_e32 v19, 9, v0
	ds_read_b64 v[2:3], v19 offset:12416
	s_movk_i32 s16, 0xfe08
	v_mad_i32_i24 v20, v0, s16, v19
	s_waitcnt lgkmcnt(0)
	ds_write_b64 v20, v[2:3] offset:8384
	ds_read_b64 v[2:3], v19 offset:12424
	s_waitcnt lgkmcnt(0)
	ds_write_b64 v20, v[2:3] offset:8896
	ds_read_b64 v[2:3], v19 offset:12432
	;; [unrolled: 3-line block ×7, first 2 shown]
	s_waitcnt lgkmcnt(0)
	ds_write_b64 v20, v[2:3] offset:11968
.LBB158_673:
	s_or_b64 exec, exec, s[6:7]
	s_waitcnt lgkmcnt(0)
	s_barrier
	s_and_saveexec_b64 s[6:7], vcc
	s_cbranch_execz .LBB158_675
; %bb.674:
	v_mov_b32_e32 v21, 0
	ds_read_b64 v[2:3], v21 offset:11952
	s_mov_b64 s[16:17], 0x3f800000
	v_mov_b32_e32 v20, s17
	v_mov_b32_e32 v19, s16
	s_movk_i32 s16, 0x2800
	ds_write_b64 v21, v[19:20] offset:11960
	v_add_u32_e64 v21, s16, 0
	s_waitcnt lgkmcnt(1)
	ds_write2_b64 v21, v[19:20], v[2:3] offset0:150 offset1:151
.LBB158_675:
	s_or_b64 exec, exec, s[6:7]
	v_mov_b32_e32 v2, 0
	v_mov_b32_e32 v3, 0
	s_waitcnt lgkmcnt(0)
	s_barrier
	buffer_wbinvl1_vol
	s_and_saveexec_b64 s[6:7], s[22:23]
	s_cbranch_execz .LBB158_679
; %bb.676:
	v_lshlrev_b32_e32 v2, 3, v4
	v_lshlrev_b32_e32 v19, 9, v5
	ds_read_b64 v[2:3], v2 offset:11424
	ds_read_b64 v[19:20], v19 offset:11440
	v_cmp_gt_u32_e64 s[16:17], 2, v9
	s_waitcnt lgkmcnt(0)
	v_mul_f32_e32 v21, v20, v3
	v_mul_f32_e32 v3, v19, v3
	v_fma_f32 v19, v19, v2, -v21
	v_fmac_f32_e32 v3, v20, v2
	v_add_f32_e32 v2, 0, v19
	v_add_f32_e32 v3, 0, v3
	s_and_saveexec_b64 s[18:19], s[16:17]
	s_cbranch_execz .LBB158_678
; %bb.677:
	v_lshlrev_b32_e32 v19, 3, v0
	v_mov_b32_e32 v21, 0
	ds_read_b64 v[19:20], v19 offset:11936
	ds_read_b64 v[21:22], v21 offset:11960
	s_waitcnt lgkmcnt(0)
	v_mul_f32_e32 v23, v22, v20
	v_mul_f32_e32 v20, v21, v20
	v_fma_f32 v21, v21, v19, -v23
	v_fmac_f32_e32 v20, v22, v19
	v_add_f32_e32 v2, v2, v21
	v_add_f32_e32 v3, v3, v20
.LBB158_678:
	s_or_b64 exec, exec, s[18:19]
.LBB158_679:
	s_or_b64 exec, exec, s[6:7]
	s_and_saveexec_b64 s[6:7], s[42:43]
; %bb.680:
	v_xor_b32_e32 v20, 0x80000000, v3
	v_xor_b32_e32 v19, 0x80000000, v2
	ds_write_b64 v7, v[19:20]
; %bb.681:
	s_or_b64 exec, exec, s[6:7]
	s_waitcnt lgkmcnt(0)
	s_barrier
	s_and_saveexec_b64 s[6:7], s[40:41]
	s_cbranch_execz .LBB158_683
; %bb.682:
	v_mov_b32_e32 v19, 0
	ds_read_b64 v[19:20], v19 offset:10912
	ds_read_b64 v[21:22], v7
	s_waitcnt lgkmcnt(0)
	v_mul_f32_e32 v23, v21, v19
	v_mul_f32_e32 v21, v21, v20
	v_fmac_f32_e32 v21, v22, v19
	v_fma_f32 v19, v22, v20, -v23
	v_add_f32_e32 v2, v2, v19
	v_sub_f32_e32 v3, v3, v21
.LBB158_683:
	s_or_b64 exec, exec, s[6:7]
	s_barrier
	s_and_saveexec_b64 s[6:7], s[40:41]
; %bb.684:
	v_xor_b32_e32 v20, 0x80000000, v3
	v_xor_b32_e32 v19, 0x80000000, v2
	ds_write_b64 v7, v[19:20]
; %bb.685:
	s_or_b64 exec, exec, s[6:7]
	s_waitcnt lgkmcnt(0)
	s_barrier
	s_barrier
	s_and_saveexec_b64 s[6:7], s[22:23]
; %bb.686:
	v_lshlrev_b32_e32 v19, 3, v4
	v_lshl_or_b32 v19, v5, 9, v19
	ds_write_b64 v19, v[2:3] offset:11424
; %bb.687:
	s_or_b64 exec, exec, s[6:7]
	s_waitcnt lgkmcnt(0)
	s_barrier
	s_barrier
	s_and_saveexec_b64 s[6:7], s[44:45]
	s_cbranch_execz .LBB158_689
; %bb.688:
	v_lshlrev_b32_e32 v19, 3, v0
	s_movk_i32 s16, 0x1f8
	v_mad_u32_u24 v20, v0, s16, v19
	ds_read_b64 v[2:3], v20 offset:11424
	s_waitcnt lgkmcnt(0)
	ds_write_b64 v19, v[2:3] offset:10416
	ds_read_b64 v[2:3], v20 offset:11432
	s_waitcnt lgkmcnt(0)
	ds_write_b64 v19, v[2:3] offset:10928
.LBB158_689:
	s_or_b64 exec, exec, s[6:7]
	s_waitcnt lgkmcnt(0)
	s_barrier
	s_and_saveexec_b64 s[6:7], vcc
	s_cbranch_execz .LBB158_691
; %bb.690:
	v_mov_b32_e32 v21, 0
	ds_read_b64 v[2:3], v21 offset:10912
	s_mov_b64 s[16:17], 0x3f800000
	v_mov_b32_e32 v20, s17
	v_mov_b32_e32 v19, s16
	s_movk_i32 s16, 0x2800
	ds_write_b64 v21, v[19:20] offset:10920
	v_add_u32_e64 v21, s16, 0
	s_waitcnt lgkmcnt(1)
	ds_write2_b64 v21, v[19:20], v[2:3] offset0:20 offset1:21
.LBB158_691:
	s_or_b64 exec, exec, s[6:7]
	v_mov_b32_e32 v3, 0
	v_mov_b32_e32 v2, 0
	s_waitcnt lgkmcnt(0)
	s_barrier
	buffer_wbinvl1_vol
	s_and_saveexec_b64 s[6:7], s[10:11]
	s_cbranch_execz .LBB158_697
; %bb.692:
	v_lshlrev_b32_e32 v19, 3, v10
	v_lshlrev_b32_e32 v20, 9, v11
	ds_read_b64 v[2:3], v19 offset:10368
	ds_read_b64 v[21:22], v20 offset:10400
	v_cmp_gt_u32_e64 s[16:17], 12, v9
	s_waitcnt lgkmcnt(0)
	v_mul_f32_e32 v23, v22, v3
	v_mul_f32_e32 v3, v21, v3
	v_fma_f32 v21, v21, v2, -v23
	v_fmac_f32_e32 v3, v22, v2
	v_add_f32_e32 v2, 0, v21
	v_add_f32_e32 v3, 0, v3
	s_and_saveexec_b64 s[18:19], s[16:17]
	s_cbranch_execnz .LBB158_1086
; %bb.693:
	s_or_b64 exec, exec, s[18:19]
	v_cmp_gt_u32_e64 s[16:17], 8, v9
	s_and_saveexec_b64 s[18:19], s[16:17]
	s_cbranch_execnz .LBB158_1087
.LBB158_694:
	s_or_b64 exec, exec, s[18:19]
	v_cmp_gt_u32_e64 s[16:17], 4, v9
	s_and_saveexec_b64 s[18:19], s[16:17]
	s_cbranch_execz .LBB158_696
.LBB158_695:
	v_lshlrev_b32_e32 v19, 3, v0
	v_mov_b32_e32 v21, 0
	ds_read_b64 v[19:20], v19 offset:11904
	ds_read_b64 v[21:22], v21 offset:11960
	s_waitcnt lgkmcnt(0)
	v_mul_f32_e32 v23, v22, v20
	v_mul_f32_e32 v20, v21, v20
	v_fma_f32 v21, v21, v19, -v23
	v_fmac_f32_e32 v20, v22, v19
	v_add_f32_e32 v2, v2, v21
	v_add_f32_e32 v3, v3, v20
.LBB158_696:
	s_or_b64 exec, exec, s[18:19]
.LBB158_697:
	s_or_b64 exec, exec, s[6:7]
	s_and_saveexec_b64 s[6:7], s[48:49]
; %bb.698:
	v_xor_b32_e32 v19, 0x80000000, v2
	v_xor_b32_e32 v20, 0x80000000, v3
	ds_write_b64 v12, v[19:20]
; %bb.699:
	s_or_b64 exec, exec, s[6:7]
	s_waitcnt lgkmcnt(0)
	s_barrier
	s_and_saveexec_b64 s[6:7], s[50:51]
	s_cbranch_execz .LBB158_701
; %bb.700:
	v_lshlrev_b32_e32 v19, 3, v10
	ds_read_b64 v[19:20], v19 offset:9856
	ds_read_b64 v[21:22], v12
	s_waitcnt lgkmcnt(0)
	v_mul_f32_e32 v23, v22, v20
	v_mul_f32_e32 v20, v21, v20
	v_fma_f32 v21, v21, v19, -v23
	v_fmac_f32_e32 v20, v22, v19
	v_sub_f32_e32 v2, v2, v21
	v_sub_f32_e32 v3, v3, v20
.LBB158_701:
	s_or_b64 exec, exec, s[6:7]
	s_barrier
	s_and_saveexec_b64 s[6:7], s[52:53]
; %bb.702:
	v_xor_b32_e32 v19, 0x80000000, v2
	v_xor_b32_e32 v20, 0x80000000, v3
	ds_write_b64 v12, v[19:20]
; %bb.703:
	s_or_b64 exec, exec, s[6:7]
	s_waitcnt lgkmcnt(0)
	s_barrier
	s_and_saveexec_b64 s[6:7], s[54:55]
	s_cbranch_execz .LBB158_705
; %bb.704:
	v_lshlrev_b32_e32 v19, 3, v10
	ds_read_b64 v[19:20], v19 offset:9344
	ds_read_b64 v[21:22], v12
	s_waitcnt lgkmcnt(0)
	v_mul_f32_e32 v23, v22, v20
	v_mul_f32_e32 v20, v21, v20
	v_fma_f32 v21, v21, v19, -v23
	v_fmac_f32_e32 v20, v22, v19
	v_sub_f32_e32 v2, v2, v21
	v_sub_f32_e32 v3, v3, v20
.LBB158_705:
	s_or_b64 exec, exec, s[6:7]
	s_barrier
	s_and_saveexec_b64 s[6:7], s[56:57]
; %bb.706:
	v_xor_b32_e32 v19, 0x80000000, v2
	v_xor_b32_e32 v20, 0x80000000, v3
	ds_write_b64 v12, v[19:20]
; %bb.707:
	s_or_b64 exec, exec, s[6:7]
	s_waitcnt lgkmcnt(0)
	s_barrier
	s_and_saveexec_b64 s[6:7], s[46:47]
	s_cbranch_execz .LBB158_709
; %bb.708:
	v_mov_b32_e32 v19, 0
	ds_read_b64 v[19:20], v19 offset:8832
	ds_read_b64 v[21:22], v12
	s_waitcnt lgkmcnt(0)
	v_mul_f32_e32 v23, v22, v20
	v_mul_f32_e32 v20, v21, v20
	v_fma_f32 v21, v21, v19, -v23
	v_fmac_f32_e32 v20, v22, v19
	v_sub_f32_e32 v2, v2, v21
	v_sub_f32_e32 v3, v3, v20
.LBB158_709:
	s_or_b64 exec, exec, s[6:7]
	s_barrier
	s_and_saveexec_b64 s[6:7], s[46:47]
; %bb.710:
	v_xor_b32_e32 v19, 0x80000000, v2
	v_xor_b32_e32 v20, 0x80000000, v3
	ds_write_b64 v12, v[19:20]
; %bb.711:
	s_or_b64 exec, exec, s[6:7]
	s_waitcnt lgkmcnt(0)
	s_barrier
	s_barrier
	s_and_saveexec_b64 s[6:7], s[10:11]
; %bb.712:
	v_lshlrev_b32_e32 v19, 3, v10
	v_lshl_or_b32 v19, v11, 9, v19
	ds_write_b64 v19, v[2:3] offset:10368
; %bb.713:
	s_or_b64 exec, exec, s[6:7]
	s_waitcnt lgkmcnt(0)
	s_barrier
	s_barrier
	s_and_saveexec_b64 s[6:7], s[58:59]
	s_cbranch_execz .LBB158_715
; %bb.714:
	v_lshlrev_b32_e32 v19, 9, v0
	ds_read_b64 v[2:3], v19 offset:10368
	s_movk_i32 s16, 0xfe08
	v_mad_i32_i24 v20, v0, s16, v19
	s_waitcnt lgkmcnt(0)
	ds_write_b64 v20, v[2:3] offset:8352
	ds_read_b64 v[2:3], v19 offset:10376
	s_waitcnt lgkmcnt(0)
	ds_write_b64 v20, v[2:3] offset:8864
	ds_read_b64 v[2:3], v19 offset:10384
	;; [unrolled: 3-line block ×3, first 2 shown]
	s_waitcnt lgkmcnt(0)
	ds_write_b64 v20, v[2:3] offset:9888
.LBB158_715:
	s_or_b64 exec, exec, s[6:7]
	s_waitcnt lgkmcnt(0)
	s_barrier
	s_and_saveexec_b64 s[6:7], vcc
	s_cbranch_execz .LBB158_717
; %bb.716:
	v_mov_b32_e32 v21, 0
	ds_read_b64 v[2:3], v21 offset:9872
	s_mov_b64 s[16:17], 0x3f800000
	v_mov_b32_e32 v20, s17
	v_mov_b32_e32 v19, s16
	s_movk_i32 s16, 0x2000
	ds_write_b64 v21, v[19:20] offset:9880
	v_add_u32_e64 v21, s16, 0
	s_waitcnt lgkmcnt(1)
	ds_write2_b64 v21, v[19:20], v[2:3] offset0:146 offset1:147
.LBB158_717:
	s_or_b64 exec, exec, s[6:7]
	v_mov_b32_e32 v2, 0
	v_mov_b32_e32 v3, 0
	s_waitcnt lgkmcnt(0)
	s_barrier
	buffer_wbinvl1_vol
	s_and_saveexec_b64 s[6:7], s[22:23]
	s_cbranch_execz .LBB158_721
; %bb.718:
	v_lshlrev_b32_e32 v2, 3, v4
	v_lshlrev_b32_e32 v19, 9, v5
	ds_read_b64 v[2:3], v2 offset:9344
	ds_read_b64 v[19:20], v19 offset:9360
	v_cmp_gt_u32_e64 s[16:17], 2, v9
	s_waitcnt lgkmcnt(0)
	v_mul_f32_e32 v21, v20, v3
	v_mul_f32_e32 v3, v19, v3
	v_fma_f32 v19, v19, v2, -v21
	v_fmac_f32_e32 v3, v20, v2
	v_add_f32_e32 v2, 0, v19
	v_add_f32_e32 v3, 0, v3
	s_and_saveexec_b64 s[18:19], s[16:17]
	s_cbranch_execz .LBB158_720
; %bb.719:
	v_lshlrev_b32_e32 v19, 3, v0
	v_mov_b32_e32 v21, 0
	ds_read_b64 v[19:20], v19 offset:9856
	ds_read_b64 v[21:22], v21 offset:9880
	s_waitcnt lgkmcnt(0)
	v_mul_f32_e32 v23, v22, v20
	v_mul_f32_e32 v20, v21, v20
	v_fma_f32 v21, v21, v19, -v23
	v_fmac_f32_e32 v20, v22, v19
	v_add_f32_e32 v2, v2, v21
	v_add_f32_e32 v3, v3, v20
.LBB158_720:
	s_or_b64 exec, exec, s[18:19]
.LBB158_721:
	s_or_b64 exec, exec, s[6:7]
	s_and_saveexec_b64 s[6:7], s[42:43]
; %bb.722:
	v_xor_b32_e32 v20, 0x80000000, v3
	v_xor_b32_e32 v19, 0x80000000, v2
	ds_write_b64 v7, v[19:20]
; %bb.723:
	s_or_b64 exec, exec, s[6:7]
	s_waitcnt lgkmcnt(0)
	s_barrier
	s_and_saveexec_b64 s[6:7], s[40:41]
	s_cbranch_execz .LBB158_725
; %bb.724:
	v_mov_b32_e32 v19, 0
	ds_read_b64 v[19:20], v19 offset:8832
	ds_read_b64 v[21:22], v7
	s_waitcnt lgkmcnt(0)
	v_mul_f32_e32 v23, v21, v19
	v_mul_f32_e32 v21, v21, v20
	v_fmac_f32_e32 v21, v22, v19
	v_fma_f32 v19, v22, v20, -v23
	v_add_f32_e32 v2, v2, v19
	v_sub_f32_e32 v3, v3, v21
.LBB158_725:
	s_or_b64 exec, exec, s[6:7]
	s_barrier
	s_and_saveexec_b64 s[6:7], s[40:41]
; %bb.726:
	v_xor_b32_e32 v20, 0x80000000, v3
	v_xor_b32_e32 v19, 0x80000000, v2
	ds_write_b64 v7, v[19:20]
; %bb.727:
	s_or_b64 exec, exec, s[6:7]
	s_waitcnt lgkmcnt(0)
	s_barrier
	s_barrier
	s_and_saveexec_b64 s[6:7], s[22:23]
; %bb.728:
	v_lshlrev_b32_e32 v19, 3, v4
	v_lshl_or_b32 v19, v5, 9, v19
	ds_write_b64 v19, v[2:3] offset:9344
; %bb.729:
	s_or_b64 exec, exec, s[6:7]
	s_waitcnt lgkmcnt(0)
	s_barrier
	s_barrier
	s_and_saveexec_b64 s[6:7], s[44:45]
	s_cbranch_execz .LBB158_731
; %bb.730:
	v_lshlrev_b32_e32 v19, 3, v0
	s_movk_i32 s16, 0x1f8
	v_mad_u32_u24 v20, v0, s16, v19
	ds_read_b64 v[2:3], v20 offset:9344
	s_waitcnt lgkmcnt(0)
	ds_write_b64 v19, v[2:3] offset:8336
	ds_read_b64 v[2:3], v20 offset:9352
	s_waitcnt lgkmcnt(0)
	ds_write_b64 v19, v[2:3] offset:8848
.LBB158_731:
	s_or_b64 exec, exec, s[6:7]
	s_waitcnt lgkmcnt(0)
	s_barrier
	s_and_saveexec_b64 s[6:7], vcc
	s_cbranch_execz .LBB158_733
; %bb.732:
	v_mov_b32_e32 v21, 0
	ds_read_b64 v[2:3], v21 offset:8832
	s_mov_b64 s[16:17], 0x3f800000
	v_mov_b32_e32 v20, s17
	v_mov_b32_e32 v19, s16
	s_movk_i32 s16, 0x2000
	ds_write_b64 v21, v[19:20] offset:8840
	v_add_u32_e64 v21, s16, 0
	s_waitcnt lgkmcnt(1)
	ds_write2_b64 v21, v[19:20], v[2:3] offset0:16 offset1:17
.LBB158_733:
	s_or_b64 exec, exec, s[6:7]
	v_mov_b32_e32 v3, 0
	v_mov_b32_e32 v2, 0
	s_waitcnt lgkmcnt(0)
	s_barrier
	buffer_wbinvl1_vol
	s_and_saveexec_b64 s[6:7], s[14:15]
	s_cbranch_execz .LBB158_761
; %bb.734:
	v_lshlrev_b32_e32 v19, 3, v16
	v_lshlrev_b32_e32 v20, 9, v17
	ds_read_b64 v[2:3], v19 offset:8192
	ds_read_b64 v[21:22], v20 offset:8320
	s_movk_i32 s16, 0xf0
	v_cmp_gt_u32_e64 s[16:17], s16, v9
	s_waitcnt lgkmcnt(0)
	v_mul_f32_e32 v23, v22, v3
	v_mul_f32_e32 v3, v21, v3
	v_fma_f32 v21, v21, v2, -v23
	v_fmac_f32_e32 v3, v22, v2
	v_add_f32_e32 v2, 0, v21
	v_add_f32_e32 v3, 0, v3
	s_and_saveexec_b64 s[18:19], s[16:17]
	s_cbranch_execz .LBB158_736
; %bb.735:
	ds_read_b64 v[21:22], v19 offset:8704
	ds_read_b64 v[23:24], v20 offset:8328
	s_waitcnt lgkmcnt(0)
	v_mul_f32_e32 v25, v24, v22
	v_mul_f32_e32 v22, v23, v22
	v_fma_f32 v23, v23, v21, -v25
	v_fmac_f32_e32 v22, v24, v21
	v_add_f32_e32 v2, v2, v23
	v_add_f32_e32 v3, v3, v22
.LBB158_736:
	s_or_b64 exec, exec, s[18:19]
	s_movk_i32 s16, 0xe0
	v_cmp_gt_u32_e64 s[16:17], s16, v9
	s_and_saveexec_b64 s[18:19], s[16:17]
	s_cbranch_execz .LBB158_738
; %bb.737:
	ds_read_b64 v[21:22], v19 offset:9216
	ds_read_b64 v[23:24], v20 offset:8336
	s_waitcnt lgkmcnt(0)
	v_mul_f32_e32 v25, v24, v22
	v_mul_f32_e32 v22, v23, v22
	v_fma_f32 v23, v23, v21, -v25
	v_fmac_f32_e32 v22, v24, v21
	v_add_f32_e32 v2, v2, v23
	v_add_f32_e32 v3, v3, v22
.LBB158_738:
	s_or_b64 exec, exec, s[18:19]
	s_movk_i32 s16, 0xd0
	v_cmp_gt_u32_e64 s[16:17], s16, v9
	;; [unrolled: 16-line block ×10, first 2 shown]
	s_and_saveexec_b64 s[18:19], s[16:17]
	s_cbranch_execnz .LBB158_1088
; %bb.755:
	s_or_b64 exec, exec, s[18:19]
	s_and_saveexec_b64 s[16:17], s[12:13]
	s_cbranch_execnz .LBB158_1089
.LBB158_756:
	s_or_b64 exec, exec, s[16:17]
	v_cmp_gt_u32_e64 s[16:17], 48, v9
	s_and_saveexec_b64 s[18:19], s[16:17]
	s_cbranch_execnz .LBB158_1090
.LBB158_757:
	s_or_b64 exec, exec, s[18:19]
	v_cmp_gt_u32_e64 s[16:17], 32, v9
	s_and_saveexec_b64 s[18:19], s[16:17]
	s_cbranch_execnz .LBB158_1091
.LBB158_758:
	s_or_b64 exec, exec, s[18:19]
	v_cmp_gt_u32_e64 s[16:17], 16, v9
	s_and_saveexec_b64 s[18:19], s[16:17]
	s_cbranch_execz .LBB158_760
.LBB158_759:
	v_lshlrev_b32_e32 v19, 3, v0
	v_mov_b32_e32 v21, 0
	ds_read_b64 v[19:20], v19 offset:15872
	ds_read_b64 v[21:22], v21 offset:16120
	s_waitcnt lgkmcnt(0)
	v_mul_f32_e32 v23, v22, v20
	v_mul_f32_e32 v20, v21, v20
	v_fma_f32 v21, v21, v19, -v23
	v_fmac_f32_e32 v20, v22, v19
	v_add_f32_e32 v2, v2, v21
	v_add_f32_e32 v3, v3, v20
.LBB158_760:
	s_or_b64 exec, exec, s[18:19]
.LBB158_761:
	s_or_b64 exec, exec, s[6:7]
	s_mov_b64 s[6:7], exec
	v_readlane_b32 s16, v29, 2
	v_readlane_b32 s17, v29, 3
	s_and_b64 s[16:17], s[6:7], s[16:17]
	s_mov_b64 exec, s[16:17]
; %bb.762:
	v_xor_b32_e32 v19, 0x80000000, v2
	v_xor_b32_e32 v20, 0x80000000, v3
	ds_write_b64 v18, v[19:20]
; %bb.763:
	s_or_b64 exec, exec, s[6:7]
	s_waitcnt lgkmcnt(0)
	s_barrier
	s_mov_b64 s[6:7], exec
	v_readlane_b32 s16, v29, 4
	v_readlane_b32 s17, v29, 5
	s_and_b64 s[16:17], s[6:7], s[16:17]
	s_mov_b64 exec, s[16:17]
	s_cbranch_execz .LBB158_765
; %bb.764:
	v_lshlrev_b32_e32 v19, 3, v16
	ds_read_b64 v[19:20], v19 offset:7680
	ds_read_b64 v[21:22], v18
	s_waitcnt lgkmcnt(0)
	v_mul_f32_e32 v23, v22, v20
	v_mul_f32_e32 v20, v21, v20
	v_fma_f32 v21, v21, v19, -v23
	v_fmac_f32_e32 v20, v22, v19
	v_sub_f32_e32 v2, v2, v21
	v_sub_f32_e32 v3, v3, v20
.LBB158_765:
	s_or_b64 exec, exec, s[6:7]
	s_barrier
	s_mov_b64 s[6:7], exec
	v_readlane_b32 s16, v29, 6
	v_readlane_b32 s17, v29, 7
	s_and_b64 s[16:17], s[6:7], s[16:17]
	s_mov_b64 exec, s[16:17]
; %bb.766:
	v_xor_b32_e32 v19, 0x80000000, v2
	v_xor_b32_e32 v20, 0x80000000, v3
	ds_write_b64 v18, v[19:20]
; %bb.767:
	s_or_b64 exec, exec, s[6:7]
	s_waitcnt lgkmcnt(0)
	s_barrier
	s_mov_b64 s[6:7], exec
	v_readlane_b32 s16, v29, 8
	v_readlane_b32 s17, v29, 9
	s_and_b64 s[16:17], s[6:7], s[16:17]
	s_mov_b64 exec, s[16:17]
	s_cbranch_execz .LBB158_769
; %bb.768:
	v_lshlrev_b32_e32 v19, 3, v16
	ds_read_b64 v[19:20], v19 offset:7168
	ds_read_b64 v[21:22], v18
	s_waitcnt lgkmcnt(0)
	v_mul_f32_e32 v23, v22, v20
	v_mul_f32_e32 v20, v21, v20
	v_fma_f32 v21, v21, v19, -v23
	v_fmac_f32_e32 v20, v22, v19
	v_sub_f32_e32 v2, v2, v21
	v_sub_f32_e32 v3, v3, v20
.LBB158_769:
	s_or_b64 exec, exec, s[6:7]
	s_barrier
	;; [unrolled: 33-line block ×13, first 2 shown]
	s_mov_b64 s[6:7], exec
	v_readlane_b32 s16, v29, 54
	v_readlane_b32 s17, v29, 55
	s_and_b64 s[16:17], s[6:7], s[16:17]
	s_mov_b64 exec, s[16:17]
; %bb.814:
	v_xor_b32_e32 v19, 0x80000000, v2
	v_xor_b32_e32 v20, 0x80000000, v3
	ds_write_b64 v18, v[19:20]
; %bb.815:
	s_or_b64 exec, exec, s[6:7]
	s_waitcnt lgkmcnt(0)
	s_barrier
	s_and_saveexec_b64 s[6:7], s[92:93]
	s_cbranch_execz .LBB158_817
; %bb.816:
	v_lshlrev_b32_e32 v19, 3, v16
	ds_read_b64 v[19:20], v19 offset:1024
	ds_read_b64 v[21:22], v18
	s_waitcnt lgkmcnt(0)
	v_mul_f32_e32 v23, v22, v20
	v_mul_f32_e32 v20, v21, v20
	v_fma_f32 v21, v21, v19, -v23
	v_fmac_f32_e32 v20, v22, v19
	v_sub_f32_e32 v2, v2, v21
	v_sub_f32_e32 v3, v3, v20
.LBB158_817:
	s_or_b64 exec, exec, s[6:7]
	s_barrier
	s_and_saveexec_b64 s[6:7], s[26:27]
; %bb.818:
	v_xor_b32_e32 v19, 0x80000000, v2
	v_xor_b32_e32 v20, 0x80000000, v3
	ds_write_b64 v18, v[19:20]
; %bb.819:
	s_or_b64 exec, exec, s[6:7]
	s_waitcnt lgkmcnt(0)
	s_barrier
	s_and_saveexec_b64 s[6:7], s[98:99]
	s_cbranch_execz .LBB158_821
; %bb.820:
	v_mov_b32_e32 v19, 0
	ds_read_b64 v[19:20], v19 offset:512
	ds_read_b64 v[21:22], v18
	s_waitcnt lgkmcnt(0)
	v_mul_f32_e32 v23, v22, v20
	v_mul_f32_e32 v20, v21, v20
	v_fma_f32 v21, v21, v19, -v23
	v_fmac_f32_e32 v20, v22, v19
	v_sub_f32_e32 v2, v2, v21
	v_sub_f32_e32 v3, v3, v20
.LBB158_821:
	s_or_b64 exec, exec, s[6:7]
	s_barrier
	s_and_saveexec_b64 s[6:7], s[98:99]
; %bb.822:
	v_xor_b32_e32 v19, 0x80000000, v2
	v_xor_b32_e32 v20, 0x80000000, v3
	ds_write_b64 v18, v[19:20]
; %bb.823:
	s_or_b64 exec, exec, s[6:7]
	s_waitcnt lgkmcnt(0)
	s_barrier
	s_barrier
	s_and_saveexec_b64 s[6:7], s[14:15]
; %bb.824:
	v_lshlrev_b32_e32 v16, 3, v16
	v_lshl_or_b32 v16, v17, 9, v16
	ds_write_b64 v16, v[2:3] offset:8192
; %bb.825:
	s_or_b64 exec, exec, s[6:7]
	s_waitcnt lgkmcnt(0)
	s_barrier
	s_barrier
	s_and_saveexec_b64 s[6:7], s[94:95]
	s_cbranch_execz .LBB158_827
; %bb.826:
	v_lshlrev_b32_e32 v16, 9, v0
	ds_read_b64 v[2:3], v16 offset:8192
	s_movk_i32 s14, 0xfe08
	v_mad_i32_i24 v17, v0, s14, v16
	s_waitcnt lgkmcnt(0)
	ds_write_b64 v17, v[2:3] offset:128
	ds_read_b64 v[2:3], v16 offset:8200
	s_waitcnt lgkmcnt(0)
	ds_write_b64 v17, v[2:3] offset:640
	ds_read_b64 v[2:3], v16 offset:8208
	;; [unrolled: 3-line block ×15, first 2 shown]
	s_waitcnt lgkmcnt(0)
	ds_write_b64 v17, v[2:3] offset:7808
.LBB158_827:
	s_or_b64 exec, exec, s[6:7]
	s_waitcnt lgkmcnt(0)
	s_barrier
	s_and_saveexec_b64 s[6:7], vcc
	s_cbranch_execz .LBB158_829
; %bb.828:
	v_mov_b32_e32 v18, 0
	ds_read_b64 v[2:3], v18 offset:7792
	s_mov_b64 s[14:15], 0x3f800000
	v_mov_b32_e32 v17, s15
	v_mov_b32_e32 v16, s14
	s_movk_i32 s14, 0x1800
	ds_write_b64 v18, v[16:17] offset:7800
	v_add_u32_e64 v18, s14, 0
	s_waitcnt lgkmcnt(1)
	ds_write2_b64 v18, v[16:17], v[2:3] offset0:142 offset1:143
.LBB158_829:
	s_or_b64 exec, exec, s[6:7]
	v_mov_b32_e32 v2, 0
	v_mov_b32_e32 v3, 0
	s_waitcnt lgkmcnt(0)
	s_barrier
	buffer_wbinvl1_vol
	s_and_saveexec_b64 s[6:7], s[22:23]
	s_cbranch_execz .LBB158_833
; %bb.830:
	v_lshlrev_b32_e32 v2, 3, v4
	v_lshlrev_b32_e32 v16, 9, v5
	ds_read_b64 v[2:3], v2 offset:7264
	ds_read_b64 v[16:17], v16 offset:7280
	v_cmp_gt_u32_e64 s[14:15], 2, v9
	s_waitcnt lgkmcnt(0)
	v_mul_f32_e32 v18, v17, v3
	v_mul_f32_e32 v3, v16, v3
	v_fma_f32 v16, v16, v2, -v18
	v_fmac_f32_e32 v3, v17, v2
	v_add_f32_e32 v2, 0, v16
	v_add_f32_e32 v3, 0, v3
	s_and_saveexec_b64 s[16:17], s[14:15]
	s_cbranch_execz .LBB158_832
; %bb.831:
	v_lshlrev_b32_e32 v16, 3, v0
	v_mov_b32_e32 v18, 0
	ds_read_b64 v[16:17], v16 offset:7776
	ds_read_b64 v[18:19], v18 offset:7800
	s_waitcnt lgkmcnt(0)
	v_mul_f32_e32 v20, v19, v17
	v_mul_f32_e32 v17, v18, v17
	v_fma_f32 v18, v18, v16, -v20
	v_fmac_f32_e32 v17, v19, v16
	v_add_f32_e32 v2, v2, v18
	v_add_f32_e32 v3, v3, v17
.LBB158_832:
	s_or_b64 exec, exec, s[16:17]
.LBB158_833:
	s_or_b64 exec, exec, s[6:7]
	s_and_saveexec_b64 s[6:7], s[42:43]
; %bb.834:
	v_xor_b32_e32 v17, 0x80000000, v3
	v_xor_b32_e32 v16, 0x80000000, v2
	ds_write_b64 v7, v[16:17]
; %bb.835:
	s_or_b64 exec, exec, s[6:7]
	s_waitcnt lgkmcnt(0)
	s_barrier
	s_and_saveexec_b64 s[6:7], s[40:41]
	s_cbranch_execz .LBB158_837
; %bb.836:
	v_mov_b32_e32 v16, 0
	ds_read_b64 v[16:17], v16 offset:6752
	ds_read_b64 v[18:19], v7
	s_waitcnt lgkmcnt(0)
	v_mul_f32_e32 v20, v18, v16
	v_mul_f32_e32 v18, v18, v17
	v_fmac_f32_e32 v18, v19, v16
	v_fma_f32 v16, v19, v17, -v20
	v_add_f32_e32 v2, v2, v16
	v_sub_f32_e32 v3, v3, v18
.LBB158_837:
	s_or_b64 exec, exec, s[6:7]
	s_barrier
	s_and_saveexec_b64 s[6:7], s[40:41]
; %bb.838:
	v_xor_b32_e32 v17, 0x80000000, v3
	v_xor_b32_e32 v16, 0x80000000, v2
	ds_write_b64 v7, v[16:17]
; %bb.839:
	s_or_b64 exec, exec, s[6:7]
	s_waitcnt lgkmcnt(0)
	s_barrier
	s_barrier
	s_and_saveexec_b64 s[6:7], s[22:23]
; %bb.840:
	v_lshlrev_b32_e32 v16, 3, v4
	v_lshl_or_b32 v16, v5, 9, v16
	ds_write_b64 v16, v[2:3] offset:7264
; %bb.841:
	s_or_b64 exec, exec, s[6:7]
	s_waitcnt lgkmcnt(0)
	s_barrier
	s_barrier
	s_and_saveexec_b64 s[6:7], s[44:45]
	s_cbranch_execz .LBB158_843
; %bb.842:
	v_lshlrev_b32_e32 v16, 3, v0
	s_movk_i32 s14, 0x1f8
	v_mad_u32_u24 v17, v0, s14, v16
	ds_read_b64 v[2:3], v17 offset:7264
	s_waitcnt lgkmcnt(0)
	ds_write_b64 v16, v[2:3] offset:6256
	ds_read_b64 v[2:3], v17 offset:7272
	s_waitcnt lgkmcnt(0)
	ds_write_b64 v16, v[2:3] offset:6768
.LBB158_843:
	s_or_b64 exec, exec, s[6:7]
	s_waitcnt lgkmcnt(0)
	s_barrier
	s_and_saveexec_b64 s[6:7], vcc
	s_cbranch_execz .LBB158_845
; %bb.844:
	v_mov_b32_e32 v18, 0
	ds_read_b64 v[2:3], v18 offset:6752
	s_mov_b64 s[14:15], 0x3f800000
	v_mov_b32_e32 v17, s15
	v_mov_b32_e32 v16, s14
	s_movk_i32 s14, 0x1800
	ds_write_b64 v18, v[16:17] offset:6760
	v_add_u32_e64 v18, s14, 0
	s_waitcnt lgkmcnt(1)
	ds_write2_b64 v18, v[16:17], v[2:3] offset0:12 offset1:13
.LBB158_845:
	s_or_b64 exec, exec, s[6:7]
	v_mov_b32_e32 v3, 0
	v_mov_b32_e32 v2, 0
	s_waitcnt lgkmcnt(0)
	s_barrier
	buffer_wbinvl1_vol
	s_and_saveexec_b64 s[6:7], s[10:11]
	s_cbranch_execz .LBB158_851
; %bb.846:
	v_lshlrev_b32_e32 v16, 3, v10
	v_lshlrev_b32_e32 v17, 9, v11
	ds_read_b64 v[2:3], v16 offset:6208
	ds_read_b64 v[18:19], v17 offset:6240
	v_cmp_gt_u32_e64 s[14:15], 12, v9
	s_waitcnt lgkmcnt(0)
	v_mul_f32_e32 v20, v19, v3
	v_mul_f32_e32 v3, v18, v3
	v_fma_f32 v18, v18, v2, -v20
	v_fmac_f32_e32 v3, v19, v2
	v_add_f32_e32 v2, 0, v18
	v_add_f32_e32 v3, 0, v3
	s_and_saveexec_b64 s[16:17], s[14:15]
	s_cbranch_execnz .LBB158_1092
; %bb.847:
	s_or_b64 exec, exec, s[16:17]
	v_cmp_gt_u32_e64 s[14:15], 8, v9
	s_and_saveexec_b64 s[16:17], s[14:15]
	s_cbranch_execnz .LBB158_1093
.LBB158_848:
	s_or_b64 exec, exec, s[16:17]
	v_cmp_gt_u32_e64 s[14:15], 4, v9
	s_and_saveexec_b64 s[16:17], s[14:15]
	s_cbranch_execz .LBB158_850
.LBB158_849:
	v_lshlrev_b32_e32 v16, 3, v0
	v_mov_b32_e32 v18, 0
	ds_read_b64 v[16:17], v16 offset:7744
	ds_read_b64 v[18:19], v18 offset:7800
	s_waitcnt lgkmcnt(0)
	v_mul_f32_e32 v20, v19, v17
	v_mul_f32_e32 v17, v18, v17
	v_fma_f32 v18, v18, v16, -v20
	v_fmac_f32_e32 v17, v19, v16
	v_add_f32_e32 v2, v2, v18
	v_add_f32_e32 v3, v3, v17
.LBB158_850:
	s_or_b64 exec, exec, s[16:17]
.LBB158_851:
	s_or_b64 exec, exec, s[6:7]
	s_and_saveexec_b64 s[6:7], s[48:49]
; %bb.852:
	v_xor_b32_e32 v16, 0x80000000, v2
	v_xor_b32_e32 v17, 0x80000000, v3
	ds_write_b64 v12, v[16:17]
; %bb.853:
	s_or_b64 exec, exec, s[6:7]
	s_waitcnt lgkmcnt(0)
	s_barrier
	s_and_saveexec_b64 s[6:7], s[50:51]
	s_cbranch_execz .LBB158_855
; %bb.854:
	v_lshlrev_b32_e32 v16, 3, v10
	ds_read_b64 v[16:17], v16 offset:5696
	ds_read_b64 v[18:19], v12
	s_waitcnt lgkmcnt(0)
	v_mul_f32_e32 v20, v19, v17
	v_mul_f32_e32 v17, v18, v17
	v_fma_f32 v18, v18, v16, -v20
	v_fmac_f32_e32 v17, v19, v16
	v_sub_f32_e32 v2, v2, v18
	v_sub_f32_e32 v3, v3, v17
.LBB158_855:
	s_or_b64 exec, exec, s[6:7]
	s_barrier
	s_and_saveexec_b64 s[6:7], s[52:53]
; %bb.856:
	v_xor_b32_e32 v16, 0x80000000, v2
	v_xor_b32_e32 v17, 0x80000000, v3
	ds_write_b64 v12, v[16:17]
; %bb.857:
	s_or_b64 exec, exec, s[6:7]
	s_waitcnt lgkmcnt(0)
	s_barrier
	s_and_saveexec_b64 s[6:7], s[54:55]
	s_cbranch_execz .LBB158_859
; %bb.858:
	v_lshlrev_b32_e32 v16, 3, v10
	ds_read_b64 v[16:17], v16 offset:5184
	ds_read_b64 v[18:19], v12
	s_waitcnt lgkmcnt(0)
	v_mul_f32_e32 v20, v19, v17
	v_mul_f32_e32 v17, v18, v17
	v_fma_f32 v18, v18, v16, -v20
	v_fmac_f32_e32 v17, v19, v16
	v_sub_f32_e32 v2, v2, v18
	v_sub_f32_e32 v3, v3, v17
.LBB158_859:
	s_or_b64 exec, exec, s[6:7]
	s_barrier
	s_and_saveexec_b64 s[6:7], s[56:57]
; %bb.860:
	v_xor_b32_e32 v16, 0x80000000, v2
	v_xor_b32_e32 v17, 0x80000000, v3
	ds_write_b64 v12, v[16:17]
; %bb.861:
	s_or_b64 exec, exec, s[6:7]
	s_waitcnt lgkmcnt(0)
	s_barrier
	s_and_saveexec_b64 s[6:7], s[46:47]
	s_cbranch_execz .LBB158_863
; %bb.862:
	v_mov_b32_e32 v16, 0
	ds_read_b64 v[16:17], v16 offset:4672
	ds_read_b64 v[18:19], v12
	s_waitcnt lgkmcnt(0)
	v_mul_f32_e32 v20, v19, v17
	v_mul_f32_e32 v17, v18, v17
	v_fma_f32 v18, v18, v16, -v20
	v_fmac_f32_e32 v17, v19, v16
	v_sub_f32_e32 v2, v2, v18
	v_sub_f32_e32 v3, v3, v17
.LBB158_863:
	s_or_b64 exec, exec, s[6:7]
	s_barrier
	s_and_saveexec_b64 s[6:7], s[46:47]
; %bb.864:
	v_xor_b32_e32 v16, 0x80000000, v2
	v_xor_b32_e32 v17, 0x80000000, v3
	ds_write_b64 v12, v[16:17]
; %bb.865:
	s_or_b64 exec, exec, s[6:7]
	s_waitcnt lgkmcnt(0)
	s_barrier
	s_barrier
	s_and_saveexec_b64 s[6:7], s[10:11]
; %bb.866:
	v_lshlrev_b32_e32 v16, 3, v10
	v_lshl_or_b32 v16, v11, 9, v16
	ds_write_b64 v16, v[2:3] offset:6208
; %bb.867:
	s_or_b64 exec, exec, s[6:7]
	s_waitcnt lgkmcnt(0)
	s_barrier
	s_barrier
	s_and_saveexec_b64 s[6:7], s[58:59]
	s_cbranch_execz .LBB158_869
; %bb.868:
	v_lshlrev_b32_e32 v16, 9, v0
	ds_read_b64 v[2:3], v16 offset:6208
	s_movk_i32 s14, 0xfe08
	v_mad_i32_i24 v17, v0, s14, v16
	s_waitcnt lgkmcnt(0)
	ds_write_b64 v17, v[2:3] offset:4192
	ds_read_b64 v[2:3], v16 offset:6216
	s_waitcnt lgkmcnt(0)
	ds_write_b64 v17, v[2:3] offset:4704
	ds_read_b64 v[2:3], v16 offset:6224
	;; [unrolled: 3-line block ×3, first 2 shown]
	s_waitcnt lgkmcnt(0)
	ds_write_b64 v17, v[2:3] offset:5728
.LBB158_869:
	s_or_b64 exec, exec, s[6:7]
	s_waitcnt lgkmcnt(0)
	s_barrier
	s_and_saveexec_b64 s[6:7], vcc
	s_cbranch_execz .LBB158_871
; %bb.870:
	v_mov_b32_e32 v18, 0
	ds_read_b64 v[2:3], v18 offset:5712
	s_mov_b64 s[14:15], 0x3f800000
	v_mov_b32_e32 v17, s15
	v_mov_b32_e32 v16, s14
	s_movk_i32 s14, 0x1000
	ds_write_b64 v18, v[16:17] offset:5720
	v_add_u32_e64 v18, s14, 0
	s_waitcnt lgkmcnt(1)
	ds_write2_b64 v18, v[16:17], v[2:3] offset0:138 offset1:139
.LBB158_871:
	s_or_b64 exec, exec, s[6:7]
	v_mov_b32_e32 v2, 0
	v_mov_b32_e32 v3, 0
	s_waitcnt lgkmcnt(0)
	s_barrier
	buffer_wbinvl1_vol
	s_and_saveexec_b64 s[6:7], s[22:23]
	s_cbranch_execz .LBB158_875
; %bb.872:
	v_lshlrev_b32_e32 v2, 3, v4
	v_lshlrev_b32_e32 v16, 9, v5
	ds_read_b64 v[2:3], v2 offset:5184
	ds_read_b64 v[16:17], v16 offset:5200
	v_cmp_gt_u32_e64 s[14:15], 2, v9
	s_waitcnt lgkmcnt(0)
	v_mul_f32_e32 v18, v17, v3
	v_mul_f32_e32 v3, v16, v3
	v_fma_f32 v16, v16, v2, -v18
	v_fmac_f32_e32 v3, v17, v2
	v_add_f32_e32 v2, 0, v16
	v_add_f32_e32 v3, 0, v3
	s_and_saveexec_b64 s[16:17], s[14:15]
	s_cbranch_execz .LBB158_874
; %bb.873:
	v_lshlrev_b32_e32 v16, 3, v0
	v_mov_b32_e32 v18, 0
	ds_read_b64 v[16:17], v16 offset:5696
	ds_read_b64 v[18:19], v18 offset:5720
	s_waitcnt lgkmcnt(0)
	v_mul_f32_e32 v20, v19, v17
	v_mul_f32_e32 v17, v18, v17
	v_fma_f32 v18, v18, v16, -v20
	v_fmac_f32_e32 v17, v19, v16
	v_add_f32_e32 v2, v2, v18
	v_add_f32_e32 v3, v3, v17
.LBB158_874:
	s_or_b64 exec, exec, s[16:17]
.LBB158_875:
	s_or_b64 exec, exec, s[6:7]
	s_and_saveexec_b64 s[6:7], s[42:43]
; %bb.876:
	v_xor_b32_e32 v17, 0x80000000, v3
	v_xor_b32_e32 v16, 0x80000000, v2
	ds_write_b64 v7, v[16:17]
; %bb.877:
	s_or_b64 exec, exec, s[6:7]
	s_waitcnt lgkmcnt(0)
	s_barrier
	s_and_saveexec_b64 s[6:7], s[40:41]
	s_cbranch_execz .LBB158_879
; %bb.878:
	v_mov_b32_e32 v16, 0
	ds_read_b64 v[16:17], v16 offset:4672
	ds_read_b64 v[18:19], v7
	s_waitcnt lgkmcnt(0)
	v_mul_f32_e32 v20, v18, v16
	v_mul_f32_e32 v18, v18, v17
	v_fmac_f32_e32 v18, v19, v16
	v_fma_f32 v16, v19, v17, -v20
	v_add_f32_e32 v2, v2, v16
	v_sub_f32_e32 v3, v3, v18
.LBB158_879:
	s_or_b64 exec, exec, s[6:7]
	s_barrier
	s_and_saveexec_b64 s[6:7], s[40:41]
; %bb.880:
	v_xor_b32_e32 v17, 0x80000000, v3
	v_xor_b32_e32 v16, 0x80000000, v2
	ds_write_b64 v7, v[16:17]
; %bb.881:
	s_or_b64 exec, exec, s[6:7]
	s_waitcnt lgkmcnt(0)
	s_barrier
	s_barrier
	s_and_saveexec_b64 s[6:7], s[22:23]
; %bb.882:
	v_lshlrev_b32_e32 v16, 3, v4
	v_lshl_or_b32 v16, v5, 9, v16
	ds_write_b64 v16, v[2:3] offset:5184
; %bb.883:
	s_or_b64 exec, exec, s[6:7]
	s_waitcnt lgkmcnt(0)
	s_barrier
	s_barrier
	s_and_saveexec_b64 s[6:7], s[44:45]
	s_cbranch_execz .LBB158_885
; %bb.884:
	v_lshlrev_b32_e32 v16, 3, v0
	s_movk_i32 s14, 0x1f8
	v_mad_u32_u24 v17, v0, s14, v16
	ds_read_b64 v[2:3], v17 offset:5184
	s_waitcnt lgkmcnt(0)
	ds_write_b64 v16, v[2:3] offset:4176
	ds_read_b64 v[2:3], v17 offset:5192
	s_waitcnt lgkmcnt(0)
	ds_write_b64 v16, v[2:3] offset:4688
.LBB158_885:
	s_or_b64 exec, exec, s[6:7]
	s_waitcnt lgkmcnt(0)
	s_barrier
	s_and_saveexec_b64 s[6:7], vcc
	s_cbranch_execz .LBB158_887
; %bb.886:
	v_mov_b32_e32 v18, 0
	ds_read_b64 v[2:3], v18 offset:4672
	s_mov_b64 s[14:15], 0x3f800000
	v_mov_b32_e32 v17, s15
	v_mov_b32_e32 v16, s14
	s_movk_i32 s14, 0x1000
	ds_write_b64 v18, v[16:17] offset:4680
	v_add_u32_e64 v18, s14, 0
	s_waitcnt lgkmcnt(1)
	ds_write2_b64 v18, v[16:17], v[2:3] offset0:8 offset1:9
.LBB158_887:
	s_or_b64 exec, exec, s[6:7]
	v_mov_b32_e32 v3, 0
	v_mov_b32_e32 v2, 0
	s_waitcnt lgkmcnt(0)
	s_barrier
	buffer_wbinvl1_vol
	s_and_saveexec_b64 s[6:7], s[12:13]
	s_cbranch_execz .LBB158_897
; %bb.888:
	v_lshlrev_b32_e32 v16, 3, v13
	v_lshlrev_b32_e32 v17, 9, v14
	ds_read_b64 v[2:3], v16 offset:4096
	ds_read_b64 v[18:19], v17 offset:4160
	v_cmp_gt_u32_e64 s[14:15], 56, v9
	s_waitcnt lgkmcnt(0)
	v_mul_f32_e32 v20, v19, v3
	v_mul_f32_e32 v3, v18, v3
	v_fma_f32 v18, v18, v2, -v20
	v_fmac_f32_e32 v3, v19, v2
	v_add_f32_e32 v2, 0, v18
	v_add_f32_e32 v3, 0, v3
	s_and_saveexec_b64 s[16:17], s[14:15]
	s_cbranch_execnz .LBB158_1094
; %bb.889:
	s_or_b64 exec, exec, s[16:17]
	v_cmp_gt_u32_e64 s[14:15], 48, v9
	s_and_saveexec_b64 s[16:17], s[14:15]
	s_cbranch_execnz .LBB158_1095
.LBB158_890:
	s_or_b64 exec, exec, s[16:17]
	v_cmp_gt_u32_e64 s[14:15], 40, v9
	s_and_saveexec_b64 s[16:17], s[14:15]
	s_cbranch_execnz .LBB158_1096
.LBB158_891:
	s_or_b64 exec, exec, s[16:17]
	v_cmp_gt_u32_e64 s[14:15], 32, v9
	s_and_saveexec_b64 s[16:17], s[14:15]
	s_cbranch_execnz .LBB158_1097
.LBB158_892:
	s_or_b64 exec, exec, s[16:17]
	v_cmp_gt_u32_e64 s[14:15], 24, v9
	s_and_saveexec_b64 s[16:17], s[14:15]
	s_cbranch_execnz .LBB158_1098
.LBB158_893:
	s_or_b64 exec, exec, s[16:17]
	s_and_saveexec_b64 s[14:15], s[10:11]
	s_cbranch_execnz .LBB158_1099
.LBB158_894:
	s_or_b64 exec, exec, s[14:15]
	v_cmp_gt_u32_e64 s[14:15], 8, v9
	s_and_saveexec_b64 s[16:17], s[14:15]
	s_cbranch_execz .LBB158_896
.LBB158_895:
	v_lshlrev_b32_e32 v16, 3, v0
	v_mov_b32_e32 v18, 0
	ds_read_b64 v[16:17], v16 offset:7680
	ds_read_b64 v[18:19], v18 offset:7800
	s_waitcnt lgkmcnt(0)
	v_mul_f32_e32 v20, v19, v17
	v_mul_f32_e32 v17, v18, v17
	v_fma_f32 v18, v18, v16, -v20
	v_fmac_f32_e32 v17, v19, v16
	v_add_f32_e32 v2, v2, v18
	v_add_f32_e32 v3, v3, v17
.LBB158_896:
	s_or_b64 exec, exec, s[16:17]
.LBB158_897:
	s_or_b64 exec, exec, s[6:7]
	s_and_saveexec_b64 s[6:7], s[62:63]
; %bb.898:
	v_xor_b32_e32 v17, 0x80000000, v3
	v_xor_b32_e32 v16, 0x80000000, v2
	ds_write_b64 v15, v[16:17]
; %bb.899:
	s_or_b64 exec, exec, s[6:7]
	s_waitcnt lgkmcnt(0)
	s_barrier
	s_and_saveexec_b64 s[6:7], s[64:65]
	s_cbranch_execz .LBB158_901
; %bb.900:
	v_lshlrev_b32_e32 v16, 3, v13
	ds_read_b64 v[16:17], v16 offset:3584
	ds_read_b64 v[18:19], v15
	s_waitcnt lgkmcnt(0)
	v_mul_f32_e32 v20, v19, v17
	v_mul_f32_e32 v17, v18, v17
	v_fma_f32 v18, v18, v16, -v20
	v_fmac_f32_e32 v17, v19, v16
	v_sub_f32_e32 v2, v2, v18
	v_sub_f32_e32 v3, v3, v17
.LBB158_901:
	s_or_b64 exec, exec, s[6:7]
	s_barrier
	s_and_saveexec_b64 s[6:7], s[66:67]
; %bb.902:
	v_xor_b32_e32 v17, 0x80000000, v3
	v_xor_b32_e32 v16, 0x80000000, v2
	ds_write_b64 v15, v[16:17]
; %bb.903:
	s_or_b64 exec, exec, s[6:7]
	s_waitcnt lgkmcnt(0)
	s_barrier
	s_and_saveexec_b64 s[6:7], s[68:69]
	s_cbranch_execz .LBB158_905
; %bb.904:
	v_lshlrev_b32_e32 v16, 3, v13
	ds_read_b64 v[16:17], v16 offset:3072
	ds_read_b64 v[18:19], v15
	s_waitcnt lgkmcnt(0)
	v_mul_f32_e32 v20, v19, v17
	v_mul_f32_e32 v17, v18, v17
	v_fma_f32 v18, v18, v16, -v20
	v_fmac_f32_e32 v17, v19, v16
	v_sub_f32_e32 v2, v2, v18
	v_sub_f32_e32 v3, v3, v17
.LBB158_905:
	s_or_b64 exec, exec, s[6:7]
	s_barrier
	;; [unrolled: 25-line block ×6, first 2 shown]
	s_and_saveexec_b64 s[6:7], s[86:87]
; %bb.922:
	v_xor_b32_e32 v17, 0x80000000, v3
	v_xor_b32_e32 v16, 0x80000000, v2
	ds_write_b64 v15, v[16:17]
; %bb.923:
	s_or_b64 exec, exec, s[6:7]
	s_waitcnt lgkmcnt(0)
	s_barrier
	s_and_saveexec_b64 s[6:7], s[60:61]
	s_cbranch_execz .LBB158_925
; %bb.924:
	v_mov_b32_e32 v16, 0
	ds_read_b64 v[16:17], v16 offset:512
	ds_read_b64 v[18:19], v15
	s_waitcnt lgkmcnt(0)
	v_mul_f32_e32 v20, v19, v17
	v_mul_f32_e32 v17, v18, v17
	v_fma_f32 v18, v18, v16, -v20
	v_fmac_f32_e32 v17, v19, v16
	v_sub_f32_e32 v2, v2, v18
	v_sub_f32_e32 v3, v3, v17
.LBB158_925:
	s_or_b64 exec, exec, s[6:7]
	s_barrier
	s_and_saveexec_b64 s[6:7], s[60:61]
; %bb.926:
	v_xor_b32_e32 v17, 0x80000000, v3
	v_xor_b32_e32 v16, 0x80000000, v2
	ds_write_b64 v15, v[16:17]
; %bb.927:
	s_or_b64 exec, exec, s[6:7]
	s_waitcnt lgkmcnt(0)
	s_barrier
	s_barrier
	s_and_saveexec_b64 s[6:7], s[12:13]
; %bb.928:
	v_lshlrev_b32_e32 v13, 3, v13
	v_lshl_or_b32 v13, v14, 9, v13
	ds_write_b64 v13, v[2:3] offset:4096
; %bb.929:
	s_or_b64 exec, exec, s[6:7]
	s_waitcnt lgkmcnt(0)
	s_barrier
	s_barrier
	s_and_saveexec_b64 s[6:7], s[88:89]
	s_cbranch_execz .LBB158_931
; %bb.930:
	v_lshlrev_b32_e32 v13, 9, v0
	ds_read_b64 v[2:3], v13 offset:4096
	s_movk_i32 s12, 0xfe08
	v_mad_i32_i24 v14, v0, s12, v13
	s_waitcnt lgkmcnt(0)
	ds_write_b64 v14, v[2:3] offset:64
	ds_read_b64 v[2:3], v13 offset:4104
	s_waitcnt lgkmcnt(0)
	ds_write_b64 v14, v[2:3] offset:576
	ds_read_b64 v[2:3], v13 offset:4112
	;; [unrolled: 3-line block ×7, first 2 shown]
	s_waitcnt lgkmcnt(0)
	ds_write_b64 v14, v[2:3] offset:3648
.LBB158_931:
	s_or_b64 exec, exec, s[6:7]
	s_waitcnt lgkmcnt(0)
	s_barrier
	s_and_saveexec_b64 s[6:7], vcc
	s_cbranch_execz .LBB158_933
; %bb.932:
	v_mov_b32_e32 v15, 0
	ds_read_b64 v[2:3], v15 offset:3632
	s_mov_b64 s[12:13], 0x3f800000
	v_mov_b32_e32 v14, s13
	v_mov_b32_e32 v13, s12
	s_movk_i32 s12, 0x800
	ds_write_b64 v15, v[13:14] offset:3640
	v_add_u32_e64 v15, s12, 0
	s_waitcnt lgkmcnt(1)
	ds_write2_b64 v15, v[13:14], v[2:3] offset0:134 offset1:135
.LBB158_933:
	s_or_b64 exec, exec, s[6:7]
	v_mov_b32_e32 v2, 0
	v_mov_b32_e32 v3, 0
	s_waitcnt lgkmcnt(0)
	s_barrier
	buffer_wbinvl1_vol
	s_and_saveexec_b64 s[6:7], s[22:23]
	s_cbranch_execz .LBB158_937
; %bb.934:
	v_lshlrev_b32_e32 v2, 3, v4
	v_lshlrev_b32_e32 v13, 9, v5
	ds_read_b64 v[2:3], v2 offset:3104
	ds_read_b64 v[13:14], v13 offset:3120
	v_cmp_gt_u32_e64 s[12:13], 2, v9
	s_waitcnt lgkmcnt(0)
	v_mul_f32_e32 v15, v14, v3
	v_mul_f32_e32 v3, v13, v3
	v_fma_f32 v13, v13, v2, -v15
	v_fmac_f32_e32 v3, v14, v2
	v_add_f32_e32 v2, 0, v13
	v_add_f32_e32 v3, 0, v3
	s_and_saveexec_b64 s[14:15], s[12:13]
	s_cbranch_execz .LBB158_936
; %bb.935:
	v_lshlrev_b32_e32 v13, 3, v0
	v_mov_b32_e32 v15, 0
	ds_read_b64 v[13:14], v13 offset:3616
	ds_read_b64 v[15:16], v15 offset:3640
	s_waitcnt lgkmcnt(0)
	v_mul_f32_e32 v17, v16, v14
	v_mul_f32_e32 v14, v15, v14
	v_fma_f32 v15, v15, v13, -v17
	v_fmac_f32_e32 v14, v16, v13
	v_add_f32_e32 v2, v2, v15
	v_add_f32_e32 v3, v3, v14
.LBB158_936:
	s_or_b64 exec, exec, s[14:15]
.LBB158_937:
	s_or_b64 exec, exec, s[6:7]
	s_and_saveexec_b64 s[6:7], s[42:43]
; %bb.938:
	v_xor_b32_e32 v14, 0x80000000, v3
	v_xor_b32_e32 v13, 0x80000000, v2
	ds_write_b64 v7, v[13:14]
; %bb.939:
	s_or_b64 exec, exec, s[6:7]
	s_waitcnt lgkmcnt(0)
	s_barrier
	s_and_saveexec_b64 s[6:7], s[40:41]
	s_cbranch_execz .LBB158_941
; %bb.940:
	v_mov_b32_e32 v13, 0
	ds_read_b64 v[13:14], v13 offset:2592
	ds_read_b64 v[15:16], v7
	s_waitcnt lgkmcnt(0)
	v_mul_f32_e32 v17, v15, v13
	v_mul_f32_e32 v15, v15, v14
	v_fmac_f32_e32 v15, v16, v13
	v_fma_f32 v13, v16, v14, -v17
	v_add_f32_e32 v2, v2, v13
	v_sub_f32_e32 v3, v3, v15
.LBB158_941:
	s_or_b64 exec, exec, s[6:7]
	s_barrier
	s_and_saveexec_b64 s[6:7], s[40:41]
; %bb.942:
	v_xor_b32_e32 v14, 0x80000000, v3
	v_xor_b32_e32 v13, 0x80000000, v2
	ds_write_b64 v7, v[13:14]
; %bb.943:
	s_or_b64 exec, exec, s[6:7]
	s_waitcnt lgkmcnt(0)
	s_barrier
	s_barrier
	s_and_saveexec_b64 s[6:7], s[22:23]
; %bb.944:
	v_lshlrev_b32_e32 v13, 3, v4
	v_lshl_or_b32 v13, v5, 9, v13
	ds_write_b64 v13, v[2:3] offset:3104
; %bb.945:
	s_or_b64 exec, exec, s[6:7]
	s_waitcnt lgkmcnt(0)
	s_barrier
	s_barrier
	s_and_saveexec_b64 s[6:7], s[44:45]
	s_cbranch_execz .LBB158_947
; %bb.946:
	v_lshlrev_b32_e32 v13, 3, v0
	s_movk_i32 s12, 0x1f8
	v_mad_u32_u24 v14, v0, s12, v13
	ds_read_b64 v[2:3], v14 offset:3104
	s_waitcnt lgkmcnt(0)
	ds_write_b64 v13, v[2:3] offset:2096
	ds_read_b64 v[2:3], v14 offset:3112
	s_waitcnt lgkmcnt(0)
	ds_write_b64 v13, v[2:3] offset:2608
.LBB158_947:
	s_or_b64 exec, exec, s[6:7]
	s_waitcnt lgkmcnt(0)
	s_barrier
	s_and_saveexec_b64 s[6:7], vcc
	s_cbranch_execz .LBB158_949
; %bb.948:
	v_mov_b32_e32 v15, 0
	ds_read_b64 v[2:3], v15 offset:2592
	s_mov_b64 s[12:13], 0x3f800000
	v_mov_b32_e32 v14, s13
	v_mov_b32_e32 v13, s12
	s_movk_i32 s12, 0x800
	ds_write_b64 v15, v[13:14] offset:2600
	v_add_u32_e64 v15, s12, 0
	s_waitcnt lgkmcnt(1)
	ds_write2_b64 v15, v[13:14], v[2:3] offset0:4 offset1:5
.LBB158_949:
	s_or_b64 exec, exec, s[6:7]
	v_mov_b32_e32 v3, 0
	v_mov_b32_e32 v2, 0
	s_waitcnt lgkmcnt(0)
	s_barrier
	buffer_wbinvl1_vol
	s_and_saveexec_b64 s[6:7], s[10:11]
	s_cbranch_execz .LBB158_955
; %bb.950:
	v_lshlrev_b32_e32 v13, 3, v10
	v_lshlrev_b32_e32 v14, 9, v11
	ds_read_b64 v[2:3], v13 offset:2048
	ds_read_b64 v[15:16], v14 offset:2080
	v_cmp_gt_u32_e64 s[12:13], 12, v9
	s_waitcnt lgkmcnt(0)
	v_mul_f32_e32 v17, v16, v3
	v_mul_f32_e32 v3, v15, v3
	v_fma_f32 v15, v15, v2, -v17
	v_fmac_f32_e32 v3, v16, v2
	v_add_f32_e32 v2, 0, v15
	v_add_f32_e32 v3, 0, v3
	s_and_saveexec_b64 s[14:15], s[12:13]
	s_cbranch_execnz .LBB158_1100
; %bb.951:
	s_or_b64 exec, exec, s[14:15]
	v_cmp_gt_u32_e64 s[12:13], 8, v9
	s_and_saveexec_b64 s[14:15], s[12:13]
	s_cbranch_execnz .LBB158_1101
.LBB158_952:
	s_or_b64 exec, exec, s[14:15]
	v_cmp_gt_u32_e64 s[12:13], 4, v9
	s_and_saveexec_b64 s[14:15], s[12:13]
	s_cbranch_execz .LBB158_954
.LBB158_953:
	v_lshlrev_b32_e32 v13, 3, v0
	v_mov_b32_e32 v15, 0
	ds_read_b64 v[13:14], v13 offset:3584
	ds_read_b64 v[15:16], v15 offset:3640
	s_waitcnt lgkmcnt(0)
	v_mul_f32_e32 v17, v16, v14
	v_mul_f32_e32 v14, v15, v14
	v_fma_f32 v15, v15, v13, -v17
	v_fmac_f32_e32 v14, v16, v13
	v_add_f32_e32 v2, v2, v15
	v_add_f32_e32 v3, v3, v14
.LBB158_954:
	s_or_b64 exec, exec, s[14:15]
.LBB158_955:
	s_or_b64 exec, exec, s[6:7]
	s_and_saveexec_b64 s[6:7], s[48:49]
; %bb.956:
	v_xor_b32_e32 v13, 0x80000000, v2
	v_xor_b32_e32 v14, 0x80000000, v3
	ds_write_b64 v12, v[13:14]
; %bb.957:
	s_or_b64 exec, exec, s[6:7]
	s_waitcnt lgkmcnt(0)
	s_barrier
	s_and_saveexec_b64 s[6:7], s[50:51]
	s_load_dword s20, s[4:5], 0x6c
	v_readlane_b32 s48, v29, 0
	v_readlane_b32 s49, v29, 1
	s_cbranch_execz .LBB158_959
; %bb.958:
	v_lshlrev_b32_e32 v13, 3, v10
	ds_read_b64 v[13:14], v13 offset:1536
	ds_read_b64 v[15:16], v12
	s_waitcnt lgkmcnt(0)
	v_mul_f32_e32 v17, v16, v14
	v_mul_f32_e32 v14, v15, v14
	v_fma_f32 v15, v15, v13, -v17
	v_fmac_f32_e32 v14, v16, v13
	v_sub_f32_e32 v2, v2, v15
	v_sub_f32_e32 v3, v3, v14
.LBB158_959:
	s_or_b64 exec, exec, s[6:7]
	s_waitcnt lgkmcnt(0)
	s_barrier
	s_and_saveexec_b64 s[6:7], s[52:53]
; %bb.960:
	v_xor_b32_e32 v13, 0x80000000, v2
	v_xor_b32_e32 v14, 0x80000000, v3
	ds_write_b64 v12, v[13:14]
; %bb.961:
	s_or_b64 exec, exec, s[6:7]
	s_waitcnt lgkmcnt(0)
	s_barrier
	s_and_saveexec_b64 s[6:7], s[54:55]
	s_cbranch_execz .LBB158_963
; %bb.962:
	v_lshlrev_b32_e32 v13, 3, v10
	ds_read_b64 v[13:14], v13 offset:1024
	ds_read_b64 v[15:16], v12
	s_waitcnt lgkmcnt(0)
	v_mul_f32_e32 v17, v16, v14
	v_mul_f32_e32 v14, v15, v14
	v_fma_f32 v15, v15, v13, -v17
	v_fmac_f32_e32 v14, v16, v13
	v_sub_f32_e32 v2, v2, v15
	v_sub_f32_e32 v3, v3, v14
.LBB158_963:
	s_or_b64 exec, exec, s[6:7]
	s_barrier
	s_and_saveexec_b64 s[6:7], s[56:57]
; %bb.964:
	v_xor_b32_e32 v13, 0x80000000, v2
	v_xor_b32_e32 v14, 0x80000000, v3
	ds_write_b64 v12, v[13:14]
; %bb.965:
	s_or_b64 exec, exec, s[6:7]
	s_waitcnt lgkmcnt(0)
	s_barrier
	s_and_saveexec_b64 s[6:7], s[46:47]
	s_cbranch_execz .LBB158_967
; %bb.966:
	v_mov_b32_e32 v13, 0
	ds_read_b64 v[13:14], v13 offset:512
	ds_read_b64 v[15:16], v12
	s_waitcnt lgkmcnt(0)
	v_mul_f32_e32 v17, v16, v14
	v_mul_f32_e32 v14, v15, v14
	v_fma_f32 v15, v15, v13, -v17
	v_fmac_f32_e32 v14, v16, v13
	v_sub_f32_e32 v2, v2, v15
	v_sub_f32_e32 v3, v3, v14
.LBB158_967:
	s_or_b64 exec, exec, s[6:7]
	s_barrier
	s_and_saveexec_b64 s[6:7], s[46:47]
; %bb.968:
	v_xor_b32_e32 v13, 0x80000000, v2
	v_xor_b32_e32 v14, 0x80000000, v3
	ds_write_b64 v12, v[13:14]
; %bb.969:
	s_or_b64 exec, exec, s[6:7]
	s_waitcnt lgkmcnt(0)
	s_barrier
	s_barrier
	s_and_saveexec_b64 s[6:7], s[10:11]
; %bb.970:
	v_lshlrev_b32_e32 v10, 3, v10
	v_lshl_or_b32 v10, v11, 9, v10
	ds_write_b64 v10, v[2:3] offset:2048
; %bb.971:
	s_or_b64 exec, exec, s[6:7]
	s_waitcnt lgkmcnt(0)
	s_barrier
	s_barrier
	s_and_saveexec_b64 s[6:7], s[58:59]
	s_cbranch_execz .LBB158_973
; %bb.972:
	v_lshlrev_b32_e32 v10, 9, v0
	ds_read_b64 v[2:3], v10 offset:2048
	s_movk_i32 s10, 0xfe08
	v_mad_i32_i24 v11, v0, s10, v10
	s_waitcnt lgkmcnt(0)
	ds_write_b64 v11, v[2:3] offset:32
	ds_read_b64 v[2:3], v10 offset:2056
	s_waitcnt lgkmcnt(0)
	ds_write_b64 v11, v[2:3] offset:544
	ds_read_b64 v[2:3], v10 offset:2064
	;; [unrolled: 3-line block ×3, first 2 shown]
	s_waitcnt lgkmcnt(0)
	ds_write_b64 v11, v[2:3] offset:1568
.LBB158_973:
	s_or_b64 exec, exec, s[6:7]
	s_waitcnt lgkmcnt(0)
	s_barrier
	s_and_saveexec_b64 s[6:7], vcc
	s_cbranch_execz .LBB158_975
; %bb.974:
	v_mov_b32_e32 v12, 0
	ds_read_b64 v[2:3], v12 offset:1552
	s_mov_b64 s[10:11], 0x3f800000
	v_mov_b32_e32 v10, s10
	v_mov_b32_e32 v11, s11
	ds_write_b64 v12, v[10:11] offset:1560
	s_waitcnt lgkmcnt(1)
	ds_write2_b64 v12, v[10:11], v[2:3] offset0:130 offset1:131
.LBB158_975:
	s_or_b64 exec, exec, s[6:7]
	v_mov_b32_e32 v2, 0
	v_mov_b32_e32 v3, 0
	s_waitcnt lgkmcnt(0)
	s_barrier
	buffer_wbinvl1_vol
	s_and_saveexec_b64 s[6:7], s[22:23]
	s_cbranch_execz .LBB158_979
; %bb.976:
	v_lshlrev_b32_e32 v2, 3, v4
	v_lshlrev_b32_e32 v10, 9, v5
	ds_read_b64 v[2:3], v2 offset:1024
	ds_read_b64 v[10:11], v10 offset:1040
	v_cmp_gt_u32_e64 s[10:11], 2, v9
	s_waitcnt lgkmcnt(0)
	v_mul_f32_e32 v12, v11, v3
	v_mul_f32_e32 v3, v10, v3
	v_fma_f32 v10, v10, v2, -v12
	v_fmac_f32_e32 v3, v11, v2
	v_add_f32_e32 v2, 0, v10
	v_add_f32_e32 v3, 0, v3
	s_and_saveexec_b64 s[12:13], s[10:11]
	s_cbranch_execz .LBB158_978
; %bb.977:
	v_lshlrev_b32_e32 v9, 3, v0
	v_mov_b32_e32 v11, 0
	ds_read_b64 v[9:10], v9 offset:1536
	ds_read_b64 v[11:12], v11 offset:1560
	s_waitcnt lgkmcnt(0)
	v_mul_f32_e32 v13, v12, v10
	v_mul_f32_e32 v10, v11, v10
	v_fma_f32 v11, v11, v9, -v13
	v_fmac_f32_e32 v10, v12, v9
	v_add_f32_e32 v2, v2, v11
	v_add_f32_e32 v3, v3, v10
.LBB158_978:
	s_or_b64 exec, exec, s[12:13]
.LBB158_979:
	s_or_b64 exec, exec, s[6:7]
	s_and_saveexec_b64 s[6:7], s[42:43]
; %bb.980:
	v_xor_b32_e32 v10, 0x80000000, v3
	v_xor_b32_e32 v9, 0x80000000, v2
	ds_write_b64 v7, v[9:10]
; %bb.981:
	s_or_b64 exec, exec, s[6:7]
	s_waitcnt lgkmcnt(0)
	s_barrier
	s_and_saveexec_b64 s[6:7], s[40:41]
	s_cbranch_execz .LBB158_983
; %bb.982:
	v_mov_b32_e32 v9, 0
	ds_read_b64 v[9:10], v9 offset:512
	ds_read_b64 v[11:12], v7
	s_waitcnt lgkmcnt(0)
	v_mul_f32_e32 v13, v11, v9
	v_mul_f32_e32 v11, v11, v10
	v_fmac_f32_e32 v11, v12, v9
	v_fma_f32 v9, v12, v10, -v13
	v_add_f32_e32 v2, v2, v9
	v_sub_f32_e32 v3, v3, v11
.LBB158_983:
	s_or_b64 exec, exec, s[6:7]
	s_barrier
	s_and_saveexec_b64 s[6:7], s[40:41]
; %bb.984:
	v_xor_b32_e32 v10, 0x80000000, v3
	v_xor_b32_e32 v9, 0x80000000, v2
	ds_write_b64 v7, v[9:10]
; %bb.985:
	s_or_b64 exec, exec, s[6:7]
	s_waitcnt lgkmcnt(0)
	s_barrier
	s_barrier
	s_and_saveexec_b64 s[6:7], s[22:23]
; %bb.986:
	v_lshlrev_b32_e32 v4, 3, v4
	v_lshl_or_b32 v4, v5, 9, v4
	ds_write_b64 v4, v[2:3] offset:1024
; %bb.987:
	s_or_b64 exec, exec, s[6:7]
	s_waitcnt lgkmcnt(0)
	s_barrier
	s_barrier
	s_and_saveexec_b64 s[6:7], s[44:45]
	s_cbranch_execz .LBB158_989
; %bb.988:
	v_lshlrev_b32_e32 v4, 3, v0
	s_movk_i32 s10, 0x1f8
	v_mad_u32_u24 v5, v0, s10, v4
	ds_read_b64 v[2:3], v5 offset:1024
	s_waitcnt lgkmcnt(0)
	ds_write_b64 v4, v[2:3] offset:16
	ds_read_b64 v[2:3], v5 offset:1032
	s_waitcnt lgkmcnt(0)
	ds_write_b64 v4, v[2:3] offset:528
.LBB158_989:
	s_or_b64 exec, exec, s[6:7]
	s_waitcnt lgkmcnt(0)
	s_barrier
	s_and_saveexec_b64 s[6:7], vcc
	s_cbranch_execz .LBB158_991
; %bb.990:
	v_mov_b32_e32 v7, 0
	ds_read_b64 v[2:3], v7 offset:512
	s_mov_b64 s[10:11], 0x3f800000
	v_mov_b32_e32 v4, s10
	v_mov_b32_e32 v5, s11
	ds_write_b64 v7, v[4:5] offset:520
	s_waitcnt lgkmcnt(1)
	ds_write2_b64 v7, v[4:5], v[2:3] offset1:1
.LBB158_991:
	s_or_b64 exec, exec, s[6:7]
.LBB158_992:
	s_load_dwordx4 s[12:15], s[4:5], 0x30
	v_cmp_le_i32_e32 vcc, s9, v0
	v_cmp_eq_u32_e64 s[16:17], 0, v1
	v_mov_b32_e32 v2, 0
	v_lshl_add_u32 v4, s8, 6, v0
	s_waitcnt lgkmcnt(0)
	s_lshl_b64 s[6:7], s[14:15], 3
	s_add_u32 s26, s38, s6
	s_addc_u32 s27, s39, s7
	s_and_b64 s[18:19], vcc, s[34:35]
	s_xor_b64 s[6:7], s[18:19], -1
	s_and_b64 s[10:11], s[16:17], s[6:7]
	v_mov_b32_e32 v3, v2
	s_barrier
	s_and_saveexec_b64 s[6:7], s[10:11]
	s_cbranch_execz .LBB158_994
; %bb.993:
	v_ashrrev_i32_e32 v5, 31, v4
	v_mul_lo_u32 v7, s31, v4
	v_mad_u64_u32 v[2:3], s[10:11], s30, v4, 0
	v_mul_lo_u32 v5, s30, v5
	s_load_dwordx2 s[10:11], s[4:5], 0x28
	v_add3_u32 v3, v3, v5, v7
	v_lshlrev_b64 v[2:3], 3, v[2:3]
	v_mov_b32_e32 v5, s27
	v_add_co_u32_e32 v2, vcc, s26, v2
	v_addc_co_u32_e32 v3, vcc, v5, v3, vcc
	flat_load_dwordx2 v[9:10], v[2:3]
	s_waitcnt vmcnt(0) lgkmcnt(0)
	v_mul_f32_e32 v2, s10, v9
	v_mul_f32_e32 v3, s10, v10
	v_fma_f32 v2, s11, v10, -v2
	v_fma_f32 v3, v9, -s11, -v3
.LBB158_994:
	s_or_b64 exec, exec, s[6:7]
	s_load_dwordx2 s[6:7], s[4:5], 0x50
	s_and_b32 s4, 0xffff, s20
	v_mad_u32_u24 v9, v1, s4, v0
	s_cmp_lt_i32 s8, 1
	v_cmp_eq_u32_e64 s[4:5], 0, v9
	s_cbranch_scc1 .LBB158_1013
; %bb.995:
	v_mad_u64_u32 v[11:12], s[10:11], s36, v4, 0
	v_cmp_gt_i32_e64 s[12:13], s33, v4
	s_mov_b64 s[20:21], src_private_base
	v_mov_b32_e32 v5, v12
	v_mad_u64_u32 v[12:13], s[10:11], s37, v4, v[5:6]
	v_mov_b32_e32 v5, 0xa000
	v_lshl_add_u32 v7, v9, 3, v5
	v_lshl_or_b32 v10, v1, 3, v5
	v_lshlrev_b64 v[4:5], 3, v[11:12]
	s_lshl_b64 s[10:11], s[28:29], 2
	s_waitcnt lgkmcnt(0)
	s_add_u32 s22, s6, s10
	v_mov_b32_e32 v12, s91
	v_add_co_u32_e32 v11, vcc, s90, v4
	s_mov_b32 s20, 0
	s_addc_u32 s23, s7, s11
	v_cmp_gt_u32_e64 s[10:11], 64, v9
	s_add_i32 s36, s8, -1
	v_addc_co_u32_e32 v12, vcc, v12, v5, vcc
	v_mov_b32_e32 v15, -1
	v_mov_b32_e32 v5, 0
	v_mov_b32_e32 v13, 0
	;; [unrolled: 1-line block ×5, first 2 shown]
	s_branch .LBB158_997
.LBB158_996:                            ;   in Loop: Header=BB158_997 Depth=1
	s_or_b64 exec, exec, s[24:25]
	s_add_i32 s20, s20, 1
	s_cmp_eq_u32 s20, s8
	s_cbranch_scc1 .LBB158_1013
.LBB158_997:                            ; =>This Loop Header: Depth=1
                                        ;     Child Loop BB158_999 Depth 2
	v_cmp_gt_i32_e32 vcc, s20, v15
	s_and_b64 s[24:25], s[4:5], vcc
	s_and_saveexec_b64 s[14:15], s[24:25]
	s_cbranch_execz .LBB158_1000
; %bb.998:                              ;   in Loop: Header=BB158_997 Depth=1
	global_load_dword v15, v5, s[22:23]
	s_waitcnt vmcnt(0)
	v_cmp_le_i32_e32 vcc, s20, v15
	s_cbranch_vccnz .LBB158_1000
.LBB158_999:                            ;   Parent Loop BB158_997 Depth=1
                                        ; =>  This Inner Loop Header: Depth=2
	buffer_wbinvl1_vol
	global_load_dword v15, v5, s[22:23]
	s_waitcnt vmcnt(0)
	v_cmp_gt_i32_e32 vcc, s20, v15
	s_cbranch_vccnz .LBB158_999
.LBB158_1000:                           ;   in Loop: Header=BB158_997 Depth=1
	s_or_b64 exec, exec, s[14:15]
	s_lshl_b32 s37, s20, 6
	buffer_wbinvl1_vol
	s_barrier
	s_and_saveexec_b64 s[14:15], s[10:11]
	s_cbranch_execz .LBB158_1005
; %bb.1001:                             ;   in Loop: Header=BB158_997 Depth=1
	v_or_b32_e32 v4, s37, v9
	v_cmp_le_i32_e32 vcc, s33, v4
	s_and_saveexec_b64 s[24:25], vcc
	s_xor_b64 s[24:25], exec, s[24:25]
; %bb.1002:                             ;   in Loop: Header=BB158_997 Depth=1
	v_mov_b32_e32 v4, v5
	ds_write_b64 v7, v[4:5]
                                        ; implicit-def: $vgpr4
; %bb.1003:                             ;   in Loop: Header=BB158_997 Depth=1
	s_andn2_saveexec_b64 s[24:25], s[24:25]
	s_cbranch_execz .LBB158_1005
; %bb.1004:                             ;   in Loop: Header=BB158_997 Depth=1
	v_mad_u64_u32 v[18:19], s[24:25], s30, v4, 0
	v_mad_u64_u32 v[19:20], s[24:25], s31, v4, v[19:20]
	v_mov_b32_e32 v4, s27
	v_lshlrev_b64 v[18:19], 3, v[18:19]
	v_add_co_u32_e32 v18, vcc, s26, v18
	v_addc_co_u32_e32 v19, vcc, v4, v19, vcc
	flat_load_dwordx2 v[18:19], v[18:19]
	s_waitcnt vmcnt(0) lgkmcnt(0)
	ds_write_b64 v7, v[18:19]
.LBB158_1005:                           ;   in Loop: Header=BB158_997 Depth=1
	s_or_b64 exec, exec, s[14:15]
	v_add_u32_e32 v4, s37, v1
	v_lshlrev_b64 v[19:20], 3, v[4:5]
	s_cmp_eq_u32 s20, s36
	v_add_co_u32_e32 v19, vcc, v11, v19
	v_addc_co_u32_e32 v18, vcc, v12, v20, vcc
	v_cmp_gt_i32_e32 vcc, s33, v4
	s_cselect_b64 s[14:15], -1, 0
	s_and_b64 s[38:39], vcc, s[12:13]
	s_waitcnt lgkmcnt(0)
	s_barrier
	s_and_saveexec_b64 s[24:25], s[38:39]
	s_cbranch_execz .LBB158_1007
; %bb.1006:                             ;   in Loop: Header=BB158_997 Depth=1
	v_mov_b32_e32 v20, s21
	v_cndmask_b32_e64 v21, v18, v20, s[14:15]
	v_cndmask_b32_e64 v20, v19, v13, s[14:15]
	flat_load_dwordx2 v[20:21], v[20:21]
	ds_read_b64 v[22:23], v10
	s_waitcnt vmcnt(0) lgkmcnt(0)
	v_mul_f32_e32 v24, v23, v21
	v_mul_f32_e32 v21, v22, v21
	v_fma_f32 v22, v22, v20, -v24
	v_fmac_f32_e32 v21, v23, v20
	v_add_f32_e32 v2, v2, v22
	v_add_f32_e32 v3, v3, v21
.LBB158_1007:                           ;   in Loop: Header=BB158_997 Depth=1
	s_or_b64 exec, exec, s[24:25]
	v_add_u32_e32 v20, 16, v4
	v_cmp_gt_i32_e32 vcc, s33, v20
	s_and_b64 s[38:39], vcc, s[12:13]
	s_and_saveexec_b64 s[24:25], s[38:39]
	s_cbranch_execz .LBB158_1009
; %bb.1008:                             ;   in Loop: Header=BB158_997 Depth=1
	v_add_co_u32_e32 v20, vcc, 0x80, v19
	v_addc_co_u32_e32 v21, vcc, 0, v18, vcc
	v_mov_b32_e32 v22, s21
	v_cndmask_b32_e64 v21, v21, v22, s[14:15]
	v_cndmask_b32_e64 v20, v20, v14, s[14:15]
	flat_load_dwordx2 v[20:21], v[20:21]
	ds_read_b64 v[22:23], v10 offset:128
	s_waitcnt vmcnt(0) lgkmcnt(0)
	v_mul_f32_e32 v24, v23, v21
	v_mul_f32_e32 v21, v22, v21
	v_fma_f32 v22, v22, v20, -v24
	v_fmac_f32_e32 v21, v23, v20
	v_add_f32_e32 v2, v2, v22
	v_add_f32_e32 v3, v3, v21
.LBB158_1009:                           ;   in Loop: Header=BB158_997 Depth=1
	s_or_b64 exec, exec, s[24:25]
	v_add_u32_e32 v20, 32, v4
	v_cmp_gt_i32_e32 vcc, s33, v20
	s_and_b64 s[38:39], vcc, s[12:13]
	s_and_saveexec_b64 s[24:25], s[38:39]
	s_cbranch_execz .LBB158_1011
; %bb.1010:                             ;   in Loop: Header=BB158_997 Depth=1
	v_add_co_u32_e32 v20, vcc, 0x100, v19
	v_addc_co_u32_e32 v21, vcc, 0, v18, vcc
	v_mov_b32_e32 v22, s21
	v_cndmask_b32_e64 v21, v21, v22, s[14:15]
	v_cndmask_b32_e64 v20, v20, v16, s[14:15]
	flat_load_dwordx2 v[20:21], v[20:21]
	ds_read_b64 v[22:23], v10 offset:256
	s_waitcnt vmcnt(0) lgkmcnt(0)
	v_mul_f32_e32 v24, v23, v21
	v_mul_f32_e32 v21, v22, v21
	v_fma_f32 v22, v22, v20, -v24
	v_fmac_f32_e32 v21, v23, v20
	v_add_f32_e32 v2, v2, v22
	v_add_f32_e32 v3, v3, v21
.LBB158_1011:                           ;   in Loop: Header=BB158_997 Depth=1
	s_or_b64 exec, exec, s[24:25]
	v_add_u32_e32 v4, 48, v4
	v_cmp_gt_i32_e32 vcc, s33, v4
	s_and_b64 s[38:39], vcc, s[12:13]
	s_and_saveexec_b64 s[24:25], s[38:39]
	s_cbranch_execz .LBB158_996
; %bb.1012:                             ;   in Loop: Header=BB158_997 Depth=1
	v_add_co_u32_e32 v4, vcc, 0x180, v19
	v_addc_co_u32_e32 v18, vcc, 0, v18, vcc
	v_mov_b32_e32 v19, s21
	v_cndmask_b32_e64 v19, v18, v19, s[14:15]
	v_cndmask_b32_e64 v18, v4, v17, s[14:15]
	flat_load_dwordx2 v[18:19], v[18:19]
	ds_read_b64 v[20:21], v10 offset:384
	s_waitcnt vmcnt(0) lgkmcnt(0)
	v_mul_f32_e32 v4, v21, v19
	v_mul_f32_e32 v19, v20, v19
	v_fma_f32 v4, v20, v18, -v4
	v_fmac_f32_e32 v19, v21, v18
	v_add_f32_e32 v2, v2, v4
	v_add_f32_e32 v3, v3, v19
	s_branch .LBB158_996
.LBB158_1013:
	s_xor_b64 s[4:5], s[34:35], -1
	v_lshlrev_b32_e32 v6, 3, v6
	ds_write_b64 v6, v[2:3] offset:32768
	s_waitcnt lgkmcnt(0)
	s_barrier
	s_and_saveexec_b64 s[10:11], s[16:17]
	s_cbranch_execz .LBB158_1015
; %bb.1014:
	v_lshlrev_b32_e32 v7, 3, v0
	ds_read2st64_b64 v[10:13], v7 offset0:65 offset1:66
	ds_read2st64_b64 v[14:17], v7 offset0:67 offset1:68
	ds_read_b64 v[18:19], v7 offset:40448
	s_waitcnt lgkmcnt(2)
	v_add_f32_e32 v2, v2, v10
	v_add_f32_e32 v3, v3, v11
	;; [unrolled: 1-line block ×4, first 2 shown]
	ds_read2st64_b64 v[2:5], v7 offset0:69 offset1:70
	s_waitcnt lgkmcnt(2)
	v_add_f32_e32 v10, v10, v14
	v_add_f32_e32 v11, v11, v15
	;; [unrolled: 1-line block ×4, first 2 shown]
	s_waitcnt lgkmcnt(0)
	v_add_f32_e32 v2, v10, v2
	ds_read2st64_b64 v[10:13], v7 offset0:71 offset1:72
	v_add_f32_e32 v3, v14, v3
	v_add_f32_e32 v14, v2, v4
	;; [unrolled: 1-line block ×3, first 2 shown]
	ds_read2st64_b64 v[2:5], v7 offset0:73 offset1:74
	s_waitcnt lgkmcnt(1)
	v_add_f32_e32 v10, v14, v10
	v_add_f32_e32 v11, v15, v11
	;; [unrolled: 1-line block ×4, first 2 shown]
	s_waitcnt lgkmcnt(0)
	v_add_f32_e32 v2, v10, v2
	ds_read2st64_b64 v[10:13], v7 offset0:75 offset1:76
	v_add_f32_e32 v3, v14, v3
	v_add_f32_e32 v14, v2, v4
	;; [unrolled: 1-line block ×3, first 2 shown]
	ds_read2st64_b64 v[2:5], v7 offset0:77 offset1:78
	s_waitcnt lgkmcnt(1)
	v_add_f32_e32 v7, v14, v10
	v_add_f32_e32 v10, v15, v11
	;; [unrolled: 1-line block ×4, first 2 shown]
	s_waitcnt lgkmcnt(0)
	v_add_f32_e32 v2, v7, v2
	v_add_f32_e32 v3, v10, v3
	;; [unrolled: 1-line block ×6, first 2 shown]
	v_cndmask_b32_e64 v2, -v2, 0, s[18:19]
	v_cndmask_b32_e64 v3, -v3, 0, s[18:19]
.LBB158_1015:
	s_or_b64 exec, exec, s[10:11]
	s_and_b64 vcc, exec, s[48:49]
	s_cbranch_vccnz .LBB158_1028
; %bb.1016:
	v_mov_b32_e32 v4, 0xa000
	v_lshl_or_b32 v7, v1, 3, v4
	s_and_saveexec_b64 s[10:11], s[16:17]
; %bb.1017:
	v_lshl_add_u32 v4, v0, 3, v7
	ds_write_b64 v4, v[2:3]
; %bb.1018:
	s_or_b64 exec, exec, s[10:11]
	v_cmp_le_u32_e32 vcc, v1, v0
	v_mov_b32_e32 v4, 0
	v_mov_b32_e32 v5, 0
	s_waitcnt lgkmcnt(0)
	s_barrier
	s_and_saveexec_b64 s[10:11], vcc
	s_cbranch_execz .LBB158_1020
; %bb.1019:
	ds_read_b64 v[4:5], v6
	ds_read_b64 v[10:11], v7
	s_waitcnt lgkmcnt(0)
	v_mul_f32_e32 v12, v11, v5
	v_mul_f32_e32 v5, v10, v5
	v_fma_f32 v10, v10, v4, -v12
	v_fmac_f32_e32 v5, v11, v4
	v_add_f32_e32 v4, 0, v10
	v_add_f32_e32 v5, 0, v5
.LBB158_1020:
	s_or_b64 exec, exec, s[10:11]
	v_add_u32_e32 v10, 16, v1
	v_cmp_ge_u32_e32 vcc, v0, v10
	s_and_saveexec_b64 s[10:11], vcc
	s_cbranch_execz .LBB158_1022
; %bb.1021:
	ds_read_b64 v[10:11], v6 offset:8192
	ds_read_b64 v[12:13], v7 offset:128
	s_waitcnt lgkmcnt(0)
	v_mul_f32_e32 v14, v13, v11
	v_mul_f32_e32 v11, v12, v11
	v_fma_f32 v12, v12, v10, -v14
	v_fmac_f32_e32 v11, v13, v10
	v_add_f32_e32 v4, v4, v12
	v_add_f32_e32 v5, v5, v11
.LBB158_1022:
	s_or_b64 exec, exec, s[10:11]
	v_add_u32_e32 v10, 32, v1
	v_cmp_ge_u32_e32 vcc, v0, v10
	s_and_saveexec_b64 s[10:11], vcc
	s_cbranch_execz .LBB158_1024
; %bb.1023:
	ds_read_b64 v[10:11], v6 offset:16384
	ds_read_b64 v[12:13], v7 offset:256
	s_waitcnt lgkmcnt(0)
	v_mul_f32_e32 v14, v13, v11
	v_mul_f32_e32 v11, v12, v11
	v_fma_f32 v12, v12, v10, -v14
	v_fmac_f32_e32 v11, v13, v10
	v_add_f32_e32 v4, v4, v12
	v_add_f32_e32 v5, v5, v11
.LBB158_1024:
	s_or_b64 exec, exec, s[10:11]
	v_add_u32_e32 v1, 48, v1
	v_add_u32_e32 v10, 0x8000, v6
	v_cmp_ge_u32_e32 vcc, v0, v1
	s_and_saveexec_b64 s[10:11], vcc
	s_cbranch_execz .LBB158_1026
; %bb.1025:
	ds_read_b64 v[11:12], v6 offset:24576
	ds_read_b64 v[6:7], v7 offset:384
	s_waitcnt lgkmcnt(0)
	v_mul_f32_e32 v1, v7, v12
	v_mul_f32_e32 v12, v6, v12
	v_fma_f32 v1, v6, v11, -v1
	v_fmac_f32_e32 v12, v7, v11
	v_add_f32_e32 v4, v4, v1
	v_add_f32_e32 v5, v5, v12
.LBB158_1026:
	s_or_b64 exec, exec, s[10:11]
	s_mov_b64 s[12:13], 0
	s_mov_b64 s[10:11], 0
	ds_write_b64 v10, v[4:5]
	s_waitcnt lgkmcnt(0)
	s_barrier
                                        ; implicit-def: $vgpr1
                                        ; implicit-def: $vgpr10
                                        ; implicit-def: $vgpr6_vgpr7
	s_and_saveexec_b64 s[14:15], s[16:17]
	s_cbranch_execz .LBB158_1041
; %bb.1027:
	v_lshlrev_b32_e32 v1, 3, v0
	ds_read2st64_b64 v[10:13], v1 offset0:65 offset1:66
	ds_read2st64_b64 v[14:17], v1 offset0:67 offset1:68
	ds_read_b64 v[18:19], v1 offset:40448
	s_mov_b64 s[10:11], exec
	s_waitcnt lgkmcnt(2)
	v_add_f32_e32 v4, v4, v10
	v_add_f32_e32 v5, v5, v11
	;; [unrolled: 1-line block ×4, first 2 shown]
	ds_read2st64_b64 v[4:7], v1 offset0:69 offset1:70
	s_waitcnt lgkmcnt(2)
	v_add_f32_e32 v10, v10, v14
	v_add_f32_e32 v11, v11, v15
	;; [unrolled: 1-line block ×4, first 2 shown]
	s_waitcnt lgkmcnt(0)
	v_add_f32_e32 v4, v10, v4
	ds_read2st64_b64 v[10:13], v1 offset0:71 offset1:72
	v_add_f32_e32 v5, v14, v5
	v_add_f32_e32 v14, v4, v6
	;; [unrolled: 1-line block ×3, first 2 shown]
	ds_read2st64_b64 v[4:7], v1 offset0:73 offset1:74
	s_waitcnt lgkmcnt(1)
	v_add_f32_e32 v10, v14, v10
	v_add_f32_e32 v11, v15, v11
	;; [unrolled: 1-line block ×4, first 2 shown]
	s_waitcnt lgkmcnt(0)
	v_add_f32_e32 v4, v10, v4
	ds_read2st64_b64 v[10:13], v1 offset0:75 offset1:76
	v_add_f32_e32 v5, v14, v5
	v_add_f32_e32 v4, v4, v6
	;; [unrolled: 1-line block ×3, first 2 shown]
	ds_read2st64_b64 v[14:17], v1 offset0:77 offset1:78
	s_waitcnt lgkmcnt(1)
	v_add_f32_e32 v1, v4, v10
	v_add_f32_e32 v4, v5, v11
	v_lshl_add_u32 v5, s8, 6, v9
	v_mad_u64_u32 v[6:7], s[18:19], s30, v5, 0
	v_add_f32_e32 v1, v1, v12
	s_waitcnt lgkmcnt(0)
	v_add_f32_e32 v1, v1, v14
	v_add_f32_e32 v4, v4, v13
	;; [unrolled: 1-line block ×3, first 2 shown]
	v_mov_b32_e32 v1, v7
	v_add_f32_e32 v10, v4, v15
	v_mad_u64_u32 v[4:5], s[18:19], s31, v5, v[1:2]
	v_add_f32_e32 v1, v10, v17
	v_add_f32_e32 v10, v11, v18
	;; [unrolled: 1-line block ×3, first 2 shown]
	v_mov_b32_e32 v7, v4
	s_or_b64 exec, exec, s[14:15]
	s_and_b64 vcc, exec, s[12:13]
	s_cbranch_vccnz .LBB158_1029
	s_branch .LBB158_1042
.LBB158_1028:
	s_mov_b64 s[10:11], 0
                                        ; implicit-def: $vgpr1
                                        ; implicit-def: $vgpr10
                                        ; implicit-def: $vgpr6_vgpr7
	s_cbranch_execz .LBB158_1042
.LBB158_1029:
	s_mov_b32 s14, 0
	v_mov_b32_e32 v1, 0
	v_mov_b32_e32 v4, v0
	s_branch .LBB158_1031
.LBB158_1030:                           ;   in Loop: Header=BB158_1031 Depth=1
	s_or_b64 exec, exec, s[12:13]
	s_add_i32 s14, s14, 2
	v_add_u32_e32 v8, 0x400, v8
	s_cmp_lg_u32 s14, 64
	v_add_u32_e32 v4, -2, v4
	s_barrier
	s_cbranch_scc0 .LBB158_1039
.LBB158_1031:                           ; =>This Inner Loop Header: Depth=1
	v_cmp_eq_u32_e32 vcc, 0, v4
	s_and_b64 s[18:19], s[16:17], vcc
	s_and_saveexec_b64 s[12:13], s[18:19]
; %bb.1032:                             ;   in Loop: Header=BB158_1031 Depth=1
	ds_write_b64 v1, v[2:3] offset:41472
; %bb.1033:                             ;   in Loop: Header=BB158_1031 Depth=1
	s_or_b64 exec, exec, s[12:13]
	v_cmp_lt_u32_e32 vcc, s14, v0
	s_and_b64 s[18:19], s[16:17], vcc
	s_waitcnt lgkmcnt(0)
	s_barrier
	s_and_saveexec_b64 s[12:13], s[18:19]
	s_cbranch_execz .LBB158_1035
; %bb.1034:                             ;   in Loop: Header=BB158_1031 Depth=1
	ds_read_b64 v[5:6], v8
	ds_read_b64 v[10:11], v1 offset:41472
	s_waitcnt lgkmcnt(0)
	v_mul_f32_e32 v7, v11, v6
	v_mul_f32_e32 v6, v10, v6
	v_fma_f32 v7, v10, v5, -v7
	v_fmac_f32_e32 v6, v11, v5
	v_add_f32_e32 v2, v2, v7
	v_add_f32_e32 v3, v3, v6
.LBB158_1035:                           ;   in Loop: Header=BB158_1031 Depth=1
	s_or_b64 exec, exec, s[12:13]
	s_or_b32 s15, s14, 1
	v_cmp_eq_u32_e32 vcc, s15, v0
	s_and_b64 s[18:19], s[16:17], vcc
	s_barrier
	s_and_saveexec_b64 s[12:13], s[18:19]
; %bb.1036:                             ;   in Loop: Header=BB158_1031 Depth=1
	ds_write_b64 v1, v[2:3] offset:41472
; %bb.1037:                             ;   in Loop: Header=BB158_1031 Depth=1
	s_or_b64 exec, exec, s[12:13]
	v_cmp_lt_u32_e32 vcc, s15, v0
	s_and_b64 s[18:19], s[16:17], vcc
	s_waitcnt lgkmcnt(0)
	s_barrier
	s_and_saveexec_b64 s[12:13], s[18:19]
	s_cbranch_execz .LBB158_1030
; %bb.1038:                             ;   in Loop: Header=BB158_1031 Depth=1
	ds_read_b64 v[5:6], v8 offset:512
	ds_read_b64 v[10:11], v1 offset:41472
	s_waitcnt lgkmcnt(0)
	v_mul_f32_e32 v7, v11, v6
	v_mul_f32_e32 v6, v10, v6
	v_fma_f32 v7, v10, v5, -v7
	v_fmac_f32_e32 v6, v11, v5
	v_add_f32_e32 v2, v2, v7
	v_add_f32_e32 v3, v3, v6
	s_branch .LBB158_1030
.LBB158_1039:
	s_and_b64 vcc, exec, s[4:5]
	s_cbranch_vccz .LBB158_1043
; %bb.1040:
	s_and_b64 s[4:5], s[16:17], exec
	s_cbranch_execz .LBB158_1044
	s_branch .LBB158_1045
.LBB158_1041:
	s_or_b64 exec, exec, s[14:15]
	s_and_b64 vcc, exec, s[12:13]
	s_cbranch_vccnz .LBB158_1029
.LBB158_1042:
	v_mov_b32_e32 v3, v1
	v_mov_b32_e32 v2, v10
	s_and_saveexec_b64 s[4:5], s[10:11]
	s_cbranch_execnz .LBB158_1048
	s_branch .LBB158_1049
.LBB158_1043:
	s_mov_b64 s[4:5], 0
.LBB158_1044:
	v_cmp_gt_i32_e32 vcc, s9, v0
	s_and_b64 s[12:13], s[16:17], vcc
	s_andn2_b64 s[4:5], s[4:5], exec
	s_and_b64 s[12:13], s[12:13], exec
	s_or_b64 s[4:5], s[4:5], s[12:13]
.LBB158_1045:
                                        ; implicit-def: $vgpr6_vgpr7
	s_and_saveexec_b64 s[12:13], s[4:5]
	s_cbranch_execz .LBB158_1047
; %bb.1046:
	s_lshl_b32 s4, s8, 6
	s_ashr_i32 s5, s4, 31
	v_mov_b32_e32 v0, s5
	v_add_co_u32_e32 v1, vcc, s4, v9
	v_addc_co_u32_e32 v0, vcc, 0, v0, vcc
	v_mul_lo_u32 v0, v0, s30
	v_mul_lo_u32 v4, v1, s31
	v_mad_u64_u32 v[6:7], s[4:5], v1, s30, 0
	s_or_b64 s[10:11], s[10:11], exec
	v_add3_u32 v7, v7, v4, v0
.LBB158_1047:
	s_or_b64 exec, exec, s[12:13]
	s_and_saveexec_b64 s[4:5], s[10:11]
	s_cbranch_execz .LBB158_1049
.LBB158_1048:
	v_lshlrev_b64 v[0:1], 3, v[6:7]
	v_mov_b32_e32 v4, s27
	v_add_co_u32_e32 v0, vcc, s26, v0
	v_addc_co_u32_e32 v1, vcc, v4, v1, vcc
	flat_store_dwordx2 v[0:1], v[2:3]
.LBB158_1049:
	s_or_b64 exec, exec, s[4:5]
	v_cmp_eq_u32_e32 vcc, 0, v9
	s_waitcnt vmcnt(0) lgkmcnt(0)
	buffer_wbinvl1_vol
	s_barrier
	s_and_saveexec_b64 s[4:5], vcc
	s_cbranch_execz .LBB158_1051
; %bb.1050:
	s_lshl_b64 s[8:9], s[28:29], 2
	s_add_u32 s6, s6, s8
	s_addc_u32 s7, s7, s9
	v_mov_b32_e32 v0, 0
	global_load_dword v1, v0, s[6:7]
	s_waitcnt vmcnt(0)
	v_add_u32_e32 v1, 1, v1
	global_store_dword v0, v1, s[6:7]
.LBB158_1051:
	s_or_b64 exec, exec, s[4:5]
	s_waitcnt vmcnt(0)
	buffer_wbinvl1_vol
	s_endpgm
.LBB158_1052:
	ds_read_b64 v[15:16], v13 offset:31680
	ds_read_b64 v[17:18], v14 offset:31208
	s_waitcnt lgkmcnt(0)
	v_mul_f32_e32 v19, v18, v16
	v_mul_f32_e32 v16, v17, v16
	v_fma_f32 v17, v17, v15, -v19
	v_fmac_f32_e32 v16, v18, v15
	v_add_f32_e32 v2, v2, v17
	v_add_f32_e32 v3, v3, v16
	s_or_b64 exec, exec, s[18:19]
	v_cmp_gt_u32_e64 s[14:15], 8, v9
	s_and_saveexec_b64 s[18:19], s[14:15]
	s_cbranch_execz .LBB158_92
.LBB158_1053:
	ds_read_b64 v[15:16], v13 offset:32192
	ds_read_b64 v[13:14], v14 offset:31216
	s_waitcnt lgkmcnt(0)
	v_mul_f32_e32 v17, v14, v16
	v_mul_f32_e32 v16, v13, v16
	v_fma_f32 v13, v13, v15, -v17
	v_fmac_f32_e32 v16, v14, v15
	v_add_f32_e32 v2, v2, v13
	v_add_f32_e32 v3, v3, v16
	s_or_b64 exec, exec, s[18:19]
	v_cmp_gt_u32_e64 s[14:15], 4, v9
	s_and_saveexec_b64 s[18:19], s[14:15]
	s_cbranch_execnz .LBB158_93
	s_branch .LBB158_94
.LBB158_1054:
	ds_read_b64 v[18:19], v16 offset:29568
	ds_read_b64 v[20:21], v17 offset:29128
	s_waitcnt lgkmcnt(0)
	v_mul_f32_e32 v22, v21, v19
	v_mul_f32_e32 v19, v20, v19
	v_fma_f32 v20, v20, v18, -v22
	v_fmac_f32_e32 v19, v21, v18
	v_add_f32_e32 v2, v2, v20
	v_add_f32_e32 v3, v3, v19
	s_or_b64 exec, exec, s[20:21]
	v_cmp_gt_u32_e64 s[18:19], 48, v9
	s_and_saveexec_b64 s[20:21], s[18:19]
	s_cbranch_execz .LBB158_134
.LBB158_1055:
	ds_read_b64 v[18:19], v16 offset:30080
	ds_read_b64 v[20:21], v17 offset:29136
	s_waitcnt lgkmcnt(0)
	v_mul_f32_e32 v22, v21, v19
	v_mul_f32_e32 v19, v20, v19
	v_fma_f32 v20, v20, v18, -v22
	v_fmac_f32_e32 v19, v21, v18
	v_add_f32_e32 v2, v2, v20
	v_add_f32_e32 v3, v3, v19
	s_or_b64 exec, exec, s[20:21]
	v_cmp_gt_u32_e64 s[18:19], 40, v9
	s_and_saveexec_b64 s[20:21], s[18:19]
	s_cbranch_execz .LBB158_135
.LBB158_1056:
	ds_read_b64 v[18:19], v16 offset:30592
	ds_read_b64 v[20:21], v17 offset:29144
	s_waitcnt lgkmcnt(0)
	v_mul_f32_e32 v22, v21, v19
	v_mul_f32_e32 v19, v20, v19
	v_fma_f32 v20, v20, v18, -v22
	v_fmac_f32_e32 v19, v21, v18
	v_add_f32_e32 v2, v2, v20
	v_add_f32_e32 v3, v3, v19
	s_or_b64 exec, exec, s[20:21]
	v_cmp_gt_u32_e64 s[18:19], 32, v9
	s_and_saveexec_b64 s[20:21], s[18:19]
	s_cbranch_execz .LBB158_136
.LBB158_1057:
	ds_read_b64 v[18:19], v16 offset:31104
	ds_read_b64 v[20:21], v17 offset:29152
	s_waitcnt lgkmcnt(0)
	v_mul_f32_e32 v22, v21, v19
	v_mul_f32_e32 v19, v20, v19
	v_fma_f32 v20, v20, v18, -v22
	v_fmac_f32_e32 v19, v21, v18
	v_add_f32_e32 v2, v2, v20
	v_add_f32_e32 v3, v3, v19
	s_or_b64 exec, exec, s[20:21]
	v_cmp_gt_u32_e64 s[18:19], 24, v9
	s_and_saveexec_b64 s[20:21], s[18:19]
	s_cbranch_execz .LBB158_137
.LBB158_1058:
	ds_read_b64 v[18:19], v16 offset:31616
	ds_read_b64 v[20:21], v17 offset:29160
	s_waitcnt lgkmcnt(0)
	v_mul_f32_e32 v22, v21, v19
	v_mul_f32_e32 v19, v20, v19
	v_fma_f32 v20, v20, v18, -v22
	v_fmac_f32_e32 v19, v21, v18
	v_add_f32_e32 v2, v2, v20
	v_add_f32_e32 v3, v3, v19
	s_or_b64 exec, exec, s[20:21]
	s_and_saveexec_b64 s[18:19], s[10:11]
	s_cbranch_execz .LBB158_138
.LBB158_1059:
	ds_read_b64 v[18:19], v16 offset:32128
	ds_read_b64 v[16:17], v17 offset:29168
	s_waitcnt lgkmcnt(0)
	v_mul_f32_e32 v20, v17, v19
	v_mul_f32_e32 v19, v16, v19
	v_fma_f32 v16, v16, v18, -v20
	v_fmac_f32_e32 v19, v17, v18
	v_add_f32_e32 v2, v2, v16
	v_add_f32_e32 v3, v3, v19
	s_or_b64 exec, exec, s[18:19]
	v_cmp_gt_u32_e64 s[18:19], 8, v9
	s_and_saveexec_b64 s[20:21], s[18:19]
	s_cbranch_execnz .LBB158_139
	s_branch .LBB158_140
.LBB158_1060:
	ds_read_b64 v[18:19], v16 offset:27520
	ds_read_b64 v[20:21], v17 offset:27048
	s_waitcnt lgkmcnt(0)
	v_mul_f32_e32 v22, v21, v19
	v_mul_f32_e32 v19, v20, v19
	v_fma_f32 v20, v20, v18, -v22
	v_fmac_f32_e32 v19, v21, v18
	v_add_f32_e32 v2, v2, v20
	v_add_f32_e32 v3, v3, v19
	s_or_b64 exec, exec, s[18:19]
	v_cmp_gt_u32_e64 s[14:15], 8, v9
	s_and_saveexec_b64 s[18:19], s[14:15]
	s_cbranch_execz .LBB158_196
.LBB158_1061:
	ds_read_b64 v[18:19], v16 offset:28032
	ds_read_b64 v[16:17], v17 offset:27056
	s_waitcnt lgkmcnt(0)
	v_mul_f32_e32 v20, v17, v19
	v_mul_f32_e32 v19, v16, v19
	v_fma_f32 v16, v16, v18, -v20
	v_fmac_f32_e32 v19, v17, v18
	v_add_f32_e32 v2, v2, v16
	v_add_f32_e32 v3, v3, v19
	s_or_b64 exec, exec, s[18:19]
	v_cmp_gt_u32_e64 s[14:15], 4, v9
	s_and_saveexec_b64 s[18:19], s[14:15]
	s_cbranch_execnz .LBB158_197
	s_branch .LBB158_198
.LBB158_1062:
	ds_read_b64 v[21:22], v19 offset:30464
	ds_read_b64 v[23:24], v20 offset:25048
	s_waitcnt lgkmcnt(0)
	v_mul_f32_e32 v25, v24, v22
	v_mul_f32_e32 v22, v23, v22
	v_fma_f32 v23, v23, v21, -v25
	v_fmac_f32_e32 v22, v24, v21
	v_add_f32_e32 v2, v2, v23
	v_add_f32_e32 v3, v3, v22
	s_or_b64 exec, exec, s[24:25]
	s_and_saveexec_b64 s[20:21], s[12:13]
	s_cbranch_execz .LBB158_258
.LBB158_1063:
	ds_read_b64 v[21:22], v19 offset:30976
	ds_read_b64 v[23:24], v20 offset:25056
	s_waitcnt lgkmcnt(0)
	v_mul_f32_e32 v25, v24, v22
	v_mul_f32_e32 v22, v23, v22
	v_fma_f32 v23, v23, v21, -v25
	v_fmac_f32_e32 v22, v24, v21
	v_add_f32_e32 v2, v2, v23
	v_add_f32_e32 v3, v3, v22
	s_or_b64 exec, exec, s[20:21]
	v_cmp_gt_u32_e64 s[20:21], 48, v9
	s_and_saveexec_b64 s[24:25], s[20:21]
	s_cbranch_execz .LBB158_259
.LBB158_1064:
	ds_read_b64 v[21:22], v19 offset:31488
	ds_read_b64 v[23:24], v20 offset:25064
	s_waitcnt lgkmcnt(0)
	v_mul_f32_e32 v25, v24, v22
	v_mul_f32_e32 v22, v23, v22
	v_fma_f32 v23, v23, v21, -v25
	v_fmac_f32_e32 v22, v24, v21
	v_add_f32_e32 v2, v2, v23
	v_add_f32_e32 v3, v3, v22
	s_or_b64 exec, exec, s[24:25]
	v_cmp_gt_u32_e64 s[20:21], 32, v9
	s_and_saveexec_b64 s[24:25], s[20:21]
	s_cbranch_execz .LBB158_260
.LBB158_1065:
	ds_read_b64 v[21:22], v19 offset:32000
	ds_read_b64 v[19:20], v20 offset:25072
	s_waitcnt lgkmcnt(0)
	v_mul_f32_e32 v23, v20, v22
	v_mul_f32_e32 v22, v19, v22
	v_fma_f32 v19, v19, v21, -v23
	v_fmac_f32_e32 v22, v20, v21
	v_add_f32_e32 v2, v2, v19
	v_add_f32_e32 v3, v3, v22
	s_or_b64 exec, exec, s[24:25]
	v_cmp_gt_u32_e64 s[20:21], 16, v9
	s_and_saveexec_b64 s[24:25], s[20:21]
	s_cbranch_execnz .LBB158_261
	s_branch .LBB158_262
.LBB158_1066:
	ds_read_b64 v[21:22], v19 offset:23360
	ds_read_b64 v[23:24], v20 offset:22888
	s_waitcnt lgkmcnt(0)
	v_mul_f32_e32 v25, v24, v22
	v_mul_f32_e32 v22, v23, v22
	v_fma_f32 v23, v23, v21, -v25
	v_fmac_f32_e32 v22, v24, v21
	v_add_f32_e32 v2, v2, v23
	v_add_f32_e32 v3, v3, v22
	s_or_b64 exec, exec, s[20:21]
	v_cmp_gt_u32_e64 s[18:19], 8, v9
	s_and_saveexec_b64 s[20:21], s[18:19]
	s_cbranch_execz .LBB158_350
.LBB158_1067:
	ds_read_b64 v[21:22], v19 offset:23872
	ds_read_b64 v[19:20], v20 offset:22896
	s_waitcnt lgkmcnt(0)
	v_mul_f32_e32 v23, v20, v22
	v_mul_f32_e32 v22, v19, v22
	v_fma_f32 v19, v19, v21, -v23
	v_fmac_f32_e32 v22, v20, v21
	v_add_f32_e32 v2, v2, v19
	v_add_f32_e32 v3, v3, v22
	s_or_b64 exec, exec, s[20:21]
	v_cmp_gt_u32_e64 s[18:19], 4, v9
	s_and_saveexec_b64 s[20:21], s[18:19]
	s_cbranch_execnz .LBB158_351
	s_branch .LBB158_352
.LBB158_1068:
	ds_read_b64 v[21:22], v19 offset:21248
	ds_read_b64 v[23:24], v20 offset:20808
	s_waitcnt lgkmcnt(0)
	v_mul_f32_e32 v25, v24, v22
	v_mul_f32_e32 v22, v23, v22
	v_fma_f32 v23, v23, v21, -v25
	v_fmac_f32_e32 v22, v24, v21
	v_add_f32_e32 v2, v2, v23
	v_add_f32_e32 v3, v3, v22
	s_or_b64 exec, exec, s[20:21]
	v_cmp_gt_u32_e64 s[18:19], 48, v9
	s_and_saveexec_b64 s[20:21], s[18:19]
	s_cbranch_execz .LBB158_392
.LBB158_1069:
	ds_read_b64 v[21:22], v19 offset:21760
	ds_read_b64 v[23:24], v20 offset:20816
	s_waitcnt lgkmcnt(0)
	v_mul_f32_e32 v25, v24, v22
	v_mul_f32_e32 v22, v23, v22
	v_fma_f32 v23, v23, v21, -v25
	v_fmac_f32_e32 v22, v24, v21
	v_add_f32_e32 v2, v2, v23
	v_add_f32_e32 v3, v3, v22
	s_or_b64 exec, exec, s[20:21]
	v_cmp_gt_u32_e64 s[18:19], 40, v9
	s_and_saveexec_b64 s[20:21], s[18:19]
	s_cbranch_execz .LBB158_393
.LBB158_1070:
	ds_read_b64 v[21:22], v19 offset:22272
	ds_read_b64 v[23:24], v20 offset:20824
	s_waitcnt lgkmcnt(0)
	v_mul_f32_e32 v25, v24, v22
	v_mul_f32_e32 v22, v23, v22
	v_fma_f32 v23, v23, v21, -v25
	v_fmac_f32_e32 v22, v24, v21
	v_add_f32_e32 v2, v2, v23
	v_add_f32_e32 v3, v3, v22
	s_or_b64 exec, exec, s[20:21]
	v_cmp_gt_u32_e64 s[18:19], 32, v9
	s_and_saveexec_b64 s[20:21], s[18:19]
	s_cbranch_execz .LBB158_394
.LBB158_1071:
	ds_read_b64 v[21:22], v19 offset:22784
	ds_read_b64 v[23:24], v20 offset:20832
	s_waitcnt lgkmcnt(0)
	v_mul_f32_e32 v25, v24, v22
	v_mul_f32_e32 v22, v23, v22
	v_fma_f32 v23, v23, v21, -v25
	v_fmac_f32_e32 v22, v24, v21
	v_add_f32_e32 v2, v2, v23
	v_add_f32_e32 v3, v3, v22
	s_or_b64 exec, exec, s[20:21]
	v_cmp_gt_u32_e64 s[18:19], 24, v9
	s_and_saveexec_b64 s[20:21], s[18:19]
	s_cbranch_execz .LBB158_395
.LBB158_1072:
	ds_read_b64 v[21:22], v19 offset:23296
	ds_read_b64 v[23:24], v20 offset:20840
	s_waitcnt lgkmcnt(0)
	v_mul_f32_e32 v25, v24, v22
	v_mul_f32_e32 v22, v23, v22
	v_fma_f32 v23, v23, v21, -v25
	v_fmac_f32_e32 v22, v24, v21
	v_add_f32_e32 v2, v2, v23
	v_add_f32_e32 v3, v3, v22
	s_or_b64 exec, exec, s[20:21]
	s_and_saveexec_b64 s[18:19], s[10:11]
	s_cbranch_execz .LBB158_396
.LBB158_1073:
	ds_read_b64 v[21:22], v19 offset:23808
	ds_read_b64 v[19:20], v20 offset:20848
	s_waitcnt lgkmcnt(0)
	v_mul_f32_e32 v23, v20, v22
	v_mul_f32_e32 v22, v19, v22
	v_fma_f32 v19, v19, v21, -v23
	v_fmac_f32_e32 v22, v20, v21
	v_add_f32_e32 v2, v2, v19
	v_add_f32_e32 v3, v3, v22
	s_or_b64 exec, exec, s[18:19]
	v_cmp_gt_u32_e64 s[18:19], 8, v9
	s_and_saveexec_b64 s[20:21], s[18:19]
	s_cbranch_execnz .LBB158_397
	s_branch .LBB158_398
.LBB158_1074:
	ds_read_b64 v[21:22], v19 offset:19200
	ds_read_b64 v[23:24], v20 offset:18728
	s_waitcnt lgkmcnt(0)
	v_mul_f32_e32 v25, v24, v22
	v_mul_f32_e32 v22, v23, v22
	v_fma_f32 v23, v23, v21, -v25
	v_fmac_f32_e32 v22, v24, v21
	v_add_f32_e32 v2, v2, v23
	v_add_f32_e32 v3, v3, v22
	s_or_b64 exec, exec, s[20:21]
	v_cmp_gt_u32_e64 s[18:19], 8, v9
	s_and_saveexec_b64 s[20:21], s[18:19]
	s_cbranch_execz .LBB158_454
.LBB158_1075:
	ds_read_b64 v[21:22], v19 offset:19712
	ds_read_b64 v[19:20], v20 offset:18736
	s_waitcnt lgkmcnt(0)
	v_mul_f32_e32 v23, v20, v22
	v_mul_f32_e32 v22, v19, v22
	v_fma_f32 v19, v19, v21, -v23
	v_fmac_f32_e32 v22, v20, v21
	v_add_f32_e32 v2, v2, v19
	v_add_f32_e32 v3, v3, v22
	s_or_b64 exec, exec, s[20:21]
	v_cmp_gt_u32_e64 s[18:19], 4, v9
	s_and_saveexec_b64 s[20:21], s[18:19]
	s_cbranch_execnz .LBB158_455
	s_branch .LBB158_456
.LBB158_1076:
	ds_read_b64 v[24:25], v22 offset:31232
	ds_read_b64 v[26:27], v23 offset:16872
	s_waitcnt lgkmcnt(0)
	v_mul_f32_e32 v28, v27, v25
	v_mul_f32_e32 v25, v26, v25
	v_fma_f32 v26, v26, v24, -v28
	v_fmac_f32_e32 v25, v27, v24
	v_add_f32_e32 v2, v2, v26
	v_add_f32_e32 v3, v3, v25
	s_or_b64 exec, exec, s[96:97]
	s_and_saveexec_b64 s[24:25], s[12:13]
	s_cbranch_execz .LBB158_552
.LBB158_1077:
	ds_read_b64 v[24:25], v22 offset:31744
	ds_read_b64 v[26:27], v23 offset:16880
	s_waitcnt lgkmcnt(0)
	v_mul_f32_e32 v28, v27, v25
	v_mul_f32_e32 v25, v26, v25
	v_fma_f32 v26, v26, v24, -v28
	v_fmac_f32_e32 v25, v27, v24
	v_add_f32_e32 v2, v2, v26
	v_add_f32_e32 v3, v3, v25
	s_or_b64 exec, exec, s[24:25]
	v_cmp_gt_u32_e64 s[24:25], 32, v9
	s_and_saveexec_b64 s[96:97], s[24:25]
	s_cbranch_execnz .LBB158_553
	s_branch .LBB158_554
.LBB158_1078:
	ds_read_b64 v[21:22], v19 offset:15040
	ds_read_b64 v[23:24], v20 offset:14568
	s_waitcnt lgkmcnt(0)
	v_mul_f32_e32 v25, v24, v22
	v_mul_f32_e32 v22, v23, v22
	v_fma_f32 v23, v23, v21, -v25
	v_fmac_f32_e32 v22, v24, v21
	v_add_f32_e32 v2, v2, v23
	v_add_f32_e32 v3, v3, v22
	s_or_b64 exec, exec, s[18:19]
	v_cmp_gt_u32_e64 s[16:17], 8, v9
	s_and_saveexec_b64 s[18:19], s[16:17]
	s_cbranch_execz .LBB158_590
.LBB158_1079:
	ds_read_b64 v[21:22], v19 offset:15552
	ds_read_b64 v[19:20], v20 offset:14576
	s_waitcnt lgkmcnt(0)
	v_mul_f32_e32 v23, v20, v22
	v_mul_f32_e32 v22, v19, v22
	v_fma_f32 v19, v19, v21, -v23
	v_fmac_f32_e32 v22, v20, v21
	v_add_f32_e32 v2, v2, v19
	v_add_f32_e32 v3, v3, v22
	s_or_b64 exec, exec, s[18:19]
	v_cmp_gt_u32_e64 s[16:17], 4, v9
	s_and_saveexec_b64 s[18:19], s[16:17]
	s_cbranch_execnz .LBB158_591
	s_branch .LBB158_592
.LBB158_1080:
	ds_read_b64 v[21:22], v19 offset:12928
	ds_read_b64 v[23:24], v20 offset:12488
	s_waitcnt lgkmcnt(0)
	v_mul_f32_e32 v25, v24, v22
	v_mul_f32_e32 v22, v23, v22
	v_fma_f32 v23, v23, v21, -v25
	v_fmac_f32_e32 v22, v24, v21
	v_add_f32_e32 v2, v2, v23
	v_add_f32_e32 v3, v3, v22
	s_or_b64 exec, exec, s[18:19]
	v_cmp_gt_u32_e64 s[16:17], 48, v9
	s_and_saveexec_b64 s[18:19], s[16:17]
	s_cbranch_execz .LBB158_632
.LBB158_1081:
	ds_read_b64 v[21:22], v19 offset:13440
	ds_read_b64 v[23:24], v20 offset:12496
	s_waitcnt lgkmcnt(0)
	v_mul_f32_e32 v25, v24, v22
	v_mul_f32_e32 v22, v23, v22
	v_fma_f32 v23, v23, v21, -v25
	v_fmac_f32_e32 v22, v24, v21
	v_add_f32_e32 v2, v2, v23
	v_add_f32_e32 v3, v3, v22
	s_or_b64 exec, exec, s[18:19]
	v_cmp_gt_u32_e64 s[16:17], 40, v9
	s_and_saveexec_b64 s[18:19], s[16:17]
	s_cbranch_execz .LBB158_633
.LBB158_1082:
	ds_read_b64 v[21:22], v19 offset:13952
	ds_read_b64 v[23:24], v20 offset:12504
	s_waitcnt lgkmcnt(0)
	v_mul_f32_e32 v25, v24, v22
	v_mul_f32_e32 v22, v23, v22
	v_fma_f32 v23, v23, v21, -v25
	v_fmac_f32_e32 v22, v24, v21
	v_add_f32_e32 v2, v2, v23
	v_add_f32_e32 v3, v3, v22
	s_or_b64 exec, exec, s[18:19]
	v_cmp_gt_u32_e64 s[16:17], 32, v9
	s_and_saveexec_b64 s[18:19], s[16:17]
	s_cbranch_execz .LBB158_634
.LBB158_1083:
	ds_read_b64 v[21:22], v19 offset:14464
	ds_read_b64 v[23:24], v20 offset:12512
	s_waitcnt lgkmcnt(0)
	v_mul_f32_e32 v25, v24, v22
	v_mul_f32_e32 v22, v23, v22
	v_fma_f32 v23, v23, v21, -v25
	v_fmac_f32_e32 v22, v24, v21
	v_add_f32_e32 v2, v2, v23
	v_add_f32_e32 v3, v3, v22
	s_or_b64 exec, exec, s[18:19]
	v_cmp_gt_u32_e64 s[16:17], 24, v9
	s_and_saveexec_b64 s[18:19], s[16:17]
	s_cbranch_execz .LBB158_635
.LBB158_1084:
	ds_read_b64 v[21:22], v19 offset:14976
	ds_read_b64 v[23:24], v20 offset:12520
	s_waitcnt lgkmcnt(0)
	v_mul_f32_e32 v25, v24, v22
	v_mul_f32_e32 v22, v23, v22
	v_fma_f32 v23, v23, v21, -v25
	v_fmac_f32_e32 v22, v24, v21
	v_add_f32_e32 v2, v2, v23
	v_add_f32_e32 v3, v3, v22
	s_or_b64 exec, exec, s[18:19]
	s_and_saveexec_b64 s[16:17], s[10:11]
	s_cbranch_execz .LBB158_636
.LBB158_1085:
	ds_read_b64 v[21:22], v19 offset:15488
	ds_read_b64 v[19:20], v20 offset:12528
	s_waitcnt lgkmcnt(0)
	v_mul_f32_e32 v23, v20, v22
	v_mul_f32_e32 v22, v19, v22
	v_fma_f32 v19, v19, v21, -v23
	v_fmac_f32_e32 v22, v20, v21
	v_add_f32_e32 v2, v2, v19
	v_add_f32_e32 v3, v3, v22
	s_or_b64 exec, exec, s[16:17]
	v_cmp_gt_u32_e64 s[16:17], 8, v9
	s_and_saveexec_b64 s[18:19], s[16:17]
	s_cbranch_execnz .LBB158_637
	s_branch .LBB158_638
.LBB158_1086:
	ds_read_b64 v[21:22], v19 offset:10880
	ds_read_b64 v[23:24], v20 offset:10408
	s_waitcnt lgkmcnt(0)
	v_mul_f32_e32 v25, v24, v22
	v_mul_f32_e32 v22, v23, v22
	v_fma_f32 v23, v23, v21, -v25
	v_fmac_f32_e32 v22, v24, v21
	v_add_f32_e32 v2, v2, v23
	v_add_f32_e32 v3, v3, v22
	s_or_b64 exec, exec, s[18:19]
	v_cmp_gt_u32_e64 s[16:17], 8, v9
	s_and_saveexec_b64 s[18:19], s[16:17]
	s_cbranch_execz .LBB158_694
.LBB158_1087:
	ds_read_b64 v[21:22], v19 offset:11392
	ds_read_b64 v[19:20], v20 offset:10416
	s_waitcnt lgkmcnt(0)
	v_mul_f32_e32 v23, v20, v22
	v_mul_f32_e32 v22, v19, v22
	v_fma_f32 v19, v19, v21, -v23
	v_fmac_f32_e32 v22, v20, v21
	v_add_f32_e32 v2, v2, v19
	v_add_f32_e32 v3, v3, v22
	s_or_b64 exec, exec, s[18:19]
	v_cmp_gt_u32_e64 s[16:17], 4, v9
	s_and_saveexec_b64 s[18:19], s[16:17]
	s_cbranch_execnz .LBB158_695
	s_branch .LBB158_696
.LBB158_1088:
	ds_read_b64 v[21:22], v19 offset:13824
	ds_read_b64 v[23:24], v20 offset:8408
	s_waitcnt lgkmcnt(0)
	v_mul_f32_e32 v25, v24, v22
	v_mul_f32_e32 v22, v23, v22
	v_fma_f32 v23, v23, v21, -v25
	v_fmac_f32_e32 v22, v24, v21
	v_add_f32_e32 v2, v2, v23
	v_add_f32_e32 v3, v3, v22
	s_or_b64 exec, exec, s[18:19]
	s_and_saveexec_b64 s[16:17], s[12:13]
	s_cbranch_execz .LBB158_756
.LBB158_1089:
	ds_read_b64 v[21:22], v19 offset:14336
	ds_read_b64 v[23:24], v20 offset:8416
	s_waitcnt lgkmcnt(0)
	v_mul_f32_e32 v25, v24, v22
	v_mul_f32_e32 v22, v23, v22
	v_fma_f32 v23, v23, v21, -v25
	v_fmac_f32_e32 v22, v24, v21
	v_add_f32_e32 v2, v2, v23
	v_add_f32_e32 v3, v3, v22
	s_or_b64 exec, exec, s[16:17]
	v_cmp_gt_u32_e64 s[16:17], 48, v9
	s_and_saveexec_b64 s[18:19], s[16:17]
	s_cbranch_execz .LBB158_757
.LBB158_1090:
	ds_read_b64 v[21:22], v19 offset:14848
	ds_read_b64 v[23:24], v20 offset:8424
	s_waitcnt lgkmcnt(0)
	v_mul_f32_e32 v25, v24, v22
	v_mul_f32_e32 v22, v23, v22
	v_fma_f32 v23, v23, v21, -v25
	v_fmac_f32_e32 v22, v24, v21
	v_add_f32_e32 v2, v2, v23
	v_add_f32_e32 v3, v3, v22
	s_or_b64 exec, exec, s[18:19]
	v_cmp_gt_u32_e64 s[16:17], 32, v9
	s_and_saveexec_b64 s[18:19], s[16:17]
	s_cbranch_execz .LBB158_758
.LBB158_1091:
	ds_read_b64 v[21:22], v19 offset:15360
	ds_read_b64 v[19:20], v20 offset:8432
	s_waitcnt lgkmcnt(0)
	v_mul_f32_e32 v23, v20, v22
	v_mul_f32_e32 v22, v19, v22
	v_fma_f32 v19, v19, v21, -v23
	v_fmac_f32_e32 v22, v20, v21
	v_add_f32_e32 v2, v2, v19
	v_add_f32_e32 v3, v3, v22
	s_or_b64 exec, exec, s[18:19]
	v_cmp_gt_u32_e64 s[16:17], 16, v9
	s_and_saveexec_b64 s[18:19], s[16:17]
	s_cbranch_execnz .LBB158_759
	s_branch .LBB158_760
.LBB158_1092:
	ds_read_b64 v[18:19], v16 offset:6720
	ds_read_b64 v[20:21], v17 offset:6248
	s_waitcnt lgkmcnt(0)
	v_mul_f32_e32 v22, v21, v19
	v_mul_f32_e32 v19, v20, v19
	v_fma_f32 v20, v20, v18, -v22
	v_fmac_f32_e32 v19, v21, v18
	v_add_f32_e32 v2, v2, v20
	v_add_f32_e32 v3, v3, v19
	s_or_b64 exec, exec, s[16:17]
	v_cmp_gt_u32_e64 s[14:15], 8, v9
	s_and_saveexec_b64 s[16:17], s[14:15]
	s_cbranch_execz .LBB158_848
.LBB158_1093:
	ds_read_b64 v[18:19], v16 offset:7232
	ds_read_b64 v[16:17], v17 offset:6256
	s_waitcnt lgkmcnt(0)
	v_mul_f32_e32 v20, v17, v19
	v_mul_f32_e32 v19, v16, v19
	v_fma_f32 v16, v16, v18, -v20
	v_fmac_f32_e32 v19, v17, v18
	v_add_f32_e32 v2, v2, v16
	v_add_f32_e32 v3, v3, v19
	s_or_b64 exec, exec, s[16:17]
	v_cmp_gt_u32_e64 s[14:15], 4, v9
	s_and_saveexec_b64 s[16:17], s[14:15]
	s_cbranch_execnz .LBB158_849
	s_branch .LBB158_850
.LBB158_1094:
	ds_read_b64 v[18:19], v16 offset:4608
	ds_read_b64 v[20:21], v17 offset:4168
	s_waitcnt lgkmcnt(0)
	v_mul_f32_e32 v22, v21, v19
	v_mul_f32_e32 v19, v20, v19
	v_fma_f32 v20, v20, v18, -v22
	v_fmac_f32_e32 v19, v21, v18
	v_add_f32_e32 v2, v2, v20
	v_add_f32_e32 v3, v3, v19
	s_or_b64 exec, exec, s[16:17]
	v_cmp_gt_u32_e64 s[14:15], 48, v9
	s_and_saveexec_b64 s[16:17], s[14:15]
	s_cbranch_execz .LBB158_890
.LBB158_1095:
	ds_read_b64 v[18:19], v16 offset:5120
	ds_read_b64 v[20:21], v17 offset:4176
	s_waitcnt lgkmcnt(0)
	v_mul_f32_e32 v22, v21, v19
	v_mul_f32_e32 v19, v20, v19
	v_fma_f32 v20, v20, v18, -v22
	v_fmac_f32_e32 v19, v21, v18
	v_add_f32_e32 v2, v2, v20
	v_add_f32_e32 v3, v3, v19
	s_or_b64 exec, exec, s[16:17]
	v_cmp_gt_u32_e64 s[14:15], 40, v9
	s_and_saveexec_b64 s[16:17], s[14:15]
	s_cbranch_execz .LBB158_891
.LBB158_1096:
	ds_read_b64 v[18:19], v16 offset:5632
	ds_read_b64 v[20:21], v17 offset:4184
	s_waitcnt lgkmcnt(0)
	v_mul_f32_e32 v22, v21, v19
	v_mul_f32_e32 v19, v20, v19
	v_fma_f32 v20, v20, v18, -v22
	v_fmac_f32_e32 v19, v21, v18
	v_add_f32_e32 v2, v2, v20
	v_add_f32_e32 v3, v3, v19
	s_or_b64 exec, exec, s[16:17]
	v_cmp_gt_u32_e64 s[14:15], 32, v9
	s_and_saveexec_b64 s[16:17], s[14:15]
	s_cbranch_execz .LBB158_892
.LBB158_1097:
	ds_read_b64 v[18:19], v16 offset:6144
	ds_read_b64 v[20:21], v17 offset:4192
	s_waitcnt lgkmcnt(0)
	v_mul_f32_e32 v22, v21, v19
	v_mul_f32_e32 v19, v20, v19
	v_fma_f32 v20, v20, v18, -v22
	v_fmac_f32_e32 v19, v21, v18
	v_add_f32_e32 v2, v2, v20
	v_add_f32_e32 v3, v3, v19
	s_or_b64 exec, exec, s[16:17]
	v_cmp_gt_u32_e64 s[14:15], 24, v9
	s_and_saveexec_b64 s[16:17], s[14:15]
	s_cbranch_execz .LBB158_893
.LBB158_1098:
	ds_read_b64 v[18:19], v16 offset:6656
	ds_read_b64 v[20:21], v17 offset:4200
	s_waitcnt lgkmcnt(0)
	v_mul_f32_e32 v22, v21, v19
	v_mul_f32_e32 v19, v20, v19
	v_fma_f32 v20, v20, v18, -v22
	v_fmac_f32_e32 v19, v21, v18
	v_add_f32_e32 v2, v2, v20
	v_add_f32_e32 v3, v3, v19
	s_or_b64 exec, exec, s[16:17]
	s_and_saveexec_b64 s[14:15], s[10:11]
	s_cbranch_execz .LBB158_894
.LBB158_1099:
	ds_read_b64 v[18:19], v16 offset:7168
	ds_read_b64 v[16:17], v17 offset:4208
	s_waitcnt lgkmcnt(0)
	v_mul_f32_e32 v20, v17, v19
	v_mul_f32_e32 v19, v16, v19
	v_fma_f32 v16, v16, v18, -v20
	v_fmac_f32_e32 v19, v17, v18
	v_add_f32_e32 v2, v2, v16
	v_add_f32_e32 v3, v3, v19
	s_or_b64 exec, exec, s[14:15]
	v_cmp_gt_u32_e64 s[14:15], 8, v9
	s_and_saveexec_b64 s[16:17], s[14:15]
	s_cbranch_execnz .LBB158_895
	s_branch .LBB158_896
.LBB158_1100:
	ds_read_b64 v[15:16], v13 offset:2560
	ds_read_b64 v[17:18], v14 offset:2088
	s_waitcnt lgkmcnt(0)
	v_mul_f32_e32 v19, v18, v16
	v_mul_f32_e32 v16, v17, v16
	v_fma_f32 v17, v17, v15, -v19
	v_fmac_f32_e32 v16, v18, v15
	v_add_f32_e32 v2, v2, v17
	v_add_f32_e32 v3, v3, v16
	s_or_b64 exec, exec, s[14:15]
	v_cmp_gt_u32_e64 s[12:13], 8, v9
	s_and_saveexec_b64 s[14:15], s[12:13]
	s_cbranch_execz .LBB158_952
.LBB158_1101:
	ds_read_b64 v[15:16], v13 offset:3072
	ds_read_b64 v[13:14], v14 offset:2096
	s_waitcnt lgkmcnt(0)
	v_mul_f32_e32 v17, v14, v16
	v_mul_f32_e32 v16, v13, v16
	v_fma_f32 v13, v13, v15, -v17
	v_fmac_f32_e32 v16, v14, v15
	v_add_f32_e32 v2, v2, v13
	v_add_f32_e32 v3, v3, v16
	s_or_b64 exec, exec, s[14:15]
	v_cmp_gt_u32_e64 s[12:13], 4, v9
	s_and_saveexec_b64 s[14:15], s[12:13]
	s_cbranch_execnz .LBB158_953
	s_branch .LBB158_954
	.section	.rodata,"a",@progbits
	.p2align	6, 0x0
	.amdhsa_kernel _ZL19rocblas_trsv_deviceILi64ELi16ELb0ELb1ELb0ELb1E19rocblas_complex_numIfES1_PKPKS1_PKPS1_EviT7_lllT6_T8_lllPii
		.amdhsa_group_segment_fixed_size 41480
		.amdhsa_private_segment_fixed_size 48
		.amdhsa_kernarg_size 352
		.amdhsa_user_sgpr_count 8
		.amdhsa_user_sgpr_private_segment_buffer 1
		.amdhsa_user_sgpr_dispatch_ptr 0
		.amdhsa_user_sgpr_queue_ptr 0
		.amdhsa_user_sgpr_kernarg_segment_ptr 1
		.amdhsa_user_sgpr_dispatch_id 0
		.amdhsa_user_sgpr_flat_scratch_init 1
		.amdhsa_user_sgpr_private_segment_size 0
		.amdhsa_uses_dynamic_stack 0
		.amdhsa_system_sgpr_private_segment_wavefront_offset 1
		.amdhsa_system_sgpr_workgroup_id_x 1
		.amdhsa_system_sgpr_workgroup_id_y 0
		.amdhsa_system_sgpr_workgroup_id_z 1
		.amdhsa_system_sgpr_workgroup_info 0
		.amdhsa_system_vgpr_workitem_id 1
		.amdhsa_next_free_vgpr 49
		.amdhsa_next_free_sgpr 100
		.amdhsa_reserve_vcc 1
		.amdhsa_reserve_flat_scratch 1
		.amdhsa_float_round_mode_32 0
		.amdhsa_float_round_mode_16_64 0
		.amdhsa_float_denorm_mode_32 3
		.amdhsa_float_denorm_mode_16_64 3
		.amdhsa_dx10_clamp 1
		.amdhsa_ieee_mode 1
		.amdhsa_fp16_overflow 0
		.amdhsa_exception_fp_ieee_invalid_op 0
		.amdhsa_exception_fp_denorm_src 0
		.amdhsa_exception_fp_ieee_div_zero 0
		.amdhsa_exception_fp_ieee_overflow 0
		.amdhsa_exception_fp_ieee_underflow 0
		.amdhsa_exception_fp_ieee_inexact 0
		.amdhsa_exception_int_div_zero 0
	.end_amdhsa_kernel
	.section	.text._ZL19rocblas_trsv_deviceILi64ELi16ELb0ELb1ELb0ELb1E19rocblas_complex_numIfES1_PKPKS1_PKPS1_EviT7_lllT6_T8_lllPii,"axG",@progbits,_ZL19rocblas_trsv_deviceILi64ELi16ELb0ELb1ELb0ELb1E19rocblas_complex_numIfES1_PKPKS1_PKPS1_EviT7_lllT6_T8_lllPii,comdat
.Lfunc_end158:
	.size	_ZL19rocblas_trsv_deviceILi64ELi16ELb0ELb1ELb0ELb1E19rocblas_complex_numIfES1_PKPKS1_PKPS1_EviT7_lllT6_T8_lllPii, .Lfunc_end158-_ZL19rocblas_trsv_deviceILi64ELi16ELb0ELb1ELb0ELb1E19rocblas_complex_numIfES1_PKPKS1_PKPS1_EviT7_lllT6_T8_lllPii
                                        ; -- End function
	.set _ZL19rocblas_trsv_deviceILi64ELi16ELb0ELb1ELb0ELb1E19rocblas_complex_numIfES1_PKPKS1_PKPS1_EviT7_lllT6_T8_lllPii.num_vgpr, 30
	.set _ZL19rocblas_trsv_deviceILi64ELi16ELb0ELb1ELb0ELb1E19rocblas_complex_numIfES1_PKPKS1_PKPS1_EviT7_lllT6_T8_lllPii.num_agpr, 0
	.set _ZL19rocblas_trsv_deviceILi64ELi16ELb0ELb1ELb0ELb1E19rocblas_complex_numIfES1_PKPKS1_PKPS1_EviT7_lllT6_T8_lllPii.numbered_sgpr, 100
	.set _ZL19rocblas_trsv_deviceILi64ELi16ELb0ELb1ELb0ELb1E19rocblas_complex_numIfES1_PKPKS1_PKPS1_EviT7_lllT6_T8_lllPii.num_named_barrier, 0
	.set _ZL19rocblas_trsv_deviceILi64ELi16ELb0ELb1ELb0ELb1E19rocblas_complex_numIfES1_PKPKS1_PKPS1_EviT7_lllT6_T8_lllPii.private_seg_size, 48
	.set _ZL19rocblas_trsv_deviceILi64ELi16ELb0ELb1ELb0ELb1E19rocblas_complex_numIfES1_PKPKS1_PKPS1_EviT7_lllT6_T8_lllPii.uses_vcc, 1
	.set _ZL19rocblas_trsv_deviceILi64ELi16ELb0ELb1ELb0ELb1E19rocblas_complex_numIfES1_PKPKS1_PKPS1_EviT7_lllT6_T8_lllPii.uses_flat_scratch, 1
	.set _ZL19rocblas_trsv_deviceILi64ELi16ELb0ELb1ELb0ELb1E19rocblas_complex_numIfES1_PKPKS1_PKPS1_EviT7_lllT6_T8_lllPii.has_dyn_sized_stack, 0
	.set _ZL19rocblas_trsv_deviceILi64ELi16ELb0ELb1ELb0ELb1E19rocblas_complex_numIfES1_PKPKS1_PKPS1_EviT7_lllT6_T8_lllPii.has_recursion, 0
	.set _ZL19rocblas_trsv_deviceILi64ELi16ELb0ELb1ELb0ELb1E19rocblas_complex_numIfES1_PKPKS1_PKPS1_EviT7_lllT6_T8_lllPii.has_indirect_call, 0
	.section	.AMDGPU.csdata,"",@progbits
; Kernel info:
; codeLenInByte = 40120
; TotalNumSgprs: 106
; NumVgprs: 30
; ScratchSize: 48
; MemoryBound: 1
; FloatMode: 240
; IeeeMode: 1
; LDSByteSize: 41480 bytes/workgroup (compile time only)
; SGPRBlocks: 13
; VGPRBlocks: 12
; NumSGPRsForWavesPerEU: 106
; NumVGPRsForWavesPerEU: 49
; Occupancy: 4
; WaveLimiterHint : 1
; COMPUTE_PGM_RSRC2:SCRATCH_EN: 1
; COMPUTE_PGM_RSRC2:USER_SGPR: 8
; COMPUTE_PGM_RSRC2:TRAP_HANDLER: 0
; COMPUTE_PGM_RSRC2:TGID_X_EN: 1
; COMPUTE_PGM_RSRC2:TGID_Y_EN: 0
; COMPUTE_PGM_RSRC2:TGID_Z_EN: 1
; COMPUTE_PGM_RSRC2:TIDIG_COMP_CNT: 1
	.section	.text._ZL19rocblas_trsv_deviceILi64ELi16ELb0ELb1ELb1ELb1E19rocblas_complex_numIfES1_PKPKS1_PKPS1_EviT7_lllT6_T8_lllPii,"axG",@progbits,_ZL19rocblas_trsv_deviceILi64ELi16ELb0ELb1ELb1ELb1E19rocblas_complex_numIfES1_PKPKS1_PKPS1_EviT7_lllT6_T8_lllPii,comdat
	.globl	_ZL19rocblas_trsv_deviceILi64ELi16ELb0ELb1ELb1ELb1E19rocblas_complex_numIfES1_PKPKS1_PKPS1_EviT7_lllT6_T8_lllPii ; -- Begin function _ZL19rocblas_trsv_deviceILi64ELi16ELb0ELb1ELb1ELb1E19rocblas_complex_numIfES1_PKPKS1_PKPS1_EviT7_lllT6_T8_lllPii
	.p2align	8
	.type	_ZL19rocblas_trsv_deviceILi64ELi16ELb0ELb1ELb1ELb1E19rocblas_complex_numIfES1_PKPKS1_PKPS1_EviT7_lllT6_T8_lllPii,@function
_ZL19rocblas_trsv_deviceILi64ELi16ELb0ELb1ELb1ELb1E19rocblas_complex_numIfES1_PKPKS1_PKPS1_EviT7_lllT6_T8_lllPii: ; @_ZL19rocblas_trsv_deviceILi64ELi16ELb0ELb1ELb1ELb1E19rocblas_complex_numIfES1_PKPKS1_PKPS1_EviT7_lllT6_T8_lllPii
; %bb.0:
	s_load_dwordx4 s[0:3], s[4:5], 0x8
	s_load_dword s33, s[4:5], 0x0
	s_mov_b32 s24, s7
	s_mov_b32 s25, 0
	s_lshl_b64 s[8:9], s[24:25], 3
	s_waitcnt lgkmcnt(0)
	s_add_u32 s0, s0, s8
	s_addc_u32 s1, s1, s9
	s_load_dwordx2 s[10:11], s[0:1], 0x0
	s_load_dwordx2 s[30:31], s[4:5], 0x18
	;; [unrolled: 1-line block ×3, first 2 shown]
	s_load_dwordx4 s[12:15], s[4:5], 0x30
	s_load_dwordx2 s[26:27], s[4:5], 0x40
	s_lshl_b64 s[0:1], s[2:3], 3
	s_waitcnt lgkmcnt(0)
	s_add_u32 s88, s10, s0
	s_addc_u32 s89, s11, s1
	s_add_u32 s0, s12, s8
	s_addc_u32 s1, s13, s9
	s_load_dwordx2 s[36:37], s[0:1], 0x0
	s_load_dword s22, s[4:5], 0x6c
	s_cmp_eq_u32 s6, 0
	s_cbranch_scc1 .LBB159_10
; %bb.1:
	s_lshl_b32 s2, s6, 6
	v_add_u32_e32 v4, s2, v0
	v_ashrrev_i32_e32 v2, 31, v4
	v_mul_lo_u32 v5, s30, v2
	v_mul_lo_u32 v8, s31, v4
	v_mad_u64_u32 v[2:3], s[0:1], s30, v4, 0
	v_add_u32_e32 v6, s2, v1
	v_subrev_u32_e32 v6, 64, v6
	v_add3_u32 v3, v3, v5, v8
	v_lshlrev_b64 v[2:3], 3, v[2:3]
	v_ashrrev_i32_e32 v7, 31, v6
	v_cmp_gt_i32_e32 vcc, s33, v4
	v_mov_b32_e32 v4, s89
	v_add_co_u32_e64 v5, s[0:1], s88, v2
	v_addc_co_u32_e64 v4, s[0:1], v4, v3, s[0:1]
	v_lshlrev_b64 v[2:3], 3, v[6:7]
	s_waitcnt lgkmcnt(0)
	v_add_co_u32_e64 v10, s[0:1], v5, v2
	v_addc_co_u32_e64 v11, s[0:1], v4, v3, s[0:1]
	v_cmp_gt_i32_e64 s[0:1], s33, v6
	s_and_b64 s[2:3], s[0:1], vcc
	v_mov_b32_e32 v2, 0
	v_mov_b32_e32 v4, 0
	;; [unrolled: 1-line block ×3, first 2 shown]
	s_barrier
	s_and_saveexec_b64 s[0:1], s[2:3]
	s_cbranch_execz .LBB159_3
; %bb.2:
	flat_load_dwordx2 v[4:5], v[10:11]
.LBB159_3:
	s_or_b64 exec, exec, s[0:1]
	v_add_u32_e32 v3, 16, v6
	v_cmp_gt_i32_e64 s[0:1], s33, v3
	s_and_b64 s[2:3], s[0:1], vcc
	v_mov_b32_e32 v3, 0
	s_waitcnt vmcnt(0) lgkmcnt(0)
	s_barrier
	s_and_saveexec_b64 s[0:1], s[2:3]
	s_cbranch_execz .LBB159_5
; %bb.4:
	flat_load_dwordx2 v[2:3], v[10:11] offset:128
.LBB159_5:
	s_or_b64 exec, exec, s[0:1]
	v_add_u32_e32 v7, 32, v6
	v_cmp_gt_i32_e64 s[0:1], s33, v7
	s_and_b64 s[2:3], s[0:1], vcc
	v_mov_b32_e32 v7, 0
	v_mov_b32_e32 v8, 0
	;; [unrolled: 1-line block ×3, first 2 shown]
	s_waitcnt vmcnt(0) lgkmcnt(0)
	s_barrier
	s_and_saveexec_b64 s[0:1], s[2:3]
	s_cbranch_execz .LBB159_7
; %bb.6:
	flat_load_dwordx2 v[8:9], v[10:11] offset:256
.LBB159_7:
	s_or_b64 exec, exec, s[0:1]
	v_add_u32_e32 v6, 48, v6
	v_cmp_gt_i32_e64 s[0:1], s33, v6
	s_and_b64 s[2:3], s[0:1], vcc
	v_mov_b32_e32 v6, 0
	s_waitcnt vmcnt(0) lgkmcnt(0)
	s_barrier
	s_and_saveexec_b64 s[0:1], s[2:3]
	s_cbranch_execz .LBB159_9
; %bb.8:
	flat_load_dwordx2 v[6:7], v[10:11] offset:384
.LBB159_9:
	s_or_b64 exec, exec, s[0:1]
	s_branch .LBB159_11
.LBB159_10:
                                        ; implicit-def: $vgpr7
                                        ; implicit-def: $vgpr9
                                        ; implicit-def: $vgpr3
                                        ; implicit-def: $vgpr5
.LBB159_11:
	s_ashr_i32 s0, s33, 31
	s_lshr_b32 s0, s0, 26
	s_add_i32 s0, s33, s0
	s_andn2_b32 s0, s0, 63
	s_sub_i32 s7, s33, s0
	s_add_i32 s0, s33, -1
	s_ashr_i32 s1, s0, 31
	s_lshr_b32 s1, s1, 26
	s_add_i32 s0, s0, s1
	s_ashr_i32 s0, s0, 6
	s_cmp_eq_u32 s0, s6
	s_cselect_b64 s[0:1], -1, 0
	s_cmp_lg_u32 s7, 0
	s_cselect_b64 s[2:3], -1, 0
	s_and_b64 s[28:29], s[2:3], s[0:1]
	s_cmp_lt_i32 s6, 5
	s_cselect_b64 s[2:3], -1, 0
	v_lshlrev_b32_e32 v10, 6, v0
	s_mov_b64 s[12:13], -1
	s_or_b64 s[0:1], s[2:3], s[28:29]
	s_and_b64 vcc, exec, s[28:29]
	v_add_u32_e32 v11, v1, v10
	v_cmp_le_u32_e64 s[8:9], v1, v0
	v_lshlrev_b32_e32 v16, 3, v0
	v_lshl_add_u32 v17, v1, 6, v0
	s_cbranch_vccnz .LBB159_37
; %bb.12:
	s_add_u32 s10, s30, 1
	s_addc_u32 s11, s31, 0
	s_lshl_b32 s12, s6, 6
	s_ashr_i32 s13, s12, 31
	s_mul_hi_u32 s14, s10, s12
	s_mul_i32 s13, s10, s13
	s_add_i32 s13, s14, s13
	s_mul_i32 s11, s11, s12
	s_add_i32 s11, s13, s11
	s_mul_i32 s10, s10, s12
	s_lshl_b64 s[10:11], s[10:11], 3
	s_add_u32 s10, s88, s10
	s_addc_u32 s11, s89, s11
	v_lshlrev_b32_e32 v12, 3, v0
	v_mov_b32_e32 v13, s11
	v_add_co_u32_e32 v12, vcc, s10, v12
	v_addc_co_u32_e32 v13, vcc, 0, v13, vcc
	v_cndmask_b32_e64 v14, v17, v11, s[2:3]
	s_and_saveexec_b64 s[2:3], s[8:9]
	s_xor_b64 s[2:3], exec, s[2:3]
	s_cbranch_execz .LBB159_16
; %bb.13:
	v_or_b32_e32 v15, v1, v0
	v_cmp_gt_u32_e32 vcc, 64, v15
	s_and_saveexec_b64 s[8:9], vcc
; %bb.14:
	v_lshlrev_b32_e32 v18, 3, v14
	v_mov_b32_e32 v14, 0
	v_mov_b32_e32 v15, v14
	ds_write_b64 v18, v[14:15]
; %bb.15:
	s_or_b64 exec, exec, s[8:9]
                                        ; implicit-def: $vgpr14
.LBB159_16:
	s_andn2_saveexec_b64 s[2:3], s[2:3]
	s_cbranch_execz .LBB159_18
; %bb.17:
	v_mad_u64_u32 v[18:19], s[8:9], s30, v1, 0
	v_lshlrev_b32_e32 v14, 3, v14
	v_mov_b32_e32 v15, v19
	v_mad_u64_u32 v[19:20], s[8:9], s31, v1, v[15:16]
	v_lshlrev_b64 v[18:19], 3, v[18:19]
	v_add_co_u32_e32 v18, vcc, v12, v18
	v_addc_co_u32_e32 v19, vcc, v13, v19, vcc
	flat_load_dwordx2 v[18:19], v[18:19]
	s_waitcnt vmcnt(0) lgkmcnt(0)
	v_xor_b32_e32 v18, 0x80000000, v18
	ds_write_b64 v14, v[18:19]
.LBB159_18:
	s_or_b64 exec, exec, s[2:3]
	v_add_u32_e32 v15, 16, v1
	v_add_u32_e32 v14, v15, v10
	v_lshl_add_u32 v18, v15, 6, v0
	v_cndmask_b32_e64 v14, v18, v14, s[0:1]
	v_cmp_le_u32_e32 vcc, v15, v0
	s_and_saveexec_b64 s[2:3], vcc
	s_xor_b64 s[2:3], exec, s[2:3]
	s_cbranch_execz .LBB159_22
; %bb.19:
	v_or_b32_e32 v15, v15, v0
	v_cmp_gt_u32_e32 vcc, 64, v15
	s_and_saveexec_b64 s[8:9], vcc
; %bb.20:
	v_lshlrev_b32_e32 v18, 3, v14
	v_mov_b32_e32 v14, 0
	v_mov_b32_e32 v15, v14
	ds_write_b64 v18, v[14:15]
; %bb.21:
	s_or_b64 exec, exec, s[8:9]
                                        ; implicit-def: $vgpr15
                                        ; implicit-def: $vgpr14
.LBB159_22:
	s_andn2_saveexec_b64 s[2:3], s[2:3]
	s_cbranch_execz .LBB159_24
; %bb.23:
	v_mad_u64_u32 v[18:19], s[8:9], s30, v15, 0
	v_lshlrev_b32_e32 v14, 3, v14
	v_mad_u64_u32 v[19:20], s[8:9], s31, v15, v[19:20]
	v_lshlrev_b64 v[18:19], 3, v[18:19]
	v_add_co_u32_e32 v18, vcc, v12, v18
	v_addc_co_u32_e32 v19, vcc, v13, v19, vcc
	flat_load_dwordx2 v[18:19], v[18:19]
	s_waitcnt vmcnt(0) lgkmcnt(0)
	v_xor_b32_e32 v18, 0x80000000, v18
	ds_write_b64 v14, v[18:19]
.LBB159_24:
	s_or_b64 exec, exec, s[2:3]
	v_add_u32_e32 v15, 32, v1
	v_add_u32_e32 v14, v15, v10
	v_lshl_add_u32 v18, v15, 6, v0
	v_cndmask_b32_e64 v14, v18, v14, s[0:1]
	v_cmp_le_u32_e32 vcc, v15, v0
	s_and_saveexec_b64 s[2:3], vcc
	s_xor_b64 s[2:3], exec, s[2:3]
	s_cbranch_execz .LBB159_28
; %bb.25:
	v_or_b32_e32 v15, v15, v0
	v_cmp_gt_u32_e32 vcc, 64, v15
	s_and_saveexec_b64 s[8:9], vcc
; %bb.26:
	v_lshlrev_b32_e32 v18, 3, v14
	v_mov_b32_e32 v14, 0
	v_mov_b32_e32 v15, v14
	ds_write_b64 v18, v[14:15]
; %bb.27:
	s_or_b64 exec, exec, s[8:9]
                                        ; implicit-def: $vgpr15
                                        ; implicit-def: $vgpr14
.LBB159_28:
	s_andn2_saveexec_b64 s[2:3], s[2:3]
	s_cbranch_execz .LBB159_30
; %bb.29:
	v_mad_u64_u32 v[18:19], s[8:9], s30, v15, 0
	v_lshlrev_b32_e32 v14, 3, v14
	v_mad_u64_u32 v[19:20], s[8:9], s31, v15, v[19:20]
	v_lshlrev_b64 v[18:19], 3, v[18:19]
	v_add_co_u32_e32 v18, vcc, v12, v18
	v_addc_co_u32_e32 v19, vcc, v13, v19, vcc
	flat_load_dwordx2 v[18:19], v[18:19]
	s_waitcnt vmcnt(0) lgkmcnt(0)
	v_xor_b32_e32 v18, 0x80000000, v18
	ds_write_b64 v14, v[18:19]
.LBB159_30:
	s_or_b64 exec, exec, s[2:3]
	v_add_u32_e32 v15, 48, v1
	v_add_u32_e32 v14, v15, v10
	v_lshl_add_u32 v18, v15, 6, v0
	v_cndmask_b32_e64 v14, v18, v14, s[0:1]
	v_cmp_le_u32_e32 vcc, v15, v0
	s_and_saveexec_b64 s[2:3], vcc
	s_xor_b64 s[2:3], exec, s[2:3]
	s_cbranch_execz .LBB159_34
; %bb.31:
	v_or_b32_e32 v12, v15, v0
	v_cmp_gt_u32_e32 vcc, 64, v12
	s_and_saveexec_b64 s[8:9], vcc
; %bb.32:
	v_mov_b32_e32 v12, 0
	v_lshlrev_b32_e32 v14, 3, v14
	v_mov_b32_e32 v13, v12
	ds_write_b64 v14, v[12:13]
; %bb.33:
	s_or_b64 exec, exec, s[8:9]
                                        ; implicit-def: $vgpr15
                                        ; implicit-def: $vgpr12
                                        ; implicit-def: $vgpr13
                                        ; implicit-def: $vgpr14
.LBB159_34:
	s_andn2_saveexec_b64 s[2:3], s[2:3]
	s_cbranch_execz .LBB159_36
; %bb.35:
	v_mad_u64_u32 v[18:19], s[8:9], s30, v15, 0
	v_lshlrev_b32_e32 v14, 3, v14
	v_mad_u64_u32 v[19:20], s[8:9], s31, v15, v[19:20]
	v_lshlrev_b64 v[18:19], 3, v[18:19]
	v_add_co_u32_e32 v12, vcc, v12, v18
	v_addc_co_u32_e32 v13, vcc, v13, v19, vcc
	flat_load_dwordx2 v[12:13], v[12:13]
	s_waitcnt vmcnt(0) lgkmcnt(0)
	v_xor_b32_e32 v12, 0x80000000, v12
	ds_write_b64 v14, v[12:13]
.LBB159_36:
	s_or_b64 exec, exec, s[2:3]
	s_mov_b64 s[12:13], 0
.LBB159_37:
	s_xor_b64 s[10:11], s[0:1], -1
	s_and_b64 vcc, exec, s[12:13]
	s_cbranch_vccz .LBB159_63
; %bb.38:
	s_add_u32 s2, s30, 1
	s_addc_u32 s3, s31, 0
	s_lshl_b32 s8, s6, 6
	s_ashr_i32 s9, s8, 31
	s_mul_hi_u32 s12, s2, s8
	s_mul_i32 s9, s2, s9
	s_add_i32 s9, s12, s9
	s_mul_i32 s3, s3, s8
	s_add_i32 s3, s9, s3
	s_mul_i32 s2, s2, s8
	s_lshl_b64 s[2:3], s[2:3], 3
	s_add_u32 s2, s88, s2
	s_addc_u32 s3, s89, s3
	v_lshlrev_b32_e32 v12, 3, v0
	v_mov_b32_e32 v13, s3
	v_add_co_u32_e64 v12, s[2:3], s2, v12
	v_addc_co_u32_e64 v13, s[2:3], 0, v13, s[2:3]
	v_max_i32_e32 v14, v1, v0
	v_cmp_le_u32_e64 s[2:3], v1, v0
	v_cmp_le_i32_e64 s[8:9], s7, v14
	v_cmp_gt_i32_e32 vcc, s7, v0
	s_or_b64 s[2:3], s[8:9], s[2:3]
	s_and_saveexec_b64 s[8:9], s[2:3]
	s_xor_b64 s[8:9], exec, s[8:9]
	s_cbranch_execz .LBB159_42
; %bb.39:
	v_or_b32_e32 v14, v1, v0
	v_cmp_gt_u32_e64 s[2:3], 64, v14
	s_and_saveexec_b64 s[12:13], s[2:3]
; %bb.40:
	v_mov_b32_e32 v14, 0
	v_lshlrev_b32_e32 v11, 3, v11
	v_mov_b32_e32 v15, v14
	ds_write_b64 v11, v[14:15]
; %bb.41:
	s_or_b64 exec, exec, s[12:13]
                                        ; implicit-def: $vgpr11
.LBB159_42:
	s_andn2_saveexec_b64 s[8:9], s[8:9]
	s_cbranch_execz .LBB159_44
; %bb.43:
	v_mad_u64_u32 v[14:15], s[2:3], s30, v1, 0
	v_lshlrev_b32_e32 v11, 3, v11
	v_mad_u64_u32 v[18:19], s[2:3], s31, v1, v[15:16]
	v_mov_b32_e32 v15, v18
	v_lshlrev_b64 v[14:15], 3, v[14:15]
	v_add_co_u32_e64 v14, s[2:3], v12, v14
	v_addc_co_u32_e64 v15, s[2:3], v13, v15, s[2:3]
	flat_load_dwordx2 v[14:15], v[14:15]
	s_waitcnt vmcnt(0) lgkmcnt(0)
	v_xor_b32_e32 v14, 0x80000000, v14
	ds_write_b64 v11, v[14:15]
.LBB159_44:
	s_or_b64 exec, exec, s[8:9]
	v_add_u32_e32 v14, 16, v1
	v_cmp_gt_u32_e64 s[2:3], v14, v0
	v_cmp_gt_i32_e64 s[8:9], s7, v14
	s_and_b64 s[2:3], s[2:3], s[8:9]
	v_add_u32_e32 v11, v14, v10
	v_lshl_add_u32 v15, v14, 6, v0
	s_and_b64 s[2:3], s[2:3], vcc
	v_cndmask_b32_e64 v11, v15, v11, s[0:1]
	s_xor_b64 s[2:3], s[2:3], -1
	s_and_saveexec_b64 s[8:9], s[2:3]
	s_xor_b64 s[8:9], exec, s[8:9]
	s_cbranch_execz .LBB159_48
; %bb.45:
	v_or_b32_e32 v14, v14, v0
	v_cmp_gt_u32_e64 s[2:3], 64, v14
	s_and_saveexec_b64 s[12:13], s[2:3]
; %bb.46:
	v_mov_b32_e32 v14, 0
	v_lshlrev_b32_e32 v11, 3, v11
	v_mov_b32_e32 v15, v14
	ds_write_b64 v11, v[14:15]
; %bb.47:
	s_or_b64 exec, exec, s[12:13]
                                        ; implicit-def: $vgpr14
                                        ; implicit-def: $vgpr11
.LBB159_48:
	s_andn2_saveexec_b64 s[8:9], s[8:9]
	s_cbranch_execz .LBB159_50
; %bb.49:
	v_mad_u64_u32 v[18:19], s[2:3], s30, v14, 0
	v_lshlrev_b32_e32 v11, 3, v11
	v_mov_b32_e32 v15, v19
	v_mad_u64_u32 v[14:15], s[2:3], s31, v14, v[15:16]
	v_mov_b32_e32 v19, v14
	v_lshlrev_b64 v[14:15], 3, v[18:19]
	v_add_co_u32_e64 v14, s[2:3], v12, v14
	v_addc_co_u32_e64 v15, s[2:3], v13, v15, s[2:3]
	flat_load_dwordx2 v[14:15], v[14:15]
	s_waitcnt vmcnt(0) lgkmcnt(0)
	v_xor_b32_e32 v14, 0x80000000, v14
	ds_write_b64 v11, v[14:15]
.LBB159_50:
	s_or_b64 exec, exec, s[8:9]
	v_add_u32_e32 v14, 32, v1
	v_cmp_gt_u32_e64 s[2:3], v14, v0
	v_cmp_gt_i32_e64 s[8:9], s7, v14
	s_and_b64 s[2:3], s[2:3], s[8:9]
	v_add_u32_e32 v11, v14, v10
	v_lshl_add_u32 v15, v14, 6, v0
	s_and_b64 s[2:3], s[2:3], vcc
	v_cndmask_b32_e64 v11, v15, v11, s[0:1]
	s_xor_b64 s[2:3], s[2:3], -1
	s_and_saveexec_b64 s[8:9], s[2:3]
	s_xor_b64 s[8:9], exec, s[8:9]
	s_cbranch_execz .LBB159_54
; %bb.51:
	v_or_b32_e32 v14, v14, v0
	v_cmp_gt_u32_e64 s[2:3], 64, v14
	s_and_saveexec_b64 s[12:13], s[2:3]
; %bb.52:
	v_mov_b32_e32 v14, 0
	v_lshlrev_b32_e32 v11, 3, v11
	v_mov_b32_e32 v15, v14
	ds_write_b64 v11, v[14:15]
; %bb.53:
	s_or_b64 exec, exec, s[12:13]
                                        ; implicit-def: $vgpr14
                                        ; implicit-def: $vgpr11
.LBB159_54:
	s_andn2_saveexec_b64 s[8:9], s[8:9]
	s_cbranch_execz .LBB159_56
; %bb.55:
	v_mad_u64_u32 v[18:19], s[2:3], s30, v14, 0
	v_lshlrev_b32_e32 v11, 3, v11
	v_mov_b32_e32 v15, v19
	v_mad_u64_u32 v[14:15], s[2:3], s31, v14, v[15:16]
	v_mov_b32_e32 v19, v14
	v_lshlrev_b64 v[14:15], 3, v[18:19]
	v_add_co_u32_e64 v14, s[2:3], v12, v14
	v_addc_co_u32_e64 v15, s[2:3], v13, v15, s[2:3]
	flat_load_dwordx2 v[14:15], v[14:15]
	s_waitcnt vmcnt(0) lgkmcnt(0)
	v_xor_b32_e32 v14, 0x80000000, v14
	ds_write_b64 v11, v[14:15]
.LBB159_56:
	s_or_b64 exec, exec, s[8:9]
	v_add_u32_e32 v11, 48, v1
	v_add_u32_e32 v10, v11, v10
	v_lshl_add_u32 v14, v11, 6, v0
	v_cndmask_b32_e64 v10, v14, v10, s[0:1]
	v_cmp_gt_u32_e64 s[0:1], v11, v0
	v_cmp_gt_i32_e64 s[2:3], s7, v11
	s_and_b64 s[0:1], s[0:1], s[2:3]
	s_and_b64 s[0:1], s[0:1], vcc
	s_xor_b64 s[0:1], s[0:1], -1
	s_and_saveexec_b64 s[2:3], s[0:1]
	s_xor_b64 s[0:1], exec, s[2:3]
	s_cbranch_execz .LBB159_60
; %bb.57:
	v_or_b32_e32 v11, v11, v0
	v_cmp_gt_u32_e32 vcc, 64, v11
	s_and_saveexec_b64 s[2:3], vcc
; %bb.58:
	v_lshlrev_b32_e32 v12, 3, v10
	v_mov_b32_e32 v10, 0
	v_mov_b32_e32 v11, v10
	ds_write_b64 v12, v[10:11]
; %bb.59:
	s_or_b64 exec, exec, s[2:3]
                                        ; implicit-def: $vgpr11
                                        ; implicit-def: $vgpr12
                                        ; implicit-def: $vgpr13
                                        ; implicit-def: $vgpr10
.LBB159_60:
	s_andn2_saveexec_b64 s[0:1], s[0:1]
	s_cbranch_execz .LBB159_62
; %bb.61:
	v_mad_u64_u32 v[14:15], s[2:3], s30, v11, 0
	v_lshlrev_b32_e32 v10, 3, v10
	v_mad_u64_u32 v[18:19], s[2:3], s31, v11, v[15:16]
	v_mov_b32_e32 v15, v18
	v_lshlrev_b64 v[14:15], 3, v[14:15]
	v_add_co_u32_e32 v11, vcc, v12, v14
	v_addc_co_u32_e32 v12, vcc, v13, v15, vcc
	flat_load_dwordx2 v[11:12], v[11:12]
	s_waitcnt vmcnt(0) lgkmcnt(0)
	v_xor_b32_e32 v11, 0x80000000, v11
	ds_write_b64 v10, v[11:12]
.LBB159_62:
	s_or_b64 exec, exec, s[0:1]
.LBB159_63:
	v_cndmask_b32_e64 v10, 0, 1, s[10:11]
	v_cmp_ne_u32_e64 s[46:47], 1, v10
	s_andn2_b64 vcc, exec, s[10:11]
	s_waitcnt vmcnt(0) lgkmcnt(0)
	s_barrier
	s_cbranch_vccnz .LBB159_985
; %bb.64:
	v_or_b32_e32 v10, v0, v1
	s_mov_b32 s3, 0
	v_cmp_eq_u32_e32 vcc, 0, v10
	s_and_saveexec_b64 s[0:1], vcc
	s_cbranch_execz .LBB159_66
; %bb.65:
	v_mov_b32_e32 v14, 0
	ds_read_b64 v[10:11], v14 offset:32752
	s_mov_b32 s2, 1.0
	v_mov_b32_e32 v13, s3
	v_mov_b32_e32 v12, s2
	s_movk_i32 s2, 0x7800
	ds_write_b64 v14, v[12:13] offset:32760
	v_add_u32_e64 v14, s2, 0
	s_waitcnt lgkmcnt(1)
	ds_write2_b64 v14, v[12:13], v[10:11] offset0:190 offset1:191
.LBB159_66:
	s_or_b64 exec, exec, s[0:1]
	v_lshlrev_b32_e32 v10, 6, v1
	v_add_u32_e32 v15, v10, v0
	v_and_b32_e32 v11, v10, v0
	v_xor_b32_e32 v10, v10, v0
	v_lshrrev_b16_e32 v10, 1, v10
	v_add_u16_e32 v14, v11, v10
	v_and_b32_e32 v12, 1, v0
	v_sub_u32_e32 v13, 1, v14
	v_cmp_lt_u32_e64 s[8:9], 3, v15
	v_cmp_gt_u32_e64 s[2:3], 4, v15
	v_mov_b32_e32 v10, 0
	v_mov_b32_e32 v11, 0
	s_waitcnt lgkmcnt(0)
	s_barrier
	buffer_wbinvl1_vol
	s_and_saveexec_b64 s[0:1], s[2:3]
	s_cbranch_execz .LBB159_70
; %bb.67:
	v_lshlrev_b32_e32 v10, 3, v12
	v_lshlrev_b32_e32 v18, 9, v13
	ds_read_b64 v[10:11], v10 offset:32224
	ds_read_b64 v[18:19], v18 offset:32240
	v_cmp_gt_u32_e64 s[10:11], 2, v15
	s_waitcnt lgkmcnt(0)
	v_mul_f32_e32 v20, v19, v11
	v_mul_f32_e32 v11, v18, v11
	v_fma_f32 v18, v18, v10, -v20
	v_fmac_f32_e32 v11, v19, v10
	v_add_f32_e32 v10, 0, v18
	v_add_f32_e32 v11, 0, v11
	s_and_saveexec_b64 s[12:13], s[10:11]
	s_cbranch_execz .LBB159_69
; %bb.68:
	v_lshlrev_b32_e32 v18, 3, v0
	v_mov_b32_e32 v20, 0
	ds_read_b64 v[18:19], v18 offset:32736
	ds_read_b64 v[20:21], v20 offset:32760
	s_waitcnt lgkmcnt(0)
	v_mul_f32_e32 v22, v21, v19
	v_mul_f32_e32 v19, v20, v19
	v_fma_f32 v20, v20, v18, -v22
	v_fmac_f32_e32 v19, v21, v18
	v_add_f32_e32 v10, v10, v20
	v_add_f32_e32 v11, v11, v19
.LBB159_69:
	s_or_b64 exec, exec, s[12:13]
.LBB159_70:
	s_or_b64 exec, exec, s[0:1]
	v_mov_b32_e32 v18, 0x8000
	v_cmp_ne_u32_e64 s[10:11], 0, v12
	s_xor_b64 s[0:1], s[8:9], -1
	v_lshl_add_u32 v14, v14, 3, v18
	s_and_b64 s[40:41], s[10:11], s[0:1]
	s_and_saveexec_b64 s[8:9], s[40:41]
; %bb.71:
	v_xor_b32_e32 v19, 0x80000000, v11
	v_xor_b32_e32 v18, 0x80000000, v10
	ds_write_b64 v14, v[18:19]
; %bb.72:
	s_or_b64 exec, exec, s[8:9]
	v_cmp_eq_u32_e64 s[8:9], 0, v12
	s_and_b64 s[38:39], s[8:9], s[0:1]
	s_waitcnt lgkmcnt(0)
	s_barrier
	s_and_saveexec_b64 s[0:1], s[38:39]
	s_cbranch_execz .LBB159_74
; %bb.73:
	v_mov_b32_e32 v18, 0
	ds_read_b64 v[18:19], v18 offset:31712
	ds_read_b64 v[20:21], v14
	s_waitcnt lgkmcnt(0)
	v_mul_f32_e32 v22, v20, v18
	v_mul_f32_e32 v20, v20, v19
	v_fmac_f32_e32 v20, v21, v18
	v_fma_f32 v18, v21, v19, -v22
	v_add_f32_e32 v10, v10, v18
	v_sub_f32_e32 v11, v11, v20
.LBB159_74:
	s_or_b64 exec, exec, s[0:1]
	s_barrier
	s_and_saveexec_b64 s[0:1], s[38:39]
; %bb.75:
	v_xor_b32_e32 v19, 0x80000000, v11
	v_xor_b32_e32 v18, 0x80000000, v10
	ds_write_b64 v14, v[18:19]
; %bb.76:
	s_or_b64 exec, exec, s[0:1]
	s_waitcnt lgkmcnt(0)
	s_barrier
	s_barrier
	s_and_saveexec_b64 s[0:1], s[2:3]
; %bb.77:
	v_lshlrev_b32_e32 v18, 3, v12
	v_lshl_or_b32 v18, v13, 9, v18
	ds_write_b64 v18, v[10:11] offset:32224
; %bb.78:
	s_or_b64 exec, exec, s[0:1]
	v_cmp_eq_u32_e64 s[12:13], 0, v1
	v_cmp_gt_u32_e64 s[8:9], 2, v0
	s_and_b64 s[42:43], s[12:13], s[8:9]
	s_waitcnt lgkmcnt(0)
	s_barrier
	s_barrier
	s_and_saveexec_b64 s[0:1], s[42:43]
	s_cbranch_execz .LBB159_80
; %bb.79:
	v_lshlrev_b32_e32 v18, 3, v0
	s_movk_i32 s8, 0x1f8
	v_mad_u32_u24 v19, v0, s8, v18
	ds_read_b64 v[10:11], v19 offset:32224
	s_waitcnt lgkmcnt(0)
	ds_write_b64 v18, v[10:11] offset:31216
	ds_read_b64 v[10:11], v19 offset:32232
	s_waitcnt lgkmcnt(0)
	ds_write_b64 v18, v[10:11] offset:31728
.LBB159_80:
	s_or_b64 exec, exec, s[0:1]
	s_waitcnt lgkmcnt(0)
	s_barrier
	s_and_saveexec_b64 s[0:1], vcc
	s_cbranch_execz .LBB159_82
; %bb.81:
	v_mov_b32_e32 v20, 0
	ds_read_b64 v[10:11], v20 offset:31712
	s_mov_b64 s[8:9], 0x3f800000
	v_mov_b32_e32 v19, s9
	v_mov_b32_e32 v18, s8
	s_movk_i32 s8, 0x7800
	ds_write_b64 v20, v[18:19] offset:31720
	v_add_u32_e64 v20, s8, 0
	s_waitcnt lgkmcnt(1)
	ds_write2_b64 v20, v[18:19], v[10:11] offset0:60 offset1:61
.LBB159_82:
	s_or_b64 exec, exec, s[0:1]
	v_lshrrev_b32_e32 v20, 2, v15
	v_and_b32_e32 v18, 3, v0
	v_sub_u32_e32 v19, 3, v20
	v_cmp_lt_u32_e64 s[8:9], 15, v15
	v_cmp_gt_u32_e64 s[18:19], 16, v15
	v_mov_b32_e32 v11, 0
	v_mov_b32_e32 v10, 0
	s_waitcnt lgkmcnt(0)
	s_barrier
	buffer_wbinvl1_vol
	s_and_saveexec_b64 s[0:1], s[18:19]
	s_cbranch_execz .LBB159_88
; %bb.83:
	v_lshlrev_b32_e32 v21, 3, v18
	v_lshlrev_b32_e32 v22, 9, v19
	ds_read_b64 v[10:11], v21 offset:31168
	ds_read_b64 v[23:24], v22 offset:31200
	v_cmp_gt_u32_e64 s[10:11], 12, v15
	s_waitcnt lgkmcnt(0)
	v_mul_f32_e32 v25, v24, v11
	v_mul_f32_e32 v11, v23, v11
	v_fma_f32 v23, v23, v10, -v25
	v_fmac_f32_e32 v11, v24, v10
	v_add_f32_e32 v10, 0, v23
	v_add_f32_e32 v11, 0, v11
	s_and_saveexec_b64 s[14:15], s[10:11]
	s_cbranch_execnz .LBB159_1061
; %bb.84:
	s_or_b64 exec, exec, s[14:15]
	v_cmp_gt_u32_e64 s[10:11], 8, v15
	s_and_saveexec_b64 s[14:15], s[10:11]
	s_cbranch_execnz .LBB159_1062
.LBB159_85:
	s_or_b64 exec, exec, s[14:15]
	v_cmp_gt_u32_e64 s[10:11], 4, v15
	s_and_saveexec_b64 s[14:15], s[10:11]
	s_cbranch_execz .LBB159_87
.LBB159_86:
	v_lshlrev_b32_e32 v21, 3, v0
	v_mov_b32_e32 v23, 0
	ds_read_b64 v[21:22], v21 offset:32704
	ds_read_b64 v[23:24], v23 offset:32760
	s_waitcnt lgkmcnt(0)
	v_mul_f32_e32 v25, v24, v22
	v_mul_f32_e32 v22, v23, v22
	v_fma_f32 v23, v23, v21, -v25
	v_fmac_f32_e32 v22, v24, v21
	v_add_f32_e32 v10, v10, v23
	v_add_f32_e32 v11, v11, v22
.LBB159_87:
	s_or_b64 exec, exec, s[14:15]
.LBB159_88:
                                        ; implicit-def: $vgpr37 : SGPR spill to VGPR lane
	v_writelane_b32 v37, s46, 0
	v_writelane_b32 v37, s47, 1
	s_or_b64 exec, exec, s[0:1]
	v_mov_b32_e32 v21, 0x8000
	v_cmp_eq_u32_e64 s[10:11], 3, v18
	s_xor_b64 s[0:1], s[8:9], -1
	v_lshl_add_u32 v20, v20, 3, v21
	s_and_b64 s[46:47], s[10:11], s[0:1]
	s_and_saveexec_b64 s[8:9], s[46:47]
; %bb.89:
	v_xor_b32_e32 v21, 0x80000000, v10
	v_xor_b32_e32 v22, 0x80000000, v11
	ds_write_b64 v20, v[21:22]
; %bb.90:
	s_or_b64 exec, exec, s[8:9]
	v_cmp_ne_u32_e64 s[8:9], 3, v18
	s_and_b64 s[48:49], s[8:9], s[0:1]
	s_waitcnt lgkmcnt(0)
	s_barrier
	s_and_saveexec_b64 s[8:9], s[48:49]
	s_cbranch_execz .LBB159_92
; %bb.91:
	v_lshlrev_b32_e32 v21, 3, v18
	ds_read_b64 v[21:22], v21 offset:30656
	ds_read_b64 v[23:24], v20
	s_waitcnt lgkmcnt(0)
	v_mul_f32_e32 v25, v24, v22
	v_mul_f32_e32 v22, v23, v22
	v_fma_f32 v23, v23, v21, -v25
	v_fmac_f32_e32 v22, v24, v21
	v_sub_f32_e32 v10, v10, v23
	v_sub_f32_e32 v11, v11, v22
.LBB159_92:
	s_or_b64 exec, exec, s[8:9]
	v_cmp_eq_u32_e64 s[8:9], 2, v18
	s_and_b64 s[50:51], s[8:9], s[0:1]
	s_barrier
	s_and_saveexec_b64 s[8:9], s[50:51]
; %bb.93:
	v_xor_b32_e32 v21, 0x80000000, v10
	v_xor_b32_e32 v22, 0x80000000, v11
	ds_write_b64 v20, v[21:22]
; %bb.94:
	s_or_b64 exec, exec, s[8:9]
	v_cmp_gt_u32_e64 s[8:9], 2, v18
	s_and_b64 s[52:53], s[8:9], s[0:1]
	s_waitcnt lgkmcnt(0)
	s_barrier
	s_and_saveexec_b64 s[8:9], s[52:53]
	s_cbranch_execz .LBB159_96
; %bb.95:
	v_lshlrev_b32_e32 v21, 3, v18
	ds_read_b64 v[21:22], v21 offset:30144
	ds_read_b64 v[23:24], v20
	s_waitcnt lgkmcnt(0)
	v_mul_f32_e32 v25, v24, v22
	v_mul_f32_e32 v22, v23, v22
	v_fma_f32 v23, v23, v21, -v25
	v_fmac_f32_e32 v22, v24, v21
	v_sub_f32_e32 v10, v10, v23
	v_sub_f32_e32 v11, v11, v22
.LBB159_96:
	s_or_b64 exec, exec, s[8:9]
	v_cmp_eq_u32_e64 s[8:9], 1, v18
	s_and_b64 s[54:55], s[8:9], s[0:1]
	s_barrier
	s_and_saveexec_b64 s[8:9], s[54:55]
; %bb.97:
	v_xor_b32_e32 v21, 0x80000000, v10
	v_xor_b32_e32 v22, 0x80000000, v11
	ds_write_b64 v20, v[21:22]
; %bb.98:
	s_or_b64 exec, exec, s[8:9]
	v_cmp_eq_u32_e64 s[8:9], 0, v18
	s_and_b64 s[44:45], s[8:9], s[0:1]
	s_waitcnt lgkmcnt(0)
	s_barrier
	s_and_saveexec_b64 s[0:1], s[44:45]
	s_cbranch_execz .LBB159_100
; %bb.99:
	v_mov_b32_e32 v21, 0
	ds_read_b64 v[21:22], v21 offset:29632
	ds_read_b64 v[23:24], v20
	s_waitcnt lgkmcnt(0)
	v_mul_f32_e32 v25, v24, v22
	v_mul_f32_e32 v22, v23, v22
	v_fma_f32 v23, v23, v21, -v25
	v_fmac_f32_e32 v22, v24, v21
	v_sub_f32_e32 v10, v10, v23
	v_sub_f32_e32 v11, v11, v22
.LBB159_100:
	s_or_b64 exec, exec, s[0:1]
	s_barrier
	s_and_saveexec_b64 s[0:1], s[44:45]
; %bb.101:
	v_xor_b32_e32 v21, 0x80000000, v10
	v_xor_b32_e32 v22, 0x80000000, v11
	ds_write_b64 v20, v[21:22]
; %bb.102:
	s_or_b64 exec, exec, s[0:1]
	s_waitcnt lgkmcnt(0)
	s_barrier
	s_barrier
	s_and_saveexec_b64 s[0:1], s[18:19]
; %bb.103:
	v_lshlrev_b32_e32 v21, 3, v18
	v_lshl_or_b32 v21, v19, 9, v21
	ds_write_b64 v21, v[10:11] offset:31168
; %bb.104:
	s_or_b64 exec, exec, s[0:1]
	v_cmp_gt_u32_e64 s[8:9], 4, v0
	s_and_b64 s[56:57], s[12:13], s[8:9]
	s_waitcnt lgkmcnt(0)
	s_barrier
	s_barrier
	s_and_saveexec_b64 s[0:1], s[56:57]
	s_cbranch_execz .LBB159_106
; %bb.105:
	v_lshlrev_b32_e32 v21, 9, v0
	ds_read_b64 v[10:11], v21 offset:31168
	s_movk_i32 s8, 0xfe08
	v_mad_i32_i24 v22, v0, s8, v21
	s_waitcnt lgkmcnt(0)
	ds_write_b64 v22, v[10:11] offset:29152
	ds_read_b64 v[10:11], v21 offset:31176
	s_waitcnt lgkmcnt(0)
	ds_write_b64 v22, v[10:11] offset:29664
	ds_read_b64 v[10:11], v21 offset:31184
	;; [unrolled: 3-line block ×3, first 2 shown]
	s_waitcnt lgkmcnt(0)
	ds_write_b64 v22, v[10:11] offset:30688
.LBB159_106:
	s_or_b64 exec, exec, s[0:1]
	s_waitcnt lgkmcnt(0)
	s_barrier
	s_and_saveexec_b64 s[0:1], vcc
	s_cbranch_execz .LBB159_108
; %bb.107:
	v_mov_b32_e32 v23, 0
	ds_read_b64 v[10:11], v23 offset:30672
	s_mov_b64 s[8:9], 0x3f800000
	v_mov_b32_e32 v22, s9
	v_mov_b32_e32 v21, s8
	s_movk_i32 s8, 0x7000
	ds_write_b64 v23, v[21:22] offset:30680
	v_add_u32_e64 v23, s8, 0
	s_waitcnt lgkmcnt(1)
	ds_write2_b64 v23, v[21:22], v[10:11] offset0:186 offset1:187
.LBB159_108:
	s_or_b64 exec, exec, s[0:1]
	v_mov_b32_e32 v10, 0
	v_mov_b32_e32 v11, 0
	s_waitcnt lgkmcnt(0)
	s_barrier
	buffer_wbinvl1_vol
	s_and_saveexec_b64 s[0:1], s[2:3]
	s_cbranch_execz .LBB159_112
; %bb.109:
	v_lshlrev_b32_e32 v10, 3, v12
	v_lshlrev_b32_e32 v21, 9, v13
	ds_read_b64 v[10:11], v10 offset:30144
	ds_read_b64 v[21:22], v21 offset:30160
	v_cmp_gt_u32_e64 s[8:9], 2, v15
	s_waitcnt lgkmcnt(0)
	v_mul_f32_e32 v23, v22, v11
	v_mul_f32_e32 v11, v21, v11
	v_fma_f32 v21, v21, v10, -v23
	v_fmac_f32_e32 v11, v22, v10
	v_add_f32_e32 v10, 0, v21
	v_add_f32_e32 v11, 0, v11
	s_and_saveexec_b64 s[10:11], s[8:9]
	s_cbranch_execz .LBB159_111
; %bb.110:
	v_lshlrev_b32_e32 v21, 3, v0
	v_mov_b32_e32 v23, 0
	ds_read_b64 v[21:22], v21 offset:30656
	ds_read_b64 v[23:24], v23 offset:30680
	s_waitcnt lgkmcnt(0)
	v_mul_f32_e32 v25, v24, v22
	v_mul_f32_e32 v22, v23, v22
	v_fma_f32 v23, v23, v21, -v25
	v_fmac_f32_e32 v22, v24, v21
	v_add_f32_e32 v10, v10, v23
	v_add_f32_e32 v11, v11, v22
.LBB159_111:
	s_or_b64 exec, exec, s[10:11]
.LBB159_112:
	s_or_b64 exec, exec, s[0:1]
	s_and_saveexec_b64 s[0:1], s[40:41]
; %bb.113:
	v_xor_b32_e32 v22, 0x80000000, v11
	v_xor_b32_e32 v21, 0x80000000, v10
	ds_write_b64 v14, v[21:22]
; %bb.114:
	s_or_b64 exec, exec, s[0:1]
	s_waitcnt lgkmcnt(0)
	s_barrier
	s_and_saveexec_b64 s[0:1], s[38:39]
	s_cbranch_execz .LBB159_116
; %bb.115:
	v_mov_b32_e32 v21, 0
	ds_read_b64 v[21:22], v21 offset:29632
	ds_read_b64 v[23:24], v14
	s_waitcnt lgkmcnt(0)
	v_mul_f32_e32 v25, v23, v21
	v_mul_f32_e32 v23, v23, v22
	v_fmac_f32_e32 v23, v24, v21
	v_fma_f32 v21, v24, v22, -v25
	v_add_f32_e32 v10, v10, v21
	v_sub_f32_e32 v11, v11, v23
.LBB159_116:
	s_or_b64 exec, exec, s[0:1]
	s_barrier
	s_and_saveexec_b64 s[0:1], s[38:39]
; %bb.117:
	v_xor_b32_e32 v22, 0x80000000, v11
	v_xor_b32_e32 v21, 0x80000000, v10
	ds_write_b64 v14, v[21:22]
; %bb.118:
	s_or_b64 exec, exec, s[0:1]
	s_waitcnt lgkmcnt(0)
	s_barrier
	s_barrier
	s_and_saveexec_b64 s[0:1], s[2:3]
; %bb.119:
	v_lshlrev_b32_e32 v21, 3, v12
	v_lshl_or_b32 v21, v13, 9, v21
	ds_write_b64 v21, v[10:11] offset:30144
; %bb.120:
	s_or_b64 exec, exec, s[0:1]
	s_waitcnt lgkmcnt(0)
	s_barrier
	s_barrier
	s_and_saveexec_b64 s[0:1], s[42:43]
	s_cbranch_execz .LBB159_122
; %bb.121:
	v_lshlrev_b32_e32 v21, 3, v0
	s_movk_i32 s8, 0x1f8
	v_mad_u32_u24 v22, v0, s8, v21
	ds_read_b64 v[10:11], v22 offset:30144
	s_waitcnt lgkmcnt(0)
	ds_write_b64 v21, v[10:11] offset:29136
	ds_read_b64 v[10:11], v22 offset:30152
	s_waitcnt lgkmcnt(0)
	ds_write_b64 v21, v[10:11] offset:29648
.LBB159_122:
	s_or_b64 exec, exec, s[0:1]
	s_waitcnt lgkmcnt(0)
	s_barrier
	s_and_saveexec_b64 s[0:1], vcc
	s_cbranch_execz .LBB159_124
; %bb.123:
	v_mov_b32_e32 v23, 0
	ds_read_b64 v[10:11], v23 offset:29632
	s_mov_b64 s[8:9], 0x3f800000
	v_mov_b32_e32 v22, s9
	v_mov_b32_e32 v21, s8
	s_movk_i32 s8, 0x7000
	ds_write_b64 v23, v[21:22] offset:29640
	v_add_u32_e64 v23, s8, 0
	s_waitcnt lgkmcnt(1)
	ds_write2_b64 v23, v[21:22], v[10:11] offset0:56 offset1:57
.LBB159_124:
	s_or_b64 exec, exec, s[0:1]
	v_lshrrev_b32_e32 v23, 3, v15
	v_and_b32_e32 v21, 7, v0
	v_sub_u32_e32 v22, 7, v23
	v_cmp_lt_u32_e64 s[10:11], 63, v15
	v_cmp_gt_u32_e64 s[8:9], 64, v15
	v_mov_b32_e32 v11, 0
	v_mov_b32_e32 v10, 0
	s_waitcnt lgkmcnt(0)
	s_barrier
	buffer_wbinvl1_vol
	s_and_saveexec_b64 s[0:1], s[8:9]
	s_cbranch_execz .LBB159_134
; %bb.125:
	v_lshlrev_b32_e32 v24, 3, v21
	v_lshlrev_b32_e32 v25, 9, v22
	ds_read_b64 v[10:11], v24 offset:29056
	ds_read_b64 v[26:27], v25 offset:29120
	v_cmp_gt_u32_e64 s[14:15], 56, v15
	s_waitcnt lgkmcnt(0)
	v_mul_f32_e32 v28, v27, v11
	v_mul_f32_e32 v11, v26, v11
	v_fma_f32 v26, v26, v10, -v28
	v_fmac_f32_e32 v11, v27, v10
	v_add_f32_e32 v10, 0, v26
	v_add_f32_e32 v11, 0, v11
	s_and_saveexec_b64 s[16:17], s[14:15]
	s_cbranch_execnz .LBB159_1063
; %bb.126:
	s_or_b64 exec, exec, s[16:17]
	v_cmp_gt_u32_e64 s[14:15], 48, v15
	s_and_saveexec_b64 s[16:17], s[14:15]
	s_cbranch_execnz .LBB159_1064
.LBB159_127:
	s_or_b64 exec, exec, s[16:17]
	v_cmp_gt_u32_e64 s[14:15], 40, v15
	s_and_saveexec_b64 s[16:17], s[14:15]
	s_cbranch_execnz .LBB159_1065
.LBB159_128:
	s_or_b64 exec, exec, s[16:17]
	v_cmp_gt_u32_e64 s[14:15], 32, v15
	s_and_saveexec_b64 s[16:17], s[14:15]
	s_cbranch_execnz .LBB159_1066
.LBB159_129:
	s_or_b64 exec, exec, s[16:17]
	v_cmp_gt_u32_e64 s[14:15], 24, v15
	s_and_saveexec_b64 s[16:17], s[14:15]
	s_cbranch_execnz .LBB159_1067
.LBB159_130:
	s_or_b64 exec, exec, s[16:17]
	s_and_saveexec_b64 s[14:15], s[18:19]
	s_cbranch_execnz .LBB159_1068
.LBB159_131:
	s_or_b64 exec, exec, s[14:15]
	v_cmp_gt_u32_e64 s[14:15], 8, v15
	s_and_saveexec_b64 s[16:17], s[14:15]
	s_cbranch_execz .LBB159_133
.LBB159_132:
	v_lshlrev_b32_e32 v24, 3, v0
	v_mov_b32_e32 v26, 0
	ds_read_b64 v[24:25], v24 offset:32640
	ds_read_b64 v[26:27], v26 offset:32760
	s_waitcnt lgkmcnt(0)
	v_mul_f32_e32 v28, v27, v25
	v_mul_f32_e32 v25, v26, v25
	v_fma_f32 v26, v26, v24, -v28
	v_fmac_f32_e32 v25, v27, v24
	v_add_f32_e32 v10, v10, v26
	v_add_f32_e32 v11, v11, v25
.LBB159_133:
	s_or_b64 exec, exec, s[16:17]
.LBB159_134:
	s_or_b64 exec, exec, s[0:1]
	v_mov_b32_e32 v24, 0x8000
	v_cmp_eq_u32_e64 s[14:15], 7, v21
	s_xor_b64 s[0:1], s[10:11], -1
	v_lshl_add_u32 v23, v23, 3, v24
	s_and_b64 s[60:61], s[14:15], s[0:1]
	s_and_saveexec_b64 s[10:11], s[60:61]
; %bb.135:
	v_xor_b32_e32 v25, 0x80000000, v11
	v_xor_b32_e32 v24, 0x80000000, v10
	ds_write_b64 v23, v[24:25]
; %bb.136:
	s_or_b64 exec, exec, s[10:11]
	v_cmp_ne_u32_e64 s[10:11], 7, v21
	s_and_b64 s[62:63], s[10:11], s[0:1]
	s_waitcnt lgkmcnt(0)
	s_barrier
	s_and_saveexec_b64 s[10:11], s[62:63]
	s_cbranch_execz .LBB159_138
; %bb.137:
	v_lshlrev_b32_e32 v24, 3, v21
	ds_read_b64 v[24:25], v24 offset:28544
	ds_read_b64 v[26:27], v23
	s_waitcnt lgkmcnt(0)
	v_mul_f32_e32 v28, v27, v25
	v_mul_f32_e32 v25, v26, v25
	v_fma_f32 v26, v26, v24, -v28
	v_fmac_f32_e32 v25, v27, v24
	v_sub_f32_e32 v10, v10, v26
	v_sub_f32_e32 v11, v11, v25
.LBB159_138:
	s_or_b64 exec, exec, s[10:11]
	v_cmp_eq_u32_e64 s[10:11], 6, v21
	s_and_b64 s[64:65], s[10:11], s[0:1]
	s_barrier
	s_and_saveexec_b64 s[10:11], s[64:65]
; %bb.139:
	v_xor_b32_e32 v25, 0x80000000, v11
	v_xor_b32_e32 v24, 0x80000000, v10
	ds_write_b64 v23, v[24:25]
; %bb.140:
	s_or_b64 exec, exec, s[10:11]
	v_cmp_gt_u32_e64 s[10:11], 6, v21
	s_and_b64 s[66:67], s[10:11], s[0:1]
	s_waitcnt lgkmcnt(0)
	s_barrier
	s_and_saveexec_b64 s[10:11], s[66:67]
	s_cbranch_execz .LBB159_142
; %bb.141:
	v_lshlrev_b32_e32 v24, 3, v21
	ds_read_b64 v[24:25], v24 offset:28032
	ds_read_b64 v[26:27], v23
	s_waitcnt lgkmcnt(0)
	v_mul_f32_e32 v28, v27, v25
	v_mul_f32_e32 v25, v26, v25
	v_fma_f32 v26, v26, v24, -v28
	v_fmac_f32_e32 v25, v27, v24
	v_sub_f32_e32 v10, v10, v26
	v_sub_f32_e32 v11, v11, v25
.LBB159_142:
	s_or_b64 exec, exec, s[10:11]
	v_cmp_eq_u32_e64 s[10:11], 5, v21
	s_and_b64 s[68:69], s[10:11], s[0:1]
	s_barrier
	s_and_saveexec_b64 s[10:11], s[68:69]
; %bb.143:
	v_xor_b32_e32 v25, 0x80000000, v11
	v_xor_b32_e32 v24, 0x80000000, v10
	ds_write_b64 v23, v[24:25]
; %bb.144:
	s_or_b64 exec, exec, s[10:11]
	v_cmp_gt_u32_e64 s[10:11], 5, v21
	;; [unrolled: 29-line block ×5, first 2 shown]
	s_and_b64 s[82:83], s[10:11], s[0:1]
	s_waitcnt lgkmcnt(0)
	s_barrier
	s_and_saveexec_b64 s[10:11], s[82:83]
	s_cbranch_execz .LBB159_158
; %bb.157:
	v_lshlrev_b32_e32 v24, 3, v21
	ds_read_b64 v[24:25], v24 offset:25984
	ds_read_b64 v[26:27], v23
	s_waitcnt lgkmcnt(0)
	v_mul_f32_e32 v28, v27, v25
	v_mul_f32_e32 v25, v26, v25
	v_fma_f32 v26, v26, v24, -v28
	v_fmac_f32_e32 v25, v27, v24
	v_sub_f32_e32 v10, v10, v26
	v_sub_f32_e32 v11, v11, v25
.LBB159_158:
	s_or_b64 exec, exec, s[10:11]
	v_cmp_eq_u32_e64 s[10:11], 1, v21
	s_and_b64 s[84:85], s[10:11], s[0:1]
	s_barrier
	s_and_saveexec_b64 s[10:11], s[84:85]
; %bb.159:
	v_xor_b32_e32 v25, 0x80000000, v11
	v_xor_b32_e32 v24, 0x80000000, v10
	ds_write_b64 v23, v[24:25]
; %bb.160:
	s_or_b64 exec, exec, s[10:11]
	v_cmp_eq_u32_e64 s[10:11], 0, v21
	s_and_b64 s[58:59], s[10:11], s[0:1]
	s_waitcnt lgkmcnt(0)
	s_barrier
	s_and_saveexec_b64 s[0:1], s[58:59]
	s_cbranch_execz .LBB159_162
; %bb.161:
	v_mov_b32_e32 v24, 0
	ds_read_b64 v[24:25], v24 offset:25472
	ds_read_b64 v[26:27], v23
	s_waitcnt lgkmcnt(0)
	v_mul_f32_e32 v28, v27, v25
	v_mul_f32_e32 v25, v26, v25
	v_fma_f32 v26, v26, v24, -v28
	v_fmac_f32_e32 v25, v27, v24
	v_sub_f32_e32 v10, v10, v26
	v_sub_f32_e32 v11, v11, v25
.LBB159_162:
	s_or_b64 exec, exec, s[0:1]
	s_barrier
	s_and_saveexec_b64 s[0:1], s[58:59]
; %bb.163:
	v_xor_b32_e32 v25, 0x80000000, v11
	v_xor_b32_e32 v24, 0x80000000, v10
	ds_write_b64 v23, v[24:25]
; %bb.164:
	s_or_b64 exec, exec, s[0:1]
	s_waitcnt lgkmcnt(0)
	s_barrier
	s_barrier
	s_and_saveexec_b64 s[0:1], s[8:9]
; %bb.165:
	v_lshlrev_b32_e32 v24, 3, v21
	v_lshl_or_b32 v24, v22, 9, v24
	ds_write_b64 v24, v[10:11] offset:29056
; %bb.166:
	s_or_b64 exec, exec, s[0:1]
	v_cmp_gt_u32_e64 s[10:11], 8, v0
	s_and_b64 s[86:87], s[12:13], s[10:11]
	s_waitcnt lgkmcnt(0)
	s_barrier
	s_barrier
	s_and_saveexec_b64 s[0:1], s[86:87]
	s_cbranch_execz .LBB159_168
; %bb.167:
	v_lshlrev_b32_e32 v24, 9, v0
	ds_read_b64 v[10:11], v24 offset:29056
	s_movk_i32 s10, 0xfe08
	v_mad_i32_i24 v25, v0, s10, v24
	s_waitcnt lgkmcnt(0)
	ds_write_b64 v25, v[10:11] offset:25024
	ds_read_b64 v[10:11], v24 offset:29064
	s_waitcnt lgkmcnt(0)
	ds_write_b64 v25, v[10:11] offset:25536
	ds_read_b64 v[10:11], v24 offset:29072
	;; [unrolled: 3-line block ×7, first 2 shown]
	s_waitcnt lgkmcnt(0)
	ds_write_b64 v25, v[10:11] offset:28608
.LBB159_168:
	s_or_b64 exec, exec, s[0:1]
	s_waitcnt lgkmcnt(0)
	s_barrier
	s_and_saveexec_b64 s[0:1], vcc
	s_cbranch_execz .LBB159_170
; %bb.169:
	v_mov_b32_e32 v26, 0
	ds_read_b64 v[10:11], v26 offset:28592
	s_mov_b64 s[10:11], 0x3f800000
	v_mov_b32_e32 v25, s11
	v_mov_b32_e32 v24, s10
	s_movk_i32 s10, 0x6800
	ds_write_b64 v26, v[24:25] offset:28600
	v_add_u32_e64 v26, s10, 0
	s_waitcnt lgkmcnt(1)
	ds_write2_b64 v26, v[24:25], v[10:11] offset0:182 offset1:183
.LBB159_170:
	s_or_b64 exec, exec, s[0:1]
	v_mov_b32_e32 v10, 0
	v_mov_b32_e32 v11, 0
	s_waitcnt lgkmcnt(0)
	s_barrier
	buffer_wbinvl1_vol
	s_and_saveexec_b64 s[0:1], s[2:3]
	s_cbranch_execz .LBB159_174
; %bb.171:
	v_lshlrev_b32_e32 v10, 3, v12
	v_lshlrev_b32_e32 v24, 9, v13
	ds_read_b64 v[10:11], v10 offset:28064
	ds_read_b64 v[24:25], v24 offset:28080
	v_cmp_gt_u32_e64 s[10:11], 2, v15
	s_waitcnt lgkmcnt(0)
	v_mul_f32_e32 v26, v25, v11
	v_mul_f32_e32 v11, v24, v11
	v_fma_f32 v24, v24, v10, -v26
	v_fmac_f32_e32 v11, v25, v10
	v_add_f32_e32 v10, 0, v24
	v_add_f32_e32 v11, 0, v11
	s_and_saveexec_b64 s[14:15], s[10:11]
	s_cbranch_execz .LBB159_173
; %bb.172:
	v_lshlrev_b32_e32 v24, 3, v0
	v_mov_b32_e32 v26, 0
	ds_read_b64 v[24:25], v24 offset:28576
	ds_read_b64 v[26:27], v26 offset:28600
	s_waitcnt lgkmcnt(0)
	v_mul_f32_e32 v28, v27, v25
	v_mul_f32_e32 v25, v26, v25
	v_fma_f32 v26, v26, v24, -v28
	v_fmac_f32_e32 v25, v27, v24
	v_add_f32_e32 v10, v10, v26
	v_add_f32_e32 v11, v11, v25
.LBB159_173:
	s_or_b64 exec, exec, s[14:15]
.LBB159_174:
	s_or_b64 exec, exec, s[0:1]
	s_and_saveexec_b64 s[0:1], s[40:41]
; %bb.175:
	v_xor_b32_e32 v25, 0x80000000, v11
	v_xor_b32_e32 v24, 0x80000000, v10
	ds_write_b64 v14, v[24:25]
; %bb.176:
	s_or_b64 exec, exec, s[0:1]
	s_waitcnt lgkmcnt(0)
	s_barrier
	s_and_saveexec_b64 s[0:1], s[38:39]
	s_cbranch_execz .LBB159_178
; %bb.177:
	v_mov_b32_e32 v24, 0
	ds_read_b64 v[24:25], v24 offset:27552
	ds_read_b64 v[26:27], v14
	s_waitcnt lgkmcnt(0)
	v_mul_f32_e32 v28, v26, v24
	v_mul_f32_e32 v26, v26, v25
	v_fmac_f32_e32 v26, v27, v24
	v_fma_f32 v24, v27, v25, -v28
	v_add_f32_e32 v10, v10, v24
	v_sub_f32_e32 v11, v11, v26
.LBB159_178:
	s_or_b64 exec, exec, s[0:1]
	s_barrier
	s_and_saveexec_b64 s[0:1], s[38:39]
; %bb.179:
	v_xor_b32_e32 v25, 0x80000000, v11
	v_xor_b32_e32 v24, 0x80000000, v10
	ds_write_b64 v14, v[24:25]
; %bb.180:
	s_or_b64 exec, exec, s[0:1]
	s_waitcnt lgkmcnt(0)
	s_barrier
	s_barrier
	s_and_saveexec_b64 s[0:1], s[2:3]
; %bb.181:
	v_lshlrev_b32_e32 v24, 3, v12
	v_lshl_or_b32 v24, v13, 9, v24
	ds_write_b64 v24, v[10:11] offset:28064
; %bb.182:
	s_or_b64 exec, exec, s[0:1]
	s_waitcnt lgkmcnt(0)
	s_barrier
	s_barrier
	s_and_saveexec_b64 s[0:1], s[42:43]
	s_cbranch_execz .LBB159_184
; %bb.183:
	v_lshlrev_b32_e32 v24, 3, v0
	s_movk_i32 s10, 0x1f8
	v_mad_u32_u24 v25, v0, s10, v24
	ds_read_b64 v[10:11], v25 offset:28064
	s_waitcnt lgkmcnt(0)
	ds_write_b64 v24, v[10:11] offset:27056
	ds_read_b64 v[10:11], v25 offset:28072
	s_waitcnt lgkmcnt(0)
	ds_write_b64 v24, v[10:11] offset:27568
.LBB159_184:
	s_or_b64 exec, exec, s[0:1]
	s_waitcnt lgkmcnt(0)
	s_barrier
	s_and_saveexec_b64 s[0:1], vcc
	s_cbranch_execz .LBB159_186
; %bb.185:
	v_mov_b32_e32 v26, 0
	ds_read_b64 v[10:11], v26 offset:27552
	s_mov_b64 s[10:11], 0x3f800000
	v_mov_b32_e32 v25, s11
	v_mov_b32_e32 v24, s10
	s_movk_i32 s10, 0x6800
	ds_write_b64 v26, v[24:25] offset:27560
	v_add_u32_e64 v26, s10, 0
	s_waitcnt lgkmcnt(1)
	ds_write2_b64 v26, v[24:25], v[10:11] offset0:52 offset1:53
.LBB159_186:
	s_or_b64 exec, exec, s[0:1]
	v_mov_b32_e32 v11, 0
	v_mov_b32_e32 v10, 0
	s_waitcnt lgkmcnt(0)
	s_barrier
	buffer_wbinvl1_vol
	s_and_saveexec_b64 s[0:1], s[18:19]
	s_cbranch_execz .LBB159_192
; %bb.187:
	v_lshlrev_b32_e32 v24, 3, v18
	v_lshlrev_b32_e32 v25, 9, v19
	ds_read_b64 v[10:11], v24 offset:27008
	ds_read_b64 v[26:27], v25 offset:27040
	v_cmp_gt_u32_e64 s[10:11], 12, v15
	s_waitcnt lgkmcnt(0)
	v_mul_f32_e32 v28, v27, v11
	v_mul_f32_e32 v11, v26, v11
	v_fma_f32 v26, v26, v10, -v28
	v_fmac_f32_e32 v11, v27, v10
	v_add_f32_e32 v10, 0, v26
	v_add_f32_e32 v11, 0, v11
	s_and_saveexec_b64 s[14:15], s[10:11]
	s_cbranch_execnz .LBB159_1069
; %bb.188:
	s_or_b64 exec, exec, s[14:15]
	v_cmp_gt_u32_e64 s[10:11], 8, v15
	s_and_saveexec_b64 s[14:15], s[10:11]
	s_cbranch_execnz .LBB159_1070
.LBB159_189:
	s_or_b64 exec, exec, s[14:15]
	v_cmp_gt_u32_e64 s[10:11], 4, v15
	s_and_saveexec_b64 s[14:15], s[10:11]
	s_cbranch_execz .LBB159_191
.LBB159_190:
	v_lshlrev_b32_e32 v24, 3, v0
	v_mov_b32_e32 v26, 0
	ds_read_b64 v[24:25], v24 offset:28544
	ds_read_b64 v[26:27], v26 offset:28600
	s_waitcnt lgkmcnt(0)
	v_mul_f32_e32 v28, v27, v25
	v_mul_f32_e32 v25, v26, v25
	v_fma_f32 v26, v26, v24, -v28
	v_fmac_f32_e32 v25, v27, v24
	v_add_f32_e32 v10, v10, v26
	v_add_f32_e32 v11, v11, v25
.LBB159_191:
	s_or_b64 exec, exec, s[14:15]
.LBB159_192:
	s_or_b64 exec, exec, s[0:1]
	s_and_saveexec_b64 s[0:1], s[46:47]
; %bb.193:
	v_xor_b32_e32 v24, 0x80000000, v10
	v_xor_b32_e32 v25, 0x80000000, v11
	ds_write_b64 v20, v[24:25]
; %bb.194:
	s_or_b64 exec, exec, s[0:1]
	s_waitcnt lgkmcnt(0)
	s_barrier
	s_and_saveexec_b64 s[0:1], s[48:49]
	s_cbranch_execz .LBB159_196
; %bb.195:
	v_lshlrev_b32_e32 v24, 3, v18
	ds_read_b64 v[24:25], v24 offset:26496
	ds_read_b64 v[26:27], v20
	s_waitcnt lgkmcnt(0)
	v_mul_f32_e32 v28, v27, v25
	v_mul_f32_e32 v25, v26, v25
	v_fma_f32 v26, v26, v24, -v28
	v_fmac_f32_e32 v25, v27, v24
	v_sub_f32_e32 v10, v10, v26
	v_sub_f32_e32 v11, v11, v25
.LBB159_196:
	s_or_b64 exec, exec, s[0:1]
	s_barrier
	s_and_saveexec_b64 s[0:1], s[50:51]
; %bb.197:
	v_xor_b32_e32 v24, 0x80000000, v10
	v_xor_b32_e32 v25, 0x80000000, v11
	ds_write_b64 v20, v[24:25]
; %bb.198:
	s_or_b64 exec, exec, s[0:1]
	s_waitcnt lgkmcnt(0)
	s_barrier
	s_and_saveexec_b64 s[0:1], s[52:53]
	s_cbranch_execz .LBB159_200
; %bb.199:
	v_lshlrev_b32_e32 v24, 3, v18
	ds_read_b64 v[24:25], v24 offset:25984
	ds_read_b64 v[26:27], v20
	s_waitcnt lgkmcnt(0)
	v_mul_f32_e32 v28, v27, v25
	v_mul_f32_e32 v25, v26, v25
	v_fma_f32 v26, v26, v24, -v28
	v_fmac_f32_e32 v25, v27, v24
	v_sub_f32_e32 v10, v10, v26
	v_sub_f32_e32 v11, v11, v25
.LBB159_200:
	s_or_b64 exec, exec, s[0:1]
	s_barrier
	s_and_saveexec_b64 s[0:1], s[54:55]
; %bb.201:
	v_xor_b32_e32 v24, 0x80000000, v10
	v_xor_b32_e32 v25, 0x80000000, v11
	ds_write_b64 v20, v[24:25]
; %bb.202:
	s_or_b64 exec, exec, s[0:1]
	s_waitcnt lgkmcnt(0)
	s_barrier
	s_and_saveexec_b64 s[0:1], s[44:45]
	s_cbranch_execz .LBB159_204
; %bb.203:
	v_mov_b32_e32 v24, 0
	ds_read_b64 v[24:25], v24 offset:25472
	ds_read_b64 v[26:27], v20
	s_waitcnt lgkmcnt(0)
	v_mul_f32_e32 v28, v27, v25
	v_mul_f32_e32 v25, v26, v25
	v_fma_f32 v26, v26, v24, -v28
	v_fmac_f32_e32 v25, v27, v24
	v_sub_f32_e32 v10, v10, v26
	v_sub_f32_e32 v11, v11, v25
.LBB159_204:
	s_or_b64 exec, exec, s[0:1]
	s_barrier
	s_and_saveexec_b64 s[0:1], s[44:45]
; %bb.205:
	v_xor_b32_e32 v24, 0x80000000, v10
	v_xor_b32_e32 v25, 0x80000000, v11
	ds_write_b64 v20, v[24:25]
; %bb.206:
	s_or_b64 exec, exec, s[0:1]
	s_waitcnt lgkmcnt(0)
	s_barrier
	s_barrier
	s_and_saveexec_b64 s[0:1], s[18:19]
; %bb.207:
	v_lshlrev_b32_e32 v24, 3, v18
	v_lshl_or_b32 v24, v19, 9, v24
	ds_write_b64 v24, v[10:11] offset:27008
; %bb.208:
	s_or_b64 exec, exec, s[0:1]
	s_waitcnt lgkmcnt(0)
	s_barrier
	s_barrier
	s_and_saveexec_b64 s[0:1], s[56:57]
	s_cbranch_execz .LBB159_210
; %bb.209:
	v_lshlrev_b32_e32 v24, 9, v0
	ds_read_b64 v[10:11], v24 offset:27008
	s_movk_i32 s10, 0xfe08
	v_mad_i32_i24 v25, v0, s10, v24
	s_waitcnt lgkmcnt(0)
	ds_write_b64 v25, v[10:11] offset:24992
	ds_read_b64 v[10:11], v24 offset:27016
	s_waitcnt lgkmcnt(0)
	ds_write_b64 v25, v[10:11] offset:25504
	ds_read_b64 v[10:11], v24 offset:27024
	;; [unrolled: 3-line block ×3, first 2 shown]
	s_waitcnt lgkmcnt(0)
	ds_write_b64 v25, v[10:11] offset:26528
.LBB159_210:
	s_or_b64 exec, exec, s[0:1]
	s_waitcnt lgkmcnt(0)
	s_barrier
	s_and_saveexec_b64 s[0:1], vcc
	s_cbranch_execz .LBB159_212
; %bb.211:
	v_mov_b32_e32 v26, 0
	ds_read_b64 v[10:11], v26 offset:26512
	s_mov_b64 s[10:11], 0x3f800000
	v_mov_b32_e32 v25, s11
	v_mov_b32_e32 v24, s10
	s_movk_i32 s10, 0x6000
	ds_write_b64 v26, v[24:25] offset:26520
	v_add_u32_e64 v26, s10, 0
	s_waitcnt lgkmcnt(1)
	ds_write2_b64 v26, v[24:25], v[10:11] offset0:178 offset1:179
.LBB159_212:
	s_or_b64 exec, exec, s[0:1]
	v_mov_b32_e32 v10, 0
	v_mov_b32_e32 v11, 0
	s_waitcnt lgkmcnt(0)
	s_barrier
	buffer_wbinvl1_vol
	s_and_saveexec_b64 s[0:1], s[2:3]
	s_cbranch_execz .LBB159_216
; %bb.213:
	v_lshlrev_b32_e32 v10, 3, v12
	v_lshlrev_b32_e32 v24, 9, v13
	ds_read_b64 v[10:11], v10 offset:25984
	ds_read_b64 v[24:25], v24 offset:26000
	v_cmp_gt_u32_e64 s[10:11], 2, v15
	s_waitcnt lgkmcnt(0)
	v_mul_f32_e32 v26, v25, v11
	v_mul_f32_e32 v11, v24, v11
	v_fma_f32 v24, v24, v10, -v26
	v_fmac_f32_e32 v11, v25, v10
	v_add_f32_e32 v10, 0, v24
	v_add_f32_e32 v11, 0, v11
	s_and_saveexec_b64 s[14:15], s[10:11]
	s_cbranch_execz .LBB159_215
; %bb.214:
	v_lshlrev_b32_e32 v24, 3, v0
	v_mov_b32_e32 v26, 0
	ds_read_b64 v[24:25], v24 offset:26496
	ds_read_b64 v[26:27], v26 offset:26520
	s_waitcnt lgkmcnt(0)
	v_mul_f32_e32 v28, v27, v25
	v_mul_f32_e32 v25, v26, v25
	v_fma_f32 v26, v26, v24, -v28
	v_fmac_f32_e32 v25, v27, v24
	v_add_f32_e32 v10, v10, v26
	v_add_f32_e32 v11, v11, v25
.LBB159_215:
	s_or_b64 exec, exec, s[14:15]
.LBB159_216:
	s_or_b64 exec, exec, s[0:1]
	s_and_saveexec_b64 s[0:1], s[40:41]
; %bb.217:
	v_xor_b32_e32 v25, 0x80000000, v11
	v_xor_b32_e32 v24, 0x80000000, v10
	ds_write_b64 v14, v[24:25]
; %bb.218:
	s_or_b64 exec, exec, s[0:1]
	s_waitcnt lgkmcnt(0)
	s_barrier
	s_and_saveexec_b64 s[0:1], s[38:39]
	s_cbranch_execz .LBB159_220
; %bb.219:
	v_mov_b32_e32 v24, 0
	ds_read_b64 v[24:25], v24 offset:25472
	ds_read_b64 v[26:27], v14
	s_waitcnt lgkmcnt(0)
	v_mul_f32_e32 v28, v26, v24
	v_mul_f32_e32 v26, v26, v25
	v_fmac_f32_e32 v26, v27, v24
	v_fma_f32 v24, v27, v25, -v28
	v_add_f32_e32 v10, v10, v24
	v_sub_f32_e32 v11, v11, v26
.LBB159_220:
	s_or_b64 exec, exec, s[0:1]
	s_barrier
	s_and_saveexec_b64 s[0:1], s[38:39]
; %bb.221:
	v_xor_b32_e32 v25, 0x80000000, v11
	v_xor_b32_e32 v24, 0x80000000, v10
	ds_write_b64 v14, v[24:25]
; %bb.222:
	s_or_b64 exec, exec, s[0:1]
	s_waitcnt lgkmcnt(0)
	s_barrier
	s_barrier
	s_and_saveexec_b64 s[0:1], s[2:3]
; %bb.223:
	v_lshlrev_b32_e32 v24, 3, v12
	v_lshl_or_b32 v24, v13, 9, v24
	ds_write_b64 v24, v[10:11] offset:25984
; %bb.224:
	s_or_b64 exec, exec, s[0:1]
	s_waitcnt lgkmcnt(0)
	s_barrier
	s_barrier
	s_and_saveexec_b64 s[0:1], s[42:43]
	s_cbranch_execz .LBB159_226
; %bb.225:
	v_lshlrev_b32_e32 v24, 3, v0
	s_movk_i32 s10, 0x1f8
	v_mad_u32_u24 v25, v0, s10, v24
	ds_read_b64 v[10:11], v25 offset:25984
	s_waitcnt lgkmcnt(0)
	ds_write_b64 v24, v[10:11] offset:24976
	ds_read_b64 v[10:11], v25 offset:25992
	s_waitcnt lgkmcnt(0)
	ds_write_b64 v24, v[10:11] offset:25488
.LBB159_226:
	s_or_b64 exec, exec, s[0:1]
	s_waitcnt lgkmcnt(0)
	s_barrier
	s_and_saveexec_b64 s[0:1], vcc
	s_cbranch_execz .LBB159_228
; %bb.227:
	v_mov_b32_e32 v26, 0
	ds_read_b64 v[10:11], v26 offset:25472
	s_mov_b64 s[10:11], 0x3f800000
	v_mov_b32_e32 v25, s11
	v_mov_b32_e32 v24, s10
	s_movk_i32 s10, 0x6000
	ds_write_b64 v26, v[24:25] offset:25480
	v_add_u32_e64 v26, s10, 0
	s_waitcnt lgkmcnt(1)
	ds_write2_b64 v26, v[24:25], v[10:11] offset0:48 offset1:49
.LBB159_228:
	s_or_b64 exec, exec, s[0:1]
	s_movk_i32 s0, 0xff
	v_lshrrev_b32_e32 v26, 4, v15
	v_cmp_lt_u32_e64 s[14:15], s0, v15
	s_movk_i32 s0, 0x100
	v_and_b32_e32 v24, 15, v0
	v_sub_u32_e32 v25, 15, v26
	v_cmp_gt_u32_e64 s[10:11], s0, v15
	v_mov_b32_e32 v11, 0
	v_mov_b32_e32 v10, 0
	s_waitcnt lgkmcnt(0)
	s_barrier
	buffer_wbinvl1_vol
	s_and_saveexec_b64 s[0:1], s[10:11]
	s_cbranch_execz .LBB159_256
; %bb.229:
	v_lshlrev_b32_e32 v27, 3, v24
	v_lshlrev_b32_e32 v28, 9, v25
	ds_read_b64 v[10:11], v27 offset:24832
	ds_read_b64 v[29:30], v28 offset:24960
	s_movk_i32 s16, 0xf0
	v_cmp_gt_u32_e64 s[16:17], s16, v15
	s_waitcnt lgkmcnt(0)
	v_mul_f32_e32 v31, v30, v11
	v_mul_f32_e32 v11, v29, v11
	v_fma_f32 v29, v29, v10, -v31
	v_fmac_f32_e32 v11, v30, v10
	v_add_f32_e32 v10, 0, v29
	v_add_f32_e32 v11, 0, v11
	s_and_saveexec_b64 s[20:21], s[16:17]
	s_cbranch_execz .LBB159_231
; %bb.230:
	ds_read_b64 v[29:30], v27 offset:25344
	ds_read_b64 v[31:32], v28 offset:24968
	s_waitcnt lgkmcnt(0)
	v_mul_f32_e32 v33, v32, v30
	v_mul_f32_e32 v30, v31, v30
	v_fma_f32 v31, v31, v29, -v33
	v_fmac_f32_e32 v30, v32, v29
	v_add_f32_e32 v10, v10, v31
	v_add_f32_e32 v11, v11, v30
.LBB159_231:
	s_or_b64 exec, exec, s[20:21]
	s_movk_i32 s16, 0xe0
	v_cmp_gt_u32_e64 s[16:17], s16, v15
	s_and_saveexec_b64 s[20:21], s[16:17]
	s_cbranch_execz .LBB159_233
; %bb.232:
	ds_read_b64 v[29:30], v27 offset:25856
	ds_read_b64 v[31:32], v28 offset:24976
	s_waitcnt lgkmcnt(0)
	v_mul_f32_e32 v33, v32, v30
	v_mul_f32_e32 v30, v31, v30
	v_fma_f32 v31, v31, v29, -v33
	v_fmac_f32_e32 v30, v32, v29
	v_add_f32_e32 v10, v10, v31
	v_add_f32_e32 v11, v11, v30
.LBB159_233:
	s_or_b64 exec, exec, s[20:21]
	s_movk_i32 s16, 0xd0
	v_cmp_gt_u32_e64 s[16:17], s16, v15
	;; [unrolled: 16-line block ×10, first 2 shown]
	s_and_saveexec_b64 s[20:21], s[16:17]
	s_cbranch_execnz .LBB159_1071
; %bb.250:
	s_or_b64 exec, exec, s[20:21]
	s_and_saveexec_b64 s[16:17], s[8:9]
	s_cbranch_execnz .LBB159_1072
.LBB159_251:
	s_or_b64 exec, exec, s[16:17]
	v_cmp_gt_u32_e64 s[16:17], 48, v15
	s_and_saveexec_b64 s[20:21], s[16:17]
	s_cbranch_execnz .LBB159_1073
.LBB159_252:
	s_or_b64 exec, exec, s[20:21]
	v_cmp_gt_u32_e64 s[16:17], 32, v15
	s_and_saveexec_b64 s[20:21], s[16:17]
	s_cbranch_execnz .LBB159_1074
.LBB159_253:
	s_or_b64 exec, exec, s[20:21]
	v_cmp_gt_u32_e64 s[16:17], 16, v15
	s_and_saveexec_b64 s[20:21], s[16:17]
	s_cbranch_execz .LBB159_255
.LBB159_254:
	v_lshlrev_b32_e32 v27, 3, v0
	v_mov_b32_e32 v29, 0
	ds_read_b64 v[27:28], v27 offset:32512
	ds_read_b64 v[29:30], v29 offset:32760
	s_waitcnt lgkmcnt(0)
	v_mul_f32_e32 v31, v30, v28
	v_mul_f32_e32 v28, v29, v28
	v_fma_f32 v29, v29, v27, -v31
	v_fmac_f32_e32 v28, v30, v27
	v_add_f32_e32 v10, v10, v29
	v_add_f32_e32 v11, v11, v28
.LBB159_255:
	s_or_b64 exec, exec, s[20:21]
.LBB159_256:
	s_or_b64 exec, exec, s[0:1]
	v_mov_b32_e32 v27, 0x8000
	v_lshl_add_u32 v26, v26, 3, v27
	v_cmp_eq_u32_e64 s[16:17], 15, v24
	s_xor_b64 s[0:1], s[14:15], -1
	s_and_b64 s[16:17], s[16:17], s[0:1]
	s_mov_b64 s[14:15], exec
	v_writelane_b32 v37, s16, 2
	v_writelane_b32 v37, s17, 3
	s_and_b64 s[16:17], s[14:15], s[16:17]
	s_mov_b64 exec, s[16:17]
; %bb.257:
	v_xor_b32_e32 v27, 0x80000000, v10
	v_xor_b32_e32 v28, 0x80000000, v11
	ds_write_b64 v26, v[27:28]
; %bb.258:
	s_or_b64 exec, exec, s[14:15]
	v_cmp_ne_u32_e64 s[14:15], 15, v24
	s_waitcnt lgkmcnt(0)
	s_barrier
	s_and_b64 s[16:17], s[14:15], s[0:1]
	s_mov_b64 s[14:15], exec
	v_writelane_b32 v37, s16, 4
	v_writelane_b32 v37, s17, 5
	s_and_b64 s[16:17], s[14:15], s[16:17]
	s_mov_b64 exec, s[16:17]
	s_cbranch_execz .LBB159_260
; %bb.259:
	v_lshlrev_b32_e32 v27, 3, v24
	ds_read_b64 v[27:28], v27 offset:24320
	ds_read_b64 v[29:30], v26
	s_waitcnt lgkmcnt(0)
	v_mul_f32_e32 v31, v30, v28
	v_mul_f32_e32 v28, v29, v28
	v_fma_f32 v29, v29, v27, -v31
	v_fmac_f32_e32 v28, v30, v27
	v_sub_f32_e32 v10, v10, v29
	v_sub_f32_e32 v11, v11, v28
.LBB159_260:
	s_or_b64 exec, exec, s[14:15]
	v_cmp_eq_u32_e64 s[14:15], 14, v24
	s_barrier
	s_and_b64 s[16:17], s[14:15], s[0:1]
	s_mov_b64 s[14:15], exec
	v_writelane_b32 v37, s16, 6
	v_writelane_b32 v37, s17, 7
	s_and_b64 s[16:17], s[14:15], s[16:17]
	s_mov_b64 exec, s[16:17]
; %bb.261:
	v_xor_b32_e32 v27, 0x80000000, v10
	v_xor_b32_e32 v28, 0x80000000, v11
	ds_write_b64 v26, v[27:28]
; %bb.262:
	s_or_b64 exec, exec, s[14:15]
	v_cmp_gt_u32_e64 s[14:15], 14, v24
	s_waitcnt lgkmcnt(0)
	s_barrier
	s_and_b64 s[16:17], s[14:15], s[0:1]
	s_mov_b64 s[14:15], exec
	v_writelane_b32 v37, s16, 8
	v_writelane_b32 v37, s17, 9
	s_and_b64 s[16:17], s[14:15], s[16:17]
	s_mov_b64 exec, s[16:17]
	s_cbranch_execz .LBB159_264
; %bb.263:
	v_lshlrev_b32_e32 v27, 3, v24
	ds_read_b64 v[27:28], v27 offset:23808
	ds_read_b64 v[29:30], v26
	s_waitcnt lgkmcnt(0)
	v_mul_f32_e32 v31, v30, v28
	v_mul_f32_e32 v28, v29, v28
	v_fma_f32 v29, v29, v27, -v31
	v_fmac_f32_e32 v28, v30, v27
	v_sub_f32_e32 v10, v10, v29
	v_sub_f32_e32 v11, v11, v28
.LBB159_264:
	s_or_b64 exec, exec, s[14:15]
	v_cmp_eq_u32_e64 s[14:15], 13, v24
	s_barrier
	s_and_b64 s[16:17], s[14:15], s[0:1]
	s_mov_b64 s[14:15], exec
	v_writelane_b32 v37, s16, 10
	v_writelane_b32 v37, s17, 11
	s_and_b64 s[16:17], s[14:15], s[16:17]
	s_mov_b64 exec, s[16:17]
; %bb.265:
	v_xor_b32_e32 v27, 0x80000000, v10
	v_xor_b32_e32 v28, 0x80000000, v11
	ds_write_b64 v26, v[27:28]
; %bb.266:
	s_or_b64 exec, exec, s[14:15]
	v_cmp_gt_u32_e64 s[14:15], 13, v24
	;; [unrolled: 37-line block ×13, first 2 shown]
	s_and_b64 s[90:91], s[14:15], s[0:1]
	s_waitcnt lgkmcnt(0)
	s_barrier
	s_and_saveexec_b64 s[14:15], s[90:91]
	s_cbranch_execz .LBB159_312
; %bb.311:
	v_lshlrev_b32_e32 v27, 3, v24
	ds_read_b64 v[27:28], v27 offset:17664
	ds_read_b64 v[29:30], v26
	s_waitcnt lgkmcnt(0)
	v_mul_f32_e32 v31, v30, v28
	v_mul_f32_e32 v28, v29, v28
	v_fma_f32 v29, v29, v27, -v31
	v_fmac_f32_e32 v28, v30, v27
	v_sub_f32_e32 v10, v10, v29
	v_sub_f32_e32 v11, v11, v28
.LBB159_312:
	s_or_b64 exec, exec, s[14:15]
	v_cmp_eq_u32_e64 s[14:15], 1, v24
	s_and_b64 s[22:23], s[14:15], s[0:1]
	s_barrier
	s_and_saveexec_b64 s[14:15], s[22:23]
; %bb.313:
	v_xor_b32_e32 v27, 0x80000000, v10
	v_xor_b32_e32 v28, 0x80000000, v11
	ds_write_b64 v26, v[27:28]
; %bb.314:
	s_or_b64 exec, exec, s[14:15]
	v_cmp_eq_u32_e64 s[14:15], 0, v24
	s_and_b64 s[34:35], s[14:15], s[0:1]
	s_waitcnt lgkmcnt(0)
	s_barrier
	s_and_saveexec_b64 s[0:1], s[34:35]
	s_cbranch_execz .LBB159_316
; %bb.315:
	v_mov_b32_e32 v27, 0
	ds_read_b64 v[27:28], v27 offset:17152
	ds_read_b64 v[29:30], v26
	s_waitcnt lgkmcnt(0)
	v_mul_f32_e32 v31, v30, v28
	v_mul_f32_e32 v28, v29, v28
	v_fma_f32 v29, v29, v27, -v31
	v_fmac_f32_e32 v28, v30, v27
	v_sub_f32_e32 v10, v10, v29
	v_sub_f32_e32 v11, v11, v28
.LBB159_316:
	s_or_b64 exec, exec, s[0:1]
	s_barrier
	s_and_saveexec_b64 s[0:1], s[34:35]
; %bb.317:
	v_xor_b32_e32 v27, 0x80000000, v10
	v_xor_b32_e32 v28, 0x80000000, v11
	ds_write_b64 v26, v[27:28]
; %bb.318:
	s_or_b64 exec, exec, s[0:1]
	s_waitcnt lgkmcnt(0)
	s_barrier
	s_barrier
	s_and_saveexec_b64 s[0:1], s[10:11]
; %bb.319:
	v_lshlrev_b32_e32 v27, 3, v24
	v_lshl_or_b32 v27, v25, 9, v27
	ds_write_b64 v27, v[10:11] offset:24832
; %bb.320:
	s_or_b64 exec, exec, s[0:1]
	v_cmp_gt_u32_e64 s[14:15], 16, v0
	s_and_b64 s[92:93], s[12:13], s[14:15]
	s_waitcnt lgkmcnt(0)
	s_barrier
	s_barrier
	s_and_saveexec_b64 s[0:1], s[92:93]
	s_cbranch_execz .LBB159_322
; %bb.321:
	v_lshlrev_b32_e32 v27, 9, v0
	ds_read_b64 v[10:11], v27 offset:24832
	s_movk_i32 s14, 0xfe08
	v_mad_i32_i24 v28, v0, s14, v27
	s_waitcnt lgkmcnt(0)
	ds_write_b64 v28, v[10:11] offset:16768
	ds_read_b64 v[10:11], v27 offset:24840
	s_waitcnt lgkmcnt(0)
	ds_write_b64 v28, v[10:11] offset:17280
	ds_read_b64 v[10:11], v27 offset:24848
	;; [unrolled: 3-line block ×15, first 2 shown]
	s_waitcnt lgkmcnt(0)
	ds_write_b64 v28, v[10:11] offset:24448
.LBB159_322:
	s_or_b64 exec, exec, s[0:1]
	s_waitcnt lgkmcnt(0)
	s_barrier
	s_and_saveexec_b64 s[0:1], vcc
	s_cbranch_execz .LBB159_324
; %bb.323:
	v_mov_b32_e32 v29, 0
	ds_read_b64 v[10:11], v29 offset:24432
	s_mov_b64 s[14:15], 0x3f800000
	v_mov_b32_e32 v28, s15
	v_mov_b32_e32 v27, s14
	s_movk_i32 s14, 0x5800
	ds_write_b64 v29, v[27:28] offset:24440
	v_add_u32_e64 v29, s14, 0
	s_waitcnt lgkmcnt(1)
	ds_write2_b64 v29, v[27:28], v[10:11] offset0:174 offset1:175
.LBB159_324:
	s_or_b64 exec, exec, s[0:1]
	v_mov_b32_e32 v10, 0
	v_mov_b32_e32 v11, 0
	s_waitcnt lgkmcnt(0)
	s_barrier
	buffer_wbinvl1_vol
	s_and_saveexec_b64 s[0:1], s[2:3]
	s_cbranch_execz .LBB159_328
; %bb.325:
	v_lshlrev_b32_e32 v10, 3, v12
	v_lshlrev_b32_e32 v27, 9, v13
	ds_read_b64 v[10:11], v10 offset:23904
	ds_read_b64 v[27:28], v27 offset:23920
	v_cmp_gt_u32_e64 s[14:15], 2, v15
	s_waitcnt lgkmcnt(0)
	v_mul_f32_e32 v29, v28, v11
	v_mul_f32_e32 v11, v27, v11
	v_fma_f32 v27, v27, v10, -v29
	v_fmac_f32_e32 v11, v28, v10
	v_add_f32_e32 v10, 0, v27
	v_add_f32_e32 v11, 0, v11
	s_and_saveexec_b64 s[16:17], s[14:15]
	s_cbranch_execz .LBB159_327
; %bb.326:
	v_lshlrev_b32_e32 v27, 3, v0
	v_mov_b32_e32 v29, 0
	ds_read_b64 v[27:28], v27 offset:24416
	ds_read_b64 v[29:30], v29 offset:24440
	s_waitcnt lgkmcnt(0)
	v_mul_f32_e32 v31, v30, v28
	v_mul_f32_e32 v28, v29, v28
	v_fma_f32 v29, v29, v27, -v31
	v_fmac_f32_e32 v28, v30, v27
	v_add_f32_e32 v10, v10, v29
	v_add_f32_e32 v11, v11, v28
.LBB159_327:
	s_or_b64 exec, exec, s[16:17]
.LBB159_328:
	s_or_b64 exec, exec, s[0:1]
	s_and_saveexec_b64 s[0:1], s[40:41]
; %bb.329:
	v_xor_b32_e32 v28, 0x80000000, v11
	v_xor_b32_e32 v27, 0x80000000, v10
	ds_write_b64 v14, v[27:28]
; %bb.330:
	s_or_b64 exec, exec, s[0:1]
	s_waitcnt lgkmcnt(0)
	s_barrier
	s_and_saveexec_b64 s[0:1], s[38:39]
	s_cbranch_execz .LBB159_332
; %bb.331:
	v_mov_b32_e32 v27, 0
	ds_read_b64 v[27:28], v27 offset:23392
	ds_read_b64 v[29:30], v14
	s_waitcnt lgkmcnt(0)
	v_mul_f32_e32 v31, v29, v27
	v_mul_f32_e32 v29, v29, v28
	v_fmac_f32_e32 v29, v30, v27
	v_fma_f32 v27, v30, v28, -v31
	v_add_f32_e32 v10, v10, v27
	v_sub_f32_e32 v11, v11, v29
.LBB159_332:
	s_or_b64 exec, exec, s[0:1]
	s_barrier
	s_and_saveexec_b64 s[0:1], s[38:39]
; %bb.333:
	v_xor_b32_e32 v28, 0x80000000, v11
	v_xor_b32_e32 v27, 0x80000000, v10
	ds_write_b64 v14, v[27:28]
; %bb.334:
	s_or_b64 exec, exec, s[0:1]
	s_waitcnt lgkmcnt(0)
	s_barrier
	s_barrier
	s_and_saveexec_b64 s[0:1], s[2:3]
; %bb.335:
	v_lshlrev_b32_e32 v27, 3, v12
	v_lshl_or_b32 v27, v13, 9, v27
	ds_write_b64 v27, v[10:11] offset:23904
; %bb.336:
	s_or_b64 exec, exec, s[0:1]
	s_waitcnt lgkmcnt(0)
	s_barrier
	s_barrier
	s_and_saveexec_b64 s[0:1], s[42:43]
	s_cbranch_execz .LBB159_338
; %bb.337:
	v_lshlrev_b32_e32 v27, 3, v0
	s_movk_i32 s14, 0x1f8
	v_mad_u32_u24 v28, v0, s14, v27
	ds_read_b64 v[10:11], v28 offset:23904
	s_waitcnt lgkmcnt(0)
	ds_write_b64 v27, v[10:11] offset:22896
	ds_read_b64 v[10:11], v28 offset:23912
	s_waitcnt lgkmcnt(0)
	ds_write_b64 v27, v[10:11] offset:23408
.LBB159_338:
	s_or_b64 exec, exec, s[0:1]
	s_waitcnt lgkmcnt(0)
	s_barrier
	s_and_saveexec_b64 s[0:1], vcc
	s_cbranch_execz .LBB159_340
; %bb.339:
	v_mov_b32_e32 v29, 0
	ds_read_b64 v[10:11], v29 offset:23392
	s_mov_b64 s[14:15], 0x3f800000
	v_mov_b32_e32 v28, s15
	v_mov_b32_e32 v27, s14
	s_movk_i32 s14, 0x5800
	ds_write_b64 v29, v[27:28] offset:23400
	v_add_u32_e64 v29, s14, 0
	s_waitcnt lgkmcnt(1)
	ds_write2_b64 v29, v[27:28], v[10:11] offset0:44 offset1:45
.LBB159_340:
	s_or_b64 exec, exec, s[0:1]
	v_mov_b32_e32 v11, 0
	v_mov_b32_e32 v10, 0
	s_waitcnt lgkmcnt(0)
	s_barrier
	buffer_wbinvl1_vol
	s_and_saveexec_b64 s[0:1], s[18:19]
	s_cbranch_execz .LBB159_346
; %bb.341:
	v_lshlrev_b32_e32 v27, 3, v18
	v_lshlrev_b32_e32 v28, 9, v19
	ds_read_b64 v[10:11], v27 offset:22848
	ds_read_b64 v[29:30], v28 offset:22880
	v_cmp_gt_u32_e64 s[14:15], 12, v15
	s_waitcnt lgkmcnt(0)
	v_mul_f32_e32 v31, v30, v11
	v_mul_f32_e32 v11, v29, v11
	v_fma_f32 v29, v29, v10, -v31
	v_fmac_f32_e32 v11, v30, v10
	v_add_f32_e32 v10, 0, v29
	v_add_f32_e32 v11, 0, v11
	s_and_saveexec_b64 s[16:17], s[14:15]
	s_cbranch_execnz .LBB159_1075
; %bb.342:
	s_or_b64 exec, exec, s[16:17]
	v_cmp_gt_u32_e64 s[14:15], 8, v15
	s_and_saveexec_b64 s[16:17], s[14:15]
	s_cbranch_execnz .LBB159_1076
.LBB159_343:
	s_or_b64 exec, exec, s[16:17]
	v_cmp_gt_u32_e64 s[14:15], 4, v15
	s_and_saveexec_b64 s[16:17], s[14:15]
	s_cbranch_execz .LBB159_345
.LBB159_344:
	v_lshlrev_b32_e32 v27, 3, v0
	v_mov_b32_e32 v29, 0
	ds_read_b64 v[27:28], v27 offset:24384
	ds_read_b64 v[29:30], v29 offset:24440
	s_waitcnt lgkmcnt(0)
	v_mul_f32_e32 v31, v30, v28
	v_mul_f32_e32 v28, v29, v28
	v_fma_f32 v29, v29, v27, -v31
	v_fmac_f32_e32 v28, v30, v27
	v_add_f32_e32 v10, v10, v29
	v_add_f32_e32 v11, v11, v28
.LBB159_345:
	s_or_b64 exec, exec, s[16:17]
.LBB159_346:
	s_or_b64 exec, exec, s[0:1]
	s_and_saveexec_b64 s[0:1], s[46:47]
; %bb.347:
	v_xor_b32_e32 v27, 0x80000000, v10
	v_xor_b32_e32 v28, 0x80000000, v11
	ds_write_b64 v20, v[27:28]
; %bb.348:
	s_or_b64 exec, exec, s[0:1]
	s_waitcnt lgkmcnt(0)
	s_barrier
	s_and_saveexec_b64 s[0:1], s[48:49]
	s_cbranch_execz .LBB159_350
; %bb.349:
	v_lshlrev_b32_e32 v27, 3, v18
	ds_read_b64 v[27:28], v27 offset:22336
	ds_read_b64 v[29:30], v20
	s_waitcnt lgkmcnt(0)
	v_mul_f32_e32 v31, v30, v28
	v_mul_f32_e32 v28, v29, v28
	v_fma_f32 v29, v29, v27, -v31
	v_fmac_f32_e32 v28, v30, v27
	v_sub_f32_e32 v10, v10, v29
	v_sub_f32_e32 v11, v11, v28
.LBB159_350:
	s_or_b64 exec, exec, s[0:1]
	s_barrier
	s_and_saveexec_b64 s[0:1], s[50:51]
; %bb.351:
	v_xor_b32_e32 v27, 0x80000000, v10
	v_xor_b32_e32 v28, 0x80000000, v11
	ds_write_b64 v20, v[27:28]
; %bb.352:
	s_or_b64 exec, exec, s[0:1]
	s_waitcnt lgkmcnt(0)
	s_barrier
	s_and_saveexec_b64 s[0:1], s[52:53]
	s_cbranch_execz .LBB159_354
; %bb.353:
	v_lshlrev_b32_e32 v27, 3, v18
	ds_read_b64 v[27:28], v27 offset:21824
	ds_read_b64 v[29:30], v20
	s_waitcnt lgkmcnt(0)
	v_mul_f32_e32 v31, v30, v28
	v_mul_f32_e32 v28, v29, v28
	v_fma_f32 v29, v29, v27, -v31
	v_fmac_f32_e32 v28, v30, v27
	v_sub_f32_e32 v10, v10, v29
	v_sub_f32_e32 v11, v11, v28
.LBB159_354:
	s_or_b64 exec, exec, s[0:1]
	s_barrier
	s_and_saveexec_b64 s[0:1], s[54:55]
; %bb.355:
	v_xor_b32_e32 v27, 0x80000000, v10
	v_xor_b32_e32 v28, 0x80000000, v11
	ds_write_b64 v20, v[27:28]
; %bb.356:
	s_or_b64 exec, exec, s[0:1]
	s_waitcnt lgkmcnt(0)
	s_barrier
	s_and_saveexec_b64 s[0:1], s[44:45]
	s_cbranch_execz .LBB159_358
; %bb.357:
	v_mov_b32_e32 v27, 0
	ds_read_b64 v[27:28], v27 offset:21312
	ds_read_b64 v[29:30], v20
	s_waitcnt lgkmcnt(0)
	v_mul_f32_e32 v31, v30, v28
	v_mul_f32_e32 v28, v29, v28
	v_fma_f32 v29, v29, v27, -v31
	v_fmac_f32_e32 v28, v30, v27
	v_sub_f32_e32 v10, v10, v29
	v_sub_f32_e32 v11, v11, v28
.LBB159_358:
	s_or_b64 exec, exec, s[0:1]
	s_barrier
	s_and_saveexec_b64 s[0:1], s[44:45]
; %bb.359:
	v_xor_b32_e32 v27, 0x80000000, v10
	v_xor_b32_e32 v28, 0x80000000, v11
	ds_write_b64 v20, v[27:28]
; %bb.360:
	s_or_b64 exec, exec, s[0:1]
	s_waitcnt lgkmcnt(0)
	s_barrier
	s_barrier
	s_and_saveexec_b64 s[0:1], s[18:19]
; %bb.361:
	v_lshlrev_b32_e32 v27, 3, v18
	v_lshl_or_b32 v27, v19, 9, v27
	ds_write_b64 v27, v[10:11] offset:22848
; %bb.362:
	s_or_b64 exec, exec, s[0:1]
	s_waitcnt lgkmcnt(0)
	s_barrier
	s_barrier
	s_and_saveexec_b64 s[0:1], s[56:57]
	s_cbranch_execz .LBB159_364
; %bb.363:
	v_lshlrev_b32_e32 v27, 9, v0
	ds_read_b64 v[10:11], v27 offset:22848
	s_movk_i32 s14, 0xfe08
	v_mad_i32_i24 v28, v0, s14, v27
	s_waitcnt lgkmcnt(0)
	ds_write_b64 v28, v[10:11] offset:20832
	ds_read_b64 v[10:11], v27 offset:22856
	s_waitcnt lgkmcnt(0)
	ds_write_b64 v28, v[10:11] offset:21344
	ds_read_b64 v[10:11], v27 offset:22864
	;; [unrolled: 3-line block ×3, first 2 shown]
	s_waitcnt lgkmcnt(0)
	ds_write_b64 v28, v[10:11] offset:22368
.LBB159_364:
	s_or_b64 exec, exec, s[0:1]
	s_waitcnt lgkmcnt(0)
	s_barrier
	s_and_saveexec_b64 s[0:1], vcc
	s_cbranch_execz .LBB159_366
; %bb.365:
	v_mov_b32_e32 v29, 0
	ds_read_b64 v[10:11], v29 offset:22352
	s_mov_b64 s[14:15], 0x3f800000
	v_mov_b32_e32 v28, s15
	v_mov_b32_e32 v27, s14
	s_movk_i32 s14, 0x5000
	ds_write_b64 v29, v[27:28] offset:22360
	v_add_u32_e64 v29, s14, 0
	s_waitcnt lgkmcnt(1)
	ds_write2_b64 v29, v[27:28], v[10:11] offset0:170 offset1:171
.LBB159_366:
	s_or_b64 exec, exec, s[0:1]
	v_mov_b32_e32 v10, 0
	v_mov_b32_e32 v11, 0
	s_waitcnt lgkmcnt(0)
	s_barrier
	buffer_wbinvl1_vol
	s_and_saveexec_b64 s[0:1], s[2:3]
	s_cbranch_execz .LBB159_370
; %bb.367:
	v_lshlrev_b32_e32 v10, 3, v12
	v_lshlrev_b32_e32 v27, 9, v13
	ds_read_b64 v[10:11], v10 offset:21824
	ds_read_b64 v[27:28], v27 offset:21840
	v_cmp_gt_u32_e64 s[14:15], 2, v15
	s_waitcnt lgkmcnt(0)
	v_mul_f32_e32 v29, v28, v11
	v_mul_f32_e32 v11, v27, v11
	v_fma_f32 v27, v27, v10, -v29
	v_fmac_f32_e32 v11, v28, v10
	v_add_f32_e32 v10, 0, v27
	v_add_f32_e32 v11, 0, v11
	s_and_saveexec_b64 s[16:17], s[14:15]
	s_cbranch_execz .LBB159_369
; %bb.368:
	v_lshlrev_b32_e32 v27, 3, v0
	v_mov_b32_e32 v29, 0
	ds_read_b64 v[27:28], v27 offset:22336
	ds_read_b64 v[29:30], v29 offset:22360
	s_waitcnt lgkmcnt(0)
	v_mul_f32_e32 v31, v30, v28
	v_mul_f32_e32 v28, v29, v28
	v_fma_f32 v29, v29, v27, -v31
	v_fmac_f32_e32 v28, v30, v27
	v_add_f32_e32 v10, v10, v29
	v_add_f32_e32 v11, v11, v28
.LBB159_369:
	s_or_b64 exec, exec, s[16:17]
.LBB159_370:
	s_or_b64 exec, exec, s[0:1]
	s_and_saveexec_b64 s[0:1], s[40:41]
; %bb.371:
	v_xor_b32_e32 v28, 0x80000000, v11
	v_xor_b32_e32 v27, 0x80000000, v10
	ds_write_b64 v14, v[27:28]
; %bb.372:
	s_or_b64 exec, exec, s[0:1]
	s_waitcnt lgkmcnt(0)
	s_barrier
	s_and_saveexec_b64 s[0:1], s[38:39]
	s_cbranch_execz .LBB159_374
; %bb.373:
	v_mov_b32_e32 v27, 0
	ds_read_b64 v[27:28], v27 offset:21312
	ds_read_b64 v[29:30], v14
	s_waitcnt lgkmcnt(0)
	v_mul_f32_e32 v31, v29, v27
	v_mul_f32_e32 v29, v29, v28
	v_fmac_f32_e32 v29, v30, v27
	v_fma_f32 v27, v30, v28, -v31
	v_add_f32_e32 v10, v10, v27
	v_sub_f32_e32 v11, v11, v29
.LBB159_374:
	s_or_b64 exec, exec, s[0:1]
	s_barrier
	s_and_saveexec_b64 s[0:1], s[38:39]
; %bb.375:
	v_xor_b32_e32 v28, 0x80000000, v11
	v_xor_b32_e32 v27, 0x80000000, v10
	ds_write_b64 v14, v[27:28]
; %bb.376:
	s_or_b64 exec, exec, s[0:1]
	s_waitcnt lgkmcnt(0)
	s_barrier
	s_barrier
	s_and_saveexec_b64 s[0:1], s[2:3]
; %bb.377:
	v_lshlrev_b32_e32 v27, 3, v12
	v_lshl_or_b32 v27, v13, 9, v27
	ds_write_b64 v27, v[10:11] offset:21824
; %bb.378:
	s_or_b64 exec, exec, s[0:1]
	s_waitcnt lgkmcnt(0)
	s_barrier
	s_barrier
	s_and_saveexec_b64 s[0:1], s[42:43]
	s_cbranch_execz .LBB159_380
; %bb.379:
	v_lshlrev_b32_e32 v27, 3, v0
	s_movk_i32 s14, 0x1f8
	v_mad_u32_u24 v28, v0, s14, v27
	ds_read_b64 v[10:11], v28 offset:21824
	s_waitcnt lgkmcnt(0)
	ds_write_b64 v27, v[10:11] offset:20816
	ds_read_b64 v[10:11], v28 offset:21832
	s_waitcnt lgkmcnt(0)
	ds_write_b64 v27, v[10:11] offset:21328
.LBB159_380:
	s_or_b64 exec, exec, s[0:1]
	s_waitcnt lgkmcnt(0)
	s_barrier
	s_and_saveexec_b64 s[0:1], vcc
	s_cbranch_execz .LBB159_382
; %bb.381:
	v_mov_b32_e32 v29, 0
	ds_read_b64 v[10:11], v29 offset:21312
	s_mov_b64 s[14:15], 0x3f800000
	v_mov_b32_e32 v28, s15
	v_mov_b32_e32 v27, s14
	s_movk_i32 s14, 0x5000
	ds_write_b64 v29, v[27:28] offset:21320
	v_add_u32_e64 v29, s14, 0
	s_waitcnt lgkmcnt(1)
	ds_write2_b64 v29, v[27:28], v[10:11] offset0:40 offset1:41
.LBB159_382:
	s_or_b64 exec, exec, s[0:1]
	v_mov_b32_e32 v11, 0
	v_mov_b32_e32 v10, 0
	s_waitcnt lgkmcnt(0)
	s_barrier
	buffer_wbinvl1_vol
	s_and_saveexec_b64 s[0:1], s[8:9]
	s_cbranch_execz .LBB159_392
; %bb.383:
	v_lshlrev_b32_e32 v27, 3, v21
	v_lshlrev_b32_e32 v28, 9, v22
	ds_read_b64 v[10:11], v27 offset:20736
	ds_read_b64 v[29:30], v28 offset:20800
	v_cmp_gt_u32_e64 s[14:15], 56, v15
	s_waitcnt lgkmcnt(0)
	v_mul_f32_e32 v31, v30, v11
	v_mul_f32_e32 v11, v29, v11
	v_fma_f32 v29, v29, v10, -v31
	v_fmac_f32_e32 v11, v30, v10
	v_add_f32_e32 v10, 0, v29
	v_add_f32_e32 v11, 0, v11
	s_and_saveexec_b64 s[16:17], s[14:15]
	s_cbranch_execnz .LBB159_1077
; %bb.384:
	s_or_b64 exec, exec, s[16:17]
	v_cmp_gt_u32_e64 s[14:15], 48, v15
	s_and_saveexec_b64 s[16:17], s[14:15]
	s_cbranch_execnz .LBB159_1078
.LBB159_385:
	s_or_b64 exec, exec, s[16:17]
	v_cmp_gt_u32_e64 s[14:15], 40, v15
	s_and_saveexec_b64 s[16:17], s[14:15]
	s_cbranch_execnz .LBB159_1079
.LBB159_386:
	s_or_b64 exec, exec, s[16:17]
	v_cmp_gt_u32_e64 s[14:15], 32, v15
	s_and_saveexec_b64 s[16:17], s[14:15]
	s_cbranch_execnz .LBB159_1080
.LBB159_387:
	s_or_b64 exec, exec, s[16:17]
	v_cmp_gt_u32_e64 s[14:15], 24, v15
	s_and_saveexec_b64 s[16:17], s[14:15]
	s_cbranch_execnz .LBB159_1081
.LBB159_388:
	s_or_b64 exec, exec, s[16:17]
	s_and_saveexec_b64 s[14:15], s[18:19]
	s_cbranch_execnz .LBB159_1082
.LBB159_389:
	s_or_b64 exec, exec, s[14:15]
	v_cmp_gt_u32_e64 s[14:15], 8, v15
	s_and_saveexec_b64 s[16:17], s[14:15]
	s_cbranch_execz .LBB159_391
.LBB159_390:
	v_lshlrev_b32_e32 v27, 3, v0
	v_mov_b32_e32 v29, 0
	ds_read_b64 v[27:28], v27 offset:24320
	ds_read_b64 v[29:30], v29 offset:24440
	s_waitcnt lgkmcnt(0)
	v_mul_f32_e32 v31, v30, v28
	v_mul_f32_e32 v28, v29, v28
	v_fma_f32 v29, v29, v27, -v31
	v_fmac_f32_e32 v28, v30, v27
	v_add_f32_e32 v10, v10, v29
	v_add_f32_e32 v11, v11, v28
.LBB159_391:
	s_or_b64 exec, exec, s[16:17]
.LBB159_392:
	s_or_b64 exec, exec, s[0:1]
	s_and_saveexec_b64 s[0:1], s[60:61]
; %bb.393:
	v_xor_b32_e32 v28, 0x80000000, v11
	v_xor_b32_e32 v27, 0x80000000, v10
	ds_write_b64 v23, v[27:28]
; %bb.394:
	s_or_b64 exec, exec, s[0:1]
	s_waitcnt lgkmcnt(0)
	s_barrier
	s_and_saveexec_b64 s[0:1], s[62:63]
	s_cbranch_execz .LBB159_396
; %bb.395:
	v_lshlrev_b32_e32 v27, 3, v21
	ds_read_b64 v[27:28], v27 offset:20224
	ds_read_b64 v[29:30], v23
	s_waitcnt lgkmcnt(0)
	v_mul_f32_e32 v31, v30, v28
	v_mul_f32_e32 v28, v29, v28
	v_fma_f32 v29, v29, v27, -v31
	v_fmac_f32_e32 v28, v30, v27
	v_sub_f32_e32 v10, v10, v29
	v_sub_f32_e32 v11, v11, v28
.LBB159_396:
	s_or_b64 exec, exec, s[0:1]
	s_barrier
	s_and_saveexec_b64 s[0:1], s[64:65]
; %bb.397:
	v_xor_b32_e32 v28, 0x80000000, v11
	v_xor_b32_e32 v27, 0x80000000, v10
	ds_write_b64 v23, v[27:28]
; %bb.398:
	s_or_b64 exec, exec, s[0:1]
	s_waitcnt lgkmcnt(0)
	s_barrier
	s_and_saveexec_b64 s[0:1], s[66:67]
	s_cbranch_execz .LBB159_400
; %bb.399:
	v_lshlrev_b32_e32 v27, 3, v21
	ds_read_b64 v[27:28], v27 offset:19712
	ds_read_b64 v[29:30], v23
	s_waitcnt lgkmcnt(0)
	v_mul_f32_e32 v31, v30, v28
	v_mul_f32_e32 v28, v29, v28
	v_fma_f32 v29, v29, v27, -v31
	v_fmac_f32_e32 v28, v30, v27
	v_sub_f32_e32 v10, v10, v29
	v_sub_f32_e32 v11, v11, v28
.LBB159_400:
	s_or_b64 exec, exec, s[0:1]
	s_barrier
	;; [unrolled: 25-line block ×6, first 2 shown]
	s_and_saveexec_b64 s[0:1], s[84:85]
; %bb.417:
	v_xor_b32_e32 v28, 0x80000000, v11
	v_xor_b32_e32 v27, 0x80000000, v10
	ds_write_b64 v23, v[27:28]
; %bb.418:
	s_or_b64 exec, exec, s[0:1]
	s_waitcnt lgkmcnt(0)
	s_barrier
	s_and_saveexec_b64 s[0:1], s[58:59]
	s_cbranch_execz .LBB159_420
; %bb.419:
	v_mov_b32_e32 v27, 0
	ds_read_b64 v[27:28], v27 offset:17152
	ds_read_b64 v[29:30], v23
	s_waitcnt lgkmcnt(0)
	v_mul_f32_e32 v31, v30, v28
	v_mul_f32_e32 v28, v29, v28
	v_fma_f32 v29, v29, v27, -v31
	v_fmac_f32_e32 v28, v30, v27
	v_sub_f32_e32 v10, v10, v29
	v_sub_f32_e32 v11, v11, v28
.LBB159_420:
	s_or_b64 exec, exec, s[0:1]
	s_barrier
	s_and_saveexec_b64 s[0:1], s[58:59]
; %bb.421:
	v_xor_b32_e32 v28, 0x80000000, v11
	v_xor_b32_e32 v27, 0x80000000, v10
	ds_write_b64 v23, v[27:28]
; %bb.422:
	s_or_b64 exec, exec, s[0:1]
	s_waitcnt lgkmcnt(0)
	s_barrier
	s_barrier
	s_and_saveexec_b64 s[0:1], s[8:9]
; %bb.423:
	v_lshlrev_b32_e32 v27, 3, v21
	v_lshl_or_b32 v27, v22, 9, v27
	ds_write_b64 v27, v[10:11] offset:20736
; %bb.424:
	s_or_b64 exec, exec, s[0:1]
	s_waitcnt lgkmcnt(0)
	s_barrier
	s_barrier
	s_and_saveexec_b64 s[0:1], s[86:87]
	s_cbranch_execz .LBB159_426
; %bb.425:
	v_lshlrev_b32_e32 v27, 9, v0
	ds_read_b64 v[10:11], v27 offset:20736
	s_movk_i32 s14, 0xfe08
	v_mad_i32_i24 v28, v0, s14, v27
	s_waitcnt lgkmcnt(0)
	ds_write_b64 v28, v[10:11] offset:16704
	ds_read_b64 v[10:11], v27 offset:20744
	s_waitcnt lgkmcnt(0)
	ds_write_b64 v28, v[10:11] offset:17216
	ds_read_b64 v[10:11], v27 offset:20752
	;; [unrolled: 3-line block ×7, first 2 shown]
	s_waitcnt lgkmcnt(0)
	ds_write_b64 v28, v[10:11] offset:20288
.LBB159_426:
	s_or_b64 exec, exec, s[0:1]
	s_waitcnt lgkmcnt(0)
	s_barrier
	s_and_saveexec_b64 s[0:1], vcc
	s_cbranch_execz .LBB159_428
; %bb.427:
	v_mov_b32_e32 v29, 0
	ds_read_b64 v[10:11], v29 offset:20272
	s_mov_b64 s[14:15], 0x3f800000
	v_mov_b32_e32 v28, s15
	v_mov_b32_e32 v27, s14
	s_movk_i32 s14, 0x4800
	ds_write_b64 v29, v[27:28] offset:20280
	v_add_u32_e64 v29, s14, 0
	s_waitcnt lgkmcnt(1)
	ds_write2_b64 v29, v[27:28], v[10:11] offset0:166 offset1:167
.LBB159_428:
	s_or_b64 exec, exec, s[0:1]
	v_mov_b32_e32 v10, 0
	v_mov_b32_e32 v11, 0
	s_waitcnt lgkmcnt(0)
	s_barrier
	buffer_wbinvl1_vol
	s_and_saveexec_b64 s[0:1], s[2:3]
	s_cbranch_execz .LBB159_432
; %bb.429:
	v_lshlrev_b32_e32 v10, 3, v12
	v_lshlrev_b32_e32 v27, 9, v13
	ds_read_b64 v[10:11], v10 offset:19744
	ds_read_b64 v[27:28], v27 offset:19760
	v_cmp_gt_u32_e64 s[14:15], 2, v15
	s_waitcnt lgkmcnt(0)
	v_mul_f32_e32 v29, v28, v11
	v_mul_f32_e32 v11, v27, v11
	v_fma_f32 v27, v27, v10, -v29
	v_fmac_f32_e32 v11, v28, v10
	v_add_f32_e32 v10, 0, v27
	v_add_f32_e32 v11, 0, v11
	s_and_saveexec_b64 s[16:17], s[14:15]
	s_cbranch_execz .LBB159_431
; %bb.430:
	v_lshlrev_b32_e32 v27, 3, v0
	v_mov_b32_e32 v29, 0
	ds_read_b64 v[27:28], v27 offset:20256
	ds_read_b64 v[29:30], v29 offset:20280
	s_waitcnt lgkmcnt(0)
	v_mul_f32_e32 v31, v30, v28
	v_mul_f32_e32 v28, v29, v28
	v_fma_f32 v29, v29, v27, -v31
	v_fmac_f32_e32 v28, v30, v27
	v_add_f32_e32 v10, v10, v29
	v_add_f32_e32 v11, v11, v28
.LBB159_431:
	s_or_b64 exec, exec, s[16:17]
.LBB159_432:
	s_or_b64 exec, exec, s[0:1]
	s_and_saveexec_b64 s[0:1], s[40:41]
; %bb.433:
	v_xor_b32_e32 v28, 0x80000000, v11
	v_xor_b32_e32 v27, 0x80000000, v10
	ds_write_b64 v14, v[27:28]
; %bb.434:
	s_or_b64 exec, exec, s[0:1]
	s_waitcnt lgkmcnt(0)
	s_barrier
	s_and_saveexec_b64 s[0:1], s[38:39]
	s_cbranch_execz .LBB159_436
; %bb.435:
	v_mov_b32_e32 v27, 0
	ds_read_b64 v[27:28], v27 offset:19232
	ds_read_b64 v[29:30], v14
	s_waitcnt lgkmcnt(0)
	v_mul_f32_e32 v31, v29, v27
	v_mul_f32_e32 v29, v29, v28
	v_fmac_f32_e32 v29, v30, v27
	v_fma_f32 v27, v30, v28, -v31
	v_add_f32_e32 v10, v10, v27
	v_sub_f32_e32 v11, v11, v29
.LBB159_436:
	s_or_b64 exec, exec, s[0:1]
	s_barrier
	s_and_saveexec_b64 s[0:1], s[38:39]
; %bb.437:
	v_xor_b32_e32 v28, 0x80000000, v11
	v_xor_b32_e32 v27, 0x80000000, v10
	ds_write_b64 v14, v[27:28]
; %bb.438:
	s_or_b64 exec, exec, s[0:1]
	s_waitcnt lgkmcnt(0)
	s_barrier
	s_barrier
	s_and_saveexec_b64 s[0:1], s[2:3]
; %bb.439:
	v_lshlrev_b32_e32 v27, 3, v12
	v_lshl_or_b32 v27, v13, 9, v27
	ds_write_b64 v27, v[10:11] offset:19744
; %bb.440:
	s_or_b64 exec, exec, s[0:1]
	s_waitcnt lgkmcnt(0)
	s_barrier
	s_barrier
	s_and_saveexec_b64 s[0:1], s[42:43]
	s_cbranch_execz .LBB159_442
; %bb.441:
	v_lshlrev_b32_e32 v27, 3, v0
	s_movk_i32 s14, 0x1f8
	v_mad_u32_u24 v28, v0, s14, v27
	ds_read_b64 v[10:11], v28 offset:19744
	s_waitcnt lgkmcnt(0)
	ds_write_b64 v27, v[10:11] offset:18736
	ds_read_b64 v[10:11], v28 offset:19752
	s_waitcnt lgkmcnt(0)
	ds_write_b64 v27, v[10:11] offset:19248
.LBB159_442:
	s_or_b64 exec, exec, s[0:1]
	s_waitcnt lgkmcnt(0)
	s_barrier
	s_and_saveexec_b64 s[0:1], vcc
	s_cbranch_execz .LBB159_444
; %bb.443:
	v_mov_b32_e32 v29, 0
	ds_read_b64 v[10:11], v29 offset:19232
	s_mov_b64 s[14:15], 0x3f800000
	v_mov_b32_e32 v28, s15
	v_mov_b32_e32 v27, s14
	s_movk_i32 s14, 0x4800
	ds_write_b64 v29, v[27:28] offset:19240
	v_add_u32_e64 v29, s14, 0
	s_waitcnt lgkmcnt(1)
	ds_write2_b64 v29, v[27:28], v[10:11] offset0:36 offset1:37
.LBB159_444:
	s_or_b64 exec, exec, s[0:1]
	v_mov_b32_e32 v11, 0
	v_mov_b32_e32 v10, 0
	s_waitcnt lgkmcnt(0)
	s_barrier
	buffer_wbinvl1_vol
	s_and_saveexec_b64 s[0:1], s[18:19]
	s_cbranch_execz .LBB159_450
; %bb.445:
	v_lshlrev_b32_e32 v27, 3, v18
	v_lshlrev_b32_e32 v28, 9, v19
	ds_read_b64 v[10:11], v27 offset:18688
	ds_read_b64 v[29:30], v28 offset:18720
	v_cmp_gt_u32_e64 s[14:15], 12, v15
	s_waitcnt lgkmcnt(0)
	v_mul_f32_e32 v31, v30, v11
	v_mul_f32_e32 v11, v29, v11
	v_fma_f32 v29, v29, v10, -v31
	v_fmac_f32_e32 v11, v30, v10
	v_add_f32_e32 v10, 0, v29
	v_add_f32_e32 v11, 0, v11
	s_and_saveexec_b64 s[16:17], s[14:15]
	s_cbranch_execnz .LBB159_1083
; %bb.446:
	s_or_b64 exec, exec, s[16:17]
	v_cmp_gt_u32_e64 s[14:15], 8, v15
	s_and_saveexec_b64 s[16:17], s[14:15]
	s_cbranch_execnz .LBB159_1084
.LBB159_447:
	s_or_b64 exec, exec, s[16:17]
	v_cmp_gt_u32_e64 s[14:15], 4, v15
	s_and_saveexec_b64 s[16:17], s[14:15]
	s_cbranch_execz .LBB159_449
.LBB159_448:
	v_lshlrev_b32_e32 v27, 3, v0
	v_mov_b32_e32 v29, 0
	ds_read_b64 v[27:28], v27 offset:20224
	ds_read_b64 v[29:30], v29 offset:20280
	s_waitcnt lgkmcnt(0)
	v_mul_f32_e32 v31, v30, v28
	v_mul_f32_e32 v28, v29, v28
	v_fma_f32 v29, v29, v27, -v31
	v_fmac_f32_e32 v28, v30, v27
	v_add_f32_e32 v10, v10, v29
	v_add_f32_e32 v11, v11, v28
.LBB159_449:
	s_or_b64 exec, exec, s[16:17]
.LBB159_450:
	s_or_b64 exec, exec, s[0:1]
	s_and_saveexec_b64 s[0:1], s[46:47]
; %bb.451:
	v_xor_b32_e32 v27, 0x80000000, v10
	v_xor_b32_e32 v28, 0x80000000, v11
	ds_write_b64 v20, v[27:28]
; %bb.452:
	s_or_b64 exec, exec, s[0:1]
	s_waitcnt lgkmcnt(0)
	s_barrier
	s_and_saveexec_b64 s[0:1], s[48:49]
	s_cbranch_execz .LBB159_454
; %bb.453:
	v_lshlrev_b32_e32 v27, 3, v18
	ds_read_b64 v[27:28], v27 offset:18176
	ds_read_b64 v[29:30], v20
	s_waitcnt lgkmcnt(0)
	v_mul_f32_e32 v31, v30, v28
	v_mul_f32_e32 v28, v29, v28
	v_fma_f32 v29, v29, v27, -v31
	v_fmac_f32_e32 v28, v30, v27
	v_sub_f32_e32 v10, v10, v29
	v_sub_f32_e32 v11, v11, v28
.LBB159_454:
	s_or_b64 exec, exec, s[0:1]
	s_barrier
	s_and_saveexec_b64 s[0:1], s[50:51]
; %bb.455:
	v_xor_b32_e32 v27, 0x80000000, v10
	v_xor_b32_e32 v28, 0x80000000, v11
	ds_write_b64 v20, v[27:28]
; %bb.456:
	s_or_b64 exec, exec, s[0:1]
	s_waitcnt lgkmcnt(0)
	s_barrier
	s_and_saveexec_b64 s[0:1], s[52:53]
	s_cbranch_execz .LBB159_458
; %bb.457:
	v_lshlrev_b32_e32 v27, 3, v18
	ds_read_b64 v[27:28], v27 offset:17664
	ds_read_b64 v[29:30], v20
	s_waitcnt lgkmcnt(0)
	v_mul_f32_e32 v31, v30, v28
	v_mul_f32_e32 v28, v29, v28
	v_fma_f32 v29, v29, v27, -v31
	v_fmac_f32_e32 v28, v30, v27
	v_sub_f32_e32 v10, v10, v29
	v_sub_f32_e32 v11, v11, v28
.LBB159_458:
	s_or_b64 exec, exec, s[0:1]
	s_barrier
	s_and_saveexec_b64 s[0:1], s[54:55]
; %bb.459:
	v_xor_b32_e32 v27, 0x80000000, v10
	v_xor_b32_e32 v28, 0x80000000, v11
	ds_write_b64 v20, v[27:28]
; %bb.460:
	s_or_b64 exec, exec, s[0:1]
	s_waitcnt lgkmcnt(0)
	s_barrier
	s_and_saveexec_b64 s[0:1], s[44:45]
	s_cbranch_execz .LBB159_462
; %bb.461:
	v_mov_b32_e32 v27, 0
	ds_read_b64 v[27:28], v27 offset:17152
	ds_read_b64 v[29:30], v20
	s_waitcnt lgkmcnt(0)
	v_mul_f32_e32 v31, v30, v28
	v_mul_f32_e32 v28, v29, v28
	v_fma_f32 v29, v29, v27, -v31
	v_fmac_f32_e32 v28, v30, v27
	v_sub_f32_e32 v10, v10, v29
	v_sub_f32_e32 v11, v11, v28
.LBB159_462:
	s_or_b64 exec, exec, s[0:1]
	s_barrier
	s_and_saveexec_b64 s[0:1], s[44:45]
; %bb.463:
	v_xor_b32_e32 v27, 0x80000000, v10
	v_xor_b32_e32 v28, 0x80000000, v11
	ds_write_b64 v20, v[27:28]
; %bb.464:
	s_or_b64 exec, exec, s[0:1]
	s_waitcnt lgkmcnt(0)
	s_barrier
	s_barrier
	s_and_saveexec_b64 s[0:1], s[18:19]
; %bb.465:
	v_lshlrev_b32_e32 v27, 3, v18
	v_lshl_or_b32 v27, v19, 9, v27
	ds_write_b64 v27, v[10:11] offset:18688
; %bb.466:
	s_or_b64 exec, exec, s[0:1]
	s_waitcnt lgkmcnt(0)
	s_barrier
	s_barrier
	s_and_saveexec_b64 s[0:1], s[56:57]
	s_cbranch_execz .LBB159_468
; %bb.467:
	v_lshlrev_b32_e32 v27, 9, v0
	ds_read_b64 v[10:11], v27 offset:18688
	s_movk_i32 s14, 0xfe08
	v_mad_i32_i24 v28, v0, s14, v27
	s_waitcnt lgkmcnt(0)
	ds_write_b64 v28, v[10:11] offset:16672
	ds_read_b64 v[10:11], v27 offset:18696
	s_waitcnt lgkmcnt(0)
	ds_write_b64 v28, v[10:11] offset:17184
	ds_read_b64 v[10:11], v27 offset:18704
	;; [unrolled: 3-line block ×3, first 2 shown]
	s_waitcnt lgkmcnt(0)
	ds_write_b64 v28, v[10:11] offset:18208
.LBB159_468:
	s_or_b64 exec, exec, s[0:1]
	s_waitcnt lgkmcnt(0)
	s_barrier
	s_and_saveexec_b64 s[0:1], vcc
	s_cbranch_execz .LBB159_470
; %bb.469:
	v_mov_b32_e32 v29, 0
	ds_read_b64 v[10:11], v29 offset:18192
	s_mov_b64 s[14:15], 0x3f800000
	v_mov_b32_e32 v28, s15
	v_mov_b32_e32 v27, s14
	s_movk_i32 s14, 0x4000
	ds_write_b64 v29, v[27:28] offset:18200
	v_add_u32_e64 v29, s14, 0
	s_waitcnt lgkmcnt(1)
	ds_write2_b64 v29, v[27:28], v[10:11] offset0:162 offset1:163
.LBB159_470:
	s_or_b64 exec, exec, s[0:1]
	v_mov_b32_e32 v10, 0
	v_mov_b32_e32 v11, 0
	s_waitcnt lgkmcnt(0)
	s_barrier
	buffer_wbinvl1_vol
	s_and_saveexec_b64 s[0:1], s[2:3]
	s_cbranch_execz .LBB159_474
; %bb.471:
	v_lshlrev_b32_e32 v10, 3, v12
	v_lshlrev_b32_e32 v27, 9, v13
	ds_read_b64 v[10:11], v10 offset:17664
	ds_read_b64 v[27:28], v27 offset:17680
	v_cmp_gt_u32_e64 s[14:15], 2, v15
	s_waitcnt lgkmcnt(0)
	v_mul_f32_e32 v29, v28, v11
	v_mul_f32_e32 v11, v27, v11
	v_fma_f32 v27, v27, v10, -v29
	v_fmac_f32_e32 v11, v28, v10
	v_add_f32_e32 v10, 0, v27
	v_add_f32_e32 v11, 0, v11
	s_and_saveexec_b64 s[16:17], s[14:15]
	s_cbranch_execz .LBB159_473
; %bb.472:
	v_lshlrev_b32_e32 v27, 3, v0
	v_mov_b32_e32 v29, 0
	ds_read_b64 v[27:28], v27 offset:18176
	ds_read_b64 v[29:30], v29 offset:18200
	s_waitcnt lgkmcnt(0)
	v_mul_f32_e32 v31, v30, v28
	v_mul_f32_e32 v28, v29, v28
	v_fma_f32 v29, v29, v27, -v31
	v_fmac_f32_e32 v28, v30, v27
	v_add_f32_e32 v10, v10, v29
	v_add_f32_e32 v11, v11, v28
.LBB159_473:
	s_or_b64 exec, exec, s[16:17]
.LBB159_474:
	s_or_b64 exec, exec, s[0:1]
	s_and_saveexec_b64 s[0:1], s[40:41]
; %bb.475:
	v_xor_b32_e32 v28, 0x80000000, v11
	v_xor_b32_e32 v27, 0x80000000, v10
	ds_write_b64 v14, v[27:28]
; %bb.476:
	s_or_b64 exec, exec, s[0:1]
	s_waitcnt lgkmcnt(0)
	s_barrier
	s_and_saveexec_b64 s[0:1], s[38:39]
	s_cbranch_execz .LBB159_478
; %bb.477:
	v_mov_b32_e32 v27, 0
	ds_read_b64 v[27:28], v27 offset:17152
	ds_read_b64 v[29:30], v14
	s_waitcnt lgkmcnt(0)
	v_mul_f32_e32 v31, v29, v27
	v_mul_f32_e32 v29, v29, v28
	v_fmac_f32_e32 v29, v30, v27
	v_fma_f32 v27, v30, v28, -v31
	v_add_f32_e32 v10, v10, v27
	v_sub_f32_e32 v11, v11, v29
.LBB159_478:
	s_or_b64 exec, exec, s[0:1]
	s_barrier
	s_and_saveexec_b64 s[0:1], s[38:39]
; %bb.479:
	v_xor_b32_e32 v28, 0x80000000, v11
	v_xor_b32_e32 v27, 0x80000000, v10
	ds_write_b64 v14, v[27:28]
; %bb.480:
	s_or_b64 exec, exec, s[0:1]
	s_waitcnt lgkmcnt(0)
	s_barrier
	s_barrier
	s_and_saveexec_b64 s[0:1], s[2:3]
; %bb.481:
	v_lshlrev_b32_e32 v27, 3, v12
	v_lshl_or_b32 v27, v13, 9, v27
	ds_write_b64 v27, v[10:11] offset:17664
; %bb.482:
	s_or_b64 exec, exec, s[0:1]
	s_waitcnt lgkmcnt(0)
	s_barrier
	s_barrier
	s_and_saveexec_b64 s[0:1], s[42:43]
	s_cbranch_execz .LBB159_484
; %bb.483:
	v_lshlrev_b32_e32 v27, 3, v0
	s_movk_i32 s14, 0x1f8
	v_mad_u32_u24 v28, v0, s14, v27
	ds_read_b64 v[10:11], v28 offset:17664
	s_waitcnt lgkmcnt(0)
	ds_write_b64 v27, v[10:11] offset:16656
	ds_read_b64 v[10:11], v28 offset:17672
	s_waitcnt lgkmcnt(0)
	ds_write_b64 v27, v[10:11] offset:17168
.LBB159_484:
	s_or_b64 exec, exec, s[0:1]
	s_waitcnt lgkmcnt(0)
	s_barrier
	s_and_saveexec_b64 s[0:1], vcc
	s_cbranch_execz .LBB159_486
; %bb.485:
	v_mov_b32_e32 v29, 0
	ds_read_b64 v[10:11], v29 offset:17152
	s_mov_b64 s[14:15], 0x3f800000
	v_mov_b32_e32 v28, s15
	v_mov_b32_e32 v27, s14
	s_movk_i32 s14, 0x4000
	ds_write_b64 v29, v[27:28] offset:17160
	v_add_u32_e64 v29, s14, 0
	s_waitcnt lgkmcnt(1)
	ds_write2_b64 v29, v[27:28], v[10:11] offset0:32 offset1:33
.LBB159_486:
	s_or_b64 exec, exec, s[0:1]
	s_movk_i32 s0, 0x3ff
	v_lshrrev_b32_e32 v29, 5, v15
	v_cmp_lt_u32_e64 s[16:17], s0, v15
	s_movk_i32 s0, 0x400
	v_and_b32_e32 v27, 31, v0
	v_sub_u32_e32 v28, 31, v29
	v_cmp_gt_u32_e64 s[14:15], s0, v15
	v_mov_b32_e32 v11, 0
	v_mov_b32_e32 v10, 0
	s_waitcnt lgkmcnt(0)
	s_barrier
	buffer_wbinvl1_vol
	s_and_saveexec_b64 s[0:1], s[14:15]
	s_cbranch_execz .LBB159_548
; %bb.487:
	v_lshlrev_b32_e32 v30, 3, v27
	v_lshlrev_b32_e32 v31, 9, v28
	ds_read_b64 v[10:11], v30 offset:16384
	ds_read_b64 v[32:33], v31 offset:16640
	s_movk_i32 s20, 0x3e0
	v_cmp_gt_u32_e64 s[20:21], s20, v15
	s_waitcnt lgkmcnt(0)
	v_mul_f32_e32 v34, v33, v11
	v_mul_f32_e32 v11, v32, v11
	v_fma_f32 v32, v32, v10, -v34
	v_fmac_f32_e32 v11, v33, v10
	v_add_f32_e32 v10, 0, v32
	v_add_f32_e32 v11, 0, v11
	s_and_saveexec_b64 s[94:95], s[20:21]
	s_cbranch_execz .LBB159_489
; %bb.488:
	ds_read_b64 v[32:33], v30 offset:16896
	ds_read_b64 v[34:35], v31 offset:16648
	s_waitcnt lgkmcnt(0)
	v_mul_f32_e32 v36, v35, v33
	v_mul_f32_e32 v33, v34, v33
	v_fma_f32 v34, v34, v32, -v36
	v_fmac_f32_e32 v33, v35, v32
	v_add_f32_e32 v10, v10, v34
	v_add_f32_e32 v11, v11, v33
.LBB159_489:
	s_or_b64 exec, exec, s[94:95]
	s_movk_i32 s20, 0x3c0
	v_cmp_gt_u32_e64 s[20:21], s20, v15
	s_and_saveexec_b64 s[94:95], s[20:21]
	s_cbranch_execz .LBB159_491
; %bb.490:
	ds_read_b64 v[32:33], v30 offset:17408
	ds_read_b64 v[34:35], v31 offset:16656
	s_waitcnt lgkmcnt(0)
	v_mul_f32_e32 v36, v35, v33
	v_mul_f32_e32 v33, v34, v33
	v_fma_f32 v34, v34, v32, -v36
	v_fmac_f32_e32 v33, v35, v32
	v_add_f32_e32 v10, v10, v34
	v_add_f32_e32 v11, v11, v33
.LBB159_491:
	s_or_b64 exec, exec, s[94:95]
	s_movk_i32 s20, 0x3a0
	v_cmp_gt_u32_e64 s[20:21], s20, v15
	;; [unrolled: 16-line block ×22, first 2 shown]
	s_and_saveexec_b64 s[94:95], s[20:21]
	s_cbranch_execz .LBB159_533
; %bb.532:
	ds_read_b64 v[32:33], v30 offset:28160
	ds_read_b64 v[34:35], v31 offset:16824
	s_waitcnt lgkmcnt(0)
	v_mul_f32_e32 v36, v35, v33
	v_mul_f32_e32 v33, v34, v33
	v_fma_f32 v34, v34, v32, -v36
	v_fmac_f32_e32 v33, v35, v32
	v_add_f32_e32 v10, v10, v34
	v_add_f32_e32 v11, v11, v33
.LBB159_533:
	s_or_b64 exec, exec, s[94:95]
	s_and_saveexec_b64 s[20:21], s[10:11]
	s_cbranch_execz .LBB159_535
; %bb.534:
	ds_read_b64 v[32:33], v30 offset:28672
	ds_read_b64 v[34:35], v31 offset:16832
	s_waitcnt lgkmcnt(0)
	v_mul_f32_e32 v36, v35, v33
	v_mul_f32_e32 v33, v34, v33
	v_fma_f32 v34, v34, v32, -v36
	v_fmac_f32_e32 v33, v35, v32
	v_add_f32_e32 v10, v10, v34
	v_add_f32_e32 v11, v11, v33
.LBB159_535:
	s_or_b64 exec, exec, s[20:21]
	s_movk_i32 s20, 0xe0
	v_cmp_gt_u32_e64 s[20:21], s20, v15
	s_and_saveexec_b64 s[94:95], s[20:21]
	s_cbranch_execz .LBB159_537
; %bb.536:
	ds_read_b64 v[32:33], v30 offset:29184
	ds_read_b64 v[34:35], v31 offset:16840
	s_waitcnt lgkmcnt(0)
	v_mul_f32_e32 v36, v35, v33
	v_mul_f32_e32 v33, v34, v33
	v_fma_f32 v34, v34, v32, -v36
	v_fmac_f32_e32 v33, v35, v32
	v_add_f32_e32 v10, v10, v34
	v_add_f32_e32 v11, v11, v33
.LBB159_537:
	s_or_b64 exec, exec, s[94:95]
	s_movk_i32 s20, 0xc0
	v_cmp_gt_u32_e64 s[20:21], s20, v15
	;; [unrolled: 16-line block ×5, first 2 shown]
	s_and_saveexec_b64 s[94:95], s[20:21]
	s_cbranch_execnz .LBB159_1085
; %bb.544:
	s_or_b64 exec, exec, s[94:95]
	s_and_saveexec_b64 s[20:21], s[8:9]
	s_cbranch_execnz .LBB159_1086
.LBB159_545:
	s_or_b64 exec, exec, s[20:21]
	v_cmp_gt_u32_e64 s[20:21], 32, v15
	s_and_saveexec_b64 s[94:95], s[20:21]
	s_cbranch_execz .LBB159_547
.LBB159_546:
	ds_read_b64 v[32:33], v30 offset:32256
	ds_read_b64 v[30:31], v31 offset:16888
	s_waitcnt lgkmcnt(0)
	v_mul_f32_e32 v34, v31, v33
	v_mul_f32_e32 v33, v30, v33
	v_fma_f32 v30, v30, v32, -v34
	v_fmac_f32_e32 v33, v31, v32
	v_add_f32_e32 v10, v10, v30
	v_add_f32_e32 v11, v11, v33
.LBB159_547:
	s_or_b64 exec, exec, s[94:95]
.LBB159_548:
	s_or_b64 exec, exec, s[0:1]
	v_mov_b32_e32 v30, 0x8000
	v_lshl_add_u32 v29, v29, 3, v30
	v_mov_b32_e32 v30, 0x3c00
	v_lshl_or_b32 v30, v27, 3, v30
	s_mov_b32 s20, 31
	v_subrev_u32_e32 v31, 31, v27
	s_xor_b64 s[0:1], s[16:17], -1
	s_branch .LBB159_550
.LBB159_549:                            ;   in Loop: Header=BB159_550 Depth=1
	s_or_b64 exec, exec, s[16:17]
	s_add_i32 s20, s20, -2
	v_add_u32_e32 v30, 0xfffffc00, v30
	s_cmp_eq_u32 s21, 0
	v_add_u32_e32 v31, 2, v31
	s_barrier
	s_cbranch_scc1 .LBB159_558
.LBB159_550:                            ; =>This Inner Loop Header: Depth=1
	v_cmp_eq_u32_e64 s[16:17], 0, v31
	s_and_b64 s[94:95], s[0:1], s[16:17]
	s_and_saveexec_b64 s[16:17], s[94:95]
; %bb.551:                              ;   in Loop: Header=BB159_550 Depth=1
	v_xor_b32_e32 v33, 0x80000000, v11
	v_xor_b32_e32 v32, 0x80000000, v10
	ds_write_b64 v29, v[32:33]
; %bb.552:                              ;   in Loop: Header=BB159_550 Depth=1
	s_or_b64 exec, exec, s[16:17]
	v_cmp_gt_u32_e64 s[16:17], s20, v27
	s_and_b64 s[94:95], s[0:1], s[16:17]
	s_waitcnt lgkmcnt(0)
	s_barrier
	s_and_saveexec_b64 s[16:17], s[94:95]
	s_cbranch_execz .LBB159_554
; %bb.553:                              ;   in Loop: Header=BB159_550 Depth=1
	ds_read_b64 v[32:33], v30 offset:512
	ds_read_b64 v[34:35], v29
	s_waitcnt lgkmcnt(0)
	v_mul_f32_e32 v36, v35, v33
	v_mul_f32_e32 v33, v34, v33
	v_fma_f32 v34, v34, v32, -v36
	v_fmac_f32_e32 v33, v35, v32
	v_sub_f32_e32 v10, v10, v34
	v_sub_f32_e32 v11, v11, v33
.LBB159_554:                            ;   in Loop: Header=BB159_550 Depth=1
	s_or_b64 exec, exec, s[16:17]
	s_add_i32 s21, s20, -1
	v_cmp_eq_u32_e64 s[16:17], s21, v27
	s_and_b64 s[94:95], s[0:1], s[16:17]
	s_barrier
	s_and_saveexec_b64 s[16:17], s[94:95]
; %bb.555:                              ;   in Loop: Header=BB159_550 Depth=1
	v_xor_b32_e32 v33, 0x80000000, v11
	v_xor_b32_e32 v32, 0x80000000, v10
	ds_write_b64 v29, v[32:33]
; %bb.556:                              ;   in Loop: Header=BB159_550 Depth=1
	s_or_b64 exec, exec, s[16:17]
	v_cmp_gt_u32_e64 s[16:17], s21, v27
	s_and_b64 s[94:95], s[0:1], s[16:17]
	s_waitcnt lgkmcnt(0)
	s_barrier
	s_and_saveexec_b64 s[16:17], s[94:95]
	s_cbranch_execz .LBB159_549
; %bb.557:                              ;   in Loop: Header=BB159_550 Depth=1
	ds_read_b64 v[32:33], v30
	ds_read_b64 v[34:35], v29
	s_waitcnt lgkmcnt(0)
	v_mul_f32_e32 v36, v35, v33
	v_mul_f32_e32 v33, v34, v33
	v_fma_f32 v34, v34, v32, -v36
	v_fmac_f32_e32 v33, v35, v32
	v_sub_f32_e32 v10, v10, v34
	v_sub_f32_e32 v11, v11, v33
	s_branch .LBB159_549
.LBB159_558:
	s_and_saveexec_b64 s[0:1], s[14:15]
; %bb.559:
	v_lshlrev_b32_e32 v27, 3, v27
	v_lshl_or_b32 v27, v28, 9, v27
	ds_write_b64 v27, v[10:11] offset:16384
; %bb.560:
	s_or_b64 exec, exec, s[0:1]
	v_cmp_gt_u32_e64 s[14:15], 32, v0
	s_and_b64 s[12:13], s[12:13], s[14:15]
	s_waitcnt lgkmcnt(0)
	s_barrier
	s_barrier
	s_and_saveexec_b64 s[0:1], s[12:13]
	s_cbranch_execz .LBB159_562
; %bb.561:
	v_lshlrev_b32_e32 v27, 9, v0
	ds_read_b64 v[10:11], v27 offset:16384
	s_movk_i32 s12, 0xfe08
	v_mad_i32_i24 v28, v0, s12, v27
	s_waitcnt lgkmcnt(0)
	ds_write_b64 v28, v[10:11] offset:256
	ds_read_b64 v[10:11], v27 offset:16392
	s_waitcnt lgkmcnt(0)
	ds_write_b64 v28, v[10:11] offset:768
	ds_read_b64 v[10:11], v27 offset:16400
	;; [unrolled: 3-line block ×31, first 2 shown]
	s_waitcnt lgkmcnt(0)
	ds_write_b64 v28, v[10:11] offset:16128
.LBB159_562:
	s_or_b64 exec, exec, s[0:1]
	s_waitcnt lgkmcnt(0)
	s_barrier
	s_and_saveexec_b64 s[0:1], vcc
	s_cbranch_execz .LBB159_564
; %bb.563:
	v_mov_b32_e32 v29, 0
	ds_read_b64 v[10:11], v29 offset:16112
	s_mov_b64 s[12:13], 0x3f800000
	v_mov_b32_e32 v28, s13
	v_mov_b32_e32 v27, s12
	s_movk_i32 s12, 0x3800
	ds_write_b64 v29, v[27:28] offset:16120
	v_add_u32_e64 v29, s12, 0
	s_waitcnt lgkmcnt(1)
	ds_write2_b64 v29, v[27:28], v[10:11] offset0:158 offset1:159
.LBB159_564:
	s_or_b64 exec, exec, s[0:1]
	v_mov_b32_e32 v10, 0
	v_mov_b32_e32 v11, 0
	s_waitcnt lgkmcnt(0)
	s_barrier
	buffer_wbinvl1_vol
	s_and_saveexec_b64 s[0:1], s[2:3]
	s_cbranch_execz .LBB159_568
; %bb.565:
	v_lshlrev_b32_e32 v10, 3, v12
	v_lshlrev_b32_e32 v27, 9, v13
	ds_read_b64 v[10:11], v10 offset:15584
	ds_read_b64 v[27:28], v27 offset:15600
	v_cmp_gt_u32_e64 s[12:13], 2, v15
	s_waitcnt lgkmcnt(0)
	v_mul_f32_e32 v29, v28, v11
	v_mul_f32_e32 v11, v27, v11
	v_fma_f32 v27, v27, v10, -v29
	v_fmac_f32_e32 v11, v28, v10
	v_add_f32_e32 v10, 0, v27
	v_add_f32_e32 v11, 0, v11
	s_and_saveexec_b64 s[14:15], s[12:13]
	s_cbranch_execz .LBB159_567
; %bb.566:
	v_lshlrev_b32_e32 v27, 3, v0
	v_mov_b32_e32 v29, 0
	ds_read_b64 v[27:28], v27 offset:16096
	ds_read_b64 v[29:30], v29 offset:16120
	s_waitcnt lgkmcnt(0)
	v_mul_f32_e32 v31, v30, v28
	v_mul_f32_e32 v28, v29, v28
	v_fma_f32 v29, v29, v27, -v31
	v_fmac_f32_e32 v28, v30, v27
	v_add_f32_e32 v10, v10, v29
	v_add_f32_e32 v11, v11, v28
.LBB159_567:
	s_or_b64 exec, exec, s[14:15]
.LBB159_568:
	s_or_b64 exec, exec, s[0:1]
	s_and_saveexec_b64 s[0:1], s[40:41]
; %bb.569:
	v_xor_b32_e32 v28, 0x80000000, v11
	v_xor_b32_e32 v27, 0x80000000, v10
	ds_write_b64 v14, v[27:28]
; %bb.570:
	s_or_b64 exec, exec, s[0:1]
	s_waitcnt lgkmcnt(0)
	s_barrier
	s_and_saveexec_b64 s[0:1], s[38:39]
	s_cbranch_execz .LBB159_572
; %bb.571:
	v_mov_b32_e32 v27, 0
	ds_read_b64 v[27:28], v27 offset:15072
	ds_read_b64 v[29:30], v14
	s_waitcnt lgkmcnt(0)
	v_mul_f32_e32 v31, v29, v27
	v_mul_f32_e32 v29, v29, v28
	v_fmac_f32_e32 v29, v30, v27
	v_fma_f32 v27, v30, v28, -v31
	v_add_f32_e32 v10, v10, v27
	v_sub_f32_e32 v11, v11, v29
.LBB159_572:
	s_or_b64 exec, exec, s[0:1]
	s_barrier
	s_and_saveexec_b64 s[0:1], s[38:39]
; %bb.573:
	v_xor_b32_e32 v28, 0x80000000, v11
	v_xor_b32_e32 v27, 0x80000000, v10
	ds_write_b64 v14, v[27:28]
; %bb.574:
	s_or_b64 exec, exec, s[0:1]
	s_waitcnt lgkmcnt(0)
	s_barrier
	s_barrier
	s_and_saveexec_b64 s[0:1], s[2:3]
; %bb.575:
	v_lshlrev_b32_e32 v27, 3, v12
	v_lshl_or_b32 v27, v13, 9, v27
	ds_write_b64 v27, v[10:11] offset:15584
; %bb.576:
	s_or_b64 exec, exec, s[0:1]
	s_waitcnt lgkmcnt(0)
	s_barrier
	s_barrier
	s_and_saveexec_b64 s[0:1], s[42:43]
	s_cbranch_execz .LBB159_578
; %bb.577:
	v_lshlrev_b32_e32 v27, 3, v0
	s_movk_i32 s12, 0x1f8
	v_mad_u32_u24 v28, v0, s12, v27
	ds_read_b64 v[10:11], v28 offset:15584
	s_waitcnt lgkmcnt(0)
	ds_write_b64 v27, v[10:11] offset:14576
	ds_read_b64 v[10:11], v28 offset:15592
	s_waitcnt lgkmcnt(0)
	ds_write_b64 v27, v[10:11] offset:15088
.LBB159_578:
	s_or_b64 exec, exec, s[0:1]
	s_waitcnt lgkmcnt(0)
	s_barrier
	s_and_saveexec_b64 s[0:1], vcc
	s_cbranch_execz .LBB159_580
; %bb.579:
	v_mov_b32_e32 v29, 0
	ds_read_b64 v[10:11], v29 offset:15072
	s_mov_b64 s[12:13], 0x3f800000
	v_mov_b32_e32 v28, s13
	v_mov_b32_e32 v27, s12
	s_movk_i32 s12, 0x3800
	ds_write_b64 v29, v[27:28] offset:15080
	v_add_u32_e64 v29, s12, 0
	s_waitcnt lgkmcnt(1)
	ds_write2_b64 v29, v[27:28], v[10:11] offset0:28 offset1:29
.LBB159_580:
	s_or_b64 exec, exec, s[0:1]
	v_mov_b32_e32 v11, 0
	v_mov_b32_e32 v10, 0
	s_waitcnt lgkmcnt(0)
	s_barrier
	buffer_wbinvl1_vol
	s_and_saveexec_b64 s[0:1], s[18:19]
	s_cbranch_execz .LBB159_586
; %bb.581:
	v_lshlrev_b32_e32 v27, 3, v18
	v_lshlrev_b32_e32 v28, 9, v19
	ds_read_b64 v[10:11], v27 offset:14528
	ds_read_b64 v[29:30], v28 offset:14560
	v_cmp_gt_u32_e64 s[12:13], 12, v15
	s_waitcnt lgkmcnt(0)
	v_mul_f32_e32 v31, v30, v11
	v_mul_f32_e32 v11, v29, v11
	v_fma_f32 v29, v29, v10, -v31
	v_fmac_f32_e32 v11, v30, v10
	v_add_f32_e32 v10, 0, v29
	v_add_f32_e32 v11, 0, v11
	s_and_saveexec_b64 s[14:15], s[12:13]
	s_cbranch_execnz .LBB159_1087
; %bb.582:
	s_or_b64 exec, exec, s[14:15]
	v_cmp_gt_u32_e64 s[12:13], 8, v15
	s_and_saveexec_b64 s[14:15], s[12:13]
	s_cbranch_execnz .LBB159_1088
.LBB159_583:
	s_or_b64 exec, exec, s[14:15]
	v_cmp_gt_u32_e64 s[12:13], 4, v15
	s_and_saveexec_b64 s[14:15], s[12:13]
	s_cbranch_execz .LBB159_585
.LBB159_584:
	v_lshlrev_b32_e32 v27, 3, v0
	v_mov_b32_e32 v29, 0
	ds_read_b64 v[27:28], v27 offset:16064
	ds_read_b64 v[29:30], v29 offset:16120
	s_waitcnt lgkmcnt(0)
	v_mul_f32_e32 v31, v30, v28
	v_mul_f32_e32 v28, v29, v28
	v_fma_f32 v29, v29, v27, -v31
	v_fmac_f32_e32 v28, v30, v27
	v_add_f32_e32 v10, v10, v29
	v_add_f32_e32 v11, v11, v28
.LBB159_585:
	s_or_b64 exec, exec, s[14:15]
.LBB159_586:
	s_or_b64 exec, exec, s[0:1]
	s_and_saveexec_b64 s[0:1], s[46:47]
; %bb.587:
	v_xor_b32_e32 v27, 0x80000000, v10
	v_xor_b32_e32 v28, 0x80000000, v11
	ds_write_b64 v20, v[27:28]
; %bb.588:
	s_or_b64 exec, exec, s[0:1]
	s_waitcnt lgkmcnt(0)
	s_barrier
	s_and_saveexec_b64 s[0:1], s[48:49]
	s_cbranch_execz .LBB159_590
; %bb.589:
	v_lshlrev_b32_e32 v27, 3, v18
	ds_read_b64 v[27:28], v27 offset:14016
	ds_read_b64 v[29:30], v20
	s_waitcnt lgkmcnt(0)
	v_mul_f32_e32 v31, v30, v28
	v_mul_f32_e32 v28, v29, v28
	v_fma_f32 v29, v29, v27, -v31
	v_fmac_f32_e32 v28, v30, v27
	v_sub_f32_e32 v10, v10, v29
	v_sub_f32_e32 v11, v11, v28
.LBB159_590:
	s_or_b64 exec, exec, s[0:1]
	s_barrier
	s_and_saveexec_b64 s[0:1], s[50:51]
; %bb.591:
	v_xor_b32_e32 v27, 0x80000000, v10
	v_xor_b32_e32 v28, 0x80000000, v11
	ds_write_b64 v20, v[27:28]
; %bb.592:
	s_or_b64 exec, exec, s[0:1]
	s_waitcnt lgkmcnt(0)
	s_barrier
	s_and_saveexec_b64 s[0:1], s[52:53]
	s_cbranch_execz .LBB159_594
; %bb.593:
	v_lshlrev_b32_e32 v27, 3, v18
	ds_read_b64 v[27:28], v27 offset:13504
	ds_read_b64 v[29:30], v20
	s_waitcnt lgkmcnt(0)
	v_mul_f32_e32 v31, v30, v28
	v_mul_f32_e32 v28, v29, v28
	v_fma_f32 v29, v29, v27, -v31
	v_fmac_f32_e32 v28, v30, v27
	v_sub_f32_e32 v10, v10, v29
	v_sub_f32_e32 v11, v11, v28
.LBB159_594:
	s_or_b64 exec, exec, s[0:1]
	s_barrier
	s_and_saveexec_b64 s[0:1], s[54:55]
; %bb.595:
	v_xor_b32_e32 v27, 0x80000000, v10
	v_xor_b32_e32 v28, 0x80000000, v11
	ds_write_b64 v20, v[27:28]
; %bb.596:
	s_or_b64 exec, exec, s[0:1]
	s_waitcnt lgkmcnt(0)
	s_barrier
	s_and_saveexec_b64 s[0:1], s[44:45]
	s_cbranch_execz .LBB159_598
; %bb.597:
	v_mov_b32_e32 v27, 0
	ds_read_b64 v[27:28], v27 offset:12992
	ds_read_b64 v[29:30], v20
	s_waitcnt lgkmcnt(0)
	v_mul_f32_e32 v31, v30, v28
	v_mul_f32_e32 v28, v29, v28
	v_fma_f32 v29, v29, v27, -v31
	v_fmac_f32_e32 v28, v30, v27
	v_sub_f32_e32 v10, v10, v29
	v_sub_f32_e32 v11, v11, v28
.LBB159_598:
	s_or_b64 exec, exec, s[0:1]
	s_barrier
	s_and_saveexec_b64 s[0:1], s[44:45]
; %bb.599:
	v_xor_b32_e32 v27, 0x80000000, v10
	v_xor_b32_e32 v28, 0x80000000, v11
	ds_write_b64 v20, v[27:28]
; %bb.600:
	s_or_b64 exec, exec, s[0:1]
	s_waitcnt lgkmcnt(0)
	s_barrier
	s_barrier
	s_and_saveexec_b64 s[0:1], s[18:19]
; %bb.601:
	v_lshlrev_b32_e32 v27, 3, v18
	v_lshl_or_b32 v27, v19, 9, v27
	ds_write_b64 v27, v[10:11] offset:14528
; %bb.602:
	s_or_b64 exec, exec, s[0:1]
	s_waitcnt lgkmcnt(0)
	s_barrier
	s_barrier
	s_and_saveexec_b64 s[0:1], s[56:57]
	s_cbranch_execz .LBB159_604
; %bb.603:
	v_lshlrev_b32_e32 v27, 9, v0
	ds_read_b64 v[10:11], v27 offset:14528
	s_movk_i32 s12, 0xfe08
	v_mad_i32_i24 v28, v0, s12, v27
	s_waitcnt lgkmcnt(0)
	ds_write_b64 v28, v[10:11] offset:12512
	ds_read_b64 v[10:11], v27 offset:14536
	s_waitcnt lgkmcnt(0)
	ds_write_b64 v28, v[10:11] offset:13024
	ds_read_b64 v[10:11], v27 offset:14544
	;; [unrolled: 3-line block ×3, first 2 shown]
	s_waitcnt lgkmcnt(0)
	ds_write_b64 v28, v[10:11] offset:14048
.LBB159_604:
	s_or_b64 exec, exec, s[0:1]
	s_waitcnt lgkmcnt(0)
	s_barrier
	s_and_saveexec_b64 s[0:1], vcc
	s_cbranch_execz .LBB159_606
; %bb.605:
	v_mov_b32_e32 v29, 0
	ds_read_b64 v[10:11], v29 offset:14032
	s_mov_b64 s[12:13], 0x3f800000
	v_mov_b32_e32 v28, s13
	v_mov_b32_e32 v27, s12
	s_movk_i32 s12, 0x3000
	ds_write_b64 v29, v[27:28] offset:14040
	v_add_u32_e64 v29, s12, 0
	s_waitcnt lgkmcnt(1)
	ds_write2_b64 v29, v[27:28], v[10:11] offset0:154 offset1:155
.LBB159_606:
	s_or_b64 exec, exec, s[0:1]
	v_mov_b32_e32 v10, 0
	v_mov_b32_e32 v11, 0
	s_waitcnt lgkmcnt(0)
	s_barrier
	buffer_wbinvl1_vol
	s_and_saveexec_b64 s[0:1], s[2:3]
	s_cbranch_execz .LBB159_610
; %bb.607:
	v_lshlrev_b32_e32 v10, 3, v12
	v_lshlrev_b32_e32 v27, 9, v13
	ds_read_b64 v[10:11], v10 offset:13504
	ds_read_b64 v[27:28], v27 offset:13520
	v_cmp_gt_u32_e64 s[12:13], 2, v15
	s_waitcnt lgkmcnt(0)
	v_mul_f32_e32 v29, v28, v11
	v_mul_f32_e32 v11, v27, v11
	v_fma_f32 v27, v27, v10, -v29
	v_fmac_f32_e32 v11, v28, v10
	v_add_f32_e32 v10, 0, v27
	v_add_f32_e32 v11, 0, v11
	s_and_saveexec_b64 s[14:15], s[12:13]
	s_cbranch_execz .LBB159_609
; %bb.608:
	v_lshlrev_b32_e32 v27, 3, v0
	v_mov_b32_e32 v29, 0
	ds_read_b64 v[27:28], v27 offset:14016
	ds_read_b64 v[29:30], v29 offset:14040
	s_waitcnt lgkmcnt(0)
	v_mul_f32_e32 v31, v30, v28
	v_mul_f32_e32 v28, v29, v28
	v_fma_f32 v29, v29, v27, -v31
	v_fmac_f32_e32 v28, v30, v27
	v_add_f32_e32 v10, v10, v29
	v_add_f32_e32 v11, v11, v28
.LBB159_609:
	s_or_b64 exec, exec, s[14:15]
.LBB159_610:
	s_or_b64 exec, exec, s[0:1]
	s_and_saveexec_b64 s[0:1], s[40:41]
; %bb.611:
	v_xor_b32_e32 v28, 0x80000000, v11
	v_xor_b32_e32 v27, 0x80000000, v10
	ds_write_b64 v14, v[27:28]
; %bb.612:
	s_or_b64 exec, exec, s[0:1]
	s_waitcnt lgkmcnt(0)
	s_barrier
	s_and_saveexec_b64 s[0:1], s[38:39]
	s_cbranch_execz .LBB159_614
; %bb.613:
	v_mov_b32_e32 v27, 0
	ds_read_b64 v[27:28], v27 offset:12992
	ds_read_b64 v[29:30], v14
	s_waitcnt lgkmcnt(0)
	v_mul_f32_e32 v31, v29, v27
	v_mul_f32_e32 v29, v29, v28
	v_fmac_f32_e32 v29, v30, v27
	v_fma_f32 v27, v30, v28, -v31
	v_add_f32_e32 v10, v10, v27
	v_sub_f32_e32 v11, v11, v29
.LBB159_614:
	s_or_b64 exec, exec, s[0:1]
	s_barrier
	s_and_saveexec_b64 s[0:1], s[38:39]
; %bb.615:
	v_xor_b32_e32 v28, 0x80000000, v11
	v_xor_b32_e32 v27, 0x80000000, v10
	ds_write_b64 v14, v[27:28]
; %bb.616:
	s_or_b64 exec, exec, s[0:1]
	s_waitcnt lgkmcnt(0)
	s_barrier
	s_barrier
	s_and_saveexec_b64 s[0:1], s[2:3]
; %bb.617:
	v_lshlrev_b32_e32 v27, 3, v12
	v_lshl_or_b32 v27, v13, 9, v27
	ds_write_b64 v27, v[10:11] offset:13504
; %bb.618:
	s_or_b64 exec, exec, s[0:1]
	s_waitcnt lgkmcnt(0)
	s_barrier
	s_barrier
	s_and_saveexec_b64 s[0:1], s[42:43]
	s_cbranch_execz .LBB159_620
; %bb.619:
	v_lshlrev_b32_e32 v27, 3, v0
	s_movk_i32 s12, 0x1f8
	v_mad_u32_u24 v28, v0, s12, v27
	ds_read_b64 v[10:11], v28 offset:13504
	s_waitcnt lgkmcnt(0)
	ds_write_b64 v27, v[10:11] offset:12496
	ds_read_b64 v[10:11], v28 offset:13512
	s_waitcnt lgkmcnt(0)
	ds_write_b64 v27, v[10:11] offset:13008
.LBB159_620:
	s_or_b64 exec, exec, s[0:1]
	s_waitcnt lgkmcnt(0)
	s_barrier
	s_and_saveexec_b64 s[0:1], vcc
	s_cbranch_execz .LBB159_622
; %bb.621:
	v_mov_b32_e32 v29, 0
	ds_read_b64 v[10:11], v29 offset:12992
	s_mov_b64 s[12:13], 0x3f800000
	v_mov_b32_e32 v28, s13
	v_mov_b32_e32 v27, s12
	s_movk_i32 s12, 0x3000
	ds_write_b64 v29, v[27:28] offset:13000
	v_add_u32_e64 v29, s12, 0
	s_waitcnt lgkmcnt(1)
	ds_write2_b64 v29, v[27:28], v[10:11] offset0:24 offset1:25
.LBB159_622:
	s_or_b64 exec, exec, s[0:1]
	v_mov_b32_e32 v11, 0
	v_mov_b32_e32 v10, 0
	s_waitcnt lgkmcnt(0)
	s_barrier
	buffer_wbinvl1_vol
	s_and_saveexec_b64 s[0:1], s[8:9]
	s_cbranch_execz .LBB159_632
; %bb.623:
	v_lshlrev_b32_e32 v27, 3, v21
	v_lshlrev_b32_e32 v28, 9, v22
	ds_read_b64 v[10:11], v27 offset:12416
	ds_read_b64 v[29:30], v28 offset:12480
	v_cmp_gt_u32_e64 s[12:13], 56, v15
	s_waitcnt lgkmcnt(0)
	v_mul_f32_e32 v31, v30, v11
	v_mul_f32_e32 v11, v29, v11
	v_fma_f32 v29, v29, v10, -v31
	v_fmac_f32_e32 v11, v30, v10
	v_add_f32_e32 v10, 0, v29
	v_add_f32_e32 v11, 0, v11
	s_and_saveexec_b64 s[14:15], s[12:13]
	s_cbranch_execnz .LBB159_1089
; %bb.624:
	s_or_b64 exec, exec, s[14:15]
	v_cmp_gt_u32_e64 s[12:13], 48, v15
	s_and_saveexec_b64 s[14:15], s[12:13]
	s_cbranch_execnz .LBB159_1090
.LBB159_625:
	s_or_b64 exec, exec, s[14:15]
	v_cmp_gt_u32_e64 s[12:13], 40, v15
	s_and_saveexec_b64 s[14:15], s[12:13]
	s_cbranch_execnz .LBB159_1091
.LBB159_626:
	s_or_b64 exec, exec, s[14:15]
	v_cmp_gt_u32_e64 s[12:13], 32, v15
	s_and_saveexec_b64 s[14:15], s[12:13]
	s_cbranch_execnz .LBB159_1092
.LBB159_627:
	s_or_b64 exec, exec, s[14:15]
	v_cmp_gt_u32_e64 s[12:13], 24, v15
	s_and_saveexec_b64 s[14:15], s[12:13]
	s_cbranch_execnz .LBB159_1093
.LBB159_628:
	s_or_b64 exec, exec, s[14:15]
	s_and_saveexec_b64 s[12:13], s[18:19]
	s_cbranch_execnz .LBB159_1094
.LBB159_629:
	s_or_b64 exec, exec, s[12:13]
	v_cmp_gt_u32_e64 s[12:13], 8, v15
	s_and_saveexec_b64 s[14:15], s[12:13]
	s_cbranch_execz .LBB159_631
.LBB159_630:
	v_lshlrev_b32_e32 v27, 3, v0
	v_mov_b32_e32 v29, 0
	ds_read_b64 v[27:28], v27 offset:16000
	ds_read_b64 v[29:30], v29 offset:16120
	s_waitcnt lgkmcnt(0)
	v_mul_f32_e32 v31, v30, v28
	v_mul_f32_e32 v28, v29, v28
	v_fma_f32 v29, v29, v27, -v31
	v_fmac_f32_e32 v28, v30, v27
	v_add_f32_e32 v10, v10, v29
	v_add_f32_e32 v11, v11, v28
.LBB159_631:
	s_or_b64 exec, exec, s[14:15]
.LBB159_632:
	s_or_b64 exec, exec, s[0:1]
	s_and_saveexec_b64 s[0:1], s[60:61]
; %bb.633:
	v_xor_b32_e32 v28, 0x80000000, v11
	v_xor_b32_e32 v27, 0x80000000, v10
	ds_write_b64 v23, v[27:28]
; %bb.634:
	s_or_b64 exec, exec, s[0:1]
	s_waitcnt lgkmcnt(0)
	s_barrier
	s_and_saveexec_b64 s[0:1], s[62:63]
	s_cbranch_execz .LBB159_636
; %bb.635:
	v_lshlrev_b32_e32 v27, 3, v21
	ds_read_b64 v[27:28], v27 offset:11904
	ds_read_b64 v[29:30], v23
	s_waitcnt lgkmcnt(0)
	v_mul_f32_e32 v31, v30, v28
	v_mul_f32_e32 v28, v29, v28
	v_fma_f32 v29, v29, v27, -v31
	v_fmac_f32_e32 v28, v30, v27
	v_sub_f32_e32 v10, v10, v29
	v_sub_f32_e32 v11, v11, v28
.LBB159_636:
	s_or_b64 exec, exec, s[0:1]
	s_barrier
	s_and_saveexec_b64 s[0:1], s[64:65]
; %bb.637:
	v_xor_b32_e32 v28, 0x80000000, v11
	v_xor_b32_e32 v27, 0x80000000, v10
	ds_write_b64 v23, v[27:28]
; %bb.638:
	s_or_b64 exec, exec, s[0:1]
	s_waitcnt lgkmcnt(0)
	s_barrier
	s_and_saveexec_b64 s[0:1], s[66:67]
	s_cbranch_execz .LBB159_640
; %bb.639:
	v_lshlrev_b32_e32 v27, 3, v21
	ds_read_b64 v[27:28], v27 offset:11392
	ds_read_b64 v[29:30], v23
	s_waitcnt lgkmcnt(0)
	v_mul_f32_e32 v31, v30, v28
	v_mul_f32_e32 v28, v29, v28
	v_fma_f32 v29, v29, v27, -v31
	v_fmac_f32_e32 v28, v30, v27
	v_sub_f32_e32 v10, v10, v29
	v_sub_f32_e32 v11, v11, v28
.LBB159_640:
	s_or_b64 exec, exec, s[0:1]
	s_barrier
	;; [unrolled: 25-line block ×6, first 2 shown]
	s_and_saveexec_b64 s[0:1], s[84:85]
; %bb.657:
	v_xor_b32_e32 v28, 0x80000000, v11
	v_xor_b32_e32 v27, 0x80000000, v10
	ds_write_b64 v23, v[27:28]
; %bb.658:
	s_or_b64 exec, exec, s[0:1]
	s_waitcnt lgkmcnt(0)
	s_barrier
	s_and_saveexec_b64 s[0:1], s[58:59]
	s_cbranch_execz .LBB159_660
; %bb.659:
	v_mov_b32_e32 v27, 0
	ds_read_b64 v[27:28], v27 offset:8832
	ds_read_b64 v[29:30], v23
	s_waitcnt lgkmcnt(0)
	v_mul_f32_e32 v31, v30, v28
	v_mul_f32_e32 v28, v29, v28
	v_fma_f32 v29, v29, v27, -v31
	v_fmac_f32_e32 v28, v30, v27
	v_sub_f32_e32 v10, v10, v29
	v_sub_f32_e32 v11, v11, v28
.LBB159_660:
	s_or_b64 exec, exec, s[0:1]
	s_barrier
	s_and_saveexec_b64 s[0:1], s[58:59]
; %bb.661:
	v_xor_b32_e32 v28, 0x80000000, v11
	v_xor_b32_e32 v27, 0x80000000, v10
	ds_write_b64 v23, v[27:28]
; %bb.662:
	s_or_b64 exec, exec, s[0:1]
	s_waitcnt lgkmcnt(0)
	s_barrier
	s_barrier
	s_and_saveexec_b64 s[0:1], s[8:9]
; %bb.663:
	v_lshlrev_b32_e32 v27, 3, v21
	v_lshl_or_b32 v27, v22, 9, v27
	ds_write_b64 v27, v[10:11] offset:12416
; %bb.664:
	s_or_b64 exec, exec, s[0:1]
	s_waitcnt lgkmcnt(0)
	s_barrier
	s_barrier
	s_and_saveexec_b64 s[0:1], s[86:87]
	s_cbranch_execz .LBB159_666
; %bb.665:
	v_lshlrev_b32_e32 v27, 9, v0
	ds_read_b64 v[10:11], v27 offset:12416
	s_movk_i32 s12, 0xfe08
	v_mad_i32_i24 v28, v0, s12, v27
	s_waitcnt lgkmcnt(0)
	ds_write_b64 v28, v[10:11] offset:8384
	ds_read_b64 v[10:11], v27 offset:12424
	s_waitcnt lgkmcnt(0)
	ds_write_b64 v28, v[10:11] offset:8896
	ds_read_b64 v[10:11], v27 offset:12432
	;; [unrolled: 3-line block ×7, first 2 shown]
	s_waitcnt lgkmcnt(0)
	ds_write_b64 v28, v[10:11] offset:11968
.LBB159_666:
	s_or_b64 exec, exec, s[0:1]
	s_waitcnt lgkmcnt(0)
	s_barrier
	s_and_saveexec_b64 s[0:1], vcc
	s_cbranch_execz .LBB159_668
; %bb.667:
	v_mov_b32_e32 v29, 0
	ds_read_b64 v[10:11], v29 offset:11952
	s_mov_b64 s[12:13], 0x3f800000
	v_mov_b32_e32 v28, s13
	v_mov_b32_e32 v27, s12
	s_movk_i32 s12, 0x2800
	ds_write_b64 v29, v[27:28] offset:11960
	v_add_u32_e64 v29, s12, 0
	s_waitcnt lgkmcnt(1)
	ds_write2_b64 v29, v[27:28], v[10:11] offset0:150 offset1:151
.LBB159_668:
	s_or_b64 exec, exec, s[0:1]
	v_mov_b32_e32 v10, 0
	v_mov_b32_e32 v11, 0
	s_waitcnt lgkmcnt(0)
	s_barrier
	buffer_wbinvl1_vol
	s_and_saveexec_b64 s[0:1], s[2:3]
	s_cbranch_execz .LBB159_672
; %bb.669:
	v_lshlrev_b32_e32 v10, 3, v12
	v_lshlrev_b32_e32 v27, 9, v13
	ds_read_b64 v[10:11], v10 offset:11424
	ds_read_b64 v[27:28], v27 offset:11440
	v_cmp_gt_u32_e64 s[12:13], 2, v15
	s_waitcnt lgkmcnt(0)
	v_mul_f32_e32 v29, v28, v11
	v_mul_f32_e32 v11, v27, v11
	v_fma_f32 v27, v27, v10, -v29
	v_fmac_f32_e32 v11, v28, v10
	v_add_f32_e32 v10, 0, v27
	v_add_f32_e32 v11, 0, v11
	s_and_saveexec_b64 s[14:15], s[12:13]
	s_cbranch_execz .LBB159_671
; %bb.670:
	v_lshlrev_b32_e32 v27, 3, v0
	v_mov_b32_e32 v29, 0
	ds_read_b64 v[27:28], v27 offset:11936
	ds_read_b64 v[29:30], v29 offset:11960
	s_waitcnt lgkmcnt(0)
	v_mul_f32_e32 v31, v30, v28
	v_mul_f32_e32 v28, v29, v28
	v_fma_f32 v29, v29, v27, -v31
	v_fmac_f32_e32 v28, v30, v27
	v_add_f32_e32 v10, v10, v29
	v_add_f32_e32 v11, v11, v28
.LBB159_671:
	s_or_b64 exec, exec, s[14:15]
.LBB159_672:
	s_or_b64 exec, exec, s[0:1]
	s_and_saveexec_b64 s[0:1], s[40:41]
; %bb.673:
	v_xor_b32_e32 v28, 0x80000000, v11
	v_xor_b32_e32 v27, 0x80000000, v10
	ds_write_b64 v14, v[27:28]
; %bb.674:
	s_or_b64 exec, exec, s[0:1]
	s_waitcnt lgkmcnt(0)
	s_barrier
	s_and_saveexec_b64 s[0:1], s[38:39]
	s_cbranch_execz .LBB159_676
; %bb.675:
	v_mov_b32_e32 v27, 0
	ds_read_b64 v[27:28], v27 offset:10912
	ds_read_b64 v[29:30], v14
	s_waitcnt lgkmcnt(0)
	v_mul_f32_e32 v31, v29, v27
	v_mul_f32_e32 v29, v29, v28
	v_fmac_f32_e32 v29, v30, v27
	v_fma_f32 v27, v30, v28, -v31
	v_add_f32_e32 v10, v10, v27
	v_sub_f32_e32 v11, v11, v29
.LBB159_676:
	s_or_b64 exec, exec, s[0:1]
	s_barrier
	s_and_saveexec_b64 s[0:1], s[38:39]
; %bb.677:
	v_xor_b32_e32 v28, 0x80000000, v11
	v_xor_b32_e32 v27, 0x80000000, v10
	ds_write_b64 v14, v[27:28]
; %bb.678:
	s_or_b64 exec, exec, s[0:1]
	s_waitcnt lgkmcnt(0)
	s_barrier
	s_barrier
	s_and_saveexec_b64 s[0:1], s[2:3]
; %bb.679:
	v_lshlrev_b32_e32 v27, 3, v12
	v_lshl_or_b32 v27, v13, 9, v27
	ds_write_b64 v27, v[10:11] offset:11424
; %bb.680:
	s_or_b64 exec, exec, s[0:1]
	s_waitcnt lgkmcnt(0)
	s_barrier
	s_barrier
	s_and_saveexec_b64 s[0:1], s[42:43]
	s_cbranch_execz .LBB159_682
; %bb.681:
	v_lshlrev_b32_e32 v27, 3, v0
	s_movk_i32 s12, 0x1f8
	v_mad_u32_u24 v28, v0, s12, v27
	ds_read_b64 v[10:11], v28 offset:11424
	s_waitcnt lgkmcnt(0)
	ds_write_b64 v27, v[10:11] offset:10416
	ds_read_b64 v[10:11], v28 offset:11432
	s_waitcnt lgkmcnt(0)
	ds_write_b64 v27, v[10:11] offset:10928
.LBB159_682:
	s_or_b64 exec, exec, s[0:1]
	s_waitcnt lgkmcnt(0)
	s_barrier
	s_and_saveexec_b64 s[0:1], vcc
	s_cbranch_execz .LBB159_684
; %bb.683:
	v_mov_b32_e32 v29, 0
	ds_read_b64 v[10:11], v29 offset:10912
	s_mov_b64 s[12:13], 0x3f800000
	v_mov_b32_e32 v28, s13
	v_mov_b32_e32 v27, s12
	s_movk_i32 s12, 0x2800
	ds_write_b64 v29, v[27:28] offset:10920
	v_add_u32_e64 v29, s12, 0
	s_waitcnt lgkmcnt(1)
	ds_write2_b64 v29, v[27:28], v[10:11] offset0:20 offset1:21
.LBB159_684:
	s_or_b64 exec, exec, s[0:1]
	v_mov_b32_e32 v11, 0
	v_mov_b32_e32 v10, 0
	s_waitcnt lgkmcnt(0)
	s_barrier
	buffer_wbinvl1_vol
	s_and_saveexec_b64 s[0:1], s[18:19]
	s_cbranch_execz .LBB159_690
; %bb.685:
	v_lshlrev_b32_e32 v27, 3, v18
	v_lshlrev_b32_e32 v28, 9, v19
	ds_read_b64 v[10:11], v27 offset:10368
	ds_read_b64 v[29:30], v28 offset:10400
	v_cmp_gt_u32_e64 s[12:13], 12, v15
	s_waitcnt lgkmcnt(0)
	v_mul_f32_e32 v31, v30, v11
	v_mul_f32_e32 v11, v29, v11
	v_fma_f32 v29, v29, v10, -v31
	v_fmac_f32_e32 v11, v30, v10
	v_add_f32_e32 v10, 0, v29
	v_add_f32_e32 v11, 0, v11
	s_and_saveexec_b64 s[14:15], s[12:13]
	s_cbranch_execnz .LBB159_1095
; %bb.686:
	s_or_b64 exec, exec, s[14:15]
	v_cmp_gt_u32_e64 s[12:13], 8, v15
	s_and_saveexec_b64 s[14:15], s[12:13]
	s_cbranch_execnz .LBB159_1096
.LBB159_687:
	s_or_b64 exec, exec, s[14:15]
	v_cmp_gt_u32_e64 s[12:13], 4, v15
	s_and_saveexec_b64 s[14:15], s[12:13]
	s_cbranch_execz .LBB159_689
.LBB159_688:
	v_lshlrev_b32_e32 v27, 3, v0
	v_mov_b32_e32 v29, 0
	ds_read_b64 v[27:28], v27 offset:11904
	ds_read_b64 v[29:30], v29 offset:11960
	s_waitcnt lgkmcnt(0)
	v_mul_f32_e32 v31, v30, v28
	v_mul_f32_e32 v28, v29, v28
	v_fma_f32 v29, v29, v27, -v31
	v_fmac_f32_e32 v28, v30, v27
	v_add_f32_e32 v10, v10, v29
	v_add_f32_e32 v11, v11, v28
.LBB159_689:
	s_or_b64 exec, exec, s[14:15]
.LBB159_690:
	s_or_b64 exec, exec, s[0:1]
	s_and_saveexec_b64 s[0:1], s[46:47]
; %bb.691:
	v_xor_b32_e32 v27, 0x80000000, v10
	v_xor_b32_e32 v28, 0x80000000, v11
	ds_write_b64 v20, v[27:28]
; %bb.692:
	s_or_b64 exec, exec, s[0:1]
	s_waitcnt lgkmcnt(0)
	s_barrier
	s_and_saveexec_b64 s[0:1], s[48:49]
	s_cbranch_execz .LBB159_694
; %bb.693:
	v_lshlrev_b32_e32 v27, 3, v18
	ds_read_b64 v[27:28], v27 offset:9856
	ds_read_b64 v[29:30], v20
	s_waitcnt lgkmcnt(0)
	v_mul_f32_e32 v31, v30, v28
	v_mul_f32_e32 v28, v29, v28
	v_fma_f32 v29, v29, v27, -v31
	v_fmac_f32_e32 v28, v30, v27
	v_sub_f32_e32 v10, v10, v29
	v_sub_f32_e32 v11, v11, v28
.LBB159_694:
	s_or_b64 exec, exec, s[0:1]
	s_barrier
	s_and_saveexec_b64 s[0:1], s[50:51]
; %bb.695:
	v_xor_b32_e32 v27, 0x80000000, v10
	v_xor_b32_e32 v28, 0x80000000, v11
	ds_write_b64 v20, v[27:28]
; %bb.696:
	s_or_b64 exec, exec, s[0:1]
	s_waitcnt lgkmcnt(0)
	s_barrier
	s_and_saveexec_b64 s[0:1], s[52:53]
	s_cbranch_execz .LBB159_698
; %bb.697:
	v_lshlrev_b32_e32 v27, 3, v18
	ds_read_b64 v[27:28], v27 offset:9344
	ds_read_b64 v[29:30], v20
	s_waitcnt lgkmcnt(0)
	v_mul_f32_e32 v31, v30, v28
	v_mul_f32_e32 v28, v29, v28
	v_fma_f32 v29, v29, v27, -v31
	v_fmac_f32_e32 v28, v30, v27
	v_sub_f32_e32 v10, v10, v29
	v_sub_f32_e32 v11, v11, v28
.LBB159_698:
	s_or_b64 exec, exec, s[0:1]
	s_barrier
	s_and_saveexec_b64 s[0:1], s[54:55]
; %bb.699:
	v_xor_b32_e32 v27, 0x80000000, v10
	v_xor_b32_e32 v28, 0x80000000, v11
	ds_write_b64 v20, v[27:28]
; %bb.700:
	s_or_b64 exec, exec, s[0:1]
	s_waitcnt lgkmcnt(0)
	s_barrier
	s_and_saveexec_b64 s[0:1], s[44:45]
	s_cbranch_execz .LBB159_702
; %bb.701:
	v_mov_b32_e32 v27, 0
	ds_read_b64 v[27:28], v27 offset:8832
	ds_read_b64 v[29:30], v20
	s_waitcnt lgkmcnt(0)
	v_mul_f32_e32 v31, v30, v28
	v_mul_f32_e32 v28, v29, v28
	v_fma_f32 v29, v29, v27, -v31
	v_fmac_f32_e32 v28, v30, v27
	v_sub_f32_e32 v10, v10, v29
	v_sub_f32_e32 v11, v11, v28
.LBB159_702:
	s_or_b64 exec, exec, s[0:1]
	s_barrier
	s_and_saveexec_b64 s[0:1], s[44:45]
; %bb.703:
	v_xor_b32_e32 v27, 0x80000000, v10
	v_xor_b32_e32 v28, 0x80000000, v11
	ds_write_b64 v20, v[27:28]
; %bb.704:
	s_or_b64 exec, exec, s[0:1]
	s_waitcnt lgkmcnt(0)
	s_barrier
	s_barrier
	s_and_saveexec_b64 s[0:1], s[18:19]
; %bb.705:
	v_lshlrev_b32_e32 v27, 3, v18
	v_lshl_or_b32 v27, v19, 9, v27
	ds_write_b64 v27, v[10:11] offset:10368
; %bb.706:
	s_or_b64 exec, exec, s[0:1]
	s_waitcnt lgkmcnt(0)
	s_barrier
	s_barrier
	s_and_saveexec_b64 s[0:1], s[56:57]
	s_cbranch_execz .LBB159_708
; %bb.707:
	v_lshlrev_b32_e32 v27, 9, v0
	ds_read_b64 v[10:11], v27 offset:10368
	s_movk_i32 s12, 0xfe08
	v_mad_i32_i24 v28, v0, s12, v27
	s_waitcnt lgkmcnt(0)
	ds_write_b64 v28, v[10:11] offset:8352
	ds_read_b64 v[10:11], v27 offset:10376
	s_waitcnt lgkmcnt(0)
	ds_write_b64 v28, v[10:11] offset:8864
	ds_read_b64 v[10:11], v27 offset:10384
	;; [unrolled: 3-line block ×3, first 2 shown]
	s_waitcnt lgkmcnt(0)
	ds_write_b64 v28, v[10:11] offset:9888
.LBB159_708:
	s_or_b64 exec, exec, s[0:1]
	s_waitcnt lgkmcnt(0)
	s_barrier
	s_and_saveexec_b64 s[0:1], vcc
	s_cbranch_execz .LBB159_710
; %bb.709:
	v_mov_b32_e32 v29, 0
	ds_read_b64 v[10:11], v29 offset:9872
	s_mov_b64 s[12:13], 0x3f800000
	v_mov_b32_e32 v28, s13
	v_mov_b32_e32 v27, s12
	s_movk_i32 s12, 0x2000
	ds_write_b64 v29, v[27:28] offset:9880
	v_add_u32_e64 v29, s12, 0
	s_waitcnt lgkmcnt(1)
	ds_write2_b64 v29, v[27:28], v[10:11] offset0:146 offset1:147
.LBB159_710:
	s_or_b64 exec, exec, s[0:1]
	v_mov_b32_e32 v10, 0
	v_mov_b32_e32 v11, 0
	s_waitcnt lgkmcnt(0)
	s_barrier
	buffer_wbinvl1_vol
	s_and_saveexec_b64 s[0:1], s[2:3]
	s_cbranch_execz .LBB159_714
; %bb.711:
	v_lshlrev_b32_e32 v10, 3, v12
	v_lshlrev_b32_e32 v27, 9, v13
	ds_read_b64 v[10:11], v10 offset:9344
	ds_read_b64 v[27:28], v27 offset:9360
	v_cmp_gt_u32_e64 s[12:13], 2, v15
	s_waitcnt lgkmcnt(0)
	v_mul_f32_e32 v29, v28, v11
	v_mul_f32_e32 v11, v27, v11
	v_fma_f32 v27, v27, v10, -v29
	v_fmac_f32_e32 v11, v28, v10
	v_add_f32_e32 v10, 0, v27
	v_add_f32_e32 v11, 0, v11
	s_and_saveexec_b64 s[14:15], s[12:13]
	s_cbranch_execz .LBB159_713
; %bb.712:
	v_lshlrev_b32_e32 v27, 3, v0
	v_mov_b32_e32 v29, 0
	ds_read_b64 v[27:28], v27 offset:9856
	ds_read_b64 v[29:30], v29 offset:9880
	s_waitcnt lgkmcnt(0)
	v_mul_f32_e32 v31, v30, v28
	v_mul_f32_e32 v28, v29, v28
	v_fma_f32 v29, v29, v27, -v31
	v_fmac_f32_e32 v28, v30, v27
	v_add_f32_e32 v10, v10, v29
	v_add_f32_e32 v11, v11, v28
.LBB159_713:
	s_or_b64 exec, exec, s[14:15]
.LBB159_714:
	s_or_b64 exec, exec, s[0:1]
	s_and_saveexec_b64 s[0:1], s[40:41]
; %bb.715:
	v_xor_b32_e32 v28, 0x80000000, v11
	v_xor_b32_e32 v27, 0x80000000, v10
	ds_write_b64 v14, v[27:28]
; %bb.716:
	s_or_b64 exec, exec, s[0:1]
	s_waitcnt lgkmcnt(0)
	s_barrier
	s_and_saveexec_b64 s[0:1], s[38:39]
	s_cbranch_execz .LBB159_718
; %bb.717:
	v_mov_b32_e32 v27, 0
	ds_read_b64 v[27:28], v27 offset:8832
	ds_read_b64 v[29:30], v14
	s_waitcnt lgkmcnt(0)
	v_mul_f32_e32 v31, v29, v27
	v_mul_f32_e32 v29, v29, v28
	v_fmac_f32_e32 v29, v30, v27
	v_fma_f32 v27, v30, v28, -v31
	v_add_f32_e32 v10, v10, v27
	v_sub_f32_e32 v11, v11, v29
.LBB159_718:
	s_or_b64 exec, exec, s[0:1]
	s_barrier
	s_and_saveexec_b64 s[0:1], s[38:39]
; %bb.719:
	v_xor_b32_e32 v28, 0x80000000, v11
	v_xor_b32_e32 v27, 0x80000000, v10
	ds_write_b64 v14, v[27:28]
; %bb.720:
	s_or_b64 exec, exec, s[0:1]
	s_waitcnt lgkmcnt(0)
	s_barrier
	s_barrier
	s_and_saveexec_b64 s[0:1], s[2:3]
; %bb.721:
	v_lshlrev_b32_e32 v27, 3, v12
	v_lshl_or_b32 v27, v13, 9, v27
	ds_write_b64 v27, v[10:11] offset:9344
; %bb.722:
	s_or_b64 exec, exec, s[0:1]
	s_waitcnt lgkmcnt(0)
	s_barrier
	s_barrier
	s_and_saveexec_b64 s[0:1], s[42:43]
	s_cbranch_execz .LBB159_724
; %bb.723:
	v_lshlrev_b32_e32 v27, 3, v0
	s_movk_i32 s12, 0x1f8
	v_mad_u32_u24 v28, v0, s12, v27
	ds_read_b64 v[10:11], v28 offset:9344
	s_waitcnt lgkmcnt(0)
	ds_write_b64 v27, v[10:11] offset:8336
	ds_read_b64 v[10:11], v28 offset:9352
	s_waitcnt lgkmcnt(0)
	ds_write_b64 v27, v[10:11] offset:8848
.LBB159_724:
	s_or_b64 exec, exec, s[0:1]
	s_waitcnt lgkmcnt(0)
	s_barrier
	s_and_saveexec_b64 s[0:1], vcc
	s_cbranch_execz .LBB159_726
; %bb.725:
	v_mov_b32_e32 v29, 0
	ds_read_b64 v[10:11], v29 offset:8832
	s_mov_b64 s[12:13], 0x3f800000
	v_mov_b32_e32 v28, s13
	v_mov_b32_e32 v27, s12
	s_movk_i32 s12, 0x2000
	ds_write_b64 v29, v[27:28] offset:8840
	v_add_u32_e64 v29, s12, 0
	s_waitcnt lgkmcnt(1)
	ds_write2_b64 v29, v[27:28], v[10:11] offset0:16 offset1:17
.LBB159_726:
	s_or_b64 exec, exec, s[0:1]
	v_mov_b32_e32 v11, 0
	v_mov_b32_e32 v10, 0
	s_waitcnt lgkmcnt(0)
	s_barrier
	buffer_wbinvl1_vol
	s_and_saveexec_b64 s[0:1], s[10:11]
	s_cbranch_execz .LBB159_754
; %bb.727:
	v_lshlrev_b32_e32 v27, 3, v24
	v_lshlrev_b32_e32 v28, 9, v25
	ds_read_b64 v[10:11], v27 offset:8192
	ds_read_b64 v[29:30], v28 offset:8320
	s_movk_i32 s12, 0xf0
	v_cmp_gt_u32_e64 s[12:13], s12, v15
	s_waitcnt lgkmcnt(0)
	v_mul_f32_e32 v31, v30, v11
	v_mul_f32_e32 v11, v29, v11
	v_fma_f32 v29, v29, v10, -v31
	v_fmac_f32_e32 v11, v30, v10
	v_add_f32_e32 v10, 0, v29
	v_add_f32_e32 v11, 0, v11
	s_and_saveexec_b64 s[14:15], s[12:13]
	s_cbranch_execz .LBB159_729
; %bb.728:
	ds_read_b64 v[29:30], v27 offset:8704
	ds_read_b64 v[31:32], v28 offset:8328
	s_waitcnt lgkmcnt(0)
	v_mul_f32_e32 v33, v32, v30
	v_mul_f32_e32 v30, v31, v30
	v_fma_f32 v31, v31, v29, -v33
	v_fmac_f32_e32 v30, v32, v29
	v_add_f32_e32 v10, v10, v31
	v_add_f32_e32 v11, v11, v30
.LBB159_729:
	s_or_b64 exec, exec, s[14:15]
	s_movk_i32 s12, 0xe0
	v_cmp_gt_u32_e64 s[12:13], s12, v15
	s_and_saveexec_b64 s[14:15], s[12:13]
	s_cbranch_execz .LBB159_731
; %bb.730:
	ds_read_b64 v[29:30], v27 offset:9216
	ds_read_b64 v[31:32], v28 offset:8336
	s_waitcnt lgkmcnt(0)
	v_mul_f32_e32 v33, v32, v30
	v_mul_f32_e32 v30, v31, v30
	v_fma_f32 v31, v31, v29, -v33
	v_fmac_f32_e32 v30, v32, v29
	v_add_f32_e32 v10, v10, v31
	v_add_f32_e32 v11, v11, v30
.LBB159_731:
	s_or_b64 exec, exec, s[14:15]
	s_movk_i32 s12, 0xd0
	v_cmp_gt_u32_e64 s[12:13], s12, v15
	;; [unrolled: 16-line block ×10, first 2 shown]
	s_and_saveexec_b64 s[14:15], s[12:13]
	s_cbranch_execnz .LBB159_1097
; %bb.748:
	s_or_b64 exec, exec, s[14:15]
	s_and_saveexec_b64 s[12:13], s[8:9]
	s_cbranch_execnz .LBB159_1098
.LBB159_749:
	s_or_b64 exec, exec, s[12:13]
	v_cmp_gt_u32_e64 s[12:13], 48, v15
	s_and_saveexec_b64 s[14:15], s[12:13]
	s_cbranch_execnz .LBB159_1099
.LBB159_750:
	s_or_b64 exec, exec, s[14:15]
	v_cmp_gt_u32_e64 s[12:13], 32, v15
	s_and_saveexec_b64 s[14:15], s[12:13]
	s_cbranch_execnz .LBB159_1100
.LBB159_751:
	s_or_b64 exec, exec, s[14:15]
	v_cmp_gt_u32_e64 s[12:13], 16, v15
	s_and_saveexec_b64 s[14:15], s[12:13]
	s_cbranch_execz .LBB159_753
.LBB159_752:
	v_lshlrev_b32_e32 v27, 3, v0
	v_mov_b32_e32 v29, 0
	ds_read_b64 v[27:28], v27 offset:15872
	ds_read_b64 v[29:30], v29 offset:16120
	s_waitcnt lgkmcnt(0)
	v_mul_f32_e32 v31, v30, v28
	v_mul_f32_e32 v28, v29, v28
	v_fma_f32 v29, v29, v27, -v31
	v_fmac_f32_e32 v28, v30, v27
	v_add_f32_e32 v10, v10, v29
	v_add_f32_e32 v11, v11, v28
.LBB159_753:
	s_or_b64 exec, exec, s[14:15]
.LBB159_754:
	s_or_b64 exec, exec, s[0:1]
	s_mov_b64 s[0:1], exec
	v_readlane_b32 s12, v37, 2
	v_readlane_b32 s13, v37, 3
	s_and_b64 s[12:13], s[0:1], s[12:13]
	s_mov_b64 exec, s[12:13]
; %bb.755:
	v_xor_b32_e32 v27, 0x80000000, v10
	v_xor_b32_e32 v28, 0x80000000, v11
	ds_write_b64 v26, v[27:28]
; %bb.756:
	s_or_b64 exec, exec, s[0:1]
	s_waitcnt lgkmcnt(0)
	s_barrier
	s_mov_b64 s[0:1], exec
	v_readlane_b32 s12, v37, 4
	v_readlane_b32 s13, v37, 5
	s_and_b64 s[12:13], s[0:1], s[12:13]
	s_mov_b64 exec, s[12:13]
	s_cbranch_execz .LBB159_758
; %bb.757:
	v_lshlrev_b32_e32 v27, 3, v24
	ds_read_b64 v[27:28], v27 offset:7680
	ds_read_b64 v[29:30], v26
	s_waitcnt lgkmcnt(0)
	v_mul_f32_e32 v31, v30, v28
	v_mul_f32_e32 v28, v29, v28
	v_fma_f32 v29, v29, v27, -v31
	v_fmac_f32_e32 v28, v30, v27
	v_sub_f32_e32 v10, v10, v29
	v_sub_f32_e32 v11, v11, v28
.LBB159_758:
	s_or_b64 exec, exec, s[0:1]
	s_barrier
	s_mov_b64 s[0:1], exec
	v_readlane_b32 s12, v37, 6
	v_readlane_b32 s13, v37, 7
	s_and_b64 s[12:13], s[0:1], s[12:13]
	s_mov_b64 exec, s[12:13]
; %bb.759:
	v_xor_b32_e32 v27, 0x80000000, v10
	v_xor_b32_e32 v28, 0x80000000, v11
	ds_write_b64 v26, v[27:28]
; %bb.760:
	s_or_b64 exec, exec, s[0:1]
	s_waitcnt lgkmcnt(0)
	s_barrier
	s_mov_b64 s[0:1], exec
	v_readlane_b32 s12, v37, 8
	v_readlane_b32 s13, v37, 9
	s_and_b64 s[12:13], s[0:1], s[12:13]
	s_mov_b64 exec, s[12:13]
	s_cbranch_execz .LBB159_762
; %bb.761:
	v_lshlrev_b32_e32 v27, 3, v24
	ds_read_b64 v[27:28], v27 offset:7168
	ds_read_b64 v[29:30], v26
	s_waitcnt lgkmcnt(0)
	v_mul_f32_e32 v31, v30, v28
	v_mul_f32_e32 v28, v29, v28
	v_fma_f32 v29, v29, v27, -v31
	v_fmac_f32_e32 v28, v30, v27
	v_sub_f32_e32 v10, v10, v29
	v_sub_f32_e32 v11, v11, v28
.LBB159_762:
	s_or_b64 exec, exec, s[0:1]
	s_barrier
	;; [unrolled: 33-line block ×13, first 2 shown]
	s_mov_b64 s[0:1], exec
	v_readlane_b32 s12, v37, 54
	v_readlane_b32 s13, v37, 55
	s_and_b64 s[12:13], s[0:1], s[12:13]
	s_mov_b64 exec, s[12:13]
; %bb.807:
	v_xor_b32_e32 v27, 0x80000000, v10
	v_xor_b32_e32 v28, 0x80000000, v11
	ds_write_b64 v26, v[27:28]
; %bb.808:
	s_or_b64 exec, exec, s[0:1]
	s_waitcnt lgkmcnt(0)
	s_barrier
	s_and_saveexec_b64 s[0:1], s[90:91]
	s_cbranch_execz .LBB159_810
; %bb.809:
	v_lshlrev_b32_e32 v27, 3, v24
	ds_read_b64 v[27:28], v27 offset:1024
	ds_read_b64 v[29:30], v26
	s_waitcnt lgkmcnt(0)
	v_mul_f32_e32 v31, v30, v28
	v_mul_f32_e32 v28, v29, v28
	v_fma_f32 v29, v29, v27, -v31
	v_fmac_f32_e32 v28, v30, v27
	v_sub_f32_e32 v10, v10, v29
	v_sub_f32_e32 v11, v11, v28
.LBB159_810:
	s_or_b64 exec, exec, s[0:1]
	s_barrier
	s_and_saveexec_b64 s[0:1], s[22:23]
; %bb.811:
	v_xor_b32_e32 v27, 0x80000000, v10
	v_xor_b32_e32 v28, 0x80000000, v11
	ds_write_b64 v26, v[27:28]
; %bb.812:
	s_or_b64 exec, exec, s[0:1]
	s_waitcnt lgkmcnt(0)
	s_barrier
	s_and_saveexec_b64 s[0:1], s[34:35]
	s_cbranch_execz .LBB159_814
; %bb.813:
	v_mov_b32_e32 v27, 0
	ds_read_b64 v[27:28], v27 offset:512
	ds_read_b64 v[29:30], v26
	s_waitcnt lgkmcnt(0)
	v_mul_f32_e32 v31, v30, v28
	v_mul_f32_e32 v28, v29, v28
	v_fma_f32 v29, v29, v27, -v31
	v_fmac_f32_e32 v28, v30, v27
	v_sub_f32_e32 v10, v10, v29
	v_sub_f32_e32 v11, v11, v28
.LBB159_814:
	s_or_b64 exec, exec, s[0:1]
	s_barrier
	s_and_saveexec_b64 s[0:1], s[34:35]
; %bb.815:
	v_xor_b32_e32 v27, 0x80000000, v10
	v_xor_b32_e32 v28, 0x80000000, v11
	ds_write_b64 v26, v[27:28]
; %bb.816:
	s_or_b64 exec, exec, s[0:1]
	s_waitcnt lgkmcnt(0)
	s_barrier
	s_barrier
	s_and_saveexec_b64 s[0:1], s[10:11]
; %bb.817:
	v_lshlrev_b32_e32 v24, 3, v24
	v_lshl_or_b32 v24, v25, 9, v24
	ds_write_b64 v24, v[10:11] offset:8192
; %bb.818:
	s_or_b64 exec, exec, s[0:1]
	s_waitcnt lgkmcnt(0)
	s_barrier
	s_barrier
	s_and_saveexec_b64 s[0:1], s[92:93]
	s_cbranch_execz .LBB159_820
; %bb.819:
	v_lshlrev_b32_e32 v24, 9, v0
	ds_read_b64 v[10:11], v24 offset:8192
	s_movk_i32 s10, 0xfe08
	v_mad_i32_i24 v25, v0, s10, v24
	s_waitcnt lgkmcnt(0)
	ds_write_b64 v25, v[10:11] offset:128
	ds_read_b64 v[10:11], v24 offset:8200
	s_waitcnt lgkmcnt(0)
	ds_write_b64 v25, v[10:11] offset:640
	ds_read_b64 v[10:11], v24 offset:8208
	;; [unrolled: 3-line block ×15, first 2 shown]
	s_waitcnt lgkmcnt(0)
	ds_write_b64 v25, v[10:11] offset:7808
.LBB159_820:
	s_or_b64 exec, exec, s[0:1]
	s_waitcnt lgkmcnt(0)
	s_barrier
	s_and_saveexec_b64 s[0:1], vcc
	s_cbranch_execz .LBB159_822
; %bb.821:
	v_mov_b32_e32 v26, 0
	ds_read_b64 v[10:11], v26 offset:7792
	s_mov_b64 s[10:11], 0x3f800000
	v_mov_b32_e32 v25, s11
	v_mov_b32_e32 v24, s10
	s_movk_i32 s10, 0x1800
	ds_write_b64 v26, v[24:25] offset:7800
	v_add_u32_e64 v26, s10, 0
	s_waitcnt lgkmcnt(1)
	ds_write2_b64 v26, v[24:25], v[10:11] offset0:142 offset1:143
.LBB159_822:
	s_or_b64 exec, exec, s[0:1]
	v_mov_b32_e32 v10, 0
	v_mov_b32_e32 v11, 0
	s_waitcnt lgkmcnt(0)
	s_barrier
	buffer_wbinvl1_vol
	s_and_saveexec_b64 s[0:1], s[2:3]
	s_cbranch_execz .LBB159_826
; %bb.823:
	v_lshlrev_b32_e32 v10, 3, v12
	v_lshlrev_b32_e32 v24, 9, v13
	ds_read_b64 v[10:11], v10 offset:7264
	ds_read_b64 v[24:25], v24 offset:7280
	v_cmp_gt_u32_e64 s[10:11], 2, v15
	s_waitcnt lgkmcnt(0)
	v_mul_f32_e32 v26, v25, v11
	v_mul_f32_e32 v11, v24, v11
	v_fma_f32 v24, v24, v10, -v26
	v_fmac_f32_e32 v11, v25, v10
	v_add_f32_e32 v10, 0, v24
	v_add_f32_e32 v11, 0, v11
	s_and_saveexec_b64 s[12:13], s[10:11]
	s_cbranch_execz .LBB159_825
; %bb.824:
	v_lshlrev_b32_e32 v24, 3, v0
	v_mov_b32_e32 v26, 0
	ds_read_b64 v[24:25], v24 offset:7776
	ds_read_b64 v[26:27], v26 offset:7800
	s_waitcnt lgkmcnt(0)
	v_mul_f32_e32 v28, v27, v25
	v_mul_f32_e32 v25, v26, v25
	v_fma_f32 v26, v26, v24, -v28
	v_fmac_f32_e32 v25, v27, v24
	v_add_f32_e32 v10, v10, v26
	v_add_f32_e32 v11, v11, v25
.LBB159_825:
	s_or_b64 exec, exec, s[12:13]
.LBB159_826:
	s_or_b64 exec, exec, s[0:1]
	s_and_saveexec_b64 s[0:1], s[40:41]
; %bb.827:
	v_xor_b32_e32 v25, 0x80000000, v11
	v_xor_b32_e32 v24, 0x80000000, v10
	ds_write_b64 v14, v[24:25]
; %bb.828:
	s_or_b64 exec, exec, s[0:1]
	s_waitcnt lgkmcnt(0)
	s_barrier
	s_and_saveexec_b64 s[0:1], s[38:39]
	s_cbranch_execz .LBB159_830
; %bb.829:
	v_mov_b32_e32 v24, 0
	ds_read_b64 v[24:25], v24 offset:6752
	ds_read_b64 v[26:27], v14
	s_waitcnt lgkmcnt(0)
	v_mul_f32_e32 v28, v26, v24
	v_mul_f32_e32 v26, v26, v25
	v_fmac_f32_e32 v26, v27, v24
	v_fma_f32 v24, v27, v25, -v28
	v_add_f32_e32 v10, v10, v24
	v_sub_f32_e32 v11, v11, v26
.LBB159_830:
	s_or_b64 exec, exec, s[0:1]
	s_barrier
	s_and_saveexec_b64 s[0:1], s[38:39]
; %bb.831:
	v_xor_b32_e32 v25, 0x80000000, v11
	v_xor_b32_e32 v24, 0x80000000, v10
	ds_write_b64 v14, v[24:25]
; %bb.832:
	s_or_b64 exec, exec, s[0:1]
	s_waitcnt lgkmcnt(0)
	s_barrier
	s_barrier
	s_and_saveexec_b64 s[0:1], s[2:3]
; %bb.833:
	v_lshlrev_b32_e32 v24, 3, v12
	v_lshl_or_b32 v24, v13, 9, v24
	ds_write_b64 v24, v[10:11] offset:7264
; %bb.834:
	s_or_b64 exec, exec, s[0:1]
	s_waitcnt lgkmcnt(0)
	s_barrier
	s_barrier
	s_and_saveexec_b64 s[0:1], s[42:43]
	s_cbranch_execz .LBB159_836
; %bb.835:
	v_lshlrev_b32_e32 v24, 3, v0
	s_movk_i32 s10, 0x1f8
	v_mad_u32_u24 v25, v0, s10, v24
	ds_read_b64 v[10:11], v25 offset:7264
	s_waitcnt lgkmcnt(0)
	ds_write_b64 v24, v[10:11] offset:6256
	ds_read_b64 v[10:11], v25 offset:7272
	s_waitcnt lgkmcnt(0)
	ds_write_b64 v24, v[10:11] offset:6768
.LBB159_836:
	s_or_b64 exec, exec, s[0:1]
	s_waitcnt lgkmcnt(0)
	s_barrier
	s_and_saveexec_b64 s[0:1], vcc
	s_cbranch_execz .LBB159_838
; %bb.837:
	v_mov_b32_e32 v26, 0
	ds_read_b64 v[10:11], v26 offset:6752
	s_mov_b64 s[10:11], 0x3f800000
	v_mov_b32_e32 v25, s11
	v_mov_b32_e32 v24, s10
	s_movk_i32 s10, 0x1800
	ds_write_b64 v26, v[24:25] offset:6760
	v_add_u32_e64 v26, s10, 0
	s_waitcnt lgkmcnt(1)
	ds_write2_b64 v26, v[24:25], v[10:11] offset0:12 offset1:13
.LBB159_838:
	s_or_b64 exec, exec, s[0:1]
	v_mov_b32_e32 v11, 0
	v_mov_b32_e32 v10, 0
	s_waitcnt lgkmcnt(0)
	s_barrier
	buffer_wbinvl1_vol
	s_and_saveexec_b64 s[0:1], s[18:19]
	s_cbranch_execz .LBB159_844
; %bb.839:
	v_lshlrev_b32_e32 v24, 3, v18
	v_lshlrev_b32_e32 v25, 9, v19
	ds_read_b64 v[10:11], v24 offset:6208
	ds_read_b64 v[26:27], v25 offset:6240
	v_cmp_gt_u32_e64 s[10:11], 12, v15
	s_waitcnt lgkmcnt(0)
	v_mul_f32_e32 v28, v27, v11
	v_mul_f32_e32 v11, v26, v11
	v_fma_f32 v26, v26, v10, -v28
	v_fmac_f32_e32 v11, v27, v10
	v_add_f32_e32 v10, 0, v26
	v_add_f32_e32 v11, 0, v11
	s_and_saveexec_b64 s[12:13], s[10:11]
	s_cbranch_execnz .LBB159_1101
; %bb.840:
	s_or_b64 exec, exec, s[12:13]
	v_cmp_gt_u32_e64 s[10:11], 8, v15
	s_and_saveexec_b64 s[12:13], s[10:11]
	s_cbranch_execnz .LBB159_1102
.LBB159_841:
	s_or_b64 exec, exec, s[12:13]
	v_cmp_gt_u32_e64 s[10:11], 4, v15
	s_and_saveexec_b64 s[12:13], s[10:11]
	s_cbranch_execz .LBB159_843
.LBB159_842:
	v_lshlrev_b32_e32 v24, 3, v0
	v_mov_b32_e32 v26, 0
	ds_read_b64 v[24:25], v24 offset:7744
	ds_read_b64 v[26:27], v26 offset:7800
	s_waitcnt lgkmcnt(0)
	v_mul_f32_e32 v28, v27, v25
	v_mul_f32_e32 v25, v26, v25
	v_fma_f32 v26, v26, v24, -v28
	v_fmac_f32_e32 v25, v27, v24
	v_add_f32_e32 v10, v10, v26
	v_add_f32_e32 v11, v11, v25
.LBB159_843:
	s_or_b64 exec, exec, s[12:13]
.LBB159_844:
	s_or_b64 exec, exec, s[0:1]
	s_and_saveexec_b64 s[0:1], s[46:47]
; %bb.845:
	v_xor_b32_e32 v24, 0x80000000, v10
	v_xor_b32_e32 v25, 0x80000000, v11
	ds_write_b64 v20, v[24:25]
; %bb.846:
	s_or_b64 exec, exec, s[0:1]
	s_waitcnt lgkmcnt(0)
	s_barrier
	s_and_saveexec_b64 s[0:1], s[48:49]
	s_cbranch_execz .LBB159_848
; %bb.847:
	v_lshlrev_b32_e32 v24, 3, v18
	ds_read_b64 v[24:25], v24 offset:5696
	ds_read_b64 v[26:27], v20
	s_waitcnt lgkmcnt(0)
	v_mul_f32_e32 v28, v27, v25
	v_mul_f32_e32 v25, v26, v25
	v_fma_f32 v26, v26, v24, -v28
	v_fmac_f32_e32 v25, v27, v24
	v_sub_f32_e32 v10, v10, v26
	v_sub_f32_e32 v11, v11, v25
.LBB159_848:
	s_or_b64 exec, exec, s[0:1]
	s_barrier
	s_and_saveexec_b64 s[0:1], s[50:51]
; %bb.849:
	v_xor_b32_e32 v24, 0x80000000, v10
	v_xor_b32_e32 v25, 0x80000000, v11
	ds_write_b64 v20, v[24:25]
; %bb.850:
	s_or_b64 exec, exec, s[0:1]
	s_waitcnt lgkmcnt(0)
	s_barrier
	s_and_saveexec_b64 s[0:1], s[52:53]
	s_cbranch_execz .LBB159_852
; %bb.851:
	v_lshlrev_b32_e32 v24, 3, v18
	ds_read_b64 v[24:25], v24 offset:5184
	ds_read_b64 v[26:27], v20
	s_waitcnt lgkmcnt(0)
	v_mul_f32_e32 v28, v27, v25
	v_mul_f32_e32 v25, v26, v25
	v_fma_f32 v26, v26, v24, -v28
	v_fmac_f32_e32 v25, v27, v24
	v_sub_f32_e32 v10, v10, v26
	v_sub_f32_e32 v11, v11, v25
.LBB159_852:
	s_or_b64 exec, exec, s[0:1]
	s_barrier
	s_and_saveexec_b64 s[0:1], s[54:55]
; %bb.853:
	v_xor_b32_e32 v24, 0x80000000, v10
	v_xor_b32_e32 v25, 0x80000000, v11
	ds_write_b64 v20, v[24:25]
; %bb.854:
	s_or_b64 exec, exec, s[0:1]
	s_waitcnt lgkmcnt(0)
	s_barrier
	s_and_saveexec_b64 s[0:1], s[44:45]
	s_cbranch_execz .LBB159_856
; %bb.855:
	v_mov_b32_e32 v24, 0
	ds_read_b64 v[24:25], v24 offset:4672
	ds_read_b64 v[26:27], v20
	s_waitcnt lgkmcnt(0)
	v_mul_f32_e32 v28, v27, v25
	v_mul_f32_e32 v25, v26, v25
	v_fma_f32 v26, v26, v24, -v28
	v_fmac_f32_e32 v25, v27, v24
	v_sub_f32_e32 v10, v10, v26
	v_sub_f32_e32 v11, v11, v25
.LBB159_856:
	s_or_b64 exec, exec, s[0:1]
	s_barrier
	s_and_saveexec_b64 s[0:1], s[44:45]
; %bb.857:
	v_xor_b32_e32 v24, 0x80000000, v10
	v_xor_b32_e32 v25, 0x80000000, v11
	ds_write_b64 v20, v[24:25]
; %bb.858:
	s_or_b64 exec, exec, s[0:1]
	s_waitcnt lgkmcnt(0)
	s_barrier
	s_barrier
	s_and_saveexec_b64 s[0:1], s[18:19]
; %bb.859:
	v_lshlrev_b32_e32 v24, 3, v18
	v_lshl_or_b32 v24, v19, 9, v24
	ds_write_b64 v24, v[10:11] offset:6208
; %bb.860:
	s_or_b64 exec, exec, s[0:1]
	s_waitcnt lgkmcnt(0)
	s_barrier
	s_barrier
	s_and_saveexec_b64 s[0:1], s[56:57]
	s_cbranch_execz .LBB159_862
; %bb.861:
	v_lshlrev_b32_e32 v24, 9, v0
	ds_read_b64 v[10:11], v24 offset:6208
	s_movk_i32 s10, 0xfe08
	v_mad_i32_i24 v25, v0, s10, v24
	s_waitcnt lgkmcnt(0)
	ds_write_b64 v25, v[10:11] offset:4192
	ds_read_b64 v[10:11], v24 offset:6216
	s_waitcnt lgkmcnt(0)
	ds_write_b64 v25, v[10:11] offset:4704
	ds_read_b64 v[10:11], v24 offset:6224
	s_waitcnt lgkmcnt(0)
	ds_write_b64 v25, v[10:11] offset:5216
	ds_read_b64 v[10:11], v24 offset:6232
	s_waitcnt lgkmcnt(0)
	ds_write_b64 v25, v[10:11] offset:5728
.LBB159_862:
	s_or_b64 exec, exec, s[0:1]
	s_waitcnt lgkmcnt(0)
	s_barrier
	s_and_saveexec_b64 s[0:1], vcc
	s_cbranch_execz .LBB159_864
; %bb.863:
	v_mov_b32_e32 v26, 0
	ds_read_b64 v[10:11], v26 offset:5712
	s_mov_b64 s[10:11], 0x3f800000
	v_mov_b32_e32 v25, s11
	v_mov_b32_e32 v24, s10
	s_movk_i32 s10, 0x1000
	ds_write_b64 v26, v[24:25] offset:5720
	v_add_u32_e64 v26, s10, 0
	s_waitcnt lgkmcnt(1)
	ds_write2_b64 v26, v[24:25], v[10:11] offset0:138 offset1:139
.LBB159_864:
	s_or_b64 exec, exec, s[0:1]
	v_mov_b32_e32 v10, 0
	v_mov_b32_e32 v11, 0
	s_waitcnt lgkmcnt(0)
	s_barrier
	buffer_wbinvl1_vol
	s_and_saveexec_b64 s[0:1], s[2:3]
	s_cbranch_execz .LBB159_868
; %bb.865:
	v_lshlrev_b32_e32 v10, 3, v12
	v_lshlrev_b32_e32 v24, 9, v13
	ds_read_b64 v[10:11], v10 offset:5184
	ds_read_b64 v[24:25], v24 offset:5200
	v_cmp_gt_u32_e64 s[10:11], 2, v15
	s_waitcnt lgkmcnt(0)
	v_mul_f32_e32 v26, v25, v11
	v_mul_f32_e32 v11, v24, v11
	v_fma_f32 v24, v24, v10, -v26
	v_fmac_f32_e32 v11, v25, v10
	v_add_f32_e32 v10, 0, v24
	v_add_f32_e32 v11, 0, v11
	s_and_saveexec_b64 s[12:13], s[10:11]
	s_cbranch_execz .LBB159_867
; %bb.866:
	v_lshlrev_b32_e32 v24, 3, v0
	v_mov_b32_e32 v26, 0
	ds_read_b64 v[24:25], v24 offset:5696
	ds_read_b64 v[26:27], v26 offset:5720
	s_waitcnt lgkmcnt(0)
	v_mul_f32_e32 v28, v27, v25
	v_mul_f32_e32 v25, v26, v25
	v_fma_f32 v26, v26, v24, -v28
	v_fmac_f32_e32 v25, v27, v24
	v_add_f32_e32 v10, v10, v26
	v_add_f32_e32 v11, v11, v25
.LBB159_867:
	s_or_b64 exec, exec, s[12:13]
.LBB159_868:
	s_or_b64 exec, exec, s[0:1]
	s_and_saveexec_b64 s[0:1], s[40:41]
; %bb.869:
	v_xor_b32_e32 v25, 0x80000000, v11
	v_xor_b32_e32 v24, 0x80000000, v10
	ds_write_b64 v14, v[24:25]
; %bb.870:
	s_or_b64 exec, exec, s[0:1]
	s_waitcnt lgkmcnt(0)
	s_barrier
	s_and_saveexec_b64 s[0:1], s[38:39]
	s_cbranch_execz .LBB159_872
; %bb.871:
	v_mov_b32_e32 v24, 0
	ds_read_b64 v[24:25], v24 offset:4672
	ds_read_b64 v[26:27], v14
	s_waitcnt lgkmcnt(0)
	v_mul_f32_e32 v28, v26, v24
	v_mul_f32_e32 v26, v26, v25
	v_fmac_f32_e32 v26, v27, v24
	v_fma_f32 v24, v27, v25, -v28
	v_add_f32_e32 v10, v10, v24
	v_sub_f32_e32 v11, v11, v26
.LBB159_872:
	s_or_b64 exec, exec, s[0:1]
	s_barrier
	s_and_saveexec_b64 s[0:1], s[38:39]
; %bb.873:
	v_xor_b32_e32 v25, 0x80000000, v11
	v_xor_b32_e32 v24, 0x80000000, v10
	ds_write_b64 v14, v[24:25]
; %bb.874:
	s_or_b64 exec, exec, s[0:1]
	s_waitcnt lgkmcnt(0)
	s_barrier
	s_barrier
	s_and_saveexec_b64 s[0:1], s[2:3]
; %bb.875:
	v_lshlrev_b32_e32 v24, 3, v12
	v_lshl_or_b32 v24, v13, 9, v24
	ds_write_b64 v24, v[10:11] offset:5184
; %bb.876:
	s_or_b64 exec, exec, s[0:1]
	s_waitcnt lgkmcnt(0)
	s_barrier
	s_barrier
	s_and_saveexec_b64 s[0:1], s[42:43]
	s_cbranch_execz .LBB159_878
; %bb.877:
	v_lshlrev_b32_e32 v24, 3, v0
	s_movk_i32 s10, 0x1f8
	v_mad_u32_u24 v25, v0, s10, v24
	ds_read_b64 v[10:11], v25 offset:5184
	s_waitcnt lgkmcnt(0)
	ds_write_b64 v24, v[10:11] offset:4176
	ds_read_b64 v[10:11], v25 offset:5192
	s_waitcnt lgkmcnt(0)
	ds_write_b64 v24, v[10:11] offset:4688
.LBB159_878:
	s_or_b64 exec, exec, s[0:1]
	s_waitcnt lgkmcnt(0)
	s_barrier
	s_and_saveexec_b64 s[0:1], vcc
	s_cbranch_execz .LBB159_880
; %bb.879:
	v_mov_b32_e32 v26, 0
	ds_read_b64 v[10:11], v26 offset:4672
	s_mov_b64 s[10:11], 0x3f800000
	v_mov_b32_e32 v25, s11
	v_mov_b32_e32 v24, s10
	s_movk_i32 s10, 0x1000
	ds_write_b64 v26, v[24:25] offset:4680
	v_add_u32_e64 v26, s10, 0
	s_waitcnt lgkmcnt(1)
	ds_write2_b64 v26, v[24:25], v[10:11] offset0:8 offset1:9
.LBB159_880:
	s_or_b64 exec, exec, s[0:1]
	v_mov_b32_e32 v11, 0
	v_mov_b32_e32 v10, 0
	s_waitcnt lgkmcnt(0)
	s_barrier
	buffer_wbinvl1_vol
	s_and_saveexec_b64 s[0:1], s[8:9]
	s_cbranch_execz .LBB159_890
; %bb.881:
	v_lshlrev_b32_e32 v24, 3, v21
	v_lshlrev_b32_e32 v25, 9, v22
	ds_read_b64 v[10:11], v24 offset:4096
	ds_read_b64 v[26:27], v25 offset:4160
	v_cmp_gt_u32_e64 s[10:11], 56, v15
	s_waitcnt lgkmcnt(0)
	v_mul_f32_e32 v28, v27, v11
	v_mul_f32_e32 v11, v26, v11
	v_fma_f32 v26, v26, v10, -v28
	v_fmac_f32_e32 v11, v27, v10
	v_add_f32_e32 v10, 0, v26
	v_add_f32_e32 v11, 0, v11
	s_and_saveexec_b64 s[12:13], s[10:11]
	s_cbranch_execnz .LBB159_1103
; %bb.882:
	s_or_b64 exec, exec, s[12:13]
	v_cmp_gt_u32_e64 s[10:11], 48, v15
	s_and_saveexec_b64 s[12:13], s[10:11]
	s_cbranch_execnz .LBB159_1104
.LBB159_883:
	s_or_b64 exec, exec, s[12:13]
	v_cmp_gt_u32_e64 s[10:11], 40, v15
	s_and_saveexec_b64 s[12:13], s[10:11]
	s_cbranch_execnz .LBB159_1105
.LBB159_884:
	s_or_b64 exec, exec, s[12:13]
	v_cmp_gt_u32_e64 s[10:11], 32, v15
	s_and_saveexec_b64 s[12:13], s[10:11]
	s_cbranch_execnz .LBB159_1106
.LBB159_885:
	s_or_b64 exec, exec, s[12:13]
	v_cmp_gt_u32_e64 s[10:11], 24, v15
	s_and_saveexec_b64 s[12:13], s[10:11]
	s_cbranch_execnz .LBB159_1107
.LBB159_886:
	s_or_b64 exec, exec, s[12:13]
	s_and_saveexec_b64 s[10:11], s[18:19]
	s_cbranch_execnz .LBB159_1108
.LBB159_887:
	s_or_b64 exec, exec, s[10:11]
	v_cmp_gt_u32_e64 s[10:11], 8, v15
	s_and_saveexec_b64 s[12:13], s[10:11]
	s_cbranch_execz .LBB159_889
.LBB159_888:
	v_lshlrev_b32_e32 v24, 3, v0
	v_mov_b32_e32 v26, 0
	ds_read_b64 v[24:25], v24 offset:7680
	ds_read_b64 v[26:27], v26 offset:7800
	s_waitcnt lgkmcnt(0)
	v_mul_f32_e32 v28, v27, v25
	v_mul_f32_e32 v25, v26, v25
	v_fma_f32 v26, v26, v24, -v28
	v_fmac_f32_e32 v25, v27, v24
	v_add_f32_e32 v10, v10, v26
	v_add_f32_e32 v11, v11, v25
.LBB159_889:
	s_or_b64 exec, exec, s[12:13]
.LBB159_890:
	s_or_b64 exec, exec, s[0:1]
	s_and_saveexec_b64 s[0:1], s[60:61]
; %bb.891:
	v_xor_b32_e32 v25, 0x80000000, v11
	v_xor_b32_e32 v24, 0x80000000, v10
	ds_write_b64 v23, v[24:25]
; %bb.892:
	s_or_b64 exec, exec, s[0:1]
	s_waitcnt lgkmcnt(0)
	s_barrier
	s_and_saveexec_b64 s[0:1], s[62:63]
	s_cbranch_execz .LBB159_894
; %bb.893:
	v_lshlrev_b32_e32 v24, 3, v21
	ds_read_b64 v[24:25], v24 offset:3584
	ds_read_b64 v[26:27], v23
	s_waitcnt lgkmcnt(0)
	v_mul_f32_e32 v28, v27, v25
	v_mul_f32_e32 v25, v26, v25
	v_fma_f32 v26, v26, v24, -v28
	v_fmac_f32_e32 v25, v27, v24
	v_sub_f32_e32 v10, v10, v26
	v_sub_f32_e32 v11, v11, v25
.LBB159_894:
	s_or_b64 exec, exec, s[0:1]
	s_barrier
	s_and_saveexec_b64 s[0:1], s[64:65]
; %bb.895:
	v_xor_b32_e32 v25, 0x80000000, v11
	v_xor_b32_e32 v24, 0x80000000, v10
	ds_write_b64 v23, v[24:25]
; %bb.896:
	s_or_b64 exec, exec, s[0:1]
	s_waitcnt lgkmcnt(0)
	s_barrier
	s_and_saveexec_b64 s[0:1], s[66:67]
	s_cbranch_execz .LBB159_898
; %bb.897:
	v_lshlrev_b32_e32 v24, 3, v21
	ds_read_b64 v[24:25], v24 offset:3072
	ds_read_b64 v[26:27], v23
	s_waitcnt lgkmcnt(0)
	v_mul_f32_e32 v28, v27, v25
	v_mul_f32_e32 v25, v26, v25
	v_fma_f32 v26, v26, v24, -v28
	v_fmac_f32_e32 v25, v27, v24
	v_sub_f32_e32 v10, v10, v26
	v_sub_f32_e32 v11, v11, v25
.LBB159_898:
	s_or_b64 exec, exec, s[0:1]
	s_barrier
	;; [unrolled: 25-line block ×6, first 2 shown]
	s_and_saveexec_b64 s[0:1], s[84:85]
; %bb.915:
	v_xor_b32_e32 v25, 0x80000000, v11
	v_xor_b32_e32 v24, 0x80000000, v10
	ds_write_b64 v23, v[24:25]
; %bb.916:
	s_or_b64 exec, exec, s[0:1]
	s_waitcnt lgkmcnt(0)
	s_barrier
	s_and_saveexec_b64 s[0:1], s[58:59]
	s_cbranch_execz .LBB159_918
; %bb.917:
	v_mov_b32_e32 v24, 0
	ds_read_b64 v[24:25], v24 offset:512
	ds_read_b64 v[26:27], v23
	s_waitcnt lgkmcnt(0)
	v_mul_f32_e32 v28, v27, v25
	v_mul_f32_e32 v25, v26, v25
	v_fma_f32 v26, v26, v24, -v28
	v_fmac_f32_e32 v25, v27, v24
	v_sub_f32_e32 v10, v10, v26
	v_sub_f32_e32 v11, v11, v25
.LBB159_918:
	s_or_b64 exec, exec, s[0:1]
	s_barrier
	s_and_saveexec_b64 s[0:1], s[58:59]
; %bb.919:
	v_xor_b32_e32 v25, 0x80000000, v11
	v_xor_b32_e32 v24, 0x80000000, v10
	ds_write_b64 v23, v[24:25]
; %bb.920:
	s_or_b64 exec, exec, s[0:1]
	s_waitcnt lgkmcnt(0)
	s_barrier
	s_barrier
	s_and_saveexec_b64 s[0:1], s[8:9]
; %bb.921:
	v_lshlrev_b32_e32 v21, 3, v21
	v_lshl_or_b32 v21, v22, 9, v21
	ds_write_b64 v21, v[10:11] offset:4096
; %bb.922:
	s_or_b64 exec, exec, s[0:1]
	s_waitcnt lgkmcnt(0)
	s_barrier
	s_barrier
	s_and_saveexec_b64 s[0:1], s[86:87]
	s_cbranch_execz .LBB159_924
; %bb.923:
	v_lshlrev_b32_e32 v21, 9, v0
	ds_read_b64 v[10:11], v21 offset:4096
	s_movk_i32 s8, 0xfe08
	v_mad_i32_i24 v22, v0, s8, v21
	s_waitcnt lgkmcnt(0)
	ds_write_b64 v22, v[10:11] offset:64
	ds_read_b64 v[10:11], v21 offset:4104
	s_waitcnt lgkmcnt(0)
	ds_write_b64 v22, v[10:11] offset:576
	ds_read_b64 v[10:11], v21 offset:4112
	s_waitcnt lgkmcnt(0)
	ds_write_b64 v22, v[10:11] offset:1088
	ds_read_b64 v[10:11], v21 offset:4120
	s_waitcnt lgkmcnt(0)
	ds_write_b64 v22, v[10:11] offset:1600
	ds_read_b64 v[10:11], v21 offset:4128
	s_waitcnt lgkmcnt(0)
	ds_write_b64 v22, v[10:11] offset:2112
	ds_read_b64 v[10:11], v21 offset:4136
	s_waitcnt lgkmcnt(0)
	ds_write_b64 v22, v[10:11] offset:2624
	ds_read_b64 v[10:11], v21 offset:4144
	s_waitcnt lgkmcnt(0)
	ds_write_b64 v22, v[10:11] offset:3136
	ds_read_b64 v[10:11], v21 offset:4152
	s_waitcnt lgkmcnt(0)
	ds_write_b64 v22, v[10:11] offset:3648
.LBB159_924:
	s_or_b64 exec, exec, s[0:1]
	s_waitcnt lgkmcnt(0)
	s_barrier
	s_and_saveexec_b64 s[0:1], vcc
	s_cbranch_execz .LBB159_926
; %bb.925:
	v_mov_b32_e32 v23, 0
	ds_read_b64 v[10:11], v23 offset:3632
	s_mov_b64 s[8:9], 0x3f800000
	v_mov_b32_e32 v22, s9
	v_mov_b32_e32 v21, s8
	s_movk_i32 s8, 0x800
	ds_write_b64 v23, v[21:22] offset:3640
	v_add_u32_e64 v23, s8, 0
	s_waitcnt lgkmcnt(1)
	ds_write2_b64 v23, v[21:22], v[10:11] offset0:134 offset1:135
.LBB159_926:
	s_or_b64 exec, exec, s[0:1]
	v_mov_b32_e32 v10, 0
	v_mov_b32_e32 v11, 0
	s_waitcnt lgkmcnt(0)
	s_barrier
	buffer_wbinvl1_vol
	s_and_saveexec_b64 s[0:1], s[2:3]
	s_cbranch_execz .LBB159_930
; %bb.927:
	v_lshlrev_b32_e32 v10, 3, v12
	v_lshlrev_b32_e32 v21, 9, v13
	ds_read_b64 v[10:11], v10 offset:3104
	ds_read_b64 v[21:22], v21 offset:3120
	v_cmp_gt_u32_e64 s[8:9], 2, v15
	s_waitcnt lgkmcnt(0)
	v_mul_f32_e32 v23, v22, v11
	v_mul_f32_e32 v11, v21, v11
	v_fma_f32 v21, v21, v10, -v23
	v_fmac_f32_e32 v11, v22, v10
	v_add_f32_e32 v10, 0, v21
	v_add_f32_e32 v11, 0, v11
	s_and_saveexec_b64 s[10:11], s[8:9]
	s_cbranch_execz .LBB159_929
; %bb.928:
	v_lshlrev_b32_e32 v21, 3, v0
	v_mov_b32_e32 v23, 0
	ds_read_b64 v[21:22], v21 offset:3616
	ds_read_b64 v[23:24], v23 offset:3640
	s_waitcnt lgkmcnt(0)
	v_mul_f32_e32 v25, v24, v22
	v_mul_f32_e32 v22, v23, v22
	v_fma_f32 v23, v23, v21, -v25
	v_fmac_f32_e32 v22, v24, v21
	v_add_f32_e32 v10, v10, v23
	v_add_f32_e32 v11, v11, v22
.LBB159_929:
	s_or_b64 exec, exec, s[10:11]
.LBB159_930:
	s_or_b64 exec, exec, s[0:1]
	s_and_saveexec_b64 s[0:1], s[40:41]
; %bb.931:
	v_xor_b32_e32 v22, 0x80000000, v11
	v_xor_b32_e32 v21, 0x80000000, v10
	ds_write_b64 v14, v[21:22]
; %bb.932:
	s_or_b64 exec, exec, s[0:1]
	s_waitcnt lgkmcnt(0)
	s_barrier
	s_and_saveexec_b64 s[0:1], s[38:39]
	s_cbranch_execz .LBB159_934
; %bb.933:
	v_mov_b32_e32 v21, 0
	ds_read_b64 v[21:22], v21 offset:2592
	ds_read_b64 v[23:24], v14
	s_waitcnt lgkmcnt(0)
	v_mul_f32_e32 v25, v23, v21
	v_mul_f32_e32 v23, v23, v22
	v_fmac_f32_e32 v23, v24, v21
	v_fma_f32 v21, v24, v22, -v25
	v_add_f32_e32 v10, v10, v21
	v_sub_f32_e32 v11, v11, v23
.LBB159_934:
	s_or_b64 exec, exec, s[0:1]
	s_barrier
	s_and_saveexec_b64 s[0:1], s[38:39]
; %bb.935:
	v_xor_b32_e32 v22, 0x80000000, v11
	v_xor_b32_e32 v21, 0x80000000, v10
	ds_write_b64 v14, v[21:22]
; %bb.936:
	s_or_b64 exec, exec, s[0:1]
	s_waitcnt lgkmcnt(0)
	s_barrier
	s_barrier
	s_and_saveexec_b64 s[0:1], s[2:3]
; %bb.937:
	v_lshlrev_b32_e32 v21, 3, v12
	v_lshl_or_b32 v21, v13, 9, v21
	ds_write_b64 v21, v[10:11] offset:3104
; %bb.938:
	s_or_b64 exec, exec, s[0:1]
	s_waitcnt lgkmcnt(0)
	s_barrier
	s_barrier
	s_and_saveexec_b64 s[0:1], s[42:43]
	s_cbranch_execz .LBB159_940
; %bb.939:
	v_lshlrev_b32_e32 v21, 3, v0
	s_movk_i32 s8, 0x1f8
	v_mad_u32_u24 v22, v0, s8, v21
	ds_read_b64 v[10:11], v22 offset:3104
	s_waitcnt lgkmcnt(0)
	ds_write_b64 v21, v[10:11] offset:2096
	ds_read_b64 v[10:11], v22 offset:3112
	s_waitcnt lgkmcnt(0)
	ds_write_b64 v21, v[10:11] offset:2608
.LBB159_940:
	s_or_b64 exec, exec, s[0:1]
	s_waitcnt lgkmcnt(0)
	s_barrier
	s_and_saveexec_b64 s[0:1], vcc
	s_cbranch_execz .LBB159_942
; %bb.941:
	v_mov_b32_e32 v23, 0
	ds_read_b64 v[10:11], v23 offset:2592
	s_mov_b64 s[8:9], 0x3f800000
	v_mov_b32_e32 v22, s9
	v_mov_b32_e32 v21, s8
	s_movk_i32 s8, 0x800
	ds_write_b64 v23, v[21:22] offset:2600
	v_add_u32_e64 v23, s8, 0
	s_waitcnt lgkmcnt(1)
	ds_write2_b64 v23, v[21:22], v[10:11] offset0:4 offset1:5
.LBB159_942:
	s_or_b64 exec, exec, s[0:1]
	v_mov_b32_e32 v11, 0
	v_mov_b32_e32 v10, 0
	s_waitcnt lgkmcnt(0)
	s_barrier
	buffer_wbinvl1_vol
	s_and_saveexec_b64 s[0:1], s[18:19]
	s_cbranch_execz .LBB159_948
; %bb.943:
	v_lshlrev_b32_e32 v21, 3, v18
	v_lshlrev_b32_e32 v22, 9, v19
	ds_read_b64 v[10:11], v21 offset:2048
	ds_read_b64 v[23:24], v22 offset:2080
	v_cmp_gt_u32_e64 s[8:9], 12, v15
	s_waitcnt lgkmcnt(0)
	v_mul_f32_e32 v25, v24, v11
	v_mul_f32_e32 v11, v23, v11
	v_fma_f32 v23, v23, v10, -v25
	v_fmac_f32_e32 v11, v24, v10
	v_add_f32_e32 v10, 0, v23
	v_add_f32_e32 v11, 0, v11
	s_and_saveexec_b64 s[10:11], s[8:9]
	s_cbranch_execnz .LBB159_1109
; %bb.944:
	s_or_b64 exec, exec, s[10:11]
	v_cmp_gt_u32_e64 s[8:9], 8, v15
	s_and_saveexec_b64 s[10:11], s[8:9]
	s_cbranch_execnz .LBB159_1110
.LBB159_945:
	s_or_b64 exec, exec, s[10:11]
	v_cmp_gt_u32_e64 s[8:9], 4, v15
	s_and_saveexec_b64 s[10:11], s[8:9]
	s_cbranch_execz .LBB159_947
.LBB159_946:
	v_lshlrev_b32_e32 v21, 3, v0
	v_mov_b32_e32 v23, 0
	ds_read_b64 v[21:22], v21 offset:3584
	ds_read_b64 v[23:24], v23 offset:3640
	s_waitcnt lgkmcnt(0)
	v_mul_f32_e32 v25, v24, v22
	v_mul_f32_e32 v22, v23, v22
	v_fma_f32 v23, v23, v21, -v25
	v_fmac_f32_e32 v22, v24, v21
	v_add_f32_e32 v10, v10, v23
	v_add_f32_e32 v11, v11, v22
.LBB159_947:
	s_or_b64 exec, exec, s[10:11]
.LBB159_948:
	s_or_b64 exec, exec, s[0:1]
	s_and_saveexec_b64 s[0:1], s[46:47]
; %bb.949:
	v_xor_b32_e32 v21, 0x80000000, v10
	v_xor_b32_e32 v22, 0x80000000, v11
	ds_write_b64 v20, v[21:22]
; %bb.950:
	s_or_b64 exec, exec, s[0:1]
	s_waitcnt lgkmcnt(0)
	s_barrier
	s_and_saveexec_b64 s[0:1], s[48:49]
	s_load_dwordx2 s[16:17], s[4:5], 0x28
	s_load_dword s22, s[4:5], 0x6c
	v_readlane_b32 s46, v37, 0
	v_readlane_b32 s47, v37, 1
	s_cbranch_execz .LBB159_952
; %bb.951:
	v_lshlrev_b32_e32 v21, 3, v18
	ds_read_b64 v[21:22], v21 offset:1536
	ds_read_b64 v[23:24], v20
	s_waitcnt lgkmcnt(0)
	v_mul_f32_e32 v25, v24, v22
	v_mul_f32_e32 v22, v23, v22
	v_fma_f32 v23, v23, v21, -v25
	v_fmac_f32_e32 v22, v24, v21
	v_sub_f32_e32 v10, v10, v23
	v_sub_f32_e32 v11, v11, v22
.LBB159_952:
	s_or_b64 exec, exec, s[0:1]
	s_waitcnt lgkmcnt(0)
	s_barrier
	s_and_saveexec_b64 s[0:1], s[50:51]
; %bb.953:
	v_xor_b32_e32 v21, 0x80000000, v10
	v_xor_b32_e32 v22, 0x80000000, v11
	ds_write_b64 v20, v[21:22]
; %bb.954:
	s_or_b64 exec, exec, s[0:1]
	s_waitcnt lgkmcnt(0)
	s_barrier
	s_and_saveexec_b64 s[0:1], s[52:53]
	s_cbranch_execz .LBB159_956
; %bb.955:
	v_lshlrev_b32_e32 v21, 3, v18
	ds_read_b64 v[21:22], v21 offset:1024
	ds_read_b64 v[23:24], v20
	s_waitcnt lgkmcnt(0)
	v_mul_f32_e32 v25, v24, v22
	v_mul_f32_e32 v22, v23, v22
	v_fma_f32 v23, v23, v21, -v25
	v_fmac_f32_e32 v22, v24, v21
	v_sub_f32_e32 v10, v10, v23
	v_sub_f32_e32 v11, v11, v22
.LBB159_956:
	s_or_b64 exec, exec, s[0:1]
	s_barrier
	s_and_saveexec_b64 s[0:1], s[54:55]
; %bb.957:
	v_xor_b32_e32 v21, 0x80000000, v10
	v_xor_b32_e32 v22, 0x80000000, v11
	ds_write_b64 v20, v[21:22]
; %bb.958:
	s_or_b64 exec, exec, s[0:1]
	s_waitcnt lgkmcnt(0)
	s_barrier
	s_and_saveexec_b64 s[0:1], s[44:45]
	s_cbranch_execz .LBB159_960
; %bb.959:
	v_mov_b32_e32 v21, 0
	ds_read_b64 v[21:22], v21 offset:512
	ds_read_b64 v[23:24], v20
	s_waitcnt lgkmcnt(0)
	v_mul_f32_e32 v25, v24, v22
	v_mul_f32_e32 v22, v23, v22
	v_fma_f32 v23, v23, v21, -v25
	v_fmac_f32_e32 v22, v24, v21
	v_sub_f32_e32 v10, v10, v23
	v_sub_f32_e32 v11, v11, v22
.LBB159_960:
	s_or_b64 exec, exec, s[0:1]
	s_barrier
	s_and_saveexec_b64 s[0:1], s[44:45]
; %bb.961:
	v_xor_b32_e32 v21, 0x80000000, v10
	v_xor_b32_e32 v22, 0x80000000, v11
	ds_write_b64 v20, v[21:22]
; %bb.962:
	s_or_b64 exec, exec, s[0:1]
	s_waitcnt lgkmcnt(0)
	s_barrier
	s_barrier
	s_and_saveexec_b64 s[0:1], s[18:19]
; %bb.963:
	v_lshlrev_b32_e32 v18, 3, v18
	v_lshl_or_b32 v18, v19, 9, v18
	ds_write_b64 v18, v[10:11] offset:2048
; %bb.964:
	s_or_b64 exec, exec, s[0:1]
	s_waitcnt lgkmcnt(0)
	s_barrier
	s_barrier
	s_and_saveexec_b64 s[0:1], s[56:57]
	s_cbranch_execz .LBB159_966
; %bb.965:
	v_lshlrev_b32_e32 v18, 9, v0
	ds_read_b64 v[10:11], v18 offset:2048
	s_movk_i32 s8, 0xfe08
	v_mad_i32_i24 v19, v0, s8, v18
	s_waitcnt lgkmcnt(0)
	ds_write_b64 v19, v[10:11] offset:32
	ds_read_b64 v[10:11], v18 offset:2056
	s_waitcnt lgkmcnt(0)
	ds_write_b64 v19, v[10:11] offset:544
	ds_read_b64 v[10:11], v18 offset:2064
	;; [unrolled: 3-line block ×3, first 2 shown]
	s_waitcnt lgkmcnt(0)
	ds_write_b64 v19, v[10:11] offset:1568
.LBB159_966:
	s_or_b64 exec, exec, s[0:1]
	s_waitcnt lgkmcnt(0)
	s_barrier
	s_and_saveexec_b64 s[0:1], vcc
	s_cbranch_execz .LBB159_968
; %bb.967:
	v_mov_b32_e32 v20, 0
	ds_read_b64 v[10:11], v20 offset:1552
	s_mov_b64 s[8:9], 0x3f800000
	v_mov_b32_e32 v19, s9
	v_mov_b32_e32 v18, s8
	ds_write_b64 v20, v[18:19] offset:1560
	s_waitcnt lgkmcnt(1)
	ds_write2_b64 v20, v[18:19], v[10:11] offset0:130 offset1:131
.LBB159_968:
	s_or_b64 exec, exec, s[0:1]
	v_mov_b32_e32 v10, 0
	v_mov_b32_e32 v11, 0
	s_waitcnt lgkmcnt(0)
	s_barrier
	buffer_wbinvl1_vol
	s_and_saveexec_b64 s[0:1], s[2:3]
	s_cbranch_execz .LBB159_972
; %bb.969:
	v_lshlrev_b32_e32 v10, 3, v12
	v_lshlrev_b32_e32 v18, 9, v13
	ds_read_b64 v[10:11], v10 offset:1024
	ds_read_b64 v[18:19], v18 offset:1040
	v_cmp_gt_u32_e64 s[8:9], 2, v15
	s_waitcnt lgkmcnt(0)
	v_mul_f32_e32 v20, v19, v11
	v_mul_f32_e32 v11, v18, v11
	v_fma_f32 v18, v18, v10, -v20
	v_fmac_f32_e32 v11, v19, v10
	v_add_f32_e32 v10, 0, v18
	v_add_f32_e32 v11, 0, v11
	s_and_saveexec_b64 s[10:11], s[8:9]
	s_cbranch_execz .LBB159_971
; %bb.970:
	v_lshlrev_b32_e32 v15, 3, v0
	v_mov_b32_e32 v20, 0
	ds_read_b64 v[18:19], v15 offset:1536
	ds_read_b64 v[20:21], v20 offset:1560
	s_waitcnt lgkmcnt(0)
	v_mul_f32_e32 v15, v21, v19
	v_mul_f32_e32 v19, v20, v19
	v_fma_f32 v15, v20, v18, -v15
	v_fmac_f32_e32 v19, v21, v18
	v_add_f32_e32 v10, v10, v15
	v_add_f32_e32 v11, v11, v19
.LBB159_971:
	s_or_b64 exec, exec, s[10:11]
.LBB159_972:
	s_or_b64 exec, exec, s[0:1]
	s_and_saveexec_b64 s[0:1], s[40:41]
; %bb.973:
	v_xor_b32_e32 v19, 0x80000000, v11
	v_xor_b32_e32 v18, 0x80000000, v10
	ds_write_b64 v14, v[18:19]
; %bb.974:
	s_or_b64 exec, exec, s[0:1]
	s_waitcnt lgkmcnt(0)
	s_barrier
	s_and_saveexec_b64 s[0:1], s[38:39]
	s_cbranch_execz .LBB159_976
; %bb.975:
	v_mov_b32_e32 v15, 0
	ds_read_b64 v[18:19], v15 offset:512
	ds_read_b64 v[20:21], v14
	s_waitcnt lgkmcnt(0)
	v_mul_f32_e32 v15, v20, v18
	v_mul_f32_e32 v20, v20, v19
	v_fmac_f32_e32 v20, v21, v18
	v_fma_f32 v15, v21, v19, -v15
	v_add_f32_e32 v10, v10, v15
	v_sub_f32_e32 v11, v11, v20
.LBB159_976:
	s_or_b64 exec, exec, s[0:1]
	s_barrier
	s_and_saveexec_b64 s[0:1], s[38:39]
; %bb.977:
	v_xor_b32_e32 v19, 0x80000000, v11
	v_xor_b32_e32 v18, 0x80000000, v10
	ds_write_b64 v14, v[18:19]
; %bb.978:
	s_or_b64 exec, exec, s[0:1]
	s_waitcnt lgkmcnt(0)
	s_barrier
	s_barrier
	s_and_saveexec_b64 s[0:1], s[2:3]
; %bb.979:
	v_lshlrev_b32_e32 v12, 3, v12
	v_lshl_or_b32 v12, v13, 9, v12
	ds_write_b64 v12, v[10:11] offset:1024
; %bb.980:
	s_or_b64 exec, exec, s[0:1]
	s_waitcnt lgkmcnt(0)
	s_barrier
	s_barrier
	s_and_saveexec_b64 s[0:1], s[42:43]
	s_cbranch_execz .LBB159_982
; %bb.981:
	v_lshlrev_b32_e32 v12, 3, v0
	s_movk_i32 s2, 0x1f8
	v_mad_u32_u24 v13, v0, s2, v12
	ds_read_b64 v[10:11], v13 offset:1024
	s_waitcnt lgkmcnt(0)
	ds_write_b64 v12, v[10:11] offset:16
	ds_read_b64 v[10:11], v13 offset:1032
	s_waitcnt lgkmcnt(0)
	ds_write_b64 v12, v[10:11] offset:528
.LBB159_982:
	s_or_b64 exec, exec, s[0:1]
	s_waitcnt lgkmcnt(0)
	s_barrier
	s_and_saveexec_b64 s[0:1], vcc
	s_cbranch_execz .LBB159_984
; %bb.983:
	v_mov_b32_e32 v14, 0
	ds_read_b64 v[10:11], v14 offset:512
	s_mov_b64 s[2:3], 0x3f800000
	v_mov_b32_e32 v13, s3
	v_mov_b32_e32 v12, s2
	ds_write_b64 v14, v[12:13] offset:520
	s_waitcnt lgkmcnt(1)
	ds_write2_b64 v14, v[12:13], v[10:11] offset1:1
.LBB159_984:
	s_or_b64 exec, exec, s[0:1]
.LBB159_985:
	s_load_dwordx4 s[0:3], s[4:5], 0x30
	v_cmp_le_i32_e32 vcc, s7, v0
	v_mov_b32_e32 v10, 0
	v_lshl_add_u32 v12, s6, 6, v0
	v_mov_b32_e32 v11, v10
	s_waitcnt lgkmcnt(0)
	s_lshl_b64 s[0:1], s[2:3], 3
	s_add_u32 s20, s36, s0
	s_addc_u32 s21, s37, s1
	s_and_b64 s[14:15], vcc, s[28:29]
	v_cmp_eq_u32_e64 s[2:3], 0, v1
	s_xor_b64 s[0:1], s[14:15], -1
	s_and_b64 s[8:9], s[2:3], s[0:1]
	s_barrier
	s_and_saveexec_b64 s[0:1], s[8:9]
	s_cbranch_execz .LBB159_987
; %bb.986:
	v_ashrrev_i32_e32 v13, 31, v12
	v_mul_lo_u32 v14, s27, v12
	v_mad_u64_u32 v[10:11], s[8:9], s26, v12, 0
	v_mul_lo_u32 v13, s26, v13
	v_add3_u32 v11, v11, v13, v14
	v_lshlrev_b64 v[10:11], 3, v[10:11]
	v_mov_b32_e32 v13, s21
	v_add_co_u32_e32 v10, vcc, s20, v10
	v_addc_co_u32_e32 v11, vcc, v13, v11, vcc
	flat_load_dwordx2 v[13:14], v[10:11]
	s_waitcnt vmcnt(0) lgkmcnt(0)
	v_mul_f32_e32 v10, s16, v13
	v_mul_f32_e32 v11, s16, v14
	v_fma_f32 v10, s17, v14, -v10
	v_fma_f32 v11, v13, -s17, -v11
.LBB159_987:
	s_or_b64 exec, exec, s[0:1]
	s_load_dwordx2 s[0:1], s[4:5], 0x50
	s_and_b32 s4, 0xffff, s22
	v_mad_u32_u24 v18, v1, s4, v0
	s_cmp_lt_i32 s6, 1
	v_cmp_eq_u32_e64 s[4:5], 0, v18
	s_cbranch_scc1 .LBB159_1022
; %bb.988:
	v_mad_u64_u32 v[13:14], s[8:9], s30, v12, 0
	s_mov_b32 s22, 0
	v_cmp_gt_u32_e64 s[12:13], 64, v18
	v_mad_u64_u32 v[14:15], s[8:9], s31, v12, v[14:15]
	s_lshl_b64 s[8:9], s[24:25], 2
	s_waitcnt lgkmcnt(0)
	s_add_u32 s16, s0, s8
	s_addc_u32 s17, s1, s9
	v_cmp_gt_i32_e64 s[8:9], s33, v12
	v_lshlrev_b64 v[12:13], 3, v[13:14]
	v_mov_b32_e32 v15, 0xa000
	v_mov_b32_e32 v14, s89
	v_add_co_u32_e32 v21, vcc, s88, v12
	v_lshl_add_u32 v19, v18, 3, v15
	v_lshl_or_b32 v20, v1, 3, v15
	s_add_i32 s23, s6, -1
	v_addc_co_u32_e32 v22, vcc, v14, v13, vcc
	v_mov_b32_e32 v23, -1
	v_mov_b32_e32 v13, 0
	s_branch .LBB159_991
.LBB159_989:                            ;   in Loop: Header=BB159_991 Depth=1
	ds_read_b64 v[14:15], v20 offset:384
	s_waitcnt vmcnt(0) lgkmcnt(0)
	v_mul_f32_e32 v25, v24, v15
	v_mul_f32_e32 v24, v24, v14
	v_fmac_f32_e32 v25, v12, v14
	v_fma_f32 v12, v12, v15, -v24
	v_add_f32_e32 v10, v10, v25
	v_add_f32_e32 v11, v11, v12
.LBB159_990:                            ;   in Loop: Header=BB159_991 Depth=1
	s_or_b64 exec, exec, s[18:19]
	s_add_i32 s22, s22, 1
	s_cmp_eq_u32 s22, s6
	s_cbranch_scc1 .LBB159_1022
.LBB159_991:                            ; =>This Loop Header: Depth=1
                                        ;     Child Loop BB159_993 Depth 2
	v_cmp_gt_i32_e32 vcc, s22, v23
	s_and_b64 s[18:19], s[4:5], vcc
	s_and_saveexec_b64 s[10:11], s[18:19]
	s_cbranch_execz .LBB159_994
; %bb.992:                              ;   in Loop: Header=BB159_991 Depth=1
	global_load_dword v23, v13, s[16:17]
	s_waitcnt vmcnt(0)
	v_cmp_le_i32_e32 vcc, s22, v23
	s_cbranch_vccnz .LBB159_994
.LBB159_993:                            ;   Parent Loop BB159_991 Depth=1
                                        ; =>  This Inner Loop Header: Depth=2
	buffer_wbinvl1_vol
	global_load_dword v23, v13, s[16:17]
	s_waitcnt vmcnt(0)
	v_cmp_gt_i32_e32 vcc, s22, v23
	s_cbranch_vccnz .LBB159_993
.LBB159_994:                            ;   in Loop: Header=BB159_991 Depth=1
	s_or_b64 exec, exec, s[10:11]
	s_lshl_b32 s30, s22, 6
	buffer_wbinvl1_vol
	s_barrier
	s_and_saveexec_b64 s[10:11], s[12:13]
	s_cbranch_execz .LBB159_999
; %bb.995:                              ;   in Loop: Header=BB159_991 Depth=1
	v_or_b32_e32 v12, s30, v18
	v_cmp_le_i32_e32 vcc, s33, v12
	s_and_saveexec_b64 s[18:19], vcc
	s_xor_b64 s[18:19], exec, s[18:19]
; %bb.996:                              ;   in Loop: Header=BB159_991 Depth=1
	v_mov_b32_e32 v12, v13
	ds_write_b64 v19, v[12:13]
                                        ; implicit-def: $vgpr12
; %bb.997:                              ;   in Loop: Header=BB159_991 Depth=1
	s_andn2_saveexec_b64 s[18:19], s[18:19]
	s_cbranch_execz .LBB159_999
; %bb.998:                              ;   in Loop: Header=BB159_991 Depth=1
	v_mad_u64_u32 v[14:15], s[18:19], s26, v12, 0
	v_mad_u64_u32 v[24:25], s[18:19], s27, v12, v[15:16]
	v_mov_b32_e32 v12, s21
	v_mov_b32_e32 v15, v24
	v_lshlrev_b64 v[14:15], 3, v[14:15]
	v_add_co_u32_e32 v14, vcc, s20, v14
	v_addc_co_u32_e32 v15, vcc, v12, v15, vcc
	flat_load_dwordx2 v[14:15], v[14:15]
	s_waitcnt vmcnt(0) lgkmcnt(0)
	ds_write_b64 v19, v[14:15]
.LBB159_999:                            ;   in Loop: Header=BB159_991 Depth=1
	s_or_b64 exec, exec, s[10:11]
	v_add_u32_e32 v12, s30, v1
	v_lshlrev_b64 v[14:15], 3, v[12:13]
	s_cmp_lg_u32 s22, s23
	v_add_co_u32_e32 v14, vcc, v21, v14
	s_cselect_b64 s[10:11], -1, 0
	v_addc_co_u32_e32 v15, vcc, v22, v15, vcc
	v_cmp_gt_i32_e32 vcc, s33, v12
	v_cndmask_b32_e64 v24, 0, 1, s[10:11]
	s_and_b64 s[30:31], vcc, s[8:9]
	v_cmp_ne_u32_e64 s[10:11], 1, v24
	s_waitcnt lgkmcnt(0)
	s_barrier
	s_and_saveexec_b64 s[18:19], s[30:31]
	s_cbranch_execz .LBB159_1005
; %bb.1000:                             ;   in Loop: Header=BB159_991 Depth=1
	s_and_b64 vcc, exec, s[10:11]
	v_mov_b32_e32 v24, v4
	s_cbranch_vccnz .LBB159_1002
; %bb.1001:                             ;   in Loop: Header=BB159_991 Depth=1
	flat_load_dword v24, v[14:15]
.LBB159_1002:                           ;   in Loop: Header=BB159_991 Depth=1
	s_and_b64 vcc, exec, s[10:11]
	v_mov_b32_e32 v25, v5
	s_cbranch_vccnz .LBB159_1004
; %bb.1003:                             ;   in Loop: Header=BB159_991 Depth=1
	flat_load_dword v25, v[14:15] offset:4
.LBB159_1004:                           ;   in Loop: Header=BB159_991 Depth=1
	ds_read_b64 v[26:27], v20
	s_waitcnt vmcnt(0) lgkmcnt(0)
	v_mul_f32_e32 v28, v25, v27
	v_mul_f32_e32 v25, v25, v26
	v_fmac_f32_e32 v28, v24, v26
	v_fma_f32 v24, v24, v27, -v25
	v_add_f32_e32 v10, v10, v28
	v_add_f32_e32 v11, v11, v24
.LBB159_1005:                           ;   in Loop: Header=BB159_991 Depth=1
	s_or_b64 exec, exec, s[18:19]
	v_add_u32_e32 v24, 16, v12
	v_cmp_gt_i32_e32 vcc, s33, v24
	s_and_b64 s[30:31], vcc, s[8:9]
	s_and_saveexec_b64 s[18:19], s[30:31]
	s_cbranch_execz .LBB159_1011
; %bb.1006:                             ;   in Loop: Header=BB159_991 Depth=1
	s_and_b64 vcc, exec, s[10:11]
	v_mov_b32_e32 v24, v2
	s_cbranch_vccnz .LBB159_1008
; %bb.1007:                             ;   in Loop: Header=BB159_991 Depth=1
	flat_load_dword v24, v[14:15] offset:128
.LBB159_1008:                           ;   in Loop: Header=BB159_991 Depth=1
	s_and_b64 vcc, exec, s[10:11]
	v_mov_b32_e32 v25, v3
	s_cbranch_vccnz .LBB159_1010
; %bb.1009:                             ;   in Loop: Header=BB159_991 Depth=1
	flat_load_dword v25, v[14:15] offset:132
.LBB159_1010:                           ;   in Loop: Header=BB159_991 Depth=1
	ds_read_b64 v[26:27], v20 offset:128
	s_waitcnt vmcnt(0) lgkmcnt(0)
	v_mul_f32_e32 v28, v25, v27
	v_mul_f32_e32 v25, v25, v26
	v_fmac_f32_e32 v28, v24, v26
	v_fma_f32 v24, v24, v27, -v25
	v_add_f32_e32 v10, v10, v28
	v_add_f32_e32 v11, v11, v24
.LBB159_1011:                           ;   in Loop: Header=BB159_991 Depth=1
	s_or_b64 exec, exec, s[18:19]
	v_add_u32_e32 v24, 32, v12
	v_cmp_gt_i32_e32 vcc, s33, v24
	s_and_b64 s[30:31], vcc, s[8:9]
	s_and_saveexec_b64 s[18:19], s[30:31]
	s_cbranch_execz .LBB159_1017
; %bb.1012:                             ;   in Loop: Header=BB159_991 Depth=1
	s_and_b64 vcc, exec, s[10:11]
	v_mov_b32_e32 v24, v8
	s_cbranch_vccnz .LBB159_1014
; %bb.1013:                             ;   in Loop: Header=BB159_991 Depth=1
	flat_load_dword v24, v[14:15] offset:256
.LBB159_1014:                           ;   in Loop: Header=BB159_991 Depth=1
	s_and_b64 vcc, exec, s[10:11]
	v_mov_b32_e32 v25, v9
	s_cbranch_vccnz .LBB159_1016
; %bb.1015:                             ;   in Loop: Header=BB159_991 Depth=1
	flat_load_dword v25, v[14:15] offset:260
.LBB159_1016:                           ;   in Loop: Header=BB159_991 Depth=1
	ds_read_b64 v[26:27], v20 offset:256
	s_waitcnt vmcnt(0) lgkmcnt(0)
	v_mul_f32_e32 v28, v25, v27
	v_mul_f32_e32 v25, v25, v26
	v_fmac_f32_e32 v28, v24, v26
	v_fma_f32 v24, v24, v27, -v25
	v_add_f32_e32 v10, v10, v28
	v_add_f32_e32 v11, v11, v24
.LBB159_1017:                           ;   in Loop: Header=BB159_991 Depth=1
	s_or_b64 exec, exec, s[18:19]
	v_add_u32_e32 v12, 48, v12
	v_cmp_gt_i32_e32 vcc, s33, v12
	s_and_b64 s[30:31], vcc, s[8:9]
	s_and_saveexec_b64 s[18:19], s[30:31]
	s_cbranch_execz .LBB159_990
; %bb.1018:                             ;   in Loop: Header=BB159_991 Depth=1
	s_and_b64 vcc, exec, s[10:11]
	v_mov_b32_e32 v12, v6
	s_cbranch_vccnz .LBB159_1020
; %bb.1019:                             ;   in Loop: Header=BB159_991 Depth=1
	flat_load_dword v12, v[14:15] offset:384
.LBB159_1020:                           ;   in Loop: Header=BB159_991 Depth=1
	s_and_b64 vcc, exec, s[10:11]
	v_mov_b32_e32 v24, v7
	s_cbranch_vccnz .LBB159_989
; %bb.1021:                             ;   in Loop: Header=BB159_991 Depth=1
	flat_load_dword v24, v[14:15] offset:388
	s_branch .LBB159_989
.LBB159_1022:
	s_xor_b64 s[4:5], s[28:29], -1
	v_lshlrev_b32_e32 v4, 3, v17
	ds_write_b64 v4, v[10:11] offset:32768
	s_waitcnt lgkmcnt(0)
	s_barrier
	s_and_saveexec_b64 s[8:9], s[2:3]
	s_cbranch_execz .LBB159_1024
; %bb.1023:
	v_lshlrev_b32_e32 v17, 3, v0
	ds_read2st64_b64 v[5:8], v17 offset0:65 offset1:66
	ds_read2st64_b64 v[12:15], v17 offset0:67 offset1:68
	ds_read_b64 v[2:3], v17 offset:40448
	s_waitcnt lgkmcnt(2)
	v_add_f32_e32 v5, v10, v5
	v_add_f32_e32 v6, v11, v6
	;; [unrolled: 1-line block ×4, first 2 shown]
	ds_read2st64_b64 v[5:8], v17 offset0:69 offset1:70
	s_waitcnt lgkmcnt(2)
	v_add_f32_e32 v9, v9, v12
	v_add_f32_e32 v10, v10, v13
	;; [unrolled: 1-line block ×4, first 2 shown]
	s_waitcnt lgkmcnt(0)
	v_add_f32_e32 v5, v9, v5
	ds_read2st64_b64 v[9:12], v17 offset0:71 offset1:72
	v_add_f32_e32 v6, v13, v6
	v_add_f32_e32 v13, v5, v7
	;; [unrolled: 1-line block ×3, first 2 shown]
	ds_read2st64_b64 v[5:8], v17 offset0:73 offset1:74
	s_waitcnt lgkmcnt(1)
	v_add_f32_e32 v9, v13, v9
	v_add_f32_e32 v10, v14, v10
	;; [unrolled: 1-line block ×4, first 2 shown]
	s_waitcnt lgkmcnt(0)
	v_add_f32_e32 v5, v9, v5
	ds_read2st64_b64 v[9:12], v17 offset0:75 offset1:76
	v_add_f32_e32 v6, v13, v6
	v_add_f32_e32 v13, v5, v7
	;; [unrolled: 1-line block ×3, first 2 shown]
	ds_read2st64_b64 v[5:8], v17 offset0:77 offset1:78
	s_waitcnt lgkmcnt(1)
	v_add_f32_e32 v9, v13, v9
	v_add_f32_e32 v10, v14, v10
	;; [unrolled: 1-line block ×4, first 2 shown]
	s_waitcnt lgkmcnt(0)
	v_add_f32_e32 v5, v9, v5
	v_add_f32_e32 v6, v10, v6
	;; [unrolled: 1-line block ×6, first 2 shown]
	v_cndmask_b32_e64 v10, -v2, 0, s[14:15]
	v_cndmask_b32_e64 v11, -v3, 0, s[14:15]
.LBB159_1024:
	s_or_b64 exec, exec, s[8:9]
	s_and_b64 vcc, exec, s[46:47]
	s_cbranch_vccnz .LBB159_1037
; %bb.1025:
	v_mov_b32_e32 v2, 0xa000
	v_lshl_or_b32 v5, v1, 3, v2
	s_and_saveexec_b64 s[8:9], s[2:3]
; %bb.1026:
	v_lshl_add_u32 v2, v0, 3, v5
	ds_write_b64 v2, v[10:11]
; %bb.1027:
	s_or_b64 exec, exec, s[8:9]
	v_cmp_le_u32_e32 vcc, v1, v0
	v_mov_b32_e32 v2, 0
	v_mov_b32_e32 v3, 0
	s_waitcnt lgkmcnt(0)
	s_barrier
	s_and_saveexec_b64 s[8:9], vcc
	s_cbranch_execz .LBB159_1029
; %bb.1028:
	ds_read_b64 v[2:3], v4
	ds_read_b64 v[6:7], v5
	s_waitcnt lgkmcnt(0)
	v_mul_f32_e32 v8, v7, v3
	v_mul_f32_e32 v3, v6, v3
	v_fma_f32 v6, v6, v2, -v8
	v_fmac_f32_e32 v3, v7, v2
	v_add_f32_e32 v2, 0, v6
	v_add_f32_e32 v3, 0, v3
.LBB159_1029:
	s_or_b64 exec, exec, s[8:9]
	v_add_u32_e32 v6, 16, v1
	v_cmp_ge_u32_e32 vcc, v0, v6
	s_and_saveexec_b64 s[8:9], vcc
	s_cbranch_execz .LBB159_1031
; %bb.1030:
	ds_read_b64 v[6:7], v4 offset:8192
	ds_read_b64 v[8:9], v5 offset:128
	s_waitcnt lgkmcnt(0)
	v_mul_f32_e32 v12, v9, v7
	v_mul_f32_e32 v7, v8, v7
	v_fma_f32 v8, v8, v6, -v12
	v_fmac_f32_e32 v7, v9, v6
	v_add_f32_e32 v2, v2, v8
	v_add_f32_e32 v3, v3, v7
.LBB159_1031:
	s_or_b64 exec, exec, s[8:9]
	v_add_u32_e32 v6, 32, v1
	v_cmp_ge_u32_e32 vcc, v0, v6
	s_and_saveexec_b64 s[8:9], vcc
	s_cbranch_execz .LBB159_1033
; %bb.1032:
	ds_read_b64 v[6:7], v4 offset:16384
	ds_read_b64 v[8:9], v5 offset:256
	s_waitcnt lgkmcnt(0)
	v_mul_f32_e32 v12, v9, v7
	v_mul_f32_e32 v7, v8, v7
	v_fma_f32 v8, v8, v6, -v12
	v_fmac_f32_e32 v7, v9, v6
	v_add_f32_e32 v2, v2, v8
	v_add_f32_e32 v3, v3, v7
.LBB159_1033:
	s_or_b64 exec, exec, s[8:9]
	v_add_u32_e32 v1, 48, v1
	v_add_u32_e32 v6, 0x8000, v4
	v_cmp_ge_u32_e32 vcc, v0, v1
	s_and_saveexec_b64 s[8:9], vcc
	s_cbranch_execz .LBB159_1035
; %bb.1034:
	ds_read_b64 v[7:8], v4 offset:24576
	ds_read_b64 v[4:5], v5 offset:384
	s_waitcnt lgkmcnt(0)
	v_mul_f32_e32 v1, v5, v8
	v_mul_f32_e32 v8, v4, v8
	v_fma_f32 v1, v4, v7, -v1
	v_fmac_f32_e32 v8, v5, v7
	v_add_f32_e32 v2, v2, v1
	v_add_f32_e32 v3, v3, v8
.LBB159_1035:
	s_or_b64 exec, exec, s[8:9]
	s_mov_b64 s[10:11], 0
	s_mov_b64 s[8:9], 0
	ds_write_b64 v6, v[2:3]
	s_waitcnt lgkmcnt(0)
	s_barrier
                                        ; implicit-def: $vgpr1
                                        ; implicit-def: $vgpr6
                                        ; implicit-def: $vgpr4_vgpr5
	s_and_saveexec_b64 s[12:13], s[2:3]
	s_cbranch_execz .LBB159_1050
; %bb.1036:
	v_lshlrev_b32_e32 v9, 3, v0
	ds_read2st64_b64 v[4:7], v9 offset0:65 offset1:66
	ds_read2st64_b64 v[12:15], v9 offset0:67 offset1:68
	ds_read_b64 v[19:20], v9 offset:40448
	s_mov_b64 s[8:9], exec
	s_waitcnt lgkmcnt(2)
	v_add_f32_e32 v1, v2, v4
	v_add_f32_e32 v2, v3, v5
	;; [unrolled: 1-line block ×4, first 2 shown]
	ds_read2st64_b64 v[1:4], v9 offset0:69 offset1:70
	s_waitcnt lgkmcnt(2)
	v_add_f32_e32 v5, v5, v12
	v_add_f32_e32 v6, v6, v13
	;; [unrolled: 1-line block ×4, first 2 shown]
	s_waitcnt lgkmcnt(0)
	v_add_f32_e32 v1, v5, v1
	ds_read2st64_b64 v[5:8], v9 offset0:71 offset1:72
	v_add_f32_e32 v2, v12, v2
	v_add_f32_e32 v12, v1, v3
	;; [unrolled: 1-line block ×3, first 2 shown]
	ds_read2st64_b64 v[1:4], v9 offset0:73 offset1:74
	s_waitcnt lgkmcnt(1)
	v_add_f32_e32 v5, v12, v5
	v_add_f32_e32 v6, v13, v6
	;; [unrolled: 1-line block ×4, first 2 shown]
	s_waitcnt lgkmcnt(0)
	v_add_f32_e32 v1, v5, v1
	ds_read2st64_b64 v[5:8], v9 offset0:75 offset1:76
	v_add_f32_e32 v2, v12, v2
	ds_read2st64_b64 v[12:15], v9 offset0:77 offset1:78
	v_add_f32_e32 v1, v1, v3
	v_lshl_add_u32 v3, s6, 6, v18
	v_add_f32_e32 v2, v2, v4
	s_waitcnt lgkmcnt(1)
	v_add_f32_e32 v1, v1, v5
	v_mad_u64_u32 v[4:5], s[14:15], s26, v3, 0
	v_add_f32_e32 v1, v1, v7
	v_add_f32_e32 v2, v2, v6
	s_waitcnt lgkmcnt(0)
	v_add_f32_e32 v1, v1, v12
	v_add_f32_e32 v2, v2, v8
	;; [unrolled: 1-line block ×3, first 2 shown]
	v_mov_b32_e32 v1, v5
	v_add_f32_e32 v6, v2, v13
	v_mad_u64_u32 v[2:3], s[14:15], s27, v3, v[1:2]
	v_add_f32_e32 v1, v6, v15
	v_add_f32_e32 v6, v7, v19
	;; [unrolled: 1-line block ×3, first 2 shown]
	v_mov_b32_e32 v5, v2
	s_or_b64 exec, exec, s[12:13]
	s_and_b64 vcc, exec, s[10:11]
	s_cbranch_vccnz .LBB159_1038
	s_branch .LBB159_1051
.LBB159_1037:
	s_mov_b64 s[8:9], 0
                                        ; implicit-def: $vgpr1
                                        ; implicit-def: $vgpr6
                                        ; implicit-def: $vgpr4_vgpr5
	s_cbranch_execz .LBB159_1051
.LBB159_1038:
	s_mov_b32 s12, 0
	v_mov_b32_e32 v1, 0
	v_mov_b32_e32 v2, v0
	s_branch .LBB159_1040
.LBB159_1039:                           ;   in Loop: Header=BB159_1040 Depth=1
	s_or_b64 exec, exec, s[10:11]
	s_add_i32 s12, s12, 2
	v_add_u32_e32 v16, 0x400, v16
	s_cmp_lg_u32 s12, 64
	v_add_u32_e32 v2, -2, v2
	s_barrier
	s_cbranch_scc0 .LBB159_1048
.LBB159_1040:                           ; =>This Inner Loop Header: Depth=1
	v_cmp_eq_u32_e32 vcc, 0, v2
	s_and_b64 s[14:15], s[2:3], vcc
	s_and_saveexec_b64 s[10:11], s[14:15]
; %bb.1041:                             ;   in Loop: Header=BB159_1040 Depth=1
	ds_write_b64 v1, v[10:11] offset:41472
; %bb.1042:                             ;   in Loop: Header=BB159_1040 Depth=1
	s_or_b64 exec, exec, s[10:11]
	v_cmp_lt_u32_e32 vcc, s12, v0
	s_and_b64 s[14:15], s[2:3], vcc
	s_waitcnt lgkmcnt(0)
	s_barrier
	s_and_saveexec_b64 s[10:11], s[14:15]
	s_cbranch_execz .LBB159_1044
; %bb.1043:                             ;   in Loop: Header=BB159_1040 Depth=1
	ds_read_b64 v[3:4], v16
	ds_read_b64 v[5:6], v1 offset:41472
	s_waitcnt lgkmcnt(0)
	v_mul_f32_e32 v7, v6, v4
	v_mul_f32_e32 v4, v5, v4
	v_fma_f32 v5, v5, v3, -v7
	v_fmac_f32_e32 v4, v6, v3
	v_add_f32_e32 v10, v10, v5
	v_add_f32_e32 v11, v11, v4
.LBB159_1044:                           ;   in Loop: Header=BB159_1040 Depth=1
	s_or_b64 exec, exec, s[10:11]
	s_or_b32 s13, s12, 1
	v_cmp_eq_u32_e32 vcc, s13, v0
	s_and_b64 s[14:15], s[2:3], vcc
	s_barrier
	s_and_saveexec_b64 s[10:11], s[14:15]
; %bb.1045:                             ;   in Loop: Header=BB159_1040 Depth=1
	ds_write_b64 v1, v[10:11] offset:41472
; %bb.1046:                             ;   in Loop: Header=BB159_1040 Depth=1
	s_or_b64 exec, exec, s[10:11]
	v_cmp_lt_u32_e32 vcc, s13, v0
	s_and_b64 s[14:15], s[2:3], vcc
	s_waitcnt lgkmcnt(0)
	s_barrier
	s_and_saveexec_b64 s[10:11], s[14:15]
	s_cbranch_execz .LBB159_1039
; %bb.1047:                             ;   in Loop: Header=BB159_1040 Depth=1
	ds_read_b64 v[3:4], v16 offset:512
	ds_read_b64 v[5:6], v1 offset:41472
	s_waitcnt lgkmcnt(0)
	v_mul_f32_e32 v7, v6, v4
	v_mul_f32_e32 v4, v5, v4
	v_fma_f32 v5, v5, v3, -v7
	v_fmac_f32_e32 v4, v6, v3
	v_add_f32_e32 v10, v10, v5
	v_add_f32_e32 v11, v11, v4
	s_branch .LBB159_1039
.LBB159_1048:
	s_and_b64 vcc, exec, s[4:5]
	s_cbranch_vccz .LBB159_1052
; %bb.1049:
	s_and_b64 s[4:5], s[2:3], exec
	s_cbranch_execz .LBB159_1053
	s_branch .LBB159_1054
.LBB159_1050:
	s_or_b64 exec, exec, s[12:13]
	s_and_b64 vcc, exec, s[10:11]
	s_cbranch_vccnz .LBB159_1038
.LBB159_1051:
	v_mov_b32_e32 v11, v1
	v_mov_b32_e32 v10, v6
	s_and_saveexec_b64 s[2:3], s[8:9]
	s_cbranch_execnz .LBB159_1057
	s_branch .LBB159_1058
.LBB159_1052:
	s_mov_b64 s[4:5], 0
.LBB159_1053:
	v_cmp_gt_i32_e32 vcc, s7, v0
	s_and_b64 s[2:3], s[2:3], vcc
	s_andn2_b64 s[4:5], s[4:5], exec
	s_and_b64 s[2:3], s[2:3], exec
	s_or_b64 s[4:5], s[4:5], s[2:3]
.LBB159_1054:
                                        ; implicit-def: $vgpr4_vgpr5
	s_and_saveexec_b64 s[2:3], s[4:5]
	s_cbranch_execz .LBB159_1056
; %bb.1055:
	s_lshl_b32 s4, s6, 6
	s_ashr_i32 s5, s4, 31
	v_mov_b32_e32 v0, s5
	v_add_co_u32_e32 v1, vcc, s4, v18
	v_addc_co_u32_e32 v0, vcc, 0, v0, vcc
	v_mul_lo_u32 v0, v0, s26
	v_mul_lo_u32 v2, v1, s27
	v_mad_u64_u32 v[4:5], s[4:5], v1, s26, 0
	s_or_b64 s[8:9], s[8:9], exec
	v_add3_u32 v5, v5, v2, v0
.LBB159_1056:
	s_or_b64 exec, exec, s[2:3]
	s_and_saveexec_b64 s[2:3], s[8:9]
	s_cbranch_execz .LBB159_1058
.LBB159_1057:
	v_lshlrev_b64 v[0:1], 3, v[4:5]
	v_mov_b32_e32 v2, s21
	v_add_co_u32_e32 v0, vcc, s20, v0
	v_addc_co_u32_e32 v1, vcc, v2, v1, vcc
	flat_store_dwordx2 v[0:1], v[10:11]
.LBB159_1058:
	s_or_b64 exec, exec, s[2:3]
	v_cmp_eq_u32_e32 vcc, 0, v18
	s_waitcnt vmcnt(0) lgkmcnt(0)
	buffer_wbinvl1_vol
	s_barrier
	s_and_saveexec_b64 s[2:3], vcc
	s_cbranch_execz .LBB159_1060
; %bb.1059:
	s_lshl_b64 s[4:5], s[24:25], 2
	s_add_u32 s0, s0, s4
	s_addc_u32 s1, s1, s5
	v_mov_b32_e32 v0, 0
	global_load_dword v1, v0, s[0:1]
	s_waitcnt vmcnt(0)
	v_add_u32_e32 v1, 1, v1
	global_store_dword v0, v1, s[0:1]
.LBB159_1060:
	s_or_b64 exec, exec, s[2:3]
	s_waitcnt vmcnt(0)
	buffer_wbinvl1_vol
	s_endpgm
.LBB159_1061:
	ds_read_b64 v[23:24], v21 offset:31680
	ds_read_b64 v[25:26], v22 offset:31208
	s_waitcnt lgkmcnt(0)
	v_mul_f32_e32 v27, v26, v24
	v_mul_f32_e32 v24, v25, v24
	v_fma_f32 v25, v25, v23, -v27
	v_fmac_f32_e32 v24, v26, v23
	v_add_f32_e32 v10, v10, v25
	v_add_f32_e32 v11, v11, v24
	s_or_b64 exec, exec, s[14:15]
	v_cmp_gt_u32_e64 s[10:11], 8, v15
	s_and_saveexec_b64 s[14:15], s[10:11]
	s_cbranch_execz .LBB159_85
.LBB159_1062:
	ds_read_b64 v[23:24], v21 offset:32192
	ds_read_b64 v[21:22], v22 offset:31216
	s_waitcnt lgkmcnt(0)
	v_mul_f32_e32 v25, v22, v24
	v_mul_f32_e32 v24, v21, v24
	v_fma_f32 v21, v21, v23, -v25
	v_fmac_f32_e32 v24, v22, v23
	v_add_f32_e32 v10, v10, v21
	v_add_f32_e32 v11, v11, v24
	s_or_b64 exec, exec, s[14:15]
	v_cmp_gt_u32_e64 s[10:11], 4, v15
	s_and_saveexec_b64 s[14:15], s[10:11]
	s_cbranch_execnz .LBB159_86
	s_branch .LBB159_87
.LBB159_1063:
	ds_read_b64 v[26:27], v24 offset:29568
	ds_read_b64 v[28:29], v25 offset:29128
	s_waitcnt lgkmcnt(0)
	v_mul_f32_e32 v30, v29, v27
	v_mul_f32_e32 v27, v28, v27
	v_fma_f32 v28, v28, v26, -v30
	v_fmac_f32_e32 v27, v29, v26
	v_add_f32_e32 v10, v10, v28
	v_add_f32_e32 v11, v11, v27
	s_or_b64 exec, exec, s[16:17]
	v_cmp_gt_u32_e64 s[14:15], 48, v15
	s_and_saveexec_b64 s[16:17], s[14:15]
	s_cbranch_execz .LBB159_127
.LBB159_1064:
	ds_read_b64 v[26:27], v24 offset:30080
	ds_read_b64 v[28:29], v25 offset:29136
	s_waitcnt lgkmcnt(0)
	v_mul_f32_e32 v30, v29, v27
	v_mul_f32_e32 v27, v28, v27
	v_fma_f32 v28, v28, v26, -v30
	v_fmac_f32_e32 v27, v29, v26
	v_add_f32_e32 v10, v10, v28
	v_add_f32_e32 v11, v11, v27
	s_or_b64 exec, exec, s[16:17]
	v_cmp_gt_u32_e64 s[14:15], 40, v15
	s_and_saveexec_b64 s[16:17], s[14:15]
	s_cbranch_execz .LBB159_128
.LBB159_1065:
	ds_read_b64 v[26:27], v24 offset:30592
	ds_read_b64 v[28:29], v25 offset:29144
	s_waitcnt lgkmcnt(0)
	v_mul_f32_e32 v30, v29, v27
	v_mul_f32_e32 v27, v28, v27
	v_fma_f32 v28, v28, v26, -v30
	v_fmac_f32_e32 v27, v29, v26
	v_add_f32_e32 v10, v10, v28
	v_add_f32_e32 v11, v11, v27
	s_or_b64 exec, exec, s[16:17]
	v_cmp_gt_u32_e64 s[14:15], 32, v15
	s_and_saveexec_b64 s[16:17], s[14:15]
	s_cbranch_execz .LBB159_129
.LBB159_1066:
	ds_read_b64 v[26:27], v24 offset:31104
	ds_read_b64 v[28:29], v25 offset:29152
	s_waitcnt lgkmcnt(0)
	v_mul_f32_e32 v30, v29, v27
	v_mul_f32_e32 v27, v28, v27
	v_fma_f32 v28, v28, v26, -v30
	v_fmac_f32_e32 v27, v29, v26
	v_add_f32_e32 v10, v10, v28
	v_add_f32_e32 v11, v11, v27
	s_or_b64 exec, exec, s[16:17]
	v_cmp_gt_u32_e64 s[14:15], 24, v15
	s_and_saveexec_b64 s[16:17], s[14:15]
	s_cbranch_execz .LBB159_130
.LBB159_1067:
	ds_read_b64 v[26:27], v24 offset:31616
	ds_read_b64 v[28:29], v25 offset:29160
	s_waitcnt lgkmcnt(0)
	v_mul_f32_e32 v30, v29, v27
	v_mul_f32_e32 v27, v28, v27
	v_fma_f32 v28, v28, v26, -v30
	v_fmac_f32_e32 v27, v29, v26
	v_add_f32_e32 v10, v10, v28
	v_add_f32_e32 v11, v11, v27
	s_or_b64 exec, exec, s[16:17]
	s_and_saveexec_b64 s[14:15], s[18:19]
	s_cbranch_execz .LBB159_131
.LBB159_1068:
	ds_read_b64 v[26:27], v24 offset:32128
	ds_read_b64 v[24:25], v25 offset:29168
	s_waitcnt lgkmcnt(0)
	v_mul_f32_e32 v28, v25, v27
	v_mul_f32_e32 v27, v24, v27
	v_fma_f32 v24, v24, v26, -v28
	v_fmac_f32_e32 v27, v25, v26
	v_add_f32_e32 v10, v10, v24
	v_add_f32_e32 v11, v11, v27
	s_or_b64 exec, exec, s[14:15]
	v_cmp_gt_u32_e64 s[14:15], 8, v15
	s_and_saveexec_b64 s[16:17], s[14:15]
	s_cbranch_execnz .LBB159_132
	s_branch .LBB159_133
.LBB159_1069:
	ds_read_b64 v[26:27], v24 offset:27520
	ds_read_b64 v[28:29], v25 offset:27048
	s_waitcnt lgkmcnt(0)
	v_mul_f32_e32 v30, v29, v27
	v_mul_f32_e32 v27, v28, v27
	v_fma_f32 v28, v28, v26, -v30
	v_fmac_f32_e32 v27, v29, v26
	v_add_f32_e32 v10, v10, v28
	v_add_f32_e32 v11, v11, v27
	s_or_b64 exec, exec, s[14:15]
	v_cmp_gt_u32_e64 s[10:11], 8, v15
	s_and_saveexec_b64 s[14:15], s[10:11]
	s_cbranch_execz .LBB159_189
.LBB159_1070:
	ds_read_b64 v[26:27], v24 offset:28032
	ds_read_b64 v[24:25], v25 offset:27056
	s_waitcnt lgkmcnt(0)
	v_mul_f32_e32 v28, v25, v27
	v_mul_f32_e32 v27, v24, v27
	v_fma_f32 v24, v24, v26, -v28
	v_fmac_f32_e32 v27, v25, v26
	v_add_f32_e32 v10, v10, v24
	v_add_f32_e32 v11, v11, v27
	s_or_b64 exec, exec, s[14:15]
	v_cmp_gt_u32_e64 s[10:11], 4, v15
	s_and_saveexec_b64 s[14:15], s[10:11]
	s_cbranch_execnz .LBB159_190
	s_branch .LBB159_191
.LBB159_1071:
	ds_read_b64 v[29:30], v27 offset:30464
	ds_read_b64 v[31:32], v28 offset:25048
	s_waitcnt lgkmcnt(0)
	v_mul_f32_e32 v33, v32, v30
	v_mul_f32_e32 v30, v31, v30
	v_fma_f32 v31, v31, v29, -v33
	v_fmac_f32_e32 v30, v32, v29
	v_add_f32_e32 v10, v10, v31
	v_add_f32_e32 v11, v11, v30
	s_or_b64 exec, exec, s[20:21]
	s_and_saveexec_b64 s[16:17], s[8:9]
	s_cbranch_execz .LBB159_251
.LBB159_1072:
	ds_read_b64 v[29:30], v27 offset:30976
	ds_read_b64 v[31:32], v28 offset:25056
	s_waitcnt lgkmcnt(0)
	v_mul_f32_e32 v33, v32, v30
	v_mul_f32_e32 v30, v31, v30
	v_fma_f32 v31, v31, v29, -v33
	v_fmac_f32_e32 v30, v32, v29
	v_add_f32_e32 v10, v10, v31
	v_add_f32_e32 v11, v11, v30
	s_or_b64 exec, exec, s[16:17]
	v_cmp_gt_u32_e64 s[16:17], 48, v15
	s_and_saveexec_b64 s[20:21], s[16:17]
	s_cbranch_execz .LBB159_252
.LBB159_1073:
	ds_read_b64 v[29:30], v27 offset:31488
	ds_read_b64 v[31:32], v28 offset:25064
	s_waitcnt lgkmcnt(0)
	v_mul_f32_e32 v33, v32, v30
	v_mul_f32_e32 v30, v31, v30
	v_fma_f32 v31, v31, v29, -v33
	v_fmac_f32_e32 v30, v32, v29
	v_add_f32_e32 v10, v10, v31
	v_add_f32_e32 v11, v11, v30
	s_or_b64 exec, exec, s[20:21]
	v_cmp_gt_u32_e64 s[16:17], 32, v15
	s_and_saveexec_b64 s[20:21], s[16:17]
	s_cbranch_execz .LBB159_253
.LBB159_1074:
	ds_read_b64 v[29:30], v27 offset:32000
	ds_read_b64 v[27:28], v28 offset:25072
	s_waitcnt lgkmcnt(0)
	v_mul_f32_e32 v31, v28, v30
	v_mul_f32_e32 v30, v27, v30
	v_fma_f32 v27, v27, v29, -v31
	v_fmac_f32_e32 v30, v28, v29
	v_add_f32_e32 v10, v10, v27
	v_add_f32_e32 v11, v11, v30
	s_or_b64 exec, exec, s[20:21]
	v_cmp_gt_u32_e64 s[16:17], 16, v15
	s_and_saveexec_b64 s[20:21], s[16:17]
	s_cbranch_execnz .LBB159_254
	s_branch .LBB159_255
.LBB159_1075:
	ds_read_b64 v[29:30], v27 offset:23360
	ds_read_b64 v[31:32], v28 offset:22888
	s_waitcnt lgkmcnt(0)
	v_mul_f32_e32 v33, v32, v30
	v_mul_f32_e32 v30, v31, v30
	v_fma_f32 v31, v31, v29, -v33
	v_fmac_f32_e32 v30, v32, v29
	v_add_f32_e32 v10, v10, v31
	v_add_f32_e32 v11, v11, v30
	s_or_b64 exec, exec, s[16:17]
	v_cmp_gt_u32_e64 s[14:15], 8, v15
	s_and_saveexec_b64 s[16:17], s[14:15]
	s_cbranch_execz .LBB159_343
.LBB159_1076:
	ds_read_b64 v[29:30], v27 offset:23872
	ds_read_b64 v[27:28], v28 offset:22896
	s_waitcnt lgkmcnt(0)
	v_mul_f32_e32 v31, v28, v30
	v_mul_f32_e32 v30, v27, v30
	v_fma_f32 v27, v27, v29, -v31
	v_fmac_f32_e32 v30, v28, v29
	v_add_f32_e32 v10, v10, v27
	v_add_f32_e32 v11, v11, v30
	s_or_b64 exec, exec, s[16:17]
	v_cmp_gt_u32_e64 s[14:15], 4, v15
	s_and_saveexec_b64 s[16:17], s[14:15]
	s_cbranch_execnz .LBB159_344
	s_branch .LBB159_345
.LBB159_1077:
	ds_read_b64 v[29:30], v27 offset:21248
	ds_read_b64 v[31:32], v28 offset:20808
	s_waitcnt lgkmcnt(0)
	v_mul_f32_e32 v33, v32, v30
	v_mul_f32_e32 v30, v31, v30
	v_fma_f32 v31, v31, v29, -v33
	v_fmac_f32_e32 v30, v32, v29
	v_add_f32_e32 v10, v10, v31
	v_add_f32_e32 v11, v11, v30
	s_or_b64 exec, exec, s[16:17]
	v_cmp_gt_u32_e64 s[14:15], 48, v15
	s_and_saveexec_b64 s[16:17], s[14:15]
	s_cbranch_execz .LBB159_385
.LBB159_1078:
	ds_read_b64 v[29:30], v27 offset:21760
	ds_read_b64 v[31:32], v28 offset:20816
	s_waitcnt lgkmcnt(0)
	v_mul_f32_e32 v33, v32, v30
	v_mul_f32_e32 v30, v31, v30
	v_fma_f32 v31, v31, v29, -v33
	v_fmac_f32_e32 v30, v32, v29
	v_add_f32_e32 v10, v10, v31
	v_add_f32_e32 v11, v11, v30
	s_or_b64 exec, exec, s[16:17]
	v_cmp_gt_u32_e64 s[14:15], 40, v15
	s_and_saveexec_b64 s[16:17], s[14:15]
	s_cbranch_execz .LBB159_386
.LBB159_1079:
	ds_read_b64 v[29:30], v27 offset:22272
	ds_read_b64 v[31:32], v28 offset:20824
	s_waitcnt lgkmcnt(0)
	v_mul_f32_e32 v33, v32, v30
	v_mul_f32_e32 v30, v31, v30
	v_fma_f32 v31, v31, v29, -v33
	v_fmac_f32_e32 v30, v32, v29
	v_add_f32_e32 v10, v10, v31
	v_add_f32_e32 v11, v11, v30
	s_or_b64 exec, exec, s[16:17]
	v_cmp_gt_u32_e64 s[14:15], 32, v15
	s_and_saveexec_b64 s[16:17], s[14:15]
	s_cbranch_execz .LBB159_387
.LBB159_1080:
	ds_read_b64 v[29:30], v27 offset:22784
	ds_read_b64 v[31:32], v28 offset:20832
	s_waitcnt lgkmcnt(0)
	v_mul_f32_e32 v33, v32, v30
	v_mul_f32_e32 v30, v31, v30
	v_fma_f32 v31, v31, v29, -v33
	v_fmac_f32_e32 v30, v32, v29
	v_add_f32_e32 v10, v10, v31
	v_add_f32_e32 v11, v11, v30
	s_or_b64 exec, exec, s[16:17]
	v_cmp_gt_u32_e64 s[14:15], 24, v15
	s_and_saveexec_b64 s[16:17], s[14:15]
	s_cbranch_execz .LBB159_388
.LBB159_1081:
	ds_read_b64 v[29:30], v27 offset:23296
	ds_read_b64 v[31:32], v28 offset:20840
	s_waitcnt lgkmcnt(0)
	v_mul_f32_e32 v33, v32, v30
	v_mul_f32_e32 v30, v31, v30
	v_fma_f32 v31, v31, v29, -v33
	v_fmac_f32_e32 v30, v32, v29
	v_add_f32_e32 v10, v10, v31
	v_add_f32_e32 v11, v11, v30
	s_or_b64 exec, exec, s[16:17]
	s_and_saveexec_b64 s[14:15], s[18:19]
	s_cbranch_execz .LBB159_389
.LBB159_1082:
	ds_read_b64 v[29:30], v27 offset:23808
	ds_read_b64 v[27:28], v28 offset:20848
	s_waitcnt lgkmcnt(0)
	v_mul_f32_e32 v31, v28, v30
	v_mul_f32_e32 v30, v27, v30
	v_fma_f32 v27, v27, v29, -v31
	v_fmac_f32_e32 v30, v28, v29
	v_add_f32_e32 v10, v10, v27
	v_add_f32_e32 v11, v11, v30
	s_or_b64 exec, exec, s[14:15]
	v_cmp_gt_u32_e64 s[14:15], 8, v15
	s_and_saveexec_b64 s[16:17], s[14:15]
	s_cbranch_execnz .LBB159_390
	s_branch .LBB159_391
.LBB159_1083:
	ds_read_b64 v[29:30], v27 offset:19200
	ds_read_b64 v[31:32], v28 offset:18728
	s_waitcnt lgkmcnt(0)
	v_mul_f32_e32 v33, v32, v30
	v_mul_f32_e32 v30, v31, v30
	v_fma_f32 v31, v31, v29, -v33
	v_fmac_f32_e32 v30, v32, v29
	v_add_f32_e32 v10, v10, v31
	v_add_f32_e32 v11, v11, v30
	s_or_b64 exec, exec, s[16:17]
	v_cmp_gt_u32_e64 s[14:15], 8, v15
	s_and_saveexec_b64 s[16:17], s[14:15]
	s_cbranch_execz .LBB159_447
.LBB159_1084:
	ds_read_b64 v[29:30], v27 offset:19712
	ds_read_b64 v[27:28], v28 offset:18736
	s_waitcnt lgkmcnt(0)
	v_mul_f32_e32 v31, v28, v30
	v_mul_f32_e32 v30, v27, v30
	v_fma_f32 v27, v27, v29, -v31
	v_fmac_f32_e32 v30, v28, v29
	v_add_f32_e32 v10, v10, v27
	v_add_f32_e32 v11, v11, v30
	s_or_b64 exec, exec, s[16:17]
	v_cmp_gt_u32_e64 s[14:15], 4, v15
	s_and_saveexec_b64 s[16:17], s[14:15]
	s_cbranch_execnz .LBB159_448
	s_branch .LBB159_449
.LBB159_1085:
	ds_read_b64 v[32:33], v30 offset:31232
	ds_read_b64 v[34:35], v31 offset:16872
	s_waitcnt lgkmcnt(0)
	v_mul_f32_e32 v36, v35, v33
	v_mul_f32_e32 v33, v34, v33
	v_fma_f32 v34, v34, v32, -v36
	v_fmac_f32_e32 v33, v35, v32
	v_add_f32_e32 v10, v10, v34
	v_add_f32_e32 v11, v11, v33
	s_or_b64 exec, exec, s[94:95]
	s_and_saveexec_b64 s[20:21], s[8:9]
	s_cbranch_execz .LBB159_545
.LBB159_1086:
	ds_read_b64 v[32:33], v30 offset:31744
	ds_read_b64 v[34:35], v31 offset:16880
	s_waitcnt lgkmcnt(0)
	v_mul_f32_e32 v36, v35, v33
	v_mul_f32_e32 v33, v34, v33
	v_fma_f32 v34, v34, v32, -v36
	v_fmac_f32_e32 v33, v35, v32
	v_add_f32_e32 v10, v10, v34
	v_add_f32_e32 v11, v11, v33
	s_or_b64 exec, exec, s[20:21]
	v_cmp_gt_u32_e64 s[20:21], 32, v15
	s_and_saveexec_b64 s[94:95], s[20:21]
	s_cbranch_execnz .LBB159_546
	s_branch .LBB159_547
.LBB159_1087:
	ds_read_b64 v[29:30], v27 offset:15040
	ds_read_b64 v[31:32], v28 offset:14568
	s_waitcnt lgkmcnt(0)
	v_mul_f32_e32 v33, v32, v30
	v_mul_f32_e32 v30, v31, v30
	v_fma_f32 v31, v31, v29, -v33
	v_fmac_f32_e32 v30, v32, v29
	v_add_f32_e32 v10, v10, v31
	v_add_f32_e32 v11, v11, v30
	s_or_b64 exec, exec, s[14:15]
	v_cmp_gt_u32_e64 s[12:13], 8, v15
	s_and_saveexec_b64 s[14:15], s[12:13]
	s_cbranch_execz .LBB159_583
.LBB159_1088:
	ds_read_b64 v[29:30], v27 offset:15552
	ds_read_b64 v[27:28], v28 offset:14576
	s_waitcnt lgkmcnt(0)
	v_mul_f32_e32 v31, v28, v30
	v_mul_f32_e32 v30, v27, v30
	v_fma_f32 v27, v27, v29, -v31
	v_fmac_f32_e32 v30, v28, v29
	v_add_f32_e32 v10, v10, v27
	v_add_f32_e32 v11, v11, v30
	s_or_b64 exec, exec, s[14:15]
	v_cmp_gt_u32_e64 s[12:13], 4, v15
	s_and_saveexec_b64 s[14:15], s[12:13]
	s_cbranch_execnz .LBB159_584
	s_branch .LBB159_585
.LBB159_1089:
	ds_read_b64 v[29:30], v27 offset:12928
	ds_read_b64 v[31:32], v28 offset:12488
	s_waitcnt lgkmcnt(0)
	v_mul_f32_e32 v33, v32, v30
	v_mul_f32_e32 v30, v31, v30
	v_fma_f32 v31, v31, v29, -v33
	v_fmac_f32_e32 v30, v32, v29
	v_add_f32_e32 v10, v10, v31
	v_add_f32_e32 v11, v11, v30
	s_or_b64 exec, exec, s[14:15]
	v_cmp_gt_u32_e64 s[12:13], 48, v15
	s_and_saveexec_b64 s[14:15], s[12:13]
	s_cbranch_execz .LBB159_625
.LBB159_1090:
	ds_read_b64 v[29:30], v27 offset:13440
	ds_read_b64 v[31:32], v28 offset:12496
	s_waitcnt lgkmcnt(0)
	v_mul_f32_e32 v33, v32, v30
	v_mul_f32_e32 v30, v31, v30
	v_fma_f32 v31, v31, v29, -v33
	v_fmac_f32_e32 v30, v32, v29
	v_add_f32_e32 v10, v10, v31
	v_add_f32_e32 v11, v11, v30
	s_or_b64 exec, exec, s[14:15]
	v_cmp_gt_u32_e64 s[12:13], 40, v15
	s_and_saveexec_b64 s[14:15], s[12:13]
	s_cbranch_execz .LBB159_626
.LBB159_1091:
	ds_read_b64 v[29:30], v27 offset:13952
	ds_read_b64 v[31:32], v28 offset:12504
	s_waitcnt lgkmcnt(0)
	v_mul_f32_e32 v33, v32, v30
	v_mul_f32_e32 v30, v31, v30
	v_fma_f32 v31, v31, v29, -v33
	v_fmac_f32_e32 v30, v32, v29
	v_add_f32_e32 v10, v10, v31
	v_add_f32_e32 v11, v11, v30
	s_or_b64 exec, exec, s[14:15]
	v_cmp_gt_u32_e64 s[12:13], 32, v15
	s_and_saveexec_b64 s[14:15], s[12:13]
	s_cbranch_execz .LBB159_627
.LBB159_1092:
	ds_read_b64 v[29:30], v27 offset:14464
	ds_read_b64 v[31:32], v28 offset:12512
	s_waitcnt lgkmcnt(0)
	v_mul_f32_e32 v33, v32, v30
	v_mul_f32_e32 v30, v31, v30
	v_fma_f32 v31, v31, v29, -v33
	v_fmac_f32_e32 v30, v32, v29
	v_add_f32_e32 v10, v10, v31
	v_add_f32_e32 v11, v11, v30
	s_or_b64 exec, exec, s[14:15]
	v_cmp_gt_u32_e64 s[12:13], 24, v15
	s_and_saveexec_b64 s[14:15], s[12:13]
	s_cbranch_execz .LBB159_628
.LBB159_1093:
	ds_read_b64 v[29:30], v27 offset:14976
	ds_read_b64 v[31:32], v28 offset:12520
	s_waitcnt lgkmcnt(0)
	v_mul_f32_e32 v33, v32, v30
	v_mul_f32_e32 v30, v31, v30
	v_fma_f32 v31, v31, v29, -v33
	v_fmac_f32_e32 v30, v32, v29
	v_add_f32_e32 v10, v10, v31
	v_add_f32_e32 v11, v11, v30
	s_or_b64 exec, exec, s[14:15]
	s_and_saveexec_b64 s[12:13], s[18:19]
	s_cbranch_execz .LBB159_629
.LBB159_1094:
	ds_read_b64 v[29:30], v27 offset:15488
	ds_read_b64 v[27:28], v28 offset:12528
	s_waitcnt lgkmcnt(0)
	v_mul_f32_e32 v31, v28, v30
	v_mul_f32_e32 v30, v27, v30
	v_fma_f32 v27, v27, v29, -v31
	v_fmac_f32_e32 v30, v28, v29
	v_add_f32_e32 v10, v10, v27
	v_add_f32_e32 v11, v11, v30
	s_or_b64 exec, exec, s[12:13]
	v_cmp_gt_u32_e64 s[12:13], 8, v15
	s_and_saveexec_b64 s[14:15], s[12:13]
	s_cbranch_execnz .LBB159_630
	s_branch .LBB159_631
.LBB159_1095:
	ds_read_b64 v[29:30], v27 offset:10880
	ds_read_b64 v[31:32], v28 offset:10408
	s_waitcnt lgkmcnt(0)
	v_mul_f32_e32 v33, v32, v30
	v_mul_f32_e32 v30, v31, v30
	v_fma_f32 v31, v31, v29, -v33
	v_fmac_f32_e32 v30, v32, v29
	v_add_f32_e32 v10, v10, v31
	v_add_f32_e32 v11, v11, v30
	s_or_b64 exec, exec, s[14:15]
	v_cmp_gt_u32_e64 s[12:13], 8, v15
	s_and_saveexec_b64 s[14:15], s[12:13]
	s_cbranch_execz .LBB159_687
.LBB159_1096:
	ds_read_b64 v[29:30], v27 offset:11392
	ds_read_b64 v[27:28], v28 offset:10416
	s_waitcnt lgkmcnt(0)
	v_mul_f32_e32 v31, v28, v30
	v_mul_f32_e32 v30, v27, v30
	v_fma_f32 v27, v27, v29, -v31
	v_fmac_f32_e32 v30, v28, v29
	v_add_f32_e32 v10, v10, v27
	v_add_f32_e32 v11, v11, v30
	s_or_b64 exec, exec, s[14:15]
	v_cmp_gt_u32_e64 s[12:13], 4, v15
	s_and_saveexec_b64 s[14:15], s[12:13]
	s_cbranch_execnz .LBB159_688
	s_branch .LBB159_689
.LBB159_1097:
	ds_read_b64 v[29:30], v27 offset:13824
	ds_read_b64 v[31:32], v28 offset:8408
	s_waitcnt lgkmcnt(0)
	v_mul_f32_e32 v33, v32, v30
	v_mul_f32_e32 v30, v31, v30
	v_fma_f32 v31, v31, v29, -v33
	v_fmac_f32_e32 v30, v32, v29
	v_add_f32_e32 v10, v10, v31
	v_add_f32_e32 v11, v11, v30
	s_or_b64 exec, exec, s[14:15]
	s_and_saveexec_b64 s[12:13], s[8:9]
	s_cbranch_execz .LBB159_749
.LBB159_1098:
	ds_read_b64 v[29:30], v27 offset:14336
	ds_read_b64 v[31:32], v28 offset:8416
	s_waitcnt lgkmcnt(0)
	v_mul_f32_e32 v33, v32, v30
	v_mul_f32_e32 v30, v31, v30
	v_fma_f32 v31, v31, v29, -v33
	v_fmac_f32_e32 v30, v32, v29
	v_add_f32_e32 v10, v10, v31
	v_add_f32_e32 v11, v11, v30
	s_or_b64 exec, exec, s[12:13]
	v_cmp_gt_u32_e64 s[12:13], 48, v15
	s_and_saveexec_b64 s[14:15], s[12:13]
	s_cbranch_execz .LBB159_750
.LBB159_1099:
	ds_read_b64 v[29:30], v27 offset:14848
	ds_read_b64 v[31:32], v28 offset:8424
	s_waitcnt lgkmcnt(0)
	v_mul_f32_e32 v33, v32, v30
	v_mul_f32_e32 v30, v31, v30
	v_fma_f32 v31, v31, v29, -v33
	v_fmac_f32_e32 v30, v32, v29
	v_add_f32_e32 v10, v10, v31
	v_add_f32_e32 v11, v11, v30
	s_or_b64 exec, exec, s[14:15]
	v_cmp_gt_u32_e64 s[12:13], 32, v15
	s_and_saveexec_b64 s[14:15], s[12:13]
	s_cbranch_execz .LBB159_751
.LBB159_1100:
	ds_read_b64 v[29:30], v27 offset:15360
	ds_read_b64 v[27:28], v28 offset:8432
	s_waitcnt lgkmcnt(0)
	v_mul_f32_e32 v31, v28, v30
	v_mul_f32_e32 v30, v27, v30
	v_fma_f32 v27, v27, v29, -v31
	v_fmac_f32_e32 v30, v28, v29
	v_add_f32_e32 v10, v10, v27
	v_add_f32_e32 v11, v11, v30
	s_or_b64 exec, exec, s[14:15]
	v_cmp_gt_u32_e64 s[12:13], 16, v15
	s_and_saveexec_b64 s[14:15], s[12:13]
	s_cbranch_execnz .LBB159_752
	s_branch .LBB159_753
.LBB159_1101:
	ds_read_b64 v[26:27], v24 offset:6720
	ds_read_b64 v[28:29], v25 offset:6248
	s_waitcnt lgkmcnt(0)
	v_mul_f32_e32 v30, v29, v27
	v_mul_f32_e32 v27, v28, v27
	v_fma_f32 v28, v28, v26, -v30
	v_fmac_f32_e32 v27, v29, v26
	v_add_f32_e32 v10, v10, v28
	v_add_f32_e32 v11, v11, v27
	s_or_b64 exec, exec, s[12:13]
	v_cmp_gt_u32_e64 s[10:11], 8, v15
	s_and_saveexec_b64 s[12:13], s[10:11]
	s_cbranch_execz .LBB159_841
.LBB159_1102:
	ds_read_b64 v[26:27], v24 offset:7232
	ds_read_b64 v[24:25], v25 offset:6256
	s_waitcnt lgkmcnt(0)
	v_mul_f32_e32 v28, v25, v27
	v_mul_f32_e32 v27, v24, v27
	v_fma_f32 v24, v24, v26, -v28
	v_fmac_f32_e32 v27, v25, v26
	v_add_f32_e32 v10, v10, v24
	v_add_f32_e32 v11, v11, v27
	s_or_b64 exec, exec, s[12:13]
	v_cmp_gt_u32_e64 s[10:11], 4, v15
	s_and_saveexec_b64 s[12:13], s[10:11]
	s_cbranch_execnz .LBB159_842
	s_branch .LBB159_843
.LBB159_1103:
	ds_read_b64 v[26:27], v24 offset:4608
	ds_read_b64 v[28:29], v25 offset:4168
	s_waitcnt lgkmcnt(0)
	v_mul_f32_e32 v30, v29, v27
	v_mul_f32_e32 v27, v28, v27
	v_fma_f32 v28, v28, v26, -v30
	v_fmac_f32_e32 v27, v29, v26
	v_add_f32_e32 v10, v10, v28
	v_add_f32_e32 v11, v11, v27
	s_or_b64 exec, exec, s[12:13]
	v_cmp_gt_u32_e64 s[10:11], 48, v15
	s_and_saveexec_b64 s[12:13], s[10:11]
	s_cbranch_execz .LBB159_883
.LBB159_1104:
	ds_read_b64 v[26:27], v24 offset:5120
	ds_read_b64 v[28:29], v25 offset:4176
	s_waitcnt lgkmcnt(0)
	v_mul_f32_e32 v30, v29, v27
	v_mul_f32_e32 v27, v28, v27
	v_fma_f32 v28, v28, v26, -v30
	v_fmac_f32_e32 v27, v29, v26
	v_add_f32_e32 v10, v10, v28
	v_add_f32_e32 v11, v11, v27
	s_or_b64 exec, exec, s[12:13]
	v_cmp_gt_u32_e64 s[10:11], 40, v15
	s_and_saveexec_b64 s[12:13], s[10:11]
	s_cbranch_execz .LBB159_884
.LBB159_1105:
	ds_read_b64 v[26:27], v24 offset:5632
	ds_read_b64 v[28:29], v25 offset:4184
	s_waitcnt lgkmcnt(0)
	v_mul_f32_e32 v30, v29, v27
	v_mul_f32_e32 v27, v28, v27
	v_fma_f32 v28, v28, v26, -v30
	v_fmac_f32_e32 v27, v29, v26
	v_add_f32_e32 v10, v10, v28
	v_add_f32_e32 v11, v11, v27
	s_or_b64 exec, exec, s[12:13]
	v_cmp_gt_u32_e64 s[10:11], 32, v15
	s_and_saveexec_b64 s[12:13], s[10:11]
	s_cbranch_execz .LBB159_885
.LBB159_1106:
	ds_read_b64 v[26:27], v24 offset:6144
	ds_read_b64 v[28:29], v25 offset:4192
	s_waitcnt lgkmcnt(0)
	v_mul_f32_e32 v30, v29, v27
	v_mul_f32_e32 v27, v28, v27
	v_fma_f32 v28, v28, v26, -v30
	v_fmac_f32_e32 v27, v29, v26
	v_add_f32_e32 v10, v10, v28
	v_add_f32_e32 v11, v11, v27
	s_or_b64 exec, exec, s[12:13]
	v_cmp_gt_u32_e64 s[10:11], 24, v15
	s_and_saveexec_b64 s[12:13], s[10:11]
	s_cbranch_execz .LBB159_886
.LBB159_1107:
	ds_read_b64 v[26:27], v24 offset:6656
	ds_read_b64 v[28:29], v25 offset:4200
	s_waitcnt lgkmcnt(0)
	v_mul_f32_e32 v30, v29, v27
	v_mul_f32_e32 v27, v28, v27
	v_fma_f32 v28, v28, v26, -v30
	v_fmac_f32_e32 v27, v29, v26
	v_add_f32_e32 v10, v10, v28
	v_add_f32_e32 v11, v11, v27
	s_or_b64 exec, exec, s[12:13]
	s_and_saveexec_b64 s[10:11], s[18:19]
	s_cbranch_execz .LBB159_887
.LBB159_1108:
	ds_read_b64 v[26:27], v24 offset:7168
	ds_read_b64 v[24:25], v25 offset:4208
	s_waitcnt lgkmcnt(0)
	v_mul_f32_e32 v28, v25, v27
	v_mul_f32_e32 v27, v24, v27
	v_fma_f32 v24, v24, v26, -v28
	v_fmac_f32_e32 v27, v25, v26
	v_add_f32_e32 v10, v10, v24
	v_add_f32_e32 v11, v11, v27
	s_or_b64 exec, exec, s[10:11]
	v_cmp_gt_u32_e64 s[10:11], 8, v15
	s_and_saveexec_b64 s[12:13], s[10:11]
	s_cbranch_execnz .LBB159_888
	s_branch .LBB159_889
.LBB159_1109:
	ds_read_b64 v[23:24], v21 offset:2560
	ds_read_b64 v[25:26], v22 offset:2088
	s_waitcnt lgkmcnt(0)
	v_mul_f32_e32 v27, v26, v24
	v_mul_f32_e32 v24, v25, v24
	v_fma_f32 v25, v25, v23, -v27
	v_fmac_f32_e32 v24, v26, v23
	v_add_f32_e32 v10, v10, v25
	v_add_f32_e32 v11, v11, v24
	s_or_b64 exec, exec, s[10:11]
	v_cmp_gt_u32_e64 s[8:9], 8, v15
	s_and_saveexec_b64 s[10:11], s[8:9]
	s_cbranch_execz .LBB159_945
.LBB159_1110:
	ds_read_b64 v[23:24], v21 offset:3072
	ds_read_b64 v[21:22], v22 offset:2096
	s_waitcnt lgkmcnt(0)
	v_mul_f32_e32 v25, v22, v24
	v_mul_f32_e32 v24, v21, v24
	v_fma_f32 v21, v21, v23, -v25
	v_fmac_f32_e32 v24, v22, v23
	v_add_f32_e32 v10, v10, v21
	v_add_f32_e32 v11, v11, v24
	s_or_b64 exec, exec, s[10:11]
	v_cmp_gt_u32_e64 s[8:9], 4, v15
	s_and_saveexec_b64 s[10:11], s[8:9]
	s_cbranch_execnz .LBB159_946
	s_branch .LBB159_947
	.section	.rodata,"a",@progbits
	.p2align	6, 0x0
	.amdhsa_kernel _ZL19rocblas_trsv_deviceILi64ELi16ELb0ELb1ELb1ELb1E19rocblas_complex_numIfES1_PKPKS1_PKPS1_EviT7_lllT6_T8_lllPii
		.amdhsa_group_segment_fixed_size 41480
		.amdhsa_private_segment_fixed_size 0
		.amdhsa_kernarg_size 352
		.amdhsa_user_sgpr_count 6
		.amdhsa_user_sgpr_private_segment_buffer 1
		.amdhsa_user_sgpr_dispatch_ptr 0
		.amdhsa_user_sgpr_queue_ptr 0
		.amdhsa_user_sgpr_kernarg_segment_ptr 1
		.amdhsa_user_sgpr_dispatch_id 0
		.amdhsa_user_sgpr_flat_scratch_init 0
		.amdhsa_user_sgpr_private_segment_size 0
		.amdhsa_uses_dynamic_stack 0
		.amdhsa_system_sgpr_private_segment_wavefront_offset 0
		.amdhsa_system_sgpr_workgroup_id_x 1
		.amdhsa_system_sgpr_workgroup_id_y 0
		.amdhsa_system_sgpr_workgroup_id_z 1
		.amdhsa_system_sgpr_workgroup_info 0
		.amdhsa_system_vgpr_workitem_id 1
		.amdhsa_next_free_vgpr 49
		.amdhsa_next_free_sgpr 98
		.amdhsa_reserve_vcc 1
		.amdhsa_reserve_flat_scratch 0
		.amdhsa_float_round_mode_32 0
		.amdhsa_float_round_mode_16_64 0
		.amdhsa_float_denorm_mode_32 3
		.amdhsa_float_denorm_mode_16_64 3
		.amdhsa_dx10_clamp 1
		.amdhsa_ieee_mode 1
		.amdhsa_fp16_overflow 0
		.amdhsa_exception_fp_ieee_invalid_op 0
		.amdhsa_exception_fp_denorm_src 0
		.amdhsa_exception_fp_ieee_div_zero 0
		.amdhsa_exception_fp_ieee_overflow 0
		.amdhsa_exception_fp_ieee_underflow 0
		.amdhsa_exception_fp_ieee_inexact 0
		.amdhsa_exception_int_div_zero 0
	.end_amdhsa_kernel
	.section	.text._ZL19rocblas_trsv_deviceILi64ELi16ELb0ELb1ELb1ELb1E19rocblas_complex_numIfES1_PKPKS1_PKPS1_EviT7_lllT6_T8_lllPii,"axG",@progbits,_ZL19rocblas_trsv_deviceILi64ELi16ELb0ELb1ELb1ELb1E19rocblas_complex_numIfES1_PKPKS1_PKPS1_EviT7_lllT6_T8_lllPii,comdat
.Lfunc_end159:
	.size	_ZL19rocblas_trsv_deviceILi64ELi16ELb0ELb1ELb1ELb1E19rocblas_complex_numIfES1_PKPKS1_PKPS1_EviT7_lllT6_T8_lllPii, .Lfunc_end159-_ZL19rocblas_trsv_deviceILi64ELi16ELb0ELb1ELb1ELb1E19rocblas_complex_numIfES1_PKPKS1_PKPS1_EviT7_lllT6_T8_lllPii
                                        ; -- End function
	.set _ZL19rocblas_trsv_deviceILi64ELi16ELb0ELb1ELb1ELb1E19rocblas_complex_numIfES1_PKPKS1_PKPS1_EviT7_lllT6_T8_lllPii.num_vgpr, 38
	.set _ZL19rocblas_trsv_deviceILi64ELi16ELb0ELb1ELb1ELb1E19rocblas_complex_numIfES1_PKPKS1_PKPS1_EviT7_lllT6_T8_lllPii.num_agpr, 0
	.set _ZL19rocblas_trsv_deviceILi64ELi16ELb0ELb1ELb1ELb1E19rocblas_complex_numIfES1_PKPKS1_PKPS1_EviT7_lllT6_T8_lllPii.numbered_sgpr, 96
	.set _ZL19rocblas_trsv_deviceILi64ELi16ELb0ELb1ELb1ELb1E19rocblas_complex_numIfES1_PKPKS1_PKPS1_EviT7_lllT6_T8_lllPii.num_named_barrier, 0
	.set _ZL19rocblas_trsv_deviceILi64ELi16ELb0ELb1ELb1ELb1E19rocblas_complex_numIfES1_PKPKS1_PKPS1_EviT7_lllT6_T8_lllPii.private_seg_size, 0
	.set _ZL19rocblas_trsv_deviceILi64ELi16ELb0ELb1ELb1ELb1E19rocblas_complex_numIfES1_PKPKS1_PKPS1_EviT7_lllT6_T8_lllPii.uses_vcc, 1
	.set _ZL19rocblas_trsv_deviceILi64ELi16ELb0ELb1ELb1ELb1E19rocblas_complex_numIfES1_PKPKS1_PKPS1_EviT7_lllT6_T8_lllPii.uses_flat_scratch, 0
	.set _ZL19rocblas_trsv_deviceILi64ELi16ELb0ELb1ELb1ELb1E19rocblas_complex_numIfES1_PKPKS1_PKPS1_EviT7_lllT6_T8_lllPii.has_dyn_sized_stack, 0
	.set _ZL19rocblas_trsv_deviceILi64ELi16ELb0ELb1ELb1ELb1E19rocblas_complex_numIfES1_PKPKS1_PKPS1_EviT7_lllT6_T8_lllPii.has_recursion, 0
	.set _ZL19rocblas_trsv_deviceILi64ELi16ELb0ELb1ELb1ELb1E19rocblas_complex_numIfES1_PKPKS1_PKPS1_EviT7_lllT6_T8_lllPii.has_indirect_call, 0
	.section	.AMDGPU.csdata,"",@progbits
; Kernel info:
; codeLenInByte = 39908
; TotalNumSgprs: 100
; NumVgprs: 38
; ScratchSize: 0
; MemoryBound: 0
; FloatMode: 240
; IeeeMode: 1
; LDSByteSize: 41480 bytes/workgroup (compile time only)
; SGPRBlocks: 12
; VGPRBlocks: 12
; NumSGPRsForWavesPerEU: 102
; NumVGPRsForWavesPerEU: 49
; Occupancy: 4
; WaveLimiterHint : 1
; COMPUTE_PGM_RSRC2:SCRATCH_EN: 0
; COMPUTE_PGM_RSRC2:USER_SGPR: 6
; COMPUTE_PGM_RSRC2:TRAP_HANDLER: 0
; COMPUTE_PGM_RSRC2:TGID_X_EN: 1
; COMPUTE_PGM_RSRC2:TGID_Y_EN: 0
; COMPUTE_PGM_RSRC2:TGID_Z_EN: 1
; COMPUTE_PGM_RSRC2:TIDIG_COMP_CNT: 1
	.section	.text._ZL19rocblas_trsv_deviceILi64ELi16ELb0ELb0ELb0ELb0E19rocblas_complex_numIfES1_PKPKS1_PKPS1_EviT7_lllT6_T8_lllPii,"axG",@progbits,_ZL19rocblas_trsv_deviceILi64ELi16ELb0ELb0ELb0ELb0E19rocblas_complex_numIfES1_PKPKS1_PKPS1_EviT7_lllT6_T8_lllPii,comdat
	.globl	_ZL19rocblas_trsv_deviceILi64ELi16ELb0ELb0ELb0ELb0E19rocblas_complex_numIfES1_PKPKS1_PKPS1_EviT7_lllT6_T8_lllPii ; -- Begin function _ZL19rocblas_trsv_deviceILi64ELi16ELb0ELb0ELb0ELb0E19rocblas_complex_numIfES1_PKPKS1_PKPS1_EviT7_lllT6_T8_lllPii
	.p2align	8
	.type	_ZL19rocblas_trsv_deviceILi64ELi16ELb0ELb0ELb0ELb0E19rocblas_complex_numIfES1_PKPKS1_PKPS1_EviT7_lllT6_T8_lllPii,@function
_ZL19rocblas_trsv_deviceILi64ELi16ELb0ELb0ELb0ELb0E19rocblas_complex_numIfES1_PKPKS1_PKPS1_EviT7_lllT6_T8_lllPii: ; @_ZL19rocblas_trsv_deviceILi64ELi16ELb0ELb0ELb0ELb0E19rocblas_complex_numIfES1_PKPKS1_PKPS1_EviT7_lllT6_T8_lllPii
; %bb.0:
	s_load_dwordx4 s[12:15], s[4:5], 0x8
	s_add_u32 flat_scratch_lo, s6, s10
	s_addc_u32 flat_scratch_hi, s7, 0
	s_add_u32 s0, s0, s10
	s_mov_b32 s24, s9
	s_mov_b32 s25, 0
	s_addc_u32 s1, s1, 0
	s_lshl_b64 s[6:7], s[24:25], 3
	s_waitcnt lgkmcnt(0)
	s_add_u32 s10, s12, s6
	s_addc_u32 s11, s13, s7
	s_load_dwordx2 s[12:13], s[10:11], 0x0
	s_load_dword s28, s[4:5], 0x0
	s_load_dwordx2 s[30:31], s[4:5], 0x18
	s_load_dwordx4 s[16:19], s[4:5], 0x30
	s_lshl_b64 s[10:11], s[14:15], 3
	s_waitcnt lgkmcnt(0)
	s_add_u32 s91, s12, s10
	s_addc_u32 s92, s13, s11
	s_load_dword s9, s[4:5], 0x60
	s_add_u32 s6, s16, s6
	s_addc_u32 s7, s17, s7
	s_load_dwordx2 s[22:23], s[6:7], 0x0
	s_load_dword s20, s[4:5], 0x6c
	v_mov_b32_e32 v2, v1
	s_waitcnt lgkmcnt(0)
	s_add_i32 s9, s9, -1
	s_sub_i32 s93, s9, s8
	s_cmp_lg_u32 s8, 0
	s_cbranch_scc0 .LBB160_1049
; %bb.1:
	s_lshl_b32 s33, s93, 6
	v_add3_u32 v1, v2, s33, 64
	v_ashrrev_i32_e32 v3, 31, v1
	v_mul_lo_u32 v7, s30, v3
	v_mul_lo_u32 v8, s31, v1
	v_mad_u64_u32 v[3:4], s[6:7], s30, v1, 0
	v_add_u32_e32 v5, s33, v0
	v_ashrrev_i32_e32 v6, 31, v5
	v_add3_u32 v4, v4, v7, v8
	v_lshlrev_b64 v[3:4], 3, v[3:4]
	v_mov_b32_e32 v7, s92
	v_add_co_u32_e64 v8, s[6:7], s91, v3
	v_addc_co_u32_e64 v7, s[6:7], v7, v4, s[6:7]
	v_lshlrev_b64 v[3:4], 3, v[5:6]
	v_cmp_gt_i32_e32 vcc, s28, v5
	v_add_co_u32_e64 v3, s[6:7], v8, v3
	v_addc_co_u32_e64 v4, s[6:7], v7, v4, s[6:7]
	v_max_i32_e32 v5, v5, v1
	v_cmp_le_i32_e64 s[6:7], s28, v5
	s_barrier
	s_and_saveexec_b64 s[10:11], s[6:7]
	s_xor_b64 s[6:7], exec, s[10:11]
	s_cbranch_execz .LBB160_3
; %bb.2:
	v_mov_b32_e32 v5, 0
	buffer_store_dword v5, off, s[0:3], 0
	buffer_store_dword v5, off, s[0:3], 0 offset:4
.LBB160_3:
	s_andn2_saveexec_b64 s[6:7], s[6:7]
	s_cbranch_execz .LBB160_5
; %bb.4:
	flat_load_dwordx2 v[5:6], v[3:4]
	s_waitcnt vmcnt(0) lgkmcnt(0)
	buffer_store_dword v6, off, s[0:3], 0 offset:4
	buffer_store_dword v5, off, s[0:3], 0
.LBB160_5:
	s_or_b64 exec, exec, s[6:7]
	v_add_u32_e32 v5, 16, v1
	v_cmp_le_i32_e64 s[6:7], s28, v5
	s_xor_b64 s[10:11], vcc, -1
	s_or_b64 s[6:7], s[10:11], s[6:7]
	s_waitcnt vmcnt(0)
	s_barrier
	s_and_saveexec_b64 s[12:13], s[6:7]
	s_xor_b64 s[6:7], exec, s[12:13]
	s_cbranch_execz .LBB160_7
; %bb.6:
	v_mov_b32_e32 v5, 0
	buffer_store_dword v5, off, s[0:3], 0 offset:8
	buffer_store_dword v5, off, s[0:3], 0 offset:12
.LBB160_7:
	s_andn2_saveexec_b64 s[6:7], s[6:7]
	s_cbranch_execz .LBB160_9
; %bb.8:
	s_lshl_b64 s[12:13], s[30:31], 7
	v_mov_b32_e32 v6, s13
	v_add_co_u32_e32 v5, vcc, s12, v3
	v_addc_co_u32_e32 v6, vcc, v4, v6, vcc
	flat_load_dwordx2 v[5:6], v[5:6]
	s_waitcnt vmcnt(0) lgkmcnt(0)
	buffer_store_dword v6, off, s[0:3], 0 offset:12
	buffer_store_dword v5, off, s[0:3], 0 offset:8
.LBB160_9:
	s_or_b64 exec, exec, s[6:7]
	v_add_u32_e32 v5, 32, v1
	v_cmp_le_i32_e32 vcc, s28, v5
	s_or_b64 s[6:7], s[10:11], vcc
	s_waitcnt vmcnt(0)
	s_barrier
	s_and_saveexec_b64 s[12:13], s[6:7]
	s_xor_b64 s[6:7], exec, s[12:13]
	s_cbranch_execz .LBB160_11
; %bb.10:
	v_mov_b32_e32 v5, 0
	buffer_store_dword v5, off, s[0:3], 0 offset:16
	buffer_store_dword v5, off, s[0:3], 0 offset:20
.LBB160_11:
	s_andn2_saveexec_b64 s[6:7], s[6:7]
	s_cbranch_execz .LBB160_13
; %bb.12:
	s_lshl_b64 s[12:13], s[30:31], 8
	v_mov_b32_e32 v6, s13
	v_add_co_u32_e32 v5, vcc, s12, v3
	v_addc_co_u32_e32 v6, vcc, v4, v6, vcc
	flat_load_dwordx2 v[5:6], v[5:6]
	s_waitcnt vmcnt(0) lgkmcnt(0)
	buffer_store_dword v6, off, s[0:3], 0 offset:20
	buffer_store_dword v5, off, s[0:3], 0 offset:16
.LBB160_13:
	s_or_b64 exec, exec, s[6:7]
	v_add_u32_e32 v1, 48, v1
	v_cmp_le_i32_e32 vcc, s28, v1
	s_or_b64 s[6:7], s[10:11], vcc
	s_waitcnt vmcnt(0)
	s_barrier
	s_and_saveexec_b64 s[10:11], s[6:7]
	s_xor_b64 s[6:7], exec, s[10:11]
	s_cbranch_execz .LBB160_15
; %bb.14:
	v_mov_b32_e32 v1, 0
	buffer_store_dword v1, off, s[0:3], 0 offset:24
	buffer_store_dword v1, off, s[0:3], 0 offset:28
                                        ; implicit-def: $vgpr3_vgpr4
.LBB160_15:
	s_andn2_saveexec_b64 s[6:7], s[6:7]
	s_cbranch_execz .LBB160_17
; %bb.16:
	v_mov_b32_e32 v1, 0x180
	v_mad_u64_u32 v[3:4], s[10:11], s30, v1, v[3:4]
	s_mul_i32 s10, s31, 0x180
	v_add_u32_e32 v4, s10, v4
	flat_load_dwordx2 v[3:4], v[3:4]
	s_waitcnt vmcnt(0) lgkmcnt(0)
	buffer_store_dword v4, off, s[0:3], 0 offset:28
	buffer_store_dword v3, off, s[0:3], 0 offset:24
.LBB160_17:
	s_or_b64 exec, exec, s[6:7]
	s_branch .LBB160_19
.LBB160_18:
	s_lshl_b32 s33, s93, 6
.LBB160_19:
	s_ashr_i32 s29, s28, 31
	s_lshr_b32 s6, s29, 26
	s_add_i32 s6, s28, s6
	s_andn2_b32 s6, s6, 63
	s_sub_i32 s90, s28, s6
	s_add_i32 s6, s28, -1
	s_ashr_i32 s7, s6, 31
	s_lshr_b32 s7, s7, 26
	s_add_i32 s6, s6, s7
	s_ashr_i32 s6, s6, 6
	s_cmp_eq_u32 s6, s93
	s_cselect_b64 s[6:7], -1, 0
	s_cmp_lg_u32 s90, 0
	s_cselect_b64 s[10:11], -1, 0
	s_and_b64 s[34:35], s[10:11], s[6:7]
	s_ashr_i32 s58, s33, 31
	s_add_u32 s12, s30, 1
	v_mov_b32_e32 v1, 0
	v_mov_b32_e32 v3, s33
	s_load_dwordx2 s[26:27], s[4:5], 0x40
	v_mad_u64_u32 v[3:4], s[6:7], s12, v3, v[0:1]
	s_addc_u32 s13, s31, 0
	s_mul_i32 s6, s12, s58
	s_mul_i32 s13, s13, s33
	s_add_i32 s6, s6, s13
	s_mov_b64 s[10:11], -1
	v_add_u32_e32 v4, s6, v4
	s_and_b64 vcc, exec, s[34:35]
	v_cmp_le_u32_e64 s[6:7], v2, v0
	v_lshl_add_u32 v1, v2, 6, v0
	s_cbranch_vccnz .LBB160_77
; %bb.20:
	v_mad_u64_u32 v[5:6], s[10:11], s30, v2, v[3:4]
	v_mad_u64_u32 v[6:7], s[10:11], s31, v2, v[6:7]
	s_and_saveexec_b64 s[10:11], s[6:7]
	s_xor_b64 s[6:7], exec, s[10:11]
	s_cbranch_execz .LBB160_32
; %bb.21:
	v_cmp_ne_u32_e32 vcc, v0, v2
	s_and_saveexec_b64 s[10:11], vcc
	s_xor_b64 s[10:11], exec, s[10:11]
	s_cbranch_execz .LBB160_25
; %bb.22:
	v_or_b32_e32 v5, v2, v0
	v_cmp_gt_u32_e32 vcc, 64, v5
	s_and_saveexec_b64 s[12:13], vcc
; %bb.23:
	v_mov_b32_e32 v5, 0
	v_lshlrev_b32_e32 v7, 3, v1
	v_mov_b32_e32 v6, v5
	ds_write_b64 v7, v[5:6]
; %bb.24:
	s_or_b64 exec, exec, s[12:13]
                                        ; implicit-def: $vgpr5_vgpr6
.LBB160_25:
	s_andn2_saveexec_b64 s[10:11], s[10:11]
	s_cbranch_execz .LBB160_31
; %bb.26:
	v_lshlrev_b64 v[5:6], 3, v[5:6]
	v_mov_b32_e32 v7, s92
	v_add_co_u32_e32 v5, vcc, s91, v5
	v_addc_co_u32_e32 v6, vcc, v7, v6, vcc
	flat_load_dwordx2 v[5:6], v[5:6]
                                        ; implicit-def: $vgpr7
	s_waitcnt vmcnt(0) lgkmcnt(0)
	v_cmp_ngt_f32_e64 s[12:13], |v5|, |v6|
	s_and_saveexec_b64 s[14:15], s[12:13]
	s_xor_b64 s[12:13], exec, s[14:15]
	s_cbranch_execz .LBB160_28
; %bb.27:
	v_div_scale_f32 v7, s[14:15], v6, v6, v5
	v_div_scale_f32 v8, vcc, v5, v6, v5
	v_rcp_f32_e32 v9, v7
	v_fma_f32 v10, -v7, v9, 1.0
	v_fmac_f32_e32 v9, v10, v9
	v_mul_f32_e32 v10, v8, v9
	v_fma_f32 v11, -v7, v10, v8
	v_fmac_f32_e32 v10, v11, v9
	v_fma_f32 v7, -v7, v10, v8
	v_div_fmas_f32 v7, v7, v9, v10
	v_div_fixup_f32 v7, v7, v6, v5
	v_fmac_f32_e32 v6, v5, v7
	v_div_scale_f32 v5, s[14:15], v6, v6, 1.0
	v_div_scale_f32 v8, vcc, 1.0, v6, 1.0
	v_rcp_f32_e32 v9, v5
	v_fma_f32 v10, -v5, v9, 1.0
	v_fmac_f32_e32 v9, v10, v9
	v_mul_f32_e32 v10, v8, v9
	v_fma_f32 v11, -v5, v10, v8
	v_fmac_f32_e32 v10, v11, v9
	v_fma_f32 v5, -v5, v10, v8
	v_div_fmas_f32 v5, v5, v9, v10
	v_div_fixup_f32 v5, v5, v6, 1.0
	v_mul_f32_e32 v7, v7, v5
	v_xor_b32_e32 v8, 0x80000000, v5
                                        ; implicit-def: $vgpr5_vgpr6
.LBB160_28:
	s_andn2_saveexec_b64 s[12:13], s[12:13]
	s_cbranch_execz .LBB160_30
; %bb.29:
	v_div_scale_f32 v7, s[14:15], v5, v5, v6
	v_div_scale_f32 v8, vcc, v6, v5, v6
	v_rcp_f32_e32 v9, v7
	v_fma_f32 v10, -v7, v9, 1.0
	v_fmac_f32_e32 v9, v10, v9
	v_mul_f32_e32 v10, v8, v9
	v_fma_f32 v11, -v7, v10, v8
	v_fmac_f32_e32 v10, v11, v9
	v_fma_f32 v7, -v7, v10, v8
	v_div_fmas_f32 v7, v7, v9, v10
	v_div_fixup_f32 v8, v7, v5, v6
	v_fmac_f32_e32 v5, v6, v8
	v_div_scale_f32 v6, s[14:15], v5, v5, 1.0
	v_div_scale_f32 v7, vcc, 1.0, v5, 1.0
	v_rcp_f32_e32 v9, v6
	v_fma_f32 v10, -v6, v9, 1.0
	v_fmac_f32_e32 v9, v10, v9
	v_mul_f32_e32 v10, v7, v9
	v_fma_f32 v11, -v6, v10, v7
	v_fmac_f32_e32 v10, v11, v9
	v_fma_f32 v6, -v6, v10, v7
	v_div_fmas_f32 v6, v6, v9, v10
	v_div_fixup_f32 v7, v6, v5, 1.0
	v_mul_f32_e64 v8, v8, -v7
.LBB160_30:
	s_or_b64 exec, exec, s[12:13]
	v_lshlrev_b32_e32 v5, 3, v1
	ds_write_b64 v5, v[7:8]
.LBB160_31:
	s_or_b64 exec, exec, s[10:11]
                                        ; implicit-def: $vgpr5_vgpr6
.LBB160_32:
	s_andn2_saveexec_b64 s[6:7], s[6:7]
	s_cbranch_execz .LBB160_34
; %bb.33:
	v_lshlrev_b64 v[5:6], 3, v[5:6]
	v_mov_b32_e32 v7, s92
	v_add_co_u32_e32 v5, vcc, s91, v5
	v_addc_co_u32_e32 v6, vcc, v7, v6, vcc
	flat_load_dwordx2 v[5:6], v[5:6]
	v_lshlrev_b32_e32 v7, 3, v1
	s_waitcnt vmcnt(0) lgkmcnt(0)
	v_xor_b32_e32 v5, 0x80000000, v5
	v_xor_b32_e32 v6, 0x80000000, v6
	ds_write_b64 v7, v[5:6]
.LBB160_34:
	s_or_b64 exec, exec, s[6:7]
	v_add_u32_e32 v7, 16, v2
	v_mad_u64_u32 v[5:6], s[6:7], s30, v7, v[3:4]
	v_cmp_le_u32_e32 vcc, v7, v0
	v_mad_u64_u32 v[8:9], s[6:7], s31, v7, v[6:7]
	v_lshl_add_u32 v9, v7, 6, v0
	v_mov_b32_e32 v6, v8
	s_and_saveexec_b64 s[6:7], vcc
	s_xor_b64 s[6:7], exec, s[6:7]
	s_cbranch_execz .LBB160_46
; %bb.35:
	v_cmp_ne_u32_e32 vcc, v0, v7
	s_and_saveexec_b64 s[10:11], vcc
	s_xor_b64 s[10:11], exec, s[10:11]
	s_cbranch_execz .LBB160_39
; %bb.36:
	v_or_b32_e32 v5, v7, v0
	v_cmp_gt_u32_e32 vcc, 64, v5
	s_and_saveexec_b64 s[12:13], vcc
; %bb.37:
	v_mov_b32_e32 v5, 0
	v_lshlrev_b32_e32 v7, 3, v9
	v_mov_b32_e32 v6, v5
	ds_write_b64 v7, v[5:6]
; %bb.38:
	s_or_b64 exec, exec, s[12:13]
                                        ; implicit-def: $vgpr9
                                        ; implicit-def: $vgpr5_vgpr6
.LBB160_39:
	s_andn2_saveexec_b64 s[10:11], s[10:11]
	s_cbranch_execz .LBB160_45
; %bb.40:
	v_lshlrev_b64 v[5:6], 3, v[5:6]
	v_mov_b32_e32 v7, s92
	v_add_co_u32_e32 v5, vcc, s91, v5
	v_addc_co_u32_e32 v6, vcc, v7, v6, vcc
	flat_load_dwordx2 v[5:6], v[5:6]
                                        ; implicit-def: $vgpr7
	s_waitcnt vmcnt(0) lgkmcnt(0)
	v_cmp_ngt_f32_e64 s[12:13], |v5|, |v6|
	s_and_saveexec_b64 s[14:15], s[12:13]
	s_xor_b64 s[12:13], exec, s[14:15]
	s_cbranch_execz .LBB160_42
; %bb.41:
	v_div_scale_f32 v7, s[14:15], v6, v6, v5
	v_div_scale_f32 v8, vcc, v5, v6, v5
	v_rcp_f32_e32 v10, v7
	v_fma_f32 v11, -v7, v10, 1.0
	v_fmac_f32_e32 v10, v11, v10
	v_mul_f32_e32 v11, v8, v10
	v_fma_f32 v12, -v7, v11, v8
	v_fmac_f32_e32 v11, v12, v10
	v_fma_f32 v7, -v7, v11, v8
	v_div_fmas_f32 v7, v7, v10, v11
	v_div_fixup_f32 v7, v7, v6, v5
	v_fmac_f32_e32 v6, v5, v7
	v_div_scale_f32 v5, s[14:15], v6, v6, 1.0
	v_div_scale_f32 v8, vcc, 1.0, v6, 1.0
	v_rcp_f32_e32 v10, v5
	v_fma_f32 v11, -v5, v10, 1.0
	v_fmac_f32_e32 v10, v11, v10
	v_mul_f32_e32 v11, v8, v10
	v_fma_f32 v12, -v5, v11, v8
	v_fmac_f32_e32 v11, v12, v10
	v_fma_f32 v5, -v5, v11, v8
	v_div_fmas_f32 v5, v5, v10, v11
	v_div_fixup_f32 v5, v5, v6, 1.0
	v_mul_f32_e32 v7, v7, v5
	v_xor_b32_e32 v8, 0x80000000, v5
                                        ; implicit-def: $vgpr5_vgpr6
.LBB160_42:
	s_andn2_saveexec_b64 s[12:13], s[12:13]
	s_cbranch_execz .LBB160_44
; %bb.43:
	v_div_scale_f32 v7, s[14:15], v5, v5, v6
	v_div_scale_f32 v8, vcc, v6, v5, v6
	v_rcp_f32_e32 v10, v7
	v_fma_f32 v11, -v7, v10, 1.0
	v_fmac_f32_e32 v10, v11, v10
	v_mul_f32_e32 v11, v8, v10
	v_fma_f32 v12, -v7, v11, v8
	v_fmac_f32_e32 v11, v12, v10
	v_fma_f32 v7, -v7, v11, v8
	v_div_fmas_f32 v7, v7, v10, v11
	v_div_fixup_f32 v8, v7, v5, v6
	v_fmac_f32_e32 v5, v6, v8
	v_div_scale_f32 v6, s[14:15], v5, v5, 1.0
	v_div_scale_f32 v7, vcc, 1.0, v5, 1.0
	v_rcp_f32_e32 v10, v6
	v_fma_f32 v11, -v6, v10, 1.0
	v_fmac_f32_e32 v10, v11, v10
	v_mul_f32_e32 v11, v7, v10
	v_fma_f32 v12, -v6, v11, v7
	v_fmac_f32_e32 v11, v12, v10
	v_fma_f32 v6, -v6, v11, v7
	v_div_fmas_f32 v6, v6, v10, v11
	v_div_fixup_f32 v7, v6, v5, 1.0
	v_mul_f32_e64 v8, v8, -v7
.LBB160_44:
	s_or_b64 exec, exec, s[12:13]
	v_lshlrev_b32_e32 v5, 3, v9
	ds_write_b64 v5, v[7:8]
.LBB160_45:
	s_or_b64 exec, exec, s[10:11]
                                        ; implicit-def: $vgpr5_vgpr6
                                        ; implicit-def: $vgpr9
.LBB160_46:
	s_andn2_saveexec_b64 s[6:7], s[6:7]
	s_cbranch_execz .LBB160_48
; %bb.47:
	v_lshlrev_b64 v[5:6], 3, v[5:6]
	v_mov_b32_e32 v7, s92
	v_add_co_u32_e32 v5, vcc, s91, v5
	v_addc_co_u32_e32 v6, vcc, v7, v6, vcc
	flat_load_dwordx2 v[5:6], v[5:6]
	v_lshlrev_b32_e32 v7, 3, v9
	s_waitcnt vmcnt(0) lgkmcnt(0)
	v_xor_b32_e32 v5, 0x80000000, v5
	v_xor_b32_e32 v6, 0x80000000, v6
	ds_write_b64 v7, v[5:6]
.LBB160_48:
	s_or_b64 exec, exec, s[6:7]
	v_add_u32_e32 v7, 32, v2
	v_mad_u64_u32 v[5:6], s[6:7], s30, v7, v[3:4]
	v_cmp_le_u32_e32 vcc, v7, v0
	v_mad_u64_u32 v[8:9], s[6:7], s31, v7, v[6:7]
	v_lshl_add_u32 v9, v7, 6, v0
	v_mov_b32_e32 v6, v8
	s_and_saveexec_b64 s[6:7], vcc
	s_xor_b64 s[6:7], exec, s[6:7]
	s_cbranch_execz .LBB160_60
; %bb.49:
	v_cmp_ne_u32_e32 vcc, v0, v7
	s_and_saveexec_b64 s[10:11], vcc
	s_xor_b64 s[10:11], exec, s[10:11]
	s_cbranch_execz .LBB160_53
; %bb.50:
	v_or_b32_e32 v5, v7, v0
	v_cmp_gt_u32_e32 vcc, 64, v5
	s_and_saveexec_b64 s[12:13], vcc
; %bb.51:
	v_mov_b32_e32 v5, 0
	v_lshlrev_b32_e32 v7, 3, v9
	v_mov_b32_e32 v6, v5
	ds_write_b64 v7, v[5:6]
; %bb.52:
	s_or_b64 exec, exec, s[12:13]
                                        ; implicit-def: $vgpr9
                                        ; implicit-def: $vgpr5_vgpr6
.LBB160_53:
	s_andn2_saveexec_b64 s[10:11], s[10:11]
	s_cbranch_execz .LBB160_59
; %bb.54:
	v_lshlrev_b64 v[5:6], 3, v[5:6]
	v_mov_b32_e32 v7, s92
	v_add_co_u32_e32 v5, vcc, s91, v5
	v_addc_co_u32_e32 v6, vcc, v7, v6, vcc
	flat_load_dwordx2 v[5:6], v[5:6]
                                        ; implicit-def: $vgpr7
	s_waitcnt vmcnt(0) lgkmcnt(0)
	v_cmp_ngt_f32_e64 s[12:13], |v5|, |v6|
	s_and_saveexec_b64 s[14:15], s[12:13]
	s_xor_b64 s[12:13], exec, s[14:15]
	s_cbranch_execz .LBB160_56
; %bb.55:
	v_div_scale_f32 v7, s[14:15], v6, v6, v5
	v_div_scale_f32 v8, vcc, v5, v6, v5
	v_rcp_f32_e32 v10, v7
	v_fma_f32 v11, -v7, v10, 1.0
	v_fmac_f32_e32 v10, v11, v10
	v_mul_f32_e32 v11, v8, v10
	v_fma_f32 v12, -v7, v11, v8
	v_fmac_f32_e32 v11, v12, v10
	v_fma_f32 v7, -v7, v11, v8
	v_div_fmas_f32 v7, v7, v10, v11
	v_div_fixup_f32 v7, v7, v6, v5
	v_fmac_f32_e32 v6, v5, v7
	v_div_scale_f32 v5, s[14:15], v6, v6, 1.0
	v_div_scale_f32 v8, vcc, 1.0, v6, 1.0
	v_rcp_f32_e32 v10, v5
	v_fma_f32 v11, -v5, v10, 1.0
	v_fmac_f32_e32 v10, v11, v10
	v_mul_f32_e32 v11, v8, v10
	v_fma_f32 v12, -v5, v11, v8
	v_fmac_f32_e32 v11, v12, v10
	v_fma_f32 v5, -v5, v11, v8
	v_div_fmas_f32 v5, v5, v10, v11
	v_div_fixup_f32 v5, v5, v6, 1.0
	v_mul_f32_e32 v7, v7, v5
	v_xor_b32_e32 v8, 0x80000000, v5
                                        ; implicit-def: $vgpr5_vgpr6
.LBB160_56:
	s_andn2_saveexec_b64 s[12:13], s[12:13]
	s_cbranch_execz .LBB160_58
; %bb.57:
	v_div_scale_f32 v7, s[14:15], v5, v5, v6
	v_div_scale_f32 v8, vcc, v6, v5, v6
	v_rcp_f32_e32 v10, v7
	v_fma_f32 v11, -v7, v10, 1.0
	v_fmac_f32_e32 v10, v11, v10
	v_mul_f32_e32 v11, v8, v10
	v_fma_f32 v12, -v7, v11, v8
	v_fmac_f32_e32 v11, v12, v10
	v_fma_f32 v7, -v7, v11, v8
	v_div_fmas_f32 v7, v7, v10, v11
	v_div_fixup_f32 v8, v7, v5, v6
	v_fmac_f32_e32 v5, v6, v8
	v_div_scale_f32 v6, s[14:15], v5, v5, 1.0
	v_div_scale_f32 v7, vcc, 1.0, v5, 1.0
	v_rcp_f32_e32 v10, v6
	v_fma_f32 v11, -v6, v10, 1.0
	v_fmac_f32_e32 v10, v11, v10
	v_mul_f32_e32 v11, v7, v10
	v_fma_f32 v12, -v6, v11, v7
	v_fmac_f32_e32 v11, v12, v10
	v_fma_f32 v6, -v6, v11, v7
	v_div_fmas_f32 v6, v6, v10, v11
	v_div_fixup_f32 v7, v6, v5, 1.0
	v_mul_f32_e64 v8, v8, -v7
.LBB160_58:
	s_or_b64 exec, exec, s[12:13]
	v_lshlrev_b32_e32 v5, 3, v9
	ds_write_b64 v5, v[7:8]
.LBB160_59:
	s_or_b64 exec, exec, s[10:11]
                                        ; implicit-def: $vgpr5_vgpr6
                                        ; implicit-def: $vgpr9
.LBB160_60:
	s_andn2_saveexec_b64 s[6:7], s[6:7]
	s_cbranch_execz .LBB160_62
; %bb.61:
	v_lshlrev_b64 v[5:6], 3, v[5:6]
	v_mov_b32_e32 v7, s92
	v_add_co_u32_e32 v5, vcc, s91, v5
	v_addc_co_u32_e32 v6, vcc, v7, v6, vcc
	flat_load_dwordx2 v[5:6], v[5:6]
	v_lshlrev_b32_e32 v7, 3, v9
	s_waitcnt vmcnt(0) lgkmcnt(0)
	v_xor_b32_e32 v5, 0x80000000, v5
	v_xor_b32_e32 v6, 0x80000000, v6
	ds_write_b64 v7, v[5:6]
.LBB160_62:
	s_or_b64 exec, exec, s[6:7]
	v_add_u32_e32 v7, 48, v2
	v_mad_u64_u32 v[5:6], s[6:7], s30, v7, v[3:4]
	v_cmp_le_u32_e32 vcc, v7, v0
	v_mad_u64_u32 v[8:9], s[6:7], s31, v7, v[6:7]
	v_lshl_add_u32 v9, v7, 6, v0
	v_mov_b32_e32 v6, v8
	s_and_saveexec_b64 s[6:7], vcc
	s_xor_b64 s[6:7], exec, s[6:7]
	s_cbranch_execz .LBB160_74
; %bb.63:
	v_cmp_ne_u32_e32 vcc, v0, v7
	s_and_saveexec_b64 s[10:11], vcc
	s_xor_b64 s[10:11], exec, s[10:11]
	s_cbranch_execz .LBB160_67
; %bb.64:
	v_or_b32_e32 v5, v7, v0
	v_cmp_gt_u32_e32 vcc, 64, v5
	s_and_saveexec_b64 s[12:13], vcc
; %bb.65:
	v_mov_b32_e32 v5, 0
	v_lshlrev_b32_e32 v7, 3, v9
	v_mov_b32_e32 v6, v5
	ds_write_b64 v7, v[5:6]
; %bb.66:
	s_or_b64 exec, exec, s[12:13]
                                        ; implicit-def: $vgpr9
                                        ; implicit-def: $vgpr5_vgpr6
.LBB160_67:
	s_andn2_saveexec_b64 s[10:11], s[10:11]
	s_cbranch_execz .LBB160_73
; %bb.68:
	v_lshlrev_b64 v[5:6], 3, v[5:6]
	v_mov_b32_e32 v7, s92
	v_add_co_u32_e32 v5, vcc, s91, v5
	v_addc_co_u32_e32 v6, vcc, v7, v6, vcc
	flat_load_dwordx2 v[5:6], v[5:6]
                                        ; implicit-def: $vgpr7
	s_waitcnt vmcnt(0) lgkmcnt(0)
	v_cmp_ngt_f32_e64 s[12:13], |v5|, |v6|
	s_and_saveexec_b64 s[14:15], s[12:13]
	s_xor_b64 s[12:13], exec, s[14:15]
	s_cbranch_execz .LBB160_70
; %bb.69:
	v_div_scale_f32 v7, s[14:15], v6, v6, v5
	v_div_scale_f32 v8, vcc, v5, v6, v5
	v_rcp_f32_e32 v10, v7
	v_fma_f32 v11, -v7, v10, 1.0
	v_fmac_f32_e32 v10, v11, v10
	v_mul_f32_e32 v11, v8, v10
	v_fma_f32 v12, -v7, v11, v8
	v_fmac_f32_e32 v11, v12, v10
	v_fma_f32 v7, -v7, v11, v8
	v_div_fmas_f32 v7, v7, v10, v11
	v_div_fixup_f32 v7, v7, v6, v5
	v_fmac_f32_e32 v6, v5, v7
	v_div_scale_f32 v5, s[14:15], v6, v6, 1.0
	v_div_scale_f32 v8, vcc, 1.0, v6, 1.0
	v_rcp_f32_e32 v10, v5
	v_fma_f32 v11, -v5, v10, 1.0
	v_fmac_f32_e32 v10, v11, v10
	v_mul_f32_e32 v11, v8, v10
	v_fma_f32 v12, -v5, v11, v8
	v_fmac_f32_e32 v11, v12, v10
	v_fma_f32 v5, -v5, v11, v8
	v_div_fmas_f32 v5, v5, v10, v11
	v_div_fixup_f32 v5, v5, v6, 1.0
	v_mul_f32_e32 v7, v7, v5
	v_xor_b32_e32 v8, 0x80000000, v5
                                        ; implicit-def: $vgpr5_vgpr6
.LBB160_70:
	s_andn2_saveexec_b64 s[12:13], s[12:13]
	s_cbranch_execz .LBB160_72
; %bb.71:
	v_div_scale_f32 v7, s[14:15], v5, v5, v6
	v_div_scale_f32 v8, vcc, v6, v5, v6
	v_rcp_f32_e32 v10, v7
	v_fma_f32 v11, -v7, v10, 1.0
	v_fmac_f32_e32 v10, v11, v10
	v_mul_f32_e32 v11, v8, v10
	v_fma_f32 v12, -v7, v11, v8
	v_fmac_f32_e32 v11, v12, v10
	v_fma_f32 v7, -v7, v11, v8
	v_div_fmas_f32 v7, v7, v10, v11
	v_div_fixup_f32 v8, v7, v5, v6
	v_fmac_f32_e32 v5, v6, v8
	v_div_scale_f32 v6, s[14:15], v5, v5, 1.0
	v_div_scale_f32 v7, vcc, 1.0, v5, 1.0
	v_rcp_f32_e32 v10, v6
	v_fma_f32 v11, -v6, v10, 1.0
	v_fmac_f32_e32 v10, v11, v10
	v_mul_f32_e32 v11, v7, v10
	v_fma_f32 v12, -v6, v11, v7
	v_fmac_f32_e32 v11, v12, v10
	v_fma_f32 v6, -v6, v11, v7
	v_div_fmas_f32 v6, v6, v10, v11
	v_div_fixup_f32 v7, v6, v5, 1.0
	v_mul_f32_e64 v8, v8, -v7
.LBB160_72:
	s_or_b64 exec, exec, s[12:13]
	v_lshlrev_b32_e32 v5, 3, v9
	ds_write_b64 v5, v[7:8]
.LBB160_73:
	s_or_b64 exec, exec, s[10:11]
                                        ; implicit-def: $vgpr5_vgpr6
                                        ; implicit-def: $vgpr9
.LBB160_74:
	s_andn2_saveexec_b64 s[6:7], s[6:7]
	s_cbranch_execz .LBB160_76
; %bb.75:
	v_lshlrev_b64 v[5:6], 3, v[5:6]
	v_mov_b32_e32 v7, s92
	v_add_co_u32_e32 v5, vcc, s91, v5
	v_addc_co_u32_e32 v6, vcc, v7, v6, vcc
	flat_load_dwordx2 v[5:6], v[5:6]
	v_lshlrev_b32_e32 v7, 3, v9
	s_waitcnt vmcnt(0) lgkmcnt(0)
	v_xor_b32_e32 v5, 0x80000000, v5
	v_xor_b32_e32 v6, 0x80000000, v6
	ds_write_b64 v7, v[5:6]
.LBB160_76:
	s_or_b64 exec, exec, s[6:7]
	s_mov_b64 s[10:11], 0
.LBB160_77:
	s_and_b64 vcc, exec, s[10:11]
	s_cbranch_vccz .LBB160_135
; %bb.78:
	v_mad_u64_u32 v[5:6], s[6:7], s30, v2, v[3:4]
	v_cmp_le_u32_e32 vcc, v2, v0
	v_cmp_gt_i32_e64 s[6:7], s90, v0
	v_mad_u64_u32 v[6:7], s[10:11], s31, v2, v[6:7]
	v_max_i32_e32 v7, v2, v0
	v_cmp_le_i32_e64 s[10:11], s90, v7
	s_or_b64 s[10:11], s[10:11], vcc
	s_and_saveexec_b64 s[12:13], s[10:11]
	s_xor_b64 s[10:11], exec, s[12:13]
	s_cbranch_execz .LBB160_90
; %bb.79:
	v_cmp_ne_u32_e32 vcc, v0, v2
	s_xor_b64 s[12:13], s[6:7], -1
	s_or_b64 s[12:13], s[12:13], vcc
	s_and_saveexec_b64 s[14:15], s[12:13]
	s_xor_b64 s[12:13], exec, s[14:15]
	s_cbranch_execz .LBB160_83
; %bb.80:
	v_or_b32_e32 v5, v2, v0
	v_cmp_gt_u32_e32 vcc, 64, v5
	s_and_saveexec_b64 s[14:15], vcc
; %bb.81:
	v_mov_b32_e32 v5, 0
	v_lshlrev_b32_e32 v7, 3, v1
	v_mov_b32_e32 v6, v5
	ds_write_b64 v7, v[5:6]
; %bb.82:
	s_or_b64 exec, exec, s[14:15]
                                        ; implicit-def: $vgpr5_vgpr6
.LBB160_83:
	s_andn2_saveexec_b64 s[12:13], s[12:13]
	s_cbranch_execz .LBB160_89
; %bb.84:
	v_lshlrev_b64 v[5:6], 3, v[5:6]
	v_mov_b32_e32 v7, s92
	v_add_co_u32_e32 v5, vcc, s91, v5
	v_addc_co_u32_e32 v6, vcc, v7, v6, vcc
	flat_load_dwordx2 v[5:6], v[5:6]
                                        ; implicit-def: $vgpr7
	s_waitcnt vmcnt(0) lgkmcnt(0)
	v_cmp_ngt_f32_e64 s[14:15], |v5|, |v6|
	s_and_saveexec_b64 s[16:17], s[14:15]
	s_xor_b64 s[14:15], exec, s[16:17]
	s_cbranch_execz .LBB160_86
; %bb.85:
	v_div_scale_f32 v7, s[16:17], v6, v6, v5
	v_div_scale_f32 v8, vcc, v5, v6, v5
	v_rcp_f32_e32 v9, v7
	v_fma_f32 v10, -v7, v9, 1.0
	v_fmac_f32_e32 v9, v10, v9
	v_mul_f32_e32 v10, v8, v9
	v_fma_f32 v11, -v7, v10, v8
	v_fmac_f32_e32 v10, v11, v9
	v_fma_f32 v7, -v7, v10, v8
	v_div_fmas_f32 v7, v7, v9, v10
	v_div_fixup_f32 v7, v7, v6, v5
	v_fmac_f32_e32 v6, v5, v7
	v_div_scale_f32 v5, s[16:17], v6, v6, 1.0
	v_div_scale_f32 v8, vcc, 1.0, v6, 1.0
	v_rcp_f32_e32 v9, v5
	v_fma_f32 v10, -v5, v9, 1.0
	v_fmac_f32_e32 v9, v10, v9
	v_mul_f32_e32 v10, v8, v9
	v_fma_f32 v11, -v5, v10, v8
	v_fmac_f32_e32 v10, v11, v9
	v_fma_f32 v5, -v5, v10, v8
	v_div_fmas_f32 v5, v5, v9, v10
	v_div_fixup_f32 v5, v5, v6, 1.0
	v_mul_f32_e32 v7, v7, v5
	v_xor_b32_e32 v8, 0x80000000, v5
                                        ; implicit-def: $vgpr5_vgpr6
.LBB160_86:
	s_andn2_saveexec_b64 s[14:15], s[14:15]
	s_cbranch_execz .LBB160_88
; %bb.87:
	v_div_scale_f32 v7, s[16:17], v5, v5, v6
	v_div_scale_f32 v8, vcc, v6, v5, v6
	v_rcp_f32_e32 v9, v7
	v_fma_f32 v10, -v7, v9, 1.0
	v_fmac_f32_e32 v9, v10, v9
	v_mul_f32_e32 v10, v8, v9
	v_fma_f32 v11, -v7, v10, v8
	v_fmac_f32_e32 v10, v11, v9
	v_fma_f32 v7, -v7, v10, v8
	v_div_fmas_f32 v7, v7, v9, v10
	v_div_fixup_f32 v8, v7, v5, v6
	v_fmac_f32_e32 v5, v6, v8
	v_div_scale_f32 v6, s[16:17], v5, v5, 1.0
	v_div_scale_f32 v7, vcc, 1.0, v5, 1.0
	v_rcp_f32_e32 v9, v6
	v_fma_f32 v10, -v6, v9, 1.0
	v_fmac_f32_e32 v9, v10, v9
	v_mul_f32_e32 v10, v7, v9
	v_fma_f32 v11, -v6, v10, v7
	v_fmac_f32_e32 v10, v11, v9
	v_fma_f32 v6, -v6, v10, v7
	v_div_fmas_f32 v6, v6, v9, v10
	v_div_fixup_f32 v7, v6, v5, 1.0
	v_mul_f32_e64 v8, v8, -v7
.LBB160_88:
	s_or_b64 exec, exec, s[14:15]
	v_lshlrev_b32_e32 v5, 3, v1
	ds_write_b64 v5, v[7:8]
.LBB160_89:
	s_or_b64 exec, exec, s[12:13]
                                        ; implicit-def: $vgpr5_vgpr6
.LBB160_90:
	s_andn2_saveexec_b64 s[10:11], s[10:11]
	s_cbranch_execz .LBB160_92
; %bb.91:
	v_lshlrev_b64 v[5:6], 3, v[5:6]
	v_mov_b32_e32 v7, s92
	v_add_co_u32_e32 v5, vcc, s91, v5
	v_addc_co_u32_e32 v6, vcc, v7, v6, vcc
	flat_load_dwordx2 v[5:6], v[5:6]
	v_lshlrev_b32_e32 v7, 3, v1
	s_waitcnt vmcnt(0) lgkmcnt(0)
	v_xor_b32_e32 v5, 0x80000000, v5
	v_xor_b32_e32 v6, 0x80000000, v6
	ds_write_b64 v7, v[5:6]
.LBB160_92:
	s_or_b64 exec, exec, s[10:11]
	v_add_u32_e32 v7, 16, v2
	v_mad_u64_u32 v[5:6], s[10:11], s30, v7, v[3:4]
	v_cmp_gt_u32_e32 vcc, v7, v0
	v_lshl_add_u32 v9, v7, 6, v0
	v_mad_u64_u32 v[10:11], s[10:11], s31, v7, v[6:7]
	v_cmp_gt_i32_e64 s[10:11], s90, v7
	s_and_b64 s[10:11], vcc, s[10:11]
	s_and_b64 s[10:11], s[6:7], s[10:11]
	v_mov_b32_e32 v6, v10
	s_xor_b64 s[10:11], s[10:11], -1
	s_and_saveexec_b64 s[12:13], s[10:11]
	s_xor_b64 s[10:11], exec, s[12:13]
	s_cbranch_execz .LBB160_104
; %bb.93:
	v_cmp_ne_u32_e32 vcc, v0, v7
	s_xor_b64 s[12:13], s[6:7], -1
	s_or_b64 s[12:13], s[12:13], vcc
	s_and_saveexec_b64 s[14:15], s[12:13]
	s_xor_b64 s[12:13], exec, s[14:15]
	s_cbranch_execz .LBB160_97
; %bb.94:
	v_or_b32_e32 v5, v7, v0
	v_cmp_gt_u32_e32 vcc, 64, v5
	s_and_saveexec_b64 s[14:15], vcc
; %bb.95:
	v_mov_b32_e32 v5, 0
	v_lshlrev_b32_e32 v7, 3, v9
	v_mov_b32_e32 v6, v5
	ds_write_b64 v7, v[5:6]
; %bb.96:
	s_or_b64 exec, exec, s[14:15]
                                        ; implicit-def: $vgpr9
                                        ; implicit-def: $vgpr5_vgpr6
.LBB160_97:
	s_andn2_saveexec_b64 s[12:13], s[12:13]
	s_cbranch_execz .LBB160_103
; %bb.98:
	v_lshlrev_b64 v[5:6], 3, v[5:6]
	v_mov_b32_e32 v7, s92
	v_add_co_u32_e32 v5, vcc, s91, v5
	v_addc_co_u32_e32 v6, vcc, v7, v6, vcc
	flat_load_dwordx2 v[5:6], v[5:6]
                                        ; implicit-def: $vgpr7
	s_waitcnt vmcnt(0) lgkmcnt(0)
	v_cmp_ngt_f32_e64 s[14:15], |v5|, |v6|
	s_and_saveexec_b64 s[16:17], s[14:15]
	s_xor_b64 s[14:15], exec, s[16:17]
	s_cbranch_execz .LBB160_100
; %bb.99:
	v_div_scale_f32 v7, s[16:17], v6, v6, v5
	v_div_scale_f32 v8, vcc, v5, v6, v5
	v_rcp_f32_e32 v10, v7
	v_fma_f32 v11, -v7, v10, 1.0
	v_fmac_f32_e32 v10, v11, v10
	v_mul_f32_e32 v11, v8, v10
	v_fma_f32 v12, -v7, v11, v8
	v_fmac_f32_e32 v11, v12, v10
	v_fma_f32 v7, -v7, v11, v8
	v_div_fmas_f32 v7, v7, v10, v11
	v_div_fixup_f32 v7, v7, v6, v5
	v_fmac_f32_e32 v6, v5, v7
	v_div_scale_f32 v5, s[16:17], v6, v6, 1.0
	v_div_scale_f32 v8, vcc, 1.0, v6, 1.0
	v_rcp_f32_e32 v10, v5
	v_fma_f32 v11, -v5, v10, 1.0
	v_fmac_f32_e32 v10, v11, v10
	v_mul_f32_e32 v11, v8, v10
	v_fma_f32 v12, -v5, v11, v8
	v_fmac_f32_e32 v11, v12, v10
	v_fma_f32 v5, -v5, v11, v8
	v_div_fmas_f32 v5, v5, v10, v11
	v_div_fixup_f32 v5, v5, v6, 1.0
	v_mul_f32_e32 v7, v7, v5
	v_xor_b32_e32 v8, 0x80000000, v5
                                        ; implicit-def: $vgpr5_vgpr6
.LBB160_100:
	s_andn2_saveexec_b64 s[14:15], s[14:15]
	s_cbranch_execz .LBB160_102
; %bb.101:
	v_div_scale_f32 v7, s[16:17], v5, v5, v6
	v_div_scale_f32 v8, vcc, v6, v5, v6
	v_rcp_f32_e32 v10, v7
	v_fma_f32 v11, -v7, v10, 1.0
	v_fmac_f32_e32 v10, v11, v10
	v_mul_f32_e32 v11, v8, v10
	v_fma_f32 v12, -v7, v11, v8
	v_fmac_f32_e32 v11, v12, v10
	v_fma_f32 v7, -v7, v11, v8
	v_div_fmas_f32 v7, v7, v10, v11
	v_div_fixup_f32 v8, v7, v5, v6
	v_fmac_f32_e32 v5, v6, v8
	v_div_scale_f32 v6, s[16:17], v5, v5, 1.0
	v_div_scale_f32 v7, vcc, 1.0, v5, 1.0
	v_rcp_f32_e32 v10, v6
	v_fma_f32 v11, -v6, v10, 1.0
	v_fmac_f32_e32 v10, v11, v10
	v_mul_f32_e32 v11, v7, v10
	v_fma_f32 v12, -v6, v11, v7
	v_fmac_f32_e32 v11, v12, v10
	v_fma_f32 v6, -v6, v11, v7
	v_div_fmas_f32 v6, v6, v10, v11
	v_div_fixup_f32 v7, v6, v5, 1.0
	v_mul_f32_e64 v8, v8, -v7
.LBB160_102:
	s_or_b64 exec, exec, s[14:15]
	v_lshlrev_b32_e32 v5, 3, v9
	ds_write_b64 v5, v[7:8]
.LBB160_103:
	s_or_b64 exec, exec, s[12:13]
                                        ; implicit-def: $vgpr5_vgpr6
                                        ; implicit-def: $vgpr9
.LBB160_104:
	s_andn2_saveexec_b64 s[10:11], s[10:11]
	s_cbranch_execz .LBB160_106
; %bb.105:
	v_lshlrev_b64 v[5:6], 3, v[5:6]
	v_mov_b32_e32 v7, s92
	v_add_co_u32_e32 v5, vcc, s91, v5
	v_addc_co_u32_e32 v6, vcc, v7, v6, vcc
	flat_load_dwordx2 v[5:6], v[5:6]
	v_lshlrev_b32_e32 v7, 3, v9
	s_waitcnt vmcnt(0) lgkmcnt(0)
	v_xor_b32_e32 v5, 0x80000000, v5
	v_xor_b32_e32 v6, 0x80000000, v6
	ds_write_b64 v7, v[5:6]
.LBB160_106:
	s_or_b64 exec, exec, s[10:11]
	v_add_u32_e32 v7, 32, v2
	v_mad_u64_u32 v[5:6], s[10:11], s30, v7, v[3:4]
	v_cmp_gt_u32_e32 vcc, v7, v0
	v_lshl_add_u32 v9, v7, 6, v0
	v_mad_u64_u32 v[10:11], s[10:11], s31, v7, v[6:7]
	v_cmp_gt_i32_e64 s[10:11], s90, v7
	s_and_b64 s[10:11], vcc, s[10:11]
	s_and_b64 s[10:11], s[6:7], s[10:11]
	v_mov_b32_e32 v6, v10
	s_xor_b64 s[10:11], s[10:11], -1
	s_and_saveexec_b64 s[12:13], s[10:11]
	s_xor_b64 s[10:11], exec, s[12:13]
	s_cbranch_execz .LBB160_118
; %bb.107:
	v_cmp_ne_u32_e32 vcc, v0, v7
	s_xor_b64 s[12:13], s[6:7], -1
	s_or_b64 s[12:13], s[12:13], vcc
	s_and_saveexec_b64 s[14:15], s[12:13]
	s_xor_b64 s[12:13], exec, s[14:15]
	s_cbranch_execz .LBB160_111
; %bb.108:
	v_or_b32_e32 v5, v7, v0
	v_cmp_gt_u32_e32 vcc, 64, v5
	s_and_saveexec_b64 s[14:15], vcc
; %bb.109:
	v_mov_b32_e32 v5, 0
	v_lshlrev_b32_e32 v7, 3, v9
	v_mov_b32_e32 v6, v5
	ds_write_b64 v7, v[5:6]
; %bb.110:
	s_or_b64 exec, exec, s[14:15]
                                        ; implicit-def: $vgpr9
                                        ; implicit-def: $vgpr5_vgpr6
.LBB160_111:
	s_andn2_saveexec_b64 s[12:13], s[12:13]
	s_cbranch_execz .LBB160_117
; %bb.112:
	v_lshlrev_b64 v[5:6], 3, v[5:6]
	v_mov_b32_e32 v7, s92
	v_add_co_u32_e32 v5, vcc, s91, v5
	v_addc_co_u32_e32 v6, vcc, v7, v6, vcc
	flat_load_dwordx2 v[5:6], v[5:6]
                                        ; implicit-def: $vgpr7
	s_waitcnt vmcnt(0) lgkmcnt(0)
	v_cmp_ngt_f32_e64 s[14:15], |v5|, |v6|
	s_and_saveexec_b64 s[16:17], s[14:15]
	s_xor_b64 s[14:15], exec, s[16:17]
	s_cbranch_execz .LBB160_114
; %bb.113:
	v_div_scale_f32 v7, s[16:17], v6, v6, v5
	v_div_scale_f32 v8, vcc, v5, v6, v5
	v_rcp_f32_e32 v10, v7
	v_fma_f32 v11, -v7, v10, 1.0
	v_fmac_f32_e32 v10, v11, v10
	v_mul_f32_e32 v11, v8, v10
	v_fma_f32 v12, -v7, v11, v8
	v_fmac_f32_e32 v11, v12, v10
	v_fma_f32 v7, -v7, v11, v8
	v_div_fmas_f32 v7, v7, v10, v11
	v_div_fixup_f32 v7, v7, v6, v5
	v_fmac_f32_e32 v6, v5, v7
	v_div_scale_f32 v5, s[16:17], v6, v6, 1.0
	v_div_scale_f32 v8, vcc, 1.0, v6, 1.0
	v_rcp_f32_e32 v10, v5
	v_fma_f32 v11, -v5, v10, 1.0
	v_fmac_f32_e32 v10, v11, v10
	v_mul_f32_e32 v11, v8, v10
	v_fma_f32 v12, -v5, v11, v8
	v_fmac_f32_e32 v11, v12, v10
	v_fma_f32 v5, -v5, v11, v8
	v_div_fmas_f32 v5, v5, v10, v11
	v_div_fixup_f32 v5, v5, v6, 1.0
	v_mul_f32_e32 v7, v7, v5
	v_xor_b32_e32 v8, 0x80000000, v5
                                        ; implicit-def: $vgpr5_vgpr6
.LBB160_114:
	s_andn2_saveexec_b64 s[14:15], s[14:15]
	s_cbranch_execz .LBB160_116
; %bb.115:
	v_div_scale_f32 v7, s[16:17], v5, v5, v6
	v_div_scale_f32 v8, vcc, v6, v5, v6
	v_rcp_f32_e32 v10, v7
	v_fma_f32 v11, -v7, v10, 1.0
	v_fmac_f32_e32 v10, v11, v10
	v_mul_f32_e32 v11, v8, v10
	v_fma_f32 v12, -v7, v11, v8
	v_fmac_f32_e32 v11, v12, v10
	v_fma_f32 v7, -v7, v11, v8
	v_div_fmas_f32 v7, v7, v10, v11
	v_div_fixup_f32 v8, v7, v5, v6
	v_fmac_f32_e32 v5, v6, v8
	v_div_scale_f32 v6, s[16:17], v5, v5, 1.0
	v_div_scale_f32 v7, vcc, 1.0, v5, 1.0
	v_rcp_f32_e32 v10, v6
	v_fma_f32 v11, -v6, v10, 1.0
	v_fmac_f32_e32 v10, v11, v10
	v_mul_f32_e32 v11, v7, v10
	v_fma_f32 v12, -v6, v11, v7
	v_fmac_f32_e32 v11, v12, v10
	v_fma_f32 v6, -v6, v11, v7
	v_div_fmas_f32 v6, v6, v10, v11
	v_div_fixup_f32 v7, v6, v5, 1.0
	v_mul_f32_e64 v8, v8, -v7
.LBB160_116:
	s_or_b64 exec, exec, s[14:15]
	v_lshlrev_b32_e32 v5, 3, v9
	ds_write_b64 v5, v[7:8]
.LBB160_117:
	s_or_b64 exec, exec, s[12:13]
                                        ; implicit-def: $vgpr5_vgpr6
                                        ; implicit-def: $vgpr9
.LBB160_118:
	s_andn2_saveexec_b64 s[10:11], s[10:11]
	s_cbranch_execz .LBB160_120
; %bb.119:
	v_lshlrev_b64 v[5:6], 3, v[5:6]
	v_mov_b32_e32 v7, s92
	v_add_co_u32_e32 v5, vcc, s91, v5
	v_addc_co_u32_e32 v6, vcc, v7, v6, vcc
	flat_load_dwordx2 v[5:6], v[5:6]
	v_lshlrev_b32_e32 v7, 3, v9
	s_waitcnt vmcnt(0) lgkmcnt(0)
	v_xor_b32_e32 v5, 0x80000000, v5
	v_xor_b32_e32 v6, 0x80000000, v6
	ds_write_b64 v7, v[5:6]
.LBB160_120:
	s_or_b64 exec, exec, s[10:11]
	v_add_u32_e32 v5, 48, v2
	v_mad_u64_u32 v[3:4], s[10:11], s30, v5, v[3:4]
	v_cmp_gt_u32_e32 vcc, v5, v0
	v_lshl_add_u32 v7, v5, 6, v0
	v_mad_u64_u32 v[8:9], s[10:11], s31, v5, v[4:5]
	v_cmp_gt_i32_e64 s[10:11], s90, v5
	s_and_b64 s[10:11], vcc, s[10:11]
	s_and_b64 s[10:11], s[6:7], s[10:11]
	v_mov_b32_e32 v4, v8
	s_xor_b64 s[10:11], s[10:11], -1
	s_and_saveexec_b64 s[12:13], s[10:11]
	s_xor_b64 s[10:11], exec, s[12:13]
	s_cbranch_execz .LBB160_132
; %bb.121:
	v_cmp_ne_u32_e32 vcc, v0, v5
	s_xor_b64 s[6:7], s[6:7], -1
	s_or_b64 s[6:7], s[6:7], vcc
	s_and_saveexec_b64 s[12:13], s[6:7]
	s_xor_b64 s[6:7], exec, s[12:13]
	s_cbranch_execz .LBB160_125
; %bb.122:
	v_or_b32_e32 v3, v5, v0
	v_cmp_gt_u32_e32 vcc, 64, v3
	s_and_saveexec_b64 s[12:13], vcc
; %bb.123:
	v_mov_b32_e32 v3, 0
	v_lshlrev_b32_e32 v5, 3, v7
	v_mov_b32_e32 v4, v3
	ds_write_b64 v5, v[3:4]
; %bb.124:
	s_or_b64 exec, exec, s[12:13]
                                        ; implicit-def: $vgpr7
                                        ; implicit-def: $vgpr3_vgpr4
.LBB160_125:
	s_andn2_saveexec_b64 s[6:7], s[6:7]
	s_cbranch_execz .LBB160_131
; %bb.126:
	v_lshlrev_b64 v[3:4], 3, v[3:4]
	v_mov_b32_e32 v5, s92
	v_add_co_u32_e32 v3, vcc, s91, v3
	v_addc_co_u32_e32 v4, vcc, v5, v4, vcc
	flat_load_dwordx2 v[3:4], v[3:4]
                                        ; implicit-def: $vgpr5
	s_waitcnt vmcnt(0) lgkmcnt(0)
	v_cmp_ngt_f32_e64 s[12:13], |v3|, |v4|
	s_and_saveexec_b64 s[14:15], s[12:13]
	s_xor_b64 s[12:13], exec, s[14:15]
	s_cbranch_execz .LBB160_128
; %bb.127:
	v_div_scale_f32 v5, s[14:15], v4, v4, v3
	v_div_scale_f32 v6, vcc, v3, v4, v3
	v_rcp_f32_e32 v8, v5
	v_fma_f32 v9, -v5, v8, 1.0
	v_fmac_f32_e32 v8, v9, v8
	v_mul_f32_e32 v9, v6, v8
	v_fma_f32 v10, -v5, v9, v6
	v_fmac_f32_e32 v9, v10, v8
	v_fma_f32 v5, -v5, v9, v6
	v_div_fmas_f32 v5, v5, v8, v9
	v_div_fixup_f32 v5, v5, v4, v3
	v_fmac_f32_e32 v4, v3, v5
	v_div_scale_f32 v3, s[14:15], v4, v4, 1.0
	v_div_scale_f32 v6, vcc, 1.0, v4, 1.0
	v_rcp_f32_e32 v8, v3
	v_fma_f32 v9, -v3, v8, 1.0
	v_fmac_f32_e32 v8, v9, v8
	v_mul_f32_e32 v9, v6, v8
	v_fma_f32 v10, -v3, v9, v6
	v_fmac_f32_e32 v9, v10, v8
	v_fma_f32 v3, -v3, v9, v6
	v_div_fmas_f32 v3, v3, v8, v9
	v_div_fixup_f32 v3, v3, v4, 1.0
	v_mul_f32_e32 v5, v5, v3
	v_xor_b32_e32 v6, 0x80000000, v3
                                        ; implicit-def: $vgpr3_vgpr4
.LBB160_128:
	s_andn2_saveexec_b64 s[12:13], s[12:13]
	s_cbranch_execz .LBB160_130
; %bb.129:
	v_div_scale_f32 v5, s[14:15], v3, v3, v4
	v_div_scale_f32 v6, vcc, v4, v3, v4
	v_rcp_f32_e32 v8, v5
	v_fma_f32 v9, -v5, v8, 1.0
	v_fmac_f32_e32 v8, v9, v8
	v_mul_f32_e32 v9, v6, v8
	v_fma_f32 v10, -v5, v9, v6
	v_fmac_f32_e32 v9, v10, v8
	v_fma_f32 v5, -v5, v9, v6
	v_div_fmas_f32 v5, v5, v8, v9
	v_div_fixup_f32 v6, v5, v3, v4
	v_fmac_f32_e32 v3, v4, v6
	v_div_scale_f32 v4, s[14:15], v3, v3, 1.0
	v_div_scale_f32 v5, vcc, 1.0, v3, 1.0
	v_rcp_f32_e32 v8, v4
	v_fma_f32 v9, -v4, v8, 1.0
	v_fmac_f32_e32 v8, v9, v8
	v_mul_f32_e32 v9, v5, v8
	v_fma_f32 v10, -v4, v9, v5
	v_fmac_f32_e32 v9, v10, v8
	v_fma_f32 v4, -v4, v9, v5
	v_div_fmas_f32 v4, v4, v8, v9
	v_div_fixup_f32 v5, v4, v3, 1.0
	v_mul_f32_e64 v6, v6, -v5
.LBB160_130:
	s_or_b64 exec, exec, s[12:13]
	v_lshlrev_b32_e32 v3, 3, v7
	ds_write_b64 v3, v[5:6]
.LBB160_131:
	s_or_b64 exec, exec, s[6:7]
                                        ; implicit-def: $vgpr3_vgpr4
                                        ; implicit-def: $vgpr7
.LBB160_132:
	s_andn2_saveexec_b64 s[6:7], s[10:11]
	s_cbranch_execz .LBB160_134
; %bb.133:
	v_lshlrev_b64 v[3:4], 3, v[3:4]
	v_mov_b32_e32 v5, s92
	v_add_co_u32_e32 v3, vcc, s91, v3
	v_addc_co_u32_e32 v4, vcc, v5, v4, vcc
	flat_load_dwordx2 v[3:4], v[3:4]
	v_lshlrev_b32_e32 v5, 3, v7
	s_waitcnt vmcnt(0) lgkmcnt(0)
	v_xor_b32_e32 v3, 0x80000000, v3
	v_xor_b32_e32 v4, 0x80000000, v4
	ds_write_b64 v5, v[3:4]
.LBB160_134:
	s_or_b64 exec, exec, s[6:7]
.LBB160_135:
	s_cmp_lt_i32 s8, 5
	s_cselect_b64 s[6:7], -1, 0
	s_or_b64 s[38:39], s[6:7], s[34:35]
	s_and_b64 vcc, exec, s[38:39]
	s_waitcnt vmcnt(0) lgkmcnt(0)
	s_barrier
	s_cbranch_vccnz .LBB160_995
; %bb.136:
	v_or_b32_e32 v3, v0, v2
	v_cmp_eq_u32_e32 vcc, 0, v3
	s_and_saveexec_b64 s[6:7], vcc
	s_cbranch_execz .LBB160_138
; %bb.137:
	s_movk_i32 s10, 0x1f0
	v_mov_b32_e32 v9, 0
	v_add_u32_e64 v3, s10, 0
	ds_read_b64 v[7:8], v9 offset:32760
	ds_read2st64_b64 v[3:6], v3 offset0:62 offset1:63
	s_waitcnt lgkmcnt(0)
	v_mul_f32_e32 v11, v7, v4
	v_mul_f32_e32 v10, v8, v4
	v_fmac_f32_e32 v11, v8, v3
	v_fma_f32 v4, v7, v3, -v10
	v_mul_f32_e32 v3, v11, v6
	v_fma_f32 v3, v4, v5, -v3
	v_mul_f32_e32 v4, v4, v6
	v_fmac_f32_e32 v4, v11, v5
	ds_write_b64 v9, v[3:4] offset:32752
.LBB160_138:
	s_or_b64 exec, exec, s[6:7]
	v_lshlrev_b32_e32 v3, 6, v2
	v_add_u32_e32 v8, v3, v0
	v_and_b32_e32 v4, v3, v0
	v_xor_b32_e32 v3, v3, v0
	v_lshrrev_b16_e32 v3, 1, v3
	v_add_u16_e32 v7, v4, v3
	v_and_b32_e32 v5, 1, v0
	v_sub_u32_e32 v6, 1, v7
	v_cmp_lt_u32_e64 s[10:11], 3, v8
	v_cmp_gt_u32_e64 s[6:7], 4, v8
	v_mov_b32_e32 v3, 0
	v_mov_b32_e32 v4, 0
	s_waitcnt lgkmcnt(0)
	s_barrier
	buffer_wbinvl1_vol
	s_and_saveexec_b64 s[14:15], s[6:7]
	s_cbranch_execz .LBB160_142
; %bb.139:
	v_lshlrev_b32_e32 v3, 3, v5
	v_lshlrev_b32_e32 v9, 9, v6
	ds_read_b64 v[3:4], v3 offset:32224
	ds_read_b64 v[9:10], v9 offset:32240
	v_cmp_gt_u32_e64 s[12:13], 2, v8
	s_waitcnt lgkmcnt(0)
	v_mul_f32_e32 v11, v10, v4
	v_mul_f32_e32 v4, v9, v4
	v_fma_f32 v9, v9, v3, -v11
	v_fmac_f32_e32 v4, v10, v3
	v_add_f32_e32 v3, 0, v9
	v_add_f32_e32 v4, 0, v4
	s_and_saveexec_b64 s[16:17], s[12:13]
	s_cbranch_execz .LBB160_141
; %bb.140:
	v_lshlrev_b32_e32 v9, 3, v0
	v_mov_b32_e32 v11, 0
	ds_read_b64 v[9:10], v9 offset:32736
	ds_read_b64 v[11:12], v11 offset:32760
	s_waitcnt lgkmcnt(0)
	v_mul_f32_e32 v13, v12, v10
	v_mul_f32_e32 v10, v11, v10
	v_fma_f32 v11, v11, v9, -v13
	v_fmac_f32_e32 v10, v12, v9
	v_add_f32_e32 v3, v3, v11
	v_add_f32_e32 v4, v4, v10
.LBB160_141:
	s_or_b64 exec, exec, s[16:17]
.LBB160_142:
	s_or_b64 exec, exec, s[14:15]
	v_mov_b32_e32 v9, 0x8000
	v_cmp_ne_u32_e64 s[12:13], 0, v5
	s_xor_b64 s[14:15], s[10:11], -1
	v_lshl_add_u32 v7, v7, 3, v9
	s_and_b64 s[42:43], s[12:13], s[14:15]
	s_and_saveexec_b64 s[10:11], s[42:43]
	s_cbranch_execz .LBB160_144
; %bb.143:
	v_mov_b32_e32 v9, 0
	ds_read_b64 v[9:10], v9 offset:31720
	s_waitcnt lgkmcnt(0)
	v_mul_f32_e32 v11, v4, v10
	v_mul_f32_e32 v12, v3, v10
	v_fma_f32 v3, v3, v9, -v11
	v_fmac_f32_e32 v12, v4, v9
	v_xor_b32_e32 v9, 0x80000000, v3
	v_xor_b32_e32 v10, 0x80000000, v12
	v_mov_b32_e32 v4, v12
	ds_write_b64 v7, v[9:10]
.LBB160_144:
	s_or_b64 exec, exec, s[10:11]
	v_cmp_eq_u32_e64 s[10:11], 0, v5
	s_and_b64 s[40:41], s[10:11], s[14:15]
	s_waitcnt lgkmcnt(0)
	s_barrier
	s_and_saveexec_b64 s[10:11], s[40:41]
	s_cbranch_execz .LBB160_146
; %bb.145:
	v_mov_b32_e32 v9, 0
	ds_read_b64 v[9:10], v9 offset:31712
	ds_read_b64 v[11:12], v7
	s_waitcnt lgkmcnt(0)
	v_mul_f32_e32 v13, v12, v10
	v_mul_f32_e32 v10, v11, v10
	v_fma_f32 v11, v11, v9, -v13
	v_fmac_f32_e32 v10, v12, v9
	v_sub_f32_e32 v3, v3, v11
	v_sub_f32_e32 v4, v4, v10
.LBB160_146:
	s_or_b64 exec, exec, s[10:11]
	s_barrier
	s_and_saveexec_b64 s[10:11], s[40:41]
	s_cbranch_execz .LBB160_148
; %bb.147:
	v_mov_b32_e32 v9, 0
	ds_read_b64 v[9:10], v9 offset:31200
	s_waitcnt lgkmcnt(0)
	v_mul_f32_e32 v11, v4, v10
	v_mul_f32_e32 v12, v3, v10
	v_fma_f32 v3, v3, v9, -v11
	v_fmac_f32_e32 v12, v4, v9
	v_xor_b32_e32 v9, 0x80000000, v3
	v_xor_b32_e32 v10, 0x80000000, v12
	v_mov_b32_e32 v4, v12
	ds_write_b64 v7, v[9:10]
.LBB160_148:
	s_or_b64 exec, exec, s[10:11]
	s_waitcnt lgkmcnt(0)
	s_barrier
	s_barrier
	s_and_saveexec_b64 s[10:11], s[6:7]
; %bb.149:
	v_lshlrev_b32_e32 v9, 3, v5
	v_lshl_or_b32 v9, v6, 9, v9
	ds_write_b64 v9, v[3:4] offset:32224
; %bb.150:
	s_or_b64 exec, exec, s[10:11]
	s_waitcnt lgkmcnt(0)
	s_barrier
	s_barrier
	s_and_saveexec_b64 s[10:11], vcc
	s_cbranch_execz .LBB160_152
; %bb.151:
	s_movk_i32 s12, 0x1e0
	v_mov_b32_e32 v13, 0
	v_add_u32_e64 v9, s12, 0
	ds_read_b64 v[3:4], v13 offset:31720
	ds_read2st64_b64 v[9:12], v9 offset0:60 offset1:61
	s_waitcnt lgkmcnt(0)
	v_mul_f32_e32 v14, v4, v10
	v_mul_f32_e32 v10, v3, v10
	v_fma_f32 v14, v3, v9, -v14
	v_fmac_f32_e32 v10, v4, v9
	v_mul_f32_e32 v3, v10, v12
	v_mul_f32_e32 v4, v14, v12
	v_fma_f32 v3, v14, v11, -v3
	v_fmac_f32_e32 v4, v10, v11
	ds_write_b64 v13, v[3:4] offset:31712
.LBB160_152:
	s_or_b64 exec, exec, s[10:11]
	v_lshrrev_b32_e32 v11, 2, v8
	v_and_b32_e32 v9, 3, v0
	v_sub_u32_e32 v10, 3, v11
	v_cmp_lt_u32_e64 s[10:11], 15, v8
	v_cmp_gt_u32_e64 s[18:19], 16, v8
	v_mov_b32_e32 v4, 0
	v_mov_b32_e32 v3, 0
	s_waitcnt lgkmcnt(0)
	s_barrier
	buffer_wbinvl1_vol
	s_and_saveexec_b64 s[14:15], s[18:19]
	s_cbranch_execz .LBB160_158
; %bb.153:
	v_lshlrev_b32_e32 v12, 3, v9
	v_lshlrev_b32_e32 v13, 9, v10
	ds_read_b64 v[3:4], v12 offset:31168
	ds_read_b64 v[14:15], v13 offset:31200
	v_cmp_gt_u32_e64 s[12:13], 12, v8
	s_waitcnt lgkmcnt(0)
	v_mul_f32_e32 v16, v15, v4
	v_mul_f32_e32 v4, v14, v4
	v_fma_f32 v14, v14, v3, -v16
	v_fmac_f32_e32 v4, v15, v3
	v_add_f32_e32 v3, 0, v14
	v_add_f32_e32 v4, 0, v4
	s_and_saveexec_b64 s[16:17], s[12:13]
	s_cbranch_execnz .LBB160_1054
; %bb.154:
	s_or_b64 exec, exec, s[16:17]
	v_cmp_gt_u32_e64 s[12:13], 8, v8
	s_and_saveexec_b64 s[16:17], s[12:13]
	s_cbranch_execnz .LBB160_1055
.LBB160_155:
	s_or_b64 exec, exec, s[16:17]
	v_cmp_gt_u32_e64 s[12:13], 4, v8
	s_and_saveexec_b64 s[16:17], s[12:13]
	s_cbranch_execz .LBB160_157
.LBB160_156:
	v_lshlrev_b32_e32 v12, 3, v0
	v_mov_b32_e32 v14, 0
	ds_read_b64 v[12:13], v12 offset:32704
	ds_read_b64 v[14:15], v14 offset:32760
	s_waitcnt lgkmcnt(0)
	v_mul_f32_e32 v16, v15, v13
	v_mul_f32_e32 v13, v14, v13
	v_fma_f32 v14, v14, v12, -v16
	v_fmac_f32_e32 v13, v15, v12
	v_add_f32_e32 v3, v3, v14
	v_add_f32_e32 v4, v4, v13
.LBB160_157:
	s_or_b64 exec, exec, s[16:17]
.LBB160_158:
                                        ; implicit-def: $vgpr30 : SGPR spill to VGPR lane
	v_writelane_b32 v30, s22, 0
	v_writelane_b32 v30, s23, 1
	s_or_b64 exec, exec, s[14:15]
	v_mov_b32_e32 v12, 0x8000
	v_cmp_eq_u32_e64 s[12:13], 3, v9
	s_xor_b64 s[14:15], s[10:11], -1
	v_lshl_add_u32 v11, v11, 3, v12
	s_and_b64 s[46:47], s[12:13], s[14:15]
	s_and_saveexec_b64 s[10:11], s[46:47]
	s_cbranch_execz .LBB160_160
; %bb.159:
	v_mov_b32_e32 v12, 0
	ds_read_b64 v[12:13], v12 offset:30680
	s_waitcnt lgkmcnt(0)
	v_mul_f32_e32 v14, v4, v13
	v_mul_f32_e32 v15, v3, v13
	v_fma_f32 v3, v3, v12, -v14
	v_fmac_f32_e32 v15, v4, v12
	v_xor_b32_e32 v12, 0x80000000, v3
	v_xor_b32_e32 v13, 0x80000000, v15
	v_mov_b32_e32 v4, v15
	ds_write_b64 v11, v[12:13]
.LBB160_160:
	s_or_b64 exec, exec, s[10:11]
	v_cmp_ne_u32_e64 s[10:11], 3, v9
	s_and_b64 s[48:49], s[10:11], s[14:15]
	s_waitcnt lgkmcnt(0)
	s_barrier
	s_and_saveexec_b64 s[10:11], s[48:49]
	s_cbranch_execz .LBB160_162
; %bb.161:
	v_lshlrev_b32_e32 v12, 3, v9
	ds_read_b64 v[12:13], v12 offset:30656
	ds_read_b64 v[14:15], v11
	s_waitcnt lgkmcnt(0)
	v_mul_f32_e32 v16, v15, v13
	v_mul_f32_e32 v13, v14, v13
	v_fma_f32 v14, v14, v12, -v16
	v_fmac_f32_e32 v13, v15, v12
	v_sub_f32_e32 v3, v3, v14
	v_sub_f32_e32 v4, v4, v13
.LBB160_162:
	s_or_b64 exec, exec, s[10:11]
	v_cmp_eq_u32_e64 s[10:11], 2, v9
	s_and_b64 s[50:51], s[10:11], s[14:15]
	s_barrier
	s_and_saveexec_b64 s[10:11], s[50:51]
	s_cbranch_execz .LBB160_164
; %bb.163:
	v_mov_b32_e32 v12, 0
	ds_read_b64 v[12:13], v12 offset:30160
	s_waitcnt lgkmcnt(0)
	v_mul_f32_e32 v14, v4, v13
	v_mul_f32_e32 v15, v3, v13
	v_fma_f32 v3, v3, v12, -v14
	v_fmac_f32_e32 v15, v4, v12
	v_xor_b32_e32 v12, 0x80000000, v3
	v_xor_b32_e32 v13, 0x80000000, v15
	v_mov_b32_e32 v4, v15
	ds_write_b64 v11, v[12:13]
.LBB160_164:
	s_or_b64 exec, exec, s[10:11]
	v_cmp_gt_u32_e64 s[10:11], 2, v9
	s_and_b64 s[52:53], s[10:11], s[14:15]
	s_waitcnt lgkmcnt(0)
	s_barrier
	s_and_saveexec_b64 s[10:11], s[52:53]
	s_cbranch_execz .LBB160_166
; %bb.165:
	v_lshlrev_b32_e32 v12, 3, v9
	ds_read_b64 v[12:13], v12 offset:30144
	ds_read_b64 v[14:15], v11
	s_waitcnt lgkmcnt(0)
	v_mul_f32_e32 v16, v15, v13
	v_mul_f32_e32 v13, v14, v13
	v_fma_f32 v14, v14, v12, -v16
	v_fmac_f32_e32 v13, v15, v12
	v_sub_f32_e32 v3, v3, v14
	v_sub_f32_e32 v4, v4, v13
.LBB160_166:
	s_or_b64 exec, exec, s[10:11]
	v_cmp_eq_u32_e64 s[10:11], 1, v9
	s_and_b64 s[54:55], s[10:11], s[14:15]
	s_barrier
	s_and_saveexec_b64 s[10:11], s[54:55]
	s_cbranch_execz .LBB160_168
; %bb.167:
	v_mov_b32_e32 v12, 0
	ds_read_b64 v[12:13], v12 offset:29640
	s_waitcnt lgkmcnt(0)
	v_mul_f32_e32 v14, v4, v13
	v_mul_f32_e32 v15, v3, v13
	v_fma_f32 v3, v3, v12, -v14
	v_fmac_f32_e32 v15, v4, v12
	v_xor_b32_e32 v12, 0x80000000, v3
	v_xor_b32_e32 v13, 0x80000000, v15
	v_mov_b32_e32 v4, v15
	ds_write_b64 v11, v[12:13]
.LBB160_168:
	s_or_b64 exec, exec, s[10:11]
	v_cmp_eq_u32_e64 s[10:11], 0, v9
	s_and_b64 s[44:45], s[10:11], s[14:15]
	s_waitcnt lgkmcnt(0)
	s_barrier
	s_and_saveexec_b64 s[10:11], s[44:45]
	s_cbranch_execz .LBB160_170
; %bb.169:
	v_mov_b32_e32 v12, 0
	ds_read_b64 v[12:13], v12 offset:29632
	ds_read_b64 v[14:15], v11
	s_waitcnt lgkmcnt(0)
	v_mul_f32_e32 v16, v15, v13
	v_mul_f32_e32 v13, v14, v13
	v_fma_f32 v14, v14, v12, -v16
	v_fmac_f32_e32 v13, v15, v12
	v_sub_f32_e32 v3, v3, v14
	v_sub_f32_e32 v4, v4, v13
.LBB160_170:
	s_or_b64 exec, exec, s[10:11]
	s_barrier
	s_and_saveexec_b64 s[10:11], s[44:45]
	s_cbranch_execz .LBB160_172
; %bb.171:
	v_mov_b32_e32 v12, 0
	ds_read_b64 v[12:13], v12 offset:29120
	s_waitcnt lgkmcnt(0)
	v_mul_f32_e32 v14, v4, v13
	v_mul_f32_e32 v15, v3, v13
	v_fma_f32 v3, v3, v12, -v14
	v_fmac_f32_e32 v15, v4, v12
	v_xor_b32_e32 v12, 0x80000000, v3
	v_xor_b32_e32 v13, 0x80000000, v15
	v_mov_b32_e32 v4, v15
	ds_write_b64 v11, v[12:13]
.LBB160_172:
	s_or_b64 exec, exec, s[10:11]
	s_waitcnt lgkmcnt(0)
	s_barrier
	s_barrier
	s_and_saveexec_b64 s[10:11], s[18:19]
; %bb.173:
	v_lshlrev_b32_e32 v12, 3, v9
	v_lshl_or_b32 v12, v10, 9, v12
	ds_write_b64 v12, v[3:4] offset:31168
; %bb.174:
	s_or_b64 exec, exec, s[10:11]
	s_waitcnt lgkmcnt(0)
	s_barrier
	s_barrier
	s_and_saveexec_b64 s[10:11], vcc
	s_cbranch_execz .LBB160_176
; %bb.175:
	s_movk_i32 s12, 0x1d0
	v_mov_b32_e32 v16, 0
	v_add_u32_e64 v12, s12, 0
	ds_read_b64 v[3:4], v16 offset:30680
	ds_read2st64_b64 v[12:15], v12 offset0:58 offset1:59
	s_waitcnt lgkmcnt(0)
	v_mul_f32_e32 v17, v4, v13
	v_mul_f32_e32 v13, v3, v13
	v_fma_f32 v17, v3, v12, -v17
	v_fmac_f32_e32 v13, v4, v12
	v_mul_f32_e32 v3, v13, v15
	v_mul_f32_e32 v4, v17, v15
	v_fma_f32 v3, v17, v14, -v3
	v_fmac_f32_e32 v4, v13, v14
	ds_write_b64 v16, v[3:4] offset:30672
.LBB160_176:
	s_or_b64 exec, exec, s[10:11]
	v_mov_b32_e32 v3, 0
	v_mov_b32_e32 v4, 0
	s_waitcnt lgkmcnt(0)
	s_barrier
	buffer_wbinvl1_vol
	s_and_saveexec_b64 s[12:13], s[6:7]
	s_cbranch_execz .LBB160_180
; %bb.177:
	v_lshlrev_b32_e32 v3, 3, v5
	v_lshlrev_b32_e32 v12, 9, v6
	ds_read_b64 v[3:4], v3 offset:30144
	ds_read_b64 v[12:13], v12 offset:30160
	v_cmp_gt_u32_e64 s[10:11], 2, v8
	s_waitcnt lgkmcnt(0)
	v_mul_f32_e32 v14, v13, v4
	v_mul_f32_e32 v4, v12, v4
	v_fma_f32 v12, v12, v3, -v14
	v_fmac_f32_e32 v4, v13, v3
	v_add_f32_e32 v3, 0, v12
	v_add_f32_e32 v4, 0, v4
	s_and_saveexec_b64 s[14:15], s[10:11]
	s_cbranch_execz .LBB160_179
; %bb.178:
	v_lshlrev_b32_e32 v12, 3, v0
	v_mov_b32_e32 v14, 0
	ds_read_b64 v[12:13], v12 offset:30656
	ds_read_b64 v[14:15], v14 offset:30680
	s_waitcnt lgkmcnt(0)
	v_mul_f32_e32 v16, v15, v13
	v_mul_f32_e32 v13, v14, v13
	v_fma_f32 v14, v14, v12, -v16
	v_fmac_f32_e32 v13, v15, v12
	v_add_f32_e32 v3, v3, v14
	v_add_f32_e32 v4, v4, v13
.LBB160_179:
	s_or_b64 exec, exec, s[14:15]
.LBB160_180:
	s_or_b64 exec, exec, s[12:13]
	s_and_saveexec_b64 s[10:11], s[42:43]
	s_cbranch_execz .LBB160_182
; %bb.181:
	v_mov_b32_e32 v12, 0
	ds_read_b64 v[12:13], v12 offset:29640
	s_waitcnt lgkmcnt(0)
	v_mul_f32_e32 v14, v4, v13
	v_mul_f32_e32 v15, v3, v13
	v_fma_f32 v3, v3, v12, -v14
	v_fmac_f32_e32 v15, v4, v12
	v_xor_b32_e32 v12, 0x80000000, v3
	v_xor_b32_e32 v13, 0x80000000, v15
	v_mov_b32_e32 v4, v15
	ds_write_b64 v7, v[12:13]
.LBB160_182:
	s_or_b64 exec, exec, s[10:11]
	s_waitcnt lgkmcnt(0)
	s_barrier
	s_and_saveexec_b64 s[10:11], s[40:41]
	s_cbranch_execz .LBB160_184
; %bb.183:
	v_mov_b32_e32 v12, 0
	ds_read_b64 v[12:13], v12 offset:29632
	ds_read_b64 v[14:15], v7
	s_waitcnt lgkmcnt(0)
	v_mul_f32_e32 v16, v15, v13
	v_mul_f32_e32 v13, v14, v13
	v_fma_f32 v14, v14, v12, -v16
	v_fmac_f32_e32 v13, v15, v12
	v_sub_f32_e32 v3, v3, v14
	v_sub_f32_e32 v4, v4, v13
.LBB160_184:
	s_or_b64 exec, exec, s[10:11]
	s_barrier
	s_and_saveexec_b64 s[10:11], s[40:41]
	s_cbranch_execz .LBB160_186
; %bb.185:
	v_mov_b32_e32 v12, 0
	ds_read_b64 v[12:13], v12 offset:29120
	s_waitcnt lgkmcnt(0)
	v_mul_f32_e32 v14, v4, v13
	v_mul_f32_e32 v15, v3, v13
	v_fma_f32 v3, v3, v12, -v14
	v_fmac_f32_e32 v15, v4, v12
	v_xor_b32_e32 v12, 0x80000000, v3
	v_xor_b32_e32 v13, 0x80000000, v15
	v_mov_b32_e32 v4, v15
	ds_write_b64 v7, v[12:13]
.LBB160_186:
	s_or_b64 exec, exec, s[10:11]
	s_waitcnt lgkmcnt(0)
	s_barrier
	s_barrier
	s_and_saveexec_b64 s[10:11], s[6:7]
; %bb.187:
	v_lshlrev_b32_e32 v12, 3, v5
	v_lshl_or_b32 v12, v6, 9, v12
	ds_write_b64 v12, v[3:4] offset:30144
; %bb.188:
	s_or_b64 exec, exec, s[10:11]
	s_waitcnt lgkmcnt(0)
	s_barrier
	s_barrier
	s_and_saveexec_b64 s[10:11], vcc
	s_cbranch_execz .LBB160_190
; %bb.189:
	s_movk_i32 s12, 0x1c0
	v_mov_b32_e32 v16, 0
	v_add_u32_e64 v12, s12, 0
	ds_read_b64 v[3:4], v16 offset:29640
	ds_read2st64_b64 v[12:15], v12 offset0:56 offset1:57
	s_waitcnt lgkmcnt(0)
	v_mul_f32_e32 v17, v4, v13
	v_mul_f32_e32 v13, v3, v13
	v_fma_f32 v17, v3, v12, -v17
	v_fmac_f32_e32 v13, v4, v12
	v_mul_f32_e32 v3, v13, v15
	v_mul_f32_e32 v4, v17, v15
	v_fma_f32 v3, v17, v14, -v3
	v_fmac_f32_e32 v4, v13, v14
	ds_write_b64 v16, v[3:4] offset:29632
.LBB160_190:
	s_or_b64 exec, exec, s[10:11]
	v_lshrrev_b32_e32 v14, 3, v8
	v_and_b32_e32 v12, 7, v0
	v_sub_u32_e32 v13, 7, v14
	v_cmp_lt_u32_e64 s[12:13], 63, v8
	v_cmp_gt_u32_e64 s[10:11], 64, v8
	v_mov_b32_e32 v4, 0
	v_mov_b32_e32 v3, 0
	s_waitcnt lgkmcnt(0)
	s_barrier
	buffer_wbinvl1_vol
	s_and_saveexec_b64 s[16:17], s[10:11]
	s_cbranch_execz .LBB160_200
; %bb.191:
	v_lshlrev_b32_e32 v15, 3, v12
	v_lshlrev_b32_e32 v16, 9, v13
	ds_read_b64 v[3:4], v15 offset:29056
	ds_read_b64 v[17:18], v16 offset:29120
	v_cmp_gt_u32_e64 s[14:15], 56, v8
	s_waitcnt lgkmcnt(0)
	v_mul_f32_e32 v19, v18, v4
	v_mul_f32_e32 v4, v17, v4
	v_fma_f32 v17, v17, v3, -v19
	v_fmac_f32_e32 v4, v18, v3
	v_add_f32_e32 v3, 0, v17
	v_add_f32_e32 v4, 0, v4
	s_and_saveexec_b64 s[20:21], s[14:15]
	s_cbranch_execnz .LBB160_1056
; %bb.192:
	s_or_b64 exec, exec, s[20:21]
	v_cmp_gt_u32_e64 s[14:15], 48, v8
	s_and_saveexec_b64 s[20:21], s[14:15]
	s_cbranch_execnz .LBB160_1057
.LBB160_193:
	s_or_b64 exec, exec, s[20:21]
	v_cmp_gt_u32_e64 s[14:15], 40, v8
	s_and_saveexec_b64 s[20:21], s[14:15]
	s_cbranch_execnz .LBB160_1058
.LBB160_194:
	s_or_b64 exec, exec, s[20:21]
	v_cmp_gt_u32_e64 s[14:15], 32, v8
	s_and_saveexec_b64 s[20:21], s[14:15]
	s_cbranch_execnz .LBB160_1059
.LBB160_195:
	s_or_b64 exec, exec, s[20:21]
	v_cmp_gt_u32_e64 s[14:15], 24, v8
	s_and_saveexec_b64 s[20:21], s[14:15]
	s_cbranch_execnz .LBB160_1060
.LBB160_196:
	s_or_b64 exec, exec, s[20:21]
	s_and_saveexec_b64 s[14:15], s[18:19]
	s_cbranch_execnz .LBB160_1061
.LBB160_197:
	s_or_b64 exec, exec, s[14:15]
	v_cmp_gt_u32_e64 s[14:15], 8, v8
	s_and_saveexec_b64 s[20:21], s[14:15]
	s_cbranch_execz .LBB160_199
.LBB160_198:
	v_lshlrev_b32_e32 v15, 3, v0
	v_mov_b32_e32 v17, 0
	ds_read_b64 v[15:16], v15 offset:32640
	ds_read_b64 v[17:18], v17 offset:32760
	s_waitcnt lgkmcnt(0)
	v_mul_f32_e32 v19, v18, v16
	v_mul_f32_e32 v16, v17, v16
	v_fma_f32 v17, v17, v15, -v19
	v_fmac_f32_e32 v16, v18, v15
	v_add_f32_e32 v3, v3, v17
	v_add_f32_e32 v4, v4, v16
.LBB160_199:
	s_or_b64 exec, exec, s[20:21]
.LBB160_200:
	v_writelane_b32 v30, s58, 2
	s_or_b64 exec, exec, s[16:17]
	v_mov_b32_e32 v15, 0x8000
	v_cmp_eq_u32_e64 s[14:15], 7, v12
	s_xor_b64 s[16:17], s[12:13], -1
	v_lshl_add_u32 v14, v14, 3, v15
	s_and_b64 s[58:59], s[14:15], s[16:17]
	s_and_saveexec_b64 s[12:13], s[58:59]
	s_cbranch_execz .LBB160_202
; %bb.201:
	v_mov_b32_e32 v15, 0
	ds_read_b64 v[15:16], v15 offset:28600
	s_waitcnt lgkmcnt(0)
	v_mul_f32_e32 v17, v4, v16
	v_mul_f32_e32 v18, v3, v16
	v_fma_f32 v3, v3, v15, -v17
	v_fmac_f32_e32 v18, v4, v15
	v_xor_b32_e32 v15, 0x80000000, v3
	v_xor_b32_e32 v16, 0x80000000, v18
	v_mov_b32_e32 v4, v18
	ds_write_b64 v14, v[15:16]
.LBB160_202:
	s_or_b64 exec, exec, s[12:13]
	v_cmp_ne_u32_e64 s[12:13], 7, v12
	s_and_b64 s[60:61], s[12:13], s[16:17]
	s_waitcnt lgkmcnt(0)
	s_barrier
	s_and_saveexec_b64 s[12:13], s[60:61]
	s_cbranch_execz .LBB160_204
; %bb.203:
	v_lshlrev_b32_e32 v15, 3, v12
	ds_read_b64 v[15:16], v15 offset:28544
	ds_read_b64 v[17:18], v14
	s_waitcnt lgkmcnt(0)
	v_mul_f32_e32 v19, v18, v16
	v_mul_f32_e32 v16, v17, v16
	v_fma_f32 v17, v17, v15, -v19
	v_fmac_f32_e32 v16, v18, v15
	v_sub_f32_e32 v3, v3, v17
	v_sub_f32_e32 v4, v4, v16
.LBB160_204:
	s_or_b64 exec, exec, s[12:13]
	v_cmp_eq_u32_e64 s[12:13], 6, v12
	s_and_b64 s[62:63], s[12:13], s[16:17]
	s_barrier
	s_and_saveexec_b64 s[12:13], s[62:63]
	s_cbranch_execz .LBB160_206
; %bb.205:
	v_mov_b32_e32 v15, 0
	ds_read_b64 v[15:16], v15 offset:28080
	s_waitcnt lgkmcnt(0)
	v_mul_f32_e32 v17, v4, v16
	v_mul_f32_e32 v18, v3, v16
	v_fma_f32 v3, v3, v15, -v17
	v_fmac_f32_e32 v18, v4, v15
	v_xor_b32_e32 v15, 0x80000000, v3
	v_xor_b32_e32 v16, 0x80000000, v18
	v_mov_b32_e32 v4, v18
	ds_write_b64 v14, v[15:16]
.LBB160_206:
	s_or_b64 exec, exec, s[12:13]
	v_cmp_gt_u32_e64 s[12:13], 6, v12
	s_and_b64 s[64:65], s[12:13], s[16:17]
	s_waitcnt lgkmcnt(0)
	s_barrier
	s_and_saveexec_b64 s[12:13], s[64:65]
	s_cbranch_execz .LBB160_208
; %bb.207:
	v_lshlrev_b32_e32 v15, 3, v12
	ds_read_b64 v[15:16], v15 offset:28032
	ds_read_b64 v[17:18], v14
	s_waitcnt lgkmcnt(0)
	v_mul_f32_e32 v19, v18, v16
	v_mul_f32_e32 v16, v17, v16
	v_fma_f32 v17, v17, v15, -v19
	v_fmac_f32_e32 v16, v18, v15
	v_sub_f32_e32 v3, v3, v17
	v_sub_f32_e32 v4, v4, v16
.LBB160_208:
	s_or_b64 exec, exec, s[12:13]
	v_cmp_eq_u32_e64 s[12:13], 5, v12
	s_and_b64 s[66:67], s[12:13], s[16:17]
	s_barrier
	s_and_saveexec_b64 s[12:13], s[66:67]
	s_cbranch_execz .LBB160_210
; %bb.209:
	v_mov_b32_e32 v15, 0
	ds_read_b64 v[15:16], v15 offset:27560
	s_waitcnt lgkmcnt(0)
	v_mul_f32_e32 v17, v4, v16
	v_mul_f32_e32 v18, v3, v16
	v_fma_f32 v3, v3, v15, -v17
	v_fmac_f32_e32 v18, v4, v15
	v_xor_b32_e32 v15, 0x80000000, v3
	v_xor_b32_e32 v16, 0x80000000, v18
	v_mov_b32_e32 v4, v18
	ds_write_b64 v14, v[15:16]
.LBB160_210:
	s_or_b64 exec, exec, s[12:13]
	v_cmp_gt_u32_e64 s[12:13], 5, v12
	;; [unrolled: 38-line block ×5, first 2 shown]
	s_and_b64 s[80:81], s[12:13], s[16:17]
	s_waitcnt lgkmcnt(0)
	s_barrier
	s_and_saveexec_b64 s[12:13], s[80:81]
	s_cbranch_execz .LBB160_224
; %bb.223:
	v_lshlrev_b32_e32 v15, 3, v12
	ds_read_b64 v[15:16], v15 offset:25984
	ds_read_b64 v[17:18], v14
	s_waitcnt lgkmcnt(0)
	v_mul_f32_e32 v19, v18, v16
	v_mul_f32_e32 v16, v17, v16
	v_fma_f32 v17, v17, v15, -v19
	v_fmac_f32_e32 v16, v18, v15
	v_sub_f32_e32 v3, v3, v17
	v_sub_f32_e32 v4, v4, v16
.LBB160_224:
	s_or_b64 exec, exec, s[12:13]
	v_cmp_eq_u32_e64 s[12:13], 1, v12
	s_and_b64 s[82:83], s[12:13], s[16:17]
	s_barrier
	s_and_saveexec_b64 s[12:13], s[82:83]
	s_cbranch_execz .LBB160_226
; %bb.225:
	v_mov_b32_e32 v15, 0
	ds_read_b64 v[15:16], v15 offset:25480
	s_waitcnt lgkmcnt(0)
	v_mul_f32_e32 v17, v4, v16
	v_mul_f32_e32 v18, v3, v16
	v_fma_f32 v3, v3, v15, -v17
	v_fmac_f32_e32 v18, v4, v15
	v_xor_b32_e32 v15, 0x80000000, v3
	v_xor_b32_e32 v16, 0x80000000, v18
	v_mov_b32_e32 v4, v18
	ds_write_b64 v14, v[15:16]
.LBB160_226:
	s_or_b64 exec, exec, s[12:13]
	v_cmp_eq_u32_e64 s[12:13], 0, v12
	s_and_b64 s[56:57], s[12:13], s[16:17]
	s_waitcnt lgkmcnt(0)
	s_barrier
	s_and_saveexec_b64 s[12:13], s[56:57]
	s_cbranch_execz .LBB160_228
; %bb.227:
	v_mov_b32_e32 v15, 0
	ds_read_b64 v[15:16], v15 offset:25472
	ds_read_b64 v[17:18], v14
	s_waitcnt lgkmcnt(0)
	v_mul_f32_e32 v19, v18, v16
	v_mul_f32_e32 v16, v17, v16
	v_fma_f32 v17, v17, v15, -v19
	v_fmac_f32_e32 v16, v18, v15
	v_sub_f32_e32 v3, v3, v17
	v_sub_f32_e32 v4, v4, v16
.LBB160_228:
	s_or_b64 exec, exec, s[12:13]
	s_barrier
	s_and_saveexec_b64 s[12:13], s[56:57]
	s_cbranch_execz .LBB160_230
; %bb.229:
	v_mov_b32_e32 v15, 0
	ds_read_b64 v[15:16], v15 offset:24960
	s_waitcnt lgkmcnt(0)
	v_mul_f32_e32 v17, v4, v16
	v_mul_f32_e32 v18, v3, v16
	v_fma_f32 v3, v3, v15, -v17
	v_fmac_f32_e32 v18, v4, v15
	v_xor_b32_e32 v15, 0x80000000, v3
	v_xor_b32_e32 v16, 0x80000000, v18
	v_mov_b32_e32 v4, v18
	ds_write_b64 v14, v[15:16]
.LBB160_230:
	s_or_b64 exec, exec, s[12:13]
	s_waitcnt lgkmcnt(0)
	s_barrier
	s_barrier
	s_and_saveexec_b64 s[12:13], s[10:11]
; %bb.231:
	v_lshlrev_b32_e32 v15, 3, v12
	v_lshl_or_b32 v15, v13, 9, v15
	ds_write_b64 v15, v[3:4] offset:29056
; %bb.232:
	s_or_b64 exec, exec, s[12:13]
	s_waitcnt lgkmcnt(0)
	s_barrier
	s_barrier
	s_and_saveexec_b64 s[12:13], vcc
	s_cbranch_execz .LBB160_234
; %bb.233:
	s_movk_i32 s14, 0x1b0
	v_mov_b32_e32 v19, 0
	v_add_u32_e64 v15, s14, 0
	ds_read_b64 v[3:4], v19 offset:28600
	ds_read2st64_b64 v[15:18], v15 offset0:54 offset1:55
	s_waitcnt lgkmcnt(0)
	v_mul_f32_e32 v20, v4, v16
	v_mul_f32_e32 v16, v3, v16
	v_fma_f32 v20, v3, v15, -v20
	v_fmac_f32_e32 v16, v4, v15
	v_mul_f32_e32 v3, v16, v18
	v_mul_f32_e32 v4, v20, v18
	v_fma_f32 v3, v20, v17, -v3
	v_fmac_f32_e32 v4, v16, v17
	ds_write_b64 v19, v[3:4] offset:28592
.LBB160_234:
	s_or_b64 exec, exec, s[12:13]
	v_mov_b32_e32 v3, 0
	v_mov_b32_e32 v4, 0
	s_waitcnt lgkmcnt(0)
	s_barrier
	buffer_wbinvl1_vol
	s_and_saveexec_b64 s[14:15], s[6:7]
	s_cbranch_execz .LBB160_238
; %bb.235:
	v_lshlrev_b32_e32 v3, 3, v5
	v_lshlrev_b32_e32 v15, 9, v6
	ds_read_b64 v[3:4], v3 offset:28064
	ds_read_b64 v[15:16], v15 offset:28080
	v_cmp_gt_u32_e64 s[12:13], 2, v8
	s_waitcnt lgkmcnt(0)
	v_mul_f32_e32 v17, v16, v4
	v_mul_f32_e32 v4, v15, v4
	v_fma_f32 v15, v15, v3, -v17
	v_fmac_f32_e32 v4, v16, v3
	v_add_f32_e32 v3, 0, v15
	v_add_f32_e32 v4, 0, v4
	s_and_saveexec_b64 s[16:17], s[12:13]
	s_cbranch_execz .LBB160_237
; %bb.236:
	v_lshlrev_b32_e32 v15, 3, v0
	v_mov_b32_e32 v17, 0
	ds_read_b64 v[15:16], v15 offset:28576
	ds_read_b64 v[17:18], v17 offset:28600
	s_waitcnt lgkmcnt(0)
	v_mul_f32_e32 v19, v18, v16
	v_mul_f32_e32 v16, v17, v16
	v_fma_f32 v17, v17, v15, -v19
	v_fmac_f32_e32 v16, v18, v15
	v_add_f32_e32 v3, v3, v17
	v_add_f32_e32 v4, v4, v16
.LBB160_237:
	s_or_b64 exec, exec, s[16:17]
.LBB160_238:
	s_or_b64 exec, exec, s[14:15]
	s_and_saveexec_b64 s[12:13], s[42:43]
	s_cbranch_execz .LBB160_240
; %bb.239:
	v_mov_b32_e32 v15, 0
	ds_read_b64 v[15:16], v15 offset:27560
	s_waitcnt lgkmcnt(0)
	v_mul_f32_e32 v17, v4, v16
	v_mul_f32_e32 v18, v3, v16
	v_fma_f32 v3, v3, v15, -v17
	v_fmac_f32_e32 v18, v4, v15
	v_xor_b32_e32 v15, 0x80000000, v3
	v_xor_b32_e32 v16, 0x80000000, v18
	v_mov_b32_e32 v4, v18
	ds_write_b64 v7, v[15:16]
.LBB160_240:
	s_or_b64 exec, exec, s[12:13]
	s_waitcnt lgkmcnt(0)
	s_barrier
	s_and_saveexec_b64 s[12:13], s[40:41]
	s_cbranch_execz .LBB160_242
; %bb.241:
	v_mov_b32_e32 v15, 0
	ds_read_b64 v[15:16], v15 offset:27552
	ds_read_b64 v[17:18], v7
	s_waitcnt lgkmcnt(0)
	v_mul_f32_e32 v19, v18, v16
	v_mul_f32_e32 v16, v17, v16
	v_fma_f32 v17, v17, v15, -v19
	v_fmac_f32_e32 v16, v18, v15
	v_sub_f32_e32 v3, v3, v17
	v_sub_f32_e32 v4, v4, v16
.LBB160_242:
	s_or_b64 exec, exec, s[12:13]
	s_barrier
	s_and_saveexec_b64 s[12:13], s[40:41]
	s_cbranch_execz .LBB160_244
; %bb.243:
	v_mov_b32_e32 v15, 0
	ds_read_b64 v[15:16], v15 offset:27040
	s_waitcnt lgkmcnt(0)
	v_mul_f32_e32 v17, v4, v16
	v_mul_f32_e32 v18, v3, v16
	v_fma_f32 v3, v3, v15, -v17
	v_fmac_f32_e32 v18, v4, v15
	v_xor_b32_e32 v15, 0x80000000, v3
	v_xor_b32_e32 v16, 0x80000000, v18
	v_mov_b32_e32 v4, v18
	ds_write_b64 v7, v[15:16]
.LBB160_244:
	s_or_b64 exec, exec, s[12:13]
	s_waitcnt lgkmcnt(0)
	s_barrier
	s_barrier
	s_and_saveexec_b64 s[12:13], s[6:7]
; %bb.245:
	v_lshlrev_b32_e32 v15, 3, v5
	v_lshl_or_b32 v15, v6, 9, v15
	ds_write_b64 v15, v[3:4] offset:28064
; %bb.246:
	s_or_b64 exec, exec, s[12:13]
	s_waitcnt lgkmcnt(0)
	s_barrier
	s_barrier
	s_and_saveexec_b64 s[12:13], vcc
	s_cbranch_execz .LBB160_248
; %bb.247:
	s_movk_i32 s14, 0x1a0
	v_mov_b32_e32 v19, 0
	v_add_u32_e64 v15, s14, 0
	ds_read_b64 v[3:4], v19 offset:27560
	ds_read2st64_b64 v[15:18], v15 offset0:52 offset1:53
	s_waitcnt lgkmcnt(0)
	v_mul_f32_e32 v20, v4, v16
	v_mul_f32_e32 v16, v3, v16
	v_fma_f32 v20, v3, v15, -v20
	v_fmac_f32_e32 v16, v4, v15
	v_mul_f32_e32 v3, v16, v18
	v_mul_f32_e32 v4, v20, v18
	v_fma_f32 v3, v20, v17, -v3
	v_fmac_f32_e32 v4, v16, v17
	ds_write_b64 v19, v[3:4] offset:27552
.LBB160_248:
	s_or_b64 exec, exec, s[12:13]
	v_mov_b32_e32 v4, 0
	v_mov_b32_e32 v3, 0
	s_waitcnt lgkmcnt(0)
	s_barrier
	buffer_wbinvl1_vol
	s_and_saveexec_b64 s[14:15], s[18:19]
	s_cbranch_execz .LBB160_254
; %bb.249:
	v_lshlrev_b32_e32 v15, 3, v9
	v_lshlrev_b32_e32 v16, 9, v10
	ds_read_b64 v[3:4], v15 offset:27008
	ds_read_b64 v[17:18], v16 offset:27040
	v_cmp_gt_u32_e64 s[12:13], 12, v8
	s_waitcnt lgkmcnt(0)
	v_mul_f32_e32 v19, v18, v4
	v_mul_f32_e32 v4, v17, v4
	v_fma_f32 v17, v17, v3, -v19
	v_fmac_f32_e32 v4, v18, v3
	v_add_f32_e32 v3, 0, v17
	v_add_f32_e32 v4, 0, v4
	s_and_saveexec_b64 s[16:17], s[12:13]
	s_cbranch_execnz .LBB160_1062
; %bb.250:
	s_or_b64 exec, exec, s[16:17]
	v_cmp_gt_u32_e64 s[12:13], 8, v8
	s_and_saveexec_b64 s[16:17], s[12:13]
	s_cbranch_execnz .LBB160_1063
.LBB160_251:
	s_or_b64 exec, exec, s[16:17]
	v_cmp_gt_u32_e64 s[12:13], 4, v8
	s_and_saveexec_b64 s[16:17], s[12:13]
	s_cbranch_execz .LBB160_253
.LBB160_252:
	v_lshlrev_b32_e32 v15, 3, v0
	v_mov_b32_e32 v17, 0
	ds_read_b64 v[15:16], v15 offset:28544
	ds_read_b64 v[17:18], v17 offset:28600
	s_waitcnt lgkmcnt(0)
	v_mul_f32_e32 v19, v18, v16
	v_mul_f32_e32 v16, v17, v16
	v_fma_f32 v17, v17, v15, -v19
	v_fmac_f32_e32 v16, v18, v15
	v_add_f32_e32 v3, v3, v17
	v_add_f32_e32 v4, v4, v16
.LBB160_253:
	s_or_b64 exec, exec, s[16:17]
.LBB160_254:
	s_or_b64 exec, exec, s[14:15]
	s_and_saveexec_b64 s[12:13], s[46:47]
	s_cbranch_execz .LBB160_256
; %bb.255:
	v_mov_b32_e32 v15, 0
	ds_read_b64 v[15:16], v15 offset:26520
	s_waitcnt lgkmcnt(0)
	v_mul_f32_e32 v17, v4, v16
	v_mul_f32_e32 v18, v3, v16
	v_fma_f32 v3, v3, v15, -v17
	v_fmac_f32_e32 v18, v4, v15
	v_xor_b32_e32 v15, 0x80000000, v3
	v_xor_b32_e32 v16, 0x80000000, v18
	v_mov_b32_e32 v4, v18
	ds_write_b64 v11, v[15:16]
.LBB160_256:
	s_or_b64 exec, exec, s[12:13]
	s_waitcnt lgkmcnt(0)
	s_barrier
	s_and_saveexec_b64 s[12:13], s[48:49]
	s_cbranch_execz .LBB160_258
; %bb.257:
	v_lshlrev_b32_e32 v15, 3, v9
	ds_read_b64 v[15:16], v15 offset:26496
	ds_read_b64 v[17:18], v11
	s_waitcnt lgkmcnt(0)
	v_mul_f32_e32 v19, v18, v16
	v_mul_f32_e32 v16, v17, v16
	v_fma_f32 v17, v17, v15, -v19
	v_fmac_f32_e32 v16, v18, v15
	v_sub_f32_e32 v3, v3, v17
	v_sub_f32_e32 v4, v4, v16
.LBB160_258:
	s_or_b64 exec, exec, s[12:13]
	s_barrier
	s_and_saveexec_b64 s[12:13], s[50:51]
	s_cbranch_execz .LBB160_260
; %bb.259:
	v_mov_b32_e32 v15, 0
	ds_read_b64 v[15:16], v15 offset:26000
	s_waitcnt lgkmcnt(0)
	v_mul_f32_e32 v17, v4, v16
	v_mul_f32_e32 v18, v3, v16
	v_fma_f32 v3, v3, v15, -v17
	v_fmac_f32_e32 v18, v4, v15
	v_xor_b32_e32 v15, 0x80000000, v3
	v_xor_b32_e32 v16, 0x80000000, v18
	v_mov_b32_e32 v4, v18
	ds_write_b64 v11, v[15:16]
.LBB160_260:
	s_or_b64 exec, exec, s[12:13]
	s_waitcnt lgkmcnt(0)
	s_barrier
	s_and_saveexec_b64 s[12:13], s[52:53]
	s_cbranch_execz .LBB160_262
; %bb.261:
	v_lshlrev_b32_e32 v15, 3, v9
	ds_read_b64 v[15:16], v15 offset:25984
	ds_read_b64 v[17:18], v11
	s_waitcnt lgkmcnt(0)
	v_mul_f32_e32 v19, v18, v16
	v_mul_f32_e32 v16, v17, v16
	v_fma_f32 v17, v17, v15, -v19
	v_fmac_f32_e32 v16, v18, v15
	v_sub_f32_e32 v3, v3, v17
	v_sub_f32_e32 v4, v4, v16
.LBB160_262:
	s_or_b64 exec, exec, s[12:13]
	s_barrier
	s_and_saveexec_b64 s[12:13], s[54:55]
	s_cbranch_execz .LBB160_264
; %bb.263:
	v_mov_b32_e32 v15, 0
	ds_read_b64 v[15:16], v15 offset:25480
	s_waitcnt lgkmcnt(0)
	v_mul_f32_e32 v17, v4, v16
	v_mul_f32_e32 v18, v3, v16
	v_fma_f32 v3, v3, v15, -v17
	v_fmac_f32_e32 v18, v4, v15
	v_xor_b32_e32 v15, 0x80000000, v3
	v_xor_b32_e32 v16, 0x80000000, v18
	v_mov_b32_e32 v4, v18
	ds_write_b64 v11, v[15:16]
.LBB160_264:
	s_or_b64 exec, exec, s[12:13]
	s_waitcnt lgkmcnt(0)
	s_barrier
	s_and_saveexec_b64 s[12:13], s[44:45]
	s_cbranch_execz .LBB160_266
; %bb.265:
	v_mov_b32_e32 v15, 0
	ds_read_b64 v[15:16], v15 offset:25472
	ds_read_b64 v[17:18], v11
	s_waitcnt lgkmcnt(0)
	v_mul_f32_e32 v19, v18, v16
	v_mul_f32_e32 v16, v17, v16
	v_fma_f32 v17, v17, v15, -v19
	v_fmac_f32_e32 v16, v18, v15
	v_sub_f32_e32 v3, v3, v17
	v_sub_f32_e32 v4, v4, v16
.LBB160_266:
	s_or_b64 exec, exec, s[12:13]
	s_barrier
	s_and_saveexec_b64 s[12:13], s[44:45]
	s_cbranch_execz .LBB160_268
; %bb.267:
	v_mov_b32_e32 v15, 0
	ds_read_b64 v[15:16], v15 offset:24960
	s_waitcnt lgkmcnt(0)
	v_mul_f32_e32 v17, v4, v16
	v_mul_f32_e32 v18, v3, v16
	v_fma_f32 v3, v3, v15, -v17
	v_fmac_f32_e32 v18, v4, v15
	v_xor_b32_e32 v15, 0x80000000, v3
	v_xor_b32_e32 v16, 0x80000000, v18
	v_mov_b32_e32 v4, v18
	ds_write_b64 v11, v[15:16]
.LBB160_268:
	s_or_b64 exec, exec, s[12:13]
	s_waitcnt lgkmcnt(0)
	s_barrier
	s_barrier
	s_and_saveexec_b64 s[12:13], s[18:19]
; %bb.269:
	v_lshlrev_b32_e32 v15, 3, v9
	v_lshl_or_b32 v15, v10, 9, v15
	ds_write_b64 v15, v[3:4] offset:27008
; %bb.270:
	s_or_b64 exec, exec, s[12:13]
	s_waitcnt lgkmcnt(0)
	s_barrier
	s_barrier
	s_and_saveexec_b64 s[12:13], vcc
	s_cbranch_execz .LBB160_272
; %bb.271:
	s_movk_i32 s14, 0x190
	v_mov_b32_e32 v19, 0
	v_add_u32_e64 v15, s14, 0
	ds_read_b64 v[3:4], v19 offset:26520
	ds_read2st64_b64 v[15:18], v15 offset0:50 offset1:51
	s_waitcnt lgkmcnt(0)
	v_mul_f32_e32 v20, v4, v16
	v_mul_f32_e32 v16, v3, v16
	v_fma_f32 v20, v3, v15, -v20
	v_fmac_f32_e32 v16, v4, v15
	v_mul_f32_e32 v3, v16, v18
	v_mul_f32_e32 v4, v20, v18
	v_fma_f32 v3, v20, v17, -v3
	v_fmac_f32_e32 v4, v16, v17
	ds_write_b64 v19, v[3:4] offset:26512
.LBB160_272:
	s_or_b64 exec, exec, s[12:13]
	v_mov_b32_e32 v3, 0
	v_mov_b32_e32 v4, 0
	s_waitcnt lgkmcnt(0)
	s_barrier
	buffer_wbinvl1_vol
	s_and_saveexec_b64 s[14:15], s[6:7]
	s_cbranch_execz .LBB160_276
; %bb.273:
	v_lshlrev_b32_e32 v3, 3, v5
	v_lshlrev_b32_e32 v15, 9, v6
	ds_read_b64 v[3:4], v3 offset:25984
	ds_read_b64 v[15:16], v15 offset:26000
	v_cmp_gt_u32_e64 s[12:13], 2, v8
	s_waitcnt lgkmcnt(0)
	v_mul_f32_e32 v17, v16, v4
	v_mul_f32_e32 v4, v15, v4
	v_fma_f32 v15, v15, v3, -v17
	v_fmac_f32_e32 v4, v16, v3
	v_add_f32_e32 v3, 0, v15
	v_add_f32_e32 v4, 0, v4
	s_and_saveexec_b64 s[16:17], s[12:13]
	s_cbranch_execz .LBB160_275
; %bb.274:
	v_lshlrev_b32_e32 v15, 3, v0
	v_mov_b32_e32 v17, 0
	ds_read_b64 v[15:16], v15 offset:26496
	ds_read_b64 v[17:18], v17 offset:26520
	s_waitcnt lgkmcnt(0)
	v_mul_f32_e32 v19, v18, v16
	v_mul_f32_e32 v16, v17, v16
	v_fma_f32 v17, v17, v15, -v19
	v_fmac_f32_e32 v16, v18, v15
	v_add_f32_e32 v3, v3, v17
	v_add_f32_e32 v4, v4, v16
.LBB160_275:
	s_or_b64 exec, exec, s[16:17]
.LBB160_276:
	s_or_b64 exec, exec, s[14:15]
	s_and_saveexec_b64 s[12:13], s[42:43]
	s_cbranch_execz .LBB160_278
; %bb.277:
	v_mov_b32_e32 v15, 0
	ds_read_b64 v[15:16], v15 offset:25480
	s_waitcnt lgkmcnt(0)
	v_mul_f32_e32 v17, v4, v16
	v_mul_f32_e32 v18, v3, v16
	v_fma_f32 v3, v3, v15, -v17
	v_fmac_f32_e32 v18, v4, v15
	v_xor_b32_e32 v15, 0x80000000, v3
	v_xor_b32_e32 v16, 0x80000000, v18
	v_mov_b32_e32 v4, v18
	ds_write_b64 v7, v[15:16]
.LBB160_278:
	s_or_b64 exec, exec, s[12:13]
	s_waitcnt lgkmcnt(0)
	s_barrier
	s_and_saveexec_b64 s[12:13], s[40:41]
	s_cbranch_execz .LBB160_280
; %bb.279:
	v_mov_b32_e32 v15, 0
	ds_read_b64 v[15:16], v15 offset:25472
	ds_read_b64 v[17:18], v7
	s_waitcnt lgkmcnt(0)
	v_mul_f32_e32 v19, v18, v16
	v_mul_f32_e32 v16, v17, v16
	v_fma_f32 v17, v17, v15, -v19
	v_fmac_f32_e32 v16, v18, v15
	v_sub_f32_e32 v3, v3, v17
	v_sub_f32_e32 v4, v4, v16
.LBB160_280:
	s_or_b64 exec, exec, s[12:13]
	s_barrier
	s_and_saveexec_b64 s[12:13], s[40:41]
	s_cbranch_execz .LBB160_282
; %bb.281:
	v_mov_b32_e32 v15, 0
	ds_read_b64 v[15:16], v15 offset:24960
	s_waitcnt lgkmcnt(0)
	v_mul_f32_e32 v17, v4, v16
	v_mul_f32_e32 v18, v3, v16
	v_fma_f32 v3, v3, v15, -v17
	v_fmac_f32_e32 v18, v4, v15
	v_xor_b32_e32 v15, 0x80000000, v3
	v_xor_b32_e32 v16, 0x80000000, v18
	v_mov_b32_e32 v4, v18
	ds_write_b64 v7, v[15:16]
.LBB160_282:
	s_or_b64 exec, exec, s[12:13]
	s_waitcnt lgkmcnt(0)
	s_barrier
	s_barrier
	s_and_saveexec_b64 s[12:13], s[6:7]
; %bb.283:
	v_lshlrev_b32_e32 v15, 3, v5
	v_lshl_or_b32 v15, v6, 9, v15
	ds_write_b64 v15, v[3:4] offset:25984
; %bb.284:
	s_or_b64 exec, exec, s[12:13]
	s_waitcnt lgkmcnt(0)
	s_barrier
	s_barrier
	s_and_saveexec_b64 s[12:13], vcc
	s_cbranch_execz .LBB160_286
; %bb.285:
	s_movk_i32 s14, 0x180
	v_mov_b32_e32 v19, 0
	v_add_u32_e64 v15, s14, 0
	ds_read_b64 v[3:4], v19 offset:25480
	ds_read2st64_b64 v[15:18], v15 offset0:48 offset1:49
	s_waitcnt lgkmcnt(0)
	v_mul_f32_e32 v20, v4, v16
	v_mul_f32_e32 v16, v3, v16
	v_fma_f32 v20, v3, v15, -v20
	v_fmac_f32_e32 v16, v4, v15
	v_mul_f32_e32 v3, v16, v18
	v_mul_f32_e32 v4, v20, v18
	v_fma_f32 v3, v20, v17, -v3
	v_fmac_f32_e32 v4, v16, v17
	ds_write_b64 v19, v[3:4] offset:25472
.LBB160_286:
	s_or_b64 exec, exec, s[12:13]
	s_movk_i32 s12, 0xff
	v_lshrrev_b32_e32 v17, 4, v8
	v_cmp_lt_u32_e64 s[14:15], s12, v8
	s_movk_i32 s12, 0x100
	v_and_b32_e32 v15, 15, v0
	v_sub_u32_e32 v16, 15, v17
	v_cmp_gt_u32_e64 s[12:13], s12, v8
	v_mov_b32_e32 v4, 0
	v_mov_b32_e32 v3, 0
	s_waitcnt lgkmcnt(0)
	s_barrier
	buffer_wbinvl1_vol
	s_and_saveexec_b64 s[20:21], s[12:13]
	s_cbranch_execz .LBB160_314
; %bb.287:
	v_lshlrev_b32_e32 v18, 3, v15
	v_lshlrev_b32_e32 v19, 9, v16
	ds_read_b64 v[3:4], v18 offset:24832
	ds_read_b64 v[20:21], v19 offset:24960
	s_movk_i32 s16, 0xf0
	v_cmp_gt_u32_e64 s[16:17], s16, v8
	s_waitcnt lgkmcnt(0)
	v_mul_f32_e32 v22, v21, v4
	v_mul_f32_e32 v4, v20, v4
	v_fma_f32 v20, v20, v3, -v22
	v_fmac_f32_e32 v4, v21, v3
	v_add_f32_e32 v3, 0, v20
	v_add_f32_e32 v4, 0, v4
	s_and_saveexec_b64 s[22:23], s[16:17]
	s_cbranch_execz .LBB160_289
; %bb.288:
	ds_read_b64 v[20:21], v18 offset:25344
	ds_read_b64 v[22:23], v19 offset:24968
	s_waitcnt lgkmcnt(0)
	v_mul_f32_e32 v24, v23, v21
	v_mul_f32_e32 v21, v22, v21
	v_fma_f32 v22, v22, v20, -v24
	v_fmac_f32_e32 v21, v23, v20
	v_add_f32_e32 v3, v3, v22
	v_add_f32_e32 v4, v4, v21
.LBB160_289:
	s_or_b64 exec, exec, s[22:23]
	s_movk_i32 s16, 0xe0
	v_cmp_gt_u32_e64 s[16:17], s16, v8
	s_and_saveexec_b64 s[22:23], s[16:17]
	s_cbranch_execz .LBB160_291
; %bb.290:
	ds_read_b64 v[20:21], v18 offset:25856
	ds_read_b64 v[22:23], v19 offset:24976
	s_waitcnt lgkmcnt(0)
	v_mul_f32_e32 v24, v23, v21
	v_mul_f32_e32 v21, v22, v21
	v_fma_f32 v22, v22, v20, -v24
	v_fmac_f32_e32 v21, v23, v20
	v_add_f32_e32 v3, v3, v22
	v_add_f32_e32 v4, v4, v21
.LBB160_291:
	s_or_b64 exec, exec, s[22:23]
	s_movk_i32 s16, 0xd0
	v_cmp_gt_u32_e64 s[16:17], s16, v8
	;; [unrolled: 16-line block ×10, first 2 shown]
	s_and_saveexec_b64 s[22:23], s[16:17]
	s_cbranch_execnz .LBB160_1064
; %bb.308:
	s_or_b64 exec, exec, s[22:23]
	s_and_saveexec_b64 s[16:17], s[10:11]
	s_cbranch_execnz .LBB160_1065
.LBB160_309:
	s_or_b64 exec, exec, s[16:17]
	v_cmp_gt_u32_e64 s[16:17], 48, v8
	s_and_saveexec_b64 s[22:23], s[16:17]
	s_cbranch_execnz .LBB160_1066
.LBB160_310:
	s_or_b64 exec, exec, s[22:23]
	v_cmp_gt_u32_e64 s[16:17], 32, v8
	s_and_saveexec_b64 s[22:23], s[16:17]
	s_cbranch_execnz .LBB160_1067
.LBB160_311:
	s_or_b64 exec, exec, s[22:23]
	v_cmp_gt_u32_e64 s[16:17], 16, v8
	s_and_saveexec_b64 s[22:23], s[16:17]
	s_cbranch_execz .LBB160_313
.LBB160_312:
	v_lshlrev_b32_e32 v18, 3, v0
	v_mov_b32_e32 v20, 0
	ds_read_b64 v[18:19], v18 offset:32512
	ds_read_b64 v[20:21], v20 offset:32760
	s_waitcnt lgkmcnt(0)
	v_mul_f32_e32 v22, v21, v19
	v_mul_f32_e32 v19, v20, v19
	v_fma_f32 v20, v20, v18, -v22
	v_fmac_f32_e32 v19, v21, v18
	v_add_f32_e32 v3, v3, v20
	v_add_f32_e32 v4, v4, v19
.LBB160_313:
	s_or_b64 exec, exec, s[22:23]
.LBB160_314:
	s_or_b64 exec, exec, s[20:21]
	v_mov_b32_e32 v18, 0x8000
	v_lshl_add_u32 v17, v17, 3, v18
	v_cmp_eq_u32_e64 s[16:17], 15, v15
	s_xor_b64 s[20:21], s[14:15], -1
	s_and_b64 s[16:17], s[16:17], s[20:21]
	s_mov_b64 s[14:15], exec
	v_writelane_b32 v30, s16, 3
	v_writelane_b32 v30, s17, 4
	s_and_b64 s[16:17], s[14:15], s[16:17]
	s_mov_b64 exec, s[16:17]
	s_cbranch_execz .LBB160_316
; %bb.315:
	v_mov_b32_e32 v18, 0
	ds_read_b64 v[18:19], v18 offset:24440
	s_waitcnt lgkmcnt(0)
	v_mul_f32_e32 v20, v4, v19
	v_mul_f32_e32 v21, v3, v19
	v_fma_f32 v3, v3, v18, -v20
	v_fmac_f32_e32 v21, v4, v18
	v_xor_b32_e32 v18, 0x80000000, v3
	v_xor_b32_e32 v19, 0x80000000, v21
	v_mov_b32_e32 v4, v21
	ds_write_b64 v17, v[18:19]
.LBB160_316:
	s_or_b64 exec, exec, s[14:15]
	v_cmp_ne_u32_e64 s[14:15], 15, v15
	s_waitcnt lgkmcnt(0)
	s_barrier
	s_and_b64 s[16:17], s[14:15], s[20:21]
	s_mov_b64 s[14:15], exec
	v_writelane_b32 v30, s16, 5
	v_writelane_b32 v30, s17, 6
	s_and_b64 s[16:17], s[14:15], s[16:17]
	s_mov_b64 exec, s[16:17]
	s_cbranch_execz .LBB160_318
; %bb.317:
	v_lshlrev_b32_e32 v18, 3, v15
	ds_read_b64 v[18:19], v18 offset:24320
	ds_read_b64 v[20:21], v17
	s_waitcnt lgkmcnt(0)
	v_mul_f32_e32 v22, v21, v19
	v_mul_f32_e32 v19, v20, v19
	v_fma_f32 v20, v20, v18, -v22
	v_fmac_f32_e32 v19, v21, v18
	v_sub_f32_e32 v3, v3, v20
	v_sub_f32_e32 v4, v4, v19
.LBB160_318:
	s_or_b64 exec, exec, s[14:15]
	v_cmp_eq_u32_e64 s[14:15], 14, v15
	s_barrier
	s_and_b64 s[16:17], s[14:15], s[20:21]
	s_mov_b64 s[14:15], exec
	v_writelane_b32 v30, s16, 7
	v_writelane_b32 v30, s17, 8
	s_and_b64 s[16:17], s[14:15], s[16:17]
	s_mov_b64 exec, s[16:17]
	s_cbranch_execz .LBB160_320
; %bb.319:
	v_mov_b32_e32 v18, 0
	ds_read_b64 v[18:19], v18 offset:23920
	s_waitcnt lgkmcnt(0)
	v_mul_f32_e32 v20, v4, v19
	v_mul_f32_e32 v21, v3, v19
	v_fma_f32 v3, v3, v18, -v20
	v_fmac_f32_e32 v21, v4, v18
	v_xor_b32_e32 v18, 0x80000000, v3
	v_xor_b32_e32 v19, 0x80000000, v21
	v_mov_b32_e32 v4, v21
	ds_write_b64 v17, v[18:19]
.LBB160_320:
	s_or_b64 exec, exec, s[14:15]
	v_cmp_gt_u32_e64 s[14:15], 14, v15
	s_waitcnt lgkmcnt(0)
	s_barrier
	s_and_b64 s[16:17], s[14:15], s[20:21]
	s_mov_b64 s[14:15], exec
	v_writelane_b32 v30, s16, 9
	v_writelane_b32 v30, s17, 10
	s_and_b64 s[16:17], s[14:15], s[16:17]
	s_mov_b64 exec, s[16:17]
	s_cbranch_execz .LBB160_322
; %bb.321:
	v_lshlrev_b32_e32 v18, 3, v15
	ds_read_b64 v[18:19], v18 offset:23808
	ds_read_b64 v[20:21], v17
	s_waitcnt lgkmcnt(0)
	v_mul_f32_e32 v22, v21, v19
	v_mul_f32_e32 v19, v20, v19
	v_fma_f32 v20, v20, v18, -v22
	v_fmac_f32_e32 v19, v21, v18
	v_sub_f32_e32 v3, v3, v20
	v_sub_f32_e32 v4, v4, v19
.LBB160_322:
	s_or_b64 exec, exec, s[14:15]
	v_cmp_eq_u32_e64 s[14:15], 13, v15
	s_barrier
	s_and_b64 s[16:17], s[14:15], s[20:21]
	s_mov_b64 s[14:15], exec
	v_writelane_b32 v30, s16, 11
	v_writelane_b32 v30, s17, 12
	s_and_b64 s[16:17], s[14:15], s[16:17]
	s_mov_b64 exec, s[16:17]
	s_cbranch_execz .LBB160_324
; %bb.323:
	v_mov_b32_e32 v18, 0
	ds_read_b64 v[18:19], v18 offset:23400
	s_waitcnt lgkmcnt(0)
	v_mul_f32_e32 v20, v4, v19
	v_mul_f32_e32 v21, v3, v19
	v_fma_f32 v3, v3, v18, -v20
	v_fmac_f32_e32 v21, v4, v18
	v_xor_b32_e32 v18, 0x80000000, v3
	v_xor_b32_e32 v19, 0x80000000, v21
	v_mov_b32_e32 v4, v21
	ds_write_b64 v17, v[18:19]
.LBB160_324:
	s_or_b64 exec, exec, s[14:15]
	v_cmp_gt_u32_e64 s[14:15], 13, v15
	;; [unrolled: 46-line block ×11, first 2 shown]
	s_waitcnt lgkmcnt(0)
	s_barrier
	s_and_b64 s[16:17], s[14:15], s[20:21]
	s_mov_b64 s[14:15], exec
	v_writelane_b32 v30, s16, 49
	v_writelane_b32 v30, s17, 50
	s_and_b64 s[16:17], s[14:15], s[16:17]
	s_mov_b64 exec, s[16:17]
	s_cbranch_execz .LBB160_362
; %bb.361:
	v_lshlrev_b32_e32 v18, 3, v15
	ds_read_b64 v[18:19], v18 offset:18688
	ds_read_b64 v[20:21], v17
	s_waitcnt lgkmcnt(0)
	v_mul_f32_e32 v22, v21, v19
	v_mul_f32_e32 v19, v20, v19
	v_fma_f32 v20, v20, v18, -v22
	v_fmac_f32_e32 v19, v21, v18
	v_sub_f32_e32 v3, v3, v20
	v_sub_f32_e32 v4, v4, v19
.LBB160_362:
	s_or_b64 exec, exec, s[14:15]
	v_cmp_eq_u32_e64 s[14:15], 3, v15
	s_and_b64 s[94:95], s[14:15], s[20:21]
	s_barrier
	s_and_saveexec_b64 s[14:15], s[94:95]
	s_cbranch_execz .LBB160_364
; %bb.363:
	v_mov_b32_e32 v18, 0
	ds_read_b64 v[18:19], v18 offset:18200
	s_waitcnt lgkmcnt(0)
	v_mul_f32_e32 v20, v4, v19
	v_mul_f32_e32 v21, v3, v19
	v_fma_f32 v3, v3, v18, -v20
	v_fmac_f32_e32 v21, v4, v18
	v_xor_b32_e32 v18, 0x80000000, v3
	v_xor_b32_e32 v19, 0x80000000, v21
	v_mov_b32_e32 v4, v21
	ds_write_b64 v17, v[18:19]
.LBB160_364:
	s_or_b64 exec, exec, s[14:15]
	v_cmp_gt_u32_e64 s[14:15], 3, v15
	s_and_b64 s[96:97], s[14:15], s[20:21]
	s_waitcnt lgkmcnt(0)
	s_barrier
	s_and_saveexec_b64 s[14:15], s[96:97]
	s_cbranch_execz .LBB160_366
; %bb.365:
	v_lshlrev_b32_e32 v18, 3, v15
	ds_read_b64 v[18:19], v18 offset:18176
	ds_read_b64 v[20:21], v17
	s_waitcnt lgkmcnt(0)
	v_mul_f32_e32 v22, v21, v19
	v_mul_f32_e32 v19, v20, v19
	v_fma_f32 v20, v20, v18, -v22
	v_fmac_f32_e32 v19, v21, v18
	v_sub_f32_e32 v3, v3, v20
	v_sub_f32_e32 v4, v4, v19
.LBB160_366:
	s_or_b64 exec, exec, s[14:15]
	v_cmp_eq_u32_e64 s[14:15], 2, v15
	s_and_b64 s[22:23], s[14:15], s[20:21]
	s_barrier
	s_and_saveexec_b64 s[14:15], s[22:23]
	s_cbranch_execz .LBB160_368
; %bb.367:
	v_mov_b32_e32 v18, 0
	ds_read_b64 v[18:19], v18 offset:17680
	s_waitcnt lgkmcnt(0)
	v_mul_f32_e32 v20, v4, v19
	v_mul_f32_e32 v21, v3, v19
	v_fma_f32 v3, v3, v18, -v20
	v_fmac_f32_e32 v21, v4, v18
	v_xor_b32_e32 v18, 0x80000000, v3
	v_xor_b32_e32 v19, 0x80000000, v21
	v_mov_b32_e32 v4, v21
	ds_write_b64 v17, v[18:19]
.LBB160_368:
	s_or_b64 exec, exec, s[14:15]
	v_cmp_gt_u32_e64 s[14:15], 2, v15
	s_and_b64 s[98:99], s[14:15], s[20:21]
	s_waitcnt lgkmcnt(0)
	s_barrier
	s_and_saveexec_b64 s[14:15], s[98:99]
	s_cbranch_execz .LBB160_370
; %bb.369:
	v_lshlrev_b32_e32 v18, 3, v15
	ds_read_b64 v[18:19], v18 offset:17664
	ds_read_b64 v[20:21], v17
	s_waitcnt lgkmcnt(0)
	v_mul_f32_e32 v22, v21, v19
	v_mul_f32_e32 v19, v20, v19
	v_fma_f32 v20, v20, v18, -v22
	v_fmac_f32_e32 v19, v21, v18
	v_sub_f32_e32 v3, v3, v20
	v_sub_f32_e32 v4, v4, v19
.LBB160_370:
	s_or_b64 exec, exec, s[14:15]
	v_cmp_eq_u32_e64 s[14:15], 1, v15
	s_and_b64 s[36:37], s[14:15], s[20:21]
	s_barrier
	s_and_saveexec_b64 s[14:15], s[36:37]
	s_cbranch_execz .LBB160_372
; %bb.371:
	v_mov_b32_e32 v18, 0
	ds_read_b64 v[18:19], v18 offset:17160
	s_waitcnt lgkmcnt(0)
	v_mul_f32_e32 v20, v4, v19
	v_mul_f32_e32 v21, v3, v19
	v_fma_f32 v3, v3, v18, -v20
	v_fmac_f32_e32 v21, v4, v18
	v_xor_b32_e32 v18, 0x80000000, v3
	v_xor_b32_e32 v19, 0x80000000, v21
	v_mov_b32_e32 v4, v21
	ds_write_b64 v17, v[18:19]
.LBB160_372:
	s_or_b64 exec, exec, s[14:15]
	v_cmp_eq_u32_e64 s[14:15], 0, v15
	s_and_b64 s[84:85], s[14:15], s[20:21]
	s_waitcnt lgkmcnt(0)
	s_barrier
	s_and_saveexec_b64 s[14:15], s[84:85]
	s_cbranch_execz .LBB160_374
; %bb.373:
	v_mov_b32_e32 v18, 0
	ds_read_b64 v[18:19], v18 offset:17152
	ds_read_b64 v[20:21], v17
	s_waitcnt lgkmcnt(0)
	v_mul_f32_e32 v22, v21, v19
	v_mul_f32_e32 v19, v20, v19
	v_fma_f32 v20, v20, v18, -v22
	v_fmac_f32_e32 v19, v21, v18
	v_sub_f32_e32 v3, v3, v20
	v_sub_f32_e32 v4, v4, v19
.LBB160_374:
	s_or_b64 exec, exec, s[14:15]
	s_barrier
	s_and_saveexec_b64 s[14:15], s[84:85]
	s_cbranch_execz .LBB160_376
; %bb.375:
	v_mov_b32_e32 v18, 0
	ds_read_b64 v[18:19], v18 offset:16640
	s_waitcnt lgkmcnt(0)
	v_mul_f32_e32 v20, v4, v19
	v_mul_f32_e32 v21, v3, v19
	v_fma_f32 v3, v3, v18, -v20
	v_fmac_f32_e32 v21, v4, v18
	v_xor_b32_e32 v18, 0x80000000, v3
	v_xor_b32_e32 v19, 0x80000000, v21
	v_mov_b32_e32 v4, v21
	ds_write_b64 v17, v[18:19]
.LBB160_376:
	s_or_b64 exec, exec, s[14:15]
	s_waitcnt lgkmcnt(0)
	s_barrier
	s_barrier
	s_and_saveexec_b64 s[14:15], s[12:13]
; %bb.377:
	v_lshlrev_b32_e32 v18, 3, v15
	v_lshl_or_b32 v18, v16, 9, v18
	ds_write_b64 v18, v[3:4] offset:24832
; %bb.378:
	s_or_b64 exec, exec, s[14:15]
	s_waitcnt lgkmcnt(0)
	s_barrier
	s_barrier
	s_and_saveexec_b64 s[14:15], vcc
	s_cbranch_execz .LBB160_380
; %bb.379:
	s_movk_i32 s16, 0x170
	v_mov_b32_e32 v22, 0
	v_add_u32_e64 v18, s16, 0
	ds_read_b64 v[3:4], v22 offset:24440
	ds_read2st64_b64 v[18:21], v18 offset0:46 offset1:47
	s_waitcnt lgkmcnt(0)
	v_mul_f32_e32 v23, v4, v19
	v_mul_f32_e32 v19, v3, v19
	v_fma_f32 v23, v3, v18, -v23
	v_fmac_f32_e32 v19, v4, v18
	v_mul_f32_e32 v3, v19, v21
	v_mul_f32_e32 v4, v23, v21
	v_fma_f32 v3, v23, v20, -v3
	v_fmac_f32_e32 v4, v19, v20
	ds_write_b64 v22, v[3:4] offset:24432
.LBB160_380:
	s_or_b64 exec, exec, s[14:15]
	v_mov_b32_e32 v3, 0
	v_mov_b32_e32 v4, 0
	s_waitcnt lgkmcnt(0)
	s_barrier
	buffer_wbinvl1_vol
	s_and_saveexec_b64 s[16:17], s[6:7]
	s_cbranch_execz .LBB160_384
; %bb.381:
	v_lshlrev_b32_e32 v3, 3, v5
	v_lshlrev_b32_e32 v18, 9, v6
	ds_read_b64 v[3:4], v3 offset:23904
	ds_read_b64 v[18:19], v18 offset:23920
	v_cmp_gt_u32_e64 s[14:15], 2, v8
	s_waitcnt lgkmcnt(0)
	v_mul_f32_e32 v20, v19, v4
	v_mul_f32_e32 v4, v18, v4
	v_fma_f32 v18, v18, v3, -v20
	v_fmac_f32_e32 v4, v19, v3
	v_add_f32_e32 v3, 0, v18
	v_add_f32_e32 v4, 0, v4
	s_and_saveexec_b64 s[20:21], s[14:15]
	s_cbranch_execz .LBB160_383
; %bb.382:
	v_lshlrev_b32_e32 v18, 3, v0
	v_mov_b32_e32 v20, 0
	ds_read_b64 v[18:19], v18 offset:24416
	ds_read_b64 v[20:21], v20 offset:24440
	s_waitcnt lgkmcnt(0)
	v_mul_f32_e32 v22, v21, v19
	v_mul_f32_e32 v19, v20, v19
	v_fma_f32 v20, v20, v18, -v22
	v_fmac_f32_e32 v19, v21, v18
	v_add_f32_e32 v3, v3, v20
	v_add_f32_e32 v4, v4, v19
.LBB160_383:
	s_or_b64 exec, exec, s[20:21]
.LBB160_384:
	s_or_b64 exec, exec, s[16:17]
	s_and_saveexec_b64 s[14:15], s[42:43]
	s_cbranch_execz .LBB160_386
; %bb.385:
	v_mov_b32_e32 v18, 0
	ds_read_b64 v[18:19], v18 offset:23400
	s_waitcnt lgkmcnt(0)
	v_mul_f32_e32 v20, v4, v19
	v_mul_f32_e32 v21, v3, v19
	v_fma_f32 v3, v3, v18, -v20
	v_fmac_f32_e32 v21, v4, v18
	v_xor_b32_e32 v18, 0x80000000, v3
	v_xor_b32_e32 v19, 0x80000000, v21
	v_mov_b32_e32 v4, v21
	ds_write_b64 v7, v[18:19]
.LBB160_386:
	s_or_b64 exec, exec, s[14:15]
	s_waitcnt lgkmcnt(0)
	s_barrier
	s_and_saveexec_b64 s[14:15], s[40:41]
	s_cbranch_execz .LBB160_388
; %bb.387:
	v_mov_b32_e32 v18, 0
	ds_read_b64 v[18:19], v18 offset:23392
	ds_read_b64 v[20:21], v7
	s_waitcnt lgkmcnt(0)
	v_mul_f32_e32 v22, v21, v19
	v_mul_f32_e32 v19, v20, v19
	v_fma_f32 v20, v20, v18, -v22
	v_fmac_f32_e32 v19, v21, v18
	v_sub_f32_e32 v3, v3, v20
	v_sub_f32_e32 v4, v4, v19
.LBB160_388:
	s_or_b64 exec, exec, s[14:15]
	s_barrier
	s_and_saveexec_b64 s[14:15], s[40:41]
	s_cbranch_execz .LBB160_390
; %bb.389:
	v_mov_b32_e32 v18, 0
	ds_read_b64 v[18:19], v18 offset:22880
	s_waitcnt lgkmcnt(0)
	v_mul_f32_e32 v20, v4, v19
	v_mul_f32_e32 v21, v3, v19
	v_fma_f32 v3, v3, v18, -v20
	v_fmac_f32_e32 v21, v4, v18
	v_xor_b32_e32 v18, 0x80000000, v3
	v_xor_b32_e32 v19, 0x80000000, v21
	v_mov_b32_e32 v4, v21
	ds_write_b64 v7, v[18:19]
.LBB160_390:
	s_or_b64 exec, exec, s[14:15]
	s_waitcnt lgkmcnt(0)
	s_barrier
	s_barrier
	s_and_saveexec_b64 s[14:15], s[6:7]
; %bb.391:
	v_lshlrev_b32_e32 v18, 3, v5
	v_lshl_or_b32 v18, v6, 9, v18
	ds_write_b64 v18, v[3:4] offset:23904
; %bb.392:
	s_or_b64 exec, exec, s[14:15]
	s_waitcnt lgkmcnt(0)
	s_barrier
	s_barrier
	s_and_saveexec_b64 s[14:15], vcc
	s_cbranch_execz .LBB160_394
; %bb.393:
	s_movk_i32 s16, 0x160
	v_mov_b32_e32 v22, 0
	v_add_u32_e64 v18, s16, 0
	ds_read_b64 v[3:4], v22 offset:23400
	ds_read2st64_b64 v[18:21], v18 offset0:44 offset1:45
	s_waitcnt lgkmcnt(0)
	v_mul_f32_e32 v23, v4, v19
	v_mul_f32_e32 v19, v3, v19
	v_fma_f32 v23, v3, v18, -v23
	v_fmac_f32_e32 v19, v4, v18
	v_mul_f32_e32 v3, v19, v21
	v_mul_f32_e32 v4, v23, v21
	v_fma_f32 v3, v23, v20, -v3
	v_fmac_f32_e32 v4, v19, v20
	ds_write_b64 v22, v[3:4] offset:23392
.LBB160_394:
	s_or_b64 exec, exec, s[14:15]
	v_mov_b32_e32 v4, 0
	v_mov_b32_e32 v3, 0
	s_waitcnt lgkmcnt(0)
	s_barrier
	buffer_wbinvl1_vol
	s_and_saveexec_b64 s[16:17], s[18:19]
	s_cbranch_execz .LBB160_400
; %bb.395:
	v_lshlrev_b32_e32 v18, 3, v9
	v_lshlrev_b32_e32 v19, 9, v10
	ds_read_b64 v[3:4], v18 offset:22848
	ds_read_b64 v[20:21], v19 offset:22880
	v_cmp_gt_u32_e64 s[14:15], 12, v8
	s_waitcnt lgkmcnt(0)
	v_mul_f32_e32 v22, v21, v4
	v_mul_f32_e32 v4, v20, v4
	v_fma_f32 v20, v20, v3, -v22
	v_fmac_f32_e32 v4, v21, v3
	v_add_f32_e32 v3, 0, v20
	v_add_f32_e32 v4, 0, v4
	s_and_saveexec_b64 s[20:21], s[14:15]
	s_cbranch_execnz .LBB160_1068
; %bb.396:
	s_or_b64 exec, exec, s[20:21]
	v_cmp_gt_u32_e64 s[14:15], 8, v8
	s_and_saveexec_b64 s[20:21], s[14:15]
	s_cbranch_execnz .LBB160_1069
.LBB160_397:
	s_or_b64 exec, exec, s[20:21]
	v_cmp_gt_u32_e64 s[14:15], 4, v8
	s_and_saveexec_b64 s[20:21], s[14:15]
	s_cbranch_execz .LBB160_399
.LBB160_398:
	v_lshlrev_b32_e32 v18, 3, v0
	v_mov_b32_e32 v20, 0
	ds_read_b64 v[18:19], v18 offset:24384
	ds_read_b64 v[20:21], v20 offset:24440
	s_waitcnt lgkmcnt(0)
	v_mul_f32_e32 v22, v21, v19
	v_mul_f32_e32 v19, v20, v19
	v_fma_f32 v20, v20, v18, -v22
	v_fmac_f32_e32 v19, v21, v18
	v_add_f32_e32 v3, v3, v20
	v_add_f32_e32 v4, v4, v19
.LBB160_399:
	s_or_b64 exec, exec, s[20:21]
.LBB160_400:
	s_or_b64 exec, exec, s[16:17]
	s_and_saveexec_b64 s[14:15], s[46:47]
	s_cbranch_execz .LBB160_402
; %bb.401:
	v_mov_b32_e32 v18, 0
	ds_read_b64 v[18:19], v18 offset:22360
	s_waitcnt lgkmcnt(0)
	v_mul_f32_e32 v20, v4, v19
	v_mul_f32_e32 v21, v3, v19
	v_fma_f32 v3, v3, v18, -v20
	v_fmac_f32_e32 v21, v4, v18
	v_xor_b32_e32 v18, 0x80000000, v3
	v_xor_b32_e32 v19, 0x80000000, v21
	v_mov_b32_e32 v4, v21
	ds_write_b64 v11, v[18:19]
.LBB160_402:
	s_or_b64 exec, exec, s[14:15]
	s_waitcnt lgkmcnt(0)
	s_barrier
	s_and_saveexec_b64 s[14:15], s[48:49]
	s_cbranch_execz .LBB160_404
; %bb.403:
	v_lshlrev_b32_e32 v18, 3, v9
	ds_read_b64 v[18:19], v18 offset:22336
	ds_read_b64 v[20:21], v11
	s_waitcnt lgkmcnt(0)
	v_mul_f32_e32 v22, v21, v19
	v_mul_f32_e32 v19, v20, v19
	v_fma_f32 v20, v20, v18, -v22
	v_fmac_f32_e32 v19, v21, v18
	v_sub_f32_e32 v3, v3, v20
	v_sub_f32_e32 v4, v4, v19
.LBB160_404:
	s_or_b64 exec, exec, s[14:15]
	s_barrier
	s_and_saveexec_b64 s[14:15], s[50:51]
	s_cbranch_execz .LBB160_406
; %bb.405:
	v_mov_b32_e32 v18, 0
	ds_read_b64 v[18:19], v18 offset:21840
	s_waitcnt lgkmcnt(0)
	v_mul_f32_e32 v20, v4, v19
	v_mul_f32_e32 v21, v3, v19
	v_fma_f32 v3, v3, v18, -v20
	v_fmac_f32_e32 v21, v4, v18
	v_xor_b32_e32 v18, 0x80000000, v3
	v_xor_b32_e32 v19, 0x80000000, v21
	v_mov_b32_e32 v4, v21
	ds_write_b64 v11, v[18:19]
.LBB160_406:
	s_or_b64 exec, exec, s[14:15]
	s_waitcnt lgkmcnt(0)
	s_barrier
	s_and_saveexec_b64 s[14:15], s[52:53]
	s_cbranch_execz .LBB160_408
; %bb.407:
	v_lshlrev_b32_e32 v18, 3, v9
	ds_read_b64 v[18:19], v18 offset:21824
	ds_read_b64 v[20:21], v11
	s_waitcnt lgkmcnt(0)
	v_mul_f32_e32 v22, v21, v19
	v_mul_f32_e32 v19, v20, v19
	v_fma_f32 v20, v20, v18, -v22
	v_fmac_f32_e32 v19, v21, v18
	v_sub_f32_e32 v3, v3, v20
	v_sub_f32_e32 v4, v4, v19
.LBB160_408:
	s_or_b64 exec, exec, s[14:15]
	s_barrier
	s_and_saveexec_b64 s[14:15], s[54:55]
	s_cbranch_execz .LBB160_410
; %bb.409:
	v_mov_b32_e32 v18, 0
	ds_read_b64 v[18:19], v18 offset:21320
	s_waitcnt lgkmcnt(0)
	v_mul_f32_e32 v20, v4, v19
	v_mul_f32_e32 v21, v3, v19
	v_fma_f32 v3, v3, v18, -v20
	v_fmac_f32_e32 v21, v4, v18
	v_xor_b32_e32 v18, 0x80000000, v3
	v_xor_b32_e32 v19, 0x80000000, v21
	v_mov_b32_e32 v4, v21
	ds_write_b64 v11, v[18:19]
.LBB160_410:
	s_or_b64 exec, exec, s[14:15]
	s_waitcnt lgkmcnt(0)
	s_barrier
	s_and_saveexec_b64 s[14:15], s[44:45]
	s_cbranch_execz .LBB160_412
; %bb.411:
	v_mov_b32_e32 v18, 0
	ds_read_b64 v[18:19], v18 offset:21312
	ds_read_b64 v[20:21], v11
	s_waitcnt lgkmcnt(0)
	v_mul_f32_e32 v22, v21, v19
	v_mul_f32_e32 v19, v20, v19
	v_fma_f32 v20, v20, v18, -v22
	v_fmac_f32_e32 v19, v21, v18
	v_sub_f32_e32 v3, v3, v20
	v_sub_f32_e32 v4, v4, v19
.LBB160_412:
	s_or_b64 exec, exec, s[14:15]
	s_barrier
	s_and_saveexec_b64 s[14:15], s[44:45]
	s_cbranch_execz .LBB160_414
; %bb.413:
	v_mov_b32_e32 v18, 0
	ds_read_b64 v[18:19], v18 offset:20800
	s_waitcnt lgkmcnt(0)
	v_mul_f32_e32 v20, v4, v19
	v_mul_f32_e32 v21, v3, v19
	v_fma_f32 v3, v3, v18, -v20
	v_fmac_f32_e32 v21, v4, v18
	v_xor_b32_e32 v18, 0x80000000, v3
	v_xor_b32_e32 v19, 0x80000000, v21
	v_mov_b32_e32 v4, v21
	ds_write_b64 v11, v[18:19]
.LBB160_414:
	s_or_b64 exec, exec, s[14:15]
	s_waitcnt lgkmcnt(0)
	s_barrier
	s_barrier
	s_and_saveexec_b64 s[14:15], s[18:19]
; %bb.415:
	v_lshlrev_b32_e32 v18, 3, v9
	v_lshl_or_b32 v18, v10, 9, v18
	ds_write_b64 v18, v[3:4] offset:22848
; %bb.416:
	s_or_b64 exec, exec, s[14:15]
	s_waitcnt lgkmcnt(0)
	s_barrier
	s_barrier
	s_and_saveexec_b64 s[14:15], vcc
	s_cbranch_execz .LBB160_418
; %bb.417:
	s_movk_i32 s16, 0x150
	v_mov_b32_e32 v22, 0
	v_add_u32_e64 v18, s16, 0
	ds_read_b64 v[3:4], v22 offset:22360
	ds_read2st64_b64 v[18:21], v18 offset0:42 offset1:43
	s_waitcnt lgkmcnt(0)
	v_mul_f32_e32 v23, v4, v19
	v_mul_f32_e32 v19, v3, v19
	v_fma_f32 v23, v3, v18, -v23
	v_fmac_f32_e32 v19, v4, v18
	v_mul_f32_e32 v3, v19, v21
	v_mul_f32_e32 v4, v23, v21
	v_fma_f32 v3, v23, v20, -v3
	v_fmac_f32_e32 v4, v19, v20
	ds_write_b64 v22, v[3:4] offset:22352
.LBB160_418:
	s_or_b64 exec, exec, s[14:15]
	v_mov_b32_e32 v3, 0
	v_mov_b32_e32 v4, 0
	s_waitcnt lgkmcnt(0)
	s_barrier
	buffer_wbinvl1_vol
	s_and_saveexec_b64 s[16:17], s[6:7]
	s_cbranch_execz .LBB160_422
; %bb.419:
	v_lshlrev_b32_e32 v3, 3, v5
	v_lshlrev_b32_e32 v18, 9, v6
	ds_read_b64 v[3:4], v3 offset:21824
	ds_read_b64 v[18:19], v18 offset:21840
	v_cmp_gt_u32_e64 s[14:15], 2, v8
	s_waitcnt lgkmcnt(0)
	v_mul_f32_e32 v20, v19, v4
	v_mul_f32_e32 v4, v18, v4
	v_fma_f32 v18, v18, v3, -v20
	v_fmac_f32_e32 v4, v19, v3
	v_add_f32_e32 v3, 0, v18
	v_add_f32_e32 v4, 0, v4
	s_and_saveexec_b64 s[20:21], s[14:15]
	s_cbranch_execz .LBB160_421
; %bb.420:
	v_lshlrev_b32_e32 v18, 3, v0
	v_mov_b32_e32 v20, 0
	ds_read_b64 v[18:19], v18 offset:22336
	ds_read_b64 v[20:21], v20 offset:22360
	s_waitcnt lgkmcnt(0)
	v_mul_f32_e32 v22, v21, v19
	v_mul_f32_e32 v19, v20, v19
	v_fma_f32 v20, v20, v18, -v22
	v_fmac_f32_e32 v19, v21, v18
	v_add_f32_e32 v3, v3, v20
	v_add_f32_e32 v4, v4, v19
.LBB160_421:
	s_or_b64 exec, exec, s[20:21]
.LBB160_422:
	s_or_b64 exec, exec, s[16:17]
	s_and_saveexec_b64 s[14:15], s[42:43]
	s_cbranch_execz .LBB160_424
; %bb.423:
	v_mov_b32_e32 v18, 0
	ds_read_b64 v[18:19], v18 offset:21320
	s_waitcnt lgkmcnt(0)
	v_mul_f32_e32 v20, v4, v19
	v_mul_f32_e32 v21, v3, v19
	v_fma_f32 v3, v3, v18, -v20
	v_fmac_f32_e32 v21, v4, v18
	v_xor_b32_e32 v18, 0x80000000, v3
	v_xor_b32_e32 v19, 0x80000000, v21
	v_mov_b32_e32 v4, v21
	ds_write_b64 v7, v[18:19]
.LBB160_424:
	s_or_b64 exec, exec, s[14:15]
	s_waitcnt lgkmcnt(0)
	s_barrier
	s_and_saveexec_b64 s[14:15], s[40:41]
	s_cbranch_execz .LBB160_426
; %bb.425:
	v_mov_b32_e32 v18, 0
	ds_read_b64 v[18:19], v18 offset:21312
	ds_read_b64 v[20:21], v7
	s_waitcnt lgkmcnt(0)
	v_mul_f32_e32 v22, v21, v19
	v_mul_f32_e32 v19, v20, v19
	v_fma_f32 v20, v20, v18, -v22
	v_fmac_f32_e32 v19, v21, v18
	v_sub_f32_e32 v3, v3, v20
	v_sub_f32_e32 v4, v4, v19
.LBB160_426:
	s_or_b64 exec, exec, s[14:15]
	s_barrier
	s_and_saveexec_b64 s[14:15], s[40:41]
	s_cbranch_execz .LBB160_428
; %bb.427:
	v_mov_b32_e32 v18, 0
	ds_read_b64 v[18:19], v18 offset:20800
	s_waitcnt lgkmcnt(0)
	v_mul_f32_e32 v20, v4, v19
	v_mul_f32_e32 v21, v3, v19
	v_fma_f32 v3, v3, v18, -v20
	v_fmac_f32_e32 v21, v4, v18
	v_xor_b32_e32 v18, 0x80000000, v3
	v_xor_b32_e32 v19, 0x80000000, v21
	v_mov_b32_e32 v4, v21
	ds_write_b64 v7, v[18:19]
.LBB160_428:
	s_or_b64 exec, exec, s[14:15]
	s_waitcnt lgkmcnt(0)
	s_barrier
	s_barrier
	s_and_saveexec_b64 s[14:15], s[6:7]
; %bb.429:
	v_lshlrev_b32_e32 v18, 3, v5
	v_lshl_or_b32 v18, v6, 9, v18
	ds_write_b64 v18, v[3:4] offset:21824
; %bb.430:
	s_or_b64 exec, exec, s[14:15]
	s_waitcnt lgkmcnt(0)
	s_barrier
	s_barrier
	s_and_saveexec_b64 s[14:15], vcc
	s_cbranch_execz .LBB160_432
; %bb.431:
	s_movk_i32 s16, 0x140
	v_mov_b32_e32 v22, 0
	v_add_u32_e64 v18, s16, 0
	ds_read_b64 v[3:4], v22 offset:21320
	ds_read2st64_b64 v[18:21], v18 offset0:40 offset1:41
	s_waitcnt lgkmcnt(0)
	v_mul_f32_e32 v23, v4, v19
	v_mul_f32_e32 v19, v3, v19
	v_fma_f32 v23, v3, v18, -v23
	v_fmac_f32_e32 v19, v4, v18
	v_mul_f32_e32 v3, v19, v21
	v_mul_f32_e32 v4, v23, v21
	v_fma_f32 v3, v23, v20, -v3
	v_fmac_f32_e32 v4, v19, v20
	ds_write_b64 v22, v[3:4] offset:21312
.LBB160_432:
	s_or_b64 exec, exec, s[14:15]
	v_mov_b32_e32 v4, 0
	v_mov_b32_e32 v3, 0
	s_waitcnt lgkmcnt(0)
	s_barrier
	buffer_wbinvl1_vol
	s_and_saveexec_b64 s[16:17], s[10:11]
	s_cbranch_execz .LBB160_442
; %bb.433:
	v_lshlrev_b32_e32 v18, 3, v12
	v_lshlrev_b32_e32 v19, 9, v13
	ds_read_b64 v[3:4], v18 offset:20736
	ds_read_b64 v[20:21], v19 offset:20800
	v_cmp_gt_u32_e64 s[14:15], 56, v8
	s_waitcnt lgkmcnt(0)
	v_mul_f32_e32 v22, v21, v4
	v_mul_f32_e32 v4, v20, v4
	v_fma_f32 v20, v20, v3, -v22
	v_fmac_f32_e32 v4, v21, v3
	v_add_f32_e32 v3, 0, v20
	v_add_f32_e32 v4, 0, v4
	s_and_saveexec_b64 s[20:21], s[14:15]
	s_cbranch_execnz .LBB160_1070
; %bb.434:
	s_or_b64 exec, exec, s[20:21]
	v_cmp_gt_u32_e64 s[14:15], 48, v8
	s_and_saveexec_b64 s[20:21], s[14:15]
	s_cbranch_execnz .LBB160_1071
.LBB160_435:
	s_or_b64 exec, exec, s[20:21]
	v_cmp_gt_u32_e64 s[14:15], 40, v8
	s_and_saveexec_b64 s[20:21], s[14:15]
	s_cbranch_execnz .LBB160_1072
.LBB160_436:
	s_or_b64 exec, exec, s[20:21]
	v_cmp_gt_u32_e64 s[14:15], 32, v8
	s_and_saveexec_b64 s[20:21], s[14:15]
	s_cbranch_execnz .LBB160_1073
.LBB160_437:
	s_or_b64 exec, exec, s[20:21]
	v_cmp_gt_u32_e64 s[14:15], 24, v8
	s_and_saveexec_b64 s[20:21], s[14:15]
	s_cbranch_execnz .LBB160_1074
.LBB160_438:
	s_or_b64 exec, exec, s[20:21]
	s_and_saveexec_b64 s[14:15], s[18:19]
	s_cbranch_execnz .LBB160_1075
.LBB160_439:
	s_or_b64 exec, exec, s[14:15]
	v_cmp_gt_u32_e64 s[14:15], 8, v8
	s_and_saveexec_b64 s[20:21], s[14:15]
	s_cbranch_execz .LBB160_441
.LBB160_440:
	v_lshlrev_b32_e32 v18, 3, v0
	v_mov_b32_e32 v20, 0
	ds_read_b64 v[18:19], v18 offset:24320
	ds_read_b64 v[20:21], v20 offset:24440
	s_waitcnt lgkmcnt(0)
	v_mul_f32_e32 v22, v21, v19
	v_mul_f32_e32 v19, v20, v19
	v_fma_f32 v20, v20, v18, -v22
	v_fmac_f32_e32 v19, v21, v18
	v_add_f32_e32 v3, v3, v20
	v_add_f32_e32 v4, v4, v19
.LBB160_441:
	s_or_b64 exec, exec, s[20:21]
.LBB160_442:
	s_or_b64 exec, exec, s[16:17]
	s_and_saveexec_b64 s[14:15], s[58:59]
	s_cbranch_execz .LBB160_444
; %bb.443:
	v_mov_b32_e32 v18, 0
	ds_read_b64 v[18:19], v18 offset:20280
	s_waitcnt lgkmcnt(0)
	v_mul_f32_e32 v20, v4, v19
	v_mul_f32_e32 v21, v3, v19
	v_fma_f32 v3, v3, v18, -v20
	v_fmac_f32_e32 v21, v4, v18
	v_xor_b32_e32 v18, 0x80000000, v3
	v_xor_b32_e32 v19, 0x80000000, v21
	v_mov_b32_e32 v4, v21
	ds_write_b64 v14, v[18:19]
.LBB160_444:
	s_or_b64 exec, exec, s[14:15]
	s_waitcnt lgkmcnt(0)
	s_barrier
	s_and_saveexec_b64 s[14:15], s[60:61]
	s_cbranch_execz .LBB160_446
; %bb.445:
	v_lshlrev_b32_e32 v18, 3, v12
	ds_read_b64 v[18:19], v18 offset:20224
	ds_read_b64 v[20:21], v14
	s_waitcnt lgkmcnt(0)
	v_mul_f32_e32 v22, v21, v19
	v_mul_f32_e32 v19, v20, v19
	v_fma_f32 v20, v20, v18, -v22
	v_fmac_f32_e32 v19, v21, v18
	v_sub_f32_e32 v3, v3, v20
	v_sub_f32_e32 v4, v4, v19
.LBB160_446:
	s_or_b64 exec, exec, s[14:15]
	s_barrier
	s_and_saveexec_b64 s[14:15], s[62:63]
	s_cbranch_execz .LBB160_448
; %bb.447:
	v_mov_b32_e32 v18, 0
	ds_read_b64 v[18:19], v18 offset:19760
	s_waitcnt lgkmcnt(0)
	v_mul_f32_e32 v20, v4, v19
	v_mul_f32_e32 v21, v3, v19
	v_fma_f32 v3, v3, v18, -v20
	v_fmac_f32_e32 v21, v4, v18
	v_xor_b32_e32 v18, 0x80000000, v3
	v_xor_b32_e32 v19, 0x80000000, v21
	v_mov_b32_e32 v4, v21
	ds_write_b64 v14, v[18:19]
.LBB160_448:
	s_or_b64 exec, exec, s[14:15]
	s_waitcnt lgkmcnt(0)
	s_barrier
	s_and_saveexec_b64 s[14:15], s[64:65]
	s_cbranch_execz .LBB160_450
; %bb.449:
	v_lshlrev_b32_e32 v18, 3, v12
	ds_read_b64 v[18:19], v18 offset:19712
	ds_read_b64 v[20:21], v14
	s_waitcnt lgkmcnt(0)
	v_mul_f32_e32 v22, v21, v19
	v_mul_f32_e32 v19, v20, v19
	v_fma_f32 v20, v20, v18, -v22
	v_fmac_f32_e32 v19, v21, v18
	v_sub_f32_e32 v3, v3, v20
	v_sub_f32_e32 v4, v4, v19
.LBB160_450:
	s_or_b64 exec, exec, s[14:15]
	s_barrier
	;; [unrolled: 34-line block ×6, first 2 shown]
	s_and_saveexec_b64 s[14:15], s[82:83]
	s_cbranch_execz .LBB160_468
; %bb.467:
	v_mov_b32_e32 v18, 0
	ds_read_b64 v[18:19], v18 offset:17160
	s_waitcnt lgkmcnt(0)
	v_mul_f32_e32 v20, v4, v19
	v_mul_f32_e32 v21, v3, v19
	v_fma_f32 v3, v3, v18, -v20
	v_fmac_f32_e32 v21, v4, v18
	v_xor_b32_e32 v18, 0x80000000, v3
	v_xor_b32_e32 v19, 0x80000000, v21
	v_mov_b32_e32 v4, v21
	ds_write_b64 v14, v[18:19]
.LBB160_468:
	s_or_b64 exec, exec, s[14:15]
	s_waitcnt lgkmcnt(0)
	s_barrier
	s_and_saveexec_b64 s[14:15], s[56:57]
	s_cbranch_execz .LBB160_470
; %bb.469:
	v_mov_b32_e32 v18, 0
	ds_read_b64 v[18:19], v18 offset:17152
	ds_read_b64 v[20:21], v14
	s_waitcnt lgkmcnt(0)
	v_mul_f32_e32 v22, v21, v19
	v_mul_f32_e32 v19, v20, v19
	v_fma_f32 v20, v20, v18, -v22
	v_fmac_f32_e32 v19, v21, v18
	v_sub_f32_e32 v3, v3, v20
	v_sub_f32_e32 v4, v4, v19
.LBB160_470:
	s_or_b64 exec, exec, s[14:15]
	s_barrier
	s_and_saveexec_b64 s[14:15], s[56:57]
	s_cbranch_execz .LBB160_472
; %bb.471:
	v_mov_b32_e32 v18, 0
	ds_read_b64 v[18:19], v18 offset:16640
	s_waitcnt lgkmcnt(0)
	v_mul_f32_e32 v20, v4, v19
	v_mul_f32_e32 v21, v3, v19
	v_fma_f32 v3, v3, v18, -v20
	v_fmac_f32_e32 v21, v4, v18
	v_xor_b32_e32 v18, 0x80000000, v3
	v_xor_b32_e32 v19, 0x80000000, v21
	v_mov_b32_e32 v4, v21
	ds_write_b64 v14, v[18:19]
.LBB160_472:
	s_or_b64 exec, exec, s[14:15]
	s_waitcnt lgkmcnt(0)
	s_barrier
	s_barrier
	s_and_saveexec_b64 s[14:15], s[10:11]
; %bb.473:
	v_lshlrev_b32_e32 v18, 3, v12
	v_lshl_or_b32 v18, v13, 9, v18
	ds_write_b64 v18, v[3:4] offset:20736
; %bb.474:
	s_or_b64 exec, exec, s[14:15]
	s_waitcnt lgkmcnt(0)
	s_barrier
	s_barrier
	s_and_saveexec_b64 s[14:15], vcc
	s_cbranch_execz .LBB160_476
; %bb.475:
	s_movk_i32 s16, 0x130
	v_mov_b32_e32 v22, 0
	v_add_u32_e64 v18, s16, 0
	ds_read_b64 v[3:4], v22 offset:20280
	ds_read2st64_b64 v[18:21], v18 offset0:38 offset1:39
	s_waitcnt lgkmcnt(0)
	v_mul_f32_e32 v23, v4, v19
	v_mul_f32_e32 v19, v3, v19
	v_fma_f32 v23, v3, v18, -v23
	v_fmac_f32_e32 v19, v4, v18
	v_mul_f32_e32 v3, v19, v21
	v_mul_f32_e32 v4, v23, v21
	v_fma_f32 v3, v23, v20, -v3
	v_fmac_f32_e32 v4, v19, v20
	ds_write_b64 v22, v[3:4] offset:20272
.LBB160_476:
	s_or_b64 exec, exec, s[14:15]
	v_mov_b32_e32 v3, 0
	v_mov_b32_e32 v4, 0
	s_waitcnt lgkmcnt(0)
	s_barrier
	buffer_wbinvl1_vol
	s_and_saveexec_b64 s[16:17], s[6:7]
	s_cbranch_execz .LBB160_480
; %bb.477:
	v_lshlrev_b32_e32 v3, 3, v5
	v_lshlrev_b32_e32 v18, 9, v6
	ds_read_b64 v[3:4], v3 offset:19744
	ds_read_b64 v[18:19], v18 offset:19760
	v_cmp_gt_u32_e64 s[14:15], 2, v8
	s_waitcnt lgkmcnt(0)
	v_mul_f32_e32 v20, v19, v4
	v_mul_f32_e32 v4, v18, v4
	v_fma_f32 v18, v18, v3, -v20
	v_fmac_f32_e32 v4, v19, v3
	v_add_f32_e32 v3, 0, v18
	v_add_f32_e32 v4, 0, v4
	s_and_saveexec_b64 s[20:21], s[14:15]
	s_cbranch_execz .LBB160_479
; %bb.478:
	v_lshlrev_b32_e32 v18, 3, v0
	v_mov_b32_e32 v20, 0
	ds_read_b64 v[18:19], v18 offset:20256
	ds_read_b64 v[20:21], v20 offset:20280
	s_waitcnt lgkmcnt(0)
	v_mul_f32_e32 v22, v21, v19
	v_mul_f32_e32 v19, v20, v19
	v_fma_f32 v20, v20, v18, -v22
	v_fmac_f32_e32 v19, v21, v18
	v_add_f32_e32 v3, v3, v20
	v_add_f32_e32 v4, v4, v19
.LBB160_479:
	s_or_b64 exec, exec, s[20:21]
.LBB160_480:
	s_or_b64 exec, exec, s[16:17]
	s_and_saveexec_b64 s[14:15], s[42:43]
	s_cbranch_execz .LBB160_482
; %bb.481:
	v_mov_b32_e32 v18, 0
	ds_read_b64 v[18:19], v18 offset:19240
	s_waitcnt lgkmcnt(0)
	v_mul_f32_e32 v20, v4, v19
	v_mul_f32_e32 v21, v3, v19
	v_fma_f32 v3, v3, v18, -v20
	v_fmac_f32_e32 v21, v4, v18
	v_xor_b32_e32 v18, 0x80000000, v3
	v_xor_b32_e32 v19, 0x80000000, v21
	v_mov_b32_e32 v4, v21
	ds_write_b64 v7, v[18:19]
.LBB160_482:
	s_or_b64 exec, exec, s[14:15]
	s_waitcnt lgkmcnt(0)
	s_barrier
	s_and_saveexec_b64 s[14:15], s[40:41]
	s_cbranch_execz .LBB160_484
; %bb.483:
	v_mov_b32_e32 v18, 0
	ds_read_b64 v[18:19], v18 offset:19232
	ds_read_b64 v[20:21], v7
	s_waitcnt lgkmcnt(0)
	v_mul_f32_e32 v22, v21, v19
	v_mul_f32_e32 v19, v20, v19
	v_fma_f32 v20, v20, v18, -v22
	v_fmac_f32_e32 v19, v21, v18
	v_sub_f32_e32 v3, v3, v20
	v_sub_f32_e32 v4, v4, v19
.LBB160_484:
	s_or_b64 exec, exec, s[14:15]
	s_barrier
	s_and_saveexec_b64 s[14:15], s[40:41]
	s_cbranch_execz .LBB160_486
; %bb.485:
	v_mov_b32_e32 v18, 0
	ds_read_b64 v[18:19], v18 offset:18720
	s_waitcnt lgkmcnt(0)
	v_mul_f32_e32 v20, v4, v19
	v_mul_f32_e32 v21, v3, v19
	v_fma_f32 v3, v3, v18, -v20
	v_fmac_f32_e32 v21, v4, v18
	v_xor_b32_e32 v18, 0x80000000, v3
	v_xor_b32_e32 v19, 0x80000000, v21
	v_mov_b32_e32 v4, v21
	ds_write_b64 v7, v[18:19]
.LBB160_486:
	s_or_b64 exec, exec, s[14:15]
	s_waitcnt lgkmcnt(0)
	s_barrier
	s_barrier
	s_and_saveexec_b64 s[14:15], s[6:7]
; %bb.487:
	v_lshlrev_b32_e32 v18, 3, v5
	v_lshl_or_b32 v18, v6, 9, v18
	ds_write_b64 v18, v[3:4] offset:19744
; %bb.488:
	s_or_b64 exec, exec, s[14:15]
	s_waitcnt lgkmcnt(0)
	s_barrier
	s_barrier
	s_and_saveexec_b64 s[14:15], vcc
	s_cbranch_execz .LBB160_490
; %bb.489:
	s_movk_i32 s16, 0x120
	v_mov_b32_e32 v22, 0
	v_add_u32_e64 v18, s16, 0
	ds_read_b64 v[3:4], v22 offset:19240
	ds_read2st64_b64 v[18:21], v18 offset0:36 offset1:37
	s_waitcnt lgkmcnt(0)
	v_mul_f32_e32 v23, v4, v19
	v_mul_f32_e32 v19, v3, v19
	v_fma_f32 v23, v3, v18, -v23
	v_fmac_f32_e32 v19, v4, v18
	v_mul_f32_e32 v3, v19, v21
	v_mul_f32_e32 v4, v23, v21
	v_fma_f32 v3, v23, v20, -v3
	v_fmac_f32_e32 v4, v19, v20
	ds_write_b64 v22, v[3:4] offset:19232
.LBB160_490:
	s_or_b64 exec, exec, s[14:15]
	v_mov_b32_e32 v4, 0
	v_mov_b32_e32 v3, 0
	s_waitcnt lgkmcnt(0)
	s_barrier
	buffer_wbinvl1_vol
	s_and_saveexec_b64 s[16:17], s[18:19]
	s_cbranch_execz .LBB160_496
; %bb.491:
	v_lshlrev_b32_e32 v18, 3, v9
	v_lshlrev_b32_e32 v19, 9, v10
	ds_read_b64 v[3:4], v18 offset:18688
	ds_read_b64 v[20:21], v19 offset:18720
	v_cmp_gt_u32_e64 s[14:15], 12, v8
	s_waitcnt lgkmcnt(0)
	v_mul_f32_e32 v22, v21, v4
	v_mul_f32_e32 v4, v20, v4
	v_fma_f32 v20, v20, v3, -v22
	v_fmac_f32_e32 v4, v21, v3
	v_add_f32_e32 v3, 0, v20
	v_add_f32_e32 v4, 0, v4
	s_and_saveexec_b64 s[20:21], s[14:15]
	s_cbranch_execnz .LBB160_1076
; %bb.492:
	s_or_b64 exec, exec, s[20:21]
	v_cmp_gt_u32_e64 s[14:15], 8, v8
	s_and_saveexec_b64 s[20:21], s[14:15]
	s_cbranch_execnz .LBB160_1077
.LBB160_493:
	s_or_b64 exec, exec, s[20:21]
	v_cmp_gt_u32_e64 s[14:15], 4, v8
	s_and_saveexec_b64 s[20:21], s[14:15]
	s_cbranch_execz .LBB160_495
.LBB160_494:
	v_lshlrev_b32_e32 v18, 3, v0
	v_mov_b32_e32 v20, 0
	ds_read_b64 v[18:19], v18 offset:20224
	ds_read_b64 v[20:21], v20 offset:20280
	s_waitcnt lgkmcnt(0)
	v_mul_f32_e32 v22, v21, v19
	v_mul_f32_e32 v19, v20, v19
	v_fma_f32 v20, v20, v18, -v22
	v_fmac_f32_e32 v19, v21, v18
	v_add_f32_e32 v3, v3, v20
	v_add_f32_e32 v4, v4, v19
.LBB160_495:
	s_or_b64 exec, exec, s[20:21]
.LBB160_496:
	s_or_b64 exec, exec, s[16:17]
	s_and_saveexec_b64 s[14:15], s[46:47]
	s_cbranch_execz .LBB160_498
; %bb.497:
	v_mov_b32_e32 v18, 0
	ds_read_b64 v[18:19], v18 offset:18200
	s_waitcnt lgkmcnt(0)
	v_mul_f32_e32 v20, v4, v19
	v_mul_f32_e32 v21, v3, v19
	v_fma_f32 v3, v3, v18, -v20
	v_fmac_f32_e32 v21, v4, v18
	v_xor_b32_e32 v18, 0x80000000, v3
	v_xor_b32_e32 v19, 0x80000000, v21
	v_mov_b32_e32 v4, v21
	ds_write_b64 v11, v[18:19]
.LBB160_498:
	s_or_b64 exec, exec, s[14:15]
	s_waitcnt lgkmcnt(0)
	s_barrier
	s_and_saveexec_b64 s[14:15], s[48:49]
	s_cbranch_execz .LBB160_500
; %bb.499:
	v_lshlrev_b32_e32 v18, 3, v9
	ds_read_b64 v[18:19], v18 offset:18176
	ds_read_b64 v[20:21], v11
	s_waitcnt lgkmcnt(0)
	v_mul_f32_e32 v22, v21, v19
	v_mul_f32_e32 v19, v20, v19
	v_fma_f32 v20, v20, v18, -v22
	v_fmac_f32_e32 v19, v21, v18
	v_sub_f32_e32 v3, v3, v20
	v_sub_f32_e32 v4, v4, v19
.LBB160_500:
	s_or_b64 exec, exec, s[14:15]
	s_barrier
	s_and_saveexec_b64 s[14:15], s[50:51]
	s_cbranch_execz .LBB160_502
; %bb.501:
	v_mov_b32_e32 v18, 0
	ds_read_b64 v[18:19], v18 offset:17680
	s_waitcnt lgkmcnt(0)
	v_mul_f32_e32 v20, v4, v19
	v_mul_f32_e32 v21, v3, v19
	v_fma_f32 v3, v3, v18, -v20
	v_fmac_f32_e32 v21, v4, v18
	v_xor_b32_e32 v18, 0x80000000, v3
	v_xor_b32_e32 v19, 0x80000000, v21
	v_mov_b32_e32 v4, v21
	ds_write_b64 v11, v[18:19]
.LBB160_502:
	s_or_b64 exec, exec, s[14:15]
	s_waitcnt lgkmcnt(0)
	s_barrier
	s_and_saveexec_b64 s[14:15], s[52:53]
	s_cbranch_execz .LBB160_504
; %bb.503:
	v_lshlrev_b32_e32 v18, 3, v9
	ds_read_b64 v[18:19], v18 offset:17664
	ds_read_b64 v[20:21], v11
	s_waitcnt lgkmcnt(0)
	v_mul_f32_e32 v22, v21, v19
	v_mul_f32_e32 v19, v20, v19
	v_fma_f32 v20, v20, v18, -v22
	v_fmac_f32_e32 v19, v21, v18
	v_sub_f32_e32 v3, v3, v20
	v_sub_f32_e32 v4, v4, v19
.LBB160_504:
	s_or_b64 exec, exec, s[14:15]
	s_barrier
	s_and_saveexec_b64 s[14:15], s[54:55]
	s_cbranch_execz .LBB160_506
; %bb.505:
	v_mov_b32_e32 v18, 0
	ds_read_b64 v[18:19], v18 offset:17160
	s_waitcnt lgkmcnt(0)
	v_mul_f32_e32 v20, v4, v19
	v_mul_f32_e32 v21, v3, v19
	v_fma_f32 v3, v3, v18, -v20
	v_fmac_f32_e32 v21, v4, v18
	v_xor_b32_e32 v18, 0x80000000, v3
	v_xor_b32_e32 v19, 0x80000000, v21
	v_mov_b32_e32 v4, v21
	ds_write_b64 v11, v[18:19]
.LBB160_506:
	s_or_b64 exec, exec, s[14:15]
	s_waitcnt lgkmcnt(0)
	s_barrier
	s_and_saveexec_b64 s[14:15], s[44:45]
	s_cbranch_execz .LBB160_508
; %bb.507:
	v_mov_b32_e32 v18, 0
	ds_read_b64 v[18:19], v18 offset:17152
	ds_read_b64 v[20:21], v11
	s_waitcnt lgkmcnt(0)
	v_mul_f32_e32 v22, v21, v19
	v_mul_f32_e32 v19, v20, v19
	v_fma_f32 v20, v20, v18, -v22
	v_fmac_f32_e32 v19, v21, v18
	v_sub_f32_e32 v3, v3, v20
	v_sub_f32_e32 v4, v4, v19
.LBB160_508:
	s_or_b64 exec, exec, s[14:15]
	s_barrier
	s_and_saveexec_b64 s[14:15], s[44:45]
	s_cbranch_execz .LBB160_510
; %bb.509:
	v_mov_b32_e32 v18, 0
	ds_read_b64 v[18:19], v18 offset:16640
	s_waitcnt lgkmcnt(0)
	v_mul_f32_e32 v20, v4, v19
	v_mul_f32_e32 v21, v3, v19
	v_fma_f32 v3, v3, v18, -v20
	v_fmac_f32_e32 v21, v4, v18
	v_xor_b32_e32 v18, 0x80000000, v3
	v_xor_b32_e32 v19, 0x80000000, v21
	v_mov_b32_e32 v4, v21
	ds_write_b64 v11, v[18:19]
.LBB160_510:
	s_or_b64 exec, exec, s[14:15]
	s_waitcnt lgkmcnt(0)
	s_barrier
	s_barrier
	s_and_saveexec_b64 s[14:15], s[18:19]
; %bb.511:
	v_lshlrev_b32_e32 v18, 3, v9
	v_lshl_or_b32 v18, v10, 9, v18
	ds_write_b64 v18, v[3:4] offset:18688
; %bb.512:
	s_or_b64 exec, exec, s[14:15]
	s_waitcnt lgkmcnt(0)
	s_barrier
	s_barrier
	s_and_saveexec_b64 s[14:15], vcc
	s_cbranch_execz .LBB160_514
; %bb.513:
	s_movk_i32 s16, 0x110
	v_mov_b32_e32 v22, 0
	v_add_u32_e64 v18, s16, 0
	ds_read_b64 v[3:4], v22 offset:18200
	ds_read2st64_b64 v[18:21], v18 offset0:34 offset1:35
	s_waitcnt lgkmcnt(0)
	v_mul_f32_e32 v23, v4, v19
	v_mul_f32_e32 v19, v3, v19
	v_fma_f32 v23, v3, v18, -v23
	v_fmac_f32_e32 v19, v4, v18
	v_mul_f32_e32 v3, v19, v21
	v_mul_f32_e32 v4, v23, v21
	v_fma_f32 v3, v23, v20, -v3
	v_fmac_f32_e32 v4, v19, v20
	ds_write_b64 v22, v[3:4] offset:18192
.LBB160_514:
	s_or_b64 exec, exec, s[14:15]
	v_mov_b32_e32 v3, 0
	v_mov_b32_e32 v4, 0
	s_waitcnt lgkmcnt(0)
	s_barrier
	buffer_wbinvl1_vol
	s_and_saveexec_b64 s[16:17], s[6:7]
	s_cbranch_execz .LBB160_518
; %bb.515:
	v_lshlrev_b32_e32 v3, 3, v5
	v_lshlrev_b32_e32 v18, 9, v6
	ds_read_b64 v[3:4], v3 offset:17664
	ds_read_b64 v[18:19], v18 offset:17680
	v_cmp_gt_u32_e64 s[14:15], 2, v8
	s_waitcnt lgkmcnt(0)
	v_mul_f32_e32 v20, v19, v4
	v_mul_f32_e32 v4, v18, v4
	v_fma_f32 v18, v18, v3, -v20
	v_fmac_f32_e32 v4, v19, v3
	v_add_f32_e32 v3, 0, v18
	v_add_f32_e32 v4, 0, v4
	s_and_saveexec_b64 s[20:21], s[14:15]
	s_cbranch_execz .LBB160_517
; %bb.516:
	v_lshlrev_b32_e32 v18, 3, v0
	v_mov_b32_e32 v20, 0
	ds_read_b64 v[18:19], v18 offset:18176
	ds_read_b64 v[20:21], v20 offset:18200
	s_waitcnt lgkmcnt(0)
	v_mul_f32_e32 v22, v21, v19
	v_mul_f32_e32 v19, v20, v19
	v_fma_f32 v20, v20, v18, -v22
	v_fmac_f32_e32 v19, v21, v18
	v_add_f32_e32 v3, v3, v20
	v_add_f32_e32 v4, v4, v19
.LBB160_517:
	s_or_b64 exec, exec, s[20:21]
.LBB160_518:
	s_or_b64 exec, exec, s[16:17]
	s_and_saveexec_b64 s[14:15], s[42:43]
	s_cbranch_execz .LBB160_520
; %bb.519:
	v_mov_b32_e32 v18, 0
	ds_read_b64 v[18:19], v18 offset:17160
	s_waitcnt lgkmcnt(0)
	v_mul_f32_e32 v20, v4, v19
	v_mul_f32_e32 v21, v3, v19
	v_fma_f32 v3, v3, v18, -v20
	v_fmac_f32_e32 v21, v4, v18
	v_xor_b32_e32 v18, 0x80000000, v3
	v_xor_b32_e32 v19, 0x80000000, v21
	v_mov_b32_e32 v4, v21
	ds_write_b64 v7, v[18:19]
.LBB160_520:
	s_or_b64 exec, exec, s[14:15]
	s_waitcnt lgkmcnt(0)
	s_barrier
	s_and_saveexec_b64 s[14:15], s[40:41]
	s_cbranch_execz .LBB160_522
; %bb.521:
	v_mov_b32_e32 v18, 0
	ds_read_b64 v[18:19], v18 offset:17152
	ds_read_b64 v[20:21], v7
	s_waitcnt lgkmcnt(0)
	v_mul_f32_e32 v22, v21, v19
	v_mul_f32_e32 v19, v20, v19
	v_fma_f32 v20, v20, v18, -v22
	v_fmac_f32_e32 v19, v21, v18
	v_sub_f32_e32 v3, v3, v20
	v_sub_f32_e32 v4, v4, v19
.LBB160_522:
	s_or_b64 exec, exec, s[14:15]
	s_barrier
	s_and_saveexec_b64 s[14:15], s[40:41]
	s_cbranch_execz .LBB160_524
; %bb.523:
	v_mov_b32_e32 v18, 0
	ds_read_b64 v[18:19], v18 offset:16640
	s_waitcnt lgkmcnt(0)
	v_mul_f32_e32 v20, v4, v19
	v_mul_f32_e32 v21, v3, v19
	v_fma_f32 v3, v3, v18, -v20
	v_fmac_f32_e32 v21, v4, v18
	v_xor_b32_e32 v18, 0x80000000, v3
	v_xor_b32_e32 v19, 0x80000000, v21
	v_mov_b32_e32 v4, v21
	ds_write_b64 v7, v[18:19]
.LBB160_524:
	s_or_b64 exec, exec, s[14:15]
	s_waitcnt lgkmcnt(0)
	s_barrier
	s_barrier
	s_and_saveexec_b64 s[14:15], s[6:7]
; %bb.525:
	v_lshlrev_b32_e32 v18, 3, v5
	v_lshl_or_b32 v18, v6, 9, v18
	ds_write_b64 v18, v[3:4] offset:17664
; %bb.526:
	s_or_b64 exec, exec, s[14:15]
	s_waitcnt lgkmcnt(0)
	s_barrier
	s_barrier
	s_and_saveexec_b64 s[14:15], vcc
	s_cbranch_execz .LBB160_528
; %bb.527:
	s_movk_i32 s16, 0x100
	v_mov_b32_e32 v22, 0
	v_add_u32_e64 v18, s16, 0
	ds_read_b64 v[3:4], v22 offset:17160
	ds_read2st64_b64 v[18:21], v18 offset0:32 offset1:33
	s_waitcnt lgkmcnt(0)
	v_mul_f32_e32 v23, v4, v19
	v_mul_f32_e32 v19, v3, v19
	v_fma_f32 v23, v3, v18, -v23
	v_fmac_f32_e32 v19, v4, v18
	v_mul_f32_e32 v3, v19, v21
	v_mul_f32_e32 v4, v23, v21
	v_fma_f32 v3, v23, v20, -v3
	v_fmac_f32_e32 v4, v19, v20
	ds_write_b64 v22, v[3:4] offset:17152
.LBB160_528:
	s_or_b64 exec, exec, s[14:15]
	s_movk_i32 s14, 0x3ff
	v_lshrrev_b32_e32 v20, 5, v8
	v_cmp_lt_u32_e64 s[16:17], s14, v8
	s_movk_i32 s14, 0x400
	v_and_b32_e32 v18, 31, v0
	v_sub_u32_e32 v19, 31, v20
	v_cmp_gt_u32_e64 s[14:15], s14, v8
	v_mov_b32_e32 v4, 0
	v_mov_b32_e32 v3, 0
	s_waitcnt lgkmcnt(0)
	s_barrier
	buffer_wbinvl1_vol
	s_and_saveexec_b64 s[86:87], s[14:15]
	s_cbranch_execz .LBB160_590
; %bb.529:
	v_lshlrev_b32_e32 v21, 3, v18
	v_lshlrev_b32_e32 v22, 9, v19
	ds_read_b64 v[3:4], v21 offset:16384
	ds_read_b64 v[23:24], v22 offset:16640
	s_movk_i32 s20, 0x3e0
	v_cmp_gt_u32_e64 s[20:21], s20, v8
	s_waitcnt lgkmcnt(0)
	v_mul_f32_e32 v25, v24, v4
	v_mul_f32_e32 v4, v23, v4
	v_fma_f32 v23, v23, v3, -v25
	v_fmac_f32_e32 v4, v24, v3
	v_add_f32_e32 v3, 0, v23
	v_add_f32_e32 v4, 0, v4
	s_and_saveexec_b64 s[88:89], s[20:21]
	s_cbranch_execz .LBB160_531
; %bb.530:
	ds_read_b64 v[23:24], v21 offset:16896
	ds_read_b64 v[25:26], v22 offset:16648
	s_waitcnt lgkmcnt(0)
	v_mul_f32_e32 v27, v26, v24
	v_mul_f32_e32 v24, v25, v24
	v_fma_f32 v25, v25, v23, -v27
	v_fmac_f32_e32 v24, v26, v23
	v_add_f32_e32 v3, v3, v25
	v_add_f32_e32 v4, v4, v24
.LBB160_531:
	s_or_b64 exec, exec, s[88:89]
	s_movk_i32 s20, 0x3c0
	v_cmp_gt_u32_e64 s[20:21], s20, v8
	s_and_saveexec_b64 s[88:89], s[20:21]
	s_cbranch_execz .LBB160_533
; %bb.532:
	ds_read_b64 v[23:24], v21 offset:17408
	ds_read_b64 v[25:26], v22 offset:16656
	s_waitcnt lgkmcnt(0)
	v_mul_f32_e32 v27, v26, v24
	v_mul_f32_e32 v24, v25, v24
	v_fma_f32 v25, v25, v23, -v27
	v_fmac_f32_e32 v24, v26, v23
	v_add_f32_e32 v3, v3, v25
	v_add_f32_e32 v4, v4, v24
.LBB160_533:
	s_or_b64 exec, exec, s[88:89]
	s_movk_i32 s20, 0x3a0
	v_cmp_gt_u32_e64 s[20:21], s20, v8
	;; [unrolled: 16-line block ×22, first 2 shown]
	s_and_saveexec_b64 s[88:89], s[20:21]
	s_cbranch_execz .LBB160_575
; %bb.574:
	ds_read_b64 v[23:24], v21 offset:28160
	ds_read_b64 v[25:26], v22 offset:16824
	s_waitcnt lgkmcnt(0)
	v_mul_f32_e32 v27, v26, v24
	v_mul_f32_e32 v24, v25, v24
	v_fma_f32 v25, v25, v23, -v27
	v_fmac_f32_e32 v24, v26, v23
	v_add_f32_e32 v3, v3, v25
	v_add_f32_e32 v4, v4, v24
.LBB160_575:
	s_or_b64 exec, exec, s[88:89]
	s_and_saveexec_b64 s[20:21], s[12:13]
	s_cbranch_execz .LBB160_577
; %bb.576:
	ds_read_b64 v[23:24], v21 offset:28672
	ds_read_b64 v[25:26], v22 offset:16832
	s_waitcnt lgkmcnt(0)
	v_mul_f32_e32 v27, v26, v24
	v_mul_f32_e32 v24, v25, v24
	v_fma_f32 v25, v25, v23, -v27
	v_fmac_f32_e32 v24, v26, v23
	v_add_f32_e32 v3, v3, v25
	v_add_f32_e32 v4, v4, v24
.LBB160_577:
	s_or_b64 exec, exec, s[20:21]
	s_movk_i32 s20, 0xe0
	v_cmp_gt_u32_e64 s[20:21], s20, v8
	s_and_saveexec_b64 s[88:89], s[20:21]
	s_cbranch_execz .LBB160_579
; %bb.578:
	ds_read_b64 v[23:24], v21 offset:29184
	ds_read_b64 v[25:26], v22 offset:16840
	s_waitcnt lgkmcnt(0)
	v_mul_f32_e32 v27, v26, v24
	v_mul_f32_e32 v24, v25, v24
	v_fma_f32 v25, v25, v23, -v27
	v_fmac_f32_e32 v24, v26, v23
	v_add_f32_e32 v3, v3, v25
	v_add_f32_e32 v4, v4, v24
.LBB160_579:
	s_or_b64 exec, exec, s[88:89]
	s_movk_i32 s20, 0xc0
	v_cmp_gt_u32_e64 s[20:21], s20, v8
	;; [unrolled: 16-line block ×5, first 2 shown]
	s_and_saveexec_b64 s[88:89], s[20:21]
	s_cbranch_execnz .LBB160_1078
; %bb.586:
	s_or_b64 exec, exec, s[88:89]
	s_and_saveexec_b64 s[20:21], s[10:11]
	s_cbranch_execnz .LBB160_1079
.LBB160_587:
	s_or_b64 exec, exec, s[20:21]
	v_cmp_gt_u32_e64 s[20:21], 32, v8
	s_and_saveexec_b64 s[88:89], s[20:21]
	s_cbranch_execz .LBB160_589
.LBB160_588:
	ds_read_b64 v[23:24], v21 offset:32256
	ds_read_b64 v[21:22], v22 offset:16888
	s_waitcnt lgkmcnt(0)
	v_mul_f32_e32 v25, v22, v24
	v_mul_f32_e32 v24, v21, v24
	v_fma_f32 v21, v21, v23, -v25
	v_fmac_f32_e32 v24, v22, v23
	v_add_f32_e32 v3, v3, v21
	v_add_f32_e32 v4, v4, v24
.LBB160_589:
	s_or_b64 exec, exec, s[88:89]
.LBB160_590:
	s_or_b64 exec, exec, s[86:87]
	v_mov_b32_e32 v21, 0x8000
	s_movk_i32 s20, 0x208
	v_lshlrev_b32_e32 v22, 9, v18
	v_mov_b32_e32 v23, 0x3c00
	v_lshl_add_u32 v20, v20, 3, v21
	v_mul_u32_u24_e32 v21, 0x208, v18
	v_sub_u32_e32 v22, 0, v22
	v_mad_u32_u24 v23, v18, s20, v23
	s_mov_b32 s86, 31
	s_xor_b64 s[20:21], s[16:17], -1
	s_branch .LBB160_592
.LBB160_591:                            ;   in Loop: Header=BB160_592 Depth=1
	s_or_b64 exec, exec, s[16:17]
	s_add_i32 s86, s86, -2
	s_cmp_eq_u32 s87, 0
	v_add_u32_e32 v22, 0xfffffc00, v22
	s_barrier
	s_cbranch_scc1 .LBB160_600
.LBB160_592:                            ; =>This Inner Loop Header: Depth=1
	s_movk_i32 s16, 0xc200
	v_cmp_eq_u32_e64 s[16:17], s16, v22
	s_and_b64 s[88:89], s[20:21], s[16:17]
	s_and_saveexec_b64 s[16:17], s[88:89]
	s_cbranch_execz .LBB160_594
; %bb.593:                              ;   in Loop: Header=BB160_592 Depth=1
	ds_read_b64 v[24:25], v21
	s_waitcnt lgkmcnt(0)
	v_mul_f32_e32 v26, v4, v25
	v_mul_f32_e32 v27, v3, v25
	v_fma_f32 v3, v3, v24, -v26
	v_fmac_f32_e32 v27, v4, v24
	v_xor_b32_e32 v24, 0x80000000, v3
	v_xor_b32_e32 v25, 0x80000000, v27
	v_mov_b32_e32 v4, v27
	ds_write_b64 v20, v[24:25]
.LBB160_594:                            ;   in Loop: Header=BB160_592 Depth=1
	s_or_b64 exec, exec, s[16:17]
	v_cmp_gt_u32_e64 s[16:17], s86, v18
	s_and_b64 s[88:89], s[20:21], s[16:17]
	v_add_u32_e32 v24, v23, v22
	s_waitcnt lgkmcnt(0)
	s_barrier
	s_and_saveexec_b64 s[16:17], s[88:89]
	s_cbranch_execz .LBB160_596
; %bb.595:                              ;   in Loop: Header=BB160_592 Depth=1
	ds_read_b64 v[25:26], v24 offset:512
	ds_read_b64 v[27:28], v20
	s_waitcnt lgkmcnt(0)
	v_mul_f32_e32 v29, v28, v26
	v_mul_f32_e32 v26, v27, v26
	v_fma_f32 v27, v27, v25, -v29
	v_fmac_f32_e32 v26, v28, v25
	v_sub_f32_e32 v3, v3, v27
	v_sub_f32_e32 v4, v4, v26
.LBB160_596:                            ;   in Loop: Header=BB160_592 Depth=1
	s_or_b64 exec, exec, s[16:17]
	s_add_i32 s87, s86, -1
	v_cmp_eq_u32_e64 s[16:17], s87, v18
	s_and_b64 s[88:89], s[20:21], s[16:17]
	s_barrier
	s_and_saveexec_b64 s[16:17], s[88:89]
	s_cbranch_execz .LBB160_598
; %bb.597:                              ;   in Loop: Header=BB160_592 Depth=1
	ds_read_b64 v[25:26], v21
	s_waitcnt lgkmcnt(0)
	v_mul_f32_e32 v27, v4, v26
	v_mul_f32_e32 v28, v3, v26
	v_fma_f32 v3, v3, v25, -v27
	v_fmac_f32_e32 v28, v4, v25
	v_xor_b32_e32 v25, 0x80000000, v3
	v_xor_b32_e32 v26, 0x80000000, v28
	v_mov_b32_e32 v4, v28
	ds_write_b64 v20, v[25:26]
.LBB160_598:                            ;   in Loop: Header=BB160_592 Depth=1
	s_or_b64 exec, exec, s[16:17]
	v_cmp_gt_u32_e64 s[16:17], s87, v18
	s_and_b64 s[88:89], s[20:21], s[16:17]
	s_waitcnt lgkmcnt(0)
	s_barrier
	s_and_saveexec_b64 s[16:17], s[88:89]
	s_cbranch_execz .LBB160_591
; %bb.599:                              ;   in Loop: Header=BB160_592 Depth=1
	ds_read_b64 v[24:25], v24
	ds_read_b64 v[26:27], v20
	s_waitcnt lgkmcnt(0)
	v_mul_f32_e32 v28, v27, v25
	v_mul_f32_e32 v25, v26, v25
	v_fma_f32 v26, v26, v24, -v28
	v_fmac_f32_e32 v25, v27, v24
	v_sub_f32_e32 v3, v3, v26
	v_sub_f32_e32 v4, v4, v25
	s_branch .LBB160_591
.LBB160_600:
	s_and_saveexec_b64 s[16:17], s[14:15]
; %bb.601:
	v_lshlrev_b32_e32 v18, 3, v18
	v_lshl_or_b32 v18, v19, 9, v18
	ds_write_b64 v18, v[3:4] offset:16384
; %bb.602:
	s_or_b64 exec, exec, s[16:17]
	s_waitcnt lgkmcnt(0)
	s_barrier
	s_barrier
	s_and_saveexec_b64 s[14:15], vcc
	s_cbranch_execz .LBB160_604
; %bb.603:
	s_movk_i32 s16, 0xf0
	v_mov_b32_e32 v22, 0
	v_add_u32_e64 v18, s16, 0
	ds_read_b64 v[3:4], v22 offset:16120
	ds_read2st64_b64 v[18:21], v18 offset0:30 offset1:31
	s_waitcnt lgkmcnt(0)
	v_mul_f32_e32 v23, v4, v19
	v_mul_f32_e32 v19, v3, v19
	v_fma_f32 v23, v3, v18, -v23
	v_fmac_f32_e32 v19, v4, v18
	v_mul_f32_e32 v3, v19, v21
	v_mul_f32_e32 v4, v23, v21
	v_fma_f32 v3, v23, v20, -v3
	v_fmac_f32_e32 v4, v19, v20
	ds_write_b64 v22, v[3:4] offset:16112
.LBB160_604:
	s_or_b64 exec, exec, s[14:15]
	v_mov_b32_e32 v3, 0
	v_mov_b32_e32 v4, 0
	s_waitcnt lgkmcnt(0)
	s_barrier
	buffer_wbinvl1_vol
	s_and_saveexec_b64 s[16:17], s[6:7]
	s_cbranch_execz .LBB160_608
; %bb.605:
	v_lshlrev_b32_e32 v3, 3, v5
	v_lshlrev_b32_e32 v18, 9, v6
	ds_read_b64 v[3:4], v3 offset:15584
	ds_read_b64 v[18:19], v18 offset:15600
	v_cmp_gt_u32_e64 s[14:15], 2, v8
	s_waitcnt lgkmcnt(0)
	v_mul_f32_e32 v20, v19, v4
	v_mul_f32_e32 v4, v18, v4
	v_fma_f32 v18, v18, v3, -v20
	v_fmac_f32_e32 v4, v19, v3
	v_add_f32_e32 v3, 0, v18
	v_add_f32_e32 v4, 0, v4
	s_and_saveexec_b64 s[20:21], s[14:15]
	s_cbranch_execz .LBB160_607
; %bb.606:
	v_lshlrev_b32_e32 v18, 3, v0
	v_mov_b32_e32 v20, 0
	ds_read_b64 v[18:19], v18 offset:16096
	ds_read_b64 v[20:21], v20 offset:16120
	s_waitcnt lgkmcnt(0)
	v_mul_f32_e32 v22, v21, v19
	v_mul_f32_e32 v19, v20, v19
	v_fma_f32 v20, v20, v18, -v22
	v_fmac_f32_e32 v19, v21, v18
	v_add_f32_e32 v3, v3, v20
	v_add_f32_e32 v4, v4, v19
.LBB160_607:
	s_or_b64 exec, exec, s[20:21]
.LBB160_608:
	s_or_b64 exec, exec, s[16:17]
	s_and_saveexec_b64 s[14:15], s[42:43]
	s_cbranch_execz .LBB160_610
; %bb.609:
	v_mov_b32_e32 v18, 0
	ds_read_b64 v[18:19], v18 offset:15080
	s_waitcnt lgkmcnt(0)
	v_mul_f32_e32 v20, v4, v19
	v_mul_f32_e32 v21, v3, v19
	v_fma_f32 v3, v3, v18, -v20
	v_fmac_f32_e32 v21, v4, v18
	v_xor_b32_e32 v18, 0x80000000, v3
	v_xor_b32_e32 v19, 0x80000000, v21
	v_mov_b32_e32 v4, v21
	ds_write_b64 v7, v[18:19]
.LBB160_610:
	s_or_b64 exec, exec, s[14:15]
	s_waitcnt lgkmcnt(0)
	s_barrier
	s_and_saveexec_b64 s[14:15], s[40:41]
	s_cbranch_execz .LBB160_612
; %bb.611:
	v_mov_b32_e32 v18, 0
	ds_read_b64 v[18:19], v18 offset:15072
	ds_read_b64 v[20:21], v7
	s_waitcnt lgkmcnt(0)
	v_mul_f32_e32 v22, v21, v19
	v_mul_f32_e32 v19, v20, v19
	v_fma_f32 v20, v20, v18, -v22
	v_fmac_f32_e32 v19, v21, v18
	v_sub_f32_e32 v3, v3, v20
	v_sub_f32_e32 v4, v4, v19
.LBB160_612:
	s_or_b64 exec, exec, s[14:15]
	s_barrier
	s_and_saveexec_b64 s[14:15], s[40:41]
	s_cbranch_execz .LBB160_614
; %bb.613:
	v_mov_b32_e32 v18, 0
	ds_read_b64 v[18:19], v18 offset:14560
	s_waitcnt lgkmcnt(0)
	v_mul_f32_e32 v20, v4, v19
	v_mul_f32_e32 v21, v3, v19
	v_fma_f32 v3, v3, v18, -v20
	v_fmac_f32_e32 v21, v4, v18
	v_xor_b32_e32 v18, 0x80000000, v3
	v_xor_b32_e32 v19, 0x80000000, v21
	v_mov_b32_e32 v4, v21
	ds_write_b64 v7, v[18:19]
.LBB160_614:
	s_or_b64 exec, exec, s[14:15]
	s_waitcnt lgkmcnt(0)
	s_barrier
	s_barrier
	s_and_saveexec_b64 s[14:15], s[6:7]
; %bb.615:
	v_lshlrev_b32_e32 v18, 3, v5
	v_lshl_or_b32 v18, v6, 9, v18
	ds_write_b64 v18, v[3:4] offset:15584
; %bb.616:
	s_or_b64 exec, exec, s[14:15]
	s_waitcnt lgkmcnt(0)
	s_barrier
	s_barrier
	s_and_saveexec_b64 s[14:15], vcc
	s_cbranch_execz .LBB160_618
; %bb.617:
	s_movk_i32 s16, 0xe0
	v_mov_b32_e32 v22, 0
	v_add_u32_e64 v18, s16, 0
	ds_read_b64 v[3:4], v22 offset:15080
	ds_read2st64_b64 v[18:21], v18 offset0:28 offset1:29
	s_waitcnt lgkmcnt(0)
	v_mul_f32_e32 v23, v4, v19
	v_mul_f32_e32 v19, v3, v19
	v_fma_f32 v23, v3, v18, -v23
	v_fmac_f32_e32 v19, v4, v18
	v_mul_f32_e32 v3, v19, v21
	v_mul_f32_e32 v4, v23, v21
	v_fma_f32 v3, v23, v20, -v3
	v_fmac_f32_e32 v4, v19, v20
	ds_write_b64 v22, v[3:4] offset:15072
.LBB160_618:
	s_or_b64 exec, exec, s[14:15]
	v_mov_b32_e32 v4, 0
	v_mov_b32_e32 v3, 0
	s_waitcnt lgkmcnt(0)
	s_barrier
	buffer_wbinvl1_vol
	s_and_saveexec_b64 s[16:17], s[18:19]
	s_cbranch_execz .LBB160_624
; %bb.619:
	v_lshlrev_b32_e32 v18, 3, v9
	v_lshlrev_b32_e32 v19, 9, v10
	ds_read_b64 v[3:4], v18 offset:14528
	ds_read_b64 v[20:21], v19 offset:14560
	v_cmp_gt_u32_e64 s[14:15], 12, v8
	s_waitcnt lgkmcnt(0)
	v_mul_f32_e32 v22, v21, v4
	v_mul_f32_e32 v4, v20, v4
	v_fma_f32 v20, v20, v3, -v22
	v_fmac_f32_e32 v4, v21, v3
	v_add_f32_e32 v3, 0, v20
	v_add_f32_e32 v4, 0, v4
	s_and_saveexec_b64 s[20:21], s[14:15]
	s_cbranch_execnz .LBB160_1080
; %bb.620:
	s_or_b64 exec, exec, s[20:21]
	v_cmp_gt_u32_e64 s[14:15], 8, v8
	s_and_saveexec_b64 s[20:21], s[14:15]
	s_cbranch_execnz .LBB160_1081
.LBB160_621:
	s_or_b64 exec, exec, s[20:21]
	v_cmp_gt_u32_e64 s[14:15], 4, v8
	s_and_saveexec_b64 s[20:21], s[14:15]
	s_cbranch_execz .LBB160_623
.LBB160_622:
	v_lshlrev_b32_e32 v18, 3, v0
	v_mov_b32_e32 v20, 0
	ds_read_b64 v[18:19], v18 offset:16064
	ds_read_b64 v[20:21], v20 offset:16120
	s_waitcnt lgkmcnt(0)
	v_mul_f32_e32 v22, v21, v19
	v_mul_f32_e32 v19, v20, v19
	v_fma_f32 v20, v20, v18, -v22
	v_fmac_f32_e32 v19, v21, v18
	v_add_f32_e32 v3, v3, v20
	v_add_f32_e32 v4, v4, v19
.LBB160_623:
	s_or_b64 exec, exec, s[20:21]
.LBB160_624:
	s_or_b64 exec, exec, s[16:17]
	s_and_saveexec_b64 s[14:15], s[46:47]
	s_cbranch_execz .LBB160_626
; %bb.625:
	v_mov_b32_e32 v18, 0
	ds_read_b64 v[18:19], v18 offset:14040
	s_waitcnt lgkmcnt(0)
	v_mul_f32_e32 v20, v4, v19
	v_mul_f32_e32 v21, v3, v19
	v_fma_f32 v3, v3, v18, -v20
	v_fmac_f32_e32 v21, v4, v18
	v_xor_b32_e32 v18, 0x80000000, v3
	v_xor_b32_e32 v19, 0x80000000, v21
	v_mov_b32_e32 v4, v21
	ds_write_b64 v11, v[18:19]
.LBB160_626:
	s_or_b64 exec, exec, s[14:15]
	s_waitcnt lgkmcnt(0)
	s_barrier
	s_and_saveexec_b64 s[14:15], s[48:49]
	s_cbranch_execz .LBB160_628
; %bb.627:
	v_lshlrev_b32_e32 v18, 3, v9
	ds_read_b64 v[18:19], v18 offset:14016
	ds_read_b64 v[20:21], v11
	s_waitcnt lgkmcnt(0)
	v_mul_f32_e32 v22, v21, v19
	v_mul_f32_e32 v19, v20, v19
	v_fma_f32 v20, v20, v18, -v22
	v_fmac_f32_e32 v19, v21, v18
	v_sub_f32_e32 v3, v3, v20
	v_sub_f32_e32 v4, v4, v19
.LBB160_628:
	s_or_b64 exec, exec, s[14:15]
	s_barrier
	s_and_saveexec_b64 s[14:15], s[50:51]
	s_cbranch_execz .LBB160_630
; %bb.629:
	v_mov_b32_e32 v18, 0
	ds_read_b64 v[18:19], v18 offset:13520
	s_waitcnt lgkmcnt(0)
	v_mul_f32_e32 v20, v4, v19
	v_mul_f32_e32 v21, v3, v19
	v_fma_f32 v3, v3, v18, -v20
	v_fmac_f32_e32 v21, v4, v18
	v_xor_b32_e32 v18, 0x80000000, v3
	v_xor_b32_e32 v19, 0x80000000, v21
	v_mov_b32_e32 v4, v21
	ds_write_b64 v11, v[18:19]
.LBB160_630:
	s_or_b64 exec, exec, s[14:15]
	s_waitcnt lgkmcnt(0)
	s_barrier
	s_and_saveexec_b64 s[14:15], s[52:53]
	s_cbranch_execz .LBB160_632
; %bb.631:
	v_lshlrev_b32_e32 v18, 3, v9
	ds_read_b64 v[18:19], v18 offset:13504
	ds_read_b64 v[20:21], v11
	s_waitcnt lgkmcnt(0)
	v_mul_f32_e32 v22, v21, v19
	v_mul_f32_e32 v19, v20, v19
	v_fma_f32 v20, v20, v18, -v22
	v_fmac_f32_e32 v19, v21, v18
	v_sub_f32_e32 v3, v3, v20
	v_sub_f32_e32 v4, v4, v19
.LBB160_632:
	s_or_b64 exec, exec, s[14:15]
	s_barrier
	s_and_saveexec_b64 s[14:15], s[54:55]
	s_cbranch_execz .LBB160_634
; %bb.633:
	v_mov_b32_e32 v18, 0
	ds_read_b64 v[18:19], v18 offset:13000
	s_waitcnt lgkmcnt(0)
	v_mul_f32_e32 v20, v4, v19
	v_mul_f32_e32 v21, v3, v19
	v_fma_f32 v3, v3, v18, -v20
	v_fmac_f32_e32 v21, v4, v18
	v_xor_b32_e32 v18, 0x80000000, v3
	v_xor_b32_e32 v19, 0x80000000, v21
	v_mov_b32_e32 v4, v21
	ds_write_b64 v11, v[18:19]
.LBB160_634:
	s_or_b64 exec, exec, s[14:15]
	s_waitcnt lgkmcnt(0)
	s_barrier
	s_and_saveexec_b64 s[14:15], s[44:45]
	s_cbranch_execz .LBB160_636
; %bb.635:
	v_mov_b32_e32 v18, 0
	ds_read_b64 v[18:19], v18 offset:12992
	ds_read_b64 v[20:21], v11
	s_waitcnt lgkmcnt(0)
	v_mul_f32_e32 v22, v21, v19
	v_mul_f32_e32 v19, v20, v19
	v_fma_f32 v20, v20, v18, -v22
	v_fmac_f32_e32 v19, v21, v18
	v_sub_f32_e32 v3, v3, v20
	v_sub_f32_e32 v4, v4, v19
.LBB160_636:
	s_or_b64 exec, exec, s[14:15]
	s_barrier
	s_and_saveexec_b64 s[14:15], s[44:45]
	s_cbranch_execz .LBB160_638
; %bb.637:
	v_mov_b32_e32 v18, 0
	ds_read_b64 v[18:19], v18 offset:12480
	s_waitcnt lgkmcnt(0)
	v_mul_f32_e32 v20, v4, v19
	v_mul_f32_e32 v21, v3, v19
	v_fma_f32 v3, v3, v18, -v20
	v_fmac_f32_e32 v21, v4, v18
	v_xor_b32_e32 v18, 0x80000000, v3
	v_xor_b32_e32 v19, 0x80000000, v21
	v_mov_b32_e32 v4, v21
	ds_write_b64 v11, v[18:19]
.LBB160_638:
	s_or_b64 exec, exec, s[14:15]
	s_waitcnt lgkmcnt(0)
	s_barrier
	s_barrier
	s_and_saveexec_b64 s[14:15], s[18:19]
; %bb.639:
	v_lshlrev_b32_e32 v18, 3, v9
	v_lshl_or_b32 v18, v10, 9, v18
	ds_write_b64 v18, v[3:4] offset:14528
; %bb.640:
	s_or_b64 exec, exec, s[14:15]
	s_waitcnt lgkmcnt(0)
	s_barrier
	s_barrier
	s_and_saveexec_b64 s[14:15], vcc
	s_cbranch_execz .LBB160_642
; %bb.641:
	s_movk_i32 s16, 0xd0
	v_mov_b32_e32 v22, 0
	v_add_u32_e64 v18, s16, 0
	ds_read_b64 v[3:4], v22 offset:14040
	ds_read2st64_b64 v[18:21], v18 offset0:26 offset1:27
	s_waitcnt lgkmcnt(0)
	v_mul_f32_e32 v23, v4, v19
	v_mul_f32_e32 v19, v3, v19
	v_fma_f32 v23, v3, v18, -v23
	v_fmac_f32_e32 v19, v4, v18
	v_mul_f32_e32 v3, v19, v21
	v_mul_f32_e32 v4, v23, v21
	v_fma_f32 v3, v23, v20, -v3
	v_fmac_f32_e32 v4, v19, v20
	ds_write_b64 v22, v[3:4] offset:14032
.LBB160_642:
	s_or_b64 exec, exec, s[14:15]
	v_mov_b32_e32 v3, 0
	v_mov_b32_e32 v4, 0
	s_waitcnt lgkmcnt(0)
	s_barrier
	buffer_wbinvl1_vol
	s_and_saveexec_b64 s[16:17], s[6:7]
	s_cbranch_execz .LBB160_646
; %bb.643:
	v_lshlrev_b32_e32 v3, 3, v5
	v_lshlrev_b32_e32 v18, 9, v6
	ds_read_b64 v[3:4], v3 offset:13504
	ds_read_b64 v[18:19], v18 offset:13520
	v_cmp_gt_u32_e64 s[14:15], 2, v8
	s_waitcnt lgkmcnt(0)
	v_mul_f32_e32 v20, v19, v4
	v_mul_f32_e32 v4, v18, v4
	v_fma_f32 v18, v18, v3, -v20
	v_fmac_f32_e32 v4, v19, v3
	v_add_f32_e32 v3, 0, v18
	v_add_f32_e32 v4, 0, v4
	s_and_saveexec_b64 s[20:21], s[14:15]
	s_cbranch_execz .LBB160_645
; %bb.644:
	v_lshlrev_b32_e32 v18, 3, v0
	v_mov_b32_e32 v20, 0
	ds_read_b64 v[18:19], v18 offset:14016
	ds_read_b64 v[20:21], v20 offset:14040
	s_waitcnt lgkmcnt(0)
	v_mul_f32_e32 v22, v21, v19
	v_mul_f32_e32 v19, v20, v19
	v_fma_f32 v20, v20, v18, -v22
	v_fmac_f32_e32 v19, v21, v18
	v_add_f32_e32 v3, v3, v20
	v_add_f32_e32 v4, v4, v19
.LBB160_645:
	s_or_b64 exec, exec, s[20:21]
.LBB160_646:
	s_or_b64 exec, exec, s[16:17]
	s_and_saveexec_b64 s[14:15], s[42:43]
	s_cbranch_execz .LBB160_648
; %bb.647:
	v_mov_b32_e32 v18, 0
	ds_read_b64 v[18:19], v18 offset:13000
	s_waitcnt lgkmcnt(0)
	v_mul_f32_e32 v20, v4, v19
	v_mul_f32_e32 v21, v3, v19
	v_fma_f32 v3, v3, v18, -v20
	v_fmac_f32_e32 v21, v4, v18
	v_xor_b32_e32 v18, 0x80000000, v3
	v_xor_b32_e32 v19, 0x80000000, v21
	v_mov_b32_e32 v4, v21
	ds_write_b64 v7, v[18:19]
.LBB160_648:
	s_or_b64 exec, exec, s[14:15]
	s_waitcnt lgkmcnt(0)
	s_barrier
	s_and_saveexec_b64 s[14:15], s[40:41]
	s_cbranch_execz .LBB160_650
; %bb.649:
	v_mov_b32_e32 v18, 0
	ds_read_b64 v[18:19], v18 offset:12992
	ds_read_b64 v[20:21], v7
	s_waitcnt lgkmcnt(0)
	v_mul_f32_e32 v22, v21, v19
	v_mul_f32_e32 v19, v20, v19
	v_fma_f32 v20, v20, v18, -v22
	v_fmac_f32_e32 v19, v21, v18
	v_sub_f32_e32 v3, v3, v20
	v_sub_f32_e32 v4, v4, v19
.LBB160_650:
	s_or_b64 exec, exec, s[14:15]
	s_barrier
	s_and_saveexec_b64 s[14:15], s[40:41]
	s_cbranch_execz .LBB160_652
; %bb.651:
	v_mov_b32_e32 v18, 0
	ds_read_b64 v[18:19], v18 offset:12480
	s_waitcnt lgkmcnt(0)
	v_mul_f32_e32 v20, v4, v19
	v_mul_f32_e32 v21, v3, v19
	v_fma_f32 v3, v3, v18, -v20
	v_fmac_f32_e32 v21, v4, v18
	v_xor_b32_e32 v18, 0x80000000, v3
	v_xor_b32_e32 v19, 0x80000000, v21
	v_mov_b32_e32 v4, v21
	ds_write_b64 v7, v[18:19]
.LBB160_652:
	s_or_b64 exec, exec, s[14:15]
	s_waitcnt lgkmcnt(0)
	s_barrier
	s_barrier
	s_and_saveexec_b64 s[14:15], s[6:7]
; %bb.653:
	v_lshlrev_b32_e32 v18, 3, v5
	v_lshl_or_b32 v18, v6, 9, v18
	ds_write_b64 v18, v[3:4] offset:13504
; %bb.654:
	s_or_b64 exec, exec, s[14:15]
	s_waitcnt lgkmcnt(0)
	s_barrier
	s_barrier
	s_and_saveexec_b64 s[14:15], vcc
	s_cbranch_execz .LBB160_656
; %bb.655:
	s_movk_i32 s16, 0xc0
	v_mov_b32_e32 v22, 0
	v_add_u32_e64 v18, s16, 0
	ds_read_b64 v[3:4], v22 offset:13000
	ds_read2st64_b64 v[18:21], v18 offset0:24 offset1:25
	s_waitcnt lgkmcnt(0)
	v_mul_f32_e32 v23, v4, v19
	v_mul_f32_e32 v19, v3, v19
	v_fma_f32 v23, v3, v18, -v23
	v_fmac_f32_e32 v19, v4, v18
	v_mul_f32_e32 v3, v19, v21
	v_mul_f32_e32 v4, v23, v21
	v_fma_f32 v3, v23, v20, -v3
	v_fmac_f32_e32 v4, v19, v20
	ds_write_b64 v22, v[3:4] offset:12992
.LBB160_656:
	s_or_b64 exec, exec, s[14:15]
	v_mov_b32_e32 v4, 0
	v_mov_b32_e32 v3, 0
	s_waitcnt lgkmcnt(0)
	s_barrier
	buffer_wbinvl1_vol
	s_and_saveexec_b64 s[16:17], s[10:11]
	s_cbranch_execz .LBB160_666
; %bb.657:
	v_lshlrev_b32_e32 v18, 3, v12
	v_lshlrev_b32_e32 v19, 9, v13
	ds_read_b64 v[3:4], v18 offset:12416
	ds_read_b64 v[20:21], v19 offset:12480
	v_cmp_gt_u32_e64 s[14:15], 56, v8
	s_waitcnt lgkmcnt(0)
	v_mul_f32_e32 v22, v21, v4
	v_mul_f32_e32 v4, v20, v4
	v_fma_f32 v20, v20, v3, -v22
	v_fmac_f32_e32 v4, v21, v3
	v_add_f32_e32 v3, 0, v20
	v_add_f32_e32 v4, 0, v4
	s_and_saveexec_b64 s[20:21], s[14:15]
	s_cbranch_execnz .LBB160_1082
; %bb.658:
	s_or_b64 exec, exec, s[20:21]
	v_cmp_gt_u32_e64 s[14:15], 48, v8
	s_and_saveexec_b64 s[20:21], s[14:15]
	s_cbranch_execnz .LBB160_1083
.LBB160_659:
	s_or_b64 exec, exec, s[20:21]
	v_cmp_gt_u32_e64 s[14:15], 40, v8
	s_and_saveexec_b64 s[20:21], s[14:15]
	s_cbranch_execnz .LBB160_1084
.LBB160_660:
	s_or_b64 exec, exec, s[20:21]
	v_cmp_gt_u32_e64 s[14:15], 32, v8
	s_and_saveexec_b64 s[20:21], s[14:15]
	s_cbranch_execnz .LBB160_1085
.LBB160_661:
	s_or_b64 exec, exec, s[20:21]
	v_cmp_gt_u32_e64 s[14:15], 24, v8
	s_and_saveexec_b64 s[20:21], s[14:15]
	s_cbranch_execnz .LBB160_1086
.LBB160_662:
	s_or_b64 exec, exec, s[20:21]
	s_and_saveexec_b64 s[14:15], s[18:19]
	s_cbranch_execnz .LBB160_1087
.LBB160_663:
	s_or_b64 exec, exec, s[14:15]
	v_cmp_gt_u32_e64 s[14:15], 8, v8
	s_and_saveexec_b64 s[20:21], s[14:15]
	s_cbranch_execz .LBB160_665
.LBB160_664:
	v_lshlrev_b32_e32 v18, 3, v0
	v_mov_b32_e32 v20, 0
	ds_read_b64 v[18:19], v18 offset:16000
	ds_read_b64 v[20:21], v20 offset:16120
	s_waitcnt lgkmcnt(0)
	v_mul_f32_e32 v22, v21, v19
	v_mul_f32_e32 v19, v20, v19
	v_fma_f32 v20, v20, v18, -v22
	v_fmac_f32_e32 v19, v21, v18
	v_add_f32_e32 v3, v3, v20
	v_add_f32_e32 v4, v4, v19
.LBB160_665:
	s_or_b64 exec, exec, s[20:21]
.LBB160_666:
	s_or_b64 exec, exec, s[16:17]
	s_and_saveexec_b64 s[14:15], s[58:59]
	s_cbranch_execz .LBB160_668
; %bb.667:
	v_mov_b32_e32 v18, 0
	ds_read_b64 v[18:19], v18 offset:11960
	s_waitcnt lgkmcnt(0)
	v_mul_f32_e32 v20, v4, v19
	v_mul_f32_e32 v21, v3, v19
	v_fma_f32 v3, v3, v18, -v20
	v_fmac_f32_e32 v21, v4, v18
	v_xor_b32_e32 v18, 0x80000000, v3
	v_xor_b32_e32 v19, 0x80000000, v21
	v_mov_b32_e32 v4, v21
	ds_write_b64 v14, v[18:19]
.LBB160_668:
	s_or_b64 exec, exec, s[14:15]
	s_waitcnt lgkmcnt(0)
	s_barrier
	s_and_saveexec_b64 s[14:15], s[60:61]
	s_cbranch_execz .LBB160_670
; %bb.669:
	v_lshlrev_b32_e32 v18, 3, v12
	ds_read_b64 v[18:19], v18 offset:11904
	ds_read_b64 v[20:21], v14
	s_waitcnt lgkmcnt(0)
	v_mul_f32_e32 v22, v21, v19
	v_mul_f32_e32 v19, v20, v19
	v_fma_f32 v20, v20, v18, -v22
	v_fmac_f32_e32 v19, v21, v18
	v_sub_f32_e32 v3, v3, v20
	v_sub_f32_e32 v4, v4, v19
.LBB160_670:
	s_or_b64 exec, exec, s[14:15]
	s_barrier
	s_and_saveexec_b64 s[14:15], s[62:63]
	s_cbranch_execz .LBB160_672
; %bb.671:
	v_mov_b32_e32 v18, 0
	ds_read_b64 v[18:19], v18 offset:11440
	s_waitcnt lgkmcnt(0)
	v_mul_f32_e32 v20, v4, v19
	v_mul_f32_e32 v21, v3, v19
	v_fma_f32 v3, v3, v18, -v20
	v_fmac_f32_e32 v21, v4, v18
	v_xor_b32_e32 v18, 0x80000000, v3
	v_xor_b32_e32 v19, 0x80000000, v21
	v_mov_b32_e32 v4, v21
	ds_write_b64 v14, v[18:19]
.LBB160_672:
	s_or_b64 exec, exec, s[14:15]
	s_waitcnt lgkmcnt(0)
	s_barrier
	s_and_saveexec_b64 s[14:15], s[64:65]
	s_cbranch_execz .LBB160_674
; %bb.673:
	v_lshlrev_b32_e32 v18, 3, v12
	ds_read_b64 v[18:19], v18 offset:11392
	ds_read_b64 v[20:21], v14
	s_waitcnt lgkmcnt(0)
	v_mul_f32_e32 v22, v21, v19
	v_mul_f32_e32 v19, v20, v19
	v_fma_f32 v20, v20, v18, -v22
	v_fmac_f32_e32 v19, v21, v18
	v_sub_f32_e32 v3, v3, v20
	v_sub_f32_e32 v4, v4, v19
.LBB160_674:
	s_or_b64 exec, exec, s[14:15]
	s_barrier
	s_and_saveexec_b64 s[14:15], s[66:67]
	s_cbranch_execz .LBB160_676
; %bb.675:
	v_mov_b32_e32 v18, 0
	ds_read_b64 v[18:19], v18 offset:10920
	s_waitcnt lgkmcnt(0)
	v_mul_f32_e32 v20, v4, v19
	v_mul_f32_e32 v21, v3, v19
	v_fma_f32 v3, v3, v18, -v20
	v_fmac_f32_e32 v21, v4, v18
	v_xor_b32_e32 v18, 0x80000000, v3
	v_xor_b32_e32 v19, 0x80000000, v21
	v_mov_b32_e32 v4, v21
	ds_write_b64 v14, v[18:19]
.LBB160_676:
	s_or_b64 exec, exec, s[14:15]
	s_waitcnt lgkmcnt(0)
	s_barrier
	s_and_saveexec_b64 s[14:15], s[68:69]
	s_cbranch_execz .LBB160_678
; %bb.677:
	v_lshlrev_b32_e32 v18, 3, v12
	ds_read_b64 v[18:19], v18 offset:10880
	ds_read_b64 v[20:21], v14
	s_waitcnt lgkmcnt(0)
	v_mul_f32_e32 v22, v21, v19
	v_mul_f32_e32 v19, v20, v19
	v_fma_f32 v20, v20, v18, -v22
	v_fmac_f32_e32 v19, v21, v18
	v_sub_f32_e32 v3, v3, v20
	v_sub_f32_e32 v4, v4, v19
.LBB160_678:
	s_or_b64 exec, exec, s[14:15]
	s_barrier
	s_and_saveexec_b64 s[14:15], s[70:71]
	s_cbranch_execz .LBB160_680
; %bb.679:
	v_mov_b32_e32 v18, 0
	ds_read_b64 v[18:19], v18 offset:10400
	s_waitcnt lgkmcnt(0)
	v_mul_f32_e32 v20, v4, v19
	v_mul_f32_e32 v21, v3, v19
	v_fma_f32 v3, v3, v18, -v20
	v_fmac_f32_e32 v21, v4, v18
	v_xor_b32_e32 v18, 0x80000000, v3
	v_xor_b32_e32 v19, 0x80000000, v21
	v_mov_b32_e32 v4, v21
	ds_write_b64 v14, v[18:19]
.LBB160_680:
	s_or_b64 exec, exec, s[14:15]
	s_waitcnt lgkmcnt(0)
	s_barrier
	s_and_saveexec_b64 s[14:15], s[72:73]
	s_cbranch_execz .LBB160_682
; %bb.681:
	v_lshlrev_b32_e32 v18, 3, v12
	ds_read_b64 v[18:19], v18 offset:10368
	ds_read_b64 v[20:21], v14
	s_waitcnt lgkmcnt(0)
	v_mul_f32_e32 v22, v21, v19
	v_mul_f32_e32 v19, v20, v19
	v_fma_f32 v20, v20, v18, -v22
	v_fmac_f32_e32 v19, v21, v18
	v_sub_f32_e32 v3, v3, v20
	v_sub_f32_e32 v4, v4, v19
.LBB160_682:
	s_or_b64 exec, exec, s[14:15]
	s_barrier
	s_and_saveexec_b64 s[14:15], s[74:75]
	s_cbranch_execz .LBB160_684
; %bb.683:
	v_mov_b32_e32 v18, 0
	ds_read_b64 v[18:19], v18 offset:9880
	s_waitcnt lgkmcnt(0)
	v_mul_f32_e32 v20, v4, v19
	v_mul_f32_e32 v21, v3, v19
	v_fma_f32 v3, v3, v18, -v20
	v_fmac_f32_e32 v21, v4, v18
	v_xor_b32_e32 v18, 0x80000000, v3
	v_xor_b32_e32 v19, 0x80000000, v21
	v_mov_b32_e32 v4, v21
	ds_write_b64 v14, v[18:19]
.LBB160_684:
	s_or_b64 exec, exec, s[14:15]
	s_waitcnt lgkmcnt(0)
	s_barrier
	s_and_saveexec_b64 s[14:15], s[76:77]
	s_cbranch_execz .LBB160_686
; %bb.685:
	v_lshlrev_b32_e32 v18, 3, v12
	ds_read_b64 v[18:19], v18 offset:9856
	ds_read_b64 v[20:21], v14
	s_waitcnt lgkmcnt(0)
	v_mul_f32_e32 v22, v21, v19
	v_mul_f32_e32 v19, v20, v19
	v_fma_f32 v20, v20, v18, -v22
	v_fmac_f32_e32 v19, v21, v18
	v_sub_f32_e32 v3, v3, v20
	v_sub_f32_e32 v4, v4, v19
.LBB160_686:
	s_or_b64 exec, exec, s[14:15]
	s_barrier
	s_and_saveexec_b64 s[14:15], s[78:79]
	s_cbranch_execz .LBB160_688
; %bb.687:
	v_mov_b32_e32 v18, 0
	ds_read_b64 v[18:19], v18 offset:9360
	s_waitcnt lgkmcnt(0)
	v_mul_f32_e32 v20, v4, v19
	v_mul_f32_e32 v21, v3, v19
	v_fma_f32 v3, v3, v18, -v20
	v_fmac_f32_e32 v21, v4, v18
	v_xor_b32_e32 v18, 0x80000000, v3
	v_xor_b32_e32 v19, 0x80000000, v21
	v_mov_b32_e32 v4, v21
	ds_write_b64 v14, v[18:19]
.LBB160_688:
	s_or_b64 exec, exec, s[14:15]
	s_waitcnt lgkmcnt(0)
	s_barrier
	s_and_saveexec_b64 s[14:15], s[80:81]
	s_cbranch_execz .LBB160_690
; %bb.689:
	v_lshlrev_b32_e32 v18, 3, v12
	ds_read_b64 v[18:19], v18 offset:9344
	ds_read_b64 v[20:21], v14
	s_waitcnt lgkmcnt(0)
	v_mul_f32_e32 v22, v21, v19
	v_mul_f32_e32 v19, v20, v19
	v_fma_f32 v20, v20, v18, -v22
	v_fmac_f32_e32 v19, v21, v18
	v_sub_f32_e32 v3, v3, v20
	v_sub_f32_e32 v4, v4, v19
.LBB160_690:
	s_or_b64 exec, exec, s[14:15]
	s_barrier
	s_and_saveexec_b64 s[14:15], s[82:83]
	s_cbranch_execz .LBB160_692
; %bb.691:
	v_mov_b32_e32 v18, 0
	ds_read_b64 v[18:19], v18 offset:8840
	s_waitcnt lgkmcnt(0)
	v_mul_f32_e32 v20, v4, v19
	v_mul_f32_e32 v21, v3, v19
	v_fma_f32 v3, v3, v18, -v20
	v_fmac_f32_e32 v21, v4, v18
	v_xor_b32_e32 v18, 0x80000000, v3
	v_xor_b32_e32 v19, 0x80000000, v21
	v_mov_b32_e32 v4, v21
	ds_write_b64 v14, v[18:19]
.LBB160_692:
	s_or_b64 exec, exec, s[14:15]
	s_waitcnt lgkmcnt(0)
	s_barrier
	s_and_saveexec_b64 s[14:15], s[56:57]
	s_cbranch_execz .LBB160_694
; %bb.693:
	v_mov_b32_e32 v18, 0
	ds_read_b64 v[18:19], v18 offset:8832
	ds_read_b64 v[20:21], v14
	s_waitcnt lgkmcnt(0)
	v_mul_f32_e32 v22, v21, v19
	v_mul_f32_e32 v19, v20, v19
	v_fma_f32 v20, v20, v18, -v22
	v_fmac_f32_e32 v19, v21, v18
	v_sub_f32_e32 v3, v3, v20
	v_sub_f32_e32 v4, v4, v19
.LBB160_694:
	s_or_b64 exec, exec, s[14:15]
	s_barrier
	s_and_saveexec_b64 s[14:15], s[56:57]
	s_cbranch_execz .LBB160_696
; %bb.695:
	v_mov_b32_e32 v18, 0
	ds_read_b64 v[18:19], v18 offset:8320
	s_waitcnt lgkmcnt(0)
	v_mul_f32_e32 v20, v4, v19
	v_mul_f32_e32 v21, v3, v19
	v_fma_f32 v3, v3, v18, -v20
	v_fmac_f32_e32 v21, v4, v18
	v_xor_b32_e32 v18, 0x80000000, v3
	v_xor_b32_e32 v19, 0x80000000, v21
	v_mov_b32_e32 v4, v21
	ds_write_b64 v14, v[18:19]
.LBB160_696:
	s_or_b64 exec, exec, s[14:15]
	s_waitcnt lgkmcnt(0)
	s_barrier
	s_barrier
	s_and_saveexec_b64 s[14:15], s[10:11]
; %bb.697:
	v_lshlrev_b32_e32 v18, 3, v12
	v_lshl_or_b32 v18, v13, 9, v18
	ds_write_b64 v18, v[3:4] offset:12416
; %bb.698:
	s_or_b64 exec, exec, s[14:15]
	s_waitcnt lgkmcnt(0)
	s_barrier
	s_barrier
	s_and_saveexec_b64 s[14:15], vcc
	s_cbranch_execz .LBB160_700
; %bb.699:
	s_movk_i32 s16, 0xb0
	v_mov_b32_e32 v22, 0
	v_add_u32_e64 v18, s16, 0
	ds_read_b64 v[3:4], v22 offset:11960
	ds_read2st64_b64 v[18:21], v18 offset0:22 offset1:23
	s_waitcnt lgkmcnt(0)
	v_mul_f32_e32 v23, v4, v19
	v_mul_f32_e32 v19, v3, v19
	v_fma_f32 v23, v3, v18, -v23
	v_fmac_f32_e32 v19, v4, v18
	v_mul_f32_e32 v3, v19, v21
	v_mul_f32_e32 v4, v23, v21
	v_fma_f32 v3, v23, v20, -v3
	v_fmac_f32_e32 v4, v19, v20
	ds_write_b64 v22, v[3:4] offset:11952
.LBB160_700:
	s_or_b64 exec, exec, s[14:15]
	v_mov_b32_e32 v3, 0
	v_mov_b32_e32 v4, 0
	s_waitcnt lgkmcnt(0)
	s_barrier
	buffer_wbinvl1_vol
	s_and_saveexec_b64 s[16:17], s[6:7]
	s_cbranch_execz .LBB160_704
; %bb.701:
	v_lshlrev_b32_e32 v3, 3, v5
	v_lshlrev_b32_e32 v18, 9, v6
	ds_read_b64 v[3:4], v3 offset:11424
	ds_read_b64 v[18:19], v18 offset:11440
	v_cmp_gt_u32_e64 s[14:15], 2, v8
	s_waitcnt lgkmcnt(0)
	v_mul_f32_e32 v20, v19, v4
	v_mul_f32_e32 v4, v18, v4
	v_fma_f32 v18, v18, v3, -v20
	v_fmac_f32_e32 v4, v19, v3
	v_add_f32_e32 v3, 0, v18
	v_add_f32_e32 v4, 0, v4
	s_and_saveexec_b64 s[20:21], s[14:15]
	s_cbranch_execz .LBB160_703
; %bb.702:
	v_lshlrev_b32_e32 v18, 3, v0
	v_mov_b32_e32 v20, 0
	ds_read_b64 v[18:19], v18 offset:11936
	ds_read_b64 v[20:21], v20 offset:11960
	s_waitcnt lgkmcnt(0)
	v_mul_f32_e32 v22, v21, v19
	v_mul_f32_e32 v19, v20, v19
	v_fma_f32 v20, v20, v18, -v22
	v_fmac_f32_e32 v19, v21, v18
	v_add_f32_e32 v3, v3, v20
	v_add_f32_e32 v4, v4, v19
.LBB160_703:
	s_or_b64 exec, exec, s[20:21]
.LBB160_704:
	s_or_b64 exec, exec, s[16:17]
	s_and_saveexec_b64 s[14:15], s[42:43]
	s_cbranch_execz .LBB160_706
; %bb.705:
	v_mov_b32_e32 v18, 0
	ds_read_b64 v[18:19], v18 offset:10920
	s_waitcnt lgkmcnt(0)
	v_mul_f32_e32 v20, v4, v19
	v_mul_f32_e32 v21, v3, v19
	v_fma_f32 v3, v3, v18, -v20
	v_fmac_f32_e32 v21, v4, v18
	v_xor_b32_e32 v18, 0x80000000, v3
	v_xor_b32_e32 v19, 0x80000000, v21
	v_mov_b32_e32 v4, v21
	ds_write_b64 v7, v[18:19]
.LBB160_706:
	s_or_b64 exec, exec, s[14:15]
	s_waitcnt lgkmcnt(0)
	s_barrier
	s_and_saveexec_b64 s[14:15], s[40:41]
	s_cbranch_execz .LBB160_708
; %bb.707:
	v_mov_b32_e32 v18, 0
	ds_read_b64 v[18:19], v18 offset:10912
	ds_read_b64 v[20:21], v7
	s_waitcnt lgkmcnt(0)
	v_mul_f32_e32 v22, v21, v19
	v_mul_f32_e32 v19, v20, v19
	v_fma_f32 v20, v20, v18, -v22
	v_fmac_f32_e32 v19, v21, v18
	v_sub_f32_e32 v3, v3, v20
	v_sub_f32_e32 v4, v4, v19
.LBB160_708:
	s_or_b64 exec, exec, s[14:15]
	s_barrier
	s_and_saveexec_b64 s[14:15], s[40:41]
	s_cbranch_execz .LBB160_710
; %bb.709:
	v_mov_b32_e32 v18, 0
	ds_read_b64 v[18:19], v18 offset:10400
	s_waitcnt lgkmcnt(0)
	v_mul_f32_e32 v20, v4, v19
	v_mul_f32_e32 v21, v3, v19
	v_fma_f32 v3, v3, v18, -v20
	v_fmac_f32_e32 v21, v4, v18
	v_xor_b32_e32 v18, 0x80000000, v3
	v_xor_b32_e32 v19, 0x80000000, v21
	v_mov_b32_e32 v4, v21
	ds_write_b64 v7, v[18:19]
.LBB160_710:
	s_or_b64 exec, exec, s[14:15]
	s_waitcnt lgkmcnt(0)
	s_barrier
	s_barrier
	s_and_saveexec_b64 s[14:15], s[6:7]
; %bb.711:
	v_lshlrev_b32_e32 v18, 3, v5
	v_lshl_or_b32 v18, v6, 9, v18
	ds_write_b64 v18, v[3:4] offset:11424
; %bb.712:
	s_or_b64 exec, exec, s[14:15]
	s_waitcnt lgkmcnt(0)
	s_barrier
	s_barrier
	s_and_saveexec_b64 s[14:15], vcc
	s_cbranch_execz .LBB160_714
; %bb.713:
	s_movk_i32 s16, 0xa0
	v_mov_b32_e32 v22, 0
	v_add_u32_e64 v18, s16, 0
	ds_read_b64 v[3:4], v22 offset:10920
	ds_read2st64_b64 v[18:21], v18 offset0:20 offset1:21
	s_waitcnt lgkmcnt(0)
	v_mul_f32_e32 v23, v4, v19
	v_mul_f32_e32 v19, v3, v19
	v_fma_f32 v23, v3, v18, -v23
	v_fmac_f32_e32 v19, v4, v18
	v_mul_f32_e32 v3, v19, v21
	v_mul_f32_e32 v4, v23, v21
	v_fma_f32 v3, v23, v20, -v3
	v_fmac_f32_e32 v4, v19, v20
	ds_write_b64 v22, v[3:4] offset:10912
.LBB160_714:
	s_or_b64 exec, exec, s[14:15]
	v_mov_b32_e32 v4, 0
	v_mov_b32_e32 v3, 0
	s_waitcnt lgkmcnt(0)
	s_barrier
	buffer_wbinvl1_vol
	s_and_saveexec_b64 s[16:17], s[18:19]
	s_cbranch_execz .LBB160_720
; %bb.715:
	v_lshlrev_b32_e32 v18, 3, v9
	v_lshlrev_b32_e32 v19, 9, v10
	ds_read_b64 v[3:4], v18 offset:10368
	ds_read_b64 v[20:21], v19 offset:10400
	v_cmp_gt_u32_e64 s[14:15], 12, v8
	s_waitcnt lgkmcnt(0)
	v_mul_f32_e32 v22, v21, v4
	v_mul_f32_e32 v4, v20, v4
	v_fma_f32 v20, v20, v3, -v22
	v_fmac_f32_e32 v4, v21, v3
	v_add_f32_e32 v3, 0, v20
	v_add_f32_e32 v4, 0, v4
	s_and_saveexec_b64 s[20:21], s[14:15]
	s_cbranch_execnz .LBB160_1088
; %bb.716:
	s_or_b64 exec, exec, s[20:21]
	v_cmp_gt_u32_e64 s[14:15], 8, v8
	s_and_saveexec_b64 s[20:21], s[14:15]
	s_cbranch_execnz .LBB160_1089
.LBB160_717:
	s_or_b64 exec, exec, s[20:21]
	v_cmp_gt_u32_e64 s[14:15], 4, v8
	s_and_saveexec_b64 s[20:21], s[14:15]
	s_cbranch_execz .LBB160_719
.LBB160_718:
	v_lshlrev_b32_e32 v18, 3, v0
	v_mov_b32_e32 v20, 0
	ds_read_b64 v[18:19], v18 offset:11904
	ds_read_b64 v[20:21], v20 offset:11960
	s_waitcnt lgkmcnt(0)
	v_mul_f32_e32 v22, v21, v19
	v_mul_f32_e32 v19, v20, v19
	v_fma_f32 v20, v20, v18, -v22
	v_fmac_f32_e32 v19, v21, v18
	v_add_f32_e32 v3, v3, v20
	v_add_f32_e32 v4, v4, v19
.LBB160_719:
	s_or_b64 exec, exec, s[20:21]
.LBB160_720:
	s_or_b64 exec, exec, s[16:17]
	s_and_saveexec_b64 s[14:15], s[46:47]
	s_cbranch_execz .LBB160_722
; %bb.721:
	v_mov_b32_e32 v18, 0
	ds_read_b64 v[18:19], v18 offset:9880
	s_waitcnt lgkmcnt(0)
	v_mul_f32_e32 v20, v4, v19
	v_mul_f32_e32 v21, v3, v19
	v_fma_f32 v3, v3, v18, -v20
	v_fmac_f32_e32 v21, v4, v18
	v_xor_b32_e32 v18, 0x80000000, v3
	v_xor_b32_e32 v19, 0x80000000, v21
	v_mov_b32_e32 v4, v21
	ds_write_b64 v11, v[18:19]
.LBB160_722:
	s_or_b64 exec, exec, s[14:15]
	s_waitcnt lgkmcnt(0)
	s_barrier
	s_and_saveexec_b64 s[14:15], s[48:49]
	s_cbranch_execz .LBB160_724
; %bb.723:
	v_lshlrev_b32_e32 v18, 3, v9
	ds_read_b64 v[18:19], v18 offset:9856
	ds_read_b64 v[20:21], v11
	s_waitcnt lgkmcnt(0)
	v_mul_f32_e32 v22, v21, v19
	v_mul_f32_e32 v19, v20, v19
	v_fma_f32 v20, v20, v18, -v22
	v_fmac_f32_e32 v19, v21, v18
	v_sub_f32_e32 v3, v3, v20
	v_sub_f32_e32 v4, v4, v19
.LBB160_724:
	s_or_b64 exec, exec, s[14:15]
	s_barrier
	s_and_saveexec_b64 s[14:15], s[50:51]
	s_cbranch_execz .LBB160_726
; %bb.725:
	v_mov_b32_e32 v18, 0
	ds_read_b64 v[18:19], v18 offset:9360
	s_waitcnt lgkmcnt(0)
	v_mul_f32_e32 v20, v4, v19
	v_mul_f32_e32 v21, v3, v19
	v_fma_f32 v3, v3, v18, -v20
	v_fmac_f32_e32 v21, v4, v18
	v_xor_b32_e32 v18, 0x80000000, v3
	v_xor_b32_e32 v19, 0x80000000, v21
	v_mov_b32_e32 v4, v21
	ds_write_b64 v11, v[18:19]
.LBB160_726:
	s_or_b64 exec, exec, s[14:15]
	s_waitcnt lgkmcnt(0)
	s_barrier
	s_and_saveexec_b64 s[14:15], s[52:53]
	s_cbranch_execz .LBB160_728
; %bb.727:
	v_lshlrev_b32_e32 v18, 3, v9
	ds_read_b64 v[18:19], v18 offset:9344
	ds_read_b64 v[20:21], v11
	s_waitcnt lgkmcnt(0)
	v_mul_f32_e32 v22, v21, v19
	v_mul_f32_e32 v19, v20, v19
	v_fma_f32 v20, v20, v18, -v22
	v_fmac_f32_e32 v19, v21, v18
	v_sub_f32_e32 v3, v3, v20
	v_sub_f32_e32 v4, v4, v19
.LBB160_728:
	s_or_b64 exec, exec, s[14:15]
	s_barrier
	s_and_saveexec_b64 s[14:15], s[54:55]
	s_cbranch_execz .LBB160_730
; %bb.729:
	v_mov_b32_e32 v18, 0
	ds_read_b64 v[18:19], v18 offset:8840
	s_waitcnt lgkmcnt(0)
	v_mul_f32_e32 v20, v4, v19
	v_mul_f32_e32 v21, v3, v19
	v_fma_f32 v3, v3, v18, -v20
	v_fmac_f32_e32 v21, v4, v18
	v_xor_b32_e32 v18, 0x80000000, v3
	v_xor_b32_e32 v19, 0x80000000, v21
	v_mov_b32_e32 v4, v21
	ds_write_b64 v11, v[18:19]
.LBB160_730:
	s_or_b64 exec, exec, s[14:15]
	s_waitcnt lgkmcnt(0)
	s_barrier
	s_and_saveexec_b64 s[14:15], s[44:45]
	s_cbranch_execz .LBB160_732
; %bb.731:
	v_mov_b32_e32 v18, 0
	ds_read_b64 v[18:19], v18 offset:8832
	ds_read_b64 v[20:21], v11
	s_waitcnt lgkmcnt(0)
	v_mul_f32_e32 v22, v21, v19
	v_mul_f32_e32 v19, v20, v19
	v_fma_f32 v20, v20, v18, -v22
	v_fmac_f32_e32 v19, v21, v18
	v_sub_f32_e32 v3, v3, v20
	v_sub_f32_e32 v4, v4, v19
.LBB160_732:
	s_or_b64 exec, exec, s[14:15]
	s_barrier
	s_and_saveexec_b64 s[14:15], s[44:45]
	s_cbranch_execz .LBB160_734
; %bb.733:
	v_mov_b32_e32 v18, 0
	ds_read_b64 v[18:19], v18 offset:8320
	s_waitcnt lgkmcnt(0)
	v_mul_f32_e32 v20, v4, v19
	v_mul_f32_e32 v21, v3, v19
	v_fma_f32 v3, v3, v18, -v20
	v_fmac_f32_e32 v21, v4, v18
	v_xor_b32_e32 v18, 0x80000000, v3
	v_xor_b32_e32 v19, 0x80000000, v21
	v_mov_b32_e32 v4, v21
	ds_write_b64 v11, v[18:19]
.LBB160_734:
	s_or_b64 exec, exec, s[14:15]
	s_waitcnt lgkmcnt(0)
	s_barrier
	s_barrier
	s_and_saveexec_b64 s[14:15], s[18:19]
; %bb.735:
	v_lshlrev_b32_e32 v18, 3, v9
	v_lshl_or_b32 v18, v10, 9, v18
	ds_write_b64 v18, v[3:4] offset:10368
; %bb.736:
	s_or_b64 exec, exec, s[14:15]
	s_waitcnt lgkmcnt(0)
	s_barrier
	s_barrier
	s_and_saveexec_b64 s[14:15], vcc
	s_cbranch_execz .LBB160_738
; %bb.737:
	s_movk_i32 s16, 0x90
	v_mov_b32_e32 v22, 0
	v_add_u32_e64 v18, s16, 0
	ds_read_b64 v[3:4], v22 offset:9880
	ds_read2st64_b64 v[18:21], v18 offset0:18 offset1:19
	s_waitcnt lgkmcnt(0)
	v_mul_f32_e32 v23, v4, v19
	v_mul_f32_e32 v19, v3, v19
	v_fma_f32 v23, v3, v18, -v23
	v_fmac_f32_e32 v19, v4, v18
	v_mul_f32_e32 v3, v19, v21
	v_mul_f32_e32 v4, v23, v21
	v_fma_f32 v3, v23, v20, -v3
	v_fmac_f32_e32 v4, v19, v20
	ds_write_b64 v22, v[3:4] offset:9872
.LBB160_738:
	s_or_b64 exec, exec, s[14:15]
	v_mov_b32_e32 v3, 0
	v_mov_b32_e32 v4, 0
	s_waitcnt lgkmcnt(0)
	s_barrier
	buffer_wbinvl1_vol
	s_and_saveexec_b64 s[16:17], s[6:7]
	s_cbranch_execz .LBB160_742
; %bb.739:
	v_lshlrev_b32_e32 v3, 3, v5
	v_lshlrev_b32_e32 v18, 9, v6
	ds_read_b64 v[3:4], v3 offset:9344
	ds_read_b64 v[18:19], v18 offset:9360
	v_cmp_gt_u32_e64 s[14:15], 2, v8
	s_waitcnt lgkmcnt(0)
	v_mul_f32_e32 v20, v19, v4
	v_mul_f32_e32 v4, v18, v4
	v_fma_f32 v18, v18, v3, -v20
	v_fmac_f32_e32 v4, v19, v3
	v_add_f32_e32 v3, 0, v18
	v_add_f32_e32 v4, 0, v4
	s_and_saveexec_b64 s[20:21], s[14:15]
	s_cbranch_execz .LBB160_741
; %bb.740:
	v_lshlrev_b32_e32 v18, 3, v0
	v_mov_b32_e32 v20, 0
	ds_read_b64 v[18:19], v18 offset:9856
	ds_read_b64 v[20:21], v20 offset:9880
	s_waitcnt lgkmcnt(0)
	v_mul_f32_e32 v22, v21, v19
	v_mul_f32_e32 v19, v20, v19
	v_fma_f32 v20, v20, v18, -v22
	v_fmac_f32_e32 v19, v21, v18
	v_add_f32_e32 v3, v3, v20
	v_add_f32_e32 v4, v4, v19
.LBB160_741:
	s_or_b64 exec, exec, s[20:21]
.LBB160_742:
	s_or_b64 exec, exec, s[16:17]
	s_and_saveexec_b64 s[14:15], s[42:43]
	s_cbranch_execz .LBB160_744
; %bb.743:
	v_mov_b32_e32 v18, 0
	ds_read_b64 v[18:19], v18 offset:8840
	s_waitcnt lgkmcnt(0)
	v_mul_f32_e32 v20, v4, v19
	v_mul_f32_e32 v21, v3, v19
	v_fma_f32 v3, v3, v18, -v20
	v_fmac_f32_e32 v21, v4, v18
	v_xor_b32_e32 v18, 0x80000000, v3
	v_xor_b32_e32 v19, 0x80000000, v21
	v_mov_b32_e32 v4, v21
	ds_write_b64 v7, v[18:19]
.LBB160_744:
	s_or_b64 exec, exec, s[14:15]
	s_waitcnt lgkmcnt(0)
	s_barrier
	s_and_saveexec_b64 s[14:15], s[40:41]
	s_cbranch_execz .LBB160_746
; %bb.745:
	v_mov_b32_e32 v18, 0
	ds_read_b64 v[18:19], v18 offset:8832
	ds_read_b64 v[20:21], v7
	s_waitcnt lgkmcnt(0)
	v_mul_f32_e32 v22, v21, v19
	v_mul_f32_e32 v19, v20, v19
	v_fma_f32 v20, v20, v18, -v22
	v_fmac_f32_e32 v19, v21, v18
	v_sub_f32_e32 v3, v3, v20
	v_sub_f32_e32 v4, v4, v19
.LBB160_746:
	s_or_b64 exec, exec, s[14:15]
	s_barrier
	s_and_saveexec_b64 s[14:15], s[40:41]
	s_cbranch_execz .LBB160_748
; %bb.747:
	v_mov_b32_e32 v18, 0
	ds_read_b64 v[18:19], v18 offset:8320
	s_waitcnt lgkmcnt(0)
	v_mul_f32_e32 v20, v4, v19
	v_mul_f32_e32 v21, v3, v19
	v_fma_f32 v3, v3, v18, -v20
	v_fmac_f32_e32 v21, v4, v18
	v_xor_b32_e32 v18, 0x80000000, v3
	v_xor_b32_e32 v19, 0x80000000, v21
	v_mov_b32_e32 v4, v21
	ds_write_b64 v7, v[18:19]
.LBB160_748:
	s_or_b64 exec, exec, s[14:15]
	s_waitcnt lgkmcnt(0)
	s_barrier
	s_barrier
	s_and_saveexec_b64 s[14:15], s[6:7]
; %bb.749:
	v_lshlrev_b32_e32 v18, 3, v5
	v_lshl_or_b32 v18, v6, 9, v18
	ds_write_b64 v18, v[3:4] offset:9344
; %bb.750:
	s_or_b64 exec, exec, s[14:15]
	s_waitcnt lgkmcnt(0)
	s_barrier
	s_barrier
	s_and_saveexec_b64 s[14:15], vcc
	s_cbranch_execz .LBB160_752
; %bb.751:
	s_movk_i32 s16, 0x80
	v_mov_b32_e32 v22, 0
	v_add_u32_e64 v18, s16, 0
	ds_read_b64 v[3:4], v22 offset:8840
	ds_read2st64_b64 v[18:21], v18 offset0:16 offset1:17
	s_waitcnt lgkmcnt(0)
	v_mul_f32_e32 v23, v4, v19
	v_mul_f32_e32 v19, v3, v19
	v_fma_f32 v23, v3, v18, -v23
	v_fmac_f32_e32 v19, v4, v18
	v_mul_f32_e32 v3, v19, v21
	v_mul_f32_e32 v4, v23, v21
	v_fma_f32 v3, v23, v20, -v3
	v_fmac_f32_e32 v4, v19, v20
	ds_write_b64 v22, v[3:4] offset:8832
.LBB160_752:
	s_or_b64 exec, exec, s[14:15]
	v_mov_b32_e32 v4, 0
	v_mov_b32_e32 v3, 0
	s_waitcnt lgkmcnt(0)
	s_barrier
	buffer_wbinvl1_vol
	s_and_saveexec_b64 s[16:17], s[12:13]
	s_cbranch_execz .LBB160_780
; %bb.753:
	v_lshlrev_b32_e32 v18, 3, v15
	v_lshlrev_b32_e32 v19, 9, v16
	ds_read_b64 v[3:4], v18 offset:8192
	ds_read_b64 v[20:21], v19 offset:8320
	s_movk_i32 s14, 0xf0
	v_cmp_gt_u32_e64 s[14:15], s14, v8
	s_waitcnt lgkmcnt(0)
	v_mul_f32_e32 v22, v21, v4
	v_mul_f32_e32 v4, v20, v4
	v_fma_f32 v20, v20, v3, -v22
	v_fmac_f32_e32 v4, v21, v3
	v_add_f32_e32 v3, 0, v20
	v_add_f32_e32 v4, 0, v4
	s_and_saveexec_b64 s[20:21], s[14:15]
	s_cbranch_execz .LBB160_755
; %bb.754:
	ds_read_b64 v[20:21], v18 offset:8704
	ds_read_b64 v[22:23], v19 offset:8328
	s_waitcnt lgkmcnt(0)
	v_mul_f32_e32 v24, v23, v21
	v_mul_f32_e32 v21, v22, v21
	v_fma_f32 v22, v22, v20, -v24
	v_fmac_f32_e32 v21, v23, v20
	v_add_f32_e32 v3, v3, v22
	v_add_f32_e32 v4, v4, v21
.LBB160_755:
	s_or_b64 exec, exec, s[20:21]
	s_movk_i32 s14, 0xe0
	v_cmp_gt_u32_e64 s[14:15], s14, v8
	s_and_saveexec_b64 s[20:21], s[14:15]
	s_cbranch_execz .LBB160_757
; %bb.756:
	ds_read_b64 v[20:21], v18 offset:9216
	ds_read_b64 v[22:23], v19 offset:8336
	s_waitcnt lgkmcnt(0)
	v_mul_f32_e32 v24, v23, v21
	v_mul_f32_e32 v21, v22, v21
	v_fma_f32 v22, v22, v20, -v24
	v_fmac_f32_e32 v21, v23, v20
	v_add_f32_e32 v3, v3, v22
	v_add_f32_e32 v4, v4, v21
.LBB160_757:
	s_or_b64 exec, exec, s[20:21]
	s_movk_i32 s14, 0xd0
	v_cmp_gt_u32_e64 s[14:15], s14, v8
	;; [unrolled: 16-line block ×10, first 2 shown]
	s_and_saveexec_b64 s[20:21], s[14:15]
	s_cbranch_execnz .LBB160_1090
; %bb.774:
	s_or_b64 exec, exec, s[20:21]
	s_and_saveexec_b64 s[14:15], s[10:11]
	s_cbranch_execnz .LBB160_1091
.LBB160_775:
	s_or_b64 exec, exec, s[14:15]
	v_cmp_gt_u32_e64 s[14:15], 48, v8
	s_and_saveexec_b64 s[20:21], s[14:15]
	s_cbranch_execnz .LBB160_1092
.LBB160_776:
	s_or_b64 exec, exec, s[20:21]
	v_cmp_gt_u32_e64 s[14:15], 32, v8
	s_and_saveexec_b64 s[20:21], s[14:15]
	s_cbranch_execnz .LBB160_1093
.LBB160_777:
	s_or_b64 exec, exec, s[20:21]
	v_cmp_gt_u32_e64 s[14:15], 16, v8
	s_and_saveexec_b64 s[20:21], s[14:15]
	s_cbranch_execz .LBB160_779
.LBB160_778:
	v_lshlrev_b32_e32 v18, 3, v0
	v_mov_b32_e32 v20, 0
	ds_read_b64 v[18:19], v18 offset:15872
	ds_read_b64 v[20:21], v20 offset:16120
	s_waitcnt lgkmcnt(0)
	v_mul_f32_e32 v22, v21, v19
	v_mul_f32_e32 v19, v20, v19
	v_fma_f32 v20, v20, v18, -v22
	v_fmac_f32_e32 v19, v21, v18
	v_add_f32_e32 v3, v3, v20
	v_add_f32_e32 v4, v4, v19
.LBB160_779:
	s_or_b64 exec, exec, s[20:21]
.LBB160_780:
	s_or_b64 exec, exec, s[16:17]
	s_mov_b64 s[14:15], exec
	v_readlane_b32 s16, v30, 3
	v_readlane_b32 s17, v30, 4
	s_and_b64 s[16:17], s[14:15], s[16:17]
	s_mov_b64 exec, s[16:17]
	s_cbranch_execz .LBB160_782
; %bb.781:
	v_mov_b32_e32 v18, 0
	ds_read_b64 v[18:19], v18 offset:7800
	s_waitcnt lgkmcnt(0)
	v_mul_f32_e32 v20, v4, v19
	v_mul_f32_e32 v21, v3, v19
	v_fma_f32 v3, v3, v18, -v20
	v_fmac_f32_e32 v21, v4, v18
	v_xor_b32_e32 v18, 0x80000000, v3
	v_xor_b32_e32 v19, 0x80000000, v21
	v_mov_b32_e32 v4, v21
	ds_write_b64 v17, v[18:19]
.LBB160_782:
	s_or_b64 exec, exec, s[14:15]
	s_waitcnt lgkmcnt(0)
	s_barrier
	s_mov_b64 s[14:15], exec
	v_readlane_b32 s16, v30, 5
	v_readlane_b32 s17, v30, 6
	s_and_b64 s[16:17], s[14:15], s[16:17]
	s_mov_b64 exec, s[16:17]
	s_cbranch_execz .LBB160_784
; %bb.783:
	v_lshlrev_b32_e32 v18, 3, v15
	ds_read_b64 v[18:19], v18 offset:7680
	ds_read_b64 v[20:21], v17
	s_waitcnt lgkmcnt(0)
	v_mul_f32_e32 v22, v21, v19
	v_mul_f32_e32 v19, v20, v19
	v_fma_f32 v20, v20, v18, -v22
	v_fmac_f32_e32 v19, v21, v18
	v_sub_f32_e32 v3, v3, v20
	v_sub_f32_e32 v4, v4, v19
.LBB160_784:
	s_or_b64 exec, exec, s[14:15]
	s_barrier
	s_mov_b64 s[14:15], exec
	v_readlane_b32 s16, v30, 7
	v_readlane_b32 s17, v30, 8
	s_and_b64 s[16:17], s[14:15], s[16:17]
	s_mov_b64 exec, s[16:17]
	s_cbranch_execz .LBB160_786
; %bb.785:
	v_mov_b32_e32 v18, 0
	ds_read_b64 v[18:19], v18 offset:7280
	s_waitcnt lgkmcnt(0)
	v_mul_f32_e32 v20, v4, v19
	v_mul_f32_e32 v21, v3, v19
	v_fma_f32 v3, v3, v18, -v20
	v_fmac_f32_e32 v21, v4, v18
	v_xor_b32_e32 v18, 0x80000000, v3
	v_xor_b32_e32 v19, 0x80000000, v21
	v_mov_b32_e32 v4, v21
	ds_write_b64 v17, v[18:19]
.LBB160_786:
	s_or_b64 exec, exec, s[14:15]
	s_waitcnt lgkmcnt(0)
	s_barrier
	s_mov_b64 s[14:15], exec
	v_readlane_b32 s16, v30, 9
	v_readlane_b32 s17, v30, 10
	s_and_b64 s[16:17], s[14:15], s[16:17]
	s_mov_b64 exec, s[16:17]
	s_cbranch_execz .LBB160_788
; %bb.787:
	v_lshlrev_b32_e32 v18, 3, v15
	ds_read_b64 v[18:19], v18 offset:7168
	ds_read_b64 v[20:21], v17
	s_waitcnt lgkmcnt(0)
	v_mul_f32_e32 v22, v21, v19
	v_mul_f32_e32 v19, v20, v19
	v_fma_f32 v20, v20, v18, -v22
	v_fmac_f32_e32 v19, v21, v18
	v_sub_f32_e32 v3, v3, v20
	v_sub_f32_e32 v4, v4, v19
.LBB160_788:
	s_or_b64 exec, exec, s[14:15]
	s_barrier
	;; [unrolled: 42-line block ×12, first 2 shown]
	s_and_saveexec_b64 s[14:15], s[94:95]
	s_cbranch_execz .LBB160_830
; %bb.829:
	v_mov_b32_e32 v18, 0
	ds_read_b64 v[18:19], v18 offset:1560
	s_waitcnt lgkmcnt(0)
	v_mul_f32_e32 v20, v4, v19
	v_mul_f32_e32 v21, v3, v19
	v_fma_f32 v3, v3, v18, -v20
	v_fmac_f32_e32 v21, v4, v18
	v_xor_b32_e32 v18, 0x80000000, v3
	v_xor_b32_e32 v19, 0x80000000, v21
	v_mov_b32_e32 v4, v21
	ds_write_b64 v17, v[18:19]
.LBB160_830:
	s_or_b64 exec, exec, s[14:15]
	s_waitcnt lgkmcnt(0)
	s_barrier
	s_and_saveexec_b64 s[14:15], s[96:97]
	s_cbranch_execz .LBB160_832
; %bb.831:
	v_lshlrev_b32_e32 v18, 3, v15
	ds_read_b64 v[18:19], v18 offset:1536
	ds_read_b64 v[20:21], v17
	s_waitcnt lgkmcnt(0)
	v_mul_f32_e32 v22, v21, v19
	v_mul_f32_e32 v19, v20, v19
	v_fma_f32 v20, v20, v18, -v22
	v_fmac_f32_e32 v19, v21, v18
	v_sub_f32_e32 v3, v3, v20
	v_sub_f32_e32 v4, v4, v19
.LBB160_832:
	s_or_b64 exec, exec, s[14:15]
	s_barrier
	s_and_saveexec_b64 s[14:15], s[22:23]
	s_cbranch_execz .LBB160_834
; %bb.833:
	v_mov_b32_e32 v18, 0
	ds_read_b64 v[18:19], v18 offset:1040
	s_waitcnt lgkmcnt(0)
	v_mul_f32_e32 v20, v4, v19
	v_mul_f32_e32 v21, v3, v19
	v_fma_f32 v3, v3, v18, -v20
	v_fmac_f32_e32 v21, v4, v18
	v_xor_b32_e32 v18, 0x80000000, v3
	v_xor_b32_e32 v19, 0x80000000, v21
	v_mov_b32_e32 v4, v21
	ds_write_b64 v17, v[18:19]
.LBB160_834:
	s_or_b64 exec, exec, s[14:15]
	s_waitcnt lgkmcnt(0)
	s_barrier
	s_and_saveexec_b64 s[14:15], s[98:99]
	s_cbranch_execz .LBB160_836
; %bb.835:
	v_lshlrev_b32_e32 v18, 3, v15
	ds_read_b64 v[18:19], v18 offset:1024
	ds_read_b64 v[20:21], v17
	s_waitcnt lgkmcnt(0)
	v_mul_f32_e32 v22, v21, v19
	v_mul_f32_e32 v19, v20, v19
	v_fma_f32 v20, v20, v18, -v22
	v_fmac_f32_e32 v19, v21, v18
	v_sub_f32_e32 v3, v3, v20
	v_sub_f32_e32 v4, v4, v19
.LBB160_836:
	s_or_b64 exec, exec, s[14:15]
	s_barrier
	s_and_saveexec_b64 s[14:15], s[36:37]
	s_cbranch_execz .LBB160_838
; %bb.837:
	v_mov_b32_e32 v18, 0
	ds_read_b64 v[18:19], v18 offset:520
	s_waitcnt lgkmcnt(0)
	v_mul_f32_e32 v20, v4, v19
	v_mul_f32_e32 v21, v3, v19
	v_fma_f32 v3, v3, v18, -v20
	v_fmac_f32_e32 v21, v4, v18
	v_xor_b32_e32 v18, 0x80000000, v3
	v_xor_b32_e32 v19, 0x80000000, v21
	v_mov_b32_e32 v4, v21
	ds_write_b64 v17, v[18:19]
.LBB160_838:
	s_or_b64 exec, exec, s[14:15]
	s_waitcnt lgkmcnt(0)
	s_barrier
	s_and_saveexec_b64 s[14:15], s[84:85]
	s_cbranch_execz .LBB160_840
; %bb.839:
	v_mov_b32_e32 v18, 0
	ds_read_b64 v[18:19], v18 offset:512
	ds_read_b64 v[20:21], v17
	s_waitcnt lgkmcnt(0)
	v_mul_f32_e32 v22, v21, v19
	v_mul_f32_e32 v19, v20, v19
	v_fma_f32 v20, v20, v18, -v22
	v_fmac_f32_e32 v19, v21, v18
	v_sub_f32_e32 v3, v3, v20
	v_sub_f32_e32 v4, v4, v19
.LBB160_840:
	s_or_b64 exec, exec, s[14:15]
	s_barrier
	s_and_saveexec_b64 s[14:15], s[84:85]
	s_cbranch_execz .LBB160_842
; %bb.841:
	v_mov_b32_e32 v18, 0
	ds_read_b64 v[18:19], v18
	s_waitcnt lgkmcnt(0)
	v_mul_f32_e32 v20, v4, v19
	v_mul_f32_e32 v21, v3, v19
	v_fma_f32 v3, v3, v18, -v20
	v_fmac_f32_e32 v21, v4, v18
	v_xor_b32_e32 v18, 0x80000000, v3
	v_xor_b32_e32 v19, 0x80000000, v21
	v_mov_b32_e32 v4, v21
	ds_write_b64 v17, v[18:19]
.LBB160_842:
	s_or_b64 exec, exec, s[14:15]
	s_waitcnt lgkmcnt(0)
	s_barrier
	s_barrier
	s_and_saveexec_b64 s[14:15], s[12:13]
; %bb.843:
	v_lshlrev_b32_e32 v15, 3, v15
	v_lshl_or_b32 v15, v16, 9, v15
	ds_write_b64 v15, v[3:4] offset:8192
; %bb.844:
	s_or_b64 exec, exec, s[14:15]
	s_waitcnt lgkmcnt(0)
	s_barrier
	s_barrier
	s_and_saveexec_b64 s[12:13], vcc
	s_cbranch_execz .LBB160_846
; %bb.845:
	s_movk_i32 s14, 0x70
	v_mov_b32_e32 v19, 0
	v_add_u32_e64 v15, s14, 0
	ds_read_b64 v[3:4], v19 offset:7800
	ds_read2st64_b64 v[15:18], v15 offset0:14 offset1:15
	s_waitcnt lgkmcnt(0)
	v_mul_f32_e32 v20, v4, v16
	v_mul_f32_e32 v16, v3, v16
	v_fma_f32 v20, v3, v15, -v20
	v_fmac_f32_e32 v16, v4, v15
	v_mul_f32_e32 v3, v16, v18
	v_mul_f32_e32 v4, v20, v18
	v_fma_f32 v3, v20, v17, -v3
	v_fmac_f32_e32 v4, v16, v17
	ds_write_b64 v19, v[3:4] offset:7792
.LBB160_846:
	s_or_b64 exec, exec, s[12:13]
	v_mov_b32_e32 v3, 0
	v_mov_b32_e32 v4, 0
	s_waitcnt lgkmcnt(0)
	s_barrier
	buffer_wbinvl1_vol
	s_and_saveexec_b64 s[14:15], s[6:7]
	s_cbranch_execz .LBB160_850
; %bb.847:
	v_lshlrev_b32_e32 v3, 3, v5
	v_lshlrev_b32_e32 v15, 9, v6
	ds_read_b64 v[3:4], v3 offset:7264
	ds_read_b64 v[15:16], v15 offset:7280
	v_cmp_gt_u32_e64 s[12:13], 2, v8
	s_waitcnt lgkmcnt(0)
	v_mul_f32_e32 v17, v16, v4
	v_mul_f32_e32 v4, v15, v4
	v_fma_f32 v15, v15, v3, -v17
	v_fmac_f32_e32 v4, v16, v3
	v_add_f32_e32 v3, 0, v15
	v_add_f32_e32 v4, 0, v4
	s_and_saveexec_b64 s[16:17], s[12:13]
	s_cbranch_execz .LBB160_849
; %bb.848:
	v_lshlrev_b32_e32 v15, 3, v0
	v_mov_b32_e32 v17, 0
	ds_read_b64 v[15:16], v15 offset:7776
	ds_read_b64 v[17:18], v17 offset:7800
	s_waitcnt lgkmcnt(0)
	v_mul_f32_e32 v19, v18, v16
	v_mul_f32_e32 v16, v17, v16
	v_fma_f32 v17, v17, v15, -v19
	v_fmac_f32_e32 v16, v18, v15
	v_add_f32_e32 v3, v3, v17
	v_add_f32_e32 v4, v4, v16
.LBB160_849:
	s_or_b64 exec, exec, s[16:17]
.LBB160_850:
	s_or_b64 exec, exec, s[14:15]
	s_and_saveexec_b64 s[12:13], s[42:43]
	s_cbranch_execz .LBB160_852
; %bb.851:
	v_mov_b32_e32 v15, 0
	ds_read_b64 v[15:16], v15 offset:6760
	s_waitcnt lgkmcnt(0)
	v_mul_f32_e32 v17, v4, v16
	v_mul_f32_e32 v18, v3, v16
	v_fma_f32 v3, v3, v15, -v17
	v_fmac_f32_e32 v18, v4, v15
	v_xor_b32_e32 v15, 0x80000000, v3
	v_xor_b32_e32 v16, 0x80000000, v18
	v_mov_b32_e32 v4, v18
	ds_write_b64 v7, v[15:16]
.LBB160_852:
	s_or_b64 exec, exec, s[12:13]
	s_waitcnt lgkmcnt(0)
	s_barrier
	s_and_saveexec_b64 s[12:13], s[40:41]
	s_cbranch_execz .LBB160_854
; %bb.853:
	v_mov_b32_e32 v15, 0
	ds_read_b64 v[15:16], v15 offset:6752
	ds_read_b64 v[17:18], v7
	s_waitcnt lgkmcnt(0)
	v_mul_f32_e32 v19, v18, v16
	v_mul_f32_e32 v16, v17, v16
	v_fma_f32 v17, v17, v15, -v19
	v_fmac_f32_e32 v16, v18, v15
	v_sub_f32_e32 v3, v3, v17
	v_sub_f32_e32 v4, v4, v16
.LBB160_854:
	s_or_b64 exec, exec, s[12:13]
	s_barrier
	s_and_saveexec_b64 s[12:13], s[40:41]
	s_cbranch_execz .LBB160_856
; %bb.855:
	v_mov_b32_e32 v15, 0
	ds_read_b64 v[15:16], v15 offset:6240
	s_waitcnt lgkmcnt(0)
	v_mul_f32_e32 v17, v4, v16
	v_mul_f32_e32 v18, v3, v16
	v_fma_f32 v3, v3, v15, -v17
	v_fmac_f32_e32 v18, v4, v15
	v_xor_b32_e32 v15, 0x80000000, v3
	v_xor_b32_e32 v16, 0x80000000, v18
	v_mov_b32_e32 v4, v18
	ds_write_b64 v7, v[15:16]
.LBB160_856:
	s_or_b64 exec, exec, s[12:13]
	s_waitcnt lgkmcnt(0)
	s_barrier
	s_barrier
	s_and_saveexec_b64 s[12:13], s[6:7]
; %bb.857:
	v_lshlrev_b32_e32 v15, 3, v5
	v_lshl_or_b32 v15, v6, 9, v15
	ds_write_b64 v15, v[3:4] offset:7264
; %bb.858:
	s_or_b64 exec, exec, s[12:13]
	s_waitcnt lgkmcnt(0)
	s_barrier
	s_barrier
	s_and_saveexec_b64 s[12:13], vcc
	s_cbranch_execz .LBB160_860
; %bb.859:
	s_movk_i32 s14, 0x60
	v_mov_b32_e32 v19, 0
	v_add_u32_e64 v15, s14, 0
	ds_read_b64 v[3:4], v19 offset:6760
	ds_read2st64_b64 v[15:18], v15 offset0:12 offset1:13
	s_waitcnt lgkmcnt(0)
	v_mul_f32_e32 v20, v4, v16
	v_mul_f32_e32 v16, v3, v16
	v_fma_f32 v20, v3, v15, -v20
	v_fmac_f32_e32 v16, v4, v15
	v_mul_f32_e32 v3, v16, v18
	v_mul_f32_e32 v4, v20, v18
	v_fma_f32 v3, v20, v17, -v3
	v_fmac_f32_e32 v4, v16, v17
	ds_write_b64 v19, v[3:4] offset:6752
.LBB160_860:
	s_or_b64 exec, exec, s[12:13]
	v_mov_b32_e32 v4, 0
	v_mov_b32_e32 v3, 0
	s_waitcnt lgkmcnt(0)
	s_barrier
	buffer_wbinvl1_vol
	s_and_saveexec_b64 s[14:15], s[18:19]
	s_cbranch_execz .LBB160_866
; %bb.861:
	v_lshlrev_b32_e32 v15, 3, v9
	v_lshlrev_b32_e32 v16, 9, v10
	ds_read_b64 v[3:4], v15 offset:6208
	ds_read_b64 v[17:18], v16 offset:6240
	v_cmp_gt_u32_e64 s[12:13], 12, v8
	s_waitcnt lgkmcnt(0)
	v_mul_f32_e32 v19, v18, v4
	v_mul_f32_e32 v4, v17, v4
	v_fma_f32 v17, v17, v3, -v19
	v_fmac_f32_e32 v4, v18, v3
	v_add_f32_e32 v3, 0, v17
	v_add_f32_e32 v4, 0, v4
	s_and_saveexec_b64 s[16:17], s[12:13]
	s_cbranch_execnz .LBB160_1094
; %bb.862:
	s_or_b64 exec, exec, s[16:17]
	v_cmp_gt_u32_e64 s[12:13], 8, v8
	s_and_saveexec_b64 s[16:17], s[12:13]
	s_cbranch_execnz .LBB160_1095
.LBB160_863:
	s_or_b64 exec, exec, s[16:17]
	v_cmp_gt_u32_e64 s[12:13], 4, v8
	s_and_saveexec_b64 s[16:17], s[12:13]
	s_cbranch_execz .LBB160_865
.LBB160_864:
	v_lshlrev_b32_e32 v15, 3, v0
	v_mov_b32_e32 v17, 0
	ds_read_b64 v[15:16], v15 offset:7744
	ds_read_b64 v[17:18], v17 offset:7800
	s_waitcnt lgkmcnt(0)
	v_mul_f32_e32 v19, v18, v16
	v_mul_f32_e32 v16, v17, v16
	v_fma_f32 v17, v17, v15, -v19
	v_fmac_f32_e32 v16, v18, v15
	v_add_f32_e32 v3, v3, v17
	v_add_f32_e32 v4, v4, v16
.LBB160_865:
	s_or_b64 exec, exec, s[16:17]
.LBB160_866:
	s_or_b64 exec, exec, s[14:15]
	s_and_saveexec_b64 s[12:13], s[46:47]
	s_cbranch_execz .LBB160_868
; %bb.867:
	v_mov_b32_e32 v15, 0
	ds_read_b64 v[15:16], v15 offset:5720
	s_waitcnt lgkmcnt(0)
	v_mul_f32_e32 v17, v4, v16
	v_mul_f32_e32 v18, v3, v16
	v_fma_f32 v3, v3, v15, -v17
	v_fmac_f32_e32 v18, v4, v15
	v_xor_b32_e32 v15, 0x80000000, v3
	v_xor_b32_e32 v16, 0x80000000, v18
	v_mov_b32_e32 v4, v18
	ds_write_b64 v11, v[15:16]
.LBB160_868:
	s_or_b64 exec, exec, s[12:13]
	s_waitcnt lgkmcnt(0)
	s_barrier
	s_and_saveexec_b64 s[12:13], s[48:49]
	s_cbranch_execz .LBB160_870
; %bb.869:
	v_lshlrev_b32_e32 v15, 3, v9
	ds_read_b64 v[15:16], v15 offset:5696
	ds_read_b64 v[17:18], v11
	s_waitcnt lgkmcnt(0)
	v_mul_f32_e32 v19, v18, v16
	v_mul_f32_e32 v16, v17, v16
	v_fma_f32 v17, v17, v15, -v19
	v_fmac_f32_e32 v16, v18, v15
	v_sub_f32_e32 v3, v3, v17
	v_sub_f32_e32 v4, v4, v16
.LBB160_870:
	s_or_b64 exec, exec, s[12:13]
	s_barrier
	s_and_saveexec_b64 s[12:13], s[50:51]
	s_cbranch_execz .LBB160_872
; %bb.871:
	v_mov_b32_e32 v15, 0
	ds_read_b64 v[15:16], v15 offset:5200
	s_waitcnt lgkmcnt(0)
	v_mul_f32_e32 v17, v4, v16
	v_mul_f32_e32 v18, v3, v16
	v_fma_f32 v3, v3, v15, -v17
	v_fmac_f32_e32 v18, v4, v15
	v_xor_b32_e32 v15, 0x80000000, v3
	v_xor_b32_e32 v16, 0x80000000, v18
	v_mov_b32_e32 v4, v18
	ds_write_b64 v11, v[15:16]
.LBB160_872:
	s_or_b64 exec, exec, s[12:13]
	s_waitcnt lgkmcnt(0)
	s_barrier
	s_and_saveexec_b64 s[12:13], s[52:53]
	s_cbranch_execz .LBB160_874
; %bb.873:
	v_lshlrev_b32_e32 v15, 3, v9
	ds_read_b64 v[15:16], v15 offset:5184
	ds_read_b64 v[17:18], v11
	s_waitcnt lgkmcnt(0)
	v_mul_f32_e32 v19, v18, v16
	v_mul_f32_e32 v16, v17, v16
	v_fma_f32 v17, v17, v15, -v19
	v_fmac_f32_e32 v16, v18, v15
	v_sub_f32_e32 v3, v3, v17
	v_sub_f32_e32 v4, v4, v16
.LBB160_874:
	s_or_b64 exec, exec, s[12:13]
	s_barrier
	s_and_saveexec_b64 s[12:13], s[54:55]
	s_cbranch_execz .LBB160_876
; %bb.875:
	v_mov_b32_e32 v15, 0
	ds_read_b64 v[15:16], v15 offset:4680
	s_waitcnt lgkmcnt(0)
	v_mul_f32_e32 v17, v4, v16
	v_mul_f32_e32 v18, v3, v16
	v_fma_f32 v3, v3, v15, -v17
	v_fmac_f32_e32 v18, v4, v15
	v_xor_b32_e32 v15, 0x80000000, v3
	v_xor_b32_e32 v16, 0x80000000, v18
	v_mov_b32_e32 v4, v18
	ds_write_b64 v11, v[15:16]
.LBB160_876:
	s_or_b64 exec, exec, s[12:13]
	s_waitcnt lgkmcnt(0)
	s_barrier
	s_and_saveexec_b64 s[12:13], s[44:45]
	s_cbranch_execz .LBB160_878
; %bb.877:
	v_mov_b32_e32 v15, 0
	ds_read_b64 v[15:16], v15 offset:4672
	ds_read_b64 v[17:18], v11
	s_waitcnt lgkmcnt(0)
	v_mul_f32_e32 v19, v18, v16
	v_mul_f32_e32 v16, v17, v16
	v_fma_f32 v17, v17, v15, -v19
	v_fmac_f32_e32 v16, v18, v15
	v_sub_f32_e32 v3, v3, v17
	v_sub_f32_e32 v4, v4, v16
.LBB160_878:
	s_or_b64 exec, exec, s[12:13]
	s_barrier
	s_and_saveexec_b64 s[12:13], s[44:45]
	s_cbranch_execz .LBB160_880
; %bb.879:
	v_mov_b32_e32 v15, 0
	ds_read_b64 v[15:16], v15 offset:4160
	s_waitcnt lgkmcnt(0)
	v_mul_f32_e32 v17, v4, v16
	v_mul_f32_e32 v18, v3, v16
	v_fma_f32 v3, v3, v15, -v17
	v_fmac_f32_e32 v18, v4, v15
	v_xor_b32_e32 v15, 0x80000000, v3
	v_xor_b32_e32 v16, 0x80000000, v18
	v_mov_b32_e32 v4, v18
	ds_write_b64 v11, v[15:16]
.LBB160_880:
	s_or_b64 exec, exec, s[12:13]
	s_waitcnt lgkmcnt(0)
	s_barrier
	s_barrier
	s_and_saveexec_b64 s[12:13], s[18:19]
; %bb.881:
	v_lshlrev_b32_e32 v15, 3, v9
	v_lshl_or_b32 v15, v10, 9, v15
	ds_write_b64 v15, v[3:4] offset:6208
; %bb.882:
	s_or_b64 exec, exec, s[12:13]
	s_waitcnt lgkmcnt(0)
	s_barrier
	s_barrier
	s_and_saveexec_b64 s[12:13], vcc
	s_cbranch_execz .LBB160_884
; %bb.883:
	s_movk_i32 s14, 0x50
	v_mov_b32_e32 v19, 0
	v_add_u32_e64 v15, s14, 0
	ds_read_b64 v[3:4], v19 offset:5720
	ds_read2st64_b64 v[15:18], v15 offset0:10 offset1:11
	s_waitcnt lgkmcnt(0)
	v_mul_f32_e32 v20, v4, v16
	v_mul_f32_e32 v16, v3, v16
	v_fma_f32 v20, v3, v15, -v20
	v_fmac_f32_e32 v16, v4, v15
	v_mul_f32_e32 v3, v16, v18
	v_mul_f32_e32 v4, v20, v18
	v_fma_f32 v3, v20, v17, -v3
	v_fmac_f32_e32 v4, v16, v17
	ds_write_b64 v19, v[3:4] offset:5712
.LBB160_884:
	s_or_b64 exec, exec, s[12:13]
	v_mov_b32_e32 v3, 0
	v_mov_b32_e32 v4, 0
	s_waitcnt lgkmcnt(0)
	s_barrier
	buffer_wbinvl1_vol
	s_and_saveexec_b64 s[14:15], s[6:7]
	s_cbranch_execz .LBB160_888
; %bb.885:
	v_lshlrev_b32_e32 v3, 3, v5
	v_lshlrev_b32_e32 v15, 9, v6
	ds_read_b64 v[3:4], v3 offset:5184
	ds_read_b64 v[15:16], v15 offset:5200
	v_cmp_gt_u32_e64 s[12:13], 2, v8
	s_waitcnt lgkmcnt(0)
	v_mul_f32_e32 v17, v16, v4
	v_mul_f32_e32 v4, v15, v4
	v_fma_f32 v15, v15, v3, -v17
	v_fmac_f32_e32 v4, v16, v3
	v_add_f32_e32 v3, 0, v15
	v_add_f32_e32 v4, 0, v4
	s_and_saveexec_b64 s[16:17], s[12:13]
	s_cbranch_execz .LBB160_887
; %bb.886:
	v_lshlrev_b32_e32 v15, 3, v0
	v_mov_b32_e32 v17, 0
	ds_read_b64 v[15:16], v15 offset:5696
	ds_read_b64 v[17:18], v17 offset:5720
	s_waitcnt lgkmcnt(0)
	v_mul_f32_e32 v19, v18, v16
	v_mul_f32_e32 v16, v17, v16
	v_fma_f32 v17, v17, v15, -v19
	v_fmac_f32_e32 v16, v18, v15
	v_add_f32_e32 v3, v3, v17
	v_add_f32_e32 v4, v4, v16
.LBB160_887:
	s_or_b64 exec, exec, s[16:17]
.LBB160_888:
	s_or_b64 exec, exec, s[14:15]
	s_and_saveexec_b64 s[12:13], s[42:43]
	s_cbranch_execz .LBB160_890
; %bb.889:
	v_mov_b32_e32 v15, 0
	ds_read_b64 v[15:16], v15 offset:4680
	s_waitcnt lgkmcnt(0)
	v_mul_f32_e32 v17, v4, v16
	v_mul_f32_e32 v18, v3, v16
	v_fma_f32 v3, v3, v15, -v17
	v_fmac_f32_e32 v18, v4, v15
	v_xor_b32_e32 v15, 0x80000000, v3
	v_xor_b32_e32 v16, 0x80000000, v18
	v_mov_b32_e32 v4, v18
	ds_write_b64 v7, v[15:16]
.LBB160_890:
	s_or_b64 exec, exec, s[12:13]
	s_waitcnt lgkmcnt(0)
	s_barrier
	s_and_saveexec_b64 s[12:13], s[40:41]
	s_cbranch_execz .LBB160_892
; %bb.891:
	v_mov_b32_e32 v15, 0
	ds_read_b64 v[15:16], v15 offset:4672
	ds_read_b64 v[17:18], v7
	s_waitcnt lgkmcnt(0)
	v_mul_f32_e32 v19, v18, v16
	v_mul_f32_e32 v16, v17, v16
	v_fma_f32 v17, v17, v15, -v19
	v_fmac_f32_e32 v16, v18, v15
	v_sub_f32_e32 v3, v3, v17
	v_sub_f32_e32 v4, v4, v16
.LBB160_892:
	s_or_b64 exec, exec, s[12:13]
	s_barrier
	s_and_saveexec_b64 s[12:13], s[40:41]
	s_cbranch_execz .LBB160_894
; %bb.893:
	v_mov_b32_e32 v15, 0
	ds_read_b64 v[15:16], v15 offset:4160
	s_waitcnt lgkmcnt(0)
	v_mul_f32_e32 v17, v4, v16
	v_mul_f32_e32 v18, v3, v16
	v_fma_f32 v3, v3, v15, -v17
	v_fmac_f32_e32 v18, v4, v15
	v_xor_b32_e32 v15, 0x80000000, v3
	v_xor_b32_e32 v16, 0x80000000, v18
	v_mov_b32_e32 v4, v18
	ds_write_b64 v7, v[15:16]
.LBB160_894:
	s_or_b64 exec, exec, s[12:13]
	s_waitcnt lgkmcnt(0)
	s_barrier
	s_barrier
	s_and_saveexec_b64 s[12:13], s[6:7]
; %bb.895:
	v_lshlrev_b32_e32 v15, 3, v5
	v_lshl_or_b32 v15, v6, 9, v15
	ds_write_b64 v15, v[3:4] offset:5184
; %bb.896:
	s_or_b64 exec, exec, s[12:13]
	s_waitcnt lgkmcnt(0)
	s_barrier
	s_barrier
	s_and_saveexec_b64 s[12:13], vcc
	s_cbranch_execz .LBB160_898
; %bb.897:
	v_add_u32_e64 v3, 64, 0
	v_mov_b32_e32 v19, 0
	ds_read2st64_b64 v[15:18], v3 offset0:8 offset1:9
	ds_read_b64 v[3:4], v19 offset:4680
	s_waitcnt lgkmcnt(0)
	v_mul_f32_e32 v20, v4, v16
	v_mul_f32_e32 v16, v3, v16
	v_fma_f32 v20, v3, v15, -v20
	v_fmac_f32_e32 v16, v4, v15
	v_mul_f32_e32 v3, v16, v18
	v_mul_f32_e32 v4, v20, v18
	v_fma_f32 v3, v20, v17, -v3
	v_fmac_f32_e32 v4, v16, v17
	ds_write_b64 v19, v[3:4] offset:4672
.LBB160_898:
	s_or_b64 exec, exec, s[12:13]
	v_mov_b32_e32 v4, 0
	v_mov_b32_e32 v3, 0
	s_waitcnt lgkmcnt(0)
	s_barrier
	buffer_wbinvl1_vol
	s_and_saveexec_b64 s[14:15], s[10:11]
	s_cbranch_execz .LBB160_908
; %bb.899:
	v_lshlrev_b32_e32 v15, 3, v12
	v_lshlrev_b32_e32 v16, 9, v13
	ds_read_b64 v[3:4], v15 offset:4096
	ds_read_b64 v[17:18], v16 offset:4160
	v_cmp_gt_u32_e64 s[12:13], 56, v8
	s_waitcnt lgkmcnt(0)
	v_mul_f32_e32 v19, v18, v4
	v_mul_f32_e32 v4, v17, v4
	v_fma_f32 v17, v17, v3, -v19
	v_fmac_f32_e32 v4, v18, v3
	v_add_f32_e32 v3, 0, v17
	v_add_f32_e32 v4, 0, v4
	s_and_saveexec_b64 s[16:17], s[12:13]
	s_cbranch_execnz .LBB160_1096
; %bb.900:
	s_or_b64 exec, exec, s[16:17]
	v_cmp_gt_u32_e64 s[12:13], 48, v8
	s_and_saveexec_b64 s[16:17], s[12:13]
	s_cbranch_execnz .LBB160_1097
.LBB160_901:
	s_or_b64 exec, exec, s[16:17]
	v_cmp_gt_u32_e64 s[12:13], 40, v8
	s_and_saveexec_b64 s[16:17], s[12:13]
	s_cbranch_execnz .LBB160_1098
.LBB160_902:
	s_or_b64 exec, exec, s[16:17]
	v_cmp_gt_u32_e64 s[12:13], 32, v8
	s_and_saveexec_b64 s[16:17], s[12:13]
	s_cbranch_execnz .LBB160_1099
.LBB160_903:
	s_or_b64 exec, exec, s[16:17]
	v_cmp_gt_u32_e64 s[12:13], 24, v8
	s_and_saveexec_b64 s[16:17], s[12:13]
	s_cbranch_execnz .LBB160_1100
.LBB160_904:
	s_or_b64 exec, exec, s[16:17]
	s_and_saveexec_b64 s[12:13], s[18:19]
	s_cbranch_execnz .LBB160_1101
.LBB160_905:
	s_or_b64 exec, exec, s[12:13]
	v_cmp_gt_u32_e64 s[12:13], 8, v8
	s_and_saveexec_b64 s[16:17], s[12:13]
	s_cbranch_execz .LBB160_907
.LBB160_906:
	v_lshlrev_b32_e32 v15, 3, v0
	v_mov_b32_e32 v17, 0
	ds_read_b64 v[15:16], v15 offset:7680
	ds_read_b64 v[17:18], v17 offset:7800
	s_waitcnt lgkmcnt(0)
	v_mul_f32_e32 v19, v18, v16
	v_mul_f32_e32 v16, v17, v16
	v_fma_f32 v17, v17, v15, -v19
	v_fmac_f32_e32 v16, v18, v15
	v_add_f32_e32 v3, v3, v17
	v_add_f32_e32 v4, v4, v16
.LBB160_907:
	s_or_b64 exec, exec, s[16:17]
.LBB160_908:
	s_or_b64 exec, exec, s[14:15]
	s_and_saveexec_b64 s[12:13], s[58:59]
	s_cbranch_execz .LBB160_910
; %bb.909:
	v_mov_b32_e32 v15, 0
	ds_read_b64 v[15:16], v15 offset:3640
	s_waitcnt lgkmcnt(0)
	v_mul_f32_e32 v17, v4, v16
	v_mul_f32_e32 v18, v3, v16
	v_fma_f32 v3, v3, v15, -v17
	v_fmac_f32_e32 v18, v4, v15
	v_xor_b32_e32 v15, 0x80000000, v3
	v_xor_b32_e32 v16, 0x80000000, v18
	v_mov_b32_e32 v4, v18
	ds_write_b64 v14, v[15:16]
.LBB160_910:
	s_or_b64 exec, exec, s[12:13]
	s_waitcnt lgkmcnt(0)
	s_barrier
	s_and_saveexec_b64 s[12:13], s[60:61]
	v_readlane_b32 s58, v30, 2
	s_cbranch_execz .LBB160_912
; %bb.911:
	v_lshlrev_b32_e32 v15, 3, v12
	ds_read_b64 v[15:16], v15 offset:3584
	ds_read_b64 v[17:18], v14
	s_waitcnt lgkmcnt(0)
	v_mul_f32_e32 v19, v18, v16
	v_mul_f32_e32 v16, v17, v16
	v_fma_f32 v17, v17, v15, -v19
	v_fmac_f32_e32 v16, v18, v15
	v_sub_f32_e32 v3, v3, v17
	v_sub_f32_e32 v4, v4, v16
.LBB160_912:
	s_or_b64 exec, exec, s[12:13]
	s_barrier
	s_and_saveexec_b64 s[12:13], s[62:63]
	s_cbranch_execz .LBB160_914
; %bb.913:
	v_mov_b32_e32 v15, 0
	ds_read_b64 v[15:16], v15 offset:3120
	s_waitcnt lgkmcnt(0)
	v_mul_f32_e32 v17, v4, v16
	v_mul_f32_e32 v18, v3, v16
	v_fma_f32 v3, v3, v15, -v17
	v_fmac_f32_e32 v18, v4, v15
	v_xor_b32_e32 v15, 0x80000000, v3
	v_xor_b32_e32 v16, 0x80000000, v18
	v_mov_b32_e32 v4, v18
	ds_write_b64 v14, v[15:16]
.LBB160_914:
	s_or_b64 exec, exec, s[12:13]
	s_waitcnt lgkmcnt(0)
	s_barrier
	s_and_saveexec_b64 s[12:13], s[64:65]
	s_cbranch_execz .LBB160_916
; %bb.915:
	v_lshlrev_b32_e32 v15, 3, v12
	ds_read_b64 v[15:16], v15 offset:3072
	ds_read_b64 v[17:18], v14
	s_waitcnt lgkmcnt(0)
	v_mul_f32_e32 v19, v18, v16
	v_mul_f32_e32 v16, v17, v16
	v_fma_f32 v17, v17, v15, -v19
	v_fmac_f32_e32 v16, v18, v15
	v_sub_f32_e32 v3, v3, v17
	v_sub_f32_e32 v4, v4, v16
.LBB160_916:
	s_or_b64 exec, exec, s[12:13]
	s_barrier
	s_and_saveexec_b64 s[12:13], s[66:67]
	s_cbranch_execz .LBB160_918
; %bb.917:
	v_mov_b32_e32 v15, 0
	ds_read_b64 v[15:16], v15 offset:2600
	s_waitcnt lgkmcnt(0)
	v_mul_f32_e32 v17, v4, v16
	v_mul_f32_e32 v18, v3, v16
	v_fma_f32 v3, v3, v15, -v17
	v_fmac_f32_e32 v18, v4, v15
	v_xor_b32_e32 v15, 0x80000000, v3
	v_xor_b32_e32 v16, 0x80000000, v18
	v_mov_b32_e32 v4, v18
	ds_write_b64 v14, v[15:16]
.LBB160_918:
	s_or_b64 exec, exec, s[12:13]
	s_waitcnt lgkmcnt(0)
	s_barrier
	s_and_saveexec_b64 s[12:13], s[68:69]
	;; [unrolled: 34-line block ×6, first 2 shown]
	s_cbranch_execz .LBB160_936
; %bb.935:
	v_mov_b32_e32 v15, 0
	ds_read_b64 v[15:16], v15 offset:512
	ds_read_b64 v[17:18], v14
	s_waitcnt lgkmcnt(0)
	v_mul_f32_e32 v19, v18, v16
	v_mul_f32_e32 v16, v17, v16
	v_fma_f32 v17, v17, v15, -v19
	v_fmac_f32_e32 v16, v18, v15
	v_sub_f32_e32 v3, v3, v17
	v_sub_f32_e32 v4, v4, v16
.LBB160_936:
	s_or_b64 exec, exec, s[12:13]
	s_barrier
	s_and_saveexec_b64 s[12:13], s[56:57]
	s_cbranch_execz .LBB160_938
; %bb.937:
	v_mov_b32_e32 v15, 0
	ds_read_b64 v[15:16], v15
	s_waitcnt lgkmcnt(0)
	v_mul_f32_e32 v17, v4, v16
	v_mul_f32_e32 v18, v3, v16
	v_fma_f32 v3, v3, v15, -v17
	v_fmac_f32_e32 v18, v4, v15
	v_xor_b32_e32 v15, 0x80000000, v3
	v_xor_b32_e32 v16, 0x80000000, v18
	v_mov_b32_e32 v4, v18
	ds_write_b64 v14, v[15:16]
.LBB160_938:
	s_or_b64 exec, exec, s[12:13]
	s_waitcnt lgkmcnt(0)
	s_barrier
	s_barrier
	s_and_saveexec_b64 s[12:13], s[10:11]
; %bb.939:
	v_lshlrev_b32_e32 v12, 3, v12
	v_lshl_or_b32 v12, v13, 9, v12
	ds_write_b64 v12, v[3:4] offset:4096
; %bb.940:
	s_or_b64 exec, exec, s[12:13]
	s_waitcnt lgkmcnt(0)
	s_barrier
	s_barrier
	s_and_saveexec_b64 s[10:11], vcc
	s_cbranch_execz .LBB160_942
; %bb.941:
	v_add_u32_e64 v3, 48, 0
	v_mov_b32_e32 v16, 0
	ds_read2st64_b64 v[12:15], v3 offset0:6 offset1:7
	ds_read_b64 v[3:4], v16 offset:3640
	s_waitcnt lgkmcnt(0)
	v_mul_f32_e32 v17, v4, v13
	v_mul_f32_e32 v13, v3, v13
	v_fma_f32 v17, v3, v12, -v17
	v_fmac_f32_e32 v13, v4, v12
	v_mul_f32_e32 v3, v13, v15
	v_mul_f32_e32 v4, v17, v15
	v_fma_f32 v3, v17, v14, -v3
	v_fmac_f32_e32 v4, v13, v14
	ds_write_b64 v16, v[3:4] offset:3632
.LBB160_942:
	s_or_b64 exec, exec, s[10:11]
	v_mov_b32_e32 v3, 0
	v_mov_b32_e32 v4, 0
	s_waitcnt lgkmcnt(0)
	s_barrier
	buffer_wbinvl1_vol
	s_and_saveexec_b64 s[12:13], s[6:7]
	s_cbranch_execz .LBB160_946
; %bb.943:
	v_lshlrev_b32_e32 v3, 3, v5
	v_lshlrev_b32_e32 v12, 9, v6
	ds_read_b64 v[3:4], v3 offset:3104
	ds_read_b64 v[12:13], v12 offset:3120
	v_cmp_gt_u32_e64 s[10:11], 2, v8
	s_waitcnt lgkmcnt(0)
	v_mul_f32_e32 v14, v13, v4
	v_mul_f32_e32 v4, v12, v4
	v_fma_f32 v12, v12, v3, -v14
	v_fmac_f32_e32 v4, v13, v3
	v_add_f32_e32 v3, 0, v12
	v_add_f32_e32 v4, 0, v4
	s_and_saveexec_b64 s[14:15], s[10:11]
	s_cbranch_execz .LBB160_945
; %bb.944:
	v_lshlrev_b32_e32 v12, 3, v0
	v_mov_b32_e32 v14, 0
	ds_read_b64 v[12:13], v12 offset:3616
	ds_read_b64 v[14:15], v14 offset:3640
	s_waitcnt lgkmcnt(0)
	v_mul_f32_e32 v16, v15, v13
	v_mul_f32_e32 v13, v14, v13
	v_fma_f32 v14, v14, v12, -v16
	v_fmac_f32_e32 v13, v15, v12
	v_add_f32_e32 v3, v3, v14
	v_add_f32_e32 v4, v4, v13
.LBB160_945:
	s_or_b64 exec, exec, s[14:15]
.LBB160_946:
	s_or_b64 exec, exec, s[12:13]
	s_and_saveexec_b64 s[10:11], s[42:43]
	s_cbranch_execz .LBB160_948
; %bb.947:
	v_mov_b32_e32 v12, 0
	ds_read_b64 v[12:13], v12 offset:2600
	s_waitcnt lgkmcnt(0)
	v_mul_f32_e32 v14, v4, v13
	v_mul_f32_e32 v15, v3, v13
	v_fma_f32 v3, v3, v12, -v14
	v_fmac_f32_e32 v15, v4, v12
	v_xor_b32_e32 v12, 0x80000000, v3
	v_xor_b32_e32 v13, 0x80000000, v15
	v_mov_b32_e32 v4, v15
	ds_write_b64 v7, v[12:13]
.LBB160_948:
	s_or_b64 exec, exec, s[10:11]
	s_waitcnt lgkmcnt(0)
	s_barrier
	s_and_saveexec_b64 s[10:11], s[40:41]
	s_cbranch_execz .LBB160_950
; %bb.949:
	v_mov_b32_e32 v12, 0
	ds_read_b64 v[12:13], v12 offset:2592
	ds_read_b64 v[14:15], v7
	s_waitcnt lgkmcnt(0)
	v_mul_f32_e32 v16, v15, v13
	v_mul_f32_e32 v13, v14, v13
	v_fma_f32 v14, v14, v12, -v16
	v_fmac_f32_e32 v13, v15, v12
	v_sub_f32_e32 v3, v3, v14
	v_sub_f32_e32 v4, v4, v13
.LBB160_950:
	s_or_b64 exec, exec, s[10:11]
	s_barrier
	s_and_saveexec_b64 s[10:11], s[40:41]
	s_cbranch_execz .LBB160_952
; %bb.951:
	v_mov_b32_e32 v12, 0
	ds_read_b64 v[12:13], v12 offset:2080
	s_waitcnt lgkmcnt(0)
	v_mul_f32_e32 v14, v4, v13
	v_mul_f32_e32 v15, v3, v13
	v_fma_f32 v3, v3, v12, -v14
	v_fmac_f32_e32 v15, v4, v12
	v_xor_b32_e32 v12, 0x80000000, v3
	v_xor_b32_e32 v13, 0x80000000, v15
	v_mov_b32_e32 v4, v15
	ds_write_b64 v7, v[12:13]
.LBB160_952:
	s_or_b64 exec, exec, s[10:11]
	s_waitcnt lgkmcnt(0)
	s_barrier
	s_barrier
	s_and_saveexec_b64 s[10:11], s[6:7]
; %bb.953:
	v_lshlrev_b32_e32 v12, 3, v5
	v_lshl_or_b32 v12, v6, 9, v12
	ds_write_b64 v12, v[3:4] offset:3104
; %bb.954:
	s_or_b64 exec, exec, s[10:11]
	s_waitcnt lgkmcnt(0)
	s_barrier
	s_barrier
	s_and_saveexec_b64 s[10:11], vcc
	s_cbranch_execz .LBB160_956
; %bb.955:
	v_add_u32_e64 v3, 32, 0
	v_mov_b32_e32 v16, 0
	ds_read2st64_b64 v[12:15], v3 offset0:4 offset1:5
	ds_read_b64 v[3:4], v16 offset:2600
	s_waitcnt lgkmcnt(0)
	v_mul_f32_e32 v17, v4, v13
	v_mul_f32_e32 v13, v3, v13
	v_fma_f32 v17, v3, v12, -v17
	v_fmac_f32_e32 v13, v4, v12
	v_mul_f32_e32 v3, v13, v15
	v_mul_f32_e32 v4, v17, v15
	v_fma_f32 v3, v17, v14, -v3
	v_fmac_f32_e32 v4, v13, v14
	ds_write_b64 v16, v[3:4] offset:2592
.LBB160_956:
	s_or_b64 exec, exec, s[10:11]
	v_mov_b32_e32 v4, 0
	v_mov_b32_e32 v3, 0
	s_waitcnt lgkmcnt(0)
	s_barrier
	buffer_wbinvl1_vol
	s_and_saveexec_b64 s[12:13], s[18:19]
	s_cbranch_execz .LBB160_962
; %bb.957:
	v_lshlrev_b32_e32 v12, 3, v9
	v_lshlrev_b32_e32 v13, 9, v10
	ds_read_b64 v[3:4], v12 offset:2048
	ds_read_b64 v[14:15], v13 offset:2080
	v_cmp_gt_u32_e64 s[10:11], 12, v8
	s_waitcnt lgkmcnt(0)
	v_mul_f32_e32 v16, v15, v4
	v_mul_f32_e32 v4, v14, v4
	v_fma_f32 v14, v14, v3, -v16
	v_fmac_f32_e32 v4, v15, v3
	v_add_f32_e32 v3, 0, v14
	v_add_f32_e32 v4, 0, v4
	s_and_saveexec_b64 s[14:15], s[10:11]
	s_cbranch_execnz .LBB160_1102
; %bb.958:
	s_or_b64 exec, exec, s[14:15]
	v_cmp_gt_u32_e64 s[10:11], 8, v8
	s_and_saveexec_b64 s[14:15], s[10:11]
	s_cbranch_execnz .LBB160_1103
.LBB160_959:
	s_or_b64 exec, exec, s[14:15]
	v_cmp_gt_u32_e64 s[10:11], 4, v8
	s_and_saveexec_b64 s[14:15], s[10:11]
	s_cbranch_execz .LBB160_961
.LBB160_960:
	v_lshlrev_b32_e32 v12, 3, v0
	v_mov_b32_e32 v14, 0
	ds_read_b64 v[12:13], v12 offset:3584
	ds_read_b64 v[14:15], v14 offset:3640
	s_waitcnt lgkmcnt(0)
	v_mul_f32_e32 v16, v15, v13
	v_mul_f32_e32 v13, v14, v13
	v_fma_f32 v14, v14, v12, -v16
	v_fmac_f32_e32 v13, v15, v12
	v_add_f32_e32 v3, v3, v14
	v_add_f32_e32 v4, v4, v13
.LBB160_961:
	s_or_b64 exec, exec, s[14:15]
.LBB160_962:
	s_or_b64 exec, exec, s[12:13]
	s_and_saveexec_b64 s[10:11], s[46:47]
	s_cbranch_execz .LBB160_964
; %bb.963:
	v_mov_b32_e32 v12, 0
	ds_read_b64 v[12:13], v12 offset:1560
	s_waitcnt lgkmcnt(0)
	v_mul_f32_e32 v14, v4, v13
	v_mul_f32_e32 v15, v3, v13
	v_fma_f32 v3, v3, v12, -v14
	v_fmac_f32_e32 v15, v4, v12
	v_xor_b32_e32 v12, 0x80000000, v3
	v_xor_b32_e32 v13, 0x80000000, v15
	v_mov_b32_e32 v4, v15
	ds_write_b64 v11, v[12:13]
.LBB160_964:
	s_or_b64 exec, exec, s[10:11]
	s_waitcnt lgkmcnt(0)
	s_barrier
	s_and_saveexec_b64 s[10:11], s[48:49]
	s_load_dword s20, s[4:5], 0x6c
	v_readlane_b32 s22, v30, 0
	v_readlane_b32 s23, v30, 1
	s_cbranch_execz .LBB160_966
; %bb.965:
	v_lshlrev_b32_e32 v12, 3, v9
	ds_read_b64 v[12:13], v12 offset:1536
	ds_read_b64 v[14:15], v11
	s_waitcnt lgkmcnt(0)
	v_mul_f32_e32 v16, v15, v13
	v_mul_f32_e32 v13, v14, v13
	v_fma_f32 v14, v14, v12, -v16
	v_fmac_f32_e32 v13, v15, v12
	v_sub_f32_e32 v3, v3, v14
	v_sub_f32_e32 v4, v4, v13
.LBB160_966:
	s_or_b64 exec, exec, s[10:11]
	s_waitcnt lgkmcnt(0)
	s_barrier
	s_and_saveexec_b64 s[10:11], s[50:51]
	s_cbranch_execz .LBB160_968
; %bb.967:
	v_mov_b32_e32 v12, 0
	ds_read_b64 v[12:13], v12 offset:1040
	s_waitcnt lgkmcnt(0)
	v_mul_f32_e32 v14, v4, v13
	v_mul_f32_e32 v15, v3, v13
	v_fma_f32 v3, v3, v12, -v14
	v_fmac_f32_e32 v15, v4, v12
	v_xor_b32_e32 v12, 0x80000000, v3
	v_xor_b32_e32 v13, 0x80000000, v15
	v_mov_b32_e32 v4, v15
	ds_write_b64 v11, v[12:13]
.LBB160_968:
	s_or_b64 exec, exec, s[10:11]
	s_waitcnt lgkmcnt(0)
	s_barrier
	s_and_saveexec_b64 s[10:11], s[52:53]
	s_cbranch_execz .LBB160_970
; %bb.969:
	v_lshlrev_b32_e32 v12, 3, v9
	ds_read_b64 v[12:13], v12 offset:1024
	ds_read_b64 v[14:15], v11
	s_waitcnt lgkmcnt(0)
	v_mul_f32_e32 v16, v15, v13
	v_mul_f32_e32 v13, v14, v13
	v_fma_f32 v14, v14, v12, -v16
	v_fmac_f32_e32 v13, v15, v12
	v_sub_f32_e32 v3, v3, v14
	v_sub_f32_e32 v4, v4, v13
.LBB160_970:
	s_or_b64 exec, exec, s[10:11]
	s_barrier
	s_and_saveexec_b64 s[10:11], s[54:55]
	s_cbranch_execz .LBB160_972
; %bb.971:
	v_mov_b32_e32 v12, 0
	ds_read_b64 v[12:13], v12 offset:520
	s_waitcnt lgkmcnt(0)
	v_mul_f32_e32 v14, v4, v13
	v_mul_f32_e32 v15, v3, v13
	v_fma_f32 v3, v3, v12, -v14
	v_fmac_f32_e32 v15, v4, v12
	v_xor_b32_e32 v12, 0x80000000, v3
	v_xor_b32_e32 v13, 0x80000000, v15
	v_mov_b32_e32 v4, v15
	ds_write_b64 v11, v[12:13]
.LBB160_972:
	s_or_b64 exec, exec, s[10:11]
	s_waitcnt lgkmcnt(0)
	s_barrier
	s_and_saveexec_b64 s[10:11], s[44:45]
	s_cbranch_execz .LBB160_974
; %bb.973:
	v_mov_b32_e32 v12, 0
	ds_read_b64 v[12:13], v12 offset:512
	ds_read_b64 v[14:15], v11
	s_waitcnt lgkmcnt(0)
	v_mul_f32_e32 v16, v15, v13
	v_mul_f32_e32 v13, v14, v13
	v_fma_f32 v14, v14, v12, -v16
	v_fmac_f32_e32 v13, v15, v12
	v_sub_f32_e32 v3, v3, v14
	v_sub_f32_e32 v4, v4, v13
.LBB160_974:
	s_or_b64 exec, exec, s[10:11]
	s_barrier
	s_and_saveexec_b64 s[10:11], s[44:45]
	s_cbranch_execz .LBB160_976
; %bb.975:
	v_mov_b32_e32 v12, 0
	ds_read_b64 v[12:13], v12
	s_waitcnt lgkmcnt(0)
	v_mul_f32_e32 v14, v4, v13
	v_mul_f32_e32 v15, v3, v13
	v_fma_f32 v3, v3, v12, -v14
	v_fmac_f32_e32 v15, v4, v12
	v_xor_b32_e32 v12, 0x80000000, v3
	v_xor_b32_e32 v13, 0x80000000, v15
	v_mov_b32_e32 v4, v15
	ds_write_b64 v11, v[12:13]
.LBB160_976:
	s_or_b64 exec, exec, s[10:11]
	s_waitcnt lgkmcnt(0)
	s_barrier
	s_barrier
	s_and_saveexec_b64 s[10:11], s[18:19]
; %bb.977:
	v_lshlrev_b32_e32 v9, 3, v9
	v_lshl_or_b32 v9, v10, 9, v9
	ds_write_b64 v9, v[3:4] offset:2048
; %bb.978:
	s_or_b64 exec, exec, s[10:11]
	s_waitcnt lgkmcnt(0)
	s_barrier
	s_barrier
	s_and_saveexec_b64 s[10:11], vcc
	s_cbranch_execz .LBB160_980
; %bb.979:
	v_mov_b32_e32 v13, 0
	ds_read2_b64 v[9:12], v13 offset0:130 offset1:194
	ds_read_b64 v[3:4], v13 offset:1560
	s_waitcnt lgkmcnt(0)
	v_mul_f32_e32 v14, v4, v10
	v_mul_f32_e32 v10, v3, v10
	v_fma_f32 v3, v3, v9, -v14
	v_fmac_f32_e32 v10, v4, v9
	v_mul_f32_e32 v9, v10, v12
	v_mul_f32_e32 v4, v3, v12
	v_fma_f32 v3, v3, v11, -v9
	v_fmac_f32_e32 v4, v10, v11
	ds_write_b64 v13, v[3:4] offset:1552
.LBB160_980:
	s_or_b64 exec, exec, s[10:11]
	v_mov_b32_e32 v3, 0
	v_mov_b32_e32 v4, 0
	s_waitcnt lgkmcnt(0)
	s_barrier
	buffer_wbinvl1_vol
	s_and_saveexec_b64 s[12:13], s[6:7]
	s_cbranch_execz .LBB160_984
; %bb.981:
	v_lshlrev_b32_e32 v3, 3, v5
	v_lshlrev_b32_e32 v9, 9, v6
	ds_read_b64 v[3:4], v3 offset:1024
	ds_read_b64 v[9:10], v9 offset:1040
	v_cmp_gt_u32_e64 s[10:11], 2, v8
	s_waitcnt lgkmcnt(0)
	v_mul_f32_e32 v11, v10, v4
	v_mul_f32_e32 v4, v9, v4
	v_fma_f32 v9, v9, v3, -v11
	v_fmac_f32_e32 v4, v10, v3
	v_add_f32_e32 v3, 0, v9
	v_add_f32_e32 v4, 0, v4
	s_and_saveexec_b64 s[14:15], s[10:11]
	s_cbranch_execz .LBB160_983
; %bb.982:
	v_lshlrev_b32_e32 v8, 3, v0
	v_mov_b32_e32 v10, 0
	ds_read_b64 v[8:9], v8 offset:1536
	ds_read_b64 v[10:11], v10 offset:1560
	s_waitcnt lgkmcnt(0)
	v_mul_f32_e32 v12, v11, v9
	v_mul_f32_e32 v9, v10, v9
	v_fma_f32 v10, v10, v8, -v12
	v_fmac_f32_e32 v9, v11, v8
	v_add_f32_e32 v3, v3, v10
	v_add_f32_e32 v4, v4, v9
.LBB160_983:
	s_or_b64 exec, exec, s[14:15]
.LBB160_984:
	s_or_b64 exec, exec, s[12:13]
	s_and_saveexec_b64 s[10:11], s[42:43]
	s_cbranch_execz .LBB160_986
; %bb.985:
	v_mov_b32_e32 v8, 0
	ds_read_b64 v[8:9], v8 offset:520
	s_waitcnt lgkmcnt(0)
	v_mul_f32_e32 v10, v4, v9
	v_mul_f32_e32 v11, v3, v9
	v_fma_f32 v3, v3, v8, -v10
	v_fmac_f32_e32 v11, v4, v8
	v_xor_b32_e32 v8, 0x80000000, v3
	v_xor_b32_e32 v9, 0x80000000, v11
	v_mov_b32_e32 v4, v11
	ds_write_b64 v7, v[8:9]
.LBB160_986:
	s_or_b64 exec, exec, s[10:11]
	s_waitcnt lgkmcnt(0)
	s_barrier
	s_and_saveexec_b64 s[10:11], s[40:41]
	s_cbranch_execz .LBB160_988
; %bb.987:
	v_mov_b32_e32 v8, 0
	ds_read_b64 v[8:9], v8 offset:512
	ds_read_b64 v[10:11], v7
	s_waitcnt lgkmcnt(0)
	v_mul_f32_e32 v12, v11, v9
	v_mul_f32_e32 v9, v10, v9
	v_fma_f32 v10, v10, v8, -v12
	v_fmac_f32_e32 v9, v11, v8
	v_sub_f32_e32 v3, v3, v10
	v_sub_f32_e32 v4, v4, v9
.LBB160_988:
	s_or_b64 exec, exec, s[10:11]
	s_barrier
	s_and_saveexec_b64 s[10:11], s[40:41]
	s_cbranch_execz .LBB160_990
; %bb.989:
	v_mov_b32_e32 v8, 0
	ds_read_b64 v[8:9], v8
	s_waitcnt lgkmcnt(0)
	v_mul_f32_e32 v10, v4, v9
	v_mul_f32_e32 v11, v3, v9
	v_fma_f32 v3, v3, v8, -v10
	v_fmac_f32_e32 v11, v4, v8
	v_xor_b32_e32 v8, 0x80000000, v3
	v_xor_b32_e32 v9, 0x80000000, v11
	v_mov_b32_e32 v4, v11
	ds_write_b64 v7, v[8:9]
.LBB160_990:
	s_or_b64 exec, exec, s[10:11]
	s_waitcnt lgkmcnt(0)
	s_barrier
	s_barrier
	s_and_saveexec_b64 s[10:11], s[6:7]
; %bb.991:
	v_lshlrev_b32_e32 v5, 3, v5
	v_lshl_or_b32 v5, v6, 9, v5
	ds_write_b64 v5, v[3:4] offset:1024
; %bb.992:
	s_or_b64 exec, exec, s[10:11]
	s_waitcnt lgkmcnt(0)
	s_barrier
	s_barrier
	s_and_saveexec_b64 s[6:7], vcc
	s_cbranch_execz .LBB160_994
; %bb.993:
	v_mov_b32_e32 v9, 0
	ds_read2st64_b64 v[3:6], v9 offset1:1
	ds_read_b64 v[7:8], v9 offset:520
	s_waitcnt lgkmcnt(0)
	v_mul_f32_e32 v10, v8, v4
	v_mul_f32_e32 v11, v7, v4
	v_fma_f32 v7, v7, v3, -v10
	v_fmac_f32_e32 v11, v8, v3
	v_mul_f32_e32 v3, v11, v6
	v_mul_f32_e32 v4, v7, v6
	v_fma_f32 v3, v7, v5, -v3
	v_fmac_f32_e32 v4, v11, v5
	ds_write_b64 v9, v[3:4] offset:512
.LBB160_994:
	s_or_b64 exec, exec, s[6:7]
.LBB160_995:
	s_load_dwordx4 s[12:15], s[4:5], 0x30
	v_cmp_le_i32_e32 vcc, s90, v0
	v_mov_b32_e32 v3, 0
	v_add_u32_e32 v5, s33, v0
	v_mov_b32_e32 v4, 0
	s_waitcnt lgkmcnt(0)
	s_lshl_b64 s[6:7], s[14:15], 3
	s_add_u32 s44, s22, s6
	s_addc_u32 s45, s23, s7
	s_and_b64 s[18:19], vcc, s[34:35]
	v_cmp_eq_u32_e64 s[6:7], 0, v2
	s_xor_b64 s[10:11], s[18:19], -1
	s_and_b64 s[12:13], s[6:7], s[10:11]
	s_barrier
	s_and_saveexec_b64 s[10:11], s[12:13]
	s_cbranch_execz .LBB160_997
; %bb.996:
	v_ashrrev_i32_e32 v6, 31, v5
	v_mul_lo_u32 v7, s27, v5
	v_mad_u64_u32 v[3:4], s[12:13], s26, v5, 0
	v_mul_lo_u32 v6, s26, v6
	s_load_dwordx2 s[12:13], s[4:5], 0x28
	v_add3_u32 v4, v4, v6, v7
	v_lshlrev_b64 v[3:4], 3, v[3:4]
	v_mov_b32_e32 v6, s45
	v_add_co_u32_e32 v3, vcc, s44, v3
	v_addc_co_u32_e32 v4, vcc, v6, v4, vcc
	flat_load_dwordx2 v[6:7], v[3:4]
	s_waitcnt vmcnt(0) lgkmcnt(0)
	v_mul_f32_e32 v3, s12, v6
	v_mul_f32_e32 v4, s12, v7
	v_fma_f32 v3, s13, v7, -v3
	v_fma_f32 v4, v6, -s13, -v4
.LBB160_997:
	s_or_b64 exec, exec, s[10:11]
	s_load_dwordx2 s[16:17], s[4:5], 0x50
	s_and_b32 s4, 0xffff, s20
	v_mad_u32_u24 v8, v2, s4, v0
	s_cmp_lt_i32 s8, 1
	v_cmp_eq_u32_e64 s[4:5], 0, v8
	s_cbranch_scc1 .LBB160_1016
; %bb.998:
	s_lshl_b64 s[10:11], s[24:25], 2
	v_ashrrev_i32_e32 v6, 31, v5
	s_waitcnt lgkmcnt(0)
	s_add_u32 s22, s16, s10
	s_addc_u32 s23, s17, s11
	v_cmp_gt_i32_e64 s[10:11], s28, v5
	v_lshlrev_b64 v[5:6], 3, v[5:6]
	v_mov_b32_e32 v7, 0xa000
	s_mov_b64 s[20:21], src_private_base
	v_lshl_add_u32 v9, v8, 3, v7
	v_lshl_or_b32 v10, v2, 3, v7
	v_mov_b32_e32 v7, s92
	v_add_co_u32_e32 v11, vcc, s91, v5
	s_mul_i32 s14, s31, 0x180
	s_mul_hi_u32 s15, s30, 0x180
	s_mov_b32 s20, 0
	v_cmp_gt_u32_e64 s[12:13], 64, v8
	s_add_i32 s93, s93, 1
	v_addc_co_u32_e32 v12, vcc, v7, v6, vcc
	s_lshl_b64 s[36:37], s[30:31], 7
	s_lshl_b64 s[40:41], s[30:31], 8
	s_add_i32 s46, s15, s14
	s_mul_i32 s47, s30, 0x180
	v_mov_b32_e32 v15, -1
	v_mov_b32_e32 v5, 0
	v_mov_b32_e32 v13, 0
	;; [unrolled: 1-line block ×5, first 2 shown]
	s_branch .LBB160_1000
.LBB160_999:                            ;   in Loop: Header=BB160_1000 Depth=1
	s_or_b64 exec, exec, s[42:43]
	s_add_i32 s20, s20, 1
	s_cmp_eq_u32 s20, s8
	s_cbranch_scc1 .LBB160_1016
.LBB160_1000:                           ; =>This Loop Header: Depth=1
                                        ;     Child Loop BB160_1002 Depth 2
	v_cmp_gt_i32_e32 vcc, s20, v15
	s_and_b64 s[42:43], s[4:5], vcc
	s_and_saveexec_b64 s[14:15], s[42:43]
	s_cbranch_execz .LBB160_1003
; %bb.1001:                             ;   in Loop: Header=BB160_1000 Depth=1
	global_load_dword v15, v5, s[22:23]
	s_waitcnt vmcnt(0)
	v_cmp_le_i32_e32 vcc, s20, v15
	s_cbranch_vccnz .LBB160_1003
.LBB160_1002:                           ;   Parent Loop BB160_1000 Depth=1
                                        ; =>  This Inner Loop Header: Depth=2
	buffer_wbinvl1_vol
	global_load_dword v15, v5, s[22:23]
	s_waitcnt vmcnt(0)
	v_cmp_gt_i32_e32 vcc, s20, v15
	s_cbranch_vccnz .LBB160_1002
.LBB160_1003:                           ;   in Loop: Header=BB160_1000 Depth=1
	s_or_b64 exec, exec, s[14:15]
	s_sub_i32 s48, s9, s20
	s_lshl_b32 s49, s48, 6
	buffer_wbinvl1_vol
	s_barrier
	s_and_saveexec_b64 s[14:15], s[12:13]
	s_cbranch_execz .LBB160_1008
; %bb.1004:                             ;   in Loop: Header=BB160_1000 Depth=1
	s_ashr_i32 s42, s49, 31
	v_mov_b32_e32 v7, s42
	v_or_b32_e32 v6, s49, v8
	v_cmp_le_i64_e32 vcc, s[28:29], v[6:7]
	s_and_saveexec_b64 s[42:43], vcc
	s_xor_b64 s[42:43], exec, s[42:43]
; %bb.1005:                             ;   in Loop: Header=BB160_1000 Depth=1
	v_mov_b32_e32 v6, v5
	ds_write_b64 v9, v[5:6]
                                        ; implicit-def: $vgpr6_vgpr7
; %bb.1006:                             ;   in Loop: Header=BB160_1000 Depth=1
	s_andn2_saveexec_b64 s[42:43], s[42:43]
	s_cbranch_execz .LBB160_1008
; %bb.1007:                             ;   in Loop: Header=BB160_1000 Depth=1
	v_mul_lo_u32 v18, v7, s26
	v_mul_lo_u32 v19, v6, s27
	v_mad_u64_u32 v[6:7], s[42:43], v6, s26, 0
	v_add3_u32 v7, v7, v19, v18
	v_lshlrev_b64 v[6:7], 3, v[6:7]
	v_mov_b32_e32 v18, s45
	v_add_co_u32_e32 v6, vcc, s44, v6
	v_addc_co_u32_e32 v7, vcc, v18, v7, vcc
	flat_load_dwordx2 v[6:7], v[6:7]
	s_waitcnt vmcnt(0) lgkmcnt(0)
	ds_write_b64 v9, v[6:7]
.LBB160_1008:                           ;   in Loop: Header=BB160_1000 Depth=1
	s_or_b64 exec, exec, s[14:15]
	v_add_u32_e32 v6, s49, v2
	v_ashrrev_i32_e32 v7, 31, v6
	v_mul_lo_u32 v20, s31, v6
	v_mad_u64_u32 v[18:19], s[14:15], s30, v6, 0
	v_mul_lo_u32 v7, s30, v7
	s_cmp_eq_u32 s48, s93
	s_cselect_b64 vcc, -1, 0
	s_waitcnt lgkmcnt(0)
	v_add3_u32 v19, v19, v7, v20
	v_lshlrev_b64 v[18:19], 3, v[18:19]
	s_barrier
	v_add_co_u32_e64 v7, s[14:15], v11, v18
	v_addc_co_u32_e64 v18, s[14:15], v12, v19, s[14:15]
	v_cmp_gt_i32_e64 s[14:15], s28, v6
	s_and_b64 s[42:43], s[10:11], s[14:15]
	s_and_saveexec_b64 s[14:15], s[42:43]
	s_cbranch_execz .LBB160_1010
; %bb.1009:                             ;   in Loop: Header=BB160_1000 Depth=1
	v_mov_b32_e32 v19, s21
	v_cndmask_b32_e32 v20, v18, v19, vcc
	v_cndmask_b32_e32 v19, v7, v13, vcc
	flat_load_dwordx2 v[19:20], v[19:20]
	ds_read_b64 v[21:22], v10
	s_waitcnt vmcnt(0) lgkmcnt(0)
	v_mul_f32_e32 v23, v22, v20
	v_mul_f32_e32 v20, v21, v20
	v_fma_f32 v21, v21, v19, -v23
	v_fmac_f32_e32 v20, v22, v19
	v_add_f32_e32 v3, v3, v21
	v_add_f32_e32 v4, v4, v20
.LBB160_1010:                           ;   in Loop: Header=BB160_1000 Depth=1
	s_or_b64 exec, exec, s[14:15]
	v_add_u32_e32 v19, 16, v6
	v_cmp_gt_i32_e64 s[14:15], s28, v19
	s_and_b64 s[14:15], s[10:11], s[14:15]
	s_and_saveexec_b64 s[42:43], s[14:15]
	s_cbranch_execz .LBB160_1012
; %bb.1011:                             ;   in Loop: Header=BB160_1000 Depth=1
	v_mov_b32_e32 v19, s37
	v_add_co_u32_e64 v21, s[14:15], s36, v7
	v_addc_co_u32_e64 v19, s[14:15], v18, v19, s[14:15]
	v_mov_b32_e32 v20, s21
	v_cndmask_b32_e32 v20, v19, v20, vcc
	v_cndmask_b32_e32 v19, v21, v14, vcc
	flat_load_dwordx2 v[19:20], v[19:20]
	ds_read_b64 v[21:22], v10 offset:128
	s_waitcnt vmcnt(0) lgkmcnt(0)
	v_mul_f32_e32 v23, v22, v20
	v_mul_f32_e32 v20, v21, v20
	v_fma_f32 v21, v21, v19, -v23
	v_fmac_f32_e32 v20, v22, v19
	v_add_f32_e32 v3, v3, v21
	v_add_f32_e32 v4, v4, v20
.LBB160_1012:                           ;   in Loop: Header=BB160_1000 Depth=1
	s_or_b64 exec, exec, s[42:43]
	v_add_u32_e32 v19, 32, v6
	v_cmp_gt_i32_e64 s[14:15], s28, v19
	s_and_b64 s[14:15], s[10:11], s[14:15]
	s_and_saveexec_b64 s[42:43], s[14:15]
	s_cbranch_execz .LBB160_1014
; %bb.1013:                             ;   in Loop: Header=BB160_1000 Depth=1
	v_mov_b32_e32 v19, s41
	v_add_co_u32_e64 v21, s[14:15], s40, v7
	v_addc_co_u32_e64 v19, s[14:15], v18, v19, s[14:15]
	v_mov_b32_e32 v20, s21
	v_cndmask_b32_e32 v20, v19, v20, vcc
	v_cndmask_b32_e32 v19, v21, v16, vcc
	flat_load_dwordx2 v[19:20], v[19:20]
	ds_read_b64 v[21:22], v10 offset:256
	s_waitcnt vmcnt(0) lgkmcnt(0)
	v_mul_f32_e32 v23, v22, v20
	v_mul_f32_e32 v20, v21, v20
	v_fma_f32 v21, v21, v19, -v23
	v_fmac_f32_e32 v20, v22, v19
	v_add_f32_e32 v3, v3, v21
	v_add_f32_e32 v4, v4, v20
.LBB160_1014:                           ;   in Loop: Header=BB160_1000 Depth=1
	s_or_b64 exec, exec, s[42:43]
	v_add_u32_e32 v6, 48, v6
	v_cmp_gt_i32_e64 s[14:15], s28, v6
	s_and_b64 s[14:15], s[10:11], s[14:15]
	s_and_saveexec_b64 s[42:43], s[14:15]
	s_cbranch_execz .LBB160_999
; %bb.1015:                             ;   in Loop: Header=BB160_1000 Depth=1
	v_mov_b32_e32 v6, s46
	v_add_co_u32_e64 v19, s[14:15], s47, v7
	v_addc_co_u32_e64 v6, s[14:15], v18, v6, s[14:15]
	v_mov_b32_e32 v7, s21
	v_cndmask_b32_e32 v7, v6, v7, vcc
	v_cndmask_b32_e32 v6, v19, v17, vcc
	flat_load_dwordx2 v[6:7], v[6:7]
	ds_read_b64 v[18:19], v10 offset:384
	s_waitcnt vmcnt(0) lgkmcnt(0)
	v_mul_f32_e32 v20, v19, v7
	v_mul_f32_e32 v7, v18, v7
	v_fma_f32 v18, v18, v6, -v20
	v_fmac_f32_e32 v7, v19, v6
	v_add_f32_e32 v3, v3, v18
	v_add_f32_e32 v4, v4, v7
	s_branch .LBB160_999
.LBB160_1016:
	s_xor_b64 s[4:5], s[34:35], -1
	s_xor_b64 s[8:9], s[38:39], -1
	v_lshlrev_b32_e32 v1, 3, v1
	ds_write_b64 v1, v[3:4] offset:32768
	s_waitcnt lgkmcnt(0)
	s_barrier
	s_and_saveexec_b64 s[10:11], s[6:7]
	s_cbranch_execz .LBB160_1018
; %bb.1017:
	v_lshlrev_b32_e32 v7, 3, v0
	ds_read2st64_b64 v[9:12], v7 offset0:65 offset1:66
	ds_read2st64_b64 v[13:16], v7 offset0:67 offset1:68
	ds_read_b64 v[17:18], v7 offset:40448
	s_waitcnt lgkmcnt(2)
	v_add_f32_e32 v3, v3, v9
	v_add_f32_e32 v4, v4, v10
	;; [unrolled: 1-line block ×4, first 2 shown]
	ds_read2st64_b64 v[3:6], v7 offset0:69 offset1:70
	s_waitcnt lgkmcnt(2)
	v_add_f32_e32 v9, v9, v13
	v_add_f32_e32 v10, v10, v14
	;; [unrolled: 1-line block ×4, first 2 shown]
	s_waitcnt lgkmcnt(0)
	v_add_f32_e32 v3, v9, v3
	ds_read2st64_b64 v[9:12], v7 offset0:71 offset1:72
	v_add_f32_e32 v4, v13, v4
	v_add_f32_e32 v13, v3, v5
	;; [unrolled: 1-line block ×3, first 2 shown]
	ds_read2st64_b64 v[3:6], v7 offset0:73 offset1:74
	s_waitcnt lgkmcnt(1)
	v_add_f32_e32 v9, v13, v9
	v_add_f32_e32 v10, v14, v10
	;; [unrolled: 1-line block ×4, first 2 shown]
	s_waitcnt lgkmcnt(0)
	v_add_f32_e32 v3, v9, v3
	ds_read2st64_b64 v[9:12], v7 offset0:75 offset1:76
	v_add_f32_e32 v4, v13, v4
	v_add_f32_e32 v13, v3, v5
	;; [unrolled: 1-line block ×3, first 2 shown]
	ds_read2st64_b64 v[3:6], v7 offset0:77 offset1:78
	s_waitcnt lgkmcnt(1)
	v_add_f32_e32 v7, v13, v9
	v_add_f32_e32 v9, v14, v10
	;; [unrolled: 1-line block ×4, first 2 shown]
	s_waitcnt lgkmcnt(0)
	v_add_f32_e32 v3, v7, v3
	v_add_f32_e32 v4, v9, v4
	;; [unrolled: 1-line block ×6, first 2 shown]
	v_cndmask_b32_e64 v3, -v3, 0, s[18:19]
	v_cndmask_b32_e64 v4, -v4, 0, s[18:19]
.LBB160_1018:
	s_or_b64 exec, exec, s[10:11]
	s_andn2_b64 vcc, exec, s[8:9]
	s_cbranch_vccnz .LBB160_1031
; %bb.1019:
	v_mov_b32_e32 v5, 0xa000
	v_lshl_or_b32 v7, v2, 3, v5
	s_and_saveexec_b64 s[8:9], s[6:7]
; %bb.1020:
	v_lshl_add_u32 v5, v0, 3, v7
	ds_write_b64 v5, v[3:4]
; %bb.1021:
	s_or_b64 exec, exec, s[8:9]
	v_cmp_le_u32_e32 vcc, v0, v2
	v_mov_b32_e32 v5, 0
	v_mov_b32_e32 v6, 0
	s_waitcnt lgkmcnt(0)
	s_barrier
	s_and_saveexec_b64 s[8:9], vcc
	s_cbranch_execz .LBB160_1023
; %bb.1022:
	ds_read_b64 v[5:6], v1
	ds_read_b64 v[9:10], v7
	s_waitcnt lgkmcnt(0)
	v_mul_f32_e32 v11, v10, v6
	v_mul_f32_e32 v6, v9, v6
	v_fma_f32 v9, v9, v5, -v11
	v_fmac_f32_e32 v6, v10, v5
	v_add_f32_e32 v5, 0, v9
	v_add_f32_e32 v6, 0, v6
.LBB160_1023:
	s_or_b64 exec, exec, s[8:9]
	v_add_u32_e32 v9, 16, v2
	v_cmp_le_u32_e32 vcc, v0, v9
	s_and_saveexec_b64 s[8:9], vcc
	s_cbranch_execz .LBB160_1025
; %bb.1024:
	ds_read_b64 v[9:10], v1 offset:8192
	ds_read_b64 v[11:12], v7 offset:128
	s_waitcnt lgkmcnt(0)
	v_mul_f32_e32 v13, v12, v10
	v_mul_f32_e32 v10, v11, v10
	v_fma_f32 v11, v11, v9, -v13
	v_fmac_f32_e32 v10, v12, v9
	v_add_f32_e32 v5, v5, v11
	v_add_f32_e32 v6, v6, v10
.LBB160_1025:
	s_or_b64 exec, exec, s[8:9]
	v_add_u32_e32 v9, 32, v2
	v_cmp_le_u32_e32 vcc, v0, v9
	s_and_saveexec_b64 s[8:9], vcc
	s_cbranch_execz .LBB160_1027
; %bb.1026:
	ds_read_b64 v[9:10], v1 offset:16384
	ds_read_b64 v[11:12], v7 offset:256
	s_waitcnt lgkmcnt(0)
	v_mul_f32_e32 v13, v12, v10
	v_mul_f32_e32 v10, v11, v10
	v_fma_f32 v11, v11, v9, -v13
	v_fmac_f32_e32 v10, v12, v9
	v_add_f32_e32 v5, v5, v11
	v_add_f32_e32 v6, v6, v10
.LBB160_1027:
	s_or_b64 exec, exec, s[8:9]
	v_add_u32_e32 v2, 48, v2
	v_add_u32_e32 v9, 0x8000, v1
	v_cmp_le_u32_e32 vcc, v0, v2
	s_and_saveexec_b64 s[8:9], vcc
	s_cbranch_execz .LBB160_1029
; %bb.1028:
	ds_read_b64 v[1:2], v1 offset:24576
	ds_read_b64 v[10:11], v7 offset:384
	s_waitcnt lgkmcnt(0)
	v_mul_f32_e32 v7, v11, v2
	v_mul_f32_e32 v2, v10, v2
	v_fma_f32 v7, v10, v1, -v7
	v_fmac_f32_e32 v2, v11, v1
	v_add_f32_e32 v5, v5, v7
	v_add_f32_e32 v6, v6, v2
.LBB160_1029:
	s_or_b64 exec, exec, s[8:9]
	s_mov_b64 s[10:11], 0
	s_mov_b64 s[8:9], 0
	ds_write_b64 v9, v[5:6]
	s_waitcnt lgkmcnt(0)
	s_barrier
                                        ; implicit-def: $vgpr1
                                        ; implicit-def: $vgpr2
	s_and_saveexec_b64 s[12:13], s[6:7]
	s_cbranch_execz .LBB160_1050
; %bb.1030:
	v_lshlrev_b32_e32 v1, 3, v0
	ds_read2st64_b64 v[9:12], v1 offset0:65 offset1:66
	ds_read2st64_b64 v[13:16], v1 offset0:67 offset1:68
	ds_read_b64 v[17:18], v1 offset:40448
	s_mov_b64 s[8:9], exec
	s_waitcnt lgkmcnt(2)
	v_add_f32_e32 v2, v5, v9
	v_add_f32_e32 v5, v6, v10
	v_add_f32_e32 v2, v2, v11
	v_add_f32_e32 v5, v5, v12
	ds_read2st64_b64 v[9:12], v1 offset0:69 offset1:70
	s_waitcnt lgkmcnt(2)
	v_add_f32_e32 v2, v2, v13
	v_add_f32_e32 v5, v5, v14
	v_add_f32_e32 v2, v2, v15
	v_add_f32_e32 v5, v5, v16
	ds_read2st64_b64 v[13:16], v1 offset0:71 offset1:72
	;; [unrolled: 6-line block ×5, first 2 shown]
	s_waitcnt lgkmcnt(1)
	v_add_f32_e32 v1, v2, v13
	v_add_f32_e32 v2, v5, v14
	;; [unrolled: 1-line block ×4, first 2 shown]
	s_waitcnt lgkmcnt(0)
	v_add_f32_e32 v1, v1, v9
	v_add_f32_e32 v2, v2, v10
	v_add_f32_e32 v1, v1, v11
	v_add_f32_e32 v5, v2, v12
	v_add_f32_e32 v2, v1, v17
	v_add_f32_e32 v1, v5, v18
	s_or_b64 exec, exec, s[12:13]
	s_and_b64 vcc, exec, s[10:11]
	s_cbranch_vccnz .LBB160_1032
	s_branch .LBB160_1051
.LBB160_1031:
	s_mov_b64 s[8:9], 0
                                        ; implicit-def: $vgpr1
                                        ; implicit-def: $vgpr2
	s_cbranch_execz .LBB160_1051
.LBB160_1032:
	s_movk_i32 s10, 0x208
	v_lshlrev_b32_e32 v2, 9, v0
	v_mov_b32_e32 v5, 0x7c00
	v_mul_u32_u24_e32 v1, 0x208, v0
	v_sub_u32_e32 v2, 0, v2
	v_mad_u32_u24 v5, v0, s10, v5
	s_mov_b32 s12, 63
	s_movk_i32 s13, 0x8200
	v_mov_b32_e32 v6, 0
	s_branch .LBB160_1034
.LBB160_1033:                           ;   in Loop: Header=BB160_1034 Depth=1
	s_or_b64 exec, exec, s[10:11]
	s_add_i32 s12, s12, -2
	s_cmp_lg_u32 s14, 0
	v_add_u32_e32 v2, 0xfffffc00, v2
	s_barrier
	s_cbranch_scc0 .LBB160_1042
.LBB160_1034:                           ; =>This Inner Loop Header: Depth=1
	v_cmp_eq_u32_e32 vcc, s13, v2
	s_and_b64 s[14:15], s[6:7], vcc
	s_and_saveexec_b64 s[10:11], s[14:15]
	s_cbranch_execz .LBB160_1036
; %bb.1035:                             ;   in Loop: Header=BB160_1034 Depth=1
	ds_read_b64 v[9:10], v1
	s_waitcnt lgkmcnt(0)
	v_mul_f32_e32 v7, v4, v10
	v_mul_f32_e32 v11, v3, v10
	v_fma_f32 v10, v3, v9, -v7
	v_fmac_f32_e32 v11, v4, v9
	v_mov_b32_e32 v3, v10
	v_mov_b32_e32 v4, v11
	ds_write_b64 v6, v[10:11] offset:41472
.LBB160_1036:                           ;   in Loop: Header=BB160_1034 Depth=1
	s_or_b64 exec, exec, s[10:11]
	v_cmp_gt_u32_e32 vcc, s12, v0
	s_and_b64 s[14:15], s[6:7], vcc
	v_add_u32_e32 v7, v5, v2
	s_waitcnt lgkmcnt(0)
	s_barrier
	s_and_saveexec_b64 s[10:11], s[14:15]
	s_cbranch_execz .LBB160_1038
; %bb.1037:                             ;   in Loop: Header=BB160_1034 Depth=1
	ds_read_b64 v[9:10], v7 offset:512
	ds_read_b64 v[11:12], v6 offset:41472
	s_waitcnt lgkmcnt(0)
	v_mul_f32_e32 v13, v12, v10
	v_mul_f32_e32 v10, v11, v10
	v_fma_f32 v11, v11, v9, -v13
	v_fmac_f32_e32 v10, v12, v9
	v_add_f32_e32 v3, v3, v11
	v_add_f32_e32 v4, v4, v10
.LBB160_1038:                           ;   in Loop: Header=BB160_1034 Depth=1
	s_or_b64 exec, exec, s[10:11]
	s_add_i32 s14, s12, -1
	v_cmp_eq_u32_e32 vcc, s14, v0
	s_and_b64 s[18:19], s[6:7], vcc
	s_barrier
	s_and_saveexec_b64 s[10:11], s[18:19]
	s_cbranch_execz .LBB160_1040
; %bb.1039:                             ;   in Loop: Header=BB160_1034 Depth=1
	ds_read_b64 v[9:10], v1
	s_waitcnt lgkmcnt(0)
	v_mul_f32_e32 v12, v4, v10
	v_mul_f32_e32 v11, v3, v10
	v_fma_f32 v10, v3, v9, -v12
	v_fmac_f32_e32 v11, v4, v9
	v_mov_b32_e32 v3, v10
	v_mov_b32_e32 v4, v11
	ds_write_b64 v6, v[10:11] offset:41472
.LBB160_1040:                           ;   in Loop: Header=BB160_1034 Depth=1
	s_or_b64 exec, exec, s[10:11]
	v_cmp_gt_u32_e32 vcc, s14, v0
	s_and_b64 s[18:19], s[6:7], vcc
	s_waitcnt lgkmcnt(0)
	s_barrier
	s_and_saveexec_b64 s[10:11], s[18:19]
	s_cbranch_execz .LBB160_1033
; %bb.1041:                             ;   in Loop: Header=BB160_1034 Depth=1
	ds_read_b64 v[9:10], v7
	ds_read_b64 v[11:12], v6 offset:41472
	s_waitcnt lgkmcnt(0)
	v_mul_f32_e32 v7, v12, v10
	v_mul_f32_e32 v10, v11, v10
	v_fma_f32 v7, v11, v9, -v7
	v_fmac_f32_e32 v10, v12, v9
	v_add_f32_e32 v3, v3, v7
	v_add_f32_e32 v4, v4, v10
	s_branch .LBB160_1033
.LBB160_1042:
	s_mov_b64 s[10:11], -1
	s_and_b64 vcc, exec, s[4:5]
	s_cbranch_vccnz .LBB160_1052
; %bb.1043:
	s_andn2_b64 vcc, exec, s[10:11]
	s_cbranch_vccz .LBB160_1053
.LBB160_1044:
	s_and_saveexec_b64 s[4:5], s[8:9]
	s_cbranch_execz .LBB160_1046
.LBB160_1045:
	v_mov_b32_e32 v0, s58
	v_add_co_u32_e32 v1, vcc, s33, v8
	v_addc_co_u32_e32 v0, vcc, 0, v0, vcc
	v_mul_lo_u32 v2, v0, s26
	v_mul_lo_u32 v5, v1, s27
	v_mad_u64_u32 v[0:1], s[6:7], v1, s26, 0
	v_add3_u32 v1, v1, v5, v2
	v_lshlrev_b64 v[0:1], 3, v[0:1]
	v_mov_b32_e32 v2, s45
	v_add_co_u32_e32 v0, vcc, s44, v0
	v_addc_co_u32_e32 v1, vcc, v2, v1, vcc
	flat_store_dwordx2 v[0:1], v[3:4]
.LBB160_1046:
	s_or_b64 exec, exec, s[4:5]
	v_cmp_eq_u32_e32 vcc, 0, v8
	s_waitcnt vmcnt(0) lgkmcnt(0)
	buffer_wbinvl1_vol
	s_barrier
	s_and_saveexec_b64 s[4:5], vcc
	s_cbranch_execz .LBB160_1048
; %bb.1047:
	s_lshl_b64 s[6:7], s[24:25], 2
	s_add_u32 s6, s16, s6
	s_addc_u32 s7, s17, s7
	v_mov_b32_e32 v0, 0
	global_load_dword v1, v0, s[6:7]
	s_waitcnt vmcnt(0)
	v_add_u32_e32 v1, 1, v1
	global_store_dword v0, v1, s[6:7]
.LBB160_1048:
	s_or_b64 exec, exec, s[4:5]
	s_waitcnt vmcnt(0)
	buffer_wbinvl1_vol
	s_endpgm
.LBB160_1049:
                                        ; implicit-def: $sgpr33
	s_cbranch_execnz .LBB160_18
	s_branch .LBB160_19
.LBB160_1050:
	s_or_b64 exec, exec, s[12:13]
	s_and_b64 vcc, exec, s[10:11]
	s_cbranch_vccnz .LBB160_1032
.LBB160_1051:
	v_mov_b32_e32 v4, v1
	v_mov_b32_e32 v3, v2
	s_and_saveexec_b64 s[4:5], s[8:9]
	s_cbranch_execnz .LBB160_1045
	s_branch .LBB160_1046
.LBB160_1052:
	s_andn2_b64 s[4:5], s[8:9], exec
	s_and_b64 s[8:9], s[6:7], exec
	s_or_b64 s[8:9], s[4:5], s[8:9]
	s_cbranch_execnz .LBB160_1044
.LBB160_1053:
	v_cmp_gt_i32_e32 vcc, s90, v0
	s_and_b64 s[4:5], s[6:7], vcc
	s_andn2_b64 s[6:7], s[8:9], exec
	s_and_b64 s[4:5], s[4:5], exec
	s_or_b64 s[8:9], s[6:7], s[4:5]
	s_and_saveexec_b64 s[4:5], s[8:9]
	s_cbranch_execnz .LBB160_1045
	s_branch .LBB160_1046
.LBB160_1054:
	ds_read_b64 v[14:15], v12 offset:31680
	ds_read_b64 v[16:17], v13 offset:31208
	s_waitcnt lgkmcnt(0)
	v_mul_f32_e32 v18, v17, v15
	v_mul_f32_e32 v15, v16, v15
	v_fma_f32 v16, v16, v14, -v18
	v_fmac_f32_e32 v15, v17, v14
	v_add_f32_e32 v3, v3, v16
	v_add_f32_e32 v4, v4, v15
	s_or_b64 exec, exec, s[16:17]
	v_cmp_gt_u32_e64 s[12:13], 8, v8
	s_and_saveexec_b64 s[16:17], s[12:13]
	s_cbranch_execz .LBB160_155
.LBB160_1055:
	ds_read_b64 v[14:15], v12 offset:32192
	ds_read_b64 v[12:13], v13 offset:31216
	s_waitcnt lgkmcnt(0)
	v_mul_f32_e32 v16, v13, v15
	v_mul_f32_e32 v15, v12, v15
	v_fma_f32 v12, v12, v14, -v16
	v_fmac_f32_e32 v15, v13, v14
	v_add_f32_e32 v3, v3, v12
	v_add_f32_e32 v4, v4, v15
	s_or_b64 exec, exec, s[16:17]
	v_cmp_gt_u32_e64 s[12:13], 4, v8
	s_and_saveexec_b64 s[16:17], s[12:13]
	s_cbranch_execnz .LBB160_156
	s_branch .LBB160_157
.LBB160_1056:
	ds_read_b64 v[17:18], v15 offset:29568
	ds_read_b64 v[19:20], v16 offset:29128
	s_waitcnt lgkmcnt(0)
	v_mul_f32_e32 v21, v20, v18
	v_mul_f32_e32 v18, v19, v18
	v_fma_f32 v19, v19, v17, -v21
	v_fmac_f32_e32 v18, v20, v17
	v_add_f32_e32 v3, v3, v19
	v_add_f32_e32 v4, v4, v18
	s_or_b64 exec, exec, s[20:21]
	v_cmp_gt_u32_e64 s[14:15], 48, v8
	s_and_saveexec_b64 s[20:21], s[14:15]
	s_cbranch_execz .LBB160_193
.LBB160_1057:
	ds_read_b64 v[17:18], v15 offset:30080
	ds_read_b64 v[19:20], v16 offset:29136
	s_waitcnt lgkmcnt(0)
	v_mul_f32_e32 v21, v20, v18
	v_mul_f32_e32 v18, v19, v18
	v_fma_f32 v19, v19, v17, -v21
	v_fmac_f32_e32 v18, v20, v17
	v_add_f32_e32 v3, v3, v19
	v_add_f32_e32 v4, v4, v18
	s_or_b64 exec, exec, s[20:21]
	v_cmp_gt_u32_e64 s[14:15], 40, v8
	s_and_saveexec_b64 s[20:21], s[14:15]
	s_cbranch_execz .LBB160_194
.LBB160_1058:
	ds_read_b64 v[17:18], v15 offset:30592
	ds_read_b64 v[19:20], v16 offset:29144
	s_waitcnt lgkmcnt(0)
	v_mul_f32_e32 v21, v20, v18
	v_mul_f32_e32 v18, v19, v18
	v_fma_f32 v19, v19, v17, -v21
	v_fmac_f32_e32 v18, v20, v17
	v_add_f32_e32 v3, v3, v19
	v_add_f32_e32 v4, v4, v18
	s_or_b64 exec, exec, s[20:21]
	v_cmp_gt_u32_e64 s[14:15], 32, v8
	s_and_saveexec_b64 s[20:21], s[14:15]
	s_cbranch_execz .LBB160_195
.LBB160_1059:
	ds_read_b64 v[17:18], v15 offset:31104
	ds_read_b64 v[19:20], v16 offset:29152
	s_waitcnt lgkmcnt(0)
	v_mul_f32_e32 v21, v20, v18
	v_mul_f32_e32 v18, v19, v18
	v_fma_f32 v19, v19, v17, -v21
	v_fmac_f32_e32 v18, v20, v17
	v_add_f32_e32 v3, v3, v19
	v_add_f32_e32 v4, v4, v18
	s_or_b64 exec, exec, s[20:21]
	v_cmp_gt_u32_e64 s[14:15], 24, v8
	s_and_saveexec_b64 s[20:21], s[14:15]
	s_cbranch_execz .LBB160_196
.LBB160_1060:
	ds_read_b64 v[17:18], v15 offset:31616
	ds_read_b64 v[19:20], v16 offset:29160
	s_waitcnt lgkmcnt(0)
	v_mul_f32_e32 v21, v20, v18
	v_mul_f32_e32 v18, v19, v18
	v_fma_f32 v19, v19, v17, -v21
	v_fmac_f32_e32 v18, v20, v17
	v_add_f32_e32 v3, v3, v19
	v_add_f32_e32 v4, v4, v18
	s_or_b64 exec, exec, s[20:21]
	s_and_saveexec_b64 s[14:15], s[18:19]
	s_cbranch_execz .LBB160_197
.LBB160_1061:
	ds_read_b64 v[17:18], v15 offset:32128
	ds_read_b64 v[15:16], v16 offset:29168
	s_waitcnt lgkmcnt(0)
	v_mul_f32_e32 v19, v16, v18
	v_mul_f32_e32 v18, v15, v18
	v_fma_f32 v15, v15, v17, -v19
	v_fmac_f32_e32 v18, v16, v17
	v_add_f32_e32 v3, v3, v15
	v_add_f32_e32 v4, v4, v18
	s_or_b64 exec, exec, s[14:15]
	v_cmp_gt_u32_e64 s[14:15], 8, v8
	s_and_saveexec_b64 s[20:21], s[14:15]
	s_cbranch_execnz .LBB160_198
	s_branch .LBB160_199
.LBB160_1062:
	ds_read_b64 v[17:18], v15 offset:27520
	ds_read_b64 v[19:20], v16 offset:27048
	s_waitcnt lgkmcnt(0)
	v_mul_f32_e32 v21, v20, v18
	v_mul_f32_e32 v18, v19, v18
	v_fma_f32 v19, v19, v17, -v21
	v_fmac_f32_e32 v18, v20, v17
	v_add_f32_e32 v3, v3, v19
	v_add_f32_e32 v4, v4, v18
	s_or_b64 exec, exec, s[16:17]
	v_cmp_gt_u32_e64 s[12:13], 8, v8
	s_and_saveexec_b64 s[16:17], s[12:13]
	s_cbranch_execz .LBB160_251
.LBB160_1063:
	ds_read_b64 v[17:18], v15 offset:28032
	ds_read_b64 v[15:16], v16 offset:27056
	s_waitcnt lgkmcnt(0)
	v_mul_f32_e32 v19, v16, v18
	v_mul_f32_e32 v18, v15, v18
	v_fma_f32 v15, v15, v17, -v19
	v_fmac_f32_e32 v18, v16, v17
	v_add_f32_e32 v3, v3, v15
	v_add_f32_e32 v4, v4, v18
	s_or_b64 exec, exec, s[16:17]
	v_cmp_gt_u32_e64 s[12:13], 4, v8
	s_and_saveexec_b64 s[16:17], s[12:13]
	s_cbranch_execnz .LBB160_252
	s_branch .LBB160_253
.LBB160_1064:
	ds_read_b64 v[20:21], v18 offset:30464
	ds_read_b64 v[22:23], v19 offset:25048
	s_waitcnt lgkmcnt(0)
	v_mul_f32_e32 v24, v23, v21
	v_mul_f32_e32 v21, v22, v21
	v_fma_f32 v22, v22, v20, -v24
	v_fmac_f32_e32 v21, v23, v20
	v_add_f32_e32 v3, v3, v22
	v_add_f32_e32 v4, v4, v21
	s_or_b64 exec, exec, s[22:23]
	s_and_saveexec_b64 s[16:17], s[10:11]
	s_cbranch_execz .LBB160_309
.LBB160_1065:
	ds_read_b64 v[20:21], v18 offset:30976
	ds_read_b64 v[22:23], v19 offset:25056
	s_waitcnt lgkmcnt(0)
	v_mul_f32_e32 v24, v23, v21
	v_mul_f32_e32 v21, v22, v21
	v_fma_f32 v22, v22, v20, -v24
	v_fmac_f32_e32 v21, v23, v20
	v_add_f32_e32 v3, v3, v22
	v_add_f32_e32 v4, v4, v21
	s_or_b64 exec, exec, s[16:17]
	v_cmp_gt_u32_e64 s[16:17], 48, v8
	s_and_saveexec_b64 s[22:23], s[16:17]
	s_cbranch_execz .LBB160_310
.LBB160_1066:
	ds_read_b64 v[20:21], v18 offset:31488
	ds_read_b64 v[22:23], v19 offset:25064
	s_waitcnt lgkmcnt(0)
	v_mul_f32_e32 v24, v23, v21
	v_mul_f32_e32 v21, v22, v21
	v_fma_f32 v22, v22, v20, -v24
	v_fmac_f32_e32 v21, v23, v20
	v_add_f32_e32 v3, v3, v22
	v_add_f32_e32 v4, v4, v21
	s_or_b64 exec, exec, s[22:23]
	v_cmp_gt_u32_e64 s[16:17], 32, v8
	s_and_saveexec_b64 s[22:23], s[16:17]
	s_cbranch_execz .LBB160_311
.LBB160_1067:
	ds_read_b64 v[20:21], v18 offset:32000
	ds_read_b64 v[18:19], v19 offset:25072
	s_waitcnt lgkmcnt(0)
	v_mul_f32_e32 v22, v19, v21
	v_mul_f32_e32 v21, v18, v21
	v_fma_f32 v18, v18, v20, -v22
	v_fmac_f32_e32 v21, v19, v20
	v_add_f32_e32 v3, v3, v18
	v_add_f32_e32 v4, v4, v21
	s_or_b64 exec, exec, s[22:23]
	v_cmp_gt_u32_e64 s[16:17], 16, v8
	s_and_saveexec_b64 s[22:23], s[16:17]
	s_cbranch_execnz .LBB160_312
	s_branch .LBB160_313
.LBB160_1068:
	ds_read_b64 v[20:21], v18 offset:23360
	ds_read_b64 v[22:23], v19 offset:22888
	s_waitcnt lgkmcnt(0)
	v_mul_f32_e32 v24, v23, v21
	v_mul_f32_e32 v21, v22, v21
	v_fma_f32 v22, v22, v20, -v24
	v_fmac_f32_e32 v21, v23, v20
	v_add_f32_e32 v3, v3, v22
	v_add_f32_e32 v4, v4, v21
	s_or_b64 exec, exec, s[20:21]
	v_cmp_gt_u32_e64 s[14:15], 8, v8
	s_and_saveexec_b64 s[20:21], s[14:15]
	s_cbranch_execz .LBB160_397
.LBB160_1069:
	ds_read_b64 v[20:21], v18 offset:23872
	ds_read_b64 v[18:19], v19 offset:22896
	s_waitcnt lgkmcnt(0)
	v_mul_f32_e32 v22, v19, v21
	v_mul_f32_e32 v21, v18, v21
	v_fma_f32 v18, v18, v20, -v22
	v_fmac_f32_e32 v21, v19, v20
	v_add_f32_e32 v3, v3, v18
	v_add_f32_e32 v4, v4, v21
	s_or_b64 exec, exec, s[20:21]
	v_cmp_gt_u32_e64 s[14:15], 4, v8
	s_and_saveexec_b64 s[20:21], s[14:15]
	s_cbranch_execnz .LBB160_398
	s_branch .LBB160_399
.LBB160_1070:
	ds_read_b64 v[20:21], v18 offset:21248
	ds_read_b64 v[22:23], v19 offset:20808
	s_waitcnt lgkmcnt(0)
	v_mul_f32_e32 v24, v23, v21
	v_mul_f32_e32 v21, v22, v21
	v_fma_f32 v22, v22, v20, -v24
	v_fmac_f32_e32 v21, v23, v20
	v_add_f32_e32 v3, v3, v22
	v_add_f32_e32 v4, v4, v21
	s_or_b64 exec, exec, s[20:21]
	v_cmp_gt_u32_e64 s[14:15], 48, v8
	s_and_saveexec_b64 s[20:21], s[14:15]
	s_cbranch_execz .LBB160_435
.LBB160_1071:
	ds_read_b64 v[20:21], v18 offset:21760
	ds_read_b64 v[22:23], v19 offset:20816
	s_waitcnt lgkmcnt(0)
	v_mul_f32_e32 v24, v23, v21
	v_mul_f32_e32 v21, v22, v21
	v_fma_f32 v22, v22, v20, -v24
	v_fmac_f32_e32 v21, v23, v20
	v_add_f32_e32 v3, v3, v22
	v_add_f32_e32 v4, v4, v21
	s_or_b64 exec, exec, s[20:21]
	v_cmp_gt_u32_e64 s[14:15], 40, v8
	s_and_saveexec_b64 s[20:21], s[14:15]
	s_cbranch_execz .LBB160_436
.LBB160_1072:
	ds_read_b64 v[20:21], v18 offset:22272
	ds_read_b64 v[22:23], v19 offset:20824
	s_waitcnt lgkmcnt(0)
	v_mul_f32_e32 v24, v23, v21
	v_mul_f32_e32 v21, v22, v21
	v_fma_f32 v22, v22, v20, -v24
	v_fmac_f32_e32 v21, v23, v20
	v_add_f32_e32 v3, v3, v22
	v_add_f32_e32 v4, v4, v21
	s_or_b64 exec, exec, s[20:21]
	v_cmp_gt_u32_e64 s[14:15], 32, v8
	s_and_saveexec_b64 s[20:21], s[14:15]
	s_cbranch_execz .LBB160_437
.LBB160_1073:
	ds_read_b64 v[20:21], v18 offset:22784
	ds_read_b64 v[22:23], v19 offset:20832
	s_waitcnt lgkmcnt(0)
	v_mul_f32_e32 v24, v23, v21
	v_mul_f32_e32 v21, v22, v21
	v_fma_f32 v22, v22, v20, -v24
	v_fmac_f32_e32 v21, v23, v20
	v_add_f32_e32 v3, v3, v22
	v_add_f32_e32 v4, v4, v21
	s_or_b64 exec, exec, s[20:21]
	v_cmp_gt_u32_e64 s[14:15], 24, v8
	s_and_saveexec_b64 s[20:21], s[14:15]
	s_cbranch_execz .LBB160_438
.LBB160_1074:
	ds_read_b64 v[20:21], v18 offset:23296
	ds_read_b64 v[22:23], v19 offset:20840
	s_waitcnt lgkmcnt(0)
	v_mul_f32_e32 v24, v23, v21
	v_mul_f32_e32 v21, v22, v21
	v_fma_f32 v22, v22, v20, -v24
	v_fmac_f32_e32 v21, v23, v20
	v_add_f32_e32 v3, v3, v22
	v_add_f32_e32 v4, v4, v21
	s_or_b64 exec, exec, s[20:21]
	s_and_saveexec_b64 s[14:15], s[18:19]
	s_cbranch_execz .LBB160_439
.LBB160_1075:
	ds_read_b64 v[20:21], v18 offset:23808
	ds_read_b64 v[18:19], v19 offset:20848
	s_waitcnt lgkmcnt(0)
	v_mul_f32_e32 v22, v19, v21
	v_mul_f32_e32 v21, v18, v21
	v_fma_f32 v18, v18, v20, -v22
	v_fmac_f32_e32 v21, v19, v20
	v_add_f32_e32 v3, v3, v18
	v_add_f32_e32 v4, v4, v21
	s_or_b64 exec, exec, s[14:15]
	v_cmp_gt_u32_e64 s[14:15], 8, v8
	s_and_saveexec_b64 s[20:21], s[14:15]
	s_cbranch_execnz .LBB160_440
	s_branch .LBB160_441
.LBB160_1076:
	ds_read_b64 v[20:21], v18 offset:19200
	ds_read_b64 v[22:23], v19 offset:18728
	s_waitcnt lgkmcnt(0)
	v_mul_f32_e32 v24, v23, v21
	v_mul_f32_e32 v21, v22, v21
	v_fma_f32 v22, v22, v20, -v24
	v_fmac_f32_e32 v21, v23, v20
	v_add_f32_e32 v3, v3, v22
	v_add_f32_e32 v4, v4, v21
	s_or_b64 exec, exec, s[20:21]
	v_cmp_gt_u32_e64 s[14:15], 8, v8
	s_and_saveexec_b64 s[20:21], s[14:15]
	s_cbranch_execz .LBB160_493
.LBB160_1077:
	ds_read_b64 v[20:21], v18 offset:19712
	ds_read_b64 v[18:19], v19 offset:18736
	s_waitcnt lgkmcnt(0)
	v_mul_f32_e32 v22, v19, v21
	v_mul_f32_e32 v21, v18, v21
	v_fma_f32 v18, v18, v20, -v22
	v_fmac_f32_e32 v21, v19, v20
	v_add_f32_e32 v3, v3, v18
	v_add_f32_e32 v4, v4, v21
	s_or_b64 exec, exec, s[20:21]
	v_cmp_gt_u32_e64 s[14:15], 4, v8
	s_and_saveexec_b64 s[20:21], s[14:15]
	s_cbranch_execnz .LBB160_494
	s_branch .LBB160_495
.LBB160_1078:
	ds_read_b64 v[23:24], v21 offset:31232
	ds_read_b64 v[25:26], v22 offset:16872
	s_waitcnt lgkmcnt(0)
	v_mul_f32_e32 v27, v26, v24
	v_mul_f32_e32 v24, v25, v24
	v_fma_f32 v25, v25, v23, -v27
	v_fmac_f32_e32 v24, v26, v23
	v_add_f32_e32 v3, v3, v25
	v_add_f32_e32 v4, v4, v24
	s_or_b64 exec, exec, s[88:89]
	s_and_saveexec_b64 s[20:21], s[10:11]
	s_cbranch_execz .LBB160_587
.LBB160_1079:
	ds_read_b64 v[23:24], v21 offset:31744
	ds_read_b64 v[25:26], v22 offset:16880
	s_waitcnt lgkmcnt(0)
	v_mul_f32_e32 v27, v26, v24
	v_mul_f32_e32 v24, v25, v24
	v_fma_f32 v25, v25, v23, -v27
	v_fmac_f32_e32 v24, v26, v23
	v_add_f32_e32 v3, v3, v25
	v_add_f32_e32 v4, v4, v24
	s_or_b64 exec, exec, s[20:21]
	v_cmp_gt_u32_e64 s[20:21], 32, v8
	s_and_saveexec_b64 s[88:89], s[20:21]
	s_cbranch_execnz .LBB160_588
	s_branch .LBB160_589
.LBB160_1080:
	ds_read_b64 v[20:21], v18 offset:15040
	ds_read_b64 v[22:23], v19 offset:14568
	s_waitcnt lgkmcnt(0)
	v_mul_f32_e32 v24, v23, v21
	v_mul_f32_e32 v21, v22, v21
	v_fma_f32 v22, v22, v20, -v24
	v_fmac_f32_e32 v21, v23, v20
	v_add_f32_e32 v3, v3, v22
	v_add_f32_e32 v4, v4, v21
	s_or_b64 exec, exec, s[20:21]
	v_cmp_gt_u32_e64 s[14:15], 8, v8
	s_and_saveexec_b64 s[20:21], s[14:15]
	s_cbranch_execz .LBB160_621
.LBB160_1081:
	ds_read_b64 v[20:21], v18 offset:15552
	ds_read_b64 v[18:19], v19 offset:14576
	s_waitcnt lgkmcnt(0)
	v_mul_f32_e32 v22, v19, v21
	v_mul_f32_e32 v21, v18, v21
	v_fma_f32 v18, v18, v20, -v22
	v_fmac_f32_e32 v21, v19, v20
	v_add_f32_e32 v3, v3, v18
	v_add_f32_e32 v4, v4, v21
	s_or_b64 exec, exec, s[20:21]
	v_cmp_gt_u32_e64 s[14:15], 4, v8
	s_and_saveexec_b64 s[20:21], s[14:15]
	s_cbranch_execnz .LBB160_622
	s_branch .LBB160_623
.LBB160_1082:
	ds_read_b64 v[20:21], v18 offset:12928
	ds_read_b64 v[22:23], v19 offset:12488
	s_waitcnt lgkmcnt(0)
	v_mul_f32_e32 v24, v23, v21
	v_mul_f32_e32 v21, v22, v21
	v_fma_f32 v22, v22, v20, -v24
	v_fmac_f32_e32 v21, v23, v20
	v_add_f32_e32 v3, v3, v22
	v_add_f32_e32 v4, v4, v21
	s_or_b64 exec, exec, s[20:21]
	v_cmp_gt_u32_e64 s[14:15], 48, v8
	s_and_saveexec_b64 s[20:21], s[14:15]
	s_cbranch_execz .LBB160_659
.LBB160_1083:
	ds_read_b64 v[20:21], v18 offset:13440
	ds_read_b64 v[22:23], v19 offset:12496
	s_waitcnt lgkmcnt(0)
	v_mul_f32_e32 v24, v23, v21
	v_mul_f32_e32 v21, v22, v21
	v_fma_f32 v22, v22, v20, -v24
	v_fmac_f32_e32 v21, v23, v20
	v_add_f32_e32 v3, v3, v22
	v_add_f32_e32 v4, v4, v21
	s_or_b64 exec, exec, s[20:21]
	v_cmp_gt_u32_e64 s[14:15], 40, v8
	s_and_saveexec_b64 s[20:21], s[14:15]
	s_cbranch_execz .LBB160_660
.LBB160_1084:
	ds_read_b64 v[20:21], v18 offset:13952
	ds_read_b64 v[22:23], v19 offset:12504
	s_waitcnt lgkmcnt(0)
	v_mul_f32_e32 v24, v23, v21
	v_mul_f32_e32 v21, v22, v21
	v_fma_f32 v22, v22, v20, -v24
	v_fmac_f32_e32 v21, v23, v20
	v_add_f32_e32 v3, v3, v22
	v_add_f32_e32 v4, v4, v21
	s_or_b64 exec, exec, s[20:21]
	v_cmp_gt_u32_e64 s[14:15], 32, v8
	s_and_saveexec_b64 s[20:21], s[14:15]
	s_cbranch_execz .LBB160_661
.LBB160_1085:
	ds_read_b64 v[20:21], v18 offset:14464
	ds_read_b64 v[22:23], v19 offset:12512
	s_waitcnt lgkmcnt(0)
	v_mul_f32_e32 v24, v23, v21
	v_mul_f32_e32 v21, v22, v21
	v_fma_f32 v22, v22, v20, -v24
	v_fmac_f32_e32 v21, v23, v20
	v_add_f32_e32 v3, v3, v22
	v_add_f32_e32 v4, v4, v21
	s_or_b64 exec, exec, s[20:21]
	v_cmp_gt_u32_e64 s[14:15], 24, v8
	s_and_saveexec_b64 s[20:21], s[14:15]
	s_cbranch_execz .LBB160_662
.LBB160_1086:
	ds_read_b64 v[20:21], v18 offset:14976
	ds_read_b64 v[22:23], v19 offset:12520
	s_waitcnt lgkmcnt(0)
	v_mul_f32_e32 v24, v23, v21
	v_mul_f32_e32 v21, v22, v21
	v_fma_f32 v22, v22, v20, -v24
	v_fmac_f32_e32 v21, v23, v20
	v_add_f32_e32 v3, v3, v22
	v_add_f32_e32 v4, v4, v21
	s_or_b64 exec, exec, s[20:21]
	s_and_saveexec_b64 s[14:15], s[18:19]
	s_cbranch_execz .LBB160_663
.LBB160_1087:
	ds_read_b64 v[20:21], v18 offset:15488
	ds_read_b64 v[18:19], v19 offset:12528
	s_waitcnt lgkmcnt(0)
	v_mul_f32_e32 v22, v19, v21
	v_mul_f32_e32 v21, v18, v21
	v_fma_f32 v18, v18, v20, -v22
	v_fmac_f32_e32 v21, v19, v20
	v_add_f32_e32 v3, v3, v18
	v_add_f32_e32 v4, v4, v21
	s_or_b64 exec, exec, s[14:15]
	v_cmp_gt_u32_e64 s[14:15], 8, v8
	s_and_saveexec_b64 s[20:21], s[14:15]
	s_cbranch_execnz .LBB160_664
	s_branch .LBB160_665
.LBB160_1088:
	ds_read_b64 v[20:21], v18 offset:10880
	ds_read_b64 v[22:23], v19 offset:10408
	s_waitcnt lgkmcnt(0)
	v_mul_f32_e32 v24, v23, v21
	v_mul_f32_e32 v21, v22, v21
	v_fma_f32 v22, v22, v20, -v24
	v_fmac_f32_e32 v21, v23, v20
	v_add_f32_e32 v3, v3, v22
	v_add_f32_e32 v4, v4, v21
	s_or_b64 exec, exec, s[20:21]
	v_cmp_gt_u32_e64 s[14:15], 8, v8
	s_and_saveexec_b64 s[20:21], s[14:15]
	s_cbranch_execz .LBB160_717
.LBB160_1089:
	ds_read_b64 v[20:21], v18 offset:11392
	ds_read_b64 v[18:19], v19 offset:10416
	s_waitcnt lgkmcnt(0)
	v_mul_f32_e32 v22, v19, v21
	v_mul_f32_e32 v21, v18, v21
	v_fma_f32 v18, v18, v20, -v22
	v_fmac_f32_e32 v21, v19, v20
	v_add_f32_e32 v3, v3, v18
	v_add_f32_e32 v4, v4, v21
	s_or_b64 exec, exec, s[20:21]
	v_cmp_gt_u32_e64 s[14:15], 4, v8
	s_and_saveexec_b64 s[20:21], s[14:15]
	s_cbranch_execnz .LBB160_718
	s_branch .LBB160_719
.LBB160_1090:
	ds_read_b64 v[20:21], v18 offset:13824
	ds_read_b64 v[22:23], v19 offset:8408
	s_waitcnt lgkmcnt(0)
	v_mul_f32_e32 v24, v23, v21
	v_mul_f32_e32 v21, v22, v21
	v_fma_f32 v22, v22, v20, -v24
	v_fmac_f32_e32 v21, v23, v20
	v_add_f32_e32 v3, v3, v22
	v_add_f32_e32 v4, v4, v21
	s_or_b64 exec, exec, s[20:21]
	s_and_saveexec_b64 s[14:15], s[10:11]
	s_cbranch_execz .LBB160_775
.LBB160_1091:
	ds_read_b64 v[20:21], v18 offset:14336
	ds_read_b64 v[22:23], v19 offset:8416
	s_waitcnt lgkmcnt(0)
	v_mul_f32_e32 v24, v23, v21
	v_mul_f32_e32 v21, v22, v21
	v_fma_f32 v22, v22, v20, -v24
	v_fmac_f32_e32 v21, v23, v20
	v_add_f32_e32 v3, v3, v22
	v_add_f32_e32 v4, v4, v21
	s_or_b64 exec, exec, s[14:15]
	v_cmp_gt_u32_e64 s[14:15], 48, v8
	s_and_saveexec_b64 s[20:21], s[14:15]
	s_cbranch_execz .LBB160_776
.LBB160_1092:
	ds_read_b64 v[20:21], v18 offset:14848
	ds_read_b64 v[22:23], v19 offset:8424
	s_waitcnt lgkmcnt(0)
	v_mul_f32_e32 v24, v23, v21
	v_mul_f32_e32 v21, v22, v21
	v_fma_f32 v22, v22, v20, -v24
	v_fmac_f32_e32 v21, v23, v20
	v_add_f32_e32 v3, v3, v22
	v_add_f32_e32 v4, v4, v21
	s_or_b64 exec, exec, s[20:21]
	v_cmp_gt_u32_e64 s[14:15], 32, v8
	s_and_saveexec_b64 s[20:21], s[14:15]
	s_cbranch_execz .LBB160_777
.LBB160_1093:
	ds_read_b64 v[20:21], v18 offset:15360
	ds_read_b64 v[18:19], v19 offset:8432
	s_waitcnt lgkmcnt(0)
	v_mul_f32_e32 v22, v19, v21
	v_mul_f32_e32 v21, v18, v21
	v_fma_f32 v18, v18, v20, -v22
	v_fmac_f32_e32 v21, v19, v20
	v_add_f32_e32 v3, v3, v18
	v_add_f32_e32 v4, v4, v21
	s_or_b64 exec, exec, s[20:21]
	v_cmp_gt_u32_e64 s[14:15], 16, v8
	s_and_saveexec_b64 s[20:21], s[14:15]
	s_cbranch_execnz .LBB160_778
	s_branch .LBB160_779
.LBB160_1094:
	ds_read_b64 v[17:18], v15 offset:6720
	ds_read_b64 v[19:20], v16 offset:6248
	s_waitcnt lgkmcnt(0)
	v_mul_f32_e32 v21, v20, v18
	v_mul_f32_e32 v18, v19, v18
	v_fma_f32 v19, v19, v17, -v21
	v_fmac_f32_e32 v18, v20, v17
	v_add_f32_e32 v3, v3, v19
	v_add_f32_e32 v4, v4, v18
	s_or_b64 exec, exec, s[16:17]
	v_cmp_gt_u32_e64 s[12:13], 8, v8
	s_and_saveexec_b64 s[16:17], s[12:13]
	s_cbranch_execz .LBB160_863
.LBB160_1095:
	ds_read_b64 v[17:18], v15 offset:7232
	ds_read_b64 v[15:16], v16 offset:6256
	s_waitcnt lgkmcnt(0)
	v_mul_f32_e32 v19, v16, v18
	v_mul_f32_e32 v18, v15, v18
	v_fma_f32 v15, v15, v17, -v19
	v_fmac_f32_e32 v18, v16, v17
	v_add_f32_e32 v3, v3, v15
	v_add_f32_e32 v4, v4, v18
	s_or_b64 exec, exec, s[16:17]
	v_cmp_gt_u32_e64 s[12:13], 4, v8
	s_and_saveexec_b64 s[16:17], s[12:13]
	s_cbranch_execnz .LBB160_864
	s_branch .LBB160_865
.LBB160_1096:
	ds_read_b64 v[17:18], v15 offset:4608
	ds_read_b64 v[19:20], v16 offset:4168
	s_waitcnt lgkmcnt(0)
	v_mul_f32_e32 v21, v20, v18
	v_mul_f32_e32 v18, v19, v18
	v_fma_f32 v19, v19, v17, -v21
	v_fmac_f32_e32 v18, v20, v17
	v_add_f32_e32 v3, v3, v19
	v_add_f32_e32 v4, v4, v18
	s_or_b64 exec, exec, s[16:17]
	v_cmp_gt_u32_e64 s[12:13], 48, v8
	s_and_saveexec_b64 s[16:17], s[12:13]
	s_cbranch_execz .LBB160_901
.LBB160_1097:
	ds_read_b64 v[17:18], v15 offset:5120
	ds_read_b64 v[19:20], v16 offset:4176
	s_waitcnt lgkmcnt(0)
	v_mul_f32_e32 v21, v20, v18
	v_mul_f32_e32 v18, v19, v18
	v_fma_f32 v19, v19, v17, -v21
	v_fmac_f32_e32 v18, v20, v17
	v_add_f32_e32 v3, v3, v19
	v_add_f32_e32 v4, v4, v18
	s_or_b64 exec, exec, s[16:17]
	v_cmp_gt_u32_e64 s[12:13], 40, v8
	s_and_saveexec_b64 s[16:17], s[12:13]
	s_cbranch_execz .LBB160_902
.LBB160_1098:
	ds_read_b64 v[17:18], v15 offset:5632
	ds_read_b64 v[19:20], v16 offset:4184
	s_waitcnt lgkmcnt(0)
	v_mul_f32_e32 v21, v20, v18
	v_mul_f32_e32 v18, v19, v18
	v_fma_f32 v19, v19, v17, -v21
	v_fmac_f32_e32 v18, v20, v17
	v_add_f32_e32 v3, v3, v19
	v_add_f32_e32 v4, v4, v18
	s_or_b64 exec, exec, s[16:17]
	v_cmp_gt_u32_e64 s[12:13], 32, v8
	s_and_saveexec_b64 s[16:17], s[12:13]
	s_cbranch_execz .LBB160_903
.LBB160_1099:
	ds_read_b64 v[17:18], v15 offset:6144
	ds_read_b64 v[19:20], v16 offset:4192
	s_waitcnt lgkmcnt(0)
	v_mul_f32_e32 v21, v20, v18
	v_mul_f32_e32 v18, v19, v18
	v_fma_f32 v19, v19, v17, -v21
	v_fmac_f32_e32 v18, v20, v17
	v_add_f32_e32 v3, v3, v19
	v_add_f32_e32 v4, v4, v18
	s_or_b64 exec, exec, s[16:17]
	v_cmp_gt_u32_e64 s[12:13], 24, v8
	s_and_saveexec_b64 s[16:17], s[12:13]
	s_cbranch_execz .LBB160_904
.LBB160_1100:
	ds_read_b64 v[17:18], v15 offset:6656
	ds_read_b64 v[19:20], v16 offset:4200
	s_waitcnt lgkmcnt(0)
	v_mul_f32_e32 v21, v20, v18
	v_mul_f32_e32 v18, v19, v18
	v_fma_f32 v19, v19, v17, -v21
	v_fmac_f32_e32 v18, v20, v17
	v_add_f32_e32 v3, v3, v19
	v_add_f32_e32 v4, v4, v18
	s_or_b64 exec, exec, s[16:17]
	s_and_saveexec_b64 s[12:13], s[18:19]
	s_cbranch_execz .LBB160_905
.LBB160_1101:
	ds_read_b64 v[17:18], v15 offset:7168
	ds_read_b64 v[15:16], v16 offset:4208
	s_waitcnt lgkmcnt(0)
	v_mul_f32_e32 v19, v16, v18
	v_mul_f32_e32 v18, v15, v18
	v_fma_f32 v15, v15, v17, -v19
	v_fmac_f32_e32 v18, v16, v17
	v_add_f32_e32 v3, v3, v15
	v_add_f32_e32 v4, v4, v18
	s_or_b64 exec, exec, s[12:13]
	v_cmp_gt_u32_e64 s[12:13], 8, v8
	s_and_saveexec_b64 s[16:17], s[12:13]
	s_cbranch_execnz .LBB160_906
	s_branch .LBB160_907
.LBB160_1102:
	ds_read_b64 v[14:15], v12 offset:2560
	ds_read_b64 v[16:17], v13 offset:2088
	s_waitcnt lgkmcnt(0)
	v_mul_f32_e32 v18, v17, v15
	v_mul_f32_e32 v15, v16, v15
	v_fma_f32 v16, v16, v14, -v18
	v_fmac_f32_e32 v15, v17, v14
	v_add_f32_e32 v3, v3, v16
	v_add_f32_e32 v4, v4, v15
	s_or_b64 exec, exec, s[14:15]
	v_cmp_gt_u32_e64 s[10:11], 8, v8
	s_and_saveexec_b64 s[14:15], s[10:11]
	s_cbranch_execz .LBB160_959
.LBB160_1103:
	ds_read_b64 v[14:15], v12 offset:3072
	ds_read_b64 v[12:13], v13 offset:2096
	s_waitcnt lgkmcnt(0)
	v_mul_f32_e32 v16, v13, v15
	v_mul_f32_e32 v15, v12, v15
	v_fma_f32 v12, v12, v14, -v16
	v_fmac_f32_e32 v15, v13, v14
	v_add_f32_e32 v3, v3, v12
	v_add_f32_e32 v4, v4, v15
	s_or_b64 exec, exec, s[14:15]
	v_cmp_gt_u32_e64 s[10:11], 4, v8
	s_and_saveexec_b64 s[14:15], s[10:11]
	s_cbranch_execnz .LBB160_960
	s_branch .LBB160_961
	.section	.rodata,"a",@progbits
	.p2align	6, 0x0
	.amdhsa_kernel _ZL19rocblas_trsv_deviceILi64ELi16ELb0ELb0ELb0ELb0E19rocblas_complex_numIfES1_PKPKS1_PKPS1_EviT7_lllT6_T8_lllPii
		.amdhsa_group_segment_fixed_size 41480
		.amdhsa_private_segment_fixed_size 48
		.amdhsa_kernarg_size 352
		.amdhsa_user_sgpr_count 8
		.amdhsa_user_sgpr_private_segment_buffer 1
		.amdhsa_user_sgpr_dispatch_ptr 0
		.amdhsa_user_sgpr_queue_ptr 0
		.amdhsa_user_sgpr_kernarg_segment_ptr 1
		.amdhsa_user_sgpr_dispatch_id 0
		.amdhsa_user_sgpr_flat_scratch_init 1
		.amdhsa_user_sgpr_private_segment_size 0
		.amdhsa_uses_dynamic_stack 0
		.amdhsa_system_sgpr_private_segment_wavefront_offset 1
		.amdhsa_system_sgpr_workgroup_id_x 1
		.amdhsa_system_sgpr_workgroup_id_y 0
		.amdhsa_system_sgpr_workgroup_id_z 1
		.amdhsa_system_sgpr_workgroup_info 0
		.amdhsa_system_vgpr_workitem_id 1
		.amdhsa_next_free_vgpr 49
		.amdhsa_next_free_sgpr 100
		.amdhsa_reserve_vcc 1
		.amdhsa_reserve_flat_scratch 1
		.amdhsa_float_round_mode_32 0
		.amdhsa_float_round_mode_16_64 0
		.amdhsa_float_denorm_mode_32 3
		.amdhsa_float_denorm_mode_16_64 3
		.amdhsa_dx10_clamp 1
		.amdhsa_ieee_mode 1
		.amdhsa_fp16_overflow 0
		.amdhsa_exception_fp_ieee_invalid_op 0
		.amdhsa_exception_fp_denorm_src 0
		.amdhsa_exception_fp_ieee_div_zero 0
		.amdhsa_exception_fp_ieee_overflow 0
		.amdhsa_exception_fp_ieee_underflow 0
		.amdhsa_exception_fp_ieee_inexact 0
		.amdhsa_exception_int_div_zero 0
	.end_amdhsa_kernel
	.section	.text._ZL19rocblas_trsv_deviceILi64ELi16ELb0ELb0ELb0ELb0E19rocblas_complex_numIfES1_PKPKS1_PKPS1_EviT7_lllT6_T8_lllPii,"axG",@progbits,_ZL19rocblas_trsv_deviceILi64ELi16ELb0ELb0ELb0ELb0E19rocblas_complex_numIfES1_PKPKS1_PKPS1_EviT7_lllT6_T8_lllPii,comdat
.Lfunc_end160:
	.size	_ZL19rocblas_trsv_deviceILi64ELi16ELb0ELb0ELb0ELb0E19rocblas_complex_numIfES1_PKPKS1_PKPS1_EviT7_lllT6_T8_lllPii, .Lfunc_end160-_ZL19rocblas_trsv_deviceILi64ELi16ELb0ELb0ELb0ELb0E19rocblas_complex_numIfES1_PKPKS1_PKPS1_EviT7_lllT6_T8_lllPii
                                        ; -- End function
	.set _ZL19rocblas_trsv_deviceILi64ELi16ELb0ELb0ELb0ELb0E19rocblas_complex_numIfES1_PKPKS1_PKPS1_EviT7_lllT6_T8_lllPii.num_vgpr, 31
	.set _ZL19rocblas_trsv_deviceILi64ELi16ELb0ELb0ELb0ELb0E19rocblas_complex_numIfES1_PKPKS1_PKPS1_EviT7_lllT6_T8_lllPii.num_agpr, 0
	.set _ZL19rocblas_trsv_deviceILi64ELi16ELb0ELb0ELb0ELb0E19rocblas_complex_numIfES1_PKPKS1_PKPS1_EviT7_lllT6_T8_lllPii.numbered_sgpr, 100
	.set _ZL19rocblas_trsv_deviceILi64ELi16ELb0ELb0ELb0ELb0E19rocblas_complex_numIfES1_PKPKS1_PKPS1_EviT7_lllT6_T8_lllPii.num_named_barrier, 0
	.set _ZL19rocblas_trsv_deviceILi64ELi16ELb0ELb0ELb0ELb0E19rocblas_complex_numIfES1_PKPKS1_PKPS1_EviT7_lllT6_T8_lllPii.private_seg_size, 48
	.set _ZL19rocblas_trsv_deviceILi64ELi16ELb0ELb0ELb0ELb0E19rocblas_complex_numIfES1_PKPKS1_PKPS1_EviT7_lllT6_T8_lllPii.uses_vcc, 1
	.set _ZL19rocblas_trsv_deviceILi64ELi16ELb0ELb0ELb0ELb0E19rocblas_complex_numIfES1_PKPKS1_PKPS1_EviT7_lllT6_T8_lllPii.uses_flat_scratch, 1
	.set _ZL19rocblas_trsv_deviceILi64ELi16ELb0ELb0ELb0ELb0E19rocblas_complex_numIfES1_PKPKS1_PKPS1_EviT7_lllT6_T8_lllPii.has_dyn_sized_stack, 0
	.set _ZL19rocblas_trsv_deviceILi64ELi16ELb0ELb0ELb0ELb0E19rocblas_complex_numIfES1_PKPKS1_PKPS1_EviT7_lllT6_T8_lllPii.has_recursion, 0
	.set _ZL19rocblas_trsv_deviceILi64ELi16ELb0ELb0ELb0ELb0E19rocblas_complex_numIfES1_PKPKS1_PKPS1_EviT7_lllT6_T8_lllPii.has_indirect_call, 0
	.section	.AMDGPU.csdata,"",@progbits
; Kernel info:
; codeLenInByte = 45564
; TotalNumSgprs: 106
; NumVgprs: 31
; ScratchSize: 48
; MemoryBound: 1
; FloatMode: 240
; IeeeMode: 1
; LDSByteSize: 41480 bytes/workgroup (compile time only)
; SGPRBlocks: 13
; VGPRBlocks: 12
; NumSGPRsForWavesPerEU: 106
; NumVGPRsForWavesPerEU: 49
; Occupancy: 4
; WaveLimiterHint : 1
; COMPUTE_PGM_RSRC2:SCRATCH_EN: 1
; COMPUTE_PGM_RSRC2:USER_SGPR: 8
; COMPUTE_PGM_RSRC2:TRAP_HANDLER: 0
; COMPUTE_PGM_RSRC2:TGID_X_EN: 1
; COMPUTE_PGM_RSRC2:TGID_Y_EN: 0
; COMPUTE_PGM_RSRC2:TGID_Z_EN: 1
; COMPUTE_PGM_RSRC2:TIDIG_COMP_CNT: 1
	.section	.text._ZL19rocblas_trsv_deviceILi64ELi16ELb0ELb1ELb0ELb0E19rocblas_complex_numIfES1_PKPKS1_PKPS1_EviT7_lllT6_T8_lllPii,"axG",@progbits,_ZL19rocblas_trsv_deviceILi64ELi16ELb0ELb1ELb0ELb0E19rocblas_complex_numIfES1_PKPKS1_PKPS1_EviT7_lllT6_T8_lllPii,comdat
	.globl	_ZL19rocblas_trsv_deviceILi64ELi16ELb0ELb1ELb0ELb0E19rocblas_complex_numIfES1_PKPKS1_PKPS1_EviT7_lllT6_T8_lllPii ; -- Begin function _ZL19rocblas_trsv_deviceILi64ELi16ELb0ELb1ELb0ELb0E19rocblas_complex_numIfES1_PKPKS1_PKPS1_EviT7_lllT6_T8_lllPii
	.p2align	8
	.type	_ZL19rocblas_trsv_deviceILi64ELi16ELb0ELb1ELb0ELb0E19rocblas_complex_numIfES1_PKPKS1_PKPS1_EviT7_lllT6_T8_lllPii,@function
_ZL19rocblas_trsv_deviceILi64ELi16ELb0ELb1ELb0ELb0E19rocblas_complex_numIfES1_PKPKS1_PKPS1_EviT7_lllT6_T8_lllPii: ; @_ZL19rocblas_trsv_deviceILi64ELi16ELb0ELb1ELb0ELb0E19rocblas_complex_numIfES1_PKPKS1_PKPS1_EviT7_lllT6_T8_lllPii
; %bb.0:
	s_add_u32 flat_scratch_lo, s6, s10
	s_mov_b32 s28, s9
	s_load_dwordx4 s[12:15], s[4:5], 0x8
	s_load_dword s9, s[4:5], 0x0
	s_addc_u32 flat_scratch_hi, s7, 0
	s_add_u32 s0, s0, s10
	s_mov_b32 s29, 0
	s_addc_u32 s1, s1, 0
	s_lshl_b64 s[6:7], s[28:29], 3
	s_waitcnt lgkmcnt(0)
	s_add_u32 s10, s12, s6
	s_addc_u32 s11, s13, s7
	s_load_dwordx2 s[12:13], s[10:11], 0x0
	s_load_dwordx2 s[36:37], s[4:5], 0x18
	;; [unrolled: 1-line block ×3, first 2 shown]
	s_load_dwordx4 s[16:19], s[4:5], 0x30
	s_load_dwordx2 s[30:31], s[4:5], 0x40
	s_lshl_b64 s[10:11], s[14:15], 3
	s_waitcnt lgkmcnt(0)
	s_add_u32 s97, s12, s10
	s_addc_u32 s98, s13, s11
	s_add_u32 s6, s16, s6
	s_addc_u32 s7, s17, s7
	s_load_dwordx2 s[26:27], s[6:7], 0x0
	s_load_dword s99, s[4:5], 0x6c
	v_mov_b32_e32 v2, v1
	s_cmp_eq_u32 s8, 0
	s_mov_b32 s33, s29
	s_cbranch_scc1 .LBB161_18
; %bb.1:
	s_lshl_b32 s33, s8, 6
	v_add_u32_e32 v1, s33, v0
	v_ashrrev_i32_e32 v3, 31, v1
	v_mul_lo_u32 v7, s36, v3
	v_mul_lo_u32 v8, s37, v1
	v_mad_u64_u32 v[3:4], s[6:7], s36, v1, 0
	v_add_u32_e32 v5, s33, v2
	v_subrev_u32_e32 v5, 64, v5
	v_add3_u32 v4, v4, v7, v8
	v_lshlrev_b64 v[3:4], 3, v[3:4]
	v_ashrrev_i32_e32 v6, 31, v5
	v_mov_b32_e32 v7, s98
	v_add_co_u32_e64 v8, s[6:7], s97, v3
	v_addc_co_u32_e64 v7, s[6:7], v7, v4, s[6:7]
	v_lshlrev_b64 v[3:4], 3, v[5:6]
	v_cmp_gt_i32_e32 vcc, s9, v1
	v_add_co_u32_e64 v3, s[6:7], v8, v3
	v_addc_co_u32_e64 v4, s[6:7], v7, v4, s[6:7]
	v_max_i32_e32 v1, v5, v1
	v_cmp_le_i32_e64 s[6:7], s9, v1
	s_waitcnt lgkmcnt(0)
	s_barrier
	s_and_saveexec_b64 s[10:11], s[6:7]
	s_xor_b64 s[6:7], exec, s[10:11]
	s_cbranch_execz .LBB161_3
; %bb.2:
	v_mov_b32_e32 v1, 0
	buffer_store_dword v1, off, s[0:3], 0
	buffer_store_dword v1, off, s[0:3], 0 offset:4
.LBB161_3:
	s_andn2_saveexec_b64 s[6:7], s[6:7]
	s_cbranch_execz .LBB161_5
; %bb.4:
	flat_load_dwordx2 v[6:7], v[3:4]
	s_waitcnt vmcnt(0) lgkmcnt(0)
	buffer_store_dword v7, off, s[0:3], 0 offset:4
	buffer_store_dword v6, off, s[0:3], 0
.LBB161_5:
	s_or_b64 exec, exec, s[6:7]
	v_add_u32_e32 v1, 16, v5
	v_cmp_le_i32_e64 s[6:7], s9, v1
	s_xor_b64 s[10:11], vcc, -1
	s_or_b64 s[6:7], s[6:7], s[10:11]
	s_waitcnt vmcnt(0)
	s_barrier
	s_and_saveexec_b64 s[12:13], s[6:7]
	s_xor_b64 s[6:7], exec, s[12:13]
	s_cbranch_execz .LBB161_7
; %bb.6:
	v_mov_b32_e32 v1, 0
	buffer_store_dword v1, off, s[0:3], 0 offset:8
	buffer_store_dword v1, off, s[0:3], 0 offset:12
.LBB161_7:
	s_andn2_saveexec_b64 s[6:7], s[6:7]
	s_cbranch_execz .LBB161_9
; %bb.8:
	flat_load_dwordx2 v[6:7], v[3:4] offset:128
	s_waitcnt vmcnt(0) lgkmcnt(0)
	buffer_store_dword v7, off, s[0:3], 0 offset:12
	buffer_store_dword v6, off, s[0:3], 0 offset:8
.LBB161_9:
	s_or_b64 exec, exec, s[6:7]
	v_add_u32_e32 v1, 32, v5
	v_cmp_le_i32_e32 vcc, s9, v1
	s_or_b64 s[6:7], vcc, s[10:11]
	s_waitcnt vmcnt(0)
	s_barrier
	s_and_saveexec_b64 s[12:13], s[6:7]
	s_xor_b64 s[6:7], exec, s[12:13]
	s_cbranch_execz .LBB161_11
; %bb.10:
	v_mov_b32_e32 v1, 0
	buffer_store_dword v1, off, s[0:3], 0 offset:16
	buffer_store_dword v1, off, s[0:3], 0 offset:20
.LBB161_11:
	s_andn2_saveexec_b64 s[6:7], s[6:7]
	s_cbranch_execz .LBB161_13
; %bb.12:
	flat_load_dwordx2 v[6:7], v[3:4] offset:256
	s_waitcnt vmcnt(0) lgkmcnt(0)
	buffer_store_dword v7, off, s[0:3], 0 offset:20
	buffer_store_dword v6, off, s[0:3], 0 offset:16
.LBB161_13:
	s_or_b64 exec, exec, s[6:7]
	v_add_u32_e32 v1, 48, v5
	v_cmp_le_i32_e32 vcc, s9, v1
	s_or_b64 s[6:7], vcc, s[10:11]
	s_waitcnt vmcnt(0)
	s_barrier
	s_and_saveexec_b64 s[10:11], s[6:7]
	s_xor_b64 s[6:7], exec, s[10:11]
	s_cbranch_execz .LBB161_15
; %bb.14:
	v_mov_b32_e32 v1, 0
	buffer_store_dword v1, off, s[0:3], 0 offset:24
	buffer_store_dword v1, off, s[0:3], 0 offset:28
                                        ; implicit-def: $vgpr3_vgpr4
.LBB161_15:
	s_andn2_saveexec_b64 s[6:7], s[6:7]
	s_cbranch_execz .LBB161_17
; %bb.16:
	flat_load_dwordx2 v[3:4], v[3:4] offset:384
	s_waitcnt vmcnt(0) lgkmcnt(0)
	buffer_store_dword v4, off, s[0:3], 0 offset:28
	buffer_store_dword v3, off, s[0:3], 0 offset:24
.LBB161_17:
	s_or_b64 exec, exec, s[6:7]
.LBB161_18:
	s_ashr_i32 s6, s9, 31
	s_lshr_b32 s6, s6, 26
	s_add_i32 s6, s9, s6
	s_andn2_b32 s6, s6, 63
	s_sub_i32 s96, s9, s6
	s_add_i32 s6, s9, -1
	s_ashr_i32 s7, s6, 31
	s_lshr_b32 s7, s7, 26
	s_add_i32 s6, s6, s7
	s_ashr_i32 s6, s6, 6
	s_cmp_eq_u32 s6, s8
	s_cselect_b64 s[6:7], -1, 0
	s_cmp_lg_u32 s96, 0
	s_cselect_b64 s[10:11], -1, 0
	s_and_b64 s[34:35], s[10:11], s[6:7]
	s_cmp_lt_i32 s8, 5
	s_cselect_b64 s[12:13], -1, 0
	s_or_b64 s[6:7], s[12:13], s[34:35]
	s_ashr_i32 s40, s33, 31
	s_add_u32 s14, s36, 1
	v_mov_b32_e32 v1, 0
	v_mov_b32_e32 v3, s33
	v_mad_u64_u32 v[3:4], s[10:11], s14, v3, v[0:1]
	s_addc_u32 s15, s37, 0
	s_mul_i32 s10, s14, s40
	s_mul_i32 s15, s15, s33
	v_lshlrev_b32_e32 v9, 6, v0
	s_add_i32 s10, s10, s15
	s_mov_b64 s[16:17], -1
	v_add_u32_e32 v4, s10, v4
	s_and_b64 vcc, exec, s[34:35]
	v_add_u32_e32 v10, v2, v9
	v_cmp_le_u32_e64 s[10:11], v2, v0
	v_lshl_add_u32 v1, v2, 6, v0
	s_cbranch_vccnz .LBB161_76
; %bb.19:
	v_mad_u64_u32 v[5:6], s[14:15], s36, v2, v[3:4]
	v_cndmask_b32_e64 v11, v1, v10, s[12:13]
	v_mad_u64_u32 v[6:7], s[14:15], s37, v2, v[6:7]
	s_and_saveexec_b64 s[12:13], s[10:11]
	s_xor_b64 s[10:11], exec, s[12:13]
	s_cbranch_execz .LBB161_31
; %bb.20:
	v_cmp_ne_u32_e32 vcc, v0, v2
	s_and_saveexec_b64 s[12:13], vcc
	s_xor_b64 s[12:13], exec, s[12:13]
	s_cbranch_execz .LBB161_24
; %bb.21:
	v_or_b32_e32 v5, v2, v0
	v_cmp_gt_u32_e32 vcc, 64, v5
	s_and_saveexec_b64 s[14:15], vcc
; %bb.22:
	v_mov_b32_e32 v5, 0
	v_lshlrev_b32_e32 v7, 3, v11
	v_mov_b32_e32 v6, v5
	ds_write_b64 v7, v[5:6]
; %bb.23:
	s_or_b64 exec, exec, s[14:15]
                                        ; implicit-def: $vgpr11
                                        ; implicit-def: $vgpr5_vgpr6
.LBB161_24:
	s_andn2_saveexec_b64 s[12:13], s[12:13]
	s_cbranch_execz .LBB161_30
; %bb.25:
	v_lshlrev_b64 v[5:6], 3, v[5:6]
	v_mov_b32_e32 v7, s98
	v_add_co_u32_e32 v5, vcc, s97, v5
	v_addc_co_u32_e32 v6, vcc, v7, v6, vcc
	flat_load_dwordx2 v[5:6], v[5:6]
                                        ; implicit-def: $vgpr7
	s_waitcnt vmcnt(0) lgkmcnt(0)
	v_cmp_ngt_f32_e64 s[14:15], |v5|, |v6|
	s_and_saveexec_b64 s[16:17], s[14:15]
	s_xor_b64 s[14:15], exec, s[16:17]
	s_cbranch_execz .LBB161_27
; %bb.26:
	v_div_scale_f32 v7, s[16:17], v6, v6, v5
	v_div_scale_f32 v8, vcc, v5, v6, v5
	v_rcp_f32_e32 v12, v7
	v_fma_f32 v13, -v7, v12, 1.0
	v_fmac_f32_e32 v12, v13, v12
	v_mul_f32_e32 v13, v8, v12
	v_fma_f32 v14, -v7, v13, v8
	v_fmac_f32_e32 v13, v14, v12
	v_fma_f32 v7, -v7, v13, v8
	v_div_fmas_f32 v7, v7, v12, v13
	v_div_fixup_f32 v7, v7, v6, v5
	v_fmac_f32_e32 v6, v5, v7
	v_div_scale_f32 v5, s[16:17], v6, v6, 1.0
	v_div_scale_f32 v8, vcc, 1.0, v6, 1.0
	v_rcp_f32_e32 v12, v5
	v_fma_f32 v13, -v5, v12, 1.0
	v_fmac_f32_e32 v12, v13, v12
	v_mul_f32_e32 v13, v8, v12
	v_fma_f32 v14, -v5, v13, v8
	v_fmac_f32_e32 v13, v14, v12
	v_fma_f32 v5, -v5, v13, v8
	v_div_fmas_f32 v5, v5, v12, v13
	v_div_fixup_f32 v5, v5, v6, 1.0
	v_mul_f32_e32 v7, v7, v5
	v_xor_b32_e32 v8, 0x80000000, v5
                                        ; implicit-def: $vgpr5_vgpr6
.LBB161_27:
	s_andn2_saveexec_b64 s[14:15], s[14:15]
	s_cbranch_execz .LBB161_29
; %bb.28:
	v_div_scale_f32 v7, s[16:17], v5, v5, v6
	v_div_scale_f32 v8, vcc, v6, v5, v6
	v_rcp_f32_e32 v12, v7
	v_fma_f32 v13, -v7, v12, 1.0
	v_fmac_f32_e32 v12, v13, v12
	v_mul_f32_e32 v13, v8, v12
	v_fma_f32 v14, -v7, v13, v8
	v_fmac_f32_e32 v13, v14, v12
	v_fma_f32 v7, -v7, v13, v8
	v_div_fmas_f32 v7, v7, v12, v13
	v_div_fixup_f32 v8, v7, v5, v6
	v_fmac_f32_e32 v5, v6, v8
	v_div_scale_f32 v6, s[16:17], v5, v5, 1.0
	v_div_scale_f32 v7, vcc, 1.0, v5, 1.0
	v_rcp_f32_e32 v12, v6
	v_fma_f32 v13, -v6, v12, 1.0
	v_fmac_f32_e32 v12, v13, v12
	v_mul_f32_e32 v13, v7, v12
	v_fma_f32 v14, -v6, v13, v7
	v_fmac_f32_e32 v13, v14, v12
	v_fma_f32 v6, -v6, v13, v7
	v_div_fmas_f32 v6, v6, v12, v13
	v_div_fixup_f32 v7, v6, v5, 1.0
	v_mul_f32_e64 v8, v8, -v7
.LBB161_29:
	s_or_b64 exec, exec, s[14:15]
	v_lshlrev_b32_e32 v5, 3, v11
	ds_write_b64 v5, v[7:8]
.LBB161_30:
	s_or_b64 exec, exec, s[12:13]
                                        ; implicit-def: $vgpr5_vgpr6
                                        ; implicit-def: $vgpr11
.LBB161_31:
	s_andn2_saveexec_b64 s[10:11], s[10:11]
	s_cbranch_execz .LBB161_33
; %bb.32:
	v_lshlrev_b64 v[5:6], 3, v[5:6]
	v_mov_b32_e32 v7, s98
	v_add_co_u32_e32 v5, vcc, s97, v5
	v_addc_co_u32_e32 v6, vcc, v7, v6, vcc
	flat_load_dwordx2 v[5:6], v[5:6]
	v_lshlrev_b32_e32 v7, 3, v11
	s_waitcnt vmcnt(0) lgkmcnt(0)
	v_xor_b32_e32 v5, 0x80000000, v5
	v_xor_b32_e32 v6, 0x80000000, v6
	ds_write_b64 v7, v[5:6]
.LBB161_33:
	s_or_b64 exec, exec, s[10:11]
	v_add_u32_e32 v7, 16, v2
	v_mad_u64_u32 v[5:6], s[10:11], s36, v7, v[3:4]
	v_lshl_add_u32 v8, v7, 6, v0
	v_cmp_le_u32_e32 vcc, v7, v0
	v_mad_u64_u32 v[12:13], s[10:11], s37, v7, v[6:7]
	v_add_u32_e32 v6, v7, v9
	v_cndmask_b32_e64 v11, v8, v6, s[6:7]
	v_mov_b32_e32 v6, v12
	s_and_saveexec_b64 s[10:11], vcc
	s_xor_b64 s[10:11], exec, s[10:11]
	s_cbranch_execz .LBB161_45
; %bb.34:
	v_cmp_ne_u32_e32 vcc, v0, v7
	s_and_saveexec_b64 s[12:13], vcc
	s_xor_b64 s[12:13], exec, s[12:13]
	s_cbranch_execz .LBB161_38
; %bb.35:
	v_or_b32_e32 v5, v7, v0
	v_cmp_gt_u32_e32 vcc, 64, v5
	s_and_saveexec_b64 s[14:15], vcc
; %bb.36:
	v_mov_b32_e32 v5, 0
	v_lshlrev_b32_e32 v7, 3, v11
	v_mov_b32_e32 v6, v5
	ds_write_b64 v7, v[5:6]
; %bb.37:
	s_or_b64 exec, exec, s[14:15]
                                        ; implicit-def: $vgpr11
                                        ; implicit-def: $vgpr5_vgpr6
.LBB161_38:
	s_andn2_saveexec_b64 s[12:13], s[12:13]
	s_cbranch_execz .LBB161_44
; %bb.39:
	v_lshlrev_b64 v[5:6], 3, v[5:6]
	v_mov_b32_e32 v7, s98
	v_add_co_u32_e32 v5, vcc, s97, v5
	v_addc_co_u32_e32 v6, vcc, v7, v6, vcc
	flat_load_dwordx2 v[5:6], v[5:6]
                                        ; implicit-def: $vgpr7
	s_waitcnt vmcnt(0) lgkmcnt(0)
	v_cmp_ngt_f32_e64 s[14:15], |v5|, |v6|
	s_and_saveexec_b64 s[16:17], s[14:15]
	s_xor_b64 s[14:15], exec, s[16:17]
	s_cbranch_execz .LBB161_41
; %bb.40:
	v_div_scale_f32 v7, s[16:17], v6, v6, v5
	v_div_scale_f32 v8, vcc, v5, v6, v5
	v_rcp_f32_e32 v12, v7
	v_fma_f32 v13, -v7, v12, 1.0
	v_fmac_f32_e32 v12, v13, v12
	v_mul_f32_e32 v13, v8, v12
	v_fma_f32 v14, -v7, v13, v8
	v_fmac_f32_e32 v13, v14, v12
	v_fma_f32 v7, -v7, v13, v8
	v_div_fmas_f32 v7, v7, v12, v13
	v_div_fixup_f32 v7, v7, v6, v5
	v_fmac_f32_e32 v6, v5, v7
	v_div_scale_f32 v5, s[16:17], v6, v6, 1.0
	v_div_scale_f32 v8, vcc, 1.0, v6, 1.0
	v_rcp_f32_e32 v12, v5
	v_fma_f32 v13, -v5, v12, 1.0
	v_fmac_f32_e32 v12, v13, v12
	v_mul_f32_e32 v13, v8, v12
	v_fma_f32 v14, -v5, v13, v8
	v_fmac_f32_e32 v13, v14, v12
	v_fma_f32 v5, -v5, v13, v8
	v_div_fmas_f32 v5, v5, v12, v13
	v_div_fixup_f32 v5, v5, v6, 1.0
	v_mul_f32_e32 v7, v7, v5
	v_xor_b32_e32 v8, 0x80000000, v5
                                        ; implicit-def: $vgpr5_vgpr6
.LBB161_41:
	s_andn2_saveexec_b64 s[14:15], s[14:15]
	s_cbranch_execz .LBB161_43
; %bb.42:
	v_div_scale_f32 v7, s[16:17], v5, v5, v6
	v_div_scale_f32 v8, vcc, v6, v5, v6
	v_rcp_f32_e32 v12, v7
	v_fma_f32 v13, -v7, v12, 1.0
	v_fmac_f32_e32 v12, v13, v12
	v_mul_f32_e32 v13, v8, v12
	v_fma_f32 v14, -v7, v13, v8
	v_fmac_f32_e32 v13, v14, v12
	v_fma_f32 v7, -v7, v13, v8
	v_div_fmas_f32 v7, v7, v12, v13
	v_div_fixup_f32 v8, v7, v5, v6
	v_fmac_f32_e32 v5, v6, v8
	v_div_scale_f32 v6, s[16:17], v5, v5, 1.0
	v_div_scale_f32 v7, vcc, 1.0, v5, 1.0
	v_rcp_f32_e32 v12, v6
	v_fma_f32 v13, -v6, v12, 1.0
	v_fmac_f32_e32 v12, v13, v12
	v_mul_f32_e32 v13, v7, v12
	v_fma_f32 v14, -v6, v13, v7
	v_fmac_f32_e32 v13, v14, v12
	v_fma_f32 v6, -v6, v13, v7
	v_div_fmas_f32 v6, v6, v12, v13
	v_div_fixup_f32 v7, v6, v5, 1.0
	v_mul_f32_e64 v8, v8, -v7
.LBB161_43:
	s_or_b64 exec, exec, s[14:15]
	v_lshlrev_b32_e32 v5, 3, v11
	ds_write_b64 v5, v[7:8]
.LBB161_44:
	s_or_b64 exec, exec, s[12:13]
                                        ; implicit-def: $vgpr5_vgpr6
                                        ; implicit-def: $vgpr11
.LBB161_45:
	s_andn2_saveexec_b64 s[10:11], s[10:11]
	s_cbranch_execz .LBB161_47
; %bb.46:
	v_lshlrev_b64 v[5:6], 3, v[5:6]
	v_mov_b32_e32 v7, s98
	v_add_co_u32_e32 v5, vcc, s97, v5
	v_addc_co_u32_e32 v6, vcc, v7, v6, vcc
	flat_load_dwordx2 v[5:6], v[5:6]
	v_lshlrev_b32_e32 v7, 3, v11
	s_waitcnt vmcnt(0) lgkmcnt(0)
	v_xor_b32_e32 v5, 0x80000000, v5
	v_xor_b32_e32 v6, 0x80000000, v6
	ds_write_b64 v7, v[5:6]
.LBB161_47:
	s_or_b64 exec, exec, s[10:11]
	v_add_u32_e32 v7, 32, v2
	v_mad_u64_u32 v[5:6], s[10:11], s36, v7, v[3:4]
	v_lshl_add_u32 v8, v7, 6, v0
	v_cmp_le_u32_e32 vcc, v7, v0
	v_mad_u64_u32 v[12:13], s[10:11], s37, v7, v[6:7]
	v_add_u32_e32 v6, v7, v9
	v_cndmask_b32_e64 v11, v8, v6, s[6:7]
	v_mov_b32_e32 v6, v12
	s_and_saveexec_b64 s[10:11], vcc
	s_xor_b64 s[10:11], exec, s[10:11]
	s_cbranch_execz .LBB161_59
; %bb.48:
	v_cmp_ne_u32_e32 vcc, v0, v7
	s_and_saveexec_b64 s[12:13], vcc
	s_xor_b64 s[12:13], exec, s[12:13]
	s_cbranch_execz .LBB161_52
; %bb.49:
	v_or_b32_e32 v5, v7, v0
	v_cmp_gt_u32_e32 vcc, 64, v5
	s_and_saveexec_b64 s[14:15], vcc
; %bb.50:
	v_mov_b32_e32 v5, 0
	v_lshlrev_b32_e32 v7, 3, v11
	v_mov_b32_e32 v6, v5
	ds_write_b64 v7, v[5:6]
; %bb.51:
	s_or_b64 exec, exec, s[14:15]
                                        ; implicit-def: $vgpr11
                                        ; implicit-def: $vgpr5_vgpr6
.LBB161_52:
	s_andn2_saveexec_b64 s[12:13], s[12:13]
	s_cbranch_execz .LBB161_58
; %bb.53:
	v_lshlrev_b64 v[5:6], 3, v[5:6]
	v_mov_b32_e32 v7, s98
	v_add_co_u32_e32 v5, vcc, s97, v5
	v_addc_co_u32_e32 v6, vcc, v7, v6, vcc
	flat_load_dwordx2 v[5:6], v[5:6]
                                        ; implicit-def: $vgpr7
	s_waitcnt vmcnt(0) lgkmcnt(0)
	v_cmp_ngt_f32_e64 s[14:15], |v5|, |v6|
	s_and_saveexec_b64 s[16:17], s[14:15]
	s_xor_b64 s[14:15], exec, s[16:17]
	s_cbranch_execz .LBB161_55
; %bb.54:
	v_div_scale_f32 v7, s[16:17], v6, v6, v5
	v_div_scale_f32 v8, vcc, v5, v6, v5
	v_rcp_f32_e32 v12, v7
	v_fma_f32 v13, -v7, v12, 1.0
	v_fmac_f32_e32 v12, v13, v12
	v_mul_f32_e32 v13, v8, v12
	v_fma_f32 v14, -v7, v13, v8
	v_fmac_f32_e32 v13, v14, v12
	v_fma_f32 v7, -v7, v13, v8
	v_div_fmas_f32 v7, v7, v12, v13
	v_div_fixup_f32 v7, v7, v6, v5
	v_fmac_f32_e32 v6, v5, v7
	v_div_scale_f32 v5, s[16:17], v6, v6, 1.0
	v_div_scale_f32 v8, vcc, 1.0, v6, 1.0
	v_rcp_f32_e32 v12, v5
	v_fma_f32 v13, -v5, v12, 1.0
	v_fmac_f32_e32 v12, v13, v12
	v_mul_f32_e32 v13, v8, v12
	v_fma_f32 v14, -v5, v13, v8
	v_fmac_f32_e32 v13, v14, v12
	v_fma_f32 v5, -v5, v13, v8
	v_div_fmas_f32 v5, v5, v12, v13
	v_div_fixup_f32 v5, v5, v6, 1.0
	v_mul_f32_e32 v7, v7, v5
	v_xor_b32_e32 v8, 0x80000000, v5
                                        ; implicit-def: $vgpr5_vgpr6
.LBB161_55:
	s_andn2_saveexec_b64 s[14:15], s[14:15]
	s_cbranch_execz .LBB161_57
; %bb.56:
	v_div_scale_f32 v7, s[16:17], v5, v5, v6
	v_div_scale_f32 v8, vcc, v6, v5, v6
	v_rcp_f32_e32 v12, v7
	v_fma_f32 v13, -v7, v12, 1.0
	v_fmac_f32_e32 v12, v13, v12
	v_mul_f32_e32 v13, v8, v12
	v_fma_f32 v14, -v7, v13, v8
	v_fmac_f32_e32 v13, v14, v12
	v_fma_f32 v7, -v7, v13, v8
	v_div_fmas_f32 v7, v7, v12, v13
	v_div_fixup_f32 v8, v7, v5, v6
	v_fmac_f32_e32 v5, v6, v8
	v_div_scale_f32 v6, s[16:17], v5, v5, 1.0
	v_div_scale_f32 v7, vcc, 1.0, v5, 1.0
	v_rcp_f32_e32 v12, v6
	v_fma_f32 v13, -v6, v12, 1.0
	v_fmac_f32_e32 v12, v13, v12
	v_mul_f32_e32 v13, v7, v12
	v_fma_f32 v14, -v6, v13, v7
	v_fmac_f32_e32 v13, v14, v12
	v_fma_f32 v6, -v6, v13, v7
	v_div_fmas_f32 v6, v6, v12, v13
	v_div_fixup_f32 v7, v6, v5, 1.0
	v_mul_f32_e64 v8, v8, -v7
.LBB161_57:
	s_or_b64 exec, exec, s[14:15]
	v_lshlrev_b32_e32 v5, 3, v11
	ds_write_b64 v5, v[7:8]
.LBB161_58:
	s_or_b64 exec, exec, s[12:13]
                                        ; implicit-def: $vgpr5_vgpr6
                                        ; implicit-def: $vgpr11
.LBB161_59:
	s_andn2_saveexec_b64 s[10:11], s[10:11]
	s_cbranch_execz .LBB161_61
; %bb.60:
	v_lshlrev_b64 v[5:6], 3, v[5:6]
	v_mov_b32_e32 v7, s98
	v_add_co_u32_e32 v5, vcc, s97, v5
	v_addc_co_u32_e32 v6, vcc, v7, v6, vcc
	flat_load_dwordx2 v[5:6], v[5:6]
	v_lshlrev_b32_e32 v7, 3, v11
	s_waitcnt vmcnt(0) lgkmcnt(0)
	v_xor_b32_e32 v5, 0x80000000, v5
	v_xor_b32_e32 v6, 0x80000000, v6
	ds_write_b64 v7, v[5:6]
.LBB161_61:
	s_or_b64 exec, exec, s[10:11]
	v_add_u32_e32 v7, 48, v2
	v_mad_u64_u32 v[5:6], s[10:11], s36, v7, v[3:4]
	v_lshl_add_u32 v8, v7, 6, v0
	v_cmp_le_u32_e32 vcc, v7, v0
	v_mad_u64_u32 v[12:13], s[10:11], s37, v7, v[6:7]
	v_add_u32_e32 v6, v7, v9
	v_cndmask_b32_e64 v11, v8, v6, s[6:7]
	v_mov_b32_e32 v6, v12
	s_and_saveexec_b64 s[10:11], vcc
	s_xor_b64 s[10:11], exec, s[10:11]
	s_cbranch_execz .LBB161_73
; %bb.62:
	v_cmp_ne_u32_e32 vcc, v0, v7
	s_and_saveexec_b64 s[12:13], vcc
	s_xor_b64 s[12:13], exec, s[12:13]
	s_cbranch_execz .LBB161_66
; %bb.63:
	v_or_b32_e32 v5, v7, v0
	v_cmp_gt_u32_e32 vcc, 64, v5
	s_and_saveexec_b64 s[14:15], vcc
; %bb.64:
	v_mov_b32_e32 v5, 0
	v_lshlrev_b32_e32 v7, 3, v11
	v_mov_b32_e32 v6, v5
	ds_write_b64 v7, v[5:6]
; %bb.65:
	s_or_b64 exec, exec, s[14:15]
                                        ; implicit-def: $vgpr11
                                        ; implicit-def: $vgpr5_vgpr6
.LBB161_66:
	s_andn2_saveexec_b64 s[12:13], s[12:13]
	s_cbranch_execz .LBB161_72
; %bb.67:
	v_lshlrev_b64 v[5:6], 3, v[5:6]
	v_mov_b32_e32 v7, s98
	v_add_co_u32_e32 v5, vcc, s97, v5
	v_addc_co_u32_e32 v6, vcc, v7, v6, vcc
	flat_load_dwordx2 v[5:6], v[5:6]
                                        ; implicit-def: $vgpr7
	s_waitcnt vmcnt(0) lgkmcnt(0)
	v_cmp_ngt_f32_e64 s[14:15], |v5|, |v6|
	s_and_saveexec_b64 s[16:17], s[14:15]
	s_xor_b64 s[14:15], exec, s[16:17]
	s_cbranch_execz .LBB161_69
; %bb.68:
	v_div_scale_f32 v7, s[16:17], v6, v6, v5
	v_div_scale_f32 v8, vcc, v5, v6, v5
	v_rcp_f32_e32 v12, v7
	v_fma_f32 v13, -v7, v12, 1.0
	v_fmac_f32_e32 v12, v13, v12
	v_mul_f32_e32 v13, v8, v12
	v_fma_f32 v14, -v7, v13, v8
	v_fmac_f32_e32 v13, v14, v12
	v_fma_f32 v7, -v7, v13, v8
	v_div_fmas_f32 v7, v7, v12, v13
	v_div_fixup_f32 v7, v7, v6, v5
	v_fmac_f32_e32 v6, v5, v7
	v_div_scale_f32 v5, s[16:17], v6, v6, 1.0
	v_div_scale_f32 v8, vcc, 1.0, v6, 1.0
	v_rcp_f32_e32 v12, v5
	v_fma_f32 v13, -v5, v12, 1.0
	v_fmac_f32_e32 v12, v13, v12
	v_mul_f32_e32 v13, v8, v12
	v_fma_f32 v14, -v5, v13, v8
	v_fmac_f32_e32 v13, v14, v12
	v_fma_f32 v5, -v5, v13, v8
	v_div_fmas_f32 v5, v5, v12, v13
	v_div_fixup_f32 v5, v5, v6, 1.0
	v_mul_f32_e32 v7, v7, v5
	v_xor_b32_e32 v8, 0x80000000, v5
                                        ; implicit-def: $vgpr5_vgpr6
.LBB161_69:
	s_andn2_saveexec_b64 s[14:15], s[14:15]
	s_cbranch_execz .LBB161_71
; %bb.70:
	v_div_scale_f32 v7, s[16:17], v5, v5, v6
	v_div_scale_f32 v8, vcc, v6, v5, v6
	v_rcp_f32_e32 v12, v7
	v_fma_f32 v13, -v7, v12, 1.0
	v_fmac_f32_e32 v12, v13, v12
	v_mul_f32_e32 v13, v8, v12
	v_fma_f32 v14, -v7, v13, v8
	v_fmac_f32_e32 v13, v14, v12
	v_fma_f32 v7, -v7, v13, v8
	v_div_fmas_f32 v7, v7, v12, v13
	v_div_fixup_f32 v8, v7, v5, v6
	v_fmac_f32_e32 v5, v6, v8
	v_div_scale_f32 v6, s[16:17], v5, v5, 1.0
	v_div_scale_f32 v7, vcc, 1.0, v5, 1.0
	v_rcp_f32_e32 v12, v6
	v_fma_f32 v13, -v6, v12, 1.0
	v_fmac_f32_e32 v12, v13, v12
	v_mul_f32_e32 v13, v7, v12
	v_fma_f32 v14, -v6, v13, v7
	v_fmac_f32_e32 v13, v14, v12
	v_fma_f32 v6, -v6, v13, v7
	v_div_fmas_f32 v6, v6, v12, v13
	v_div_fixup_f32 v7, v6, v5, 1.0
	v_mul_f32_e64 v8, v8, -v7
.LBB161_71:
	s_or_b64 exec, exec, s[14:15]
	v_lshlrev_b32_e32 v5, 3, v11
	ds_write_b64 v5, v[7:8]
.LBB161_72:
	s_or_b64 exec, exec, s[12:13]
                                        ; implicit-def: $vgpr5_vgpr6
                                        ; implicit-def: $vgpr11
.LBB161_73:
	s_andn2_saveexec_b64 s[10:11], s[10:11]
	s_cbranch_execz .LBB161_75
; %bb.74:
	v_lshlrev_b64 v[5:6], 3, v[5:6]
	v_mov_b32_e32 v7, s98
	v_add_co_u32_e32 v5, vcc, s97, v5
	v_addc_co_u32_e32 v6, vcc, v7, v6, vcc
	flat_load_dwordx2 v[5:6], v[5:6]
	v_lshlrev_b32_e32 v7, 3, v11
	s_waitcnt vmcnt(0) lgkmcnt(0)
	v_xor_b32_e32 v5, 0x80000000, v5
	v_xor_b32_e32 v6, 0x80000000, v6
	ds_write_b64 v7, v[5:6]
.LBB161_75:
	s_or_b64 exec, exec, s[10:11]
	s_mov_b64 s[16:17], 0
.LBB161_76:
	s_xor_b64 s[14:15], s[6:7], -1
	s_and_b64 vcc, exec, s[16:17]
	s_cbranch_vccz .LBB161_134
; %bb.77:
	v_mad_u64_u32 v[5:6], s[10:11], s36, v2, v[3:4]
	v_cmp_le_u32_e32 vcc, v2, v0
	v_cmp_gt_i32_e64 s[10:11], s96, v0
	v_mad_u64_u32 v[6:7], s[12:13], s37, v2, v[6:7]
	v_max_i32_e32 v7, v2, v0
	v_cmp_le_i32_e64 s[12:13], s96, v7
	s_or_b64 s[12:13], s[12:13], vcc
	s_and_saveexec_b64 s[16:17], s[12:13]
	s_xor_b64 s[12:13], exec, s[16:17]
	s_cbranch_execz .LBB161_89
; %bb.78:
	v_cmp_ne_u32_e32 vcc, v0, v2
	s_xor_b64 s[16:17], s[10:11], -1
	s_or_b64 s[16:17], s[16:17], vcc
	s_and_saveexec_b64 s[18:19], s[16:17]
	s_xor_b64 s[16:17], exec, s[18:19]
	s_cbranch_execz .LBB161_82
; %bb.79:
	v_or_b32_e32 v5, v2, v0
	v_cmp_gt_u32_e32 vcc, 64, v5
	s_and_saveexec_b64 s[18:19], vcc
; %bb.80:
	v_mov_b32_e32 v5, 0
	v_lshlrev_b32_e32 v7, 3, v10
	v_mov_b32_e32 v6, v5
	ds_write_b64 v7, v[5:6]
; %bb.81:
	s_or_b64 exec, exec, s[18:19]
                                        ; implicit-def: $vgpr10
                                        ; implicit-def: $vgpr5_vgpr6
.LBB161_82:
	s_andn2_saveexec_b64 s[16:17], s[16:17]
	s_cbranch_execz .LBB161_88
; %bb.83:
	v_lshlrev_b64 v[5:6], 3, v[5:6]
	v_mov_b32_e32 v7, s98
	v_add_co_u32_e32 v5, vcc, s97, v5
	v_addc_co_u32_e32 v6, vcc, v7, v6, vcc
	flat_load_dwordx2 v[5:6], v[5:6]
                                        ; implicit-def: $vgpr7
	s_waitcnt vmcnt(0) lgkmcnt(0)
	v_cmp_ngt_f32_e64 s[18:19], |v5|, |v6|
	s_and_saveexec_b64 s[20:21], s[18:19]
	s_xor_b64 s[18:19], exec, s[20:21]
	s_cbranch_execz .LBB161_85
; %bb.84:
	v_div_scale_f32 v7, s[20:21], v6, v6, v5
	v_div_scale_f32 v8, vcc, v5, v6, v5
	v_rcp_f32_e32 v11, v7
	v_fma_f32 v12, -v7, v11, 1.0
	v_fmac_f32_e32 v11, v12, v11
	v_mul_f32_e32 v12, v8, v11
	v_fma_f32 v13, -v7, v12, v8
	v_fmac_f32_e32 v12, v13, v11
	v_fma_f32 v7, -v7, v12, v8
	v_div_fmas_f32 v7, v7, v11, v12
	v_div_fixup_f32 v7, v7, v6, v5
	v_fmac_f32_e32 v6, v5, v7
	v_div_scale_f32 v5, s[20:21], v6, v6, 1.0
	v_div_scale_f32 v8, vcc, 1.0, v6, 1.0
	v_rcp_f32_e32 v11, v5
	v_fma_f32 v12, -v5, v11, 1.0
	v_fmac_f32_e32 v11, v12, v11
	v_mul_f32_e32 v12, v8, v11
	v_fma_f32 v13, -v5, v12, v8
	v_fmac_f32_e32 v12, v13, v11
	v_fma_f32 v5, -v5, v12, v8
	v_div_fmas_f32 v5, v5, v11, v12
	v_div_fixup_f32 v5, v5, v6, 1.0
	v_mul_f32_e32 v7, v7, v5
	v_xor_b32_e32 v8, 0x80000000, v5
                                        ; implicit-def: $vgpr5_vgpr6
.LBB161_85:
	s_andn2_saveexec_b64 s[18:19], s[18:19]
	s_cbranch_execz .LBB161_87
; %bb.86:
	v_div_scale_f32 v7, s[20:21], v5, v5, v6
	v_div_scale_f32 v8, vcc, v6, v5, v6
	v_rcp_f32_e32 v11, v7
	v_fma_f32 v12, -v7, v11, 1.0
	v_fmac_f32_e32 v11, v12, v11
	v_mul_f32_e32 v12, v8, v11
	v_fma_f32 v13, -v7, v12, v8
	v_fmac_f32_e32 v12, v13, v11
	v_fma_f32 v7, -v7, v12, v8
	v_div_fmas_f32 v7, v7, v11, v12
	v_div_fixup_f32 v8, v7, v5, v6
	v_fmac_f32_e32 v5, v6, v8
	v_div_scale_f32 v6, s[20:21], v5, v5, 1.0
	v_div_scale_f32 v7, vcc, 1.0, v5, 1.0
	v_rcp_f32_e32 v11, v6
	v_fma_f32 v12, -v6, v11, 1.0
	v_fmac_f32_e32 v11, v12, v11
	v_mul_f32_e32 v12, v7, v11
	v_fma_f32 v13, -v6, v12, v7
	v_fmac_f32_e32 v12, v13, v11
	v_fma_f32 v6, -v6, v12, v7
	v_div_fmas_f32 v6, v6, v11, v12
	v_div_fixup_f32 v7, v6, v5, 1.0
	v_mul_f32_e64 v8, v8, -v7
.LBB161_87:
	s_or_b64 exec, exec, s[18:19]
	v_lshlrev_b32_e32 v5, 3, v10
	ds_write_b64 v5, v[7:8]
.LBB161_88:
	s_or_b64 exec, exec, s[16:17]
                                        ; implicit-def: $vgpr5_vgpr6
                                        ; implicit-def: $vgpr10
.LBB161_89:
	s_andn2_saveexec_b64 s[12:13], s[12:13]
	s_cbranch_execz .LBB161_91
; %bb.90:
	v_lshlrev_b64 v[5:6], 3, v[5:6]
	v_mov_b32_e32 v7, s98
	v_add_co_u32_e32 v5, vcc, s97, v5
	v_addc_co_u32_e32 v6, vcc, v7, v6, vcc
	flat_load_dwordx2 v[5:6], v[5:6]
	v_lshlrev_b32_e32 v7, 3, v10
	s_waitcnt vmcnt(0) lgkmcnt(0)
	v_xor_b32_e32 v5, 0x80000000, v5
	v_xor_b32_e32 v6, 0x80000000, v6
	ds_write_b64 v7, v[5:6]
.LBB161_91:
	s_or_b64 exec, exec, s[12:13]
	v_add_u32_e32 v7, 16, v2
	v_mad_u64_u32 v[5:6], s[12:13], s36, v7, v[3:4]
	v_cmp_gt_u32_e32 vcc, v7, v0
	v_add_u32_e32 v8, v7, v9
	v_mad_u64_u32 v[11:12], s[12:13], s37, v7, v[6:7]
	v_cmp_gt_i32_e64 s[12:13], s96, v7
	s_and_b64 s[12:13], vcc, s[12:13]
	v_lshl_add_u32 v6, v7, 6, v0
	s_and_b64 s[12:13], s[10:11], s[12:13]
	v_cndmask_b32_e64 v10, v6, v8, s[6:7]
	v_mov_b32_e32 v6, v11
	s_xor_b64 s[12:13], s[12:13], -1
	s_and_saveexec_b64 s[16:17], s[12:13]
	s_xor_b64 s[12:13], exec, s[16:17]
	s_cbranch_execz .LBB161_103
; %bb.92:
	v_cmp_ne_u32_e32 vcc, v0, v7
	s_xor_b64 s[16:17], s[10:11], -1
	s_or_b64 s[16:17], s[16:17], vcc
	s_and_saveexec_b64 s[18:19], s[16:17]
	s_xor_b64 s[16:17], exec, s[18:19]
	s_cbranch_execz .LBB161_96
; %bb.93:
	v_or_b32_e32 v5, v7, v0
	v_cmp_gt_u32_e32 vcc, 64, v5
	s_and_saveexec_b64 s[18:19], vcc
; %bb.94:
	v_mov_b32_e32 v5, 0
	v_lshlrev_b32_e32 v7, 3, v10
	v_mov_b32_e32 v6, v5
	ds_write_b64 v7, v[5:6]
; %bb.95:
	s_or_b64 exec, exec, s[18:19]
                                        ; implicit-def: $vgpr10
                                        ; implicit-def: $vgpr5_vgpr6
.LBB161_96:
	s_andn2_saveexec_b64 s[16:17], s[16:17]
	s_cbranch_execz .LBB161_102
; %bb.97:
	v_lshlrev_b64 v[5:6], 3, v[5:6]
	v_mov_b32_e32 v7, s98
	v_add_co_u32_e32 v5, vcc, s97, v5
	v_addc_co_u32_e32 v6, vcc, v7, v6, vcc
	flat_load_dwordx2 v[5:6], v[5:6]
                                        ; implicit-def: $vgpr7
	s_waitcnt vmcnt(0) lgkmcnt(0)
	v_cmp_ngt_f32_e64 s[18:19], |v5|, |v6|
	s_and_saveexec_b64 s[20:21], s[18:19]
	s_xor_b64 s[18:19], exec, s[20:21]
	s_cbranch_execz .LBB161_99
; %bb.98:
	v_div_scale_f32 v7, s[20:21], v6, v6, v5
	v_div_scale_f32 v8, vcc, v5, v6, v5
	v_rcp_f32_e32 v11, v7
	v_fma_f32 v12, -v7, v11, 1.0
	v_fmac_f32_e32 v11, v12, v11
	v_mul_f32_e32 v12, v8, v11
	v_fma_f32 v13, -v7, v12, v8
	v_fmac_f32_e32 v12, v13, v11
	v_fma_f32 v7, -v7, v12, v8
	v_div_fmas_f32 v7, v7, v11, v12
	v_div_fixup_f32 v7, v7, v6, v5
	v_fmac_f32_e32 v6, v5, v7
	v_div_scale_f32 v5, s[20:21], v6, v6, 1.0
	v_div_scale_f32 v8, vcc, 1.0, v6, 1.0
	v_rcp_f32_e32 v11, v5
	v_fma_f32 v12, -v5, v11, 1.0
	v_fmac_f32_e32 v11, v12, v11
	v_mul_f32_e32 v12, v8, v11
	v_fma_f32 v13, -v5, v12, v8
	v_fmac_f32_e32 v12, v13, v11
	v_fma_f32 v5, -v5, v12, v8
	v_div_fmas_f32 v5, v5, v11, v12
	v_div_fixup_f32 v5, v5, v6, 1.0
	v_mul_f32_e32 v7, v7, v5
	v_xor_b32_e32 v8, 0x80000000, v5
                                        ; implicit-def: $vgpr5_vgpr6
.LBB161_99:
	s_andn2_saveexec_b64 s[18:19], s[18:19]
	s_cbranch_execz .LBB161_101
; %bb.100:
	v_div_scale_f32 v7, s[20:21], v5, v5, v6
	v_div_scale_f32 v8, vcc, v6, v5, v6
	v_rcp_f32_e32 v11, v7
	v_fma_f32 v12, -v7, v11, 1.0
	v_fmac_f32_e32 v11, v12, v11
	v_mul_f32_e32 v12, v8, v11
	v_fma_f32 v13, -v7, v12, v8
	v_fmac_f32_e32 v12, v13, v11
	v_fma_f32 v7, -v7, v12, v8
	v_div_fmas_f32 v7, v7, v11, v12
	v_div_fixup_f32 v8, v7, v5, v6
	v_fmac_f32_e32 v5, v6, v8
	v_div_scale_f32 v6, s[20:21], v5, v5, 1.0
	v_div_scale_f32 v7, vcc, 1.0, v5, 1.0
	v_rcp_f32_e32 v11, v6
	v_fma_f32 v12, -v6, v11, 1.0
	v_fmac_f32_e32 v11, v12, v11
	v_mul_f32_e32 v12, v7, v11
	v_fma_f32 v13, -v6, v12, v7
	v_fmac_f32_e32 v12, v13, v11
	v_fma_f32 v6, -v6, v12, v7
	v_div_fmas_f32 v6, v6, v11, v12
	v_div_fixup_f32 v7, v6, v5, 1.0
	v_mul_f32_e64 v8, v8, -v7
.LBB161_101:
	s_or_b64 exec, exec, s[18:19]
	v_lshlrev_b32_e32 v5, 3, v10
	ds_write_b64 v5, v[7:8]
.LBB161_102:
	s_or_b64 exec, exec, s[16:17]
                                        ; implicit-def: $vgpr5_vgpr6
                                        ; implicit-def: $vgpr10
.LBB161_103:
	s_andn2_saveexec_b64 s[12:13], s[12:13]
	s_cbranch_execz .LBB161_105
; %bb.104:
	v_lshlrev_b64 v[5:6], 3, v[5:6]
	v_mov_b32_e32 v7, s98
	v_add_co_u32_e32 v5, vcc, s97, v5
	v_addc_co_u32_e32 v6, vcc, v7, v6, vcc
	flat_load_dwordx2 v[5:6], v[5:6]
	v_lshlrev_b32_e32 v7, 3, v10
	s_waitcnt vmcnt(0) lgkmcnt(0)
	v_xor_b32_e32 v5, 0x80000000, v5
	v_xor_b32_e32 v6, 0x80000000, v6
	ds_write_b64 v7, v[5:6]
.LBB161_105:
	s_or_b64 exec, exec, s[12:13]
	v_add_u32_e32 v7, 32, v2
	v_mad_u64_u32 v[5:6], s[12:13], s36, v7, v[3:4]
	v_cmp_gt_u32_e32 vcc, v7, v0
	v_add_u32_e32 v8, v7, v9
	v_mad_u64_u32 v[11:12], s[12:13], s37, v7, v[6:7]
	v_cmp_gt_i32_e64 s[12:13], s96, v7
	s_and_b64 s[12:13], vcc, s[12:13]
	v_lshl_add_u32 v6, v7, 6, v0
	s_and_b64 s[12:13], s[10:11], s[12:13]
	v_cndmask_b32_e64 v10, v6, v8, s[6:7]
	v_mov_b32_e32 v6, v11
	s_xor_b64 s[12:13], s[12:13], -1
	s_and_saveexec_b64 s[16:17], s[12:13]
	s_xor_b64 s[12:13], exec, s[16:17]
	s_cbranch_execz .LBB161_117
; %bb.106:
	v_cmp_ne_u32_e32 vcc, v0, v7
	s_xor_b64 s[16:17], s[10:11], -1
	s_or_b64 s[16:17], s[16:17], vcc
	s_and_saveexec_b64 s[18:19], s[16:17]
	s_xor_b64 s[16:17], exec, s[18:19]
	s_cbranch_execz .LBB161_110
; %bb.107:
	v_or_b32_e32 v5, v7, v0
	v_cmp_gt_u32_e32 vcc, 64, v5
	s_and_saveexec_b64 s[18:19], vcc
; %bb.108:
	v_mov_b32_e32 v5, 0
	v_lshlrev_b32_e32 v7, 3, v10
	v_mov_b32_e32 v6, v5
	ds_write_b64 v7, v[5:6]
; %bb.109:
	s_or_b64 exec, exec, s[18:19]
                                        ; implicit-def: $vgpr10
                                        ; implicit-def: $vgpr5_vgpr6
.LBB161_110:
	s_andn2_saveexec_b64 s[16:17], s[16:17]
	s_cbranch_execz .LBB161_116
; %bb.111:
	v_lshlrev_b64 v[5:6], 3, v[5:6]
	v_mov_b32_e32 v7, s98
	v_add_co_u32_e32 v5, vcc, s97, v5
	v_addc_co_u32_e32 v6, vcc, v7, v6, vcc
	flat_load_dwordx2 v[5:6], v[5:6]
                                        ; implicit-def: $vgpr7
	s_waitcnt vmcnt(0) lgkmcnt(0)
	v_cmp_ngt_f32_e64 s[18:19], |v5|, |v6|
	s_and_saveexec_b64 s[20:21], s[18:19]
	s_xor_b64 s[18:19], exec, s[20:21]
	s_cbranch_execz .LBB161_113
; %bb.112:
	v_div_scale_f32 v7, s[20:21], v6, v6, v5
	v_div_scale_f32 v8, vcc, v5, v6, v5
	v_rcp_f32_e32 v11, v7
	v_fma_f32 v12, -v7, v11, 1.0
	v_fmac_f32_e32 v11, v12, v11
	v_mul_f32_e32 v12, v8, v11
	v_fma_f32 v13, -v7, v12, v8
	v_fmac_f32_e32 v12, v13, v11
	v_fma_f32 v7, -v7, v12, v8
	v_div_fmas_f32 v7, v7, v11, v12
	v_div_fixup_f32 v7, v7, v6, v5
	v_fmac_f32_e32 v6, v5, v7
	v_div_scale_f32 v5, s[20:21], v6, v6, 1.0
	v_div_scale_f32 v8, vcc, 1.0, v6, 1.0
	v_rcp_f32_e32 v11, v5
	v_fma_f32 v12, -v5, v11, 1.0
	v_fmac_f32_e32 v11, v12, v11
	v_mul_f32_e32 v12, v8, v11
	v_fma_f32 v13, -v5, v12, v8
	v_fmac_f32_e32 v12, v13, v11
	v_fma_f32 v5, -v5, v12, v8
	v_div_fmas_f32 v5, v5, v11, v12
	v_div_fixup_f32 v5, v5, v6, 1.0
	v_mul_f32_e32 v7, v7, v5
	v_xor_b32_e32 v8, 0x80000000, v5
                                        ; implicit-def: $vgpr5_vgpr6
.LBB161_113:
	s_andn2_saveexec_b64 s[18:19], s[18:19]
	s_cbranch_execz .LBB161_115
; %bb.114:
	v_div_scale_f32 v7, s[20:21], v5, v5, v6
	v_div_scale_f32 v8, vcc, v6, v5, v6
	v_rcp_f32_e32 v11, v7
	v_fma_f32 v12, -v7, v11, 1.0
	v_fmac_f32_e32 v11, v12, v11
	v_mul_f32_e32 v12, v8, v11
	v_fma_f32 v13, -v7, v12, v8
	v_fmac_f32_e32 v12, v13, v11
	v_fma_f32 v7, -v7, v12, v8
	v_div_fmas_f32 v7, v7, v11, v12
	v_div_fixup_f32 v8, v7, v5, v6
	v_fmac_f32_e32 v5, v6, v8
	v_div_scale_f32 v6, s[20:21], v5, v5, 1.0
	v_div_scale_f32 v7, vcc, 1.0, v5, 1.0
	v_rcp_f32_e32 v11, v6
	v_fma_f32 v12, -v6, v11, 1.0
	v_fmac_f32_e32 v11, v12, v11
	v_mul_f32_e32 v12, v7, v11
	v_fma_f32 v13, -v6, v12, v7
	v_fmac_f32_e32 v12, v13, v11
	v_fma_f32 v6, -v6, v12, v7
	v_div_fmas_f32 v6, v6, v11, v12
	v_div_fixup_f32 v7, v6, v5, 1.0
	v_mul_f32_e64 v8, v8, -v7
.LBB161_115:
	s_or_b64 exec, exec, s[18:19]
	v_lshlrev_b32_e32 v5, 3, v10
	ds_write_b64 v5, v[7:8]
.LBB161_116:
	s_or_b64 exec, exec, s[16:17]
                                        ; implicit-def: $vgpr5_vgpr6
                                        ; implicit-def: $vgpr10
.LBB161_117:
	s_andn2_saveexec_b64 s[12:13], s[12:13]
	s_cbranch_execz .LBB161_119
; %bb.118:
	v_lshlrev_b64 v[5:6], 3, v[5:6]
	v_mov_b32_e32 v7, s98
	v_add_co_u32_e32 v5, vcc, s97, v5
	v_addc_co_u32_e32 v6, vcc, v7, v6, vcc
	flat_load_dwordx2 v[5:6], v[5:6]
	v_lshlrev_b32_e32 v7, 3, v10
	s_waitcnt vmcnt(0) lgkmcnt(0)
	v_xor_b32_e32 v5, 0x80000000, v5
	v_xor_b32_e32 v6, 0x80000000, v6
	ds_write_b64 v7, v[5:6]
.LBB161_119:
	s_or_b64 exec, exec, s[12:13]
	v_add_u32_e32 v5, 48, v2
	v_mad_u64_u32 v[3:4], s[12:13], s36, v5, v[3:4]
	v_add_u32_e32 v8, v5, v9
	v_cmp_gt_u32_e32 vcc, v5, v0
	v_mad_u64_u32 v[6:7], s[12:13], s37, v5, v[4:5]
	v_lshl_add_u32 v4, v5, 6, v0
	v_cndmask_b32_e64 v7, v4, v8, s[6:7]
	v_cmp_gt_i32_e64 s[6:7], s96, v5
	s_and_b64 s[6:7], vcc, s[6:7]
	s_and_b64 s[6:7], s[10:11], s[6:7]
	v_mov_b32_e32 v4, v6
	s_xor_b64 s[6:7], s[6:7], -1
	s_and_saveexec_b64 s[12:13], s[6:7]
	s_xor_b64 s[6:7], exec, s[12:13]
	s_cbranch_execz .LBB161_131
; %bb.120:
	v_cmp_ne_u32_e32 vcc, v0, v5
	s_xor_b64 s[10:11], s[10:11], -1
	s_or_b64 s[10:11], s[10:11], vcc
	s_and_saveexec_b64 s[12:13], s[10:11]
	s_xor_b64 s[10:11], exec, s[12:13]
	s_cbranch_execz .LBB161_124
; %bb.121:
	v_or_b32_e32 v3, v5, v0
	v_cmp_gt_u32_e32 vcc, 64, v3
	s_and_saveexec_b64 s[12:13], vcc
; %bb.122:
	v_mov_b32_e32 v3, 0
	v_lshlrev_b32_e32 v5, 3, v7
	v_mov_b32_e32 v4, v3
	ds_write_b64 v5, v[3:4]
; %bb.123:
	s_or_b64 exec, exec, s[12:13]
                                        ; implicit-def: $vgpr7
                                        ; implicit-def: $vgpr3_vgpr4
.LBB161_124:
	s_andn2_saveexec_b64 s[10:11], s[10:11]
	s_cbranch_execz .LBB161_130
; %bb.125:
	v_lshlrev_b64 v[3:4], 3, v[3:4]
	v_mov_b32_e32 v5, s98
	v_add_co_u32_e32 v3, vcc, s97, v3
	v_addc_co_u32_e32 v4, vcc, v5, v4, vcc
	flat_load_dwordx2 v[3:4], v[3:4]
                                        ; implicit-def: $vgpr5
	s_waitcnt vmcnt(0) lgkmcnt(0)
	v_cmp_ngt_f32_e64 s[12:13], |v3|, |v4|
	s_and_saveexec_b64 s[16:17], s[12:13]
	s_xor_b64 s[12:13], exec, s[16:17]
	s_cbranch_execz .LBB161_127
; %bb.126:
	v_div_scale_f32 v5, s[16:17], v4, v4, v3
	v_div_scale_f32 v6, vcc, v3, v4, v3
	v_rcp_f32_e32 v8, v5
	v_fma_f32 v9, -v5, v8, 1.0
	v_fmac_f32_e32 v8, v9, v8
	v_mul_f32_e32 v9, v6, v8
	v_fma_f32 v10, -v5, v9, v6
	v_fmac_f32_e32 v9, v10, v8
	v_fma_f32 v5, -v5, v9, v6
	v_div_fmas_f32 v5, v5, v8, v9
	v_div_fixup_f32 v5, v5, v4, v3
	v_fmac_f32_e32 v4, v3, v5
	v_div_scale_f32 v3, s[16:17], v4, v4, 1.0
	v_div_scale_f32 v6, vcc, 1.0, v4, 1.0
	v_rcp_f32_e32 v8, v3
	v_fma_f32 v9, -v3, v8, 1.0
	v_fmac_f32_e32 v8, v9, v8
	v_mul_f32_e32 v9, v6, v8
	v_fma_f32 v10, -v3, v9, v6
	v_fmac_f32_e32 v9, v10, v8
	v_fma_f32 v3, -v3, v9, v6
	v_div_fmas_f32 v3, v3, v8, v9
	v_div_fixup_f32 v3, v3, v4, 1.0
	v_mul_f32_e32 v5, v5, v3
	v_xor_b32_e32 v6, 0x80000000, v3
                                        ; implicit-def: $vgpr3_vgpr4
.LBB161_127:
	s_andn2_saveexec_b64 s[12:13], s[12:13]
	s_cbranch_execz .LBB161_129
; %bb.128:
	v_div_scale_f32 v5, s[16:17], v3, v3, v4
	v_div_scale_f32 v6, vcc, v4, v3, v4
	v_rcp_f32_e32 v8, v5
	v_fma_f32 v9, -v5, v8, 1.0
	v_fmac_f32_e32 v8, v9, v8
	v_mul_f32_e32 v9, v6, v8
	v_fma_f32 v10, -v5, v9, v6
	v_fmac_f32_e32 v9, v10, v8
	v_fma_f32 v5, -v5, v9, v6
	v_div_fmas_f32 v5, v5, v8, v9
	v_div_fixup_f32 v6, v5, v3, v4
	v_fmac_f32_e32 v3, v4, v6
	v_div_scale_f32 v4, s[16:17], v3, v3, 1.0
	v_div_scale_f32 v5, vcc, 1.0, v3, 1.0
	v_rcp_f32_e32 v8, v4
	v_fma_f32 v9, -v4, v8, 1.0
	v_fmac_f32_e32 v8, v9, v8
	v_mul_f32_e32 v9, v5, v8
	v_fma_f32 v10, -v4, v9, v5
	v_fmac_f32_e32 v9, v10, v8
	v_fma_f32 v4, -v4, v9, v5
	v_div_fmas_f32 v4, v4, v8, v9
	v_div_fixup_f32 v5, v4, v3, 1.0
	v_mul_f32_e64 v6, v6, -v5
.LBB161_129:
	s_or_b64 exec, exec, s[12:13]
	v_lshlrev_b32_e32 v3, 3, v7
	ds_write_b64 v3, v[5:6]
.LBB161_130:
	s_or_b64 exec, exec, s[10:11]
                                        ; implicit-def: $vgpr3_vgpr4
                                        ; implicit-def: $vgpr7
.LBB161_131:
	s_andn2_saveexec_b64 s[6:7], s[6:7]
	s_cbranch_execz .LBB161_133
; %bb.132:
	v_lshlrev_b64 v[3:4], 3, v[3:4]
	v_mov_b32_e32 v5, s98
	v_add_co_u32_e32 v3, vcc, s97, v3
	v_addc_co_u32_e32 v4, vcc, v5, v4, vcc
	flat_load_dwordx2 v[3:4], v[3:4]
	v_lshlrev_b32_e32 v5, 3, v7
	s_waitcnt vmcnt(0) lgkmcnt(0)
	v_xor_b32_e32 v3, 0x80000000, v3
	v_xor_b32_e32 v4, 0x80000000, v4
	ds_write_b64 v5, v[3:4]
.LBB161_133:
	s_or_b64 exec, exec, s[6:7]
.LBB161_134:
	v_cndmask_b32_e64 v3, 0, 1, s[14:15]
	v_cmp_ne_u32_e64 s[50:51], 1, v3
	s_andn2_b64 vcc, exec, s[14:15]
	s_waitcnt vmcnt(0) lgkmcnt(0)
	s_barrier
	s_cbranch_vccnz .LBB161_1056
; %bb.135:
	v_or_b32_e32 v3, v0, v2
	v_cmp_eq_u32_e32 vcc, 0, v3
	s_and_saveexec_b64 s[6:7], vcc
	s_cbranch_execz .LBB161_137
; %bb.136:
	s_movk_i32 s10, 0x1f0
	v_mov_b32_e32 v3, 0
	v_add_u32_e64 v4, s10, 0
	ds_read_b64 v[7:8], v3 offset:32760
	ds_read2st64_b64 v[3:6], v4 offset0:62 offset1:63
	s_movk_i32 s10, 0x7800
	s_waitcnt lgkmcnt(0)
	v_mul_f32_e32 v10, v7, v4
	v_mul_f32_e32 v9, v8, v4
	v_fmac_f32_e32 v10, v8, v3
	v_fma_f32 v4, v7, v3, -v9
	v_mul_f32_e32 v3, v10, v6
	v_fma_f32 v3, v4, v5, -v3
	v_mul_f32_e32 v4, v4, v6
	v_fmac_f32_e32 v4, v10, v5
	v_add_u32_e64 v5, s10, 0
	ds_write2_b64 v5, v[3:4], v[3:4] offset0:191 offset1:254
.LBB161_137:
	s_or_b64 exec, exec, s[6:7]
	v_lshlrev_b32_e32 v3, 6, v2
	v_add_u32_e32 v8, v3, v0
	v_and_b32_e32 v4, v3, v0
	v_xor_b32_e32 v3, v3, v0
	v_lshrrev_b16_e32 v3, 1, v3
	v_add_u16_e32 v7, v4, v3
	v_and_b32_e32 v5, 1, v0
	v_sub_u32_e32 v6, 1, v7
	v_cmp_lt_u32_e64 s[10:11], 3, v8
	v_cmp_gt_u32_e64 s[22:23], 4, v8
	v_mov_b32_e32 v3, 0
	v_mov_b32_e32 v4, 0
	s_waitcnt lgkmcnt(0)
	s_barrier
	buffer_wbinvl1_vol
	s_and_saveexec_b64 s[6:7], s[22:23]
	s_cbranch_execz .LBB161_141
; %bb.138:
	v_lshlrev_b32_e32 v3, 3, v5
	v_lshlrev_b32_e32 v9, 9, v6
	ds_read_b64 v[3:4], v3 offset:32224
	ds_read_b64 v[9:10], v9 offset:32240
	v_cmp_gt_u32_e64 s[12:13], 2, v8
	s_waitcnt lgkmcnt(0)
	v_mul_f32_e32 v11, v10, v4
	v_mul_f32_e32 v4, v9, v4
	v_fma_f32 v9, v9, v3, -v11
	v_fmac_f32_e32 v4, v10, v3
	v_add_f32_e32 v3, 0, v9
	v_add_f32_e32 v4, 0, v4
	s_and_saveexec_b64 s[14:15], s[12:13]
	s_cbranch_execz .LBB161_140
; %bb.139:
	v_lshlrev_b32_e32 v9, 3, v0
	v_mov_b32_e32 v11, 0
	ds_read_b64 v[9:10], v9 offset:32736
	ds_read_b64 v[11:12], v11 offset:32760
	s_waitcnt lgkmcnt(0)
	v_mul_f32_e32 v13, v12, v10
	v_mul_f32_e32 v10, v11, v10
	v_fma_f32 v11, v11, v9, -v13
	v_fmac_f32_e32 v10, v12, v9
	v_add_f32_e32 v3, v3, v11
	v_add_f32_e32 v4, v4, v10
.LBB161_140:
	s_or_b64 exec, exec, s[14:15]
.LBB161_141:
	s_or_b64 exec, exec, s[6:7]
	v_mov_b32_e32 v9, 0x8000
	v_cmp_ne_u32_e64 s[12:13], 0, v5
	s_xor_b64 s[6:7], s[10:11], -1
	v_lshl_add_u32 v7, v7, 3, v9
	s_and_b64 s[44:45], s[12:13], s[6:7]
	s_and_saveexec_b64 s[10:11], s[44:45]
	s_cbranch_execz .LBB161_143
; %bb.142:
	v_mov_b32_e32 v9, 0
	ds_read_b64 v[9:10], v9 offset:31720
	s_waitcnt lgkmcnt(0)
	v_mul_f32_e32 v11, v4, v10
	v_mul_f32_e32 v12, v3, v10
	v_fma_f32 v3, v3, v9, -v11
	v_fmac_f32_e32 v12, v4, v9
	v_xor_b32_e32 v9, 0x80000000, v3
	v_xor_b32_e32 v10, 0x80000000, v12
	v_mov_b32_e32 v4, v12
	ds_write_b64 v7, v[9:10]
.LBB161_143:
	s_or_b64 exec, exec, s[10:11]
	v_cmp_eq_u32_e64 s[10:11], 0, v5
	s_and_b64 s[42:43], s[10:11], s[6:7]
	s_waitcnt lgkmcnt(0)
	s_barrier
	s_and_saveexec_b64 s[6:7], s[42:43]
	s_cbranch_execz .LBB161_145
; %bb.144:
	v_mov_b32_e32 v9, 0
	ds_read_b64 v[9:10], v9 offset:31712
	ds_read_b64 v[11:12], v7
	s_waitcnt lgkmcnt(0)
	v_mul_f32_e32 v13, v12, v10
	v_mul_f32_e32 v10, v11, v10
	v_fma_f32 v11, v11, v9, -v13
	v_fmac_f32_e32 v10, v12, v9
	v_sub_f32_e32 v3, v3, v11
	v_sub_f32_e32 v4, v4, v10
.LBB161_145:
	s_or_b64 exec, exec, s[6:7]
	s_barrier
	s_and_saveexec_b64 s[6:7], s[42:43]
	s_cbranch_execz .LBB161_147
; %bb.146:
	v_mov_b32_e32 v9, 0
	ds_read_b64 v[9:10], v9 offset:31200
	s_waitcnt lgkmcnt(0)
	v_mul_f32_e32 v11, v4, v10
	v_mul_f32_e32 v12, v3, v10
	v_fma_f32 v3, v3, v9, -v11
	v_fmac_f32_e32 v12, v4, v9
	v_xor_b32_e32 v9, 0x80000000, v3
	v_xor_b32_e32 v10, 0x80000000, v12
	v_mov_b32_e32 v4, v12
	ds_write_b64 v7, v[9:10]
.LBB161_147:
	s_or_b64 exec, exec, s[6:7]
	s_waitcnt lgkmcnt(0)
	s_barrier
	s_barrier
	s_and_saveexec_b64 s[6:7], s[22:23]
; %bb.148:
	v_lshlrev_b32_e32 v9, 3, v5
	v_lshl_or_b32 v9, v6, 9, v9
	ds_write_b64 v9, v[3:4] offset:32224
; %bb.149:
	s_or_b64 exec, exec, s[6:7]
	v_cmp_eq_u32_e64 s[16:17], 0, v2
	v_cmp_gt_u32_e64 s[10:11], 2, v0
	s_and_b64 s[46:47], s[16:17], s[10:11]
	s_waitcnt lgkmcnt(0)
	s_barrier
	s_barrier
	s_and_saveexec_b64 s[6:7], s[46:47]
	s_cbranch_execz .LBB161_151
; %bb.150:
	v_lshlrev_b32_e32 v9, 3, v0
	s_movk_i32 s10, 0x1f8
	v_mad_u32_u24 v10, v0, s10, v9
	ds_read_b64 v[3:4], v10 offset:32224
	s_waitcnt lgkmcnt(0)
	ds_write_b64 v9, v[3:4] offset:31216
	ds_read_b64 v[3:4], v10 offset:32232
	s_waitcnt lgkmcnt(0)
	ds_write_b64 v9, v[3:4] offset:31728
.LBB161_151:
	s_or_b64 exec, exec, s[6:7]
	s_waitcnt lgkmcnt(0)
	s_barrier
	s_and_saveexec_b64 s[6:7], vcc
	s_cbranch_execz .LBB161_153
; %bb.152:
	s_movk_i32 s10, 0x1e0
	v_mov_b32_e32 v3, 0
	v_add_u32_e64 v9, s10, 0
	ds_read_b64 v[3:4], v3 offset:31720
	ds_read2st64_b64 v[9:12], v9 offset0:60 offset1:61
	s_movk_i32 s10, 0x7800
	s_waitcnt lgkmcnt(0)
	v_mul_f32_e32 v13, v4, v10
	v_mul_f32_e32 v10, v3, v10
	v_fma_f32 v13, v3, v9, -v13
	v_fmac_f32_e32 v10, v4, v9
	v_mul_f32_e32 v3, v10, v12
	v_mul_f32_e32 v4, v13, v12
	v_fma_f32 v3, v13, v11, -v3
	v_fmac_f32_e32 v4, v10, v11
	v_add_u32_e64 v9, s10, 0
	ds_write2_b64 v9, v[3:4], v[3:4] offset0:61 offset1:124
.LBB161_153:
	s_or_b64 exec, exec, s[6:7]
	v_lshrrev_b32_e32 v11, 2, v8
	v_and_b32_e32 v9, 3, v0
	v_sub_u32_e32 v10, 3, v11
	v_cmp_lt_u32_e64 s[12:13], 15, v8
	v_cmp_gt_u32_e64 s[10:11], 16, v8
	v_mov_b32_e32 v4, 0
	v_mov_b32_e32 v3, 0
	s_waitcnt lgkmcnt(0)
	s_barrier
	buffer_wbinvl1_vol
	s_and_saveexec_b64 s[6:7], s[10:11]
	s_cbranch_execz .LBB161_159
; %bb.154:
	v_lshlrev_b32_e32 v12, 3, v9
	v_lshlrev_b32_e32 v13, 9, v10
	ds_read_b64 v[3:4], v12 offset:31168
	ds_read_b64 v[14:15], v13 offset:31200
	v_cmp_gt_u32_e64 s[14:15], 12, v8
	s_waitcnt lgkmcnt(0)
	v_mul_f32_e32 v16, v15, v4
	v_mul_f32_e32 v4, v14, v4
	v_fma_f32 v14, v14, v3, -v16
	v_fmac_f32_e32 v4, v15, v3
	v_add_f32_e32 v3, 0, v14
	v_add_f32_e32 v4, 0, v4
	s_and_saveexec_b64 s[18:19], s[14:15]
	s_cbranch_execnz .LBB161_1116
; %bb.155:
	s_or_b64 exec, exec, s[18:19]
	v_cmp_gt_u32_e64 s[14:15], 8, v8
	s_and_saveexec_b64 s[18:19], s[14:15]
	s_cbranch_execnz .LBB161_1117
.LBB161_156:
	s_or_b64 exec, exec, s[18:19]
	v_cmp_gt_u32_e64 s[14:15], 4, v8
	s_and_saveexec_b64 s[18:19], s[14:15]
	s_cbranch_execz .LBB161_158
.LBB161_157:
	v_lshlrev_b32_e32 v12, 3, v0
	v_mov_b32_e32 v14, 0
	ds_read_b64 v[12:13], v12 offset:32704
	ds_read_b64 v[14:15], v14 offset:32760
	s_waitcnt lgkmcnt(0)
	v_mul_f32_e32 v16, v15, v13
	v_mul_f32_e32 v13, v14, v13
	v_fma_f32 v14, v14, v12, -v16
	v_fmac_f32_e32 v13, v15, v12
	v_add_f32_e32 v3, v3, v14
	v_add_f32_e32 v4, v4, v13
.LBB161_158:
	s_or_b64 exec, exec, s[18:19]
.LBB161_159:
                                        ; implicit-def: $vgpr30 : SGPR spill to VGPR lane
	v_writelane_b32 v30, s50, 0
	v_writelane_b32 v30, s51, 1
	;; [unrolled: 1-line block ×5, first 2 shown]
	s_or_b64 exec, exec, s[6:7]
	v_mov_b32_e32 v12, 0x8000
	v_cmp_eq_u32_e64 s[14:15], 3, v9
	s_xor_b64 s[6:7], s[12:13], -1
	v_lshl_add_u32 v11, v11, 3, v12
	s_and_b64 s[50:51], s[14:15], s[6:7]
	s_and_saveexec_b64 s[12:13], s[50:51]
	s_cbranch_execz .LBB161_161
; %bb.160:
	v_mov_b32_e32 v12, 0
	ds_read_b64 v[12:13], v12 offset:30680
	s_waitcnt lgkmcnt(0)
	v_mul_f32_e32 v14, v4, v13
	v_mul_f32_e32 v15, v3, v13
	v_fma_f32 v3, v3, v12, -v14
	v_fmac_f32_e32 v15, v4, v12
	v_xor_b32_e32 v12, 0x80000000, v3
	v_xor_b32_e32 v13, 0x80000000, v15
	v_mov_b32_e32 v4, v15
	ds_write_b64 v11, v[12:13]
.LBB161_161:
	s_or_b64 exec, exec, s[12:13]
	v_cmp_ne_u32_e64 s[12:13], 3, v9
	s_and_b64 s[52:53], s[12:13], s[6:7]
	s_waitcnt lgkmcnt(0)
	s_barrier
	s_and_saveexec_b64 s[12:13], s[52:53]
	s_cbranch_execz .LBB161_163
; %bb.162:
	v_lshlrev_b32_e32 v12, 3, v9
	ds_read_b64 v[12:13], v12 offset:30656
	ds_read_b64 v[14:15], v11
	s_waitcnt lgkmcnt(0)
	v_mul_f32_e32 v16, v15, v13
	v_mul_f32_e32 v13, v14, v13
	v_fma_f32 v14, v14, v12, -v16
	v_fmac_f32_e32 v13, v15, v12
	v_sub_f32_e32 v3, v3, v14
	v_sub_f32_e32 v4, v4, v13
.LBB161_163:
	s_or_b64 exec, exec, s[12:13]
	v_cmp_eq_u32_e64 s[12:13], 2, v9
	s_and_b64 s[54:55], s[12:13], s[6:7]
	s_barrier
	s_and_saveexec_b64 s[12:13], s[54:55]
	s_cbranch_execz .LBB161_165
; %bb.164:
	v_mov_b32_e32 v12, 0
	ds_read_b64 v[12:13], v12 offset:30160
	s_waitcnt lgkmcnt(0)
	v_mul_f32_e32 v14, v4, v13
	v_mul_f32_e32 v15, v3, v13
	v_fma_f32 v3, v3, v12, -v14
	v_fmac_f32_e32 v15, v4, v12
	v_xor_b32_e32 v12, 0x80000000, v3
	v_xor_b32_e32 v13, 0x80000000, v15
	v_mov_b32_e32 v4, v15
	ds_write_b64 v11, v[12:13]
.LBB161_165:
	s_or_b64 exec, exec, s[12:13]
	v_cmp_gt_u32_e64 s[12:13], 2, v9
	s_and_b64 s[56:57], s[12:13], s[6:7]
	s_waitcnt lgkmcnt(0)
	s_barrier
	s_and_saveexec_b64 s[12:13], s[56:57]
	s_cbranch_execz .LBB161_167
; %bb.166:
	v_lshlrev_b32_e32 v12, 3, v9
	ds_read_b64 v[12:13], v12 offset:30144
	ds_read_b64 v[14:15], v11
	s_waitcnt lgkmcnt(0)
	v_mul_f32_e32 v16, v15, v13
	v_mul_f32_e32 v13, v14, v13
	v_fma_f32 v14, v14, v12, -v16
	v_fmac_f32_e32 v13, v15, v12
	v_sub_f32_e32 v3, v3, v14
	v_sub_f32_e32 v4, v4, v13
.LBB161_167:
	s_or_b64 exec, exec, s[12:13]
	v_cmp_eq_u32_e64 s[12:13], 1, v9
	s_and_b64 s[58:59], s[12:13], s[6:7]
	s_barrier
	s_and_saveexec_b64 s[12:13], s[58:59]
	s_cbranch_execz .LBB161_169
; %bb.168:
	v_mov_b32_e32 v12, 0
	ds_read_b64 v[12:13], v12 offset:29640
	s_waitcnt lgkmcnt(0)
	v_mul_f32_e32 v14, v4, v13
	v_mul_f32_e32 v15, v3, v13
	v_fma_f32 v3, v3, v12, -v14
	v_fmac_f32_e32 v15, v4, v12
	v_xor_b32_e32 v12, 0x80000000, v3
	v_xor_b32_e32 v13, 0x80000000, v15
	v_mov_b32_e32 v4, v15
	ds_write_b64 v11, v[12:13]
.LBB161_169:
	s_or_b64 exec, exec, s[12:13]
	v_cmp_eq_u32_e64 s[12:13], 0, v9
	s_and_b64 s[48:49], s[12:13], s[6:7]
	s_waitcnt lgkmcnt(0)
	s_barrier
	s_and_saveexec_b64 s[6:7], s[48:49]
	s_cbranch_execz .LBB161_171
; %bb.170:
	v_mov_b32_e32 v12, 0
	ds_read_b64 v[12:13], v12 offset:29632
	ds_read_b64 v[14:15], v11
	s_waitcnt lgkmcnt(0)
	v_mul_f32_e32 v16, v15, v13
	v_mul_f32_e32 v13, v14, v13
	v_fma_f32 v14, v14, v12, -v16
	v_fmac_f32_e32 v13, v15, v12
	v_sub_f32_e32 v3, v3, v14
	v_sub_f32_e32 v4, v4, v13
.LBB161_171:
	s_or_b64 exec, exec, s[6:7]
	s_barrier
	s_and_saveexec_b64 s[6:7], s[48:49]
	s_cbranch_execz .LBB161_173
; %bb.172:
	v_mov_b32_e32 v12, 0
	ds_read_b64 v[12:13], v12 offset:29120
	s_waitcnt lgkmcnt(0)
	v_mul_f32_e32 v14, v4, v13
	v_mul_f32_e32 v15, v3, v13
	v_fma_f32 v3, v3, v12, -v14
	v_fmac_f32_e32 v15, v4, v12
	v_xor_b32_e32 v12, 0x80000000, v3
	v_xor_b32_e32 v13, 0x80000000, v15
	v_mov_b32_e32 v4, v15
	ds_write_b64 v11, v[12:13]
.LBB161_173:
	s_or_b64 exec, exec, s[6:7]
	s_waitcnt lgkmcnt(0)
	s_barrier
	s_barrier
	s_and_saveexec_b64 s[6:7], s[10:11]
; %bb.174:
	v_lshlrev_b32_e32 v12, 3, v9
	v_lshl_or_b32 v12, v10, 9, v12
	ds_write_b64 v12, v[3:4] offset:31168
; %bb.175:
	s_or_b64 exec, exec, s[6:7]
	v_cmp_gt_u32_e64 s[12:13], 4, v0
	s_and_b64 s[60:61], s[16:17], s[12:13]
	s_waitcnt lgkmcnt(0)
	s_barrier
	s_barrier
	s_and_saveexec_b64 s[6:7], s[60:61]
	s_cbranch_execz .LBB161_177
; %bb.176:
	v_lshlrev_b32_e32 v12, 9, v0
	ds_read_b64 v[3:4], v12 offset:31168
	s_movk_i32 s12, 0xfe08
	v_mad_i32_i24 v13, v0, s12, v12
	s_waitcnt lgkmcnt(0)
	ds_write_b64 v13, v[3:4] offset:29152
	ds_read_b64 v[3:4], v12 offset:31176
	s_waitcnt lgkmcnt(0)
	ds_write_b64 v13, v[3:4] offset:29664
	ds_read_b64 v[3:4], v12 offset:31184
	s_waitcnt lgkmcnt(0)
	ds_write_b64 v13, v[3:4] offset:30176
	ds_read_b64 v[3:4], v12 offset:31192
	s_waitcnt lgkmcnt(0)
	ds_write_b64 v13, v[3:4] offset:30688
.LBB161_177:
	s_or_b64 exec, exec, s[6:7]
	s_waitcnt lgkmcnt(0)
	s_barrier
	s_and_saveexec_b64 s[6:7], vcc
	s_cbranch_execz .LBB161_179
; %bb.178:
	s_movk_i32 s12, 0x1d0
	v_mov_b32_e32 v3, 0
	v_add_u32_e64 v12, s12, 0
	ds_read_b64 v[3:4], v3 offset:30680
	ds_read2st64_b64 v[12:15], v12 offset0:58 offset1:59
	s_movk_i32 s12, 0x7000
	s_waitcnt lgkmcnt(0)
	v_mul_f32_e32 v16, v4, v13
	v_mul_f32_e32 v13, v3, v13
	v_fma_f32 v16, v3, v12, -v16
	v_fmac_f32_e32 v13, v4, v12
	v_mul_f32_e32 v3, v13, v15
	v_mul_f32_e32 v4, v16, v15
	v_fma_f32 v3, v16, v14, -v3
	v_fmac_f32_e32 v4, v13, v14
	v_add_u32_e64 v12, s12, 0
	ds_write2_b64 v12, v[3:4], v[3:4] offset0:187 offset1:250
.LBB161_179:
	s_or_b64 exec, exec, s[6:7]
	v_mov_b32_e32 v3, 0
	v_mov_b32_e32 v4, 0
	s_waitcnt lgkmcnt(0)
	s_barrier
	buffer_wbinvl1_vol
	s_and_saveexec_b64 s[6:7], s[22:23]
	s_cbranch_execz .LBB161_183
; %bb.180:
	v_lshlrev_b32_e32 v3, 3, v5
	v_lshlrev_b32_e32 v12, 9, v6
	ds_read_b64 v[3:4], v3 offset:30144
	ds_read_b64 v[12:13], v12 offset:30160
	v_cmp_gt_u32_e64 s[12:13], 2, v8
	s_waitcnt lgkmcnt(0)
	v_mul_f32_e32 v14, v13, v4
	v_mul_f32_e32 v4, v12, v4
	v_fma_f32 v12, v12, v3, -v14
	v_fmac_f32_e32 v4, v13, v3
	v_add_f32_e32 v3, 0, v12
	v_add_f32_e32 v4, 0, v4
	s_and_saveexec_b64 s[14:15], s[12:13]
	s_cbranch_execz .LBB161_182
; %bb.181:
	v_lshlrev_b32_e32 v12, 3, v0
	v_mov_b32_e32 v14, 0
	ds_read_b64 v[12:13], v12 offset:30656
	ds_read_b64 v[14:15], v14 offset:30680
	s_waitcnt lgkmcnt(0)
	v_mul_f32_e32 v16, v15, v13
	v_mul_f32_e32 v13, v14, v13
	v_fma_f32 v14, v14, v12, -v16
	v_fmac_f32_e32 v13, v15, v12
	v_add_f32_e32 v3, v3, v14
	v_add_f32_e32 v4, v4, v13
.LBB161_182:
	s_or_b64 exec, exec, s[14:15]
.LBB161_183:
	s_or_b64 exec, exec, s[6:7]
	s_and_saveexec_b64 s[6:7], s[44:45]
	s_cbranch_execz .LBB161_185
; %bb.184:
	v_mov_b32_e32 v12, 0
	ds_read_b64 v[12:13], v12 offset:29640
	s_waitcnt lgkmcnt(0)
	v_mul_f32_e32 v14, v4, v13
	v_mul_f32_e32 v15, v3, v13
	v_fma_f32 v3, v3, v12, -v14
	v_fmac_f32_e32 v15, v4, v12
	v_xor_b32_e32 v12, 0x80000000, v3
	v_xor_b32_e32 v13, 0x80000000, v15
	v_mov_b32_e32 v4, v15
	ds_write_b64 v7, v[12:13]
.LBB161_185:
	s_or_b64 exec, exec, s[6:7]
	s_waitcnt lgkmcnt(0)
	s_barrier
	s_and_saveexec_b64 s[6:7], s[42:43]
	s_cbranch_execz .LBB161_187
; %bb.186:
	v_mov_b32_e32 v12, 0
	ds_read_b64 v[12:13], v12 offset:29632
	ds_read_b64 v[14:15], v7
	s_waitcnt lgkmcnt(0)
	v_mul_f32_e32 v16, v15, v13
	v_mul_f32_e32 v13, v14, v13
	v_fma_f32 v14, v14, v12, -v16
	v_fmac_f32_e32 v13, v15, v12
	v_sub_f32_e32 v3, v3, v14
	v_sub_f32_e32 v4, v4, v13
.LBB161_187:
	s_or_b64 exec, exec, s[6:7]
	s_barrier
	s_and_saveexec_b64 s[6:7], s[42:43]
	s_cbranch_execz .LBB161_189
; %bb.188:
	v_mov_b32_e32 v12, 0
	ds_read_b64 v[12:13], v12 offset:29120
	s_waitcnt lgkmcnt(0)
	v_mul_f32_e32 v14, v4, v13
	v_mul_f32_e32 v15, v3, v13
	v_fma_f32 v3, v3, v12, -v14
	v_fmac_f32_e32 v15, v4, v12
	v_xor_b32_e32 v12, 0x80000000, v3
	v_xor_b32_e32 v13, 0x80000000, v15
	v_mov_b32_e32 v4, v15
	ds_write_b64 v7, v[12:13]
.LBB161_189:
	s_or_b64 exec, exec, s[6:7]
	s_waitcnt lgkmcnt(0)
	s_barrier
	s_barrier
	s_and_saveexec_b64 s[6:7], s[22:23]
; %bb.190:
	v_lshlrev_b32_e32 v12, 3, v5
	v_lshl_or_b32 v12, v6, 9, v12
	ds_write_b64 v12, v[3:4] offset:30144
; %bb.191:
	s_or_b64 exec, exec, s[6:7]
	s_waitcnt lgkmcnt(0)
	s_barrier
	s_barrier
	s_and_saveexec_b64 s[6:7], s[46:47]
	s_cbranch_execz .LBB161_193
; %bb.192:
	v_lshlrev_b32_e32 v12, 3, v0
	s_movk_i32 s12, 0x1f8
	v_mad_u32_u24 v13, v0, s12, v12
	ds_read_b64 v[3:4], v13 offset:30144
	s_waitcnt lgkmcnt(0)
	ds_write_b64 v12, v[3:4] offset:29136
	ds_read_b64 v[3:4], v13 offset:30152
	s_waitcnt lgkmcnt(0)
	ds_write_b64 v12, v[3:4] offset:29648
.LBB161_193:
	s_or_b64 exec, exec, s[6:7]
	s_waitcnt lgkmcnt(0)
	s_barrier
	s_and_saveexec_b64 s[6:7], vcc
	s_cbranch_execz .LBB161_195
; %bb.194:
	s_movk_i32 s12, 0x1c0
	v_mov_b32_e32 v3, 0
	v_add_u32_e64 v12, s12, 0
	ds_read_b64 v[3:4], v3 offset:29640
	ds_read2st64_b64 v[12:15], v12 offset0:56 offset1:57
	s_movk_i32 s12, 0x7000
	s_waitcnt lgkmcnt(0)
	v_mul_f32_e32 v16, v4, v13
	v_mul_f32_e32 v13, v3, v13
	v_fma_f32 v16, v3, v12, -v16
	v_fmac_f32_e32 v13, v4, v12
	v_mul_f32_e32 v3, v13, v15
	v_mul_f32_e32 v4, v16, v15
	v_fma_f32 v3, v16, v14, -v3
	v_fmac_f32_e32 v4, v13, v14
	v_add_u32_e64 v12, s12, 0
	ds_write2_b64 v12, v[3:4], v[3:4] offset0:57 offset1:120
.LBB161_195:
	s_or_b64 exec, exec, s[6:7]
	v_lshrrev_b32_e32 v14, 3, v8
	v_and_b32_e32 v12, 7, v0
	v_sub_u32_e32 v13, 7, v14
	v_cmp_lt_u32_e64 s[14:15], 63, v8
	v_cmp_gt_u32_e64 s[12:13], 64, v8
	v_mov_b32_e32 v4, 0
	v_mov_b32_e32 v3, 0
	s_waitcnt lgkmcnt(0)
	s_barrier
	buffer_wbinvl1_vol
	s_and_saveexec_b64 s[6:7], s[12:13]
	s_cbranch_execz .LBB161_205
; %bb.196:
	v_lshlrev_b32_e32 v15, 3, v12
	v_lshlrev_b32_e32 v16, 9, v13
	ds_read_b64 v[3:4], v15 offset:29056
	ds_read_b64 v[17:18], v16 offset:29120
	v_cmp_gt_u32_e64 s[18:19], 56, v8
	s_waitcnt lgkmcnt(0)
	v_mul_f32_e32 v19, v18, v4
	v_mul_f32_e32 v4, v17, v4
	v_fma_f32 v17, v17, v3, -v19
	v_fmac_f32_e32 v4, v18, v3
	v_add_f32_e32 v3, 0, v17
	v_add_f32_e32 v4, 0, v4
	s_and_saveexec_b64 s[20:21], s[18:19]
	s_cbranch_execnz .LBB161_1118
; %bb.197:
	s_or_b64 exec, exec, s[20:21]
	v_cmp_gt_u32_e64 s[18:19], 48, v8
	s_and_saveexec_b64 s[20:21], s[18:19]
	s_cbranch_execnz .LBB161_1119
.LBB161_198:
	s_or_b64 exec, exec, s[20:21]
	v_cmp_gt_u32_e64 s[18:19], 40, v8
	s_and_saveexec_b64 s[20:21], s[18:19]
	s_cbranch_execnz .LBB161_1120
.LBB161_199:
	s_or_b64 exec, exec, s[20:21]
	v_cmp_gt_u32_e64 s[18:19], 32, v8
	s_and_saveexec_b64 s[20:21], s[18:19]
	s_cbranch_execnz .LBB161_1121
.LBB161_200:
	s_or_b64 exec, exec, s[20:21]
	v_cmp_gt_u32_e64 s[18:19], 24, v8
	s_and_saveexec_b64 s[20:21], s[18:19]
	s_cbranch_execnz .LBB161_1122
.LBB161_201:
	s_or_b64 exec, exec, s[20:21]
	s_and_saveexec_b64 s[18:19], s[10:11]
	s_cbranch_execnz .LBB161_1123
.LBB161_202:
	s_or_b64 exec, exec, s[18:19]
	v_cmp_gt_u32_e64 s[18:19], 8, v8
	s_and_saveexec_b64 s[20:21], s[18:19]
	s_cbranch_execz .LBB161_204
.LBB161_203:
	v_lshlrev_b32_e32 v15, 3, v0
	v_mov_b32_e32 v17, 0
	ds_read_b64 v[15:16], v15 offset:32640
	ds_read_b64 v[17:18], v17 offset:32760
	s_waitcnt lgkmcnt(0)
	v_mul_f32_e32 v19, v18, v16
	v_mul_f32_e32 v16, v17, v16
	v_fma_f32 v17, v17, v15, -v19
	v_fmac_f32_e32 v16, v18, v15
	v_add_f32_e32 v3, v3, v17
	v_add_f32_e32 v4, v4, v16
.LBB161_204:
	s_or_b64 exec, exec, s[20:21]
.LBB161_205:
	s_or_b64 exec, exec, s[6:7]
	v_mov_b32_e32 v15, 0x8000
	v_cmp_eq_u32_e64 s[18:19], 7, v12
	s_xor_b64 s[6:7], s[14:15], -1
	v_lshl_add_u32 v14, v14, 3, v15
	s_and_b64 s[64:65], s[18:19], s[6:7]
	s_and_saveexec_b64 s[14:15], s[64:65]
	s_cbranch_execz .LBB161_207
; %bb.206:
	v_mov_b32_e32 v15, 0
	ds_read_b64 v[15:16], v15 offset:28600
	s_waitcnt lgkmcnt(0)
	v_mul_f32_e32 v17, v4, v16
	v_mul_f32_e32 v18, v3, v16
	v_fma_f32 v3, v3, v15, -v17
	v_fmac_f32_e32 v18, v4, v15
	v_xor_b32_e32 v15, 0x80000000, v3
	v_xor_b32_e32 v16, 0x80000000, v18
	v_mov_b32_e32 v4, v18
	ds_write_b64 v14, v[15:16]
.LBB161_207:
	s_or_b64 exec, exec, s[14:15]
	v_cmp_ne_u32_e64 s[14:15], 7, v12
	s_and_b64 s[66:67], s[14:15], s[6:7]
	s_waitcnt lgkmcnt(0)
	s_barrier
	s_and_saveexec_b64 s[14:15], s[66:67]
	s_cbranch_execz .LBB161_209
; %bb.208:
	v_lshlrev_b32_e32 v15, 3, v12
	ds_read_b64 v[15:16], v15 offset:28544
	ds_read_b64 v[17:18], v14
	s_waitcnt lgkmcnt(0)
	v_mul_f32_e32 v19, v18, v16
	v_mul_f32_e32 v16, v17, v16
	v_fma_f32 v17, v17, v15, -v19
	v_fmac_f32_e32 v16, v18, v15
	v_sub_f32_e32 v3, v3, v17
	v_sub_f32_e32 v4, v4, v16
.LBB161_209:
	s_or_b64 exec, exec, s[14:15]
	v_cmp_eq_u32_e64 s[14:15], 6, v12
	s_and_b64 s[68:69], s[14:15], s[6:7]
	s_barrier
	s_and_saveexec_b64 s[14:15], s[68:69]
	s_cbranch_execz .LBB161_211
; %bb.210:
	v_mov_b32_e32 v15, 0
	ds_read_b64 v[15:16], v15 offset:28080
	s_waitcnt lgkmcnt(0)
	v_mul_f32_e32 v17, v4, v16
	v_mul_f32_e32 v18, v3, v16
	v_fma_f32 v3, v3, v15, -v17
	v_fmac_f32_e32 v18, v4, v15
	v_xor_b32_e32 v15, 0x80000000, v3
	v_xor_b32_e32 v16, 0x80000000, v18
	v_mov_b32_e32 v4, v18
	ds_write_b64 v14, v[15:16]
.LBB161_211:
	s_or_b64 exec, exec, s[14:15]
	v_cmp_gt_u32_e64 s[14:15], 6, v12
	s_and_b64 s[70:71], s[14:15], s[6:7]
	s_waitcnt lgkmcnt(0)
	s_barrier
	s_and_saveexec_b64 s[14:15], s[70:71]
	s_cbranch_execz .LBB161_213
; %bb.212:
	v_lshlrev_b32_e32 v15, 3, v12
	ds_read_b64 v[15:16], v15 offset:28032
	ds_read_b64 v[17:18], v14
	s_waitcnt lgkmcnt(0)
	v_mul_f32_e32 v19, v18, v16
	v_mul_f32_e32 v16, v17, v16
	v_fma_f32 v17, v17, v15, -v19
	v_fmac_f32_e32 v16, v18, v15
	v_sub_f32_e32 v3, v3, v17
	v_sub_f32_e32 v4, v4, v16
.LBB161_213:
	s_or_b64 exec, exec, s[14:15]
	v_cmp_eq_u32_e64 s[14:15], 5, v12
	s_and_b64 s[72:73], s[14:15], s[6:7]
	s_barrier
	s_and_saveexec_b64 s[14:15], s[72:73]
	s_cbranch_execz .LBB161_215
; %bb.214:
	v_mov_b32_e32 v15, 0
	ds_read_b64 v[15:16], v15 offset:27560
	s_waitcnt lgkmcnt(0)
	v_mul_f32_e32 v17, v4, v16
	v_mul_f32_e32 v18, v3, v16
	v_fma_f32 v3, v3, v15, -v17
	v_fmac_f32_e32 v18, v4, v15
	v_xor_b32_e32 v15, 0x80000000, v3
	v_xor_b32_e32 v16, 0x80000000, v18
	v_mov_b32_e32 v4, v18
	ds_write_b64 v14, v[15:16]
.LBB161_215:
	s_or_b64 exec, exec, s[14:15]
	v_cmp_gt_u32_e64 s[14:15], 5, v12
	;; [unrolled: 38-line block ×5, first 2 shown]
	s_and_b64 s[86:87], s[14:15], s[6:7]
	s_waitcnt lgkmcnt(0)
	s_barrier
	s_and_saveexec_b64 s[14:15], s[86:87]
	s_cbranch_execz .LBB161_229
; %bb.228:
	v_lshlrev_b32_e32 v15, 3, v12
	ds_read_b64 v[15:16], v15 offset:25984
	ds_read_b64 v[17:18], v14
	s_waitcnt lgkmcnt(0)
	v_mul_f32_e32 v19, v18, v16
	v_mul_f32_e32 v16, v17, v16
	v_fma_f32 v17, v17, v15, -v19
	v_fmac_f32_e32 v16, v18, v15
	v_sub_f32_e32 v3, v3, v17
	v_sub_f32_e32 v4, v4, v16
.LBB161_229:
	s_or_b64 exec, exec, s[14:15]
	v_cmp_eq_u32_e64 s[14:15], 1, v12
	s_and_b64 s[88:89], s[14:15], s[6:7]
	s_barrier
	s_and_saveexec_b64 s[14:15], s[88:89]
	s_cbranch_execz .LBB161_231
; %bb.230:
	v_mov_b32_e32 v15, 0
	ds_read_b64 v[15:16], v15 offset:25480
	s_waitcnt lgkmcnt(0)
	v_mul_f32_e32 v17, v4, v16
	v_mul_f32_e32 v18, v3, v16
	v_fma_f32 v3, v3, v15, -v17
	v_fmac_f32_e32 v18, v4, v15
	v_xor_b32_e32 v15, 0x80000000, v3
	v_xor_b32_e32 v16, 0x80000000, v18
	v_mov_b32_e32 v4, v18
	ds_write_b64 v14, v[15:16]
.LBB161_231:
	s_or_b64 exec, exec, s[14:15]
	v_cmp_eq_u32_e64 s[14:15], 0, v12
	s_and_b64 s[62:63], s[14:15], s[6:7]
	s_waitcnt lgkmcnt(0)
	s_barrier
	s_and_saveexec_b64 s[6:7], s[62:63]
	s_cbranch_execz .LBB161_233
; %bb.232:
	v_mov_b32_e32 v15, 0
	ds_read_b64 v[15:16], v15 offset:25472
	ds_read_b64 v[17:18], v14
	s_waitcnt lgkmcnt(0)
	v_mul_f32_e32 v19, v18, v16
	v_mul_f32_e32 v16, v17, v16
	v_fma_f32 v17, v17, v15, -v19
	v_fmac_f32_e32 v16, v18, v15
	v_sub_f32_e32 v3, v3, v17
	v_sub_f32_e32 v4, v4, v16
.LBB161_233:
	s_or_b64 exec, exec, s[6:7]
	s_barrier
	s_and_saveexec_b64 s[6:7], s[62:63]
	s_cbranch_execz .LBB161_235
; %bb.234:
	v_mov_b32_e32 v15, 0
	ds_read_b64 v[15:16], v15 offset:24960
	s_waitcnt lgkmcnt(0)
	v_mul_f32_e32 v17, v4, v16
	v_mul_f32_e32 v18, v3, v16
	v_fma_f32 v3, v3, v15, -v17
	v_fmac_f32_e32 v18, v4, v15
	v_xor_b32_e32 v15, 0x80000000, v3
	v_xor_b32_e32 v16, 0x80000000, v18
	v_mov_b32_e32 v4, v18
	ds_write_b64 v14, v[15:16]
.LBB161_235:
	s_or_b64 exec, exec, s[6:7]
	s_waitcnt lgkmcnt(0)
	s_barrier
	s_barrier
	s_and_saveexec_b64 s[6:7], s[12:13]
; %bb.236:
	v_lshlrev_b32_e32 v15, 3, v12
	v_lshl_or_b32 v15, v13, 9, v15
	ds_write_b64 v15, v[3:4] offset:29056
; %bb.237:
	s_or_b64 exec, exec, s[6:7]
	v_cmp_gt_u32_e64 s[14:15], 8, v0
	s_and_b64 s[90:91], s[16:17], s[14:15]
	s_waitcnt lgkmcnt(0)
	s_barrier
	s_barrier
	s_and_saveexec_b64 s[6:7], s[90:91]
	s_cbranch_execz .LBB161_239
; %bb.238:
	v_lshlrev_b32_e32 v15, 9, v0
	ds_read_b64 v[3:4], v15 offset:29056
	s_movk_i32 s14, 0xfe08
	v_mad_i32_i24 v16, v0, s14, v15
	s_waitcnt lgkmcnt(0)
	ds_write_b64 v16, v[3:4] offset:25024
	ds_read_b64 v[3:4], v15 offset:29064
	s_waitcnt lgkmcnt(0)
	ds_write_b64 v16, v[3:4] offset:25536
	ds_read_b64 v[3:4], v15 offset:29072
	s_waitcnt lgkmcnt(0)
	ds_write_b64 v16, v[3:4] offset:26048
	ds_read_b64 v[3:4], v15 offset:29080
	s_waitcnt lgkmcnt(0)
	ds_write_b64 v16, v[3:4] offset:26560
	ds_read_b64 v[3:4], v15 offset:29088
	s_waitcnt lgkmcnt(0)
	ds_write_b64 v16, v[3:4] offset:27072
	ds_read_b64 v[3:4], v15 offset:29096
	s_waitcnt lgkmcnt(0)
	ds_write_b64 v16, v[3:4] offset:27584
	ds_read_b64 v[3:4], v15 offset:29104
	s_waitcnt lgkmcnt(0)
	ds_write_b64 v16, v[3:4] offset:28096
	ds_read_b64 v[3:4], v15 offset:29112
	s_waitcnt lgkmcnt(0)
	ds_write_b64 v16, v[3:4] offset:28608
.LBB161_239:
	s_or_b64 exec, exec, s[6:7]
	s_waitcnt lgkmcnt(0)
	s_barrier
	s_and_saveexec_b64 s[6:7], vcc
	s_cbranch_execz .LBB161_241
; %bb.240:
	s_movk_i32 s14, 0x1b0
	v_mov_b32_e32 v3, 0
	v_add_u32_e64 v15, s14, 0
	ds_read_b64 v[3:4], v3 offset:28600
	ds_read2st64_b64 v[15:18], v15 offset0:54 offset1:55
	s_movk_i32 s14, 0x6800
	s_waitcnt lgkmcnt(0)
	v_mul_f32_e32 v19, v4, v16
	v_mul_f32_e32 v16, v3, v16
	v_fma_f32 v19, v3, v15, -v19
	v_fmac_f32_e32 v16, v4, v15
	v_mul_f32_e32 v3, v16, v18
	v_mul_f32_e32 v4, v19, v18
	v_fma_f32 v3, v19, v17, -v3
	v_fmac_f32_e32 v4, v16, v17
	v_add_u32_e64 v15, s14, 0
	ds_write2_b64 v15, v[3:4], v[3:4] offset0:183 offset1:246
.LBB161_241:
	s_or_b64 exec, exec, s[6:7]
	v_mov_b32_e32 v3, 0
	v_mov_b32_e32 v4, 0
	s_waitcnt lgkmcnt(0)
	s_barrier
	buffer_wbinvl1_vol
	s_and_saveexec_b64 s[6:7], s[22:23]
	s_cbranch_execz .LBB161_245
; %bb.242:
	v_lshlrev_b32_e32 v3, 3, v5
	v_lshlrev_b32_e32 v15, 9, v6
	ds_read_b64 v[3:4], v3 offset:28064
	ds_read_b64 v[15:16], v15 offset:28080
	v_cmp_gt_u32_e64 s[14:15], 2, v8
	s_waitcnt lgkmcnt(0)
	v_mul_f32_e32 v17, v16, v4
	v_mul_f32_e32 v4, v15, v4
	v_fma_f32 v15, v15, v3, -v17
	v_fmac_f32_e32 v4, v16, v3
	v_add_f32_e32 v3, 0, v15
	v_add_f32_e32 v4, 0, v4
	s_and_saveexec_b64 s[18:19], s[14:15]
	s_cbranch_execz .LBB161_244
; %bb.243:
	v_lshlrev_b32_e32 v15, 3, v0
	v_mov_b32_e32 v17, 0
	ds_read_b64 v[15:16], v15 offset:28576
	ds_read_b64 v[17:18], v17 offset:28600
	s_waitcnt lgkmcnt(0)
	v_mul_f32_e32 v19, v18, v16
	v_mul_f32_e32 v16, v17, v16
	v_fma_f32 v17, v17, v15, -v19
	v_fmac_f32_e32 v16, v18, v15
	v_add_f32_e32 v3, v3, v17
	v_add_f32_e32 v4, v4, v16
.LBB161_244:
	s_or_b64 exec, exec, s[18:19]
.LBB161_245:
	s_or_b64 exec, exec, s[6:7]
	s_and_saveexec_b64 s[6:7], s[44:45]
	s_cbranch_execz .LBB161_247
; %bb.246:
	v_mov_b32_e32 v15, 0
	ds_read_b64 v[15:16], v15 offset:27560
	s_waitcnt lgkmcnt(0)
	v_mul_f32_e32 v17, v4, v16
	v_mul_f32_e32 v18, v3, v16
	v_fma_f32 v3, v3, v15, -v17
	v_fmac_f32_e32 v18, v4, v15
	v_xor_b32_e32 v15, 0x80000000, v3
	v_xor_b32_e32 v16, 0x80000000, v18
	v_mov_b32_e32 v4, v18
	ds_write_b64 v7, v[15:16]
.LBB161_247:
	s_or_b64 exec, exec, s[6:7]
	s_waitcnt lgkmcnt(0)
	s_barrier
	s_and_saveexec_b64 s[6:7], s[42:43]
	s_cbranch_execz .LBB161_249
; %bb.248:
	v_mov_b32_e32 v15, 0
	ds_read_b64 v[15:16], v15 offset:27552
	ds_read_b64 v[17:18], v7
	s_waitcnt lgkmcnt(0)
	v_mul_f32_e32 v19, v18, v16
	v_mul_f32_e32 v16, v17, v16
	v_fma_f32 v17, v17, v15, -v19
	v_fmac_f32_e32 v16, v18, v15
	v_sub_f32_e32 v3, v3, v17
	v_sub_f32_e32 v4, v4, v16
.LBB161_249:
	s_or_b64 exec, exec, s[6:7]
	s_barrier
	s_and_saveexec_b64 s[6:7], s[42:43]
	s_cbranch_execz .LBB161_251
; %bb.250:
	v_mov_b32_e32 v15, 0
	ds_read_b64 v[15:16], v15 offset:27040
	s_waitcnt lgkmcnt(0)
	v_mul_f32_e32 v17, v4, v16
	v_mul_f32_e32 v18, v3, v16
	v_fma_f32 v3, v3, v15, -v17
	v_fmac_f32_e32 v18, v4, v15
	v_xor_b32_e32 v15, 0x80000000, v3
	v_xor_b32_e32 v16, 0x80000000, v18
	v_mov_b32_e32 v4, v18
	ds_write_b64 v7, v[15:16]
.LBB161_251:
	s_or_b64 exec, exec, s[6:7]
	s_waitcnt lgkmcnt(0)
	s_barrier
	s_barrier
	s_and_saveexec_b64 s[6:7], s[22:23]
; %bb.252:
	v_lshlrev_b32_e32 v15, 3, v5
	v_lshl_or_b32 v15, v6, 9, v15
	ds_write_b64 v15, v[3:4] offset:28064
; %bb.253:
	s_or_b64 exec, exec, s[6:7]
	s_waitcnt lgkmcnt(0)
	s_barrier
	s_barrier
	s_and_saveexec_b64 s[6:7], s[46:47]
	s_cbranch_execz .LBB161_255
; %bb.254:
	v_lshlrev_b32_e32 v15, 3, v0
	s_movk_i32 s14, 0x1f8
	v_mad_u32_u24 v16, v0, s14, v15
	ds_read_b64 v[3:4], v16 offset:28064
	s_waitcnt lgkmcnt(0)
	ds_write_b64 v15, v[3:4] offset:27056
	ds_read_b64 v[3:4], v16 offset:28072
	s_waitcnt lgkmcnt(0)
	ds_write_b64 v15, v[3:4] offset:27568
.LBB161_255:
	s_or_b64 exec, exec, s[6:7]
	s_waitcnt lgkmcnt(0)
	s_barrier
	s_and_saveexec_b64 s[6:7], vcc
	s_cbranch_execz .LBB161_257
; %bb.256:
	s_movk_i32 s14, 0x1a0
	v_mov_b32_e32 v3, 0
	v_add_u32_e64 v15, s14, 0
	ds_read_b64 v[3:4], v3 offset:27560
	ds_read2st64_b64 v[15:18], v15 offset0:52 offset1:53
	s_movk_i32 s14, 0x6800
	s_waitcnt lgkmcnt(0)
	v_mul_f32_e32 v19, v4, v16
	v_mul_f32_e32 v16, v3, v16
	v_fma_f32 v19, v3, v15, -v19
	v_fmac_f32_e32 v16, v4, v15
	v_mul_f32_e32 v3, v16, v18
	v_mul_f32_e32 v4, v19, v18
	v_fma_f32 v3, v19, v17, -v3
	v_fmac_f32_e32 v4, v16, v17
	v_add_u32_e64 v15, s14, 0
	ds_write2_b64 v15, v[3:4], v[3:4] offset0:53 offset1:116
.LBB161_257:
	s_or_b64 exec, exec, s[6:7]
	v_mov_b32_e32 v4, 0
	v_mov_b32_e32 v3, 0
	s_waitcnt lgkmcnt(0)
	s_barrier
	buffer_wbinvl1_vol
	s_and_saveexec_b64 s[6:7], s[10:11]
	s_cbranch_execz .LBB161_263
; %bb.258:
	v_lshlrev_b32_e32 v15, 3, v9
	v_lshlrev_b32_e32 v16, 9, v10
	ds_read_b64 v[3:4], v15 offset:27008
	ds_read_b64 v[17:18], v16 offset:27040
	v_cmp_gt_u32_e64 s[14:15], 12, v8
	s_waitcnt lgkmcnt(0)
	v_mul_f32_e32 v19, v18, v4
	v_mul_f32_e32 v4, v17, v4
	v_fma_f32 v17, v17, v3, -v19
	v_fmac_f32_e32 v4, v18, v3
	v_add_f32_e32 v3, 0, v17
	v_add_f32_e32 v4, 0, v4
	s_and_saveexec_b64 s[18:19], s[14:15]
	s_cbranch_execnz .LBB161_1124
; %bb.259:
	s_or_b64 exec, exec, s[18:19]
	v_cmp_gt_u32_e64 s[14:15], 8, v8
	s_and_saveexec_b64 s[18:19], s[14:15]
	s_cbranch_execnz .LBB161_1125
.LBB161_260:
	s_or_b64 exec, exec, s[18:19]
	v_cmp_gt_u32_e64 s[14:15], 4, v8
	s_and_saveexec_b64 s[18:19], s[14:15]
	s_cbranch_execz .LBB161_262
.LBB161_261:
	v_lshlrev_b32_e32 v15, 3, v0
	v_mov_b32_e32 v17, 0
	ds_read_b64 v[15:16], v15 offset:28544
	ds_read_b64 v[17:18], v17 offset:28600
	s_waitcnt lgkmcnt(0)
	v_mul_f32_e32 v19, v18, v16
	v_mul_f32_e32 v16, v17, v16
	v_fma_f32 v17, v17, v15, -v19
	v_fmac_f32_e32 v16, v18, v15
	v_add_f32_e32 v3, v3, v17
	v_add_f32_e32 v4, v4, v16
.LBB161_262:
	s_or_b64 exec, exec, s[18:19]
.LBB161_263:
	s_or_b64 exec, exec, s[6:7]
	s_and_saveexec_b64 s[6:7], s[50:51]
	s_cbranch_execz .LBB161_265
; %bb.264:
	v_mov_b32_e32 v15, 0
	ds_read_b64 v[15:16], v15 offset:26520
	s_waitcnt lgkmcnt(0)
	v_mul_f32_e32 v17, v4, v16
	v_mul_f32_e32 v18, v3, v16
	v_fma_f32 v3, v3, v15, -v17
	v_fmac_f32_e32 v18, v4, v15
	v_xor_b32_e32 v15, 0x80000000, v3
	v_xor_b32_e32 v16, 0x80000000, v18
	v_mov_b32_e32 v4, v18
	ds_write_b64 v11, v[15:16]
.LBB161_265:
	s_or_b64 exec, exec, s[6:7]
	s_waitcnt lgkmcnt(0)
	s_barrier
	s_and_saveexec_b64 s[6:7], s[52:53]
	s_cbranch_execz .LBB161_267
; %bb.266:
	v_lshlrev_b32_e32 v15, 3, v9
	ds_read_b64 v[15:16], v15 offset:26496
	ds_read_b64 v[17:18], v11
	s_waitcnt lgkmcnt(0)
	v_mul_f32_e32 v19, v18, v16
	v_mul_f32_e32 v16, v17, v16
	v_fma_f32 v17, v17, v15, -v19
	v_fmac_f32_e32 v16, v18, v15
	v_sub_f32_e32 v3, v3, v17
	v_sub_f32_e32 v4, v4, v16
.LBB161_267:
	s_or_b64 exec, exec, s[6:7]
	s_barrier
	s_and_saveexec_b64 s[6:7], s[54:55]
	s_cbranch_execz .LBB161_269
; %bb.268:
	v_mov_b32_e32 v15, 0
	ds_read_b64 v[15:16], v15 offset:26000
	s_waitcnt lgkmcnt(0)
	v_mul_f32_e32 v17, v4, v16
	v_mul_f32_e32 v18, v3, v16
	v_fma_f32 v3, v3, v15, -v17
	v_fmac_f32_e32 v18, v4, v15
	v_xor_b32_e32 v15, 0x80000000, v3
	v_xor_b32_e32 v16, 0x80000000, v18
	v_mov_b32_e32 v4, v18
	ds_write_b64 v11, v[15:16]
.LBB161_269:
	s_or_b64 exec, exec, s[6:7]
	s_waitcnt lgkmcnt(0)
	s_barrier
	s_and_saveexec_b64 s[6:7], s[56:57]
	s_cbranch_execz .LBB161_271
; %bb.270:
	v_lshlrev_b32_e32 v15, 3, v9
	ds_read_b64 v[15:16], v15 offset:25984
	ds_read_b64 v[17:18], v11
	s_waitcnt lgkmcnt(0)
	v_mul_f32_e32 v19, v18, v16
	v_mul_f32_e32 v16, v17, v16
	v_fma_f32 v17, v17, v15, -v19
	v_fmac_f32_e32 v16, v18, v15
	v_sub_f32_e32 v3, v3, v17
	v_sub_f32_e32 v4, v4, v16
.LBB161_271:
	s_or_b64 exec, exec, s[6:7]
	s_barrier
	s_and_saveexec_b64 s[6:7], s[58:59]
	s_cbranch_execz .LBB161_273
; %bb.272:
	v_mov_b32_e32 v15, 0
	ds_read_b64 v[15:16], v15 offset:25480
	s_waitcnt lgkmcnt(0)
	v_mul_f32_e32 v17, v4, v16
	v_mul_f32_e32 v18, v3, v16
	v_fma_f32 v3, v3, v15, -v17
	v_fmac_f32_e32 v18, v4, v15
	v_xor_b32_e32 v15, 0x80000000, v3
	v_xor_b32_e32 v16, 0x80000000, v18
	v_mov_b32_e32 v4, v18
	ds_write_b64 v11, v[15:16]
.LBB161_273:
	s_or_b64 exec, exec, s[6:7]
	s_waitcnt lgkmcnt(0)
	s_barrier
	s_and_saveexec_b64 s[6:7], s[48:49]
	s_cbranch_execz .LBB161_275
; %bb.274:
	v_mov_b32_e32 v15, 0
	ds_read_b64 v[15:16], v15 offset:25472
	ds_read_b64 v[17:18], v11
	s_waitcnt lgkmcnt(0)
	v_mul_f32_e32 v19, v18, v16
	v_mul_f32_e32 v16, v17, v16
	v_fma_f32 v17, v17, v15, -v19
	v_fmac_f32_e32 v16, v18, v15
	v_sub_f32_e32 v3, v3, v17
	v_sub_f32_e32 v4, v4, v16
.LBB161_275:
	s_or_b64 exec, exec, s[6:7]
	s_barrier
	s_and_saveexec_b64 s[6:7], s[48:49]
	s_cbranch_execz .LBB161_277
; %bb.276:
	v_mov_b32_e32 v15, 0
	ds_read_b64 v[15:16], v15 offset:24960
	s_waitcnt lgkmcnt(0)
	v_mul_f32_e32 v17, v4, v16
	v_mul_f32_e32 v18, v3, v16
	v_fma_f32 v3, v3, v15, -v17
	v_fmac_f32_e32 v18, v4, v15
	v_xor_b32_e32 v15, 0x80000000, v3
	v_xor_b32_e32 v16, 0x80000000, v18
	v_mov_b32_e32 v4, v18
	ds_write_b64 v11, v[15:16]
.LBB161_277:
	s_or_b64 exec, exec, s[6:7]
	s_waitcnt lgkmcnt(0)
	s_barrier
	s_barrier
	s_and_saveexec_b64 s[6:7], s[10:11]
; %bb.278:
	v_lshlrev_b32_e32 v15, 3, v9
	v_lshl_or_b32 v15, v10, 9, v15
	ds_write_b64 v15, v[3:4] offset:27008
; %bb.279:
	s_or_b64 exec, exec, s[6:7]
	s_waitcnt lgkmcnt(0)
	s_barrier
	s_barrier
	s_and_saveexec_b64 s[6:7], s[60:61]
	s_cbranch_execz .LBB161_281
; %bb.280:
	v_lshlrev_b32_e32 v15, 9, v0
	ds_read_b64 v[3:4], v15 offset:27008
	s_movk_i32 s14, 0xfe08
	v_mad_i32_i24 v16, v0, s14, v15
	s_waitcnt lgkmcnt(0)
	ds_write_b64 v16, v[3:4] offset:24992
	ds_read_b64 v[3:4], v15 offset:27016
	s_waitcnt lgkmcnt(0)
	ds_write_b64 v16, v[3:4] offset:25504
	ds_read_b64 v[3:4], v15 offset:27024
	;; [unrolled: 3-line block ×3, first 2 shown]
	s_waitcnt lgkmcnt(0)
	ds_write_b64 v16, v[3:4] offset:26528
.LBB161_281:
	s_or_b64 exec, exec, s[6:7]
	s_waitcnt lgkmcnt(0)
	s_barrier
	s_and_saveexec_b64 s[6:7], vcc
	s_cbranch_execz .LBB161_283
; %bb.282:
	s_movk_i32 s14, 0x190
	v_mov_b32_e32 v3, 0
	v_add_u32_e64 v15, s14, 0
	ds_read_b64 v[3:4], v3 offset:26520
	ds_read2st64_b64 v[15:18], v15 offset0:50 offset1:51
	s_movk_i32 s14, 0x6000
	s_waitcnt lgkmcnt(0)
	v_mul_f32_e32 v19, v4, v16
	v_mul_f32_e32 v16, v3, v16
	v_fma_f32 v19, v3, v15, -v19
	v_fmac_f32_e32 v16, v4, v15
	v_mul_f32_e32 v3, v16, v18
	v_mul_f32_e32 v4, v19, v18
	v_fma_f32 v3, v19, v17, -v3
	v_fmac_f32_e32 v4, v16, v17
	v_add_u32_e64 v15, s14, 0
	ds_write2_b64 v15, v[3:4], v[3:4] offset0:179 offset1:242
.LBB161_283:
	s_or_b64 exec, exec, s[6:7]
	v_mov_b32_e32 v3, 0
	v_mov_b32_e32 v4, 0
	s_waitcnt lgkmcnt(0)
	s_barrier
	buffer_wbinvl1_vol
	s_and_saveexec_b64 s[6:7], s[22:23]
	s_cbranch_execz .LBB161_287
; %bb.284:
	v_lshlrev_b32_e32 v3, 3, v5
	v_lshlrev_b32_e32 v15, 9, v6
	ds_read_b64 v[3:4], v3 offset:25984
	ds_read_b64 v[15:16], v15 offset:26000
	v_cmp_gt_u32_e64 s[14:15], 2, v8
	s_waitcnt lgkmcnt(0)
	v_mul_f32_e32 v17, v16, v4
	v_mul_f32_e32 v4, v15, v4
	v_fma_f32 v15, v15, v3, -v17
	v_fmac_f32_e32 v4, v16, v3
	v_add_f32_e32 v3, 0, v15
	v_add_f32_e32 v4, 0, v4
	s_and_saveexec_b64 s[18:19], s[14:15]
	s_cbranch_execz .LBB161_286
; %bb.285:
	v_lshlrev_b32_e32 v15, 3, v0
	v_mov_b32_e32 v17, 0
	ds_read_b64 v[15:16], v15 offset:26496
	ds_read_b64 v[17:18], v17 offset:26520
	s_waitcnt lgkmcnt(0)
	v_mul_f32_e32 v19, v18, v16
	v_mul_f32_e32 v16, v17, v16
	v_fma_f32 v17, v17, v15, -v19
	v_fmac_f32_e32 v16, v18, v15
	v_add_f32_e32 v3, v3, v17
	v_add_f32_e32 v4, v4, v16
.LBB161_286:
	s_or_b64 exec, exec, s[18:19]
.LBB161_287:
	s_or_b64 exec, exec, s[6:7]
	s_and_saveexec_b64 s[6:7], s[44:45]
	s_cbranch_execz .LBB161_289
; %bb.288:
	v_mov_b32_e32 v15, 0
	ds_read_b64 v[15:16], v15 offset:25480
	s_waitcnt lgkmcnt(0)
	v_mul_f32_e32 v17, v4, v16
	v_mul_f32_e32 v18, v3, v16
	v_fma_f32 v3, v3, v15, -v17
	v_fmac_f32_e32 v18, v4, v15
	v_xor_b32_e32 v15, 0x80000000, v3
	v_xor_b32_e32 v16, 0x80000000, v18
	v_mov_b32_e32 v4, v18
	ds_write_b64 v7, v[15:16]
.LBB161_289:
	s_or_b64 exec, exec, s[6:7]
	s_waitcnt lgkmcnt(0)
	s_barrier
	s_and_saveexec_b64 s[6:7], s[42:43]
	s_cbranch_execz .LBB161_291
; %bb.290:
	v_mov_b32_e32 v15, 0
	ds_read_b64 v[15:16], v15 offset:25472
	ds_read_b64 v[17:18], v7
	s_waitcnt lgkmcnt(0)
	v_mul_f32_e32 v19, v18, v16
	v_mul_f32_e32 v16, v17, v16
	v_fma_f32 v17, v17, v15, -v19
	v_fmac_f32_e32 v16, v18, v15
	v_sub_f32_e32 v3, v3, v17
	v_sub_f32_e32 v4, v4, v16
.LBB161_291:
	s_or_b64 exec, exec, s[6:7]
	s_barrier
	s_and_saveexec_b64 s[6:7], s[42:43]
	s_cbranch_execz .LBB161_293
; %bb.292:
	v_mov_b32_e32 v15, 0
	ds_read_b64 v[15:16], v15 offset:24960
	s_waitcnt lgkmcnt(0)
	v_mul_f32_e32 v17, v4, v16
	v_mul_f32_e32 v18, v3, v16
	v_fma_f32 v3, v3, v15, -v17
	v_fmac_f32_e32 v18, v4, v15
	v_xor_b32_e32 v15, 0x80000000, v3
	v_xor_b32_e32 v16, 0x80000000, v18
	v_mov_b32_e32 v4, v18
	ds_write_b64 v7, v[15:16]
.LBB161_293:
	s_or_b64 exec, exec, s[6:7]
	s_waitcnt lgkmcnt(0)
	s_barrier
	s_barrier
	s_and_saveexec_b64 s[6:7], s[22:23]
; %bb.294:
	v_lshlrev_b32_e32 v15, 3, v5
	v_lshl_or_b32 v15, v6, 9, v15
	ds_write_b64 v15, v[3:4] offset:25984
; %bb.295:
	s_or_b64 exec, exec, s[6:7]
	s_waitcnt lgkmcnt(0)
	s_barrier
	s_barrier
	s_and_saveexec_b64 s[6:7], s[46:47]
	s_cbranch_execz .LBB161_297
; %bb.296:
	v_lshlrev_b32_e32 v15, 3, v0
	s_movk_i32 s14, 0x1f8
	v_mad_u32_u24 v16, v0, s14, v15
	ds_read_b64 v[3:4], v16 offset:25984
	s_waitcnt lgkmcnt(0)
	ds_write_b64 v15, v[3:4] offset:24976
	ds_read_b64 v[3:4], v16 offset:25992
	s_waitcnt lgkmcnt(0)
	ds_write_b64 v15, v[3:4] offset:25488
.LBB161_297:
	s_or_b64 exec, exec, s[6:7]
	s_waitcnt lgkmcnt(0)
	s_barrier
	s_and_saveexec_b64 s[6:7], vcc
	s_cbranch_execz .LBB161_299
; %bb.298:
	s_movk_i32 s14, 0x180
	v_mov_b32_e32 v3, 0
	v_add_u32_e64 v15, s14, 0
	ds_read_b64 v[3:4], v3 offset:25480
	ds_read2st64_b64 v[15:18], v15 offset0:48 offset1:49
	s_movk_i32 s14, 0x6000
	s_waitcnt lgkmcnt(0)
	v_mul_f32_e32 v19, v4, v16
	v_mul_f32_e32 v16, v3, v16
	v_fma_f32 v19, v3, v15, -v19
	v_fmac_f32_e32 v16, v4, v15
	v_mul_f32_e32 v3, v16, v18
	v_mul_f32_e32 v4, v19, v18
	v_fma_f32 v3, v19, v17, -v3
	v_fmac_f32_e32 v4, v16, v17
	v_add_u32_e64 v15, s14, 0
	ds_write2_b64 v15, v[3:4], v[3:4] offset0:49 offset1:112
.LBB161_299:
	s_or_b64 exec, exec, s[6:7]
	s_movk_i32 s6, 0xff
	v_lshrrev_b32_e32 v17, 4, v8
	v_cmp_lt_u32_e64 s[18:19], s6, v8
	s_movk_i32 s6, 0x100
	v_and_b32_e32 v15, 15, v0
	v_sub_u32_e32 v16, 15, v17
	v_cmp_gt_u32_e64 s[14:15], s6, v8
	v_mov_b32_e32 v4, 0
	v_mov_b32_e32 v3, 0
	s_waitcnt lgkmcnt(0)
	s_barrier
	buffer_wbinvl1_vol
	s_and_saveexec_b64 s[6:7], s[14:15]
	s_cbranch_execz .LBB161_327
; %bb.300:
	v_lshlrev_b32_e32 v18, 3, v15
	v_lshlrev_b32_e32 v19, 9, v16
	ds_read_b64 v[3:4], v18 offset:24832
	ds_read_b64 v[20:21], v19 offset:24960
	s_movk_i32 s20, 0xf0
	v_cmp_gt_u32_e64 s[20:21], s20, v8
	s_waitcnt lgkmcnt(0)
	v_mul_f32_e32 v22, v21, v4
	v_mul_f32_e32 v4, v20, v4
	v_fma_f32 v20, v20, v3, -v22
	v_fmac_f32_e32 v4, v21, v3
	v_add_f32_e32 v3, 0, v20
	v_add_f32_e32 v4, 0, v4
	s_and_saveexec_b64 s[24:25], s[20:21]
	s_cbranch_execz .LBB161_302
; %bb.301:
	ds_read_b64 v[20:21], v18 offset:25344
	ds_read_b64 v[22:23], v19 offset:24968
	s_waitcnt lgkmcnt(0)
	v_mul_f32_e32 v24, v23, v21
	v_mul_f32_e32 v21, v22, v21
	v_fma_f32 v22, v22, v20, -v24
	v_fmac_f32_e32 v21, v23, v20
	v_add_f32_e32 v3, v3, v22
	v_add_f32_e32 v4, v4, v21
.LBB161_302:
	s_or_b64 exec, exec, s[24:25]
	s_movk_i32 s20, 0xe0
	v_cmp_gt_u32_e64 s[20:21], s20, v8
	s_and_saveexec_b64 s[24:25], s[20:21]
	s_cbranch_execz .LBB161_304
; %bb.303:
	ds_read_b64 v[20:21], v18 offset:25856
	ds_read_b64 v[22:23], v19 offset:24976
	s_waitcnt lgkmcnt(0)
	v_mul_f32_e32 v24, v23, v21
	v_mul_f32_e32 v21, v22, v21
	v_fma_f32 v22, v22, v20, -v24
	v_fmac_f32_e32 v21, v23, v20
	v_add_f32_e32 v3, v3, v22
	v_add_f32_e32 v4, v4, v21
.LBB161_304:
	s_or_b64 exec, exec, s[24:25]
	s_movk_i32 s20, 0xd0
	v_cmp_gt_u32_e64 s[20:21], s20, v8
	;; [unrolled: 16-line block ×10, first 2 shown]
	s_and_saveexec_b64 s[24:25], s[20:21]
	s_cbranch_execnz .LBB161_1126
; %bb.321:
	s_or_b64 exec, exec, s[24:25]
	s_and_saveexec_b64 s[20:21], s[12:13]
	s_cbranch_execnz .LBB161_1127
.LBB161_322:
	s_or_b64 exec, exec, s[20:21]
	v_cmp_gt_u32_e64 s[20:21], 48, v8
	s_and_saveexec_b64 s[24:25], s[20:21]
	s_cbranch_execnz .LBB161_1128
.LBB161_323:
	s_or_b64 exec, exec, s[24:25]
	v_cmp_gt_u32_e64 s[20:21], 32, v8
	s_and_saveexec_b64 s[24:25], s[20:21]
	s_cbranch_execnz .LBB161_1129
.LBB161_324:
	s_or_b64 exec, exec, s[24:25]
	v_cmp_gt_u32_e64 s[20:21], 16, v8
	s_and_saveexec_b64 s[24:25], s[20:21]
	s_cbranch_execz .LBB161_326
.LBB161_325:
	v_lshlrev_b32_e32 v18, 3, v0
	v_mov_b32_e32 v20, 0
	ds_read_b64 v[18:19], v18 offset:32512
	ds_read_b64 v[20:21], v20 offset:32760
	s_waitcnt lgkmcnt(0)
	v_mul_f32_e32 v22, v21, v19
	v_mul_f32_e32 v19, v20, v19
	v_fma_f32 v20, v20, v18, -v22
	v_fmac_f32_e32 v19, v21, v18
	v_add_f32_e32 v3, v3, v20
	v_add_f32_e32 v4, v4, v19
.LBB161_326:
	s_or_b64 exec, exec, s[24:25]
.LBB161_327:
	s_or_b64 exec, exec, s[6:7]
	v_mov_b32_e32 v18, 0x8000
	v_lshl_add_u32 v17, v17, 3, v18
	v_cmp_eq_u32_e64 s[20:21], 15, v15
	s_xor_b64 s[24:25], s[18:19], -1
	s_and_b64 s[18:19], s[20:21], s[24:25]
	s_mov_b64 s[6:7], exec
	v_writelane_b32 v30, s18, 5
	v_writelane_b32 v30, s19, 6
	s_and_b64 s[18:19], s[6:7], s[18:19]
	s_mov_b64 exec, s[18:19]
	s_cbranch_execz .LBB161_329
; %bb.328:
	v_mov_b32_e32 v18, 0
	ds_read_b64 v[18:19], v18 offset:24440
	s_waitcnt lgkmcnt(0)
	v_mul_f32_e32 v20, v4, v19
	v_mul_f32_e32 v21, v3, v19
	v_fma_f32 v3, v3, v18, -v20
	v_fmac_f32_e32 v21, v4, v18
	v_xor_b32_e32 v18, 0x80000000, v3
	v_xor_b32_e32 v19, 0x80000000, v21
	v_mov_b32_e32 v4, v21
	ds_write_b64 v17, v[18:19]
.LBB161_329:
	s_or_b64 exec, exec, s[6:7]
	v_cmp_ne_u32_e64 s[18:19], 15, v15
	s_waitcnt lgkmcnt(0)
	s_barrier
	s_and_b64 s[18:19], s[18:19], s[24:25]
	s_mov_b64 s[6:7], exec
	v_writelane_b32 v30, s18, 7
	v_writelane_b32 v30, s19, 8
	s_and_b64 s[18:19], s[6:7], s[18:19]
	s_mov_b64 exec, s[18:19]
	s_cbranch_execz .LBB161_331
; %bb.330:
	v_lshlrev_b32_e32 v18, 3, v15
	ds_read_b64 v[18:19], v18 offset:24320
	ds_read_b64 v[20:21], v17
	s_waitcnt lgkmcnt(0)
	v_mul_f32_e32 v22, v21, v19
	v_mul_f32_e32 v19, v20, v19
	v_fma_f32 v20, v20, v18, -v22
	v_fmac_f32_e32 v19, v21, v18
	v_sub_f32_e32 v3, v3, v20
	v_sub_f32_e32 v4, v4, v19
.LBB161_331:
	s_or_b64 exec, exec, s[6:7]
	v_cmp_eq_u32_e64 s[18:19], 14, v15
	s_barrier
	s_and_b64 s[18:19], s[18:19], s[24:25]
	s_mov_b64 s[6:7], exec
	v_writelane_b32 v30, s18, 9
	v_writelane_b32 v30, s19, 10
	s_and_b64 s[18:19], s[6:7], s[18:19]
	s_mov_b64 exec, s[18:19]
	s_cbranch_execz .LBB161_333
; %bb.332:
	v_mov_b32_e32 v18, 0
	ds_read_b64 v[18:19], v18 offset:23920
	s_waitcnt lgkmcnt(0)
	v_mul_f32_e32 v20, v4, v19
	v_mul_f32_e32 v21, v3, v19
	v_fma_f32 v3, v3, v18, -v20
	v_fmac_f32_e32 v21, v4, v18
	v_xor_b32_e32 v18, 0x80000000, v3
	v_xor_b32_e32 v19, 0x80000000, v21
	v_mov_b32_e32 v4, v21
	ds_write_b64 v17, v[18:19]
.LBB161_333:
	s_or_b64 exec, exec, s[6:7]
	v_cmp_gt_u32_e64 s[18:19], 14, v15
	s_waitcnt lgkmcnt(0)
	s_barrier
	s_and_b64 s[18:19], s[18:19], s[24:25]
	s_mov_b64 s[6:7], exec
	v_writelane_b32 v30, s18, 11
	v_writelane_b32 v30, s19, 12
	s_and_b64 s[18:19], s[6:7], s[18:19]
	s_mov_b64 exec, s[18:19]
	s_cbranch_execz .LBB161_335
; %bb.334:
	v_lshlrev_b32_e32 v18, 3, v15
	ds_read_b64 v[18:19], v18 offset:23808
	ds_read_b64 v[20:21], v17
	s_waitcnt lgkmcnt(0)
	v_mul_f32_e32 v22, v21, v19
	v_mul_f32_e32 v19, v20, v19
	v_fma_f32 v20, v20, v18, -v22
	v_fmac_f32_e32 v19, v21, v18
	v_sub_f32_e32 v3, v3, v20
	v_sub_f32_e32 v4, v4, v19
.LBB161_335:
	s_or_b64 exec, exec, s[6:7]
	v_cmp_eq_u32_e64 s[18:19], 13, v15
	s_barrier
	s_and_b64 s[18:19], s[18:19], s[24:25]
	s_mov_b64 s[6:7], exec
	v_writelane_b32 v30, s18, 13
	v_writelane_b32 v30, s19, 14
	s_and_b64 s[18:19], s[6:7], s[18:19]
	s_mov_b64 exec, s[18:19]
	s_cbranch_execz .LBB161_337
; %bb.336:
	v_mov_b32_e32 v18, 0
	ds_read_b64 v[18:19], v18 offset:23400
	s_waitcnt lgkmcnt(0)
	v_mul_f32_e32 v20, v4, v19
	v_mul_f32_e32 v21, v3, v19
	v_fma_f32 v3, v3, v18, -v20
	v_fmac_f32_e32 v21, v4, v18
	v_xor_b32_e32 v18, 0x80000000, v3
	v_xor_b32_e32 v19, 0x80000000, v21
	v_mov_b32_e32 v4, v21
	ds_write_b64 v17, v[18:19]
.LBB161_337:
	s_or_b64 exec, exec, s[6:7]
	v_cmp_gt_u32_e64 s[18:19], 13, v15
	;; [unrolled: 46-line block ×13, first 2 shown]
	s_and_b64 s[26:27], s[18:19], s[24:25]
	s_waitcnt lgkmcnt(0)
	s_barrier
	s_and_saveexec_b64 s[6:7], s[26:27]
	s_cbranch_execz .LBB161_383
; %bb.382:
	v_lshlrev_b32_e32 v18, 3, v15
	ds_read_b64 v[18:19], v18 offset:17664
	ds_read_b64 v[20:21], v17
	s_waitcnt lgkmcnt(0)
	v_mul_f32_e32 v22, v21, v19
	v_mul_f32_e32 v19, v20, v19
	v_fma_f32 v20, v20, v18, -v22
	v_fmac_f32_e32 v19, v21, v18
	v_sub_f32_e32 v3, v3, v20
	v_sub_f32_e32 v4, v4, v19
.LBB161_383:
	s_or_b64 exec, exec, s[6:7]
	v_cmp_eq_u32_e64 s[18:19], 1, v15
	s_and_b64 s[6:7], s[18:19], s[24:25]
	s_barrier
	s_and_saveexec_b64 s[18:19], s[6:7]
	s_cbranch_execz .LBB161_385
; %bb.384:
	v_mov_b32_e32 v18, 0
	ds_read_b64 v[18:19], v18 offset:17160
	s_waitcnt lgkmcnt(0)
	v_mul_f32_e32 v20, v4, v19
	v_mul_f32_e32 v21, v3, v19
	v_fma_f32 v3, v3, v18, -v20
	v_fmac_f32_e32 v21, v4, v18
	v_xor_b32_e32 v18, 0x80000000, v3
	v_xor_b32_e32 v19, 0x80000000, v21
	v_mov_b32_e32 v4, v21
	ds_write_b64 v17, v[18:19]
.LBB161_385:
	s_or_b64 exec, exec, s[18:19]
	v_cmp_eq_u32_e64 s[18:19], 0, v15
	s_and_b64 s[38:39], s[18:19], s[24:25]
	s_waitcnt lgkmcnt(0)
	s_barrier
	s_and_saveexec_b64 s[18:19], s[38:39]
	s_cbranch_execz .LBB161_387
; %bb.386:
	v_mov_b32_e32 v18, 0
	ds_read_b64 v[18:19], v18 offset:17152
	ds_read_b64 v[20:21], v17
	s_waitcnt lgkmcnt(0)
	v_mul_f32_e32 v22, v21, v19
	v_mul_f32_e32 v19, v20, v19
	v_fma_f32 v20, v20, v18, -v22
	v_fmac_f32_e32 v19, v21, v18
	v_sub_f32_e32 v3, v3, v20
	v_sub_f32_e32 v4, v4, v19
.LBB161_387:
	s_or_b64 exec, exec, s[18:19]
	s_barrier
	s_and_saveexec_b64 s[18:19], s[38:39]
	s_cbranch_execz .LBB161_389
; %bb.388:
	v_mov_b32_e32 v18, 0
	ds_read_b64 v[18:19], v18 offset:16640
	s_waitcnt lgkmcnt(0)
	v_mul_f32_e32 v20, v4, v19
	v_mul_f32_e32 v21, v3, v19
	v_fma_f32 v3, v3, v18, -v20
	v_fmac_f32_e32 v21, v4, v18
	v_xor_b32_e32 v18, 0x80000000, v3
	v_xor_b32_e32 v19, 0x80000000, v21
	v_mov_b32_e32 v4, v21
	ds_write_b64 v17, v[18:19]
.LBB161_389:
	s_or_b64 exec, exec, s[18:19]
	s_waitcnt lgkmcnt(0)
	s_barrier
	s_barrier
	s_and_saveexec_b64 s[18:19], s[14:15]
; %bb.390:
	v_lshlrev_b32_e32 v18, 3, v15
	v_lshl_or_b32 v18, v16, 9, v18
	ds_write_b64 v18, v[3:4] offset:24832
; %bb.391:
	s_or_b64 exec, exec, s[18:19]
	v_cmp_gt_u32_e64 s[18:19], 16, v0
	s_and_b64 s[40:41], s[16:17], s[18:19]
	s_waitcnt lgkmcnt(0)
	s_barrier
	s_barrier
	s_and_saveexec_b64 s[18:19], s[40:41]
	s_cbranch_execz .LBB161_393
; %bb.392:
	v_lshlrev_b32_e32 v18, 9, v0
	ds_read_b64 v[3:4], v18 offset:24832
	s_movk_i32 s20, 0xfe08
	v_mad_i32_i24 v19, v0, s20, v18
	s_waitcnt lgkmcnt(0)
	ds_write_b64 v19, v[3:4] offset:16768
	ds_read_b64 v[3:4], v18 offset:24840
	s_waitcnt lgkmcnt(0)
	ds_write_b64 v19, v[3:4] offset:17280
	ds_read_b64 v[3:4], v18 offset:24848
	;; [unrolled: 3-line block ×15, first 2 shown]
	s_waitcnt lgkmcnt(0)
	ds_write_b64 v19, v[3:4] offset:24448
.LBB161_393:
	s_or_b64 exec, exec, s[18:19]
	s_waitcnt lgkmcnt(0)
	s_barrier
	s_and_saveexec_b64 s[18:19], vcc
	s_cbranch_execz .LBB161_395
; %bb.394:
	s_movk_i32 s20, 0x170
	v_mov_b32_e32 v3, 0
	v_add_u32_e64 v18, s20, 0
	ds_read_b64 v[3:4], v3 offset:24440
	ds_read2st64_b64 v[18:21], v18 offset0:46 offset1:47
	s_movk_i32 s20, 0x5800
	s_waitcnt lgkmcnt(0)
	v_mul_f32_e32 v22, v4, v19
	v_mul_f32_e32 v19, v3, v19
	v_fma_f32 v22, v3, v18, -v22
	v_fmac_f32_e32 v19, v4, v18
	v_mul_f32_e32 v3, v19, v21
	v_mul_f32_e32 v4, v22, v21
	v_fma_f32 v3, v22, v20, -v3
	v_fmac_f32_e32 v4, v19, v20
	v_add_u32_e64 v18, s20, 0
	ds_write2_b64 v18, v[3:4], v[3:4] offset0:175 offset1:238
.LBB161_395:
	s_or_b64 exec, exec, s[18:19]
	v_mov_b32_e32 v3, 0
	v_mov_b32_e32 v4, 0
	s_waitcnt lgkmcnt(0)
	s_barrier
	buffer_wbinvl1_vol
	s_and_saveexec_b64 s[20:21], s[22:23]
	s_cbranch_execz .LBB161_399
; %bb.396:
	v_lshlrev_b32_e32 v3, 3, v5
	v_lshlrev_b32_e32 v18, 9, v6
	ds_read_b64 v[3:4], v3 offset:23904
	ds_read_b64 v[18:19], v18 offset:23920
	v_cmp_gt_u32_e64 s[18:19], 2, v8
	s_waitcnt lgkmcnt(0)
	v_mul_f32_e32 v20, v19, v4
	v_mul_f32_e32 v4, v18, v4
	v_fma_f32 v18, v18, v3, -v20
	v_fmac_f32_e32 v4, v19, v3
	v_add_f32_e32 v3, 0, v18
	v_add_f32_e32 v4, 0, v4
	s_and_saveexec_b64 s[24:25], s[18:19]
	s_cbranch_execz .LBB161_398
; %bb.397:
	v_lshlrev_b32_e32 v18, 3, v0
	v_mov_b32_e32 v20, 0
	ds_read_b64 v[18:19], v18 offset:24416
	ds_read_b64 v[20:21], v20 offset:24440
	s_waitcnt lgkmcnt(0)
	v_mul_f32_e32 v22, v21, v19
	v_mul_f32_e32 v19, v20, v19
	v_fma_f32 v20, v20, v18, -v22
	v_fmac_f32_e32 v19, v21, v18
	v_add_f32_e32 v3, v3, v20
	v_add_f32_e32 v4, v4, v19
.LBB161_398:
	s_or_b64 exec, exec, s[24:25]
.LBB161_399:
	s_or_b64 exec, exec, s[20:21]
	s_and_saveexec_b64 s[18:19], s[44:45]
	s_cbranch_execz .LBB161_401
; %bb.400:
	v_mov_b32_e32 v18, 0
	ds_read_b64 v[18:19], v18 offset:23400
	s_waitcnt lgkmcnt(0)
	v_mul_f32_e32 v20, v4, v19
	v_mul_f32_e32 v21, v3, v19
	v_fma_f32 v3, v3, v18, -v20
	v_fmac_f32_e32 v21, v4, v18
	v_xor_b32_e32 v18, 0x80000000, v3
	v_xor_b32_e32 v19, 0x80000000, v21
	v_mov_b32_e32 v4, v21
	ds_write_b64 v7, v[18:19]
.LBB161_401:
	s_or_b64 exec, exec, s[18:19]
	s_waitcnt lgkmcnt(0)
	s_barrier
	s_and_saveexec_b64 s[18:19], s[42:43]
	s_cbranch_execz .LBB161_403
; %bb.402:
	v_mov_b32_e32 v18, 0
	ds_read_b64 v[18:19], v18 offset:23392
	ds_read_b64 v[20:21], v7
	s_waitcnt lgkmcnt(0)
	v_mul_f32_e32 v22, v21, v19
	v_mul_f32_e32 v19, v20, v19
	v_fma_f32 v20, v20, v18, -v22
	v_fmac_f32_e32 v19, v21, v18
	v_sub_f32_e32 v3, v3, v20
	v_sub_f32_e32 v4, v4, v19
.LBB161_403:
	s_or_b64 exec, exec, s[18:19]
	s_barrier
	s_and_saveexec_b64 s[18:19], s[42:43]
	s_cbranch_execz .LBB161_405
; %bb.404:
	v_mov_b32_e32 v18, 0
	ds_read_b64 v[18:19], v18 offset:22880
	s_waitcnt lgkmcnt(0)
	v_mul_f32_e32 v20, v4, v19
	v_mul_f32_e32 v21, v3, v19
	v_fma_f32 v3, v3, v18, -v20
	v_fmac_f32_e32 v21, v4, v18
	v_xor_b32_e32 v18, 0x80000000, v3
	v_xor_b32_e32 v19, 0x80000000, v21
	v_mov_b32_e32 v4, v21
	ds_write_b64 v7, v[18:19]
.LBB161_405:
	s_or_b64 exec, exec, s[18:19]
	s_waitcnt lgkmcnt(0)
	s_barrier
	s_barrier
	s_and_saveexec_b64 s[18:19], s[22:23]
; %bb.406:
	v_lshlrev_b32_e32 v18, 3, v5
	v_lshl_or_b32 v18, v6, 9, v18
	ds_write_b64 v18, v[3:4] offset:23904
; %bb.407:
	s_or_b64 exec, exec, s[18:19]
	s_waitcnt lgkmcnt(0)
	s_barrier
	s_barrier
	s_and_saveexec_b64 s[18:19], s[46:47]
	s_cbranch_execz .LBB161_409
; %bb.408:
	v_lshlrev_b32_e32 v18, 3, v0
	s_movk_i32 s20, 0x1f8
	v_mad_u32_u24 v19, v0, s20, v18
	ds_read_b64 v[3:4], v19 offset:23904
	s_waitcnt lgkmcnt(0)
	ds_write_b64 v18, v[3:4] offset:22896
	ds_read_b64 v[3:4], v19 offset:23912
	s_waitcnt lgkmcnt(0)
	ds_write_b64 v18, v[3:4] offset:23408
.LBB161_409:
	s_or_b64 exec, exec, s[18:19]
	s_waitcnt lgkmcnt(0)
	s_barrier
	s_and_saveexec_b64 s[18:19], vcc
	s_cbranch_execz .LBB161_411
; %bb.410:
	s_movk_i32 s20, 0x160
	v_mov_b32_e32 v3, 0
	v_add_u32_e64 v18, s20, 0
	ds_read_b64 v[3:4], v3 offset:23400
	ds_read2st64_b64 v[18:21], v18 offset0:44 offset1:45
	s_movk_i32 s20, 0x5800
	s_waitcnt lgkmcnt(0)
	v_mul_f32_e32 v22, v4, v19
	v_mul_f32_e32 v19, v3, v19
	v_fma_f32 v22, v3, v18, -v22
	v_fmac_f32_e32 v19, v4, v18
	v_mul_f32_e32 v3, v19, v21
	v_mul_f32_e32 v4, v22, v21
	v_fma_f32 v3, v22, v20, -v3
	v_fmac_f32_e32 v4, v19, v20
	v_add_u32_e64 v18, s20, 0
	ds_write2_b64 v18, v[3:4], v[3:4] offset0:45 offset1:108
.LBB161_411:
	s_or_b64 exec, exec, s[18:19]
	v_mov_b32_e32 v4, 0
	v_mov_b32_e32 v3, 0
	s_waitcnt lgkmcnt(0)
	s_barrier
	buffer_wbinvl1_vol
	s_and_saveexec_b64 s[20:21], s[10:11]
	s_cbranch_execz .LBB161_417
; %bb.412:
	v_lshlrev_b32_e32 v18, 3, v9
	v_lshlrev_b32_e32 v19, 9, v10
	ds_read_b64 v[3:4], v18 offset:22848
	ds_read_b64 v[20:21], v19 offset:22880
	v_cmp_gt_u32_e64 s[18:19], 12, v8
	s_waitcnt lgkmcnt(0)
	v_mul_f32_e32 v22, v21, v4
	v_mul_f32_e32 v4, v20, v4
	v_fma_f32 v20, v20, v3, -v22
	v_fmac_f32_e32 v4, v21, v3
	v_add_f32_e32 v3, 0, v20
	v_add_f32_e32 v4, 0, v4
	s_and_saveexec_b64 s[24:25], s[18:19]
	s_cbranch_execnz .LBB161_1130
; %bb.413:
	s_or_b64 exec, exec, s[24:25]
	v_cmp_gt_u32_e64 s[18:19], 8, v8
	s_and_saveexec_b64 s[24:25], s[18:19]
	s_cbranch_execnz .LBB161_1131
.LBB161_414:
	s_or_b64 exec, exec, s[24:25]
	v_cmp_gt_u32_e64 s[18:19], 4, v8
	s_and_saveexec_b64 s[24:25], s[18:19]
	s_cbranch_execz .LBB161_416
.LBB161_415:
	v_lshlrev_b32_e32 v18, 3, v0
	v_mov_b32_e32 v20, 0
	ds_read_b64 v[18:19], v18 offset:24384
	ds_read_b64 v[20:21], v20 offset:24440
	s_waitcnt lgkmcnt(0)
	v_mul_f32_e32 v22, v21, v19
	v_mul_f32_e32 v19, v20, v19
	v_fma_f32 v20, v20, v18, -v22
	v_fmac_f32_e32 v19, v21, v18
	v_add_f32_e32 v3, v3, v20
	v_add_f32_e32 v4, v4, v19
.LBB161_416:
	s_or_b64 exec, exec, s[24:25]
.LBB161_417:
	s_or_b64 exec, exec, s[20:21]
	s_and_saveexec_b64 s[18:19], s[50:51]
	s_cbranch_execz .LBB161_419
; %bb.418:
	v_mov_b32_e32 v18, 0
	ds_read_b64 v[18:19], v18 offset:22360
	s_waitcnt lgkmcnt(0)
	v_mul_f32_e32 v20, v4, v19
	v_mul_f32_e32 v21, v3, v19
	v_fma_f32 v3, v3, v18, -v20
	v_fmac_f32_e32 v21, v4, v18
	v_xor_b32_e32 v18, 0x80000000, v3
	v_xor_b32_e32 v19, 0x80000000, v21
	v_mov_b32_e32 v4, v21
	ds_write_b64 v11, v[18:19]
.LBB161_419:
	s_or_b64 exec, exec, s[18:19]
	s_waitcnt lgkmcnt(0)
	s_barrier
	s_and_saveexec_b64 s[18:19], s[52:53]
	s_cbranch_execz .LBB161_421
; %bb.420:
	v_lshlrev_b32_e32 v18, 3, v9
	ds_read_b64 v[18:19], v18 offset:22336
	ds_read_b64 v[20:21], v11
	s_waitcnt lgkmcnt(0)
	v_mul_f32_e32 v22, v21, v19
	v_mul_f32_e32 v19, v20, v19
	v_fma_f32 v20, v20, v18, -v22
	v_fmac_f32_e32 v19, v21, v18
	v_sub_f32_e32 v3, v3, v20
	v_sub_f32_e32 v4, v4, v19
.LBB161_421:
	s_or_b64 exec, exec, s[18:19]
	s_barrier
	s_and_saveexec_b64 s[18:19], s[54:55]
	s_cbranch_execz .LBB161_423
; %bb.422:
	v_mov_b32_e32 v18, 0
	ds_read_b64 v[18:19], v18 offset:21840
	s_waitcnt lgkmcnt(0)
	v_mul_f32_e32 v20, v4, v19
	v_mul_f32_e32 v21, v3, v19
	v_fma_f32 v3, v3, v18, -v20
	v_fmac_f32_e32 v21, v4, v18
	v_xor_b32_e32 v18, 0x80000000, v3
	v_xor_b32_e32 v19, 0x80000000, v21
	v_mov_b32_e32 v4, v21
	ds_write_b64 v11, v[18:19]
.LBB161_423:
	s_or_b64 exec, exec, s[18:19]
	s_waitcnt lgkmcnt(0)
	s_barrier
	s_and_saveexec_b64 s[18:19], s[56:57]
	s_cbranch_execz .LBB161_425
; %bb.424:
	v_lshlrev_b32_e32 v18, 3, v9
	ds_read_b64 v[18:19], v18 offset:21824
	ds_read_b64 v[20:21], v11
	s_waitcnt lgkmcnt(0)
	v_mul_f32_e32 v22, v21, v19
	v_mul_f32_e32 v19, v20, v19
	v_fma_f32 v20, v20, v18, -v22
	v_fmac_f32_e32 v19, v21, v18
	v_sub_f32_e32 v3, v3, v20
	v_sub_f32_e32 v4, v4, v19
.LBB161_425:
	s_or_b64 exec, exec, s[18:19]
	s_barrier
	s_and_saveexec_b64 s[18:19], s[58:59]
	s_cbranch_execz .LBB161_427
; %bb.426:
	v_mov_b32_e32 v18, 0
	ds_read_b64 v[18:19], v18 offset:21320
	s_waitcnt lgkmcnt(0)
	v_mul_f32_e32 v20, v4, v19
	v_mul_f32_e32 v21, v3, v19
	v_fma_f32 v3, v3, v18, -v20
	v_fmac_f32_e32 v21, v4, v18
	v_xor_b32_e32 v18, 0x80000000, v3
	v_xor_b32_e32 v19, 0x80000000, v21
	v_mov_b32_e32 v4, v21
	ds_write_b64 v11, v[18:19]
.LBB161_427:
	s_or_b64 exec, exec, s[18:19]
	s_waitcnt lgkmcnt(0)
	s_barrier
	s_and_saveexec_b64 s[18:19], s[48:49]
	s_cbranch_execz .LBB161_429
; %bb.428:
	v_mov_b32_e32 v18, 0
	ds_read_b64 v[18:19], v18 offset:21312
	ds_read_b64 v[20:21], v11
	s_waitcnt lgkmcnt(0)
	v_mul_f32_e32 v22, v21, v19
	v_mul_f32_e32 v19, v20, v19
	v_fma_f32 v20, v20, v18, -v22
	v_fmac_f32_e32 v19, v21, v18
	v_sub_f32_e32 v3, v3, v20
	v_sub_f32_e32 v4, v4, v19
.LBB161_429:
	s_or_b64 exec, exec, s[18:19]
	s_barrier
	s_and_saveexec_b64 s[18:19], s[48:49]
	s_cbranch_execz .LBB161_431
; %bb.430:
	v_mov_b32_e32 v18, 0
	ds_read_b64 v[18:19], v18 offset:20800
	s_waitcnt lgkmcnt(0)
	v_mul_f32_e32 v20, v4, v19
	v_mul_f32_e32 v21, v3, v19
	v_fma_f32 v3, v3, v18, -v20
	v_fmac_f32_e32 v21, v4, v18
	v_xor_b32_e32 v18, 0x80000000, v3
	v_xor_b32_e32 v19, 0x80000000, v21
	v_mov_b32_e32 v4, v21
	ds_write_b64 v11, v[18:19]
.LBB161_431:
	s_or_b64 exec, exec, s[18:19]
	s_waitcnt lgkmcnt(0)
	s_barrier
	s_barrier
	s_and_saveexec_b64 s[18:19], s[10:11]
; %bb.432:
	v_lshlrev_b32_e32 v18, 3, v9
	v_lshl_or_b32 v18, v10, 9, v18
	ds_write_b64 v18, v[3:4] offset:22848
; %bb.433:
	s_or_b64 exec, exec, s[18:19]
	s_waitcnt lgkmcnt(0)
	s_barrier
	s_barrier
	s_and_saveexec_b64 s[18:19], s[60:61]
	s_cbranch_execz .LBB161_435
; %bb.434:
	v_lshlrev_b32_e32 v18, 9, v0
	ds_read_b64 v[3:4], v18 offset:22848
	s_movk_i32 s20, 0xfe08
	v_mad_i32_i24 v19, v0, s20, v18
	s_waitcnt lgkmcnt(0)
	ds_write_b64 v19, v[3:4] offset:20832
	ds_read_b64 v[3:4], v18 offset:22856
	s_waitcnt lgkmcnt(0)
	ds_write_b64 v19, v[3:4] offset:21344
	ds_read_b64 v[3:4], v18 offset:22864
	;; [unrolled: 3-line block ×3, first 2 shown]
	s_waitcnt lgkmcnt(0)
	ds_write_b64 v19, v[3:4] offset:22368
.LBB161_435:
	s_or_b64 exec, exec, s[18:19]
	s_waitcnt lgkmcnt(0)
	s_barrier
	s_and_saveexec_b64 s[18:19], vcc
	s_cbranch_execz .LBB161_437
; %bb.436:
	s_movk_i32 s20, 0x150
	v_mov_b32_e32 v3, 0
	v_add_u32_e64 v18, s20, 0
	ds_read_b64 v[3:4], v3 offset:22360
	ds_read2st64_b64 v[18:21], v18 offset0:42 offset1:43
	s_movk_i32 s20, 0x5000
	s_waitcnt lgkmcnt(0)
	v_mul_f32_e32 v22, v4, v19
	v_mul_f32_e32 v19, v3, v19
	v_fma_f32 v22, v3, v18, -v22
	v_fmac_f32_e32 v19, v4, v18
	v_mul_f32_e32 v3, v19, v21
	v_mul_f32_e32 v4, v22, v21
	v_fma_f32 v3, v22, v20, -v3
	v_fmac_f32_e32 v4, v19, v20
	v_add_u32_e64 v18, s20, 0
	ds_write2_b64 v18, v[3:4], v[3:4] offset0:171 offset1:234
.LBB161_437:
	s_or_b64 exec, exec, s[18:19]
	v_mov_b32_e32 v3, 0
	v_mov_b32_e32 v4, 0
	s_waitcnt lgkmcnt(0)
	s_barrier
	buffer_wbinvl1_vol
	s_and_saveexec_b64 s[20:21], s[22:23]
	s_cbranch_execz .LBB161_441
; %bb.438:
	v_lshlrev_b32_e32 v3, 3, v5
	v_lshlrev_b32_e32 v18, 9, v6
	ds_read_b64 v[3:4], v3 offset:21824
	ds_read_b64 v[18:19], v18 offset:21840
	v_cmp_gt_u32_e64 s[18:19], 2, v8
	s_waitcnt lgkmcnt(0)
	v_mul_f32_e32 v20, v19, v4
	v_mul_f32_e32 v4, v18, v4
	v_fma_f32 v18, v18, v3, -v20
	v_fmac_f32_e32 v4, v19, v3
	v_add_f32_e32 v3, 0, v18
	v_add_f32_e32 v4, 0, v4
	s_and_saveexec_b64 s[24:25], s[18:19]
	s_cbranch_execz .LBB161_440
; %bb.439:
	v_lshlrev_b32_e32 v18, 3, v0
	v_mov_b32_e32 v20, 0
	ds_read_b64 v[18:19], v18 offset:22336
	ds_read_b64 v[20:21], v20 offset:22360
	s_waitcnt lgkmcnt(0)
	v_mul_f32_e32 v22, v21, v19
	v_mul_f32_e32 v19, v20, v19
	v_fma_f32 v20, v20, v18, -v22
	v_fmac_f32_e32 v19, v21, v18
	v_add_f32_e32 v3, v3, v20
	v_add_f32_e32 v4, v4, v19
.LBB161_440:
	s_or_b64 exec, exec, s[24:25]
.LBB161_441:
	s_or_b64 exec, exec, s[20:21]
	s_and_saveexec_b64 s[18:19], s[44:45]
	s_cbranch_execz .LBB161_443
; %bb.442:
	v_mov_b32_e32 v18, 0
	ds_read_b64 v[18:19], v18 offset:21320
	s_waitcnt lgkmcnt(0)
	v_mul_f32_e32 v20, v4, v19
	v_mul_f32_e32 v21, v3, v19
	v_fma_f32 v3, v3, v18, -v20
	v_fmac_f32_e32 v21, v4, v18
	v_xor_b32_e32 v18, 0x80000000, v3
	v_xor_b32_e32 v19, 0x80000000, v21
	v_mov_b32_e32 v4, v21
	ds_write_b64 v7, v[18:19]
.LBB161_443:
	s_or_b64 exec, exec, s[18:19]
	s_waitcnt lgkmcnt(0)
	s_barrier
	s_and_saveexec_b64 s[18:19], s[42:43]
	s_cbranch_execz .LBB161_445
; %bb.444:
	v_mov_b32_e32 v18, 0
	ds_read_b64 v[18:19], v18 offset:21312
	ds_read_b64 v[20:21], v7
	s_waitcnt lgkmcnt(0)
	v_mul_f32_e32 v22, v21, v19
	v_mul_f32_e32 v19, v20, v19
	v_fma_f32 v20, v20, v18, -v22
	v_fmac_f32_e32 v19, v21, v18
	v_sub_f32_e32 v3, v3, v20
	v_sub_f32_e32 v4, v4, v19
.LBB161_445:
	s_or_b64 exec, exec, s[18:19]
	s_barrier
	s_and_saveexec_b64 s[18:19], s[42:43]
	s_cbranch_execz .LBB161_447
; %bb.446:
	v_mov_b32_e32 v18, 0
	ds_read_b64 v[18:19], v18 offset:20800
	s_waitcnt lgkmcnt(0)
	v_mul_f32_e32 v20, v4, v19
	v_mul_f32_e32 v21, v3, v19
	v_fma_f32 v3, v3, v18, -v20
	v_fmac_f32_e32 v21, v4, v18
	v_xor_b32_e32 v18, 0x80000000, v3
	v_xor_b32_e32 v19, 0x80000000, v21
	v_mov_b32_e32 v4, v21
	ds_write_b64 v7, v[18:19]
.LBB161_447:
	s_or_b64 exec, exec, s[18:19]
	s_waitcnt lgkmcnt(0)
	s_barrier
	s_barrier
	s_and_saveexec_b64 s[18:19], s[22:23]
; %bb.448:
	v_lshlrev_b32_e32 v18, 3, v5
	v_lshl_or_b32 v18, v6, 9, v18
	ds_write_b64 v18, v[3:4] offset:21824
; %bb.449:
	s_or_b64 exec, exec, s[18:19]
	s_waitcnt lgkmcnt(0)
	s_barrier
	s_barrier
	s_and_saveexec_b64 s[18:19], s[46:47]
	s_cbranch_execz .LBB161_451
; %bb.450:
	v_lshlrev_b32_e32 v18, 3, v0
	s_movk_i32 s20, 0x1f8
	v_mad_u32_u24 v19, v0, s20, v18
	ds_read_b64 v[3:4], v19 offset:21824
	s_waitcnt lgkmcnt(0)
	ds_write_b64 v18, v[3:4] offset:20816
	ds_read_b64 v[3:4], v19 offset:21832
	s_waitcnt lgkmcnt(0)
	ds_write_b64 v18, v[3:4] offset:21328
.LBB161_451:
	s_or_b64 exec, exec, s[18:19]
	s_waitcnt lgkmcnt(0)
	s_barrier
	s_and_saveexec_b64 s[18:19], vcc
	s_cbranch_execz .LBB161_453
; %bb.452:
	s_movk_i32 s20, 0x140
	v_mov_b32_e32 v3, 0
	v_add_u32_e64 v18, s20, 0
	ds_read_b64 v[3:4], v3 offset:21320
	ds_read2st64_b64 v[18:21], v18 offset0:40 offset1:41
	s_movk_i32 s20, 0x5000
	s_waitcnt lgkmcnt(0)
	v_mul_f32_e32 v22, v4, v19
	v_mul_f32_e32 v19, v3, v19
	v_fma_f32 v22, v3, v18, -v22
	v_fmac_f32_e32 v19, v4, v18
	v_mul_f32_e32 v3, v19, v21
	v_mul_f32_e32 v4, v22, v21
	v_fma_f32 v3, v22, v20, -v3
	v_fmac_f32_e32 v4, v19, v20
	v_add_u32_e64 v18, s20, 0
	ds_write2_b64 v18, v[3:4], v[3:4] offset0:41 offset1:104
.LBB161_453:
	s_or_b64 exec, exec, s[18:19]
	v_mov_b32_e32 v4, 0
	v_mov_b32_e32 v3, 0
	s_waitcnt lgkmcnt(0)
	s_barrier
	buffer_wbinvl1_vol
	s_and_saveexec_b64 s[20:21], s[12:13]
	s_cbranch_execz .LBB161_463
; %bb.454:
	v_lshlrev_b32_e32 v18, 3, v12
	v_lshlrev_b32_e32 v19, 9, v13
	ds_read_b64 v[3:4], v18 offset:20736
	ds_read_b64 v[20:21], v19 offset:20800
	v_cmp_gt_u32_e64 s[18:19], 56, v8
	s_waitcnt lgkmcnt(0)
	v_mul_f32_e32 v22, v21, v4
	v_mul_f32_e32 v4, v20, v4
	v_fma_f32 v20, v20, v3, -v22
	v_fmac_f32_e32 v4, v21, v3
	v_add_f32_e32 v3, 0, v20
	v_add_f32_e32 v4, 0, v4
	s_and_saveexec_b64 s[24:25], s[18:19]
	s_cbranch_execnz .LBB161_1132
; %bb.455:
	s_or_b64 exec, exec, s[24:25]
	v_cmp_gt_u32_e64 s[18:19], 48, v8
	s_and_saveexec_b64 s[24:25], s[18:19]
	s_cbranch_execnz .LBB161_1133
.LBB161_456:
	s_or_b64 exec, exec, s[24:25]
	v_cmp_gt_u32_e64 s[18:19], 40, v8
	s_and_saveexec_b64 s[24:25], s[18:19]
	s_cbranch_execnz .LBB161_1134
.LBB161_457:
	s_or_b64 exec, exec, s[24:25]
	v_cmp_gt_u32_e64 s[18:19], 32, v8
	s_and_saveexec_b64 s[24:25], s[18:19]
	s_cbranch_execnz .LBB161_1135
.LBB161_458:
	s_or_b64 exec, exec, s[24:25]
	v_cmp_gt_u32_e64 s[18:19], 24, v8
	s_and_saveexec_b64 s[24:25], s[18:19]
	s_cbranch_execnz .LBB161_1136
.LBB161_459:
	s_or_b64 exec, exec, s[24:25]
	s_and_saveexec_b64 s[18:19], s[10:11]
	s_cbranch_execnz .LBB161_1137
.LBB161_460:
	s_or_b64 exec, exec, s[18:19]
	v_cmp_gt_u32_e64 s[18:19], 8, v8
	s_and_saveexec_b64 s[24:25], s[18:19]
	s_cbranch_execz .LBB161_462
.LBB161_461:
	v_lshlrev_b32_e32 v18, 3, v0
	v_mov_b32_e32 v20, 0
	ds_read_b64 v[18:19], v18 offset:24320
	ds_read_b64 v[20:21], v20 offset:24440
	s_waitcnt lgkmcnt(0)
	v_mul_f32_e32 v22, v21, v19
	v_mul_f32_e32 v19, v20, v19
	v_fma_f32 v20, v20, v18, -v22
	v_fmac_f32_e32 v19, v21, v18
	v_add_f32_e32 v3, v3, v20
	v_add_f32_e32 v4, v4, v19
.LBB161_462:
	s_or_b64 exec, exec, s[24:25]
.LBB161_463:
	s_or_b64 exec, exec, s[20:21]
	s_and_saveexec_b64 s[18:19], s[64:65]
	s_cbranch_execz .LBB161_465
; %bb.464:
	v_mov_b32_e32 v18, 0
	ds_read_b64 v[18:19], v18 offset:20280
	s_waitcnt lgkmcnt(0)
	v_mul_f32_e32 v20, v4, v19
	v_mul_f32_e32 v21, v3, v19
	v_fma_f32 v3, v3, v18, -v20
	v_fmac_f32_e32 v21, v4, v18
	v_xor_b32_e32 v18, 0x80000000, v3
	v_xor_b32_e32 v19, 0x80000000, v21
	v_mov_b32_e32 v4, v21
	ds_write_b64 v14, v[18:19]
.LBB161_465:
	s_or_b64 exec, exec, s[18:19]
	s_waitcnt lgkmcnt(0)
	s_barrier
	s_and_saveexec_b64 s[18:19], s[66:67]
	s_cbranch_execz .LBB161_467
; %bb.466:
	v_lshlrev_b32_e32 v18, 3, v12
	ds_read_b64 v[18:19], v18 offset:20224
	ds_read_b64 v[20:21], v14
	s_waitcnt lgkmcnt(0)
	v_mul_f32_e32 v22, v21, v19
	v_mul_f32_e32 v19, v20, v19
	v_fma_f32 v20, v20, v18, -v22
	v_fmac_f32_e32 v19, v21, v18
	v_sub_f32_e32 v3, v3, v20
	v_sub_f32_e32 v4, v4, v19
.LBB161_467:
	s_or_b64 exec, exec, s[18:19]
	s_barrier
	s_and_saveexec_b64 s[18:19], s[68:69]
	s_cbranch_execz .LBB161_469
; %bb.468:
	v_mov_b32_e32 v18, 0
	ds_read_b64 v[18:19], v18 offset:19760
	s_waitcnt lgkmcnt(0)
	v_mul_f32_e32 v20, v4, v19
	v_mul_f32_e32 v21, v3, v19
	v_fma_f32 v3, v3, v18, -v20
	v_fmac_f32_e32 v21, v4, v18
	v_xor_b32_e32 v18, 0x80000000, v3
	v_xor_b32_e32 v19, 0x80000000, v21
	v_mov_b32_e32 v4, v21
	ds_write_b64 v14, v[18:19]
.LBB161_469:
	s_or_b64 exec, exec, s[18:19]
	s_waitcnt lgkmcnt(0)
	s_barrier
	s_and_saveexec_b64 s[18:19], s[70:71]
	s_cbranch_execz .LBB161_471
; %bb.470:
	v_lshlrev_b32_e32 v18, 3, v12
	ds_read_b64 v[18:19], v18 offset:19712
	ds_read_b64 v[20:21], v14
	s_waitcnt lgkmcnt(0)
	v_mul_f32_e32 v22, v21, v19
	v_mul_f32_e32 v19, v20, v19
	v_fma_f32 v20, v20, v18, -v22
	v_fmac_f32_e32 v19, v21, v18
	v_sub_f32_e32 v3, v3, v20
	v_sub_f32_e32 v4, v4, v19
.LBB161_471:
	s_or_b64 exec, exec, s[18:19]
	s_barrier
	;; [unrolled: 34-line block ×6, first 2 shown]
	s_and_saveexec_b64 s[18:19], s[88:89]
	s_cbranch_execz .LBB161_489
; %bb.488:
	v_mov_b32_e32 v18, 0
	ds_read_b64 v[18:19], v18 offset:17160
	s_waitcnt lgkmcnt(0)
	v_mul_f32_e32 v20, v4, v19
	v_mul_f32_e32 v21, v3, v19
	v_fma_f32 v3, v3, v18, -v20
	v_fmac_f32_e32 v21, v4, v18
	v_xor_b32_e32 v18, 0x80000000, v3
	v_xor_b32_e32 v19, 0x80000000, v21
	v_mov_b32_e32 v4, v21
	ds_write_b64 v14, v[18:19]
.LBB161_489:
	s_or_b64 exec, exec, s[18:19]
	s_waitcnt lgkmcnt(0)
	s_barrier
	s_and_saveexec_b64 s[18:19], s[62:63]
	s_cbranch_execz .LBB161_491
; %bb.490:
	v_mov_b32_e32 v18, 0
	ds_read_b64 v[18:19], v18 offset:17152
	ds_read_b64 v[20:21], v14
	s_waitcnt lgkmcnt(0)
	v_mul_f32_e32 v22, v21, v19
	v_mul_f32_e32 v19, v20, v19
	v_fma_f32 v20, v20, v18, -v22
	v_fmac_f32_e32 v19, v21, v18
	v_sub_f32_e32 v3, v3, v20
	v_sub_f32_e32 v4, v4, v19
.LBB161_491:
	s_or_b64 exec, exec, s[18:19]
	s_barrier
	s_and_saveexec_b64 s[18:19], s[62:63]
	s_cbranch_execz .LBB161_493
; %bb.492:
	v_mov_b32_e32 v18, 0
	ds_read_b64 v[18:19], v18 offset:16640
	s_waitcnt lgkmcnt(0)
	v_mul_f32_e32 v20, v4, v19
	v_mul_f32_e32 v21, v3, v19
	v_fma_f32 v3, v3, v18, -v20
	v_fmac_f32_e32 v21, v4, v18
	v_xor_b32_e32 v18, 0x80000000, v3
	v_xor_b32_e32 v19, 0x80000000, v21
	v_mov_b32_e32 v4, v21
	ds_write_b64 v14, v[18:19]
.LBB161_493:
	s_or_b64 exec, exec, s[18:19]
	s_waitcnt lgkmcnt(0)
	s_barrier
	s_barrier
	s_and_saveexec_b64 s[18:19], s[12:13]
; %bb.494:
	v_lshlrev_b32_e32 v18, 3, v12
	v_lshl_or_b32 v18, v13, 9, v18
	ds_write_b64 v18, v[3:4] offset:20736
; %bb.495:
	s_or_b64 exec, exec, s[18:19]
	s_waitcnt lgkmcnt(0)
	s_barrier
	s_barrier
	s_and_saveexec_b64 s[18:19], s[90:91]
	s_cbranch_execz .LBB161_497
; %bb.496:
	v_lshlrev_b32_e32 v18, 9, v0
	ds_read_b64 v[3:4], v18 offset:20736
	s_movk_i32 s20, 0xfe08
	v_mad_i32_i24 v19, v0, s20, v18
	s_waitcnt lgkmcnt(0)
	ds_write_b64 v19, v[3:4] offset:16704
	ds_read_b64 v[3:4], v18 offset:20744
	s_waitcnt lgkmcnt(0)
	ds_write_b64 v19, v[3:4] offset:17216
	ds_read_b64 v[3:4], v18 offset:20752
	;; [unrolled: 3-line block ×7, first 2 shown]
	s_waitcnt lgkmcnt(0)
	ds_write_b64 v19, v[3:4] offset:20288
.LBB161_497:
	s_or_b64 exec, exec, s[18:19]
	s_waitcnt lgkmcnt(0)
	s_barrier
	s_and_saveexec_b64 s[18:19], vcc
	s_cbranch_execz .LBB161_499
; %bb.498:
	s_movk_i32 s20, 0x130
	v_mov_b32_e32 v3, 0
	v_add_u32_e64 v18, s20, 0
	ds_read_b64 v[3:4], v3 offset:20280
	ds_read2st64_b64 v[18:21], v18 offset0:38 offset1:39
	s_movk_i32 s20, 0x4800
	s_waitcnt lgkmcnt(0)
	v_mul_f32_e32 v22, v4, v19
	v_mul_f32_e32 v19, v3, v19
	v_fma_f32 v22, v3, v18, -v22
	v_fmac_f32_e32 v19, v4, v18
	v_mul_f32_e32 v3, v19, v21
	v_mul_f32_e32 v4, v22, v21
	v_fma_f32 v3, v22, v20, -v3
	v_fmac_f32_e32 v4, v19, v20
	v_add_u32_e64 v18, s20, 0
	ds_write2_b64 v18, v[3:4], v[3:4] offset0:167 offset1:230
.LBB161_499:
	s_or_b64 exec, exec, s[18:19]
	v_mov_b32_e32 v3, 0
	v_mov_b32_e32 v4, 0
	s_waitcnt lgkmcnt(0)
	s_barrier
	buffer_wbinvl1_vol
	s_and_saveexec_b64 s[20:21], s[22:23]
	s_cbranch_execz .LBB161_503
; %bb.500:
	v_lshlrev_b32_e32 v3, 3, v5
	v_lshlrev_b32_e32 v18, 9, v6
	ds_read_b64 v[3:4], v3 offset:19744
	ds_read_b64 v[18:19], v18 offset:19760
	v_cmp_gt_u32_e64 s[18:19], 2, v8
	s_waitcnt lgkmcnt(0)
	v_mul_f32_e32 v20, v19, v4
	v_mul_f32_e32 v4, v18, v4
	v_fma_f32 v18, v18, v3, -v20
	v_fmac_f32_e32 v4, v19, v3
	v_add_f32_e32 v3, 0, v18
	v_add_f32_e32 v4, 0, v4
	s_and_saveexec_b64 s[24:25], s[18:19]
	s_cbranch_execz .LBB161_502
; %bb.501:
	v_lshlrev_b32_e32 v18, 3, v0
	v_mov_b32_e32 v20, 0
	ds_read_b64 v[18:19], v18 offset:20256
	ds_read_b64 v[20:21], v20 offset:20280
	s_waitcnt lgkmcnt(0)
	v_mul_f32_e32 v22, v21, v19
	v_mul_f32_e32 v19, v20, v19
	v_fma_f32 v20, v20, v18, -v22
	v_fmac_f32_e32 v19, v21, v18
	v_add_f32_e32 v3, v3, v20
	v_add_f32_e32 v4, v4, v19
.LBB161_502:
	s_or_b64 exec, exec, s[24:25]
.LBB161_503:
	s_or_b64 exec, exec, s[20:21]
	s_and_saveexec_b64 s[18:19], s[44:45]
	s_cbranch_execz .LBB161_505
; %bb.504:
	v_mov_b32_e32 v18, 0
	ds_read_b64 v[18:19], v18 offset:19240
	s_waitcnt lgkmcnt(0)
	v_mul_f32_e32 v20, v4, v19
	v_mul_f32_e32 v21, v3, v19
	v_fma_f32 v3, v3, v18, -v20
	v_fmac_f32_e32 v21, v4, v18
	v_xor_b32_e32 v18, 0x80000000, v3
	v_xor_b32_e32 v19, 0x80000000, v21
	v_mov_b32_e32 v4, v21
	ds_write_b64 v7, v[18:19]
.LBB161_505:
	s_or_b64 exec, exec, s[18:19]
	s_waitcnt lgkmcnt(0)
	s_barrier
	s_and_saveexec_b64 s[18:19], s[42:43]
	s_cbranch_execz .LBB161_507
; %bb.506:
	v_mov_b32_e32 v18, 0
	ds_read_b64 v[18:19], v18 offset:19232
	ds_read_b64 v[20:21], v7
	s_waitcnt lgkmcnt(0)
	v_mul_f32_e32 v22, v21, v19
	v_mul_f32_e32 v19, v20, v19
	v_fma_f32 v20, v20, v18, -v22
	v_fmac_f32_e32 v19, v21, v18
	v_sub_f32_e32 v3, v3, v20
	v_sub_f32_e32 v4, v4, v19
.LBB161_507:
	s_or_b64 exec, exec, s[18:19]
	s_barrier
	s_and_saveexec_b64 s[18:19], s[42:43]
	s_cbranch_execz .LBB161_509
; %bb.508:
	v_mov_b32_e32 v18, 0
	ds_read_b64 v[18:19], v18 offset:18720
	s_waitcnt lgkmcnt(0)
	v_mul_f32_e32 v20, v4, v19
	v_mul_f32_e32 v21, v3, v19
	v_fma_f32 v3, v3, v18, -v20
	v_fmac_f32_e32 v21, v4, v18
	v_xor_b32_e32 v18, 0x80000000, v3
	v_xor_b32_e32 v19, 0x80000000, v21
	v_mov_b32_e32 v4, v21
	ds_write_b64 v7, v[18:19]
.LBB161_509:
	s_or_b64 exec, exec, s[18:19]
	s_waitcnt lgkmcnt(0)
	s_barrier
	s_barrier
	s_and_saveexec_b64 s[18:19], s[22:23]
; %bb.510:
	v_lshlrev_b32_e32 v18, 3, v5
	v_lshl_or_b32 v18, v6, 9, v18
	ds_write_b64 v18, v[3:4] offset:19744
; %bb.511:
	s_or_b64 exec, exec, s[18:19]
	s_waitcnt lgkmcnt(0)
	s_barrier
	s_barrier
	s_and_saveexec_b64 s[18:19], s[46:47]
	s_cbranch_execz .LBB161_513
; %bb.512:
	v_lshlrev_b32_e32 v18, 3, v0
	s_movk_i32 s20, 0x1f8
	v_mad_u32_u24 v19, v0, s20, v18
	ds_read_b64 v[3:4], v19 offset:19744
	s_waitcnt lgkmcnt(0)
	ds_write_b64 v18, v[3:4] offset:18736
	ds_read_b64 v[3:4], v19 offset:19752
	s_waitcnt lgkmcnt(0)
	ds_write_b64 v18, v[3:4] offset:19248
.LBB161_513:
	s_or_b64 exec, exec, s[18:19]
	s_waitcnt lgkmcnt(0)
	s_barrier
	s_and_saveexec_b64 s[18:19], vcc
	s_cbranch_execz .LBB161_515
; %bb.514:
	s_movk_i32 s20, 0x120
	v_mov_b32_e32 v3, 0
	v_add_u32_e64 v18, s20, 0
	ds_read_b64 v[3:4], v3 offset:19240
	ds_read2st64_b64 v[18:21], v18 offset0:36 offset1:37
	s_movk_i32 s20, 0x4800
	s_waitcnt lgkmcnt(0)
	v_mul_f32_e32 v22, v4, v19
	v_mul_f32_e32 v19, v3, v19
	v_fma_f32 v22, v3, v18, -v22
	v_fmac_f32_e32 v19, v4, v18
	v_mul_f32_e32 v3, v19, v21
	v_mul_f32_e32 v4, v22, v21
	v_fma_f32 v3, v22, v20, -v3
	v_fmac_f32_e32 v4, v19, v20
	v_add_u32_e64 v18, s20, 0
	ds_write2_b64 v18, v[3:4], v[3:4] offset0:37 offset1:100
.LBB161_515:
	s_or_b64 exec, exec, s[18:19]
	v_mov_b32_e32 v4, 0
	v_mov_b32_e32 v3, 0
	s_waitcnt lgkmcnt(0)
	s_barrier
	buffer_wbinvl1_vol
	s_and_saveexec_b64 s[20:21], s[10:11]
	s_cbranch_execz .LBB161_521
; %bb.516:
	v_lshlrev_b32_e32 v18, 3, v9
	v_lshlrev_b32_e32 v19, 9, v10
	ds_read_b64 v[3:4], v18 offset:18688
	ds_read_b64 v[20:21], v19 offset:18720
	v_cmp_gt_u32_e64 s[18:19], 12, v8
	s_waitcnt lgkmcnt(0)
	v_mul_f32_e32 v22, v21, v4
	v_mul_f32_e32 v4, v20, v4
	v_fma_f32 v20, v20, v3, -v22
	v_fmac_f32_e32 v4, v21, v3
	v_add_f32_e32 v3, 0, v20
	v_add_f32_e32 v4, 0, v4
	s_and_saveexec_b64 s[24:25], s[18:19]
	s_cbranch_execnz .LBB161_1138
; %bb.517:
	s_or_b64 exec, exec, s[24:25]
	v_cmp_gt_u32_e64 s[18:19], 8, v8
	s_and_saveexec_b64 s[24:25], s[18:19]
	s_cbranch_execnz .LBB161_1139
.LBB161_518:
	s_or_b64 exec, exec, s[24:25]
	v_cmp_gt_u32_e64 s[18:19], 4, v8
	s_and_saveexec_b64 s[24:25], s[18:19]
	s_cbranch_execz .LBB161_520
.LBB161_519:
	v_lshlrev_b32_e32 v18, 3, v0
	v_mov_b32_e32 v20, 0
	ds_read_b64 v[18:19], v18 offset:20224
	ds_read_b64 v[20:21], v20 offset:20280
	s_waitcnt lgkmcnt(0)
	v_mul_f32_e32 v22, v21, v19
	v_mul_f32_e32 v19, v20, v19
	v_fma_f32 v20, v20, v18, -v22
	v_fmac_f32_e32 v19, v21, v18
	v_add_f32_e32 v3, v3, v20
	v_add_f32_e32 v4, v4, v19
.LBB161_520:
	s_or_b64 exec, exec, s[24:25]
.LBB161_521:
	s_or_b64 exec, exec, s[20:21]
	s_and_saveexec_b64 s[18:19], s[50:51]
	s_cbranch_execz .LBB161_523
; %bb.522:
	v_mov_b32_e32 v18, 0
	ds_read_b64 v[18:19], v18 offset:18200
	s_waitcnt lgkmcnt(0)
	v_mul_f32_e32 v20, v4, v19
	v_mul_f32_e32 v21, v3, v19
	v_fma_f32 v3, v3, v18, -v20
	v_fmac_f32_e32 v21, v4, v18
	v_xor_b32_e32 v18, 0x80000000, v3
	v_xor_b32_e32 v19, 0x80000000, v21
	v_mov_b32_e32 v4, v21
	ds_write_b64 v11, v[18:19]
.LBB161_523:
	s_or_b64 exec, exec, s[18:19]
	s_waitcnt lgkmcnt(0)
	s_barrier
	s_and_saveexec_b64 s[18:19], s[52:53]
	s_cbranch_execz .LBB161_525
; %bb.524:
	v_lshlrev_b32_e32 v18, 3, v9
	ds_read_b64 v[18:19], v18 offset:18176
	ds_read_b64 v[20:21], v11
	s_waitcnt lgkmcnt(0)
	v_mul_f32_e32 v22, v21, v19
	v_mul_f32_e32 v19, v20, v19
	v_fma_f32 v20, v20, v18, -v22
	v_fmac_f32_e32 v19, v21, v18
	v_sub_f32_e32 v3, v3, v20
	v_sub_f32_e32 v4, v4, v19
.LBB161_525:
	s_or_b64 exec, exec, s[18:19]
	s_barrier
	s_and_saveexec_b64 s[18:19], s[54:55]
	s_cbranch_execz .LBB161_527
; %bb.526:
	v_mov_b32_e32 v18, 0
	ds_read_b64 v[18:19], v18 offset:17680
	s_waitcnt lgkmcnt(0)
	v_mul_f32_e32 v20, v4, v19
	v_mul_f32_e32 v21, v3, v19
	v_fma_f32 v3, v3, v18, -v20
	v_fmac_f32_e32 v21, v4, v18
	v_xor_b32_e32 v18, 0x80000000, v3
	v_xor_b32_e32 v19, 0x80000000, v21
	v_mov_b32_e32 v4, v21
	ds_write_b64 v11, v[18:19]
.LBB161_527:
	s_or_b64 exec, exec, s[18:19]
	s_waitcnt lgkmcnt(0)
	s_barrier
	s_and_saveexec_b64 s[18:19], s[56:57]
	s_cbranch_execz .LBB161_529
; %bb.528:
	v_lshlrev_b32_e32 v18, 3, v9
	ds_read_b64 v[18:19], v18 offset:17664
	ds_read_b64 v[20:21], v11
	s_waitcnt lgkmcnt(0)
	v_mul_f32_e32 v22, v21, v19
	v_mul_f32_e32 v19, v20, v19
	v_fma_f32 v20, v20, v18, -v22
	v_fmac_f32_e32 v19, v21, v18
	v_sub_f32_e32 v3, v3, v20
	v_sub_f32_e32 v4, v4, v19
.LBB161_529:
	s_or_b64 exec, exec, s[18:19]
	s_barrier
	s_and_saveexec_b64 s[18:19], s[58:59]
	s_cbranch_execz .LBB161_531
; %bb.530:
	v_mov_b32_e32 v18, 0
	ds_read_b64 v[18:19], v18 offset:17160
	s_waitcnt lgkmcnt(0)
	v_mul_f32_e32 v20, v4, v19
	v_mul_f32_e32 v21, v3, v19
	v_fma_f32 v3, v3, v18, -v20
	v_fmac_f32_e32 v21, v4, v18
	v_xor_b32_e32 v18, 0x80000000, v3
	v_xor_b32_e32 v19, 0x80000000, v21
	v_mov_b32_e32 v4, v21
	ds_write_b64 v11, v[18:19]
.LBB161_531:
	s_or_b64 exec, exec, s[18:19]
	s_waitcnt lgkmcnt(0)
	s_barrier
	s_and_saveexec_b64 s[18:19], s[48:49]
	s_cbranch_execz .LBB161_533
; %bb.532:
	v_mov_b32_e32 v18, 0
	ds_read_b64 v[18:19], v18 offset:17152
	ds_read_b64 v[20:21], v11
	s_waitcnt lgkmcnt(0)
	v_mul_f32_e32 v22, v21, v19
	v_mul_f32_e32 v19, v20, v19
	v_fma_f32 v20, v20, v18, -v22
	v_fmac_f32_e32 v19, v21, v18
	v_sub_f32_e32 v3, v3, v20
	v_sub_f32_e32 v4, v4, v19
.LBB161_533:
	s_or_b64 exec, exec, s[18:19]
	s_barrier
	s_and_saveexec_b64 s[18:19], s[48:49]
	s_cbranch_execz .LBB161_535
; %bb.534:
	v_mov_b32_e32 v18, 0
	ds_read_b64 v[18:19], v18 offset:16640
	s_waitcnt lgkmcnt(0)
	v_mul_f32_e32 v20, v4, v19
	v_mul_f32_e32 v21, v3, v19
	v_fma_f32 v3, v3, v18, -v20
	v_fmac_f32_e32 v21, v4, v18
	v_xor_b32_e32 v18, 0x80000000, v3
	v_xor_b32_e32 v19, 0x80000000, v21
	v_mov_b32_e32 v4, v21
	ds_write_b64 v11, v[18:19]
.LBB161_535:
	s_or_b64 exec, exec, s[18:19]
	s_waitcnt lgkmcnt(0)
	s_barrier
	s_barrier
	s_and_saveexec_b64 s[18:19], s[10:11]
; %bb.536:
	v_lshlrev_b32_e32 v18, 3, v9
	v_lshl_or_b32 v18, v10, 9, v18
	ds_write_b64 v18, v[3:4] offset:18688
; %bb.537:
	s_or_b64 exec, exec, s[18:19]
	s_waitcnt lgkmcnt(0)
	s_barrier
	s_barrier
	s_and_saveexec_b64 s[18:19], s[60:61]
	s_cbranch_execz .LBB161_539
; %bb.538:
	v_lshlrev_b32_e32 v18, 9, v0
	ds_read_b64 v[3:4], v18 offset:18688
	s_movk_i32 s20, 0xfe08
	v_mad_i32_i24 v19, v0, s20, v18
	s_waitcnt lgkmcnt(0)
	ds_write_b64 v19, v[3:4] offset:16672
	ds_read_b64 v[3:4], v18 offset:18696
	s_waitcnt lgkmcnt(0)
	ds_write_b64 v19, v[3:4] offset:17184
	ds_read_b64 v[3:4], v18 offset:18704
	;; [unrolled: 3-line block ×3, first 2 shown]
	s_waitcnt lgkmcnt(0)
	ds_write_b64 v19, v[3:4] offset:18208
.LBB161_539:
	s_or_b64 exec, exec, s[18:19]
	s_waitcnt lgkmcnt(0)
	s_barrier
	s_and_saveexec_b64 s[18:19], vcc
	s_cbranch_execz .LBB161_541
; %bb.540:
	s_movk_i32 s20, 0x110
	v_mov_b32_e32 v3, 0
	v_add_u32_e64 v18, s20, 0
	ds_read_b64 v[3:4], v3 offset:18200
	ds_read2st64_b64 v[18:21], v18 offset0:34 offset1:35
	s_movk_i32 s20, 0x4000
	s_waitcnt lgkmcnt(0)
	v_mul_f32_e32 v22, v4, v19
	v_mul_f32_e32 v19, v3, v19
	v_fma_f32 v22, v3, v18, -v22
	v_fmac_f32_e32 v19, v4, v18
	v_mul_f32_e32 v3, v19, v21
	v_mul_f32_e32 v4, v22, v21
	v_fma_f32 v3, v22, v20, -v3
	v_fmac_f32_e32 v4, v19, v20
	v_add_u32_e64 v18, s20, 0
	ds_write2_b64 v18, v[3:4], v[3:4] offset0:163 offset1:226
.LBB161_541:
	s_or_b64 exec, exec, s[18:19]
	v_mov_b32_e32 v3, 0
	v_mov_b32_e32 v4, 0
	s_waitcnt lgkmcnt(0)
	s_barrier
	buffer_wbinvl1_vol
	s_and_saveexec_b64 s[20:21], s[22:23]
	s_cbranch_execz .LBB161_545
; %bb.542:
	v_lshlrev_b32_e32 v3, 3, v5
	v_lshlrev_b32_e32 v18, 9, v6
	ds_read_b64 v[3:4], v3 offset:17664
	ds_read_b64 v[18:19], v18 offset:17680
	v_cmp_gt_u32_e64 s[18:19], 2, v8
	s_waitcnt lgkmcnt(0)
	v_mul_f32_e32 v20, v19, v4
	v_mul_f32_e32 v4, v18, v4
	v_fma_f32 v18, v18, v3, -v20
	v_fmac_f32_e32 v4, v19, v3
	v_add_f32_e32 v3, 0, v18
	v_add_f32_e32 v4, 0, v4
	s_and_saveexec_b64 s[24:25], s[18:19]
	s_cbranch_execz .LBB161_544
; %bb.543:
	v_lshlrev_b32_e32 v18, 3, v0
	v_mov_b32_e32 v20, 0
	ds_read_b64 v[18:19], v18 offset:18176
	ds_read_b64 v[20:21], v20 offset:18200
	s_waitcnt lgkmcnt(0)
	v_mul_f32_e32 v22, v21, v19
	v_mul_f32_e32 v19, v20, v19
	v_fma_f32 v20, v20, v18, -v22
	v_fmac_f32_e32 v19, v21, v18
	v_add_f32_e32 v3, v3, v20
	v_add_f32_e32 v4, v4, v19
.LBB161_544:
	s_or_b64 exec, exec, s[24:25]
.LBB161_545:
	s_or_b64 exec, exec, s[20:21]
	s_and_saveexec_b64 s[18:19], s[44:45]
	s_cbranch_execz .LBB161_547
; %bb.546:
	v_mov_b32_e32 v18, 0
	ds_read_b64 v[18:19], v18 offset:17160
	s_waitcnt lgkmcnt(0)
	v_mul_f32_e32 v20, v4, v19
	v_mul_f32_e32 v21, v3, v19
	v_fma_f32 v3, v3, v18, -v20
	v_fmac_f32_e32 v21, v4, v18
	v_xor_b32_e32 v18, 0x80000000, v3
	v_xor_b32_e32 v19, 0x80000000, v21
	v_mov_b32_e32 v4, v21
	ds_write_b64 v7, v[18:19]
.LBB161_547:
	s_or_b64 exec, exec, s[18:19]
	s_waitcnt lgkmcnt(0)
	s_barrier
	s_and_saveexec_b64 s[18:19], s[42:43]
	s_cbranch_execz .LBB161_549
; %bb.548:
	v_mov_b32_e32 v18, 0
	ds_read_b64 v[18:19], v18 offset:17152
	ds_read_b64 v[20:21], v7
	s_waitcnt lgkmcnt(0)
	v_mul_f32_e32 v22, v21, v19
	v_mul_f32_e32 v19, v20, v19
	v_fma_f32 v20, v20, v18, -v22
	v_fmac_f32_e32 v19, v21, v18
	v_sub_f32_e32 v3, v3, v20
	v_sub_f32_e32 v4, v4, v19
.LBB161_549:
	s_or_b64 exec, exec, s[18:19]
	s_barrier
	s_and_saveexec_b64 s[18:19], s[42:43]
	s_cbranch_execz .LBB161_551
; %bb.550:
	v_mov_b32_e32 v18, 0
	ds_read_b64 v[18:19], v18 offset:16640
	s_waitcnt lgkmcnt(0)
	v_mul_f32_e32 v20, v4, v19
	v_mul_f32_e32 v21, v3, v19
	v_fma_f32 v3, v3, v18, -v20
	v_fmac_f32_e32 v21, v4, v18
	v_xor_b32_e32 v18, 0x80000000, v3
	v_xor_b32_e32 v19, 0x80000000, v21
	v_mov_b32_e32 v4, v21
	ds_write_b64 v7, v[18:19]
.LBB161_551:
	s_or_b64 exec, exec, s[18:19]
	s_waitcnt lgkmcnt(0)
	s_barrier
	s_barrier
	s_and_saveexec_b64 s[18:19], s[22:23]
; %bb.552:
	v_lshlrev_b32_e32 v18, 3, v5
	v_lshl_or_b32 v18, v6, 9, v18
	ds_write_b64 v18, v[3:4] offset:17664
; %bb.553:
	s_or_b64 exec, exec, s[18:19]
	s_waitcnt lgkmcnt(0)
	s_barrier
	s_barrier
	s_and_saveexec_b64 s[18:19], s[46:47]
	s_cbranch_execz .LBB161_555
; %bb.554:
	v_lshlrev_b32_e32 v18, 3, v0
	s_movk_i32 s20, 0x1f8
	v_mad_u32_u24 v19, v0, s20, v18
	ds_read_b64 v[3:4], v19 offset:17664
	s_waitcnt lgkmcnt(0)
	ds_write_b64 v18, v[3:4] offset:16656
	ds_read_b64 v[3:4], v19 offset:17672
	s_waitcnt lgkmcnt(0)
	ds_write_b64 v18, v[3:4] offset:17168
.LBB161_555:
	s_or_b64 exec, exec, s[18:19]
	s_waitcnt lgkmcnt(0)
	s_barrier
	s_and_saveexec_b64 s[18:19], vcc
	s_cbranch_execz .LBB161_557
; %bb.556:
	s_movk_i32 s20, 0x100
	v_mov_b32_e32 v3, 0
	v_add_u32_e64 v18, s20, 0
	ds_read_b64 v[3:4], v3 offset:17160
	ds_read2st64_b64 v[18:21], v18 offset0:32 offset1:33
	s_movk_i32 s20, 0x4000
	s_waitcnt lgkmcnt(0)
	v_mul_f32_e32 v22, v4, v19
	v_mul_f32_e32 v19, v3, v19
	v_fma_f32 v22, v3, v18, -v22
	v_fmac_f32_e32 v19, v4, v18
	v_mul_f32_e32 v3, v19, v21
	v_mul_f32_e32 v4, v22, v21
	v_fma_f32 v3, v22, v20, -v3
	v_fmac_f32_e32 v4, v19, v20
	v_add_u32_e64 v18, s20, 0
	ds_write2_b64 v18, v[3:4], v[3:4] offset0:33 offset1:96
.LBB161_557:
	s_or_b64 exec, exec, s[18:19]
	s_movk_i32 s18, 0x3ff
	v_lshrrev_b32_e32 v20, 5, v8
	v_cmp_lt_u32_e64 s[20:21], s18, v8
	s_movk_i32 s18, 0x400
	v_and_b32_e32 v18, 31, v0
	v_sub_u32_e32 v19, 31, v20
	v_cmp_gt_u32_e64 s[18:19], s18, v8
	v_mov_b32_e32 v4, 0
	v_mov_b32_e32 v3, 0
	s_waitcnt lgkmcnt(0)
	s_barrier
	buffer_wbinvl1_vol
	s_and_saveexec_b64 s[92:93], s[18:19]
	s_cbranch_execz .LBB161_619
; %bb.558:
	v_lshlrev_b32_e32 v21, 3, v18
	v_lshlrev_b32_e32 v22, 9, v19
	ds_read_b64 v[3:4], v21 offset:16384
	ds_read_b64 v[23:24], v22 offset:16640
	s_movk_i32 s24, 0x3e0
	v_cmp_gt_u32_e64 s[24:25], s24, v8
	s_waitcnt lgkmcnt(0)
	v_mul_f32_e32 v25, v24, v4
	v_mul_f32_e32 v4, v23, v4
	v_fma_f32 v23, v23, v3, -v25
	v_fmac_f32_e32 v4, v24, v3
	v_add_f32_e32 v3, 0, v23
	v_add_f32_e32 v4, 0, v4
	s_and_saveexec_b64 s[94:95], s[24:25]
	s_cbranch_execz .LBB161_560
; %bb.559:
	ds_read_b64 v[23:24], v21 offset:16896
	ds_read_b64 v[25:26], v22 offset:16648
	s_waitcnt lgkmcnt(0)
	v_mul_f32_e32 v27, v26, v24
	v_mul_f32_e32 v24, v25, v24
	v_fma_f32 v25, v25, v23, -v27
	v_fmac_f32_e32 v24, v26, v23
	v_add_f32_e32 v3, v3, v25
	v_add_f32_e32 v4, v4, v24
.LBB161_560:
	s_or_b64 exec, exec, s[94:95]
	s_movk_i32 s24, 0x3c0
	v_cmp_gt_u32_e64 s[24:25], s24, v8
	s_and_saveexec_b64 s[94:95], s[24:25]
	s_cbranch_execz .LBB161_562
; %bb.561:
	ds_read_b64 v[23:24], v21 offset:17408
	ds_read_b64 v[25:26], v22 offset:16656
	s_waitcnt lgkmcnt(0)
	v_mul_f32_e32 v27, v26, v24
	v_mul_f32_e32 v24, v25, v24
	v_fma_f32 v25, v25, v23, -v27
	v_fmac_f32_e32 v24, v26, v23
	v_add_f32_e32 v3, v3, v25
	v_add_f32_e32 v4, v4, v24
.LBB161_562:
	s_or_b64 exec, exec, s[94:95]
	s_movk_i32 s24, 0x3a0
	v_cmp_gt_u32_e64 s[24:25], s24, v8
	;; [unrolled: 16-line block ×22, first 2 shown]
	s_and_saveexec_b64 s[94:95], s[24:25]
	s_cbranch_execz .LBB161_604
; %bb.603:
	ds_read_b64 v[23:24], v21 offset:28160
	ds_read_b64 v[25:26], v22 offset:16824
	s_waitcnt lgkmcnt(0)
	v_mul_f32_e32 v27, v26, v24
	v_mul_f32_e32 v24, v25, v24
	v_fma_f32 v25, v25, v23, -v27
	v_fmac_f32_e32 v24, v26, v23
	v_add_f32_e32 v3, v3, v25
	v_add_f32_e32 v4, v4, v24
.LBB161_604:
	s_or_b64 exec, exec, s[94:95]
	s_and_saveexec_b64 s[24:25], s[14:15]
	s_cbranch_execz .LBB161_606
; %bb.605:
	ds_read_b64 v[23:24], v21 offset:28672
	ds_read_b64 v[25:26], v22 offset:16832
	s_waitcnt lgkmcnt(0)
	v_mul_f32_e32 v27, v26, v24
	v_mul_f32_e32 v24, v25, v24
	v_fma_f32 v25, v25, v23, -v27
	v_fmac_f32_e32 v24, v26, v23
	v_add_f32_e32 v3, v3, v25
	v_add_f32_e32 v4, v4, v24
.LBB161_606:
	s_or_b64 exec, exec, s[24:25]
	s_movk_i32 s24, 0xe0
	v_cmp_gt_u32_e64 s[24:25], s24, v8
	s_and_saveexec_b64 s[94:95], s[24:25]
	s_cbranch_execz .LBB161_608
; %bb.607:
	ds_read_b64 v[23:24], v21 offset:29184
	ds_read_b64 v[25:26], v22 offset:16840
	s_waitcnt lgkmcnt(0)
	v_mul_f32_e32 v27, v26, v24
	v_mul_f32_e32 v24, v25, v24
	v_fma_f32 v25, v25, v23, -v27
	v_fmac_f32_e32 v24, v26, v23
	v_add_f32_e32 v3, v3, v25
	v_add_f32_e32 v4, v4, v24
.LBB161_608:
	s_or_b64 exec, exec, s[94:95]
	s_movk_i32 s24, 0xc0
	v_cmp_gt_u32_e64 s[24:25], s24, v8
	;; [unrolled: 16-line block ×5, first 2 shown]
	s_and_saveexec_b64 s[94:95], s[24:25]
	s_cbranch_execnz .LBB161_1140
; %bb.615:
	s_or_b64 exec, exec, s[94:95]
	s_and_saveexec_b64 s[24:25], s[12:13]
	s_cbranch_execnz .LBB161_1141
.LBB161_616:
	s_or_b64 exec, exec, s[24:25]
	v_cmp_gt_u32_e64 s[24:25], 32, v8
	s_and_saveexec_b64 s[94:95], s[24:25]
	s_cbranch_execz .LBB161_618
.LBB161_617:
	ds_read_b64 v[23:24], v21 offset:32256
	ds_read_b64 v[21:22], v22 offset:16888
	s_waitcnt lgkmcnt(0)
	v_mul_f32_e32 v25, v22, v24
	v_mul_f32_e32 v24, v21, v24
	v_fma_f32 v21, v21, v23, -v25
	v_fmac_f32_e32 v24, v22, v23
	v_add_f32_e32 v3, v3, v21
	v_add_f32_e32 v4, v4, v24
.LBB161_618:
	s_or_b64 exec, exec, s[94:95]
.LBB161_619:
	s_or_b64 exec, exec, s[92:93]
	v_mov_b32_e32 v21, 0x8000
	s_movk_i32 s24, 0x208
	v_lshlrev_b32_e32 v22, 9, v18
	v_mov_b32_e32 v23, 0x3c00
	v_lshl_add_u32 v20, v20, 3, v21
	v_mul_u32_u24_e32 v21, 0x208, v18
	v_sub_u32_e32 v22, 0, v22
	v_mad_u32_u24 v23, v18, s24, v23
	s_mov_b32 s92, 31
	s_xor_b64 s[24:25], s[20:21], -1
	s_branch .LBB161_621
.LBB161_620:                            ;   in Loop: Header=BB161_621 Depth=1
	s_or_b64 exec, exec, s[20:21]
	s_add_i32 s92, s92, -2
	s_cmp_eq_u32 s93, 0
	v_add_u32_e32 v22, 0xfffffc00, v22
	s_barrier
	s_cbranch_scc1 .LBB161_629
.LBB161_621:                            ; =>This Inner Loop Header: Depth=1
	s_movk_i32 s20, 0xc200
	v_cmp_eq_u32_e64 s[20:21], s20, v22
	s_and_b64 s[94:95], s[24:25], s[20:21]
	s_and_saveexec_b64 s[20:21], s[94:95]
	s_cbranch_execz .LBB161_623
; %bb.622:                              ;   in Loop: Header=BB161_621 Depth=1
	ds_read_b64 v[24:25], v21
	s_waitcnt lgkmcnt(0)
	v_mul_f32_e32 v26, v4, v25
	v_mul_f32_e32 v27, v3, v25
	v_fma_f32 v3, v3, v24, -v26
	v_fmac_f32_e32 v27, v4, v24
	v_xor_b32_e32 v24, 0x80000000, v3
	v_xor_b32_e32 v25, 0x80000000, v27
	v_mov_b32_e32 v4, v27
	ds_write_b64 v20, v[24:25]
.LBB161_623:                            ;   in Loop: Header=BB161_621 Depth=1
	s_or_b64 exec, exec, s[20:21]
	v_cmp_gt_u32_e64 s[20:21], s92, v18
	s_and_b64 s[94:95], s[24:25], s[20:21]
	v_add_u32_e32 v24, v23, v22
	s_waitcnt lgkmcnt(0)
	s_barrier
	s_and_saveexec_b64 s[20:21], s[94:95]
	s_cbranch_execz .LBB161_625
; %bb.624:                              ;   in Loop: Header=BB161_621 Depth=1
	ds_read_b64 v[25:26], v24 offset:512
	ds_read_b64 v[27:28], v20
	s_waitcnt lgkmcnt(0)
	v_mul_f32_e32 v29, v28, v26
	v_mul_f32_e32 v26, v27, v26
	v_fma_f32 v27, v27, v25, -v29
	v_fmac_f32_e32 v26, v28, v25
	v_sub_f32_e32 v3, v3, v27
	v_sub_f32_e32 v4, v4, v26
.LBB161_625:                            ;   in Loop: Header=BB161_621 Depth=1
	s_or_b64 exec, exec, s[20:21]
	s_add_i32 s93, s92, -1
	v_cmp_eq_u32_e64 s[20:21], s93, v18
	s_and_b64 s[94:95], s[24:25], s[20:21]
	s_barrier
	s_and_saveexec_b64 s[20:21], s[94:95]
	s_cbranch_execz .LBB161_627
; %bb.626:                              ;   in Loop: Header=BB161_621 Depth=1
	ds_read_b64 v[25:26], v21
	s_waitcnt lgkmcnt(0)
	v_mul_f32_e32 v27, v4, v26
	v_mul_f32_e32 v28, v3, v26
	v_fma_f32 v3, v3, v25, -v27
	v_fmac_f32_e32 v28, v4, v25
	v_xor_b32_e32 v25, 0x80000000, v3
	v_xor_b32_e32 v26, 0x80000000, v28
	v_mov_b32_e32 v4, v28
	ds_write_b64 v20, v[25:26]
.LBB161_627:                            ;   in Loop: Header=BB161_621 Depth=1
	s_or_b64 exec, exec, s[20:21]
	v_cmp_gt_u32_e64 s[20:21], s93, v18
	s_and_b64 s[94:95], s[24:25], s[20:21]
	s_waitcnt lgkmcnt(0)
	s_barrier
	s_and_saveexec_b64 s[20:21], s[94:95]
	s_cbranch_execz .LBB161_620
; %bb.628:                              ;   in Loop: Header=BB161_621 Depth=1
	ds_read_b64 v[24:25], v24
	ds_read_b64 v[26:27], v20
	s_waitcnt lgkmcnt(0)
	v_mul_f32_e32 v28, v27, v25
	v_mul_f32_e32 v25, v26, v25
	v_fma_f32 v26, v26, v24, -v28
	v_fmac_f32_e32 v25, v27, v24
	v_sub_f32_e32 v3, v3, v26
	v_sub_f32_e32 v4, v4, v25
	s_branch .LBB161_620
.LBB161_629:
	s_and_saveexec_b64 s[20:21], s[18:19]
; %bb.630:
	v_lshlrev_b32_e32 v18, 3, v18
	v_lshl_or_b32 v18, v19, 9, v18
	ds_write_b64 v18, v[3:4] offset:16384
; %bb.631:
	s_or_b64 exec, exec, s[20:21]
	v_cmp_gt_u32_e64 s[18:19], 32, v0
	s_and_b64 s[18:19], s[16:17], s[18:19]
	s_waitcnt lgkmcnt(0)
	s_barrier
	s_barrier
	s_and_saveexec_b64 s[16:17], s[18:19]
	s_cbranch_execz .LBB161_633
; %bb.632:
	v_lshlrev_b32_e32 v18, 9, v0
	ds_read_b64 v[3:4], v18 offset:16384
	s_movk_i32 s18, 0xfe08
	v_mad_i32_i24 v19, v0, s18, v18
	s_waitcnt lgkmcnt(0)
	ds_write_b64 v19, v[3:4] offset:256
	ds_read_b64 v[3:4], v18 offset:16392
	s_waitcnt lgkmcnt(0)
	ds_write_b64 v19, v[3:4] offset:768
	ds_read_b64 v[3:4], v18 offset:16400
	;; [unrolled: 3-line block ×31, first 2 shown]
	s_waitcnt lgkmcnt(0)
	ds_write_b64 v19, v[3:4] offset:16128
.LBB161_633:
	s_or_b64 exec, exec, s[16:17]
	s_waitcnt lgkmcnt(0)
	s_barrier
	s_and_saveexec_b64 s[16:17], vcc
	s_cbranch_execz .LBB161_635
; %bb.634:
	s_movk_i32 s18, 0xf0
	v_mov_b32_e32 v3, 0
	v_add_u32_e64 v18, s18, 0
	ds_read_b64 v[3:4], v3 offset:16120
	ds_read2st64_b64 v[18:21], v18 offset0:30 offset1:31
	s_movk_i32 s18, 0x3800
	s_waitcnt lgkmcnt(0)
	v_mul_f32_e32 v22, v4, v19
	v_mul_f32_e32 v19, v3, v19
	v_fma_f32 v22, v3, v18, -v22
	v_fmac_f32_e32 v19, v4, v18
	v_mul_f32_e32 v3, v19, v21
	v_mul_f32_e32 v4, v22, v21
	v_fma_f32 v3, v22, v20, -v3
	v_fmac_f32_e32 v4, v19, v20
	v_add_u32_e64 v18, s18, 0
	ds_write2_b64 v18, v[3:4], v[3:4] offset0:159 offset1:222
.LBB161_635:
	s_or_b64 exec, exec, s[16:17]
	v_mov_b32_e32 v3, 0
	v_mov_b32_e32 v4, 0
	s_waitcnt lgkmcnt(0)
	s_barrier
	buffer_wbinvl1_vol
	s_and_saveexec_b64 s[18:19], s[22:23]
	s_cbranch_execz .LBB161_639
; %bb.636:
	v_lshlrev_b32_e32 v3, 3, v5
	v_lshlrev_b32_e32 v18, 9, v6
	ds_read_b64 v[3:4], v3 offset:15584
	ds_read_b64 v[18:19], v18 offset:15600
	v_cmp_gt_u32_e64 s[16:17], 2, v8
	s_waitcnt lgkmcnt(0)
	v_mul_f32_e32 v20, v19, v4
	v_mul_f32_e32 v4, v18, v4
	v_fma_f32 v18, v18, v3, -v20
	v_fmac_f32_e32 v4, v19, v3
	v_add_f32_e32 v3, 0, v18
	v_add_f32_e32 v4, 0, v4
	s_and_saveexec_b64 s[20:21], s[16:17]
	s_cbranch_execz .LBB161_638
; %bb.637:
	v_lshlrev_b32_e32 v18, 3, v0
	v_mov_b32_e32 v20, 0
	ds_read_b64 v[18:19], v18 offset:16096
	ds_read_b64 v[20:21], v20 offset:16120
	s_waitcnt lgkmcnt(0)
	v_mul_f32_e32 v22, v21, v19
	v_mul_f32_e32 v19, v20, v19
	v_fma_f32 v20, v20, v18, -v22
	v_fmac_f32_e32 v19, v21, v18
	v_add_f32_e32 v3, v3, v20
	v_add_f32_e32 v4, v4, v19
.LBB161_638:
	s_or_b64 exec, exec, s[20:21]
.LBB161_639:
	s_or_b64 exec, exec, s[18:19]
	s_and_saveexec_b64 s[16:17], s[44:45]
	s_cbranch_execz .LBB161_641
; %bb.640:
	v_mov_b32_e32 v18, 0
	ds_read_b64 v[18:19], v18 offset:15080
	s_waitcnt lgkmcnt(0)
	v_mul_f32_e32 v20, v4, v19
	v_mul_f32_e32 v21, v3, v19
	v_fma_f32 v3, v3, v18, -v20
	v_fmac_f32_e32 v21, v4, v18
	v_xor_b32_e32 v18, 0x80000000, v3
	v_xor_b32_e32 v19, 0x80000000, v21
	v_mov_b32_e32 v4, v21
	ds_write_b64 v7, v[18:19]
.LBB161_641:
	s_or_b64 exec, exec, s[16:17]
	s_waitcnt lgkmcnt(0)
	s_barrier
	s_and_saveexec_b64 s[16:17], s[42:43]
	s_cbranch_execz .LBB161_643
; %bb.642:
	v_mov_b32_e32 v18, 0
	ds_read_b64 v[18:19], v18 offset:15072
	ds_read_b64 v[20:21], v7
	s_waitcnt lgkmcnt(0)
	v_mul_f32_e32 v22, v21, v19
	v_mul_f32_e32 v19, v20, v19
	v_fma_f32 v20, v20, v18, -v22
	v_fmac_f32_e32 v19, v21, v18
	v_sub_f32_e32 v3, v3, v20
	v_sub_f32_e32 v4, v4, v19
.LBB161_643:
	s_or_b64 exec, exec, s[16:17]
	s_barrier
	s_and_saveexec_b64 s[16:17], s[42:43]
	s_cbranch_execz .LBB161_645
; %bb.644:
	v_mov_b32_e32 v18, 0
	ds_read_b64 v[18:19], v18 offset:14560
	s_waitcnt lgkmcnt(0)
	v_mul_f32_e32 v20, v4, v19
	v_mul_f32_e32 v21, v3, v19
	v_fma_f32 v3, v3, v18, -v20
	v_fmac_f32_e32 v21, v4, v18
	v_xor_b32_e32 v18, 0x80000000, v3
	v_xor_b32_e32 v19, 0x80000000, v21
	v_mov_b32_e32 v4, v21
	ds_write_b64 v7, v[18:19]
.LBB161_645:
	s_or_b64 exec, exec, s[16:17]
	s_waitcnt lgkmcnt(0)
	s_barrier
	s_barrier
	s_and_saveexec_b64 s[16:17], s[22:23]
; %bb.646:
	v_lshlrev_b32_e32 v18, 3, v5
	v_lshl_or_b32 v18, v6, 9, v18
	ds_write_b64 v18, v[3:4] offset:15584
; %bb.647:
	s_or_b64 exec, exec, s[16:17]
	s_waitcnt lgkmcnt(0)
	s_barrier
	s_barrier
	s_and_saveexec_b64 s[16:17], s[46:47]
	s_cbranch_execz .LBB161_649
; %bb.648:
	v_lshlrev_b32_e32 v18, 3, v0
	s_movk_i32 s18, 0x1f8
	v_mad_u32_u24 v19, v0, s18, v18
	ds_read_b64 v[3:4], v19 offset:15584
	s_waitcnt lgkmcnt(0)
	ds_write_b64 v18, v[3:4] offset:14576
	ds_read_b64 v[3:4], v19 offset:15592
	s_waitcnt lgkmcnt(0)
	ds_write_b64 v18, v[3:4] offset:15088
.LBB161_649:
	s_or_b64 exec, exec, s[16:17]
	s_waitcnt lgkmcnt(0)
	s_barrier
	s_and_saveexec_b64 s[16:17], vcc
	s_cbranch_execz .LBB161_651
; %bb.650:
	s_movk_i32 s18, 0xe0
	v_mov_b32_e32 v3, 0
	v_add_u32_e64 v18, s18, 0
	ds_read_b64 v[3:4], v3 offset:15080
	ds_read2st64_b64 v[18:21], v18 offset0:28 offset1:29
	s_movk_i32 s18, 0x3800
	s_waitcnt lgkmcnt(0)
	v_mul_f32_e32 v22, v4, v19
	v_mul_f32_e32 v19, v3, v19
	v_fma_f32 v22, v3, v18, -v22
	v_fmac_f32_e32 v19, v4, v18
	v_mul_f32_e32 v3, v19, v21
	v_mul_f32_e32 v4, v22, v21
	v_fma_f32 v3, v22, v20, -v3
	v_fmac_f32_e32 v4, v19, v20
	v_add_u32_e64 v18, s18, 0
	ds_write2_b64 v18, v[3:4], v[3:4] offset0:29 offset1:92
.LBB161_651:
	s_or_b64 exec, exec, s[16:17]
	v_mov_b32_e32 v4, 0
	v_mov_b32_e32 v3, 0
	s_waitcnt lgkmcnt(0)
	s_barrier
	buffer_wbinvl1_vol
	s_and_saveexec_b64 s[18:19], s[10:11]
	s_cbranch_execz .LBB161_657
; %bb.652:
	v_lshlrev_b32_e32 v18, 3, v9
	v_lshlrev_b32_e32 v19, 9, v10
	ds_read_b64 v[3:4], v18 offset:14528
	ds_read_b64 v[20:21], v19 offset:14560
	v_cmp_gt_u32_e64 s[16:17], 12, v8
	s_waitcnt lgkmcnt(0)
	v_mul_f32_e32 v22, v21, v4
	v_mul_f32_e32 v4, v20, v4
	v_fma_f32 v20, v20, v3, -v22
	v_fmac_f32_e32 v4, v21, v3
	v_add_f32_e32 v3, 0, v20
	v_add_f32_e32 v4, 0, v4
	s_and_saveexec_b64 s[20:21], s[16:17]
	s_cbranch_execnz .LBB161_1142
; %bb.653:
	s_or_b64 exec, exec, s[20:21]
	v_cmp_gt_u32_e64 s[16:17], 8, v8
	s_and_saveexec_b64 s[20:21], s[16:17]
	s_cbranch_execnz .LBB161_1143
.LBB161_654:
	s_or_b64 exec, exec, s[20:21]
	v_cmp_gt_u32_e64 s[16:17], 4, v8
	s_and_saveexec_b64 s[20:21], s[16:17]
	s_cbranch_execz .LBB161_656
.LBB161_655:
	v_lshlrev_b32_e32 v18, 3, v0
	v_mov_b32_e32 v20, 0
	ds_read_b64 v[18:19], v18 offset:16064
	ds_read_b64 v[20:21], v20 offset:16120
	s_waitcnt lgkmcnt(0)
	v_mul_f32_e32 v22, v21, v19
	v_mul_f32_e32 v19, v20, v19
	v_fma_f32 v20, v20, v18, -v22
	v_fmac_f32_e32 v19, v21, v18
	v_add_f32_e32 v3, v3, v20
	v_add_f32_e32 v4, v4, v19
.LBB161_656:
	s_or_b64 exec, exec, s[20:21]
.LBB161_657:
	s_or_b64 exec, exec, s[18:19]
	s_and_saveexec_b64 s[16:17], s[50:51]
	s_cbranch_execz .LBB161_659
; %bb.658:
	v_mov_b32_e32 v18, 0
	ds_read_b64 v[18:19], v18 offset:14040
	s_waitcnt lgkmcnt(0)
	v_mul_f32_e32 v20, v4, v19
	v_mul_f32_e32 v21, v3, v19
	v_fma_f32 v3, v3, v18, -v20
	v_fmac_f32_e32 v21, v4, v18
	v_xor_b32_e32 v18, 0x80000000, v3
	v_xor_b32_e32 v19, 0x80000000, v21
	v_mov_b32_e32 v4, v21
	ds_write_b64 v11, v[18:19]
.LBB161_659:
	s_or_b64 exec, exec, s[16:17]
	s_waitcnt lgkmcnt(0)
	s_barrier
	s_and_saveexec_b64 s[16:17], s[52:53]
	s_cbranch_execz .LBB161_661
; %bb.660:
	v_lshlrev_b32_e32 v18, 3, v9
	ds_read_b64 v[18:19], v18 offset:14016
	ds_read_b64 v[20:21], v11
	s_waitcnt lgkmcnt(0)
	v_mul_f32_e32 v22, v21, v19
	v_mul_f32_e32 v19, v20, v19
	v_fma_f32 v20, v20, v18, -v22
	v_fmac_f32_e32 v19, v21, v18
	v_sub_f32_e32 v3, v3, v20
	v_sub_f32_e32 v4, v4, v19
.LBB161_661:
	s_or_b64 exec, exec, s[16:17]
	s_barrier
	s_and_saveexec_b64 s[16:17], s[54:55]
	s_cbranch_execz .LBB161_663
; %bb.662:
	v_mov_b32_e32 v18, 0
	ds_read_b64 v[18:19], v18 offset:13520
	s_waitcnt lgkmcnt(0)
	v_mul_f32_e32 v20, v4, v19
	v_mul_f32_e32 v21, v3, v19
	v_fma_f32 v3, v3, v18, -v20
	v_fmac_f32_e32 v21, v4, v18
	v_xor_b32_e32 v18, 0x80000000, v3
	v_xor_b32_e32 v19, 0x80000000, v21
	v_mov_b32_e32 v4, v21
	ds_write_b64 v11, v[18:19]
.LBB161_663:
	s_or_b64 exec, exec, s[16:17]
	s_waitcnt lgkmcnt(0)
	s_barrier
	s_and_saveexec_b64 s[16:17], s[56:57]
	s_cbranch_execz .LBB161_665
; %bb.664:
	v_lshlrev_b32_e32 v18, 3, v9
	ds_read_b64 v[18:19], v18 offset:13504
	ds_read_b64 v[20:21], v11
	s_waitcnt lgkmcnt(0)
	v_mul_f32_e32 v22, v21, v19
	v_mul_f32_e32 v19, v20, v19
	v_fma_f32 v20, v20, v18, -v22
	v_fmac_f32_e32 v19, v21, v18
	v_sub_f32_e32 v3, v3, v20
	v_sub_f32_e32 v4, v4, v19
.LBB161_665:
	s_or_b64 exec, exec, s[16:17]
	s_barrier
	s_and_saveexec_b64 s[16:17], s[58:59]
	s_cbranch_execz .LBB161_667
; %bb.666:
	v_mov_b32_e32 v18, 0
	ds_read_b64 v[18:19], v18 offset:13000
	s_waitcnt lgkmcnt(0)
	v_mul_f32_e32 v20, v4, v19
	v_mul_f32_e32 v21, v3, v19
	v_fma_f32 v3, v3, v18, -v20
	v_fmac_f32_e32 v21, v4, v18
	v_xor_b32_e32 v18, 0x80000000, v3
	v_xor_b32_e32 v19, 0x80000000, v21
	v_mov_b32_e32 v4, v21
	ds_write_b64 v11, v[18:19]
.LBB161_667:
	s_or_b64 exec, exec, s[16:17]
	s_waitcnt lgkmcnt(0)
	s_barrier
	s_and_saveexec_b64 s[16:17], s[48:49]
	s_cbranch_execz .LBB161_669
; %bb.668:
	v_mov_b32_e32 v18, 0
	ds_read_b64 v[18:19], v18 offset:12992
	ds_read_b64 v[20:21], v11
	s_waitcnt lgkmcnt(0)
	v_mul_f32_e32 v22, v21, v19
	v_mul_f32_e32 v19, v20, v19
	v_fma_f32 v20, v20, v18, -v22
	v_fmac_f32_e32 v19, v21, v18
	v_sub_f32_e32 v3, v3, v20
	v_sub_f32_e32 v4, v4, v19
.LBB161_669:
	s_or_b64 exec, exec, s[16:17]
	s_barrier
	s_and_saveexec_b64 s[16:17], s[48:49]
	s_cbranch_execz .LBB161_671
; %bb.670:
	v_mov_b32_e32 v18, 0
	ds_read_b64 v[18:19], v18 offset:12480
	s_waitcnt lgkmcnt(0)
	v_mul_f32_e32 v20, v4, v19
	v_mul_f32_e32 v21, v3, v19
	v_fma_f32 v3, v3, v18, -v20
	v_fmac_f32_e32 v21, v4, v18
	v_xor_b32_e32 v18, 0x80000000, v3
	v_xor_b32_e32 v19, 0x80000000, v21
	v_mov_b32_e32 v4, v21
	ds_write_b64 v11, v[18:19]
.LBB161_671:
	s_or_b64 exec, exec, s[16:17]
	s_waitcnt lgkmcnt(0)
	s_barrier
	s_barrier
	s_and_saveexec_b64 s[16:17], s[10:11]
; %bb.672:
	v_lshlrev_b32_e32 v18, 3, v9
	v_lshl_or_b32 v18, v10, 9, v18
	ds_write_b64 v18, v[3:4] offset:14528
; %bb.673:
	s_or_b64 exec, exec, s[16:17]
	s_waitcnt lgkmcnt(0)
	s_barrier
	s_barrier
	s_and_saveexec_b64 s[16:17], s[60:61]
	s_cbranch_execz .LBB161_675
; %bb.674:
	v_lshlrev_b32_e32 v18, 9, v0
	ds_read_b64 v[3:4], v18 offset:14528
	s_movk_i32 s18, 0xfe08
	v_mad_i32_i24 v19, v0, s18, v18
	s_waitcnt lgkmcnt(0)
	ds_write_b64 v19, v[3:4] offset:12512
	ds_read_b64 v[3:4], v18 offset:14536
	s_waitcnt lgkmcnt(0)
	ds_write_b64 v19, v[3:4] offset:13024
	ds_read_b64 v[3:4], v18 offset:14544
	;; [unrolled: 3-line block ×3, first 2 shown]
	s_waitcnt lgkmcnt(0)
	ds_write_b64 v19, v[3:4] offset:14048
.LBB161_675:
	s_or_b64 exec, exec, s[16:17]
	s_waitcnt lgkmcnt(0)
	s_barrier
	s_and_saveexec_b64 s[16:17], vcc
	s_cbranch_execz .LBB161_677
; %bb.676:
	s_movk_i32 s18, 0xd0
	v_mov_b32_e32 v3, 0
	v_add_u32_e64 v18, s18, 0
	ds_read_b64 v[3:4], v3 offset:14040
	ds_read2st64_b64 v[18:21], v18 offset0:26 offset1:27
	s_movk_i32 s18, 0x3000
	s_waitcnt lgkmcnt(0)
	v_mul_f32_e32 v22, v4, v19
	v_mul_f32_e32 v19, v3, v19
	v_fma_f32 v22, v3, v18, -v22
	v_fmac_f32_e32 v19, v4, v18
	v_mul_f32_e32 v3, v19, v21
	v_mul_f32_e32 v4, v22, v21
	v_fma_f32 v3, v22, v20, -v3
	v_fmac_f32_e32 v4, v19, v20
	v_add_u32_e64 v18, s18, 0
	ds_write2_b64 v18, v[3:4], v[3:4] offset0:155 offset1:218
.LBB161_677:
	s_or_b64 exec, exec, s[16:17]
	v_mov_b32_e32 v3, 0
	v_mov_b32_e32 v4, 0
	s_waitcnt lgkmcnt(0)
	s_barrier
	buffer_wbinvl1_vol
	s_and_saveexec_b64 s[18:19], s[22:23]
	s_cbranch_execz .LBB161_681
; %bb.678:
	v_lshlrev_b32_e32 v3, 3, v5
	v_lshlrev_b32_e32 v18, 9, v6
	ds_read_b64 v[3:4], v3 offset:13504
	ds_read_b64 v[18:19], v18 offset:13520
	v_cmp_gt_u32_e64 s[16:17], 2, v8
	s_waitcnt lgkmcnt(0)
	v_mul_f32_e32 v20, v19, v4
	v_mul_f32_e32 v4, v18, v4
	v_fma_f32 v18, v18, v3, -v20
	v_fmac_f32_e32 v4, v19, v3
	v_add_f32_e32 v3, 0, v18
	v_add_f32_e32 v4, 0, v4
	s_and_saveexec_b64 s[20:21], s[16:17]
	s_cbranch_execz .LBB161_680
; %bb.679:
	v_lshlrev_b32_e32 v18, 3, v0
	v_mov_b32_e32 v20, 0
	ds_read_b64 v[18:19], v18 offset:14016
	ds_read_b64 v[20:21], v20 offset:14040
	s_waitcnt lgkmcnt(0)
	v_mul_f32_e32 v22, v21, v19
	v_mul_f32_e32 v19, v20, v19
	v_fma_f32 v20, v20, v18, -v22
	v_fmac_f32_e32 v19, v21, v18
	v_add_f32_e32 v3, v3, v20
	v_add_f32_e32 v4, v4, v19
.LBB161_680:
	s_or_b64 exec, exec, s[20:21]
.LBB161_681:
	s_or_b64 exec, exec, s[18:19]
	s_and_saveexec_b64 s[16:17], s[44:45]
	s_cbranch_execz .LBB161_683
; %bb.682:
	v_mov_b32_e32 v18, 0
	ds_read_b64 v[18:19], v18 offset:13000
	s_waitcnt lgkmcnt(0)
	v_mul_f32_e32 v20, v4, v19
	v_mul_f32_e32 v21, v3, v19
	v_fma_f32 v3, v3, v18, -v20
	v_fmac_f32_e32 v21, v4, v18
	v_xor_b32_e32 v18, 0x80000000, v3
	v_xor_b32_e32 v19, 0x80000000, v21
	v_mov_b32_e32 v4, v21
	ds_write_b64 v7, v[18:19]
.LBB161_683:
	s_or_b64 exec, exec, s[16:17]
	s_waitcnt lgkmcnt(0)
	s_barrier
	s_and_saveexec_b64 s[16:17], s[42:43]
	s_cbranch_execz .LBB161_685
; %bb.684:
	v_mov_b32_e32 v18, 0
	ds_read_b64 v[18:19], v18 offset:12992
	ds_read_b64 v[20:21], v7
	s_waitcnt lgkmcnt(0)
	v_mul_f32_e32 v22, v21, v19
	v_mul_f32_e32 v19, v20, v19
	v_fma_f32 v20, v20, v18, -v22
	v_fmac_f32_e32 v19, v21, v18
	v_sub_f32_e32 v3, v3, v20
	v_sub_f32_e32 v4, v4, v19
.LBB161_685:
	s_or_b64 exec, exec, s[16:17]
	s_barrier
	s_and_saveexec_b64 s[16:17], s[42:43]
	s_cbranch_execz .LBB161_687
; %bb.686:
	v_mov_b32_e32 v18, 0
	ds_read_b64 v[18:19], v18 offset:12480
	s_waitcnt lgkmcnt(0)
	v_mul_f32_e32 v20, v4, v19
	v_mul_f32_e32 v21, v3, v19
	v_fma_f32 v3, v3, v18, -v20
	v_fmac_f32_e32 v21, v4, v18
	v_xor_b32_e32 v18, 0x80000000, v3
	v_xor_b32_e32 v19, 0x80000000, v21
	v_mov_b32_e32 v4, v21
	ds_write_b64 v7, v[18:19]
.LBB161_687:
	s_or_b64 exec, exec, s[16:17]
	s_waitcnt lgkmcnt(0)
	s_barrier
	s_barrier
	s_and_saveexec_b64 s[16:17], s[22:23]
; %bb.688:
	v_lshlrev_b32_e32 v18, 3, v5
	v_lshl_or_b32 v18, v6, 9, v18
	ds_write_b64 v18, v[3:4] offset:13504
; %bb.689:
	s_or_b64 exec, exec, s[16:17]
	s_waitcnt lgkmcnt(0)
	s_barrier
	s_barrier
	s_and_saveexec_b64 s[16:17], s[46:47]
	s_cbranch_execz .LBB161_691
; %bb.690:
	v_lshlrev_b32_e32 v18, 3, v0
	s_movk_i32 s18, 0x1f8
	v_mad_u32_u24 v19, v0, s18, v18
	ds_read_b64 v[3:4], v19 offset:13504
	s_waitcnt lgkmcnt(0)
	ds_write_b64 v18, v[3:4] offset:12496
	ds_read_b64 v[3:4], v19 offset:13512
	s_waitcnt lgkmcnt(0)
	ds_write_b64 v18, v[3:4] offset:13008
.LBB161_691:
	s_or_b64 exec, exec, s[16:17]
	s_waitcnt lgkmcnt(0)
	s_barrier
	s_and_saveexec_b64 s[16:17], vcc
	s_cbranch_execz .LBB161_693
; %bb.692:
	s_movk_i32 s18, 0xc0
	v_mov_b32_e32 v3, 0
	v_add_u32_e64 v18, s18, 0
	ds_read_b64 v[3:4], v3 offset:13000
	ds_read2st64_b64 v[18:21], v18 offset0:24 offset1:25
	s_movk_i32 s18, 0x3000
	s_waitcnt lgkmcnt(0)
	v_mul_f32_e32 v22, v4, v19
	v_mul_f32_e32 v19, v3, v19
	v_fma_f32 v22, v3, v18, -v22
	v_fmac_f32_e32 v19, v4, v18
	v_mul_f32_e32 v3, v19, v21
	v_mul_f32_e32 v4, v22, v21
	v_fma_f32 v3, v22, v20, -v3
	v_fmac_f32_e32 v4, v19, v20
	v_add_u32_e64 v18, s18, 0
	ds_write2_b64 v18, v[3:4], v[3:4] offset0:25 offset1:88
.LBB161_693:
	s_or_b64 exec, exec, s[16:17]
	v_mov_b32_e32 v4, 0
	v_mov_b32_e32 v3, 0
	s_waitcnt lgkmcnt(0)
	s_barrier
	buffer_wbinvl1_vol
	s_and_saveexec_b64 s[18:19], s[12:13]
	s_cbranch_execz .LBB161_703
; %bb.694:
	v_lshlrev_b32_e32 v18, 3, v12
	v_lshlrev_b32_e32 v19, 9, v13
	ds_read_b64 v[3:4], v18 offset:12416
	ds_read_b64 v[20:21], v19 offset:12480
	v_cmp_gt_u32_e64 s[16:17], 56, v8
	s_waitcnt lgkmcnt(0)
	v_mul_f32_e32 v22, v21, v4
	v_mul_f32_e32 v4, v20, v4
	v_fma_f32 v20, v20, v3, -v22
	v_fmac_f32_e32 v4, v21, v3
	v_add_f32_e32 v3, 0, v20
	v_add_f32_e32 v4, 0, v4
	s_and_saveexec_b64 s[20:21], s[16:17]
	s_cbranch_execnz .LBB161_1144
; %bb.695:
	s_or_b64 exec, exec, s[20:21]
	v_cmp_gt_u32_e64 s[16:17], 48, v8
	s_and_saveexec_b64 s[20:21], s[16:17]
	s_cbranch_execnz .LBB161_1145
.LBB161_696:
	s_or_b64 exec, exec, s[20:21]
	v_cmp_gt_u32_e64 s[16:17], 40, v8
	s_and_saveexec_b64 s[20:21], s[16:17]
	s_cbranch_execnz .LBB161_1146
.LBB161_697:
	s_or_b64 exec, exec, s[20:21]
	v_cmp_gt_u32_e64 s[16:17], 32, v8
	s_and_saveexec_b64 s[20:21], s[16:17]
	s_cbranch_execnz .LBB161_1147
.LBB161_698:
	s_or_b64 exec, exec, s[20:21]
	v_cmp_gt_u32_e64 s[16:17], 24, v8
	s_and_saveexec_b64 s[20:21], s[16:17]
	s_cbranch_execnz .LBB161_1148
.LBB161_699:
	s_or_b64 exec, exec, s[20:21]
	s_and_saveexec_b64 s[16:17], s[10:11]
	s_cbranch_execnz .LBB161_1149
.LBB161_700:
	s_or_b64 exec, exec, s[16:17]
	v_cmp_gt_u32_e64 s[16:17], 8, v8
	s_and_saveexec_b64 s[20:21], s[16:17]
	s_cbranch_execz .LBB161_702
.LBB161_701:
	v_lshlrev_b32_e32 v18, 3, v0
	v_mov_b32_e32 v20, 0
	ds_read_b64 v[18:19], v18 offset:16000
	ds_read_b64 v[20:21], v20 offset:16120
	s_waitcnt lgkmcnt(0)
	v_mul_f32_e32 v22, v21, v19
	v_mul_f32_e32 v19, v20, v19
	v_fma_f32 v20, v20, v18, -v22
	v_fmac_f32_e32 v19, v21, v18
	v_add_f32_e32 v3, v3, v20
	v_add_f32_e32 v4, v4, v19
.LBB161_702:
	s_or_b64 exec, exec, s[20:21]
.LBB161_703:
	s_or_b64 exec, exec, s[18:19]
	s_and_saveexec_b64 s[16:17], s[64:65]
	s_cbranch_execz .LBB161_705
; %bb.704:
	v_mov_b32_e32 v18, 0
	ds_read_b64 v[18:19], v18 offset:11960
	s_waitcnt lgkmcnt(0)
	v_mul_f32_e32 v20, v4, v19
	v_mul_f32_e32 v21, v3, v19
	v_fma_f32 v3, v3, v18, -v20
	v_fmac_f32_e32 v21, v4, v18
	v_xor_b32_e32 v18, 0x80000000, v3
	v_xor_b32_e32 v19, 0x80000000, v21
	v_mov_b32_e32 v4, v21
	ds_write_b64 v14, v[18:19]
.LBB161_705:
	s_or_b64 exec, exec, s[16:17]
	s_waitcnt lgkmcnt(0)
	s_barrier
	s_and_saveexec_b64 s[16:17], s[66:67]
	s_cbranch_execz .LBB161_707
; %bb.706:
	v_lshlrev_b32_e32 v18, 3, v12
	ds_read_b64 v[18:19], v18 offset:11904
	ds_read_b64 v[20:21], v14
	s_waitcnt lgkmcnt(0)
	v_mul_f32_e32 v22, v21, v19
	v_mul_f32_e32 v19, v20, v19
	v_fma_f32 v20, v20, v18, -v22
	v_fmac_f32_e32 v19, v21, v18
	v_sub_f32_e32 v3, v3, v20
	v_sub_f32_e32 v4, v4, v19
.LBB161_707:
	s_or_b64 exec, exec, s[16:17]
	s_barrier
	s_and_saveexec_b64 s[16:17], s[68:69]
	s_cbranch_execz .LBB161_709
; %bb.708:
	v_mov_b32_e32 v18, 0
	ds_read_b64 v[18:19], v18 offset:11440
	s_waitcnt lgkmcnt(0)
	v_mul_f32_e32 v20, v4, v19
	v_mul_f32_e32 v21, v3, v19
	v_fma_f32 v3, v3, v18, -v20
	v_fmac_f32_e32 v21, v4, v18
	v_xor_b32_e32 v18, 0x80000000, v3
	v_xor_b32_e32 v19, 0x80000000, v21
	v_mov_b32_e32 v4, v21
	ds_write_b64 v14, v[18:19]
.LBB161_709:
	s_or_b64 exec, exec, s[16:17]
	s_waitcnt lgkmcnt(0)
	s_barrier
	s_and_saveexec_b64 s[16:17], s[70:71]
	s_cbranch_execz .LBB161_711
; %bb.710:
	v_lshlrev_b32_e32 v18, 3, v12
	ds_read_b64 v[18:19], v18 offset:11392
	ds_read_b64 v[20:21], v14
	s_waitcnt lgkmcnt(0)
	v_mul_f32_e32 v22, v21, v19
	v_mul_f32_e32 v19, v20, v19
	v_fma_f32 v20, v20, v18, -v22
	v_fmac_f32_e32 v19, v21, v18
	v_sub_f32_e32 v3, v3, v20
	v_sub_f32_e32 v4, v4, v19
.LBB161_711:
	s_or_b64 exec, exec, s[16:17]
	s_barrier
	;; [unrolled: 34-line block ×6, first 2 shown]
	s_and_saveexec_b64 s[16:17], s[88:89]
	s_cbranch_execz .LBB161_729
; %bb.728:
	v_mov_b32_e32 v18, 0
	ds_read_b64 v[18:19], v18 offset:8840
	s_waitcnt lgkmcnt(0)
	v_mul_f32_e32 v20, v4, v19
	v_mul_f32_e32 v21, v3, v19
	v_fma_f32 v3, v3, v18, -v20
	v_fmac_f32_e32 v21, v4, v18
	v_xor_b32_e32 v18, 0x80000000, v3
	v_xor_b32_e32 v19, 0x80000000, v21
	v_mov_b32_e32 v4, v21
	ds_write_b64 v14, v[18:19]
.LBB161_729:
	s_or_b64 exec, exec, s[16:17]
	s_waitcnt lgkmcnt(0)
	s_barrier
	s_and_saveexec_b64 s[16:17], s[62:63]
	s_cbranch_execz .LBB161_731
; %bb.730:
	v_mov_b32_e32 v18, 0
	ds_read_b64 v[18:19], v18 offset:8832
	ds_read_b64 v[20:21], v14
	s_waitcnt lgkmcnt(0)
	v_mul_f32_e32 v22, v21, v19
	v_mul_f32_e32 v19, v20, v19
	v_fma_f32 v20, v20, v18, -v22
	v_fmac_f32_e32 v19, v21, v18
	v_sub_f32_e32 v3, v3, v20
	v_sub_f32_e32 v4, v4, v19
.LBB161_731:
	s_or_b64 exec, exec, s[16:17]
	s_barrier
	s_and_saveexec_b64 s[16:17], s[62:63]
	s_cbranch_execz .LBB161_733
; %bb.732:
	v_mov_b32_e32 v18, 0
	ds_read_b64 v[18:19], v18 offset:8320
	s_waitcnt lgkmcnt(0)
	v_mul_f32_e32 v20, v4, v19
	v_mul_f32_e32 v21, v3, v19
	v_fma_f32 v3, v3, v18, -v20
	v_fmac_f32_e32 v21, v4, v18
	v_xor_b32_e32 v18, 0x80000000, v3
	v_xor_b32_e32 v19, 0x80000000, v21
	v_mov_b32_e32 v4, v21
	ds_write_b64 v14, v[18:19]
.LBB161_733:
	s_or_b64 exec, exec, s[16:17]
	s_waitcnt lgkmcnt(0)
	s_barrier
	s_barrier
	s_and_saveexec_b64 s[16:17], s[12:13]
; %bb.734:
	v_lshlrev_b32_e32 v18, 3, v12
	v_lshl_or_b32 v18, v13, 9, v18
	ds_write_b64 v18, v[3:4] offset:12416
; %bb.735:
	s_or_b64 exec, exec, s[16:17]
	s_waitcnt lgkmcnt(0)
	s_barrier
	s_barrier
	s_and_saveexec_b64 s[16:17], s[90:91]
	s_cbranch_execz .LBB161_737
; %bb.736:
	v_lshlrev_b32_e32 v18, 9, v0
	ds_read_b64 v[3:4], v18 offset:12416
	s_movk_i32 s18, 0xfe08
	v_mad_i32_i24 v19, v0, s18, v18
	s_waitcnt lgkmcnt(0)
	ds_write_b64 v19, v[3:4] offset:8384
	ds_read_b64 v[3:4], v18 offset:12424
	s_waitcnt lgkmcnt(0)
	ds_write_b64 v19, v[3:4] offset:8896
	ds_read_b64 v[3:4], v18 offset:12432
	;; [unrolled: 3-line block ×7, first 2 shown]
	s_waitcnt lgkmcnt(0)
	ds_write_b64 v19, v[3:4] offset:11968
.LBB161_737:
	s_or_b64 exec, exec, s[16:17]
	s_waitcnt lgkmcnt(0)
	s_barrier
	s_and_saveexec_b64 s[16:17], vcc
	s_cbranch_execz .LBB161_739
; %bb.738:
	s_movk_i32 s18, 0xb0
	v_mov_b32_e32 v3, 0
	v_add_u32_e64 v18, s18, 0
	ds_read_b64 v[3:4], v3 offset:11960
	ds_read2st64_b64 v[18:21], v18 offset0:22 offset1:23
	s_movk_i32 s18, 0x2800
	s_waitcnt lgkmcnt(0)
	v_mul_f32_e32 v22, v4, v19
	v_mul_f32_e32 v19, v3, v19
	v_fma_f32 v22, v3, v18, -v22
	v_fmac_f32_e32 v19, v4, v18
	v_mul_f32_e32 v3, v19, v21
	v_mul_f32_e32 v4, v22, v21
	v_fma_f32 v3, v22, v20, -v3
	v_fmac_f32_e32 v4, v19, v20
	v_add_u32_e64 v18, s18, 0
	ds_write2_b64 v18, v[3:4], v[3:4] offset0:151 offset1:214
.LBB161_739:
	s_or_b64 exec, exec, s[16:17]
	v_mov_b32_e32 v3, 0
	v_mov_b32_e32 v4, 0
	s_waitcnt lgkmcnt(0)
	s_barrier
	buffer_wbinvl1_vol
	s_and_saveexec_b64 s[18:19], s[22:23]
	s_cbranch_execz .LBB161_743
; %bb.740:
	v_lshlrev_b32_e32 v3, 3, v5
	v_lshlrev_b32_e32 v18, 9, v6
	ds_read_b64 v[3:4], v3 offset:11424
	ds_read_b64 v[18:19], v18 offset:11440
	v_cmp_gt_u32_e64 s[16:17], 2, v8
	s_waitcnt lgkmcnt(0)
	v_mul_f32_e32 v20, v19, v4
	v_mul_f32_e32 v4, v18, v4
	v_fma_f32 v18, v18, v3, -v20
	v_fmac_f32_e32 v4, v19, v3
	v_add_f32_e32 v3, 0, v18
	v_add_f32_e32 v4, 0, v4
	s_and_saveexec_b64 s[20:21], s[16:17]
	s_cbranch_execz .LBB161_742
; %bb.741:
	v_lshlrev_b32_e32 v18, 3, v0
	v_mov_b32_e32 v20, 0
	ds_read_b64 v[18:19], v18 offset:11936
	ds_read_b64 v[20:21], v20 offset:11960
	s_waitcnt lgkmcnt(0)
	v_mul_f32_e32 v22, v21, v19
	v_mul_f32_e32 v19, v20, v19
	v_fma_f32 v20, v20, v18, -v22
	v_fmac_f32_e32 v19, v21, v18
	v_add_f32_e32 v3, v3, v20
	v_add_f32_e32 v4, v4, v19
.LBB161_742:
	s_or_b64 exec, exec, s[20:21]
.LBB161_743:
	s_or_b64 exec, exec, s[18:19]
	s_and_saveexec_b64 s[16:17], s[44:45]
	s_cbranch_execz .LBB161_745
; %bb.744:
	v_mov_b32_e32 v18, 0
	ds_read_b64 v[18:19], v18 offset:10920
	s_waitcnt lgkmcnt(0)
	v_mul_f32_e32 v20, v4, v19
	v_mul_f32_e32 v21, v3, v19
	v_fma_f32 v3, v3, v18, -v20
	v_fmac_f32_e32 v21, v4, v18
	v_xor_b32_e32 v18, 0x80000000, v3
	v_xor_b32_e32 v19, 0x80000000, v21
	v_mov_b32_e32 v4, v21
	ds_write_b64 v7, v[18:19]
.LBB161_745:
	s_or_b64 exec, exec, s[16:17]
	s_waitcnt lgkmcnt(0)
	s_barrier
	s_and_saveexec_b64 s[16:17], s[42:43]
	s_cbranch_execz .LBB161_747
; %bb.746:
	v_mov_b32_e32 v18, 0
	ds_read_b64 v[18:19], v18 offset:10912
	ds_read_b64 v[20:21], v7
	s_waitcnt lgkmcnt(0)
	v_mul_f32_e32 v22, v21, v19
	v_mul_f32_e32 v19, v20, v19
	v_fma_f32 v20, v20, v18, -v22
	v_fmac_f32_e32 v19, v21, v18
	v_sub_f32_e32 v3, v3, v20
	v_sub_f32_e32 v4, v4, v19
.LBB161_747:
	s_or_b64 exec, exec, s[16:17]
	s_barrier
	s_and_saveexec_b64 s[16:17], s[42:43]
	s_cbranch_execz .LBB161_749
; %bb.748:
	v_mov_b32_e32 v18, 0
	ds_read_b64 v[18:19], v18 offset:10400
	s_waitcnt lgkmcnt(0)
	v_mul_f32_e32 v20, v4, v19
	v_mul_f32_e32 v21, v3, v19
	v_fma_f32 v3, v3, v18, -v20
	v_fmac_f32_e32 v21, v4, v18
	v_xor_b32_e32 v18, 0x80000000, v3
	v_xor_b32_e32 v19, 0x80000000, v21
	v_mov_b32_e32 v4, v21
	ds_write_b64 v7, v[18:19]
.LBB161_749:
	s_or_b64 exec, exec, s[16:17]
	s_waitcnt lgkmcnt(0)
	s_barrier
	s_barrier
	s_and_saveexec_b64 s[16:17], s[22:23]
; %bb.750:
	v_lshlrev_b32_e32 v18, 3, v5
	v_lshl_or_b32 v18, v6, 9, v18
	ds_write_b64 v18, v[3:4] offset:11424
; %bb.751:
	s_or_b64 exec, exec, s[16:17]
	s_waitcnt lgkmcnt(0)
	s_barrier
	s_barrier
	s_and_saveexec_b64 s[16:17], s[46:47]
	s_cbranch_execz .LBB161_753
; %bb.752:
	v_lshlrev_b32_e32 v18, 3, v0
	s_movk_i32 s18, 0x1f8
	v_mad_u32_u24 v19, v0, s18, v18
	ds_read_b64 v[3:4], v19 offset:11424
	s_waitcnt lgkmcnt(0)
	ds_write_b64 v18, v[3:4] offset:10416
	ds_read_b64 v[3:4], v19 offset:11432
	s_waitcnt lgkmcnt(0)
	ds_write_b64 v18, v[3:4] offset:10928
.LBB161_753:
	s_or_b64 exec, exec, s[16:17]
	s_waitcnt lgkmcnt(0)
	s_barrier
	s_and_saveexec_b64 s[16:17], vcc
	s_cbranch_execz .LBB161_755
; %bb.754:
	s_movk_i32 s18, 0xa0
	v_mov_b32_e32 v3, 0
	v_add_u32_e64 v18, s18, 0
	ds_read_b64 v[3:4], v3 offset:10920
	ds_read2st64_b64 v[18:21], v18 offset0:20 offset1:21
	s_movk_i32 s18, 0x2800
	s_waitcnt lgkmcnt(0)
	v_mul_f32_e32 v22, v4, v19
	v_mul_f32_e32 v19, v3, v19
	v_fma_f32 v22, v3, v18, -v22
	v_fmac_f32_e32 v19, v4, v18
	v_mul_f32_e32 v3, v19, v21
	v_mul_f32_e32 v4, v22, v21
	v_fma_f32 v3, v22, v20, -v3
	v_fmac_f32_e32 v4, v19, v20
	v_add_u32_e64 v18, s18, 0
	ds_write2_b64 v18, v[3:4], v[3:4] offset0:21 offset1:84
.LBB161_755:
	s_or_b64 exec, exec, s[16:17]
	v_mov_b32_e32 v4, 0
	v_mov_b32_e32 v3, 0
	s_waitcnt lgkmcnt(0)
	s_barrier
	buffer_wbinvl1_vol
	s_and_saveexec_b64 s[18:19], s[10:11]
	s_cbranch_execz .LBB161_761
; %bb.756:
	v_lshlrev_b32_e32 v18, 3, v9
	v_lshlrev_b32_e32 v19, 9, v10
	ds_read_b64 v[3:4], v18 offset:10368
	ds_read_b64 v[20:21], v19 offset:10400
	v_cmp_gt_u32_e64 s[16:17], 12, v8
	s_waitcnt lgkmcnt(0)
	v_mul_f32_e32 v22, v21, v4
	v_mul_f32_e32 v4, v20, v4
	v_fma_f32 v20, v20, v3, -v22
	v_fmac_f32_e32 v4, v21, v3
	v_add_f32_e32 v3, 0, v20
	v_add_f32_e32 v4, 0, v4
	s_and_saveexec_b64 s[20:21], s[16:17]
	s_cbranch_execnz .LBB161_1150
; %bb.757:
	s_or_b64 exec, exec, s[20:21]
	v_cmp_gt_u32_e64 s[16:17], 8, v8
	s_and_saveexec_b64 s[20:21], s[16:17]
	s_cbranch_execnz .LBB161_1151
.LBB161_758:
	s_or_b64 exec, exec, s[20:21]
	v_cmp_gt_u32_e64 s[16:17], 4, v8
	s_and_saveexec_b64 s[20:21], s[16:17]
	s_cbranch_execz .LBB161_760
.LBB161_759:
	v_lshlrev_b32_e32 v18, 3, v0
	v_mov_b32_e32 v20, 0
	ds_read_b64 v[18:19], v18 offset:11904
	ds_read_b64 v[20:21], v20 offset:11960
	s_waitcnt lgkmcnt(0)
	v_mul_f32_e32 v22, v21, v19
	v_mul_f32_e32 v19, v20, v19
	v_fma_f32 v20, v20, v18, -v22
	v_fmac_f32_e32 v19, v21, v18
	v_add_f32_e32 v3, v3, v20
	v_add_f32_e32 v4, v4, v19
.LBB161_760:
	s_or_b64 exec, exec, s[20:21]
.LBB161_761:
	s_or_b64 exec, exec, s[18:19]
	s_and_saveexec_b64 s[16:17], s[50:51]
	s_cbranch_execz .LBB161_763
; %bb.762:
	v_mov_b32_e32 v18, 0
	ds_read_b64 v[18:19], v18 offset:9880
	s_waitcnt lgkmcnt(0)
	v_mul_f32_e32 v20, v4, v19
	v_mul_f32_e32 v21, v3, v19
	v_fma_f32 v3, v3, v18, -v20
	v_fmac_f32_e32 v21, v4, v18
	v_xor_b32_e32 v18, 0x80000000, v3
	v_xor_b32_e32 v19, 0x80000000, v21
	v_mov_b32_e32 v4, v21
	ds_write_b64 v11, v[18:19]
.LBB161_763:
	s_or_b64 exec, exec, s[16:17]
	s_waitcnt lgkmcnt(0)
	s_barrier
	s_and_saveexec_b64 s[16:17], s[52:53]
	s_cbranch_execz .LBB161_765
; %bb.764:
	v_lshlrev_b32_e32 v18, 3, v9
	ds_read_b64 v[18:19], v18 offset:9856
	ds_read_b64 v[20:21], v11
	s_waitcnt lgkmcnt(0)
	v_mul_f32_e32 v22, v21, v19
	v_mul_f32_e32 v19, v20, v19
	v_fma_f32 v20, v20, v18, -v22
	v_fmac_f32_e32 v19, v21, v18
	v_sub_f32_e32 v3, v3, v20
	v_sub_f32_e32 v4, v4, v19
.LBB161_765:
	s_or_b64 exec, exec, s[16:17]
	s_barrier
	s_and_saveexec_b64 s[16:17], s[54:55]
	s_cbranch_execz .LBB161_767
; %bb.766:
	v_mov_b32_e32 v18, 0
	ds_read_b64 v[18:19], v18 offset:9360
	s_waitcnt lgkmcnt(0)
	v_mul_f32_e32 v20, v4, v19
	v_mul_f32_e32 v21, v3, v19
	v_fma_f32 v3, v3, v18, -v20
	v_fmac_f32_e32 v21, v4, v18
	v_xor_b32_e32 v18, 0x80000000, v3
	v_xor_b32_e32 v19, 0x80000000, v21
	v_mov_b32_e32 v4, v21
	ds_write_b64 v11, v[18:19]
.LBB161_767:
	s_or_b64 exec, exec, s[16:17]
	s_waitcnt lgkmcnt(0)
	s_barrier
	s_and_saveexec_b64 s[16:17], s[56:57]
	s_cbranch_execz .LBB161_769
; %bb.768:
	v_lshlrev_b32_e32 v18, 3, v9
	ds_read_b64 v[18:19], v18 offset:9344
	ds_read_b64 v[20:21], v11
	s_waitcnt lgkmcnt(0)
	v_mul_f32_e32 v22, v21, v19
	v_mul_f32_e32 v19, v20, v19
	v_fma_f32 v20, v20, v18, -v22
	v_fmac_f32_e32 v19, v21, v18
	v_sub_f32_e32 v3, v3, v20
	v_sub_f32_e32 v4, v4, v19
.LBB161_769:
	s_or_b64 exec, exec, s[16:17]
	s_barrier
	s_and_saveexec_b64 s[16:17], s[58:59]
	s_cbranch_execz .LBB161_771
; %bb.770:
	v_mov_b32_e32 v18, 0
	ds_read_b64 v[18:19], v18 offset:8840
	s_waitcnt lgkmcnt(0)
	v_mul_f32_e32 v20, v4, v19
	v_mul_f32_e32 v21, v3, v19
	v_fma_f32 v3, v3, v18, -v20
	v_fmac_f32_e32 v21, v4, v18
	v_xor_b32_e32 v18, 0x80000000, v3
	v_xor_b32_e32 v19, 0x80000000, v21
	v_mov_b32_e32 v4, v21
	ds_write_b64 v11, v[18:19]
.LBB161_771:
	s_or_b64 exec, exec, s[16:17]
	s_waitcnt lgkmcnt(0)
	s_barrier
	s_and_saveexec_b64 s[16:17], s[48:49]
	s_cbranch_execz .LBB161_773
; %bb.772:
	v_mov_b32_e32 v18, 0
	ds_read_b64 v[18:19], v18 offset:8832
	ds_read_b64 v[20:21], v11
	s_waitcnt lgkmcnt(0)
	v_mul_f32_e32 v22, v21, v19
	v_mul_f32_e32 v19, v20, v19
	v_fma_f32 v20, v20, v18, -v22
	v_fmac_f32_e32 v19, v21, v18
	v_sub_f32_e32 v3, v3, v20
	v_sub_f32_e32 v4, v4, v19
.LBB161_773:
	s_or_b64 exec, exec, s[16:17]
	s_barrier
	s_and_saveexec_b64 s[16:17], s[48:49]
	s_cbranch_execz .LBB161_775
; %bb.774:
	v_mov_b32_e32 v18, 0
	ds_read_b64 v[18:19], v18 offset:8320
	s_waitcnt lgkmcnt(0)
	v_mul_f32_e32 v20, v4, v19
	v_mul_f32_e32 v21, v3, v19
	v_fma_f32 v3, v3, v18, -v20
	v_fmac_f32_e32 v21, v4, v18
	v_xor_b32_e32 v18, 0x80000000, v3
	v_xor_b32_e32 v19, 0x80000000, v21
	v_mov_b32_e32 v4, v21
	ds_write_b64 v11, v[18:19]
.LBB161_775:
	s_or_b64 exec, exec, s[16:17]
	s_waitcnt lgkmcnt(0)
	s_barrier
	s_barrier
	s_and_saveexec_b64 s[16:17], s[10:11]
; %bb.776:
	v_lshlrev_b32_e32 v18, 3, v9
	v_lshl_or_b32 v18, v10, 9, v18
	ds_write_b64 v18, v[3:4] offset:10368
; %bb.777:
	s_or_b64 exec, exec, s[16:17]
	s_waitcnt lgkmcnt(0)
	s_barrier
	s_barrier
	s_and_saveexec_b64 s[16:17], s[60:61]
	s_cbranch_execz .LBB161_779
; %bb.778:
	v_lshlrev_b32_e32 v18, 9, v0
	ds_read_b64 v[3:4], v18 offset:10368
	s_movk_i32 s18, 0xfe08
	v_mad_i32_i24 v19, v0, s18, v18
	s_waitcnt lgkmcnt(0)
	ds_write_b64 v19, v[3:4] offset:8352
	ds_read_b64 v[3:4], v18 offset:10376
	s_waitcnt lgkmcnt(0)
	ds_write_b64 v19, v[3:4] offset:8864
	ds_read_b64 v[3:4], v18 offset:10384
	;; [unrolled: 3-line block ×3, first 2 shown]
	s_waitcnt lgkmcnt(0)
	ds_write_b64 v19, v[3:4] offset:9888
.LBB161_779:
	s_or_b64 exec, exec, s[16:17]
	s_waitcnt lgkmcnt(0)
	s_barrier
	s_and_saveexec_b64 s[16:17], vcc
	s_cbranch_execz .LBB161_781
; %bb.780:
	s_movk_i32 s18, 0x90
	v_mov_b32_e32 v3, 0
	v_add_u32_e64 v18, s18, 0
	ds_read_b64 v[3:4], v3 offset:9880
	ds_read2st64_b64 v[18:21], v18 offset0:18 offset1:19
	s_movk_i32 s18, 0x2000
	s_waitcnt lgkmcnt(0)
	v_mul_f32_e32 v22, v4, v19
	v_mul_f32_e32 v19, v3, v19
	v_fma_f32 v22, v3, v18, -v22
	v_fmac_f32_e32 v19, v4, v18
	v_mul_f32_e32 v3, v19, v21
	v_mul_f32_e32 v4, v22, v21
	v_fma_f32 v3, v22, v20, -v3
	v_fmac_f32_e32 v4, v19, v20
	v_add_u32_e64 v18, s18, 0
	ds_write2_b64 v18, v[3:4], v[3:4] offset0:147 offset1:210
.LBB161_781:
	s_or_b64 exec, exec, s[16:17]
	v_mov_b32_e32 v3, 0
	v_mov_b32_e32 v4, 0
	s_waitcnt lgkmcnt(0)
	s_barrier
	buffer_wbinvl1_vol
	s_and_saveexec_b64 s[18:19], s[22:23]
	s_cbranch_execz .LBB161_785
; %bb.782:
	v_lshlrev_b32_e32 v3, 3, v5
	v_lshlrev_b32_e32 v18, 9, v6
	ds_read_b64 v[3:4], v3 offset:9344
	ds_read_b64 v[18:19], v18 offset:9360
	v_cmp_gt_u32_e64 s[16:17], 2, v8
	s_waitcnt lgkmcnt(0)
	v_mul_f32_e32 v20, v19, v4
	v_mul_f32_e32 v4, v18, v4
	v_fma_f32 v18, v18, v3, -v20
	v_fmac_f32_e32 v4, v19, v3
	v_add_f32_e32 v3, 0, v18
	v_add_f32_e32 v4, 0, v4
	s_and_saveexec_b64 s[20:21], s[16:17]
	s_cbranch_execz .LBB161_784
; %bb.783:
	v_lshlrev_b32_e32 v18, 3, v0
	v_mov_b32_e32 v20, 0
	ds_read_b64 v[18:19], v18 offset:9856
	ds_read_b64 v[20:21], v20 offset:9880
	s_waitcnt lgkmcnt(0)
	v_mul_f32_e32 v22, v21, v19
	v_mul_f32_e32 v19, v20, v19
	v_fma_f32 v20, v20, v18, -v22
	v_fmac_f32_e32 v19, v21, v18
	v_add_f32_e32 v3, v3, v20
	v_add_f32_e32 v4, v4, v19
.LBB161_784:
	s_or_b64 exec, exec, s[20:21]
.LBB161_785:
	s_or_b64 exec, exec, s[18:19]
	s_and_saveexec_b64 s[16:17], s[44:45]
	s_cbranch_execz .LBB161_787
; %bb.786:
	v_mov_b32_e32 v18, 0
	ds_read_b64 v[18:19], v18 offset:8840
	s_waitcnt lgkmcnt(0)
	v_mul_f32_e32 v20, v4, v19
	v_mul_f32_e32 v21, v3, v19
	v_fma_f32 v3, v3, v18, -v20
	v_fmac_f32_e32 v21, v4, v18
	v_xor_b32_e32 v18, 0x80000000, v3
	v_xor_b32_e32 v19, 0x80000000, v21
	v_mov_b32_e32 v4, v21
	ds_write_b64 v7, v[18:19]
.LBB161_787:
	s_or_b64 exec, exec, s[16:17]
	s_waitcnt lgkmcnt(0)
	s_barrier
	s_and_saveexec_b64 s[16:17], s[42:43]
	s_cbranch_execz .LBB161_789
; %bb.788:
	v_mov_b32_e32 v18, 0
	ds_read_b64 v[18:19], v18 offset:8832
	ds_read_b64 v[20:21], v7
	s_waitcnt lgkmcnt(0)
	v_mul_f32_e32 v22, v21, v19
	v_mul_f32_e32 v19, v20, v19
	v_fma_f32 v20, v20, v18, -v22
	v_fmac_f32_e32 v19, v21, v18
	v_sub_f32_e32 v3, v3, v20
	v_sub_f32_e32 v4, v4, v19
.LBB161_789:
	s_or_b64 exec, exec, s[16:17]
	s_barrier
	s_and_saveexec_b64 s[16:17], s[42:43]
	s_cbranch_execz .LBB161_791
; %bb.790:
	v_mov_b32_e32 v18, 0
	ds_read_b64 v[18:19], v18 offset:8320
	s_waitcnt lgkmcnt(0)
	v_mul_f32_e32 v20, v4, v19
	v_mul_f32_e32 v21, v3, v19
	v_fma_f32 v3, v3, v18, -v20
	v_fmac_f32_e32 v21, v4, v18
	v_xor_b32_e32 v18, 0x80000000, v3
	v_xor_b32_e32 v19, 0x80000000, v21
	v_mov_b32_e32 v4, v21
	ds_write_b64 v7, v[18:19]
.LBB161_791:
	s_or_b64 exec, exec, s[16:17]
	s_waitcnt lgkmcnt(0)
	s_barrier
	s_barrier
	s_and_saveexec_b64 s[16:17], s[22:23]
; %bb.792:
	v_lshlrev_b32_e32 v18, 3, v5
	v_lshl_or_b32 v18, v6, 9, v18
	ds_write_b64 v18, v[3:4] offset:9344
; %bb.793:
	s_or_b64 exec, exec, s[16:17]
	s_waitcnt lgkmcnt(0)
	s_barrier
	s_barrier
	s_and_saveexec_b64 s[16:17], s[46:47]
	s_cbranch_execz .LBB161_795
; %bb.794:
	v_lshlrev_b32_e32 v18, 3, v0
	s_movk_i32 s18, 0x1f8
	v_mad_u32_u24 v19, v0, s18, v18
	ds_read_b64 v[3:4], v19 offset:9344
	s_waitcnt lgkmcnt(0)
	ds_write_b64 v18, v[3:4] offset:8336
	ds_read_b64 v[3:4], v19 offset:9352
	s_waitcnt lgkmcnt(0)
	ds_write_b64 v18, v[3:4] offset:8848
.LBB161_795:
	s_or_b64 exec, exec, s[16:17]
	s_waitcnt lgkmcnt(0)
	s_barrier
	s_and_saveexec_b64 s[16:17], vcc
	s_cbranch_execz .LBB161_797
; %bb.796:
	s_movk_i32 s18, 0x80
	v_mov_b32_e32 v3, 0
	v_add_u32_e64 v18, s18, 0
	ds_read_b64 v[3:4], v3 offset:8840
	ds_read2st64_b64 v[18:21], v18 offset0:16 offset1:17
	s_movk_i32 s18, 0x2000
	s_waitcnt lgkmcnt(0)
	v_mul_f32_e32 v22, v4, v19
	v_mul_f32_e32 v19, v3, v19
	v_fma_f32 v22, v3, v18, -v22
	v_fmac_f32_e32 v19, v4, v18
	v_mul_f32_e32 v3, v19, v21
	v_mul_f32_e32 v4, v22, v21
	v_fma_f32 v3, v22, v20, -v3
	v_fmac_f32_e32 v4, v19, v20
	v_add_u32_e64 v18, s18, 0
	ds_write2_b64 v18, v[3:4], v[3:4] offset0:17 offset1:80
.LBB161_797:
	s_or_b64 exec, exec, s[16:17]
	v_mov_b32_e32 v4, 0
	v_mov_b32_e32 v3, 0
	s_waitcnt lgkmcnt(0)
	s_barrier
	buffer_wbinvl1_vol
	s_and_saveexec_b64 s[18:19], s[14:15]
	s_cbranch_execz .LBB161_825
; %bb.798:
	v_lshlrev_b32_e32 v18, 3, v15
	v_lshlrev_b32_e32 v19, 9, v16
	ds_read_b64 v[3:4], v18 offset:8192
	ds_read_b64 v[20:21], v19 offset:8320
	s_movk_i32 s16, 0xf0
	v_cmp_gt_u32_e64 s[16:17], s16, v8
	s_waitcnt lgkmcnt(0)
	v_mul_f32_e32 v22, v21, v4
	v_mul_f32_e32 v4, v20, v4
	v_fma_f32 v20, v20, v3, -v22
	v_fmac_f32_e32 v4, v21, v3
	v_add_f32_e32 v3, 0, v20
	v_add_f32_e32 v4, 0, v4
	s_and_saveexec_b64 s[20:21], s[16:17]
	s_cbranch_execz .LBB161_800
; %bb.799:
	ds_read_b64 v[20:21], v18 offset:8704
	ds_read_b64 v[22:23], v19 offset:8328
	s_waitcnt lgkmcnt(0)
	v_mul_f32_e32 v24, v23, v21
	v_mul_f32_e32 v21, v22, v21
	v_fma_f32 v22, v22, v20, -v24
	v_fmac_f32_e32 v21, v23, v20
	v_add_f32_e32 v3, v3, v22
	v_add_f32_e32 v4, v4, v21
.LBB161_800:
	s_or_b64 exec, exec, s[20:21]
	s_movk_i32 s16, 0xe0
	v_cmp_gt_u32_e64 s[16:17], s16, v8
	s_and_saveexec_b64 s[20:21], s[16:17]
	s_cbranch_execz .LBB161_802
; %bb.801:
	ds_read_b64 v[20:21], v18 offset:9216
	ds_read_b64 v[22:23], v19 offset:8336
	s_waitcnt lgkmcnt(0)
	v_mul_f32_e32 v24, v23, v21
	v_mul_f32_e32 v21, v22, v21
	v_fma_f32 v22, v22, v20, -v24
	v_fmac_f32_e32 v21, v23, v20
	v_add_f32_e32 v3, v3, v22
	v_add_f32_e32 v4, v4, v21
.LBB161_802:
	s_or_b64 exec, exec, s[20:21]
	s_movk_i32 s16, 0xd0
	v_cmp_gt_u32_e64 s[16:17], s16, v8
	;; [unrolled: 16-line block ×10, first 2 shown]
	s_and_saveexec_b64 s[20:21], s[16:17]
	s_cbranch_execnz .LBB161_1152
; %bb.819:
	s_or_b64 exec, exec, s[20:21]
	s_and_saveexec_b64 s[16:17], s[12:13]
	s_cbranch_execnz .LBB161_1153
.LBB161_820:
	s_or_b64 exec, exec, s[16:17]
	v_cmp_gt_u32_e64 s[16:17], 48, v8
	s_and_saveexec_b64 s[20:21], s[16:17]
	s_cbranch_execnz .LBB161_1154
.LBB161_821:
	s_or_b64 exec, exec, s[20:21]
	v_cmp_gt_u32_e64 s[16:17], 32, v8
	s_and_saveexec_b64 s[20:21], s[16:17]
	s_cbranch_execnz .LBB161_1155
.LBB161_822:
	s_or_b64 exec, exec, s[20:21]
	v_cmp_gt_u32_e64 s[16:17], 16, v8
	s_and_saveexec_b64 s[20:21], s[16:17]
	s_cbranch_execz .LBB161_824
.LBB161_823:
	v_lshlrev_b32_e32 v18, 3, v0
	v_mov_b32_e32 v20, 0
	ds_read_b64 v[18:19], v18 offset:15872
	ds_read_b64 v[20:21], v20 offset:16120
	s_waitcnt lgkmcnt(0)
	v_mul_f32_e32 v22, v21, v19
	v_mul_f32_e32 v19, v20, v19
	v_fma_f32 v20, v20, v18, -v22
	v_fmac_f32_e32 v19, v21, v18
	v_add_f32_e32 v3, v3, v20
	v_add_f32_e32 v4, v4, v19
.LBB161_824:
	s_or_b64 exec, exec, s[20:21]
.LBB161_825:
	s_or_b64 exec, exec, s[18:19]
	s_mov_b64 s[16:17], exec
	v_readlane_b32 s18, v30, 5
	v_readlane_b32 s19, v30, 6
	s_and_b64 s[18:19], s[16:17], s[18:19]
	s_mov_b64 exec, s[18:19]
	s_cbranch_execz .LBB161_827
; %bb.826:
	v_mov_b32_e32 v18, 0
	ds_read_b64 v[18:19], v18 offset:7800
	s_waitcnt lgkmcnt(0)
	v_mul_f32_e32 v20, v4, v19
	v_mul_f32_e32 v21, v3, v19
	v_fma_f32 v3, v3, v18, -v20
	v_fmac_f32_e32 v21, v4, v18
	v_xor_b32_e32 v18, 0x80000000, v3
	v_xor_b32_e32 v19, 0x80000000, v21
	v_mov_b32_e32 v4, v21
	ds_write_b64 v17, v[18:19]
.LBB161_827:
	s_or_b64 exec, exec, s[16:17]
	s_waitcnt lgkmcnt(0)
	s_barrier
	s_mov_b64 s[16:17], exec
	v_readlane_b32 s18, v30, 7
	v_readlane_b32 s19, v30, 8
	s_and_b64 s[18:19], s[16:17], s[18:19]
	s_mov_b64 exec, s[18:19]
	s_cbranch_execz .LBB161_829
; %bb.828:
	v_lshlrev_b32_e32 v18, 3, v15
	ds_read_b64 v[18:19], v18 offset:7680
	ds_read_b64 v[20:21], v17
	s_waitcnt lgkmcnt(0)
	v_mul_f32_e32 v22, v21, v19
	v_mul_f32_e32 v19, v20, v19
	v_fma_f32 v20, v20, v18, -v22
	v_fmac_f32_e32 v19, v21, v18
	v_sub_f32_e32 v3, v3, v20
	v_sub_f32_e32 v4, v4, v19
.LBB161_829:
	s_or_b64 exec, exec, s[16:17]
	s_barrier
	s_mov_b64 s[16:17], exec
	v_readlane_b32 s18, v30, 9
	v_readlane_b32 s19, v30, 10
	s_and_b64 s[18:19], s[16:17], s[18:19]
	s_mov_b64 exec, s[18:19]
	s_cbranch_execz .LBB161_831
; %bb.830:
	v_mov_b32_e32 v18, 0
	ds_read_b64 v[18:19], v18 offset:7280
	s_waitcnt lgkmcnt(0)
	v_mul_f32_e32 v20, v4, v19
	v_mul_f32_e32 v21, v3, v19
	v_fma_f32 v3, v3, v18, -v20
	v_fmac_f32_e32 v21, v4, v18
	v_xor_b32_e32 v18, 0x80000000, v3
	v_xor_b32_e32 v19, 0x80000000, v21
	v_mov_b32_e32 v4, v21
	ds_write_b64 v17, v[18:19]
.LBB161_831:
	s_or_b64 exec, exec, s[16:17]
	s_waitcnt lgkmcnt(0)
	s_barrier
	s_mov_b64 s[16:17], exec
	v_readlane_b32 s18, v30, 11
	v_readlane_b32 s19, v30, 12
	s_and_b64 s[18:19], s[16:17], s[18:19]
	s_mov_b64 exec, s[18:19]
	s_cbranch_execz .LBB161_833
; %bb.832:
	v_lshlrev_b32_e32 v18, 3, v15
	ds_read_b64 v[18:19], v18 offset:7168
	ds_read_b64 v[20:21], v17
	s_waitcnt lgkmcnt(0)
	v_mul_f32_e32 v22, v21, v19
	v_mul_f32_e32 v19, v20, v19
	v_fma_f32 v20, v20, v18, -v22
	v_fmac_f32_e32 v19, v21, v18
	v_sub_f32_e32 v3, v3, v20
	v_sub_f32_e32 v4, v4, v19
.LBB161_833:
	s_or_b64 exec, exec, s[16:17]
	s_barrier
	;; [unrolled: 42-line block ×13, first 2 shown]
	s_mov_b64 s[16:17], exec
	v_readlane_b32 s18, v30, 57
	v_readlane_b32 s19, v30, 58
	s_and_b64 s[18:19], s[16:17], s[18:19]
	s_mov_b64 exec, s[18:19]
	s_cbranch_execz .LBB161_879
; %bb.878:
	v_mov_b32_e32 v18, 0
	ds_read_b64 v[18:19], v18 offset:1040
	s_waitcnt lgkmcnt(0)
	v_mul_f32_e32 v20, v4, v19
	v_mul_f32_e32 v21, v3, v19
	v_fma_f32 v3, v3, v18, -v20
	v_fmac_f32_e32 v21, v4, v18
	v_xor_b32_e32 v18, 0x80000000, v3
	v_xor_b32_e32 v19, 0x80000000, v21
	v_mov_b32_e32 v4, v21
	ds_write_b64 v17, v[18:19]
.LBB161_879:
	s_or_b64 exec, exec, s[16:17]
	s_waitcnt lgkmcnt(0)
	s_barrier
	s_and_saveexec_b64 s[16:17], s[26:27]
	s_cbranch_execz .LBB161_881
; %bb.880:
	v_lshlrev_b32_e32 v18, 3, v15
	ds_read_b64 v[18:19], v18 offset:1024
	ds_read_b64 v[20:21], v17
	s_waitcnt lgkmcnt(0)
	v_mul_f32_e32 v22, v21, v19
	v_mul_f32_e32 v19, v20, v19
	v_fma_f32 v20, v20, v18, -v22
	v_fmac_f32_e32 v19, v21, v18
	v_sub_f32_e32 v3, v3, v20
	v_sub_f32_e32 v4, v4, v19
.LBB161_881:
	s_or_b64 exec, exec, s[16:17]
	s_barrier
	s_and_saveexec_b64 s[16:17], s[6:7]
	s_cbranch_execz .LBB161_883
; %bb.882:
	v_mov_b32_e32 v18, 0
	ds_read_b64 v[18:19], v18 offset:520
	s_waitcnt lgkmcnt(0)
	v_mul_f32_e32 v20, v4, v19
	v_mul_f32_e32 v21, v3, v19
	v_fma_f32 v3, v3, v18, -v20
	v_fmac_f32_e32 v21, v4, v18
	v_xor_b32_e32 v18, 0x80000000, v3
	v_xor_b32_e32 v19, 0x80000000, v21
	v_mov_b32_e32 v4, v21
	ds_write_b64 v17, v[18:19]
.LBB161_883:
	s_or_b64 exec, exec, s[16:17]
	s_waitcnt lgkmcnt(0)
	s_barrier
	s_and_saveexec_b64 s[6:7], s[38:39]
	s_cbranch_execz .LBB161_885
; %bb.884:
	v_mov_b32_e32 v18, 0
	ds_read_b64 v[18:19], v18 offset:512
	ds_read_b64 v[20:21], v17
	s_waitcnt lgkmcnt(0)
	v_mul_f32_e32 v22, v21, v19
	v_mul_f32_e32 v19, v20, v19
	v_fma_f32 v20, v20, v18, -v22
	v_fmac_f32_e32 v19, v21, v18
	v_sub_f32_e32 v3, v3, v20
	v_sub_f32_e32 v4, v4, v19
.LBB161_885:
	s_or_b64 exec, exec, s[6:7]
	s_barrier
	s_and_saveexec_b64 s[6:7], s[38:39]
	s_cbranch_execz .LBB161_887
; %bb.886:
	v_mov_b32_e32 v18, 0
	ds_read_b64 v[18:19], v18
	s_waitcnt lgkmcnt(0)
	v_mul_f32_e32 v20, v4, v19
	v_mul_f32_e32 v21, v3, v19
	v_fma_f32 v3, v3, v18, -v20
	v_fmac_f32_e32 v21, v4, v18
	v_xor_b32_e32 v18, 0x80000000, v3
	v_xor_b32_e32 v19, 0x80000000, v21
	v_mov_b32_e32 v4, v21
	ds_write_b64 v17, v[18:19]
.LBB161_887:
	s_or_b64 exec, exec, s[6:7]
	s_waitcnt lgkmcnt(0)
	s_barrier
	s_barrier
	s_and_saveexec_b64 s[6:7], s[14:15]
; %bb.888:
	v_lshlrev_b32_e32 v15, 3, v15
	v_lshl_or_b32 v15, v16, 9, v15
	ds_write_b64 v15, v[3:4] offset:8192
; %bb.889:
	s_or_b64 exec, exec, s[6:7]
	s_waitcnt lgkmcnt(0)
	s_barrier
	s_barrier
	s_and_saveexec_b64 s[6:7], s[40:41]
	s_cbranch_execz .LBB161_891
; %bb.890:
	v_lshlrev_b32_e32 v15, 9, v0
	ds_read_b64 v[3:4], v15 offset:8192
	s_movk_i32 s14, 0xfe08
	v_mad_i32_i24 v16, v0, s14, v15
	s_waitcnt lgkmcnt(0)
	ds_write_b64 v16, v[3:4] offset:128
	ds_read_b64 v[3:4], v15 offset:8200
	s_waitcnt lgkmcnt(0)
	ds_write_b64 v16, v[3:4] offset:640
	ds_read_b64 v[3:4], v15 offset:8208
	;; [unrolled: 3-line block ×15, first 2 shown]
	s_waitcnt lgkmcnt(0)
	ds_write_b64 v16, v[3:4] offset:7808
.LBB161_891:
	s_or_b64 exec, exec, s[6:7]
	s_waitcnt lgkmcnt(0)
	s_barrier
	s_and_saveexec_b64 s[6:7], vcc
	s_cbranch_execz .LBB161_893
; %bb.892:
	s_movk_i32 s14, 0x70
	v_mov_b32_e32 v3, 0
	v_add_u32_e64 v15, s14, 0
	ds_read_b64 v[3:4], v3 offset:7800
	ds_read2st64_b64 v[15:18], v15 offset0:14 offset1:15
	s_movk_i32 s14, 0x1800
	s_waitcnt lgkmcnt(0)
	v_mul_f32_e32 v19, v4, v16
	v_mul_f32_e32 v16, v3, v16
	v_fma_f32 v19, v3, v15, -v19
	v_fmac_f32_e32 v16, v4, v15
	v_mul_f32_e32 v3, v16, v18
	v_mul_f32_e32 v4, v19, v18
	v_fma_f32 v3, v19, v17, -v3
	v_fmac_f32_e32 v4, v16, v17
	v_add_u32_e64 v15, s14, 0
	ds_write2_b64 v15, v[3:4], v[3:4] offset0:143 offset1:206
.LBB161_893:
	s_or_b64 exec, exec, s[6:7]
	v_mov_b32_e32 v3, 0
	v_mov_b32_e32 v4, 0
	s_waitcnt lgkmcnt(0)
	s_barrier
	buffer_wbinvl1_vol
	s_and_saveexec_b64 s[6:7], s[22:23]
	s_cbranch_execz .LBB161_897
; %bb.894:
	v_lshlrev_b32_e32 v3, 3, v5
	v_lshlrev_b32_e32 v15, 9, v6
	ds_read_b64 v[3:4], v3 offset:7264
	ds_read_b64 v[15:16], v15 offset:7280
	v_cmp_gt_u32_e64 s[14:15], 2, v8
	s_waitcnt lgkmcnt(0)
	v_mul_f32_e32 v17, v16, v4
	v_mul_f32_e32 v4, v15, v4
	v_fma_f32 v15, v15, v3, -v17
	v_fmac_f32_e32 v4, v16, v3
	v_add_f32_e32 v3, 0, v15
	v_add_f32_e32 v4, 0, v4
	s_and_saveexec_b64 s[16:17], s[14:15]
	s_cbranch_execz .LBB161_896
; %bb.895:
	v_lshlrev_b32_e32 v15, 3, v0
	v_mov_b32_e32 v17, 0
	ds_read_b64 v[15:16], v15 offset:7776
	ds_read_b64 v[17:18], v17 offset:7800
	s_waitcnt lgkmcnt(0)
	v_mul_f32_e32 v19, v18, v16
	v_mul_f32_e32 v16, v17, v16
	v_fma_f32 v17, v17, v15, -v19
	v_fmac_f32_e32 v16, v18, v15
	v_add_f32_e32 v3, v3, v17
	v_add_f32_e32 v4, v4, v16
.LBB161_896:
	s_or_b64 exec, exec, s[16:17]
.LBB161_897:
	s_or_b64 exec, exec, s[6:7]
	s_and_saveexec_b64 s[6:7], s[44:45]
	s_cbranch_execz .LBB161_899
; %bb.898:
	v_mov_b32_e32 v15, 0
	ds_read_b64 v[15:16], v15 offset:6760
	s_waitcnt lgkmcnt(0)
	v_mul_f32_e32 v17, v4, v16
	v_mul_f32_e32 v18, v3, v16
	v_fma_f32 v3, v3, v15, -v17
	v_fmac_f32_e32 v18, v4, v15
	v_xor_b32_e32 v15, 0x80000000, v3
	v_xor_b32_e32 v16, 0x80000000, v18
	v_mov_b32_e32 v4, v18
	ds_write_b64 v7, v[15:16]
.LBB161_899:
	s_or_b64 exec, exec, s[6:7]
	s_waitcnt lgkmcnt(0)
	s_barrier
	s_and_saveexec_b64 s[6:7], s[42:43]
	s_cbranch_execz .LBB161_901
; %bb.900:
	v_mov_b32_e32 v15, 0
	ds_read_b64 v[15:16], v15 offset:6752
	ds_read_b64 v[17:18], v7
	s_waitcnt lgkmcnt(0)
	v_mul_f32_e32 v19, v18, v16
	v_mul_f32_e32 v16, v17, v16
	v_fma_f32 v17, v17, v15, -v19
	v_fmac_f32_e32 v16, v18, v15
	v_sub_f32_e32 v3, v3, v17
	v_sub_f32_e32 v4, v4, v16
.LBB161_901:
	s_or_b64 exec, exec, s[6:7]
	s_barrier
	s_and_saveexec_b64 s[6:7], s[42:43]
	s_cbranch_execz .LBB161_903
; %bb.902:
	v_mov_b32_e32 v15, 0
	ds_read_b64 v[15:16], v15 offset:6240
	s_waitcnt lgkmcnt(0)
	v_mul_f32_e32 v17, v4, v16
	v_mul_f32_e32 v18, v3, v16
	v_fma_f32 v3, v3, v15, -v17
	v_fmac_f32_e32 v18, v4, v15
	v_xor_b32_e32 v15, 0x80000000, v3
	v_xor_b32_e32 v16, 0x80000000, v18
	v_mov_b32_e32 v4, v18
	ds_write_b64 v7, v[15:16]
.LBB161_903:
	s_or_b64 exec, exec, s[6:7]
	s_waitcnt lgkmcnt(0)
	s_barrier
	s_barrier
	s_and_saveexec_b64 s[6:7], s[22:23]
; %bb.904:
	v_lshlrev_b32_e32 v15, 3, v5
	v_lshl_or_b32 v15, v6, 9, v15
	ds_write_b64 v15, v[3:4] offset:7264
; %bb.905:
	s_or_b64 exec, exec, s[6:7]
	s_waitcnt lgkmcnt(0)
	s_barrier
	s_barrier
	s_and_saveexec_b64 s[6:7], s[46:47]
	s_cbranch_execz .LBB161_907
; %bb.906:
	v_lshlrev_b32_e32 v15, 3, v0
	s_movk_i32 s14, 0x1f8
	v_mad_u32_u24 v16, v0, s14, v15
	ds_read_b64 v[3:4], v16 offset:7264
	s_waitcnt lgkmcnt(0)
	ds_write_b64 v15, v[3:4] offset:6256
	ds_read_b64 v[3:4], v16 offset:7272
	s_waitcnt lgkmcnt(0)
	ds_write_b64 v15, v[3:4] offset:6768
.LBB161_907:
	s_or_b64 exec, exec, s[6:7]
	s_waitcnt lgkmcnt(0)
	s_barrier
	s_and_saveexec_b64 s[6:7], vcc
	s_cbranch_execz .LBB161_909
; %bb.908:
	s_movk_i32 s14, 0x60
	v_mov_b32_e32 v3, 0
	v_add_u32_e64 v15, s14, 0
	ds_read_b64 v[3:4], v3 offset:6760
	ds_read2st64_b64 v[15:18], v15 offset0:12 offset1:13
	s_movk_i32 s14, 0x1800
	s_waitcnt lgkmcnt(0)
	v_mul_f32_e32 v19, v4, v16
	v_mul_f32_e32 v16, v3, v16
	v_fma_f32 v19, v3, v15, -v19
	v_fmac_f32_e32 v16, v4, v15
	v_mul_f32_e32 v3, v16, v18
	v_mul_f32_e32 v4, v19, v18
	v_fma_f32 v3, v19, v17, -v3
	v_fmac_f32_e32 v4, v16, v17
	v_add_u32_e64 v15, s14, 0
	ds_write2_b64 v15, v[3:4], v[3:4] offset0:13 offset1:76
.LBB161_909:
	s_or_b64 exec, exec, s[6:7]
	v_mov_b32_e32 v4, 0
	v_mov_b32_e32 v3, 0
	s_waitcnt lgkmcnt(0)
	s_barrier
	buffer_wbinvl1_vol
	s_and_saveexec_b64 s[6:7], s[10:11]
	s_cbranch_execz .LBB161_915
; %bb.910:
	v_lshlrev_b32_e32 v15, 3, v9
	v_lshlrev_b32_e32 v16, 9, v10
	ds_read_b64 v[3:4], v15 offset:6208
	ds_read_b64 v[17:18], v16 offset:6240
	v_cmp_gt_u32_e64 s[14:15], 12, v8
	s_waitcnt lgkmcnt(0)
	v_mul_f32_e32 v19, v18, v4
	v_mul_f32_e32 v4, v17, v4
	v_fma_f32 v17, v17, v3, -v19
	v_fmac_f32_e32 v4, v18, v3
	v_add_f32_e32 v3, 0, v17
	v_add_f32_e32 v4, 0, v4
	s_and_saveexec_b64 s[16:17], s[14:15]
	s_cbranch_execnz .LBB161_1156
; %bb.911:
	s_or_b64 exec, exec, s[16:17]
	v_cmp_gt_u32_e64 s[14:15], 8, v8
	s_and_saveexec_b64 s[16:17], s[14:15]
	s_cbranch_execnz .LBB161_1157
.LBB161_912:
	s_or_b64 exec, exec, s[16:17]
	v_cmp_gt_u32_e64 s[14:15], 4, v8
	s_and_saveexec_b64 s[16:17], s[14:15]
	s_cbranch_execz .LBB161_914
.LBB161_913:
	v_lshlrev_b32_e32 v15, 3, v0
	v_mov_b32_e32 v17, 0
	ds_read_b64 v[15:16], v15 offset:7744
	ds_read_b64 v[17:18], v17 offset:7800
	s_waitcnt lgkmcnt(0)
	v_mul_f32_e32 v19, v18, v16
	v_mul_f32_e32 v16, v17, v16
	v_fma_f32 v17, v17, v15, -v19
	v_fmac_f32_e32 v16, v18, v15
	v_add_f32_e32 v3, v3, v17
	v_add_f32_e32 v4, v4, v16
.LBB161_914:
	s_or_b64 exec, exec, s[16:17]
.LBB161_915:
	s_or_b64 exec, exec, s[6:7]
	s_and_saveexec_b64 s[6:7], s[50:51]
	s_cbranch_execz .LBB161_917
; %bb.916:
	v_mov_b32_e32 v15, 0
	ds_read_b64 v[15:16], v15 offset:5720
	s_waitcnt lgkmcnt(0)
	v_mul_f32_e32 v17, v4, v16
	v_mul_f32_e32 v18, v3, v16
	v_fma_f32 v3, v3, v15, -v17
	v_fmac_f32_e32 v18, v4, v15
	v_xor_b32_e32 v15, 0x80000000, v3
	v_xor_b32_e32 v16, 0x80000000, v18
	v_mov_b32_e32 v4, v18
	ds_write_b64 v11, v[15:16]
.LBB161_917:
	s_or_b64 exec, exec, s[6:7]
	s_waitcnt lgkmcnt(0)
	s_barrier
	s_and_saveexec_b64 s[6:7], s[52:53]
	s_cbranch_execz .LBB161_919
; %bb.918:
	v_lshlrev_b32_e32 v15, 3, v9
	ds_read_b64 v[15:16], v15 offset:5696
	ds_read_b64 v[17:18], v11
	s_waitcnt lgkmcnt(0)
	v_mul_f32_e32 v19, v18, v16
	v_mul_f32_e32 v16, v17, v16
	v_fma_f32 v17, v17, v15, -v19
	v_fmac_f32_e32 v16, v18, v15
	v_sub_f32_e32 v3, v3, v17
	v_sub_f32_e32 v4, v4, v16
.LBB161_919:
	s_or_b64 exec, exec, s[6:7]
	s_barrier
	s_and_saveexec_b64 s[6:7], s[54:55]
	s_cbranch_execz .LBB161_921
; %bb.920:
	v_mov_b32_e32 v15, 0
	ds_read_b64 v[15:16], v15 offset:5200
	s_waitcnt lgkmcnt(0)
	v_mul_f32_e32 v17, v4, v16
	v_mul_f32_e32 v18, v3, v16
	v_fma_f32 v3, v3, v15, -v17
	v_fmac_f32_e32 v18, v4, v15
	v_xor_b32_e32 v15, 0x80000000, v3
	v_xor_b32_e32 v16, 0x80000000, v18
	v_mov_b32_e32 v4, v18
	ds_write_b64 v11, v[15:16]
.LBB161_921:
	s_or_b64 exec, exec, s[6:7]
	s_waitcnt lgkmcnt(0)
	s_barrier
	s_and_saveexec_b64 s[6:7], s[56:57]
	s_cbranch_execz .LBB161_923
; %bb.922:
	v_lshlrev_b32_e32 v15, 3, v9
	ds_read_b64 v[15:16], v15 offset:5184
	ds_read_b64 v[17:18], v11
	s_waitcnt lgkmcnt(0)
	v_mul_f32_e32 v19, v18, v16
	v_mul_f32_e32 v16, v17, v16
	v_fma_f32 v17, v17, v15, -v19
	v_fmac_f32_e32 v16, v18, v15
	v_sub_f32_e32 v3, v3, v17
	v_sub_f32_e32 v4, v4, v16
.LBB161_923:
	s_or_b64 exec, exec, s[6:7]
	s_barrier
	s_and_saveexec_b64 s[6:7], s[58:59]
	s_cbranch_execz .LBB161_925
; %bb.924:
	v_mov_b32_e32 v15, 0
	ds_read_b64 v[15:16], v15 offset:4680
	s_waitcnt lgkmcnt(0)
	v_mul_f32_e32 v17, v4, v16
	v_mul_f32_e32 v18, v3, v16
	v_fma_f32 v3, v3, v15, -v17
	v_fmac_f32_e32 v18, v4, v15
	v_xor_b32_e32 v15, 0x80000000, v3
	v_xor_b32_e32 v16, 0x80000000, v18
	v_mov_b32_e32 v4, v18
	ds_write_b64 v11, v[15:16]
.LBB161_925:
	s_or_b64 exec, exec, s[6:7]
	s_waitcnt lgkmcnt(0)
	s_barrier
	s_and_saveexec_b64 s[6:7], s[48:49]
	s_cbranch_execz .LBB161_927
; %bb.926:
	v_mov_b32_e32 v15, 0
	ds_read_b64 v[15:16], v15 offset:4672
	ds_read_b64 v[17:18], v11
	s_waitcnt lgkmcnt(0)
	v_mul_f32_e32 v19, v18, v16
	v_mul_f32_e32 v16, v17, v16
	v_fma_f32 v17, v17, v15, -v19
	v_fmac_f32_e32 v16, v18, v15
	v_sub_f32_e32 v3, v3, v17
	v_sub_f32_e32 v4, v4, v16
.LBB161_927:
	s_or_b64 exec, exec, s[6:7]
	s_barrier
	s_and_saveexec_b64 s[6:7], s[48:49]
	s_cbranch_execz .LBB161_929
; %bb.928:
	v_mov_b32_e32 v15, 0
	ds_read_b64 v[15:16], v15 offset:4160
	s_waitcnt lgkmcnt(0)
	v_mul_f32_e32 v17, v4, v16
	v_mul_f32_e32 v18, v3, v16
	v_fma_f32 v3, v3, v15, -v17
	v_fmac_f32_e32 v18, v4, v15
	v_xor_b32_e32 v15, 0x80000000, v3
	v_xor_b32_e32 v16, 0x80000000, v18
	v_mov_b32_e32 v4, v18
	ds_write_b64 v11, v[15:16]
.LBB161_929:
	s_or_b64 exec, exec, s[6:7]
	s_waitcnt lgkmcnt(0)
	s_barrier
	s_barrier
	s_and_saveexec_b64 s[6:7], s[10:11]
; %bb.930:
	v_lshlrev_b32_e32 v15, 3, v9
	v_lshl_or_b32 v15, v10, 9, v15
	ds_write_b64 v15, v[3:4] offset:6208
; %bb.931:
	s_or_b64 exec, exec, s[6:7]
	s_waitcnt lgkmcnt(0)
	s_barrier
	s_barrier
	s_and_saveexec_b64 s[6:7], s[60:61]
	s_cbranch_execz .LBB161_933
; %bb.932:
	v_lshlrev_b32_e32 v15, 9, v0
	ds_read_b64 v[3:4], v15 offset:6208
	s_movk_i32 s14, 0xfe08
	v_mad_i32_i24 v16, v0, s14, v15
	s_waitcnt lgkmcnt(0)
	ds_write_b64 v16, v[3:4] offset:4192
	ds_read_b64 v[3:4], v15 offset:6216
	s_waitcnt lgkmcnt(0)
	ds_write_b64 v16, v[3:4] offset:4704
	ds_read_b64 v[3:4], v15 offset:6224
	;; [unrolled: 3-line block ×3, first 2 shown]
	s_waitcnt lgkmcnt(0)
	ds_write_b64 v16, v[3:4] offset:5728
.LBB161_933:
	s_or_b64 exec, exec, s[6:7]
	s_waitcnt lgkmcnt(0)
	s_barrier
	s_and_saveexec_b64 s[6:7], vcc
	s_cbranch_execz .LBB161_935
; %bb.934:
	s_movk_i32 s14, 0x50
	v_mov_b32_e32 v3, 0
	v_add_u32_e64 v15, s14, 0
	ds_read_b64 v[3:4], v3 offset:5720
	ds_read2st64_b64 v[15:18], v15 offset0:10 offset1:11
	s_movk_i32 s14, 0x1000
	s_waitcnt lgkmcnt(0)
	v_mul_f32_e32 v19, v4, v16
	v_mul_f32_e32 v16, v3, v16
	v_fma_f32 v19, v3, v15, -v19
	v_fmac_f32_e32 v16, v4, v15
	v_mul_f32_e32 v3, v16, v18
	v_mul_f32_e32 v4, v19, v18
	v_fma_f32 v3, v19, v17, -v3
	v_fmac_f32_e32 v4, v16, v17
	v_add_u32_e64 v15, s14, 0
	ds_write2_b64 v15, v[3:4], v[3:4] offset0:139 offset1:202
.LBB161_935:
	s_or_b64 exec, exec, s[6:7]
	v_mov_b32_e32 v3, 0
	v_mov_b32_e32 v4, 0
	s_waitcnt lgkmcnt(0)
	s_barrier
	buffer_wbinvl1_vol
	s_and_saveexec_b64 s[6:7], s[22:23]
	s_cbranch_execz .LBB161_939
; %bb.936:
	v_lshlrev_b32_e32 v3, 3, v5
	v_lshlrev_b32_e32 v15, 9, v6
	ds_read_b64 v[3:4], v3 offset:5184
	ds_read_b64 v[15:16], v15 offset:5200
	v_cmp_gt_u32_e64 s[14:15], 2, v8
	s_waitcnt lgkmcnt(0)
	v_mul_f32_e32 v17, v16, v4
	v_mul_f32_e32 v4, v15, v4
	v_fma_f32 v15, v15, v3, -v17
	v_fmac_f32_e32 v4, v16, v3
	v_add_f32_e32 v3, 0, v15
	v_add_f32_e32 v4, 0, v4
	s_and_saveexec_b64 s[16:17], s[14:15]
	s_cbranch_execz .LBB161_938
; %bb.937:
	v_lshlrev_b32_e32 v15, 3, v0
	v_mov_b32_e32 v17, 0
	ds_read_b64 v[15:16], v15 offset:5696
	ds_read_b64 v[17:18], v17 offset:5720
	s_waitcnt lgkmcnt(0)
	v_mul_f32_e32 v19, v18, v16
	v_mul_f32_e32 v16, v17, v16
	v_fma_f32 v17, v17, v15, -v19
	v_fmac_f32_e32 v16, v18, v15
	v_add_f32_e32 v3, v3, v17
	v_add_f32_e32 v4, v4, v16
.LBB161_938:
	s_or_b64 exec, exec, s[16:17]
.LBB161_939:
	s_or_b64 exec, exec, s[6:7]
	s_and_saveexec_b64 s[6:7], s[44:45]
	s_cbranch_execz .LBB161_941
; %bb.940:
	v_mov_b32_e32 v15, 0
	ds_read_b64 v[15:16], v15 offset:4680
	s_waitcnt lgkmcnt(0)
	v_mul_f32_e32 v17, v4, v16
	v_mul_f32_e32 v18, v3, v16
	v_fma_f32 v3, v3, v15, -v17
	v_fmac_f32_e32 v18, v4, v15
	v_xor_b32_e32 v15, 0x80000000, v3
	v_xor_b32_e32 v16, 0x80000000, v18
	v_mov_b32_e32 v4, v18
	ds_write_b64 v7, v[15:16]
.LBB161_941:
	s_or_b64 exec, exec, s[6:7]
	s_waitcnt lgkmcnt(0)
	s_barrier
	s_and_saveexec_b64 s[6:7], s[42:43]
	s_cbranch_execz .LBB161_943
; %bb.942:
	v_mov_b32_e32 v15, 0
	ds_read_b64 v[15:16], v15 offset:4672
	ds_read_b64 v[17:18], v7
	s_waitcnt lgkmcnt(0)
	v_mul_f32_e32 v19, v18, v16
	v_mul_f32_e32 v16, v17, v16
	v_fma_f32 v17, v17, v15, -v19
	v_fmac_f32_e32 v16, v18, v15
	v_sub_f32_e32 v3, v3, v17
	v_sub_f32_e32 v4, v4, v16
.LBB161_943:
	s_or_b64 exec, exec, s[6:7]
	s_barrier
	s_and_saveexec_b64 s[6:7], s[42:43]
	s_cbranch_execz .LBB161_945
; %bb.944:
	v_mov_b32_e32 v15, 0
	ds_read_b64 v[15:16], v15 offset:4160
	s_waitcnt lgkmcnt(0)
	v_mul_f32_e32 v17, v4, v16
	v_mul_f32_e32 v18, v3, v16
	v_fma_f32 v3, v3, v15, -v17
	v_fmac_f32_e32 v18, v4, v15
	v_xor_b32_e32 v15, 0x80000000, v3
	v_xor_b32_e32 v16, 0x80000000, v18
	v_mov_b32_e32 v4, v18
	ds_write_b64 v7, v[15:16]
.LBB161_945:
	s_or_b64 exec, exec, s[6:7]
	s_waitcnt lgkmcnt(0)
	s_barrier
	s_barrier
	s_and_saveexec_b64 s[6:7], s[22:23]
; %bb.946:
	v_lshlrev_b32_e32 v15, 3, v5
	v_lshl_or_b32 v15, v6, 9, v15
	ds_write_b64 v15, v[3:4] offset:5184
; %bb.947:
	s_or_b64 exec, exec, s[6:7]
	s_waitcnt lgkmcnt(0)
	s_barrier
	s_barrier
	s_and_saveexec_b64 s[6:7], s[46:47]
	s_cbranch_execz .LBB161_949
; %bb.948:
	v_lshlrev_b32_e32 v15, 3, v0
	s_movk_i32 s14, 0x1f8
	v_mad_u32_u24 v16, v0, s14, v15
	ds_read_b64 v[3:4], v16 offset:5184
	s_waitcnt lgkmcnt(0)
	ds_write_b64 v15, v[3:4] offset:4176
	ds_read_b64 v[3:4], v16 offset:5192
	s_waitcnt lgkmcnt(0)
	ds_write_b64 v15, v[3:4] offset:4688
.LBB161_949:
	s_or_b64 exec, exec, s[6:7]
	s_waitcnt lgkmcnt(0)
	s_barrier
	s_and_saveexec_b64 s[6:7], vcc
	s_cbranch_execz .LBB161_951
; %bb.950:
	v_mov_b32_e32 v3, 0
	v_add_u32_e64 v4, 64, 0
	ds_read2st64_b64 v[15:18], v4 offset0:8 offset1:9
	ds_read_b64 v[3:4], v3 offset:4680
	s_movk_i32 s14, 0x1000
	s_waitcnt lgkmcnt(0)
	v_mul_f32_e32 v19, v4, v16
	v_mul_f32_e32 v16, v3, v16
	v_fma_f32 v19, v3, v15, -v19
	v_fmac_f32_e32 v16, v4, v15
	v_mul_f32_e32 v3, v16, v18
	v_mul_f32_e32 v4, v19, v18
	v_fma_f32 v3, v19, v17, -v3
	v_fmac_f32_e32 v4, v16, v17
	v_add_u32_e64 v15, s14, 0
	ds_write2_b64 v15, v[3:4], v[3:4] offset0:9 offset1:72
.LBB161_951:
	s_or_b64 exec, exec, s[6:7]
	v_mov_b32_e32 v4, 0
	v_mov_b32_e32 v3, 0
	s_waitcnt lgkmcnt(0)
	s_barrier
	buffer_wbinvl1_vol
	s_and_saveexec_b64 s[6:7], s[12:13]
	s_cbranch_execz .LBB161_961
; %bb.952:
	v_lshlrev_b32_e32 v15, 3, v12
	v_lshlrev_b32_e32 v16, 9, v13
	ds_read_b64 v[3:4], v15 offset:4096
	ds_read_b64 v[17:18], v16 offset:4160
	v_cmp_gt_u32_e64 s[14:15], 56, v8
	s_waitcnt lgkmcnt(0)
	v_mul_f32_e32 v19, v18, v4
	v_mul_f32_e32 v4, v17, v4
	v_fma_f32 v17, v17, v3, -v19
	v_fmac_f32_e32 v4, v18, v3
	v_add_f32_e32 v3, 0, v17
	v_add_f32_e32 v4, 0, v4
	s_and_saveexec_b64 s[16:17], s[14:15]
	s_cbranch_execnz .LBB161_1158
; %bb.953:
	s_or_b64 exec, exec, s[16:17]
	v_cmp_gt_u32_e64 s[14:15], 48, v8
	s_and_saveexec_b64 s[16:17], s[14:15]
	s_cbranch_execnz .LBB161_1159
.LBB161_954:
	s_or_b64 exec, exec, s[16:17]
	v_cmp_gt_u32_e64 s[14:15], 40, v8
	s_and_saveexec_b64 s[16:17], s[14:15]
	s_cbranch_execnz .LBB161_1160
.LBB161_955:
	s_or_b64 exec, exec, s[16:17]
	v_cmp_gt_u32_e64 s[14:15], 32, v8
	s_and_saveexec_b64 s[16:17], s[14:15]
	s_cbranch_execnz .LBB161_1161
.LBB161_956:
	s_or_b64 exec, exec, s[16:17]
	v_cmp_gt_u32_e64 s[14:15], 24, v8
	s_and_saveexec_b64 s[16:17], s[14:15]
	s_cbranch_execnz .LBB161_1162
.LBB161_957:
	s_or_b64 exec, exec, s[16:17]
	s_and_saveexec_b64 s[14:15], s[10:11]
	s_cbranch_execnz .LBB161_1163
.LBB161_958:
	s_or_b64 exec, exec, s[14:15]
	v_cmp_gt_u32_e64 s[14:15], 8, v8
	s_and_saveexec_b64 s[16:17], s[14:15]
	s_cbranch_execz .LBB161_960
.LBB161_959:
	v_lshlrev_b32_e32 v15, 3, v0
	v_mov_b32_e32 v17, 0
	ds_read_b64 v[15:16], v15 offset:7680
	ds_read_b64 v[17:18], v17 offset:7800
	s_waitcnt lgkmcnt(0)
	v_mul_f32_e32 v19, v18, v16
	v_mul_f32_e32 v16, v17, v16
	v_fma_f32 v17, v17, v15, -v19
	v_fmac_f32_e32 v16, v18, v15
	v_add_f32_e32 v3, v3, v17
	v_add_f32_e32 v4, v4, v16
.LBB161_960:
	s_or_b64 exec, exec, s[16:17]
.LBB161_961:
	s_or_b64 exec, exec, s[6:7]
	s_and_saveexec_b64 s[6:7], s[64:65]
	s_cbranch_execz .LBB161_963
; %bb.962:
	v_mov_b32_e32 v15, 0
	ds_read_b64 v[15:16], v15 offset:3640
	s_waitcnt lgkmcnt(0)
	v_mul_f32_e32 v17, v4, v16
	v_mul_f32_e32 v18, v3, v16
	v_fma_f32 v3, v3, v15, -v17
	v_fmac_f32_e32 v18, v4, v15
	v_xor_b32_e32 v15, 0x80000000, v3
	v_xor_b32_e32 v16, 0x80000000, v18
	v_mov_b32_e32 v4, v18
	ds_write_b64 v14, v[15:16]
.LBB161_963:
	s_or_b64 exec, exec, s[6:7]
	s_waitcnt lgkmcnt(0)
	s_barrier
	s_and_saveexec_b64 s[6:7], s[66:67]
	s_cbranch_execz .LBB161_965
; %bb.964:
	v_lshlrev_b32_e32 v15, 3, v12
	ds_read_b64 v[15:16], v15 offset:3584
	ds_read_b64 v[17:18], v14
	s_waitcnt lgkmcnt(0)
	v_mul_f32_e32 v19, v18, v16
	v_mul_f32_e32 v16, v17, v16
	v_fma_f32 v17, v17, v15, -v19
	v_fmac_f32_e32 v16, v18, v15
	v_sub_f32_e32 v3, v3, v17
	v_sub_f32_e32 v4, v4, v16
.LBB161_965:
	s_or_b64 exec, exec, s[6:7]
	s_barrier
	s_and_saveexec_b64 s[6:7], s[68:69]
	s_cbranch_execz .LBB161_967
; %bb.966:
	v_mov_b32_e32 v15, 0
	ds_read_b64 v[15:16], v15 offset:3120
	s_waitcnt lgkmcnt(0)
	v_mul_f32_e32 v17, v4, v16
	v_mul_f32_e32 v18, v3, v16
	v_fma_f32 v3, v3, v15, -v17
	v_fmac_f32_e32 v18, v4, v15
	v_xor_b32_e32 v15, 0x80000000, v3
	v_xor_b32_e32 v16, 0x80000000, v18
	v_mov_b32_e32 v4, v18
	ds_write_b64 v14, v[15:16]
.LBB161_967:
	s_or_b64 exec, exec, s[6:7]
	s_waitcnt lgkmcnt(0)
	s_barrier
	s_and_saveexec_b64 s[6:7], s[70:71]
	s_cbranch_execz .LBB161_969
; %bb.968:
	v_lshlrev_b32_e32 v15, 3, v12
	ds_read_b64 v[15:16], v15 offset:3072
	ds_read_b64 v[17:18], v14
	s_waitcnt lgkmcnt(0)
	v_mul_f32_e32 v19, v18, v16
	v_mul_f32_e32 v16, v17, v16
	v_fma_f32 v17, v17, v15, -v19
	v_fmac_f32_e32 v16, v18, v15
	v_sub_f32_e32 v3, v3, v17
	v_sub_f32_e32 v4, v4, v16
.LBB161_969:
	s_or_b64 exec, exec, s[6:7]
	s_barrier
	;; [unrolled: 34-line block ×6, first 2 shown]
	s_and_saveexec_b64 s[6:7], s[88:89]
	s_cbranch_execz .LBB161_987
; %bb.986:
	v_mov_b32_e32 v15, 0
	ds_read_b64 v[15:16], v15 offset:520
	s_waitcnt lgkmcnt(0)
	v_mul_f32_e32 v17, v4, v16
	v_mul_f32_e32 v18, v3, v16
	v_fma_f32 v3, v3, v15, -v17
	v_fmac_f32_e32 v18, v4, v15
	v_xor_b32_e32 v15, 0x80000000, v3
	v_xor_b32_e32 v16, 0x80000000, v18
	v_mov_b32_e32 v4, v18
	ds_write_b64 v14, v[15:16]
.LBB161_987:
	s_or_b64 exec, exec, s[6:7]
	s_waitcnt lgkmcnt(0)
	s_barrier
	s_and_saveexec_b64 s[6:7], s[62:63]
	s_cbranch_execz .LBB161_989
; %bb.988:
	v_mov_b32_e32 v15, 0
	ds_read_b64 v[15:16], v15 offset:512
	ds_read_b64 v[17:18], v14
	s_waitcnt lgkmcnt(0)
	v_mul_f32_e32 v19, v18, v16
	v_mul_f32_e32 v16, v17, v16
	v_fma_f32 v17, v17, v15, -v19
	v_fmac_f32_e32 v16, v18, v15
	v_sub_f32_e32 v3, v3, v17
	v_sub_f32_e32 v4, v4, v16
.LBB161_989:
	s_or_b64 exec, exec, s[6:7]
	s_barrier
	s_and_saveexec_b64 s[6:7], s[62:63]
	s_cbranch_execz .LBB161_991
; %bb.990:
	v_mov_b32_e32 v15, 0
	ds_read_b64 v[15:16], v15
	s_waitcnt lgkmcnt(0)
	v_mul_f32_e32 v17, v4, v16
	v_mul_f32_e32 v18, v3, v16
	v_fma_f32 v3, v3, v15, -v17
	v_fmac_f32_e32 v18, v4, v15
	v_xor_b32_e32 v15, 0x80000000, v3
	v_xor_b32_e32 v16, 0x80000000, v18
	v_mov_b32_e32 v4, v18
	ds_write_b64 v14, v[15:16]
.LBB161_991:
	s_or_b64 exec, exec, s[6:7]
	s_waitcnt lgkmcnt(0)
	s_barrier
	s_barrier
	s_and_saveexec_b64 s[6:7], s[12:13]
; %bb.992:
	v_lshlrev_b32_e32 v12, 3, v12
	v_lshl_or_b32 v12, v13, 9, v12
	ds_write_b64 v12, v[3:4] offset:4096
; %bb.993:
	s_or_b64 exec, exec, s[6:7]
	s_waitcnt lgkmcnt(0)
	s_barrier
	s_barrier
	s_and_saveexec_b64 s[6:7], s[90:91]
	s_cbranch_execz .LBB161_995
; %bb.994:
	v_lshlrev_b32_e32 v12, 9, v0
	ds_read_b64 v[3:4], v12 offset:4096
	s_movk_i32 s12, 0xfe08
	v_mad_i32_i24 v13, v0, s12, v12
	s_waitcnt lgkmcnt(0)
	ds_write_b64 v13, v[3:4] offset:64
	ds_read_b64 v[3:4], v12 offset:4104
	s_waitcnt lgkmcnt(0)
	ds_write_b64 v13, v[3:4] offset:576
	ds_read_b64 v[3:4], v12 offset:4112
	;; [unrolled: 3-line block ×7, first 2 shown]
	s_waitcnt lgkmcnt(0)
	ds_write_b64 v13, v[3:4] offset:3648
.LBB161_995:
	s_or_b64 exec, exec, s[6:7]
	s_waitcnt lgkmcnt(0)
	s_barrier
	s_and_saveexec_b64 s[6:7], vcc
	s_cbranch_execz .LBB161_997
; %bb.996:
	v_mov_b32_e32 v3, 0
	v_add_u32_e64 v4, 48, 0
	ds_read2st64_b64 v[12:15], v4 offset0:6 offset1:7
	ds_read_b64 v[3:4], v3 offset:3640
	s_movk_i32 s12, 0x800
	s_waitcnt lgkmcnt(0)
	v_mul_f32_e32 v16, v4, v13
	v_mul_f32_e32 v13, v3, v13
	v_fma_f32 v16, v3, v12, -v16
	v_fmac_f32_e32 v13, v4, v12
	v_mul_f32_e32 v3, v13, v15
	v_mul_f32_e32 v4, v16, v15
	v_fma_f32 v3, v16, v14, -v3
	v_fmac_f32_e32 v4, v13, v14
	v_add_u32_e64 v12, s12, 0
	ds_write2_b64 v12, v[3:4], v[3:4] offset0:135 offset1:198
.LBB161_997:
	s_or_b64 exec, exec, s[6:7]
	v_mov_b32_e32 v3, 0
	v_mov_b32_e32 v4, 0
	s_waitcnt lgkmcnt(0)
	s_barrier
	buffer_wbinvl1_vol
	s_and_saveexec_b64 s[6:7], s[22:23]
	s_cbranch_execz .LBB161_1001
; %bb.998:
	v_lshlrev_b32_e32 v3, 3, v5
	v_lshlrev_b32_e32 v12, 9, v6
	ds_read_b64 v[3:4], v3 offset:3104
	ds_read_b64 v[12:13], v12 offset:3120
	v_cmp_gt_u32_e64 s[12:13], 2, v8
	s_waitcnt lgkmcnt(0)
	v_mul_f32_e32 v14, v13, v4
	v_mul_f32_e32 v4, v12, v4
	v_fma_f32 v12, v12, v3, -v14
	v_fmac_f32_e32 v4, v13, v3
	v_add_f32_e32 v3, 0, v12
	v_add_f32_e32 v4, 0, v4
	s_and_saveexec_b64 s[14:15], s[12:13]
	s_cbranch_execz .LBB161_1000
; %bb.999:
	v_lshlrev_b32_e32 v12, 3, v0
	v_mov_b32_e32 v14, 0
	ds_read_b64 v[12:13], v12 offset:3616
	ds_read_b64 v[14:15], v14 offset:3640
	s_waitcnt lgkmcnt(0)
	v_mul_f32_e32 v16, v15, v13
	v_mul_f32_e32 v13, v14, v13
	v_fma_f32 v14, v14, v12, -v16
	v_fmac_f32_e32 v13, v15, v12
	v_add_f32_e32 v3, v3, v14
	v_add_f32_e32 v4, v4, v13
.LBB161_1000:
	s_or_b64 exec, exec, s[14:15]
.LBB161_1001:
	s_or_b64 exec, exec, s[6:7]
	s_and_saveexec_b64 s[6:7], s[44:45]
	s_cbranch_execz .LBB161_1003
; %bb.1002:
	v_mov_b32_e32 v12, 0
	ds_read_b64 v[12:13], v12 offset:2600
	s_waitcnt lgkmcnt(0)
	v_mul_f32_e32 v14, v4, v13
	v_mul_f32_e32 v15, v3, v13
	v_fma_f32 v3, v3, v12, -v14
	v_fmac_f32_e32 v15, v4, v12
	v_xor_b32_e32 v12, 0x80000000, v3
	v_xor_b32_e32 v13, 0x80000000, v15
	v_mov_b32_e32 v4, v15
	ds_write_b64 v7, v[12:13]
.LBB161_1003:
	s_or_b64 exec, exec, s[6:7]
	s_waitcnt lgkmcnt(0)
	s_barrier
	s_and_saveexec_b64 s[6:7], s[42:43]
	s_cbranch_execz .LBB161_1005
; %bb.1004:
	v_mov_b32_e32 v12, 0
	ds_read_b64 v[12:13], v12 offset:2592
	ds_read_b64 v[14:15], v7
	s_waitcnt lgkmcnt(0)
	v_mul_f32_e32 v16, v15, v13
	v_mul_f32_e32 v13, v14, v13
	v_fma_f32 v14, v14, v12, -v16
	v_fmac_f32_e32 v13, v15, v12
	v_sub_f32_e32 v3, v3, v14
	v_sub_f32_e32 v4, v4, v13
.LBB161_1005:
	s_or_b64 exec, exec, s[6:7]
	s_barrier
	s_and_saveexec_b64 s[6:7], s[42:43]
	s_cbranch_execz .LBB161_1007
; %bb.1006:
	v_mov_b32_e32 v12, 0
	ds_read_b64 v[12:13], v12 offset:2080
	s_waitcnt lgkmcnt(0)
	v_mul_f32_e32 v14, v4, v13
	v_mul_f32_e32 v15, v3, v13
	v_fma_f32 v3, v3, v12, -v14
	v_fmac_f32_e32 v15, v4, v12
	v_xor_b32_e32 v12, 0x80000000, v3
	v_xor_b32_e32 v13, 0x80000000, v15
	v_mov_b32_e32 v4, v15
	ds_write_b64 v7, v[12:13]
.LBB161_1007:
	s_or_b64 exec, exec, s[6:7]
	s_waitcnt lgkmcnt(0)
	s_barrier
	s_barrier
	s_and_saveexec_b64 s[6:7], s[22:23]
; %bb.1008:
	v_lshlrev_b32_e32 v12, 3, v5
	v_lshl_or_b32 v12, v6, 9, v12
	ds_write_b64 v12, v[3:4] offset:3104
; %bb.1009:
	s_or_b64 exec, exec, s[6:7]
	s_waitcnt lgkmcnt(0)
	s_barrier
	s_barrier
	s_and_saveexec_b64 s[6:7], s[46:47]
	s_cbranch_execz .LBB161_1011
; %bb.1010:
	v_lshlrev_b32_e32 v12, 3, v0
	s_movk_i32 s12, 0x1f8
	v_mad_u32_u24 v13, v0, s12, v12
	ds_read_b64 v[3:4], v13 offset:3104
	s_waitcnt lgkmcnt(0)
	ds_write_b64 v12, v[3:4] offset:2096
	ds_read_b64 v[3:4], v13 offset:3112
	s_waitcnt lgkmcnt(0)
	ds_write_b64 v12, v[3:4] offset:2608
.LBB161_1011:
	s_or_b64 exec, exec, s[6:7]
	s_waitcnt lgkmcnt(0)
	s_barrier
	s_and_saveexec_b64 s[6:7], vcc
	s_cbranch_execz .LBB161_1013
; %bb.1012:
	v_mov_b32_e32 v3, 0
	v_add_u32_e64 v4, 32, 0
	ds_read2st64_b64 v[12:15], v4 offset0:4 offset1:5
	ds_read_b64 v[3:4], v3 offset:2600
	s_movk_i32 s12, 0x800
	s_waitcnt lgkmcnt(0)
	v_mul_f32_e32 v16, v4, v13
	v_mul_f32_e32 v13, v3, v13
	v_fma_f32 v16, v3, v12, -v16
	v_fmac_f32_e32 v13, v4, v12
	v_mul_f32_e32 v3, v13, v15
	v_mul_f32_e32 v4, v16, v15
	v_fma_f32 v3, v16, v14, -v3
	v_fmac_f32_e32 v4, v13, v14
	v_add_u32_e64 v12, s12, 0
	ds_write2_b64 v12, v[3:4], v[3:4] offset0:5 offset1:68
.LBB161_1013:
	s_or_b64 exec, exec, s[6:7]
	v_mov_b32_e32 v4, 0
	v_mov_b32_e32 v3, 0
	s_waitcnt lgkmcnt(0)
	s_barrier
	buffer_wbinvl1_vol
	s_and_saveexec_b64 s[6:7], s[10:11]
	s_cbranch_execz .LBB161_1019
; %bb.1014:
	v_lshlrev_b32_e32 v12, 3, v9
	v_lshlrev_b32_e32 v13, 9, v10
	ds_read_b64 v[3:4], v12 offset:2048
	ds_read_b64 v[14:15], v13 offset:2080
	v_cmp_gt_u32_e64 s[12:13], 12, v8
	s_waitcnt lgkmcnt(0)
	v_mul_f32_e32 v16, v15, v4
	v_mul_f32_e32 v4, v14, v4
	v_fma_f32 v14, v14, v3, -v16
	v_fmac_f32_e32 v4, v15, v3
	v_add_f32_e32 v3, 0, v14
	v_add_f32_e32 v4, 0, v4
	s_and_saveexec_b64 s[14:15], s[12:13]
	s_cbranch_execnz .LBB161_1164
; %bb.1015:
	s_or_b64 exec, exec, s[14:15]
	v_cmp_gt_u32_e64 s[12:13], 8, v8
	s_and_saveexec_b64 s[14:15], s[12:13]
	s_cbranch_execnz .LBB161_1165
.LBB161_1016:
	s_or_b64 exec, exec, s[14:15]
	v_cmp_gt_u32_e64 s[12:13], 4, v8
	s_and_saveexec_b64 s[14:15], s[12:13]
	s_cbranch_execz .LBB161_1018
.LBB161_1017:
	v_lshlrev_b32_e32 v12, 3, v0
	v_mov_b32_e32 v14, 0
	ds_read_b64 v[12:13], v12 offset:3584
	ds_read_b64 v[14:15], v14 offset:3640
	s_waitcnt lgkmcnt(0)
	v_mul_f32_e32 v16, v15, v13
	v_mul_f32_e32 v13, v14, v13
	v_fma_f32 v14, v14, v12, -v16
	v_fmac_f32_e32 v13, v15, v12
	v_add_f32_e32 v3, v3, v14
	v_add_f32_e32 v4, v4, v13
.LBB161_1018:
	s_or_b64 exec, exec, s[14:15]
.LBB161_1019:
	s_or_b64 exec, exec, s[6:7]
	s_and_saveexec_b64 s[6:7], s[50:51]
	s_cbranch_execz .LBB161_1021
; %bb.1020:
	v_mov_b32_e32 v12, 0
	ds_read_b64 v[12:13], v12 offset:1560
	s_waitcnt lgkmcnt(0)
	v_mul_f32_e32 v14, v4, v13
	v_mul_f32_e32 v15, v3, v13
	v_fma_f32 v3, v3, v12, -v14
	v_fmac_f32_e32 v15, v4, v12
	v_xor_b32_e32 v12, 0x80000000, v3
	v_xor_b32_e32 v13, 0x80000000, v15
	v_mov_b32_e32 v4, v15
	ds_write_b64 v11, v[12:13]
.LBB161_1021:
	s_or_b64 exec, exec, s[6:7]
	s_waitcnt lgkmcnt(0)
	s_barrier
	s_and_saveexec_b64 s[6:7], s[52:53]
	s_load_dwordx2 s[24:25], s[4:5], 0x28
	v_readlane_b32 s26, v30, 2
	v_readlane_b32 s50, v30, 0
	;; [unrolled: 1-line block ×5, first 2 shown]
	s_cbranch_execz .LBB161_1023
; %bb.1022:
	v_lshlrev_b32_e32 v12, 3, v9
	ds_read_b64 v[12:13], v12 offset:1536
	ds_read_b64 v[14:15], v11
	s_waitcnt lgkmcnt(0)
	v_mul_f32_e32 v16, v15, v13
	v_mul_f32_e32 v13, v14, v13
	v_fma_f32 v14, v14, v12, -v16
	v_fmac_f32_e32 v13, v15, v12
	v_sub_f32_e32 v3, v3, v14
	v_sub_f32_e32 v4, v4, v13
.LBB161_1023:
	s_or_b64 exec, exec, s[6:7]
	s_waitcnt lgkmcnt(0)
	s_barrier
	s_and_saveexec_b64 s[6:7], s[54:55]
	s_cbranch_execz .LBB161_1025
; %bb.1024:
	v_mov_b32_e32 v12, 0
	ds_read_b64 v[12:13], v12 offset:1040
	s_waitcnt lgkmcnt(0)
	v_mul_f32_e32 v14, v4, v13
	v_mul_f32_e32 v15, v3, v13
	v_fma_f32 v3, v3, v12, -v14
	v_fmac_f32_e32 v15, v4, v12
	v_xor_b32_e32 v12, 0x80000000, v3
	v_xor_b32_e32 v13, 0x80000000, v15
	v_mov_b32_e32 v4, v15
	ds_write_b64 v11, v[12:13]
.LBB161_1025:
	s_or_b64 exec, exec, s[6:7]
	s_waitcnt lgkmcnt(0)
	s_barrier
	s_and_saveexec_b64 s[6:7], s[56:57]
	s_cbranch_execz .LBB161_1027
; %bb.1026:
	v_lshlrev_b32_e32 v12, 3, v9
	ds_read_b64 v[12:13], v12 offset:1024
	ds_read_b64 v[14:15], v11
	s_waitcnt lgkmcnt(0)
	v_mul_f32_e32 v16, v15, v13
	v_mul_f32_e32 v13, v14, v13
	v_fma_f32 v14, v14, v12, -v16
	v_fmac_f32_e32 v13, v15, v12
	v_sub_f32_e32 v3, v3, v14
	v_sub_f32_e32 v4, v4, v13
.LBB161_1027:
	s_or_b64 exec, exec, s[6:7]
	s_barrier
	s_and_saveexec_b64 s[6:7], s[58:59]
	s_cbranch_execz .LBB161_1029
; %bb.1028:
	v_mov_b32_e32 v12, 0
	ds_read_b64 v[12:13], v12 offset:520
	s_waitcnt lgkmcnt(0)
	v_mul_f32_e32 v14, v4, v13
	v_mul_f32_e32 v15, v3, v13
	v_fma_f32 v3, v3, v12, -v14
	v_fmac_f32_e32 v15, v4, v12
	v_xor_b32_e32 v12, 0x80000000, v3
	v_xor_b32_e32 v13, 0x80000000, v15
	v_mov_b32_e32 v4, v15
	ds_write_b64 v11, v[12:13]
.LBB161_1029:
	s_or_b64 exec, exec, s[6:7]
	s_waitcnt lgkmcnt(0)
	s_barrier
	s_and_saveexec_b64 s[6:7], s[48:49]
	s_cbranch_execz .LBB161_1031
; %bb.1030:
	v_mov_b32_e32 v12, 0
	ds_read_b64 v[12:13], v12 offset:512
	ds_read_b64 v[14:15], v11
	s_waitcnt lgkmcnt(0)
	v_mul_f32_e32 v16, v15, v13
	v_mul_f32_e32 v13, v14, v13
	v_fma_f32 v14, v14, v12, -v16
	v_fmac_f32_e32 v13, v15, v12
	v_sub_f32_e32 v3, v3, v14
	v_sub_f32_e32 v4, v4, v13
.LBB161_1031:
	s_or_b64 exec, exec, s[6:7]
	s_barrier
	s_and_saveexec_b64 s[6:7], s[48:49]
	s_cbranch_execz .LBB161_1033
; %bb.1032:
	v_mov_b32_e32 v12, 0
	ds_read_b64 v[12:13], v12
	s_waitcnt lgkmcnt(0)
	v_mul_f32_e32 v14, v4, v13
	v_mul_f32_e32 v15, v3, v13
	v_fma_f32 v3, v3, v12, -v14
	v_fmac_f32_e32 v15, v4, v12
	v_xor_b32_e32 v12, 0x80000000, v3
	v_xor_b32_e32 v13, 0x80000000, v15
	v_mov_b32_e32 v4, v15
	ds_write_b64 v11, v[12:13]
.LBB161_1033:
	s_or_b64 exec, exec, s[6:7]
	s_waitcnt lgkmcnt(0)
	s_barrier
	s_barrier
	s_and_saveexec_b64 s[6:7], s[10:11]
; %bb.1034:
	v_lshlrev_b32_e32 v9, 3, v9
	v_lshl_or_b32 v9, v10, 9, v9
	ds_write_b64 v9, v[3:4] offset:2048
; %bb.1035:
	s_or_b64 exec, exec, s[6:7]
	s_waitcnt lgkmcnt(0)
	s_barrier
	s_barrier
	s_and_saveexec_b64 s[6:7], s[60:61]
	s_cbranch_execz .LBB161_1037
; %bb.1036:
	v_lshlrev_b32_e32 v9, 9, v0
	ds_read_b64 v[3:4], v9 offset:2048
	s_movk_i32 s10, 0xfe08
	v_mad_i32_i24 v10, v0, s10, v9
	s_waitcnt lgkmcnt(0)
	ds_write_b64 v10, v[3:4] offset:32
	ds_read_b64 v[3:4], v9 offset:2056
	s_waitcnt lgkmcnt(0)
	ds_write_b64 v10, v[3:4] offset:544
	ds_read_b64 v[3:4], v9 offset:2064
	;; [unrolled: 3-line block ×3, first 2 shown]
	s_waitcnt lgkmcnt(0)
	ds_write_b64 v10, v[3:4] offset:1568
.LBB161_1037:
	s_or_b64 exec, exec, s[6:7]
	s_waitcnt lgkmcnt(0)
	s_barrier
	s_and_saveexec_b64 s[6:7], vcc
	s_cbranch_execz .LBB161_1039
; %bb.1038:
	v_mov_b32_e32 v13, 0
	ds_read2_b64 v[9:12], v13 offset0:130 offset1:194
	ds_read_b64 v[3:4], v13 offset:1560
	s_waitcnt lgkmcnt(0)
	v_mul_f32_e32 v14, v4, v10
	v_mul_f32_e32 v10, v3, v10
	v_fma_f32 v3, v3, v9, -v14
	v_fmac_f32_e32 v10, v4, v9
	v_mul_f32_e32 v9, v10, v12
	v_mul_f32_e32 v4, v3, v12
	v_fma_f32 v3, v3, v11, -v9
	v_fmac_f32_e32 v4, v10, v11
	ds_write2_b64 v13, v[3:4], v[3:4] offset0:131 offset1:194
.LBB161_1039:
	s_or_b64 exec, exec, s[6:7]
	v_mov_b32_e32 v3, 0
	v_mov_b32_e32 v4, 0
	s_waitcnt lgkmcnt(0)
	s_barrier
	buffer_wbinvl1_vol
	s_and_saveexec_b64 s[6:7], s[22:23]
	s_cbranch_execz .LBB161_1043
; %bb.1040:
	v_lshlrev_b32_e32 v3, 3, v5
	v_lshlrev_b32_e32 v9, 9, v6
	ds_read_b64 v[3:4], v3 offset:1024
	ds_read_b64 v[9:10], v9 offset:1040
	v_cmp_gt_u32_e64 s[10:11], 2, v8
	s_waitcnt lgkmcnt(0)
	v_mul_f32_e32 v11, v10, v4
	v_mul_f32_e32 v4, v9, v4
	v_fma_f32 v9, v9, v3, -v11
	v_fmac_f32_e32 v4, v10, v3
	v_add_f32_e32 v3, 0, v9
	v_add_f32_e32 v4, 0, v4
	s_and_saveexec_b64 s[12:13], s[10:11]
	s_cbranch_execz .LBB161_1042
; %bb.1041:
	v_lshlrev_b32_e32 v8, 3, v0
	v_mov_b32_e32 v10, 0
	ds_read_b64 v[8:9], v8 offset:1536
	ds_read_b64 v[10:11], v10 offset:1560
	s_waitcnt lgkmcnt(0)
	v_mul_f32_e32 v12, v11, v9
	v_mul_f32_e32 v9, v10, v9
	v_fma_f32 v10, v10, v8, -v12
	v_fmac_f32_e32 v9, v11, v8
	v_add_f32_e32 v3, v3, v10
	v_add_f32_e32 v4, v4, v9
.LBB161_1042:
	s_or_b64 exec, exec, s[12:13]
.LBB161_1043:
	s_or_b64 exec, exec, s[6:7]
	s_and_saveexec_b64 s[6:7], s[44:45]
	s_cbranch_execz .LBB161_1045
; %bb.1044:
	v_mov_b32_e32 v8, 0
	ds_read_b64 v[8:9], v8 offset:520
	s_waitcnt lgkmcnt(0)
	v_mul_f32_e32 v10, v4, v9
	v_mul_f32_e32 v11, v3, v9
	v_fma_f32 v3, v3, v8, -v10
	v_fmac_f32_e32 v11, v4, v8
	v_xor_b32_e32 v8, 0x80000000, v3
	v_xor_b32_e32 v9, 0x80000000, v11
	v_mov_b32_e32 v4, v11
	ds_write_b64 v7, v[8:9]
.LBB161_1045:
	s_or_b64 exec, exec, s[6:7]
	s_waitcnt lgkmcnt(0)
	s_barrier
	s_and_saveexec_b64 s[6:7], s[42:43]
	s_cbranch_execz .LBB161_1047
; %bb.1046:
	v_mov_b32_e32 v8, 0
	ds_read_b64 v[8:9], v8 offset:512
	ds_read_b64 v[10:11], v7
	s_waitcnt lgkmcnt(0)
	v_mul_f32_e32 v12, v11, v9
	v_mul_f32_e32 v9, v10, v9
	v_fma_f32 v10, v10, v8, -v12
	v_fmac_f32_e32 v9, v11, v8
	v_sub_f32_e32 v3, v3, v10
	v_sub_f32_e32 v4, v4, v9
.LBB161_1047:
	s_or_b64 exec, exec, s[6:7]
	s_barrier
	s_and_saveexec_b64 s[6:7], s[42:43]
	s_cbranch_execz .LBB161_1049
; %bb.1048:
	v_mov_b32_e32 v8, 0
	ds_read_b64 v[8:9], v8
	s_waitcnt lgkmcnt(0)
	v_mul_f32_e32 v10, v4, v9
	v_mul_f32_e32 v11, v3, v9
	v_fma_f32 v3, v3, v8, -v10
	v_fmac_f32_e32 v11, v4, v8
	v_xor_b32_e32 v8, 0x80000000, v3
	v_xor_b32_e32 v9, 0x80000000, v11
	v_mov_b32_e32 v4, v11
	ds_write_b64 v7, v[8:9]
.LBB161_1049:
	s_or_b64 exec, exec, s[6:7]
	s_waitcnt lgkmcnt(0)
	s_barrier
	s_barrier
	s_and_saveexec_b64 s[6:7], s[22:23]
; %bb.1050:
	v_lshlrev_b32_e32 v5, 3, v5
	v_lshl_or_b32 v5, v6, 9, v5
	ds_write_b64 v5, v[3:4] offset:1024
; %bb.1051:
	s_or_b64 exec, exec, s[6:7]
	s_waitcnt lgkmcnt(0)
	s_barrier
	s_barrier
	s_and_saveexec_b64 s[6:7], s[46:47]
	s_cbranch_execz .LBB161_1053
; %bb.1052:
	v_lshlrev_b32_e32 v5, 3, v0
	s_movk_i32 s10, 0x1f8
	v_mad_u32_u24 v6, v0, s10, v5
	ds_read_b64 v[3:4], v6 offset:1024
	s_waitcnt lgkmcnt(0)
	ds_write_b64 v5, v[3:4] offset:16
	ds_read_b64 v[3:4], v6 offset:1032
	s_waitcnt lgkmcnt(0)
	ds_write_b64 v5, v[3:4] offset:528
.LBB161_1053:
	s_or_b64 exec, exec, s[6:7]
	s_waitcnt lgkmcnt(0)
	s_barrier
	s_and_saveexec_b64 s[6:7], vcc
	s_cbranch_execz .LBB161_1055
; %bb.1054:
	v_mov_b32_e32 v9, 0
	ds_read2st64_b64 v[3:6], v9 offset1:1
	ds_read_b64 v[7:8], v9 offset:520
	s_waitcnt lgkmcnt(0)
	v_mul_f32_e32 v10, v8, v4
	v_mul_f32_e32 v11, v7, v4
	v_fma_f32 v7, v7, v3, -v10
	v_fmac_f32_e32 v11, v8, v3
	v_mul_f32_e32 v3, v11, v6
	v_mul_f32_e32 v4, v7, v6
	v_fma_f32 v3, v7, v5, -v3
	v_fmac_f32_e32 v4, v11, v5
	ds_write2_b64 v9, v[3:4], v[3:4] offset0:1 offset1:64
.LBB161_1055:
	s_or_b64 exec, exec, s[6:7]
.LBB161_1056:
	s_load_dwordx4 s[12:15], s[4:5], 0x30
	v_cmp_le_i32_e32 vcc, s96, v0
	v_cmp_eq_u32_e64 s[16:17], 0, v2
	v_mov_b32_e32 v3, 0
	v_add_u32_e32 v5, s33, v0
	s_waitcnt lgkmcnt(0)
	s_lshl_b64 s[6:7], s[14:15], 3
	s_add_u32 s26, s26, s6
	s_addc_u32 s27, s27, s7
	s_and_b64 s[18:19], vcc, s[34:35]
	s_xor_b64 s[6:7], s[18:19], -1
	s_and_b64 s[10:11], s[16:17], s[6:7]
	v_mov_b32_e32 v4, 0
	s_barrier
	s_and_saveexec_b64 s[6:7], s[10:11]
	s_cbranch_execz .LBB161_1058
; %bb.1057:
	v_ashrrev_i32_e32 v6, 31, v5
	v_mul_lo_u32 v7, s31, v5
	v_mad_u64_u32 v[3:4], s[10:11], s30, v5, 0
	v_mul_lo_u32 v6, s30, v6
	v_add3_u32 v4, v4, v6, v7
	v_lshlrev_b64 v[3:4], 3, v[3:4]
	v_mov_b32_e32 v6, s27
	v_add_co_u32_e32 v3, vcc, s26, v3
	v_addc_co_u32_e32 v4, vcc, v6, v4, vcc
	flat_load_dwordx2 v[6:7], v[3:4]
	s_waitcnt vmcnt(0) lgkmcnt(0)
	v_mul_f32_e32 v3, s24, v6
	v_mul_f32_e32 v4, s24, v7
	v_fma_f32 v3, s25, v7, -v3
	v_fma_f32 v4, v6, -s25, -v4
.LBB161_1058:
	s_or_b64 exec, exec, s[6:7]
	s_load_dwordx2 s[6:7], s[4:5], 0x50
	s_and_b32 s4, 0xffff, s99
	v_mad_u32_u24 v7, v2, s4, v0
	s_cmp_lt_i32 s8, 1
	v_cmp_eq_u32_e64 s[4:5], 0, v7
	s_cbranch_scc1 .LBB161_1077
; %bb.1059:
	v_mad_u64_u32 v[10:11], s[10:11], s36, v5, 0
	v_cmp_gt_i32_e64 s[12:13], s9, v5
	s_mov_b64 s[20:21], src_private_base
	v_mov_b32_e32 v6, v11
	v_mad_u64_u32 v[8:9], s[10:11], s37, v5, v[6:7]
	v_mov_b32_e32 v6, 0xa000
	v_lshl_or_b32 v9, v2, 3, v6
	v_mov_b32_e32 v11, v8
	v_lshl_add_u32 v8, v7, 3, v6
	v_lshlrev_b64 v[5:6], 3, v[10:11]
	s_lshl_b64 s[10:11], s[28:29], 2
	s_waitcnt lgkmcnt(0)
	s_add_u32 s22, s6, s10
	v_mov_b32_e32 v11, s98
	v_add_co_u32_e32 v10, vcc, s97, v5
	s_mov_b32 s20, 0
	s_addc_u32 s23, s7, s11
	v_cmp_gt_u32_e64 s[10:11], 64, v7
	s_add_i32 s36, s8, -1
	v_addc_co_u32_e32 v11, vcc, v11, v6, vcc
	v_mov_b32_e32 v14, -1
	v_mov_b32_e32 v6, 0
	v_mov_b32_e32 v12, 0
	;; [unrolled: 1-line block ×5, first 2 shown]
	s_branch .LBB161_1061
.LBB161_1060:                           ;   in Loop: Header=BB161_1061 Depth=1
	s_or_b64 exec, exec, s[24:25]
	s_add_i32 s20, s20, 1
	s_cmp_eq_u32 s20, s8
	s_cbranch_scc1 .LBB161_1077
.LBB161_1061:                           ; =>This Loop Header: Depth=1
                                        ;     Child Loop BB161_1063 Depth 2
	v_cmp_gt_i32_e32 vcc, s20, v14
	s_and_b64 s[24:25], s[4:5], vcc
	s_and_saveexec_b64 s[14:15], s[24:25]
	s_cbranch_execz .LBB161_1064
; %bb.1062:                             ;   in Loop: Header=BB161_1061 Depth=1
	global_load_dword v14, v6, s[22:23]
	s_waitcnt vmcnt(0)
	v_cmp_le_i32_e32 vcc, s20, v14
	s_cbranch_vccnz .LBB161_1064
.LBB161_1063:                           ;   Parent Loop BB161_1061 Depth=1
                                        ; =>  This Inner Loop Header: Depth=2
	buffer_wbinvl1_vol
	global_load_dword v14, v6, s[22:23]
	s_waitcnt vmcnt(0)
	v_cmp_gt_i32_e32 vcc, s20, v14
	s_cbranch_vccnz .LBB161_1063
.LBB161_1064:                           ;   in Loop: Header=BB161_1061 Depth=1
	s_or_b64 exec, exec, s[14:15]
	s_lshl_b32 s37, s20, 6
	buffer_wbinvl1_vol
	s_barrier
	s_and_saveexec_b64 s[14:15], s[10:11]
	s_cbranch_execz .LBB161_1069
; %bb.1065:                             ;   in Loop: Header=BB161_1061 Depth=1
	v_or_b32_e32 v5, s37, v7
	v_cmp_le_i32_e32 vcc, s9, v5
	s_and_saveexec_b64 s[24:25], vcc
	s_xor_b64 s[24:25], exec, s[24:25]
; %bb.1066:                             ;   in Loop: Header=BB161_1061 Depth=1
	v_mov_b32_e32 v5, v6
	ds_write_b64 v8, v[5:6]
                                        ; implicit-def: $vgpr5
; %bb.1067:                             ;   in Loop: Header=BB161_1061 Depth=1
	s_andn2_saveexec_b64 s[24:25], s[24:25]
	s_cbranch_execz .LBB161_1069
; %bb.1068:                             ;   in Loop: Header=BB161_1061 Depth=1
	v_mad_u64_u32 v[17:18], s[24:25], s30, v5, 0
	v_mad_u64_u32 v[18:19], s[24:25], s31, v5, v[18:19]
	v_mov_b32_e32 v5, s27
	v_lshlrev_b64 v[17:18], 3, v[17:18]
	v_add_co_u32_e32 v17, vcc, s26, v17
	v_addc_co_u32_e32 v18, vcc, v5, v18, vcc
	flat_load_dwordx2 v[17:18], v[17:18]
	s_waitcnt vmcnt(0) lgkmcnt(0)
	ds_write_b64 v8, v[17:18]
.LBB161_1069:                           ;   in Loop: Header=BB161_1061 Depth=1
	s_or_b64 exec, exec, s[14:15]
	v_add_u32_e32 v5, s37, v2
	v_lshlrev_b64 v[18:19], 3, v[5:6]
	s_cmp_eq_u32 s20, s36
	v_add_co_u32_e32 v18, vcc, v10, v18
	v_addc_co_u32_e32 v17, vcc, v11, v19, vcc
	v_cmp_gt_i32_e32 vcc, s9, v5
	s_cselect_b64 s[14:15], -1, 0
	s_and_b64 s[38:39], vcc, s[12:13]
	s_waitcnt lgkmcnt(0)
	s_barrier
	s_and_saveexec_b64 s[24:25], s[38:39]
	s_cbranch_execz .LBB161_1071
; %bb.1070:                             ;   in Loop: Header=BB161_1061 Depth=1
	v_mov_b32_e32 v19, s21
	v_cndmask_b32_e64 v20, v17, v19, s[14:15]
	v_cndmask_b32_e64 v19, v18, v12, s[14:15]
	flat_load_dwordx2 v[19:20], v[19:20]
	ds_read_b64 v[21:22], v9
	s_waitcnt vmcnt(0) lgkmcnt(0)
	v_mul_f32_e32 v23, v22, v20
	v_mul_f32_e32 v20, v21, v20
	v_fma_f32 v21, v21, v19, -v23
	v_fmac_f32_e32 v20, v22, v19
	v_add_f32_e32 v3, v3, v21
	v_add_f32_e32 v4, v4, v20
.LBB161_1071:                           ;   in Loop: Header=BB161_1061 Depth=1
	s_or_b64 exec, exec, s[24:25]
	v_add_u32_e32 v19, 16, v5
	v_cmp_gt_i32_e32 vcc, s9, v19
	s_and_b64 s[38:39], vcc, s[12:13]
	s_and_saveexec_b64 s[24:25], s[38:39]
	s_cbranch_execz .LBB161_1073
; %bb.1072:                             ;   in Loop: Header=BB161_1061 Depth=1
	v_add_co_u32_e32 v19, vcc, 0x80, v18
	v_addc_co_u32_e32 v20, vcc, 0, v17, vcc
	v_mov_b32_e32 v21, s21
	v_cndmask_b32_e64 v20, v20, v21, s[14:15]
	v_cndmask_b32_e64 v19, v19, v13, s[14:15]
	flat_load_dwordx2 v[19:20], v[19:20]
	ds_read_b64 v[21:22], v9 offset:128
	s_waitcnt vmcnt(0) lgkmcnt(0)
	v_mul_f32_e32 v23, v22, v20
	v_mul_f32_e32 v20, v21, v20
	v_fma_f32 v21, v21, v19, -v23
	v_fmac_f32_e32 v20, v22, v19
	v_add_f32_e32 v3, v3, v21
	v_add_f32_e32 v4, v4, v20
.LBB161_1073:                           ;   in Loop: Header=BB161_1061 Depth=1
	s_or_b64 exec, exec, s[24:25]
	v_add_u32_e32 v19, 32, v5
	v_cmp_gt_i32_e32 vcc, s9, v19
	s_and_b64 s[38:39], vcc, s[12:13]
	s_and_saveexec_b64 s[24:25], s[38:39]
	s_cbranch_execz .LBB161_1075
; %bb.1074:                             ;   in Loop: Header=BB161_1061 Depth=1
	v_add_co_u32_e32 v19, vcc, 0x100, v18
	v_addc_co_u32_e32 v20, vcc, 0, v17, vcc
	v_mov_b32_e32 v21, s21
	v_cndmask_b32_e64 v20, v20, v21, s[14:15]
	v_cndmask_b32_e64 v19, v19, v15, s[14:15]
	flat_load_dwordx2 v[19:20], v[19:20]
	ds_read_b64 v[21:22], v9 offset:256
	s_waitcnt vmcnt(0) lgkmcnt(0)
	v_mul_f32_e32 v23, v22, v20
	v_mul_f32_e32 v20, v21, v20
	v_fma_f32 v21, v21, v19, -v23
	v_fmac_f32_e32 v20, v22, v19
	v_add_f32_e32 v3, v3, v21
	v_add_f32_e32 v4, v4, v20
.LBB161_1075:                           ;   in Loop: Header=BB161_1061 Depth=1
	s_or_b64 exec, exec, s[24:25]
	v_add_u32_e32 v5, 48, v5
	v_cmp_gt_i32_e32 vcc, s9, v5
	s_and_b64 s[38:39], vcc, s[12:13]
	s_and_saveexec_b64 s[24:25], s[38:39]
	s_cbranch_execz .LBB161_1060
; %bb.1076:                             ;   in Loop: Header=BB161_1061 Depth=1
	v_add_co_u32_e32 v5, vcc, 0x180, v18
	v_addc_co_u32_e32 v17, vcc, 0, v17, vcc
	v_mov_b32_e32 v18, s21
	v_cndmask_b32_e64 v18, v17, v18, s[14:15]
	v_cndmask_b32_e64 v17, v5, v16, s[14:15]
	flat_load_dwordx2 v[17:18], v[17:18]
	ds_read_b64 v[19:20], v9 offset:384
	s_waitcnt vmcnt(0) lgkmcnt(0)
	v_mul_f32_e32 v5, v20, v18
	v_mul_f32_e32 v18, v19, v18
	v_fma_f32 v5, v19, v17, -v5
	v_fmac_f32_e32 v18, v20, v17
	v_add_f32_e32 v3, v3, v5
	v_add_f32_e32 v4, v4, v18
	s_branch .LBB161_1060
.LBB161_1077:
	s_xor_b64 s[4:5], s[34:35], -1
	v_lshlrev_b32_e32 v1, 3, v1
	ds_write_b64 v1, v[3:4] offset:32768
	s_waitcnt lgkmcnt(0)
	s_barrier
	s_and_saveexec_b64 s[8:9], s[16:17]
	s_cbranch_execz .LBB161_1079
; %bb.1078:
	v_lshlrev_b32_e32 v18, 3, v0
	ds_read2st64_b64 v[8:11], v18 offset0:65 offset1:66
	ds_read2st64_b64 v[12:15], v18 offset0:67 offset1:68
	ds_read_b64 v[16:17], v18 offset:40448
	s_waitcnt lgkmcnt(2)
	v_add_f32_e32 v3, v3, v8
	v_add_f32_e32 v4, v4, v9
	v_add_f32_e32 v8, v3, v10
	v_add_f32_e32 v9, v4, v11
	ds_read2st64_b64 v[3:6], v18 offset0:69 offset1:70
	s_waitcnt lgkmcnt(2)
	v_add_f32_e32 v8, v8, v12
	v_add_f32_e32 v9, v9, v13
	;; [unrolled: 1-line block ×4, first 2 shown]
	s_waitcnt lgkmcnt(0)
	v_add_f32_e32 v3, v8, v3
	ds_read2st64_b64 v[8:11], v18 offset0:71 offset1:72
	v_add_f32_e32 v4, v12, v4
	v_add_f32_e32 v12, v3, v5
	;; [unrolled: 1-line block ×3, first 2 shown]
	ds_read2st64_b64 v[3:6], v18 offset0:73 offset1:74
	s_waitcnt lgkmcnt(1)
	v_add_f32_e32 v8, v12, v8
	v_add_f32_e32 v9, v13, v9
	;; [unrolled: 1-line block ×4, first 2 shown]
	s_waitcnt lgkmcnt(0)
	v_add_f32_e32 v3, v8, v3
	ds_read2st64_b64 v[8:11], v18 offset0:75 offset1:76
	v_add_f32_e32 v4, v12, v4
	v_add_f32_e32 v12, v3, v5
	;; [unrolled: 1-line block ×3, first 2 shown]
	ds_read2st64_b64 v[3:6], v18 offset0:77 offset1:78
	s_waitcnt lgkmcnt(1)
	v_add_f32_e32 v8, v12, v8
	v_add_f32_e32 v9, v13, v9
	;; [unrolled: 1-line block ×4, first 2 shown]
	s_waitcnt lgkmcnt(0)
	v_add_f32_e32 v3, v8, v3
	v_add_f32_e32 v4, v9, v4
	;; [unrolled: 1-line block ×6, first 2 shown]
	v_cndmask_b32_e64 v3, -v3, 0, s[18:19]
	v_cndmask_b32_e64 v4, -v4, 0, s[18:19]
.LBB161_1079:
	s_or_b64 exec, exec, s[8:9]
	s_and_b64 vcc, exec, s[50:51]
	s_cbranch_vccnz .LBB161_1092
; %bb.1080:
	v_mov_b32_e32 v5, 0xa000
	v_lshl_or_b32 v8, v2, 3, v5
	s_and_saveexec_b64 s[8:9], s[16:17]
; %bb.1081:
	v_lshl_add_u32 v5, v0, 3, v8
	ds_write_b64 v5, v[3:4]
; %bb.1082:
	s_or_b64 exec, exec, s[8:9]
	v_cmp_le_u32_e32 vcc, v2, v0
	v_mov_b32_e32 v5, 0
	v_mov_b32_e32 v6, 0
	s_waitcnt lgkmcnt(0)
	s_barrier
	s_and_saveexec_b64 s[8:9], vcc
	s_cbranch_execz .LBB161_1084
; %bb.1083:
	ds_read_b64 v[5:6], v1
	ds_read_b64 v[9:10], v8
	s_waitcnt lgkmcnt(0)
	v_mul_f32_e32 v11, v10, v6
	v_mul_f32_e32 v6, v9, v6
	v_fma_f32 v9, v9, v5, -v11
	v_fmac_f32_e32 v6, v10, v5
	v_add_f32_e32 v5, 0, v9
	v_add_f32_e32 v6, 0, v6
.LBB161_1084:
	s_or_b64 exec, exec, s[8:9]
	v_add_u32_e32 v9, 16, v2
	v_cmp_ge_u32_e32 vcc, v0, v9
	s_and_saveexec_b64 s[8:9], vcc
	s_cbranch_execz .LBB161_1086
; %bb.1085:
	ds_read_b64 v[9:10], v1 offset:8192
	ds_read_b64 v[11:12], v8 offset:128
	s_waitcnt lgkmcnt(0)
	v_mul_f32_e32 v13, v12, v10
	v_mul_f32_e32 v10, v11, v10
	v_fma_f32 v11, v11, v9, -v13
	v_fmac_f32_e32 v10, v12, v9
	v_add_f32_e32 v5, v5, v11
	v_add_f32_e32 v6, v6, v10
.LBB161_1086:
	s_or_b64 exec, exec, s[8:9]
	v_add_u32_e32 v9, 32, v2
	v_cmp_ge_u32_e32 vcc, v0, v9
	s_and_saveexec_b64 s[8:9], vcc
	s_cbranch_execz .LBB161_1088
; %bb.1087:
	ds_read_b64 v[9:10], v1 offset:16384
	ds_read_b64 v[11:12], v8 offset:256
	s_waitcnt lgkmcnt(0)
	v_mul_f32_e32 v13, v12, v10
	v_mul_f32_e32 v10, v11, v10
	v_fma_f32 v11, v11, v9, -v13
	v_fmac_f32_e32 v10, v12, v9
	v_add_f32_e32 v5, v5, v11
	v_add_f32_e32 v6, v6, v10
.LBB161_1088:
	s_or_b64 exec, exec, s[8:9]
	v_add_u32_e32 v2, 48, v2
	v_add_u32_e32 v9, 0x8000, v1
	v_cmp_ge_u32_e32 vcc, v0, v2
	s_and_saveexec_b64 s[8:9], vcc
	s_cbranch_execz .LBB161_1090
; %bb.1089:
	ds_read_b64 v[1:2], v1 offset:24576
	ds_read_b64 v[10:11], v8 offset:384
	s_waitcnt lgkmcnt(0)
	v_mul_f32_e32 v8, v11, v2
	v_mul_f32_e32 v2, v10, v2
	v_fma_f32 v8, v10, v1, -v8
	v_fmac_f32_e32 v2, v11, v1
	v_add_f32_e32 v5, v5, v8
	v_add_f32_e32 v6, v6, v2
.LBB161_1090:
	s_or_b64 exec, exec, s[8:9]
	s_mov_b64 s[10:11], 0
	s_mov_b64 s[8:9], 0
	ds_write_b64 v9, v[5:6]
	s_waitcnt lgkmcnt(0)
	s_barrier
                                        ; implicit-def: $vgpr8
                                        ; implicit-def: $vgpr9
                                        ; implicit-def: $vgpr1_vgpr2
	s_and_saveexec_b64 s[12:13], s[16:17]
	s_cbranch_execz .LBB161_1105
; %bb.1091:
	v_lshlrev_b32_e32 v1, 3, v0
	ds_read2st64_b64 v[8:11], v1 offset0:65 offset1:66
	ds_read2st64_b64 v[12:15], v1 offset0:67 offset1:68
	ds_read_b64 v[16:17], v1 offset:40448
	s_mov_b64 s[8:9], exec
	s_waitcnt lgkmcnt(2)
	v_add_f32_e32 v2, v5, v8
	v_add_f32_e32 v5, v6, v9
	v_add_f32_e32 v2, v2, v10
	v_add_f32_e32 v5, v5, v11
	ds_read2st64_b64 v[8:11], v1 offset0:69 offset1:70
	s_waitcnt lgkmcnt(2)
	v_add_f32_e32 v2, v2, v12
	v_add_f32_e32 v5, v5, v13
	v_add_f32_e32 v2, v2, v14
	v_add_f32_e32 v5, v5, v15
	ds_read2st64_b64 v[12:15], v1 offset0:71 offset1:72
	;; [unrolled: 6-line block ×5, first 2 shown]
	s_waitcnt lgkmcnt(1)
	v_add_f32_e32 v1, v2, v12
	v_add_f32_e32 v2, v5, v13
	v_add_u32_e32 v12, s33, v7
	v_add_f32_e32 v5, v1, v14
	v_add_f32_e32 v6, v2, v15
	v_mad_u64_u32 v[1:2], s[14:15], s30, v12, 0
	s_waitcnt lgkmcnt(0)
	v_add_f32_e32 v5, v5, v8
	v_add_f32_e32 v8, v6, v9
	v_add_f32_e32 v9, v5, v10
	v_mad_u64_u32 v[5:6], s[14:15], s31, v12, v[2:3]
	v_add_f32_e32 v2, v8, v11
	v_add_f32_e32 v9, v9, v16
	;; [unrolled: 1-line block ×3, first 2 shown]
	v_mov_b32_e32 v2, v5
	s_or_b64 exec, exec, s[12:13]
	s_and_b64 vcc, exec, s[10:11]
	s_cbranch_vccnz .LBB161_1093
	s_branch .LBB161_1106
.LBB161_1092:
	s_mov_b64 s[8:9], 0
                                        ; implicit-def: $vgpr8
                                        ; implicit-def: $vgpr9
                                        ; implicit-def: $vgpr1_vgpr2
	s_cbranch_execz .LBB161_1106
.LBB161_1093:
	v_mul_u32_u24_e32 v1, 0x208, v0
	v_lshlrev_b32_e32 v2, 9, v0
	v_sub_u32_e32 v2, v1, v2
	s_mov_b32 s12, 0
	v_mov_b32_e32 v5, 0
	v_mov_b32_e32 v6, v0
	s_branch .LBB161_1095
.LBB161_1094:                           ;   in Loop: Header=BB161_1095 Depth=1
	s_or_b64 exec, exec, s[10:11]
	s_add_i32 s12, s12, 2
	v_add_u32_e32 v2, 0x400, v2
	s_cmp_lg_u32 s12, 64
	v_add_u32_e32 v6, -2, v6
	s_barrier
	s_cbranch_scc0 .LBB161_1103
.LBB161_1095:                           ; =>This Inner Loop Header: Depth=1
	v_cmp_eq_u32_e32 vcc, 0, v6
	s_and_b64 s[14:15], s[16:17], vcc
	s_and_saveexec_b64 s[10:11], s[14:15]
	s_cbranch_execz .LBB161_1097
; %bb.1096:                             ;   in Loop: Header=BB161_1095 Depth=1
	ds_read_b64 v[8:9], v1
	s_waitcnt lgkmcnt(0)
	v_mul_f32_e32 v11, v4, v9
	v_mul_f32_e32 v10, v3, v9
	v_fma_f32 v9, v3, v8, -v11
	v_fmac_f32_e32 v10, v4, v8
	v_mov_b32_e32 v3, v9
	v_mov_b32_e32 v4, v10
	ds_write_b64 v5, v[9:10] offset:41472
.LBB161_1097:                           ;   in Loop: Header=BB161_1095 Depth=1
	s_or_b64 exec, exec, s[10:11]
	v_cmp_lt_u32_e32 vcc, s12, v0
	s_and_b64 s[14:15], s[16:17], vcc
	s_waitcnt lgkmcnt(0)
	s_barrier
	s_and_saveexec_b64 s[10:11], s[14:15]
	s_cbranch_execz .LBB161_1099
; %bb.1098:                             ;   in Loop: Header=BB161_1095 Depth=1
	ds_read_b64 v[8:9], v2
	ds_read_b64 v[10:11], v5 offset:41472
	s_waitcnt lgkmcnt(0)
	v_mul_f32_e32 v12, v11, v9
	v_mul_f32_e32 v9, v10, v9
	v_fma_f32 v10, v10, v8, -v12
	v_fmac_f32_e32 v9, v11, v8
	v_add_f32_e32 v3, v3, v10
	v_add_f32_e32 v4, v4, v9
.LBB161_1099:                           ;   in Loop: Header=BB161_1095 Depth=1
	s_or_b64 exec, exec, s[10:11]
	s_or_b32 s13, s12, 1
	v_cmp_eq_u32_e32 vcc, s13, v0
	s_and_b64 s[14:15], s[16:17], vcc
	s_barrier
	s_and_saveexec_b64 s[10:11], s[14:15]
	s_cbranch_execz .LBB161_1101
; %bb.1100:                             ;   in Loop: Header=BB161_1095 Depth=1
	ds_read_b64 v[8:9], v1
	s_waitcnt lgkmcnt(0)
	v_mul_f32_e32 v11, v4, v9
	v_mul_f32_e32 v10, v3, v9
	v_fma_f32 v9, v3, v8, -v11
	v_fmac_f32_e32 v10, v4, v8
	v_mov_b32_e32 v3, v9
	v_mov_b32_e32 v4, v10
	ds_write_b64 v5, v[9:10] offset:41472
.LBB161_1101:                           ;   in Loop: Header=BB161_1095 Depth=1
	s_or_b64 exec, exec, s[10:11]
	v_cmp_lt_u32_e32 vcc, s13, v0
	s_and_b64 s[14:15], s[16:17], vcc
	s_waitcnt lgkmcnt(0)
	s_barrier
	s_and_saveexec_b64 s[10:11], s[14:15]
	s_cbranch_execz .LBB161_1094
; %bb.1102:                             ;   in Loop: Header=BB161_1095 Depth=1
	ds_read_b64 v[8:9], v2 offset:512
	ds_read_b64 v[10:11], v5 offset:41472
	s_waitcnt lgkmcnt(0)
	v_mul_f32_e32 v12, v11, v9
	v_mul_f32_e32 v9, v10, v9
	v_fma_f32 v10, v10, v8, -v12
	v_fmac_f32_e32 v9, v11, v8
	v_add_f32_e32 v3, v3, v10
	v_add_f32_e32 v4, v4, v9
	s_branch .LBB161_1094
.LBB161_1103:
	s_and_b64 vcc, exec, s[4:5]
	s_cbranch_vccz .LBB161_1107
; %bb.1104:
	s_and_b64 s[4:5], s[16:17], exec
	s_cbranch_execz .LBB161_1108
	s_branch .LBB161_1109
.LBB161_1105:
	s_or_b64 exec, exec, s[12:13]
	s_and_b64 vcc, exec, s[10:11]
	s_cbranch_vccnz .LBB161_1093
.LBB161_1106:
	v_mov_b32_e32 v4, v8
	v_mov_b32_e32 v3, v9
	s_and_saveexec_b64 s[4:5], s[8:9]
	s_cbranch_execnz .LBB161_1112
	s_branch .LBB161_1113
.LBB161_1107:
	s_mov_b64 s[4:5], 0
.LBB161_1108:
	v_cmp_gt_i32_e32 vcc, s96, v0
	s_and_b64 s[10:11], s[16:17], vcc
	s_andn2_b64 s[4:5], s[4:5], exec
	s_and_b64 s[10:11], s[10:11], exec
	s_or_b64 s[4:5], s[4:5], s[10:11]
.LBB161_1109:
                                        ; implicit-def: $vgpr1_vgpr2
	s_and_saveexec_b64 s[10:11], s[4:5]
	s_cbranch_execz .LBB161_1111
; %bb.1110:
	v_mov_b32_e32 v0, s40
	v_add_co_u32_e32 v1, vcc, s33, v7
	v_addc_co_u32_e32 v0, vcc, 0, v0, vcc
	v_mul_lo_u32 v0, v0, s30
	v_mul_lo_u32 v5, v1, s31
	v_mad_u64_u32 v[1:2], s[4:5], v1, s30, 0
	s_or_b64 s[8:9], s[8:9], exec
	v_add3_u32 v2, v2, v5, v0
.LBB161_1111:
	s_or_b64 exec, exec, s[10:11]
	s_and_saveexec_b64 s[4:5], s[8:9]
	s_cbranch_execz .LBB161_1113
.LBB161_1112:
	v_lshlrev_b64 v[0:1], 3, v[1:2]
	v_mov_b32_e32 v2, s27
	v_add_co_u32_e32 v0, vcc, s26, v0
	v_addc_co_u32_e32 v1, vcc, v2, v1, vcc
	flat_store_dwordx2 v[0:1], v[3:4]
.LBB161_1113:
	s_or_b64 exec, exec, s[4:5]
	v_cmp_eq_u32_e32 vcc, 0, v7
	s_waitcnt vmcnt(0) lgkmcnt(0)
	buffer_wbinvl1_vol
	s_barrier
	s_and_saveexec_b64 s[4:5], vcc
	s_cbranch_execz .LBB161_1115
; %bb.1114:
	s_lshl_b64 s[8:9], s[28:29], 2
	s_add_u32 s6, s6, s8
	s_addc_u32 s7, s7, s9
	v_mov_b32_e32 v0, 0
	global_load_dword v1, v0, s[6:7]
	s_waitcnt vmcnt(0)
	v_add_u32_e32 v1, 1, v1
	global_store_dword v0, v1, s[6:7]
.LBB161_1115:
	s_or_b64 exec, exec, s[4:5]
	s_waitcnt vmcnt(0)
	buffer_wbinvl1_vol
	s_endpgm
.LBB161_1116:
	ds_read_b64 v[14:15], v12 offset:31680
	ds_read_b64 v[16:17], v13 offset:31208
	s_waitcnt lgkmcnt(0)
	v_mul_f32_e32 v18, v17, v15
	v_mul_f32_e32 v15, v16, v15
	v_fma_f32 v16, v16, v14, -v18
	v_fmac_f32_e32 v15, v17, v14
	v_add_f32_e32 v3, v3, v16
	v_add_f32_e32 v4, v4, v15
	s_or_b64 exec, exec, s[18:19]
	v_cmp_gt_u32_e64 s[14:15], 8, v8
	s_and_saveexec_b64 s[18:19], s[14:15]
	s_cbranch_execz .LBB161_156
.LBB161_1117:
	ds_read_b64 v[14:15], v12 offset:32192
	ds_read_b64 v[12:13], v13 offset:31216
	s_waitcnt lgkmcnt(0)
	v_mul_f32_e32 v16, v13, v15
	v_mul_f32_e32 v15, v12, v15
	v_fma_f32 v12, v12, v14, -v16
	v_fmac_f32_e32 v15, v13, v14
	v_add_f32_e32 v3, v3, v12
	v_add_f32_e32 v4, v4, v15
	s_or_b64 exec, exec, s[18:19]
	v_cmp_gt_u32_e64 s[14:15], 4, v8
	s_and_saveexec_b64 s[18:19], s[14:15]
	s_cbranch_execnz .LBB161_157
	s_branch .LBB161_158
.LBB161_1118:
	ds_read_b64 v[17:18], v15 offset:29568
	ds_read_b64 v[19:20], v16 offset:29128
	s_waitcnt lgkmcnt(0)
	v_mul_f32_e32 v21, v20, v18
	v_mul_f32_e32 v18, v19, v18
	v_fma_f32 v19, v19, v17, -v21
	v_fmac_f32_e32 v18, v20, v17
	v_add_f32_e32 v3, v3, v19
	v_add_f32_e32 v4, v4, v18
	s_or_b64 exec, exec, s[20:21]
	v_cmp_gt_u32_e64 s[18:19], 48, v8
	s_and_saveexec_b64 s[20:21], s[18:19]
	s_cbranch_execz .LBB161_198
.LBB161_1119:
	ds_read_b64 v[17:18], v15 offset:30080
	ds_read_b64 v[19:20], v16 offset:29136
	s_waitcnt lgkmcnt(0)
	v_mul_f32_e32 v21, v20, v18
	v_mul_f32_e32 v18, v19, v18
	v_fma_f32 v19, v19, v17, -v21
	v_fmac_f32_e32 v18, v20, v17
	v_add_f32_e32 v3, v3, v19
	v_add_f32_e32 v4, v4, v18
	s_or_b64 exec, exec, s[20:21]
	v_cmp_gt_u32_e64 s[18:19], 40, v8
	s_and_saveexec_b64 s[20:21], s[18:19]
	s_cbranch_execz .LBB161_199
.LBB161_1120:
	ds_read_b64 v[17:18], v15 offset:30592
	ds_read_b64 v[19:20], v16 offset:29144
	s_waitcnt lgkmcnt(0)
	v_mul_f32_e32 v21, v20, v18
	v_mul_f32_e32 v18, v19, v18
	v_fma_f32 v19, v19, v17, -v21
	v_fmac_f32_e32 v18, v20, v17
	v_add_f32_e32 v3, v3, v19
	v_add_f32_e32 v4, v4, v18
	s_or_b64 exec, exec, s[20:21]
	v_cmp_gt_u32_e64 s[18:19], 32, v8
	s_and_saveexec_b64 s[20:21], s[18:19]
	s_cbranch_execz .LBB161_200
.LBB161_1121:
	ds_read_b64 v[17:18], v15 offset:31104
	ds_read_b64 v[19:20], v16 offset:29152
	s_waitcnt lgkmcnt(0)
	v_mul_f32_e32 v21, v20, v18
	v_mul_f32_e32 v18, v19, v18
	v_fma_f32 v19, v19, v17, -v21
	v_fmac_f32_e32 v18, v20, v17
	v_add_f32_e32 v3, v3, v19
	v_add_f32_e32 v4, v4, v18
	s_or_b64 exec, exec, s[20:21]
	v_cmp_gt_u32_e64 s[18:19], 24, v8
	s_and_saveexec_b64 s[20:21], s[18:19]
	s_cbranch_execz .LBB161_201
.LBB161_1122:
	ds_read_b64 v[17:18], v15 offset:31616
	ds_read_b64 v[19:20], v16 offset:29160
	s_waitcnt lgkmcnt(0)
	v_mul_f32_e32 v21, v20, v18
	v_mul_f32_e32 v18, v19, v18
	v_fma_f32 v19, v19, v17, -v21
	v_fmac_f32_e32 v18, v20, v17
	v_add_f32_e32 v3, v3, v19
	v_add_f32_e32 v4, v4, v18
	s_or_b64 exec, exec, s[20:21]
	s_and_saveexec_b64 s[18:19], s[10:11]
	s_cbranch_execz .LBB161_202
.LBB161_1123:
	ds_read_b64 v[17:18], v15 offset:32128
	ds_read_b64 v[15:16], v16 offset:29168
	s_waitcnt lgkmcnt(0)
	v_mul_f32_e32 v19, v16, v18
	v_mul_f32_e32 v18, v15, v18
	v_fma_f32 v15, v15, v17, -v19
	v_fmac_f32_e32 v18, v16, v17
	v_add_f32_e32 v3, v3, v15
	v_add_f32_e32 v4, v4, v18
	s_or_b64 exec, exec, s[18:19]
	v_cmp_gt_u32_e64 s[18:19], 8, v8
	s_and_saveexec_b64 s[20:21], s[18:19]
	s_cbranch_execnz .LBB161_203
	s_branch .LBB161_204
.LBB161_1124:
	ds_read_b64 v[17:18], v15 offset:27520
	ds_read_b64 v[19:20], v16 offset:27048
	s_waitcnt lgkmcnt(0)
	v_mul_f32_e32 v21, v20, v18
	v_mul_f32_e32 v18, v19, v18
	v_fma_f32 v19, v19, v17, -v21
	v_fmac_f32_e32 v18, v20, v17
	v_add_f32_e32 v3, v3, v19
	v_add_f32_e32 v4, v4, v18
	s_or_b64 exec, exec, s[18:19]
	v_cmp_gt_u32_e64 s[14:15], 8, v8
	s_and_saveexec_b64 s[18:19], s[14:15]
	s_cbranch_execz .LBB161_260
.LBB161_1125:
	ds_read_b64 v[17:18], v15 offset:28032
	ds_read_b64 v[15:16], v16 offset:27056
	s_waitcnt lgkmcnt(0)
	v_mul_f32_e32 v19, v16, v18
	v_mul_f32_e32 v18, v15, v18
	v_fma_f32 v15, v15, v17, -v19
	v_fmac_f32_e32 v18, v16, v17
	v_add_f32_e32 v3, v3, v15
	v_add_f32_e32 v4, v4, v18
	s_or_b64 exec, exec, s[18:19]
	v_cmp_gt_u32_e64 s[14:15], 4, v8
	s_and_saveexec_b64 s[18:19], s[14:15]
	s_cbranch_execnz .LBB161_261
	s_branch .LBB161_262
.LBB161_1126:
	ds_read_b64 v[20:21], v18 offset:30464
	ds_read_b64 v[22:23], v19 offset:25048
	s_waitcnt lgkmcnt(0)
	v_mul_f32_e32 v24, v23, v21
	v_mul_f32_e32 v21, v22, v21
	v_fma_f32 v22, v22, v20, -v24
	v_fmac_f32_e32 v21, v23, v20
	v_add_f32_e32 v3, v3, v22
	v_add_f32_e32 v4, v4, v21
	s_or_b64 exec, exec, s[24:25]
	s_and_saveexec_b64 s[20:21], s[12:13]
	s_cbranch_execz .LBB161_322
.LBB161_1127:
	ds_read_b64 v[20:21], v18 offset:30976
	ds_read_b64 v[22:23], v19 offset:25056
	s_waitcnt lgkmcnt(0)
	v_mul_f32_e32 v24, v23, v21
	v_mul_f32_e32 v21, v22, v21
	v_fma_f32 v22, v22, v20, -v24
	v_fmac_f32_e32 v21, v23, v20
	v_add_f32_e32 v3, v3, v22
	v_add_f32_e32 v4, v4, v21
	s_or_b64 exec, exec, s[20:21]
	v_cmp_gt_u32_e64 s[20:21], 48, v8
	s_and_saveexec_b64 s[24:25], s[20:21]
	s_cbranch_execz .LBB161_323
.LBB161_1128:
	ds_read_b64 v[20:21], v18 offset:31488
	ds_read_b64 v[22:23], v19 offset:25064
	s_waitcnt lgkmcnt(0)
	v_mul_f32_e32 v24, v23, v21
	v_mul_f32_e32 v21, v22, v21
	v_fma_f32 v22, v22, v20, -v24
	v_fmac_f32_e32 v21, v23, v20
	v_add_f32_e32 v3, v3, v22
	v_add_f32_e32 v4, v4, v21
	s_or_b64 exec, exec, s[24:25]
	v_cmp_gt_u32_e64 s[20:21], 32, v8
	s_and_saveexec_b64 s[24:25], s[20:21]
	s_cbranch_execz .LBB161_324
.LBB161_1129:
	ds_read_b64 v[20:21], v18 offset:32000
	ds_read_b64 v[18:19], v19 offset:25072
	s_waitcnt lgkmcnt(0)
	v_mul_f32_e32 v22, v19, v21
	v_mul_f32_e32 v21, v18, v21
	v_fma_f32 v18, v18, v20, -v22
	v_fmac_f32_e32 v21, v19, v20
	v_add_f32_e32 v3, v3, v18
	v_add_f32_e32 v4, v4, v21
	s_or_b64 exec, exec, s[24:25]
	v_cmp_gt_u32_e64 s[20:21], 16, v8
	s_and_saveexec_b64 s[24:25], s[20:21]
	s_cbranch_execnz .LBB161_325
	s_branch .LBB161_326
.LBB161_1130:
	ds_read_b64 v[20:21], v18 offset:23360
	ds_read_b64 v[22:23], v19 offset:22888
	s_waitcnt lgkmcnt(0)
	v_mul_f32_e32 v24, v23, v21
	v_mul_f32_e32 v21, v22, v21
	v_fma_f32 v22, v22, v20, -v24
	v_fmac_f32_e32 v21, v23, v20
	v_add_f32_e32 v3, v3, v22
	v_add_f32_e32 v4, v4, v21
	s_or_b64 exec, exec, s[24:25]
	v_cmp_gt_u32_e64 s[18:19], 8, v8
	s_and_saveexec_b64 s[24:25], s[18:19]
	s_cbranch_execz .LBB161_414
.LBB161_1131:
	ds_read_b64 v[20:21], v18 offset:23872
	ds_read_b64 v[18:19], v19 offset:22896
	s_waitcnt lgkmcnt(0)
	v_mul_f32_e32 v22, v19, v21
	v_mul_f32_e32 v21, v18, v21
	v_fma_f32 v18, v18, v20, -v22
	v_fmac_f32_e32 v21, v19, v20
	v_add_f32_e32 v3, v3, v18
	v_add_f32_e32 v4, v4, v21
	s_or_b64 exec, exec, s[24:25]
	v_cmp_gt_u32_e64 s[18:19], 4, v8
	s_and_saveexec_b64 s[24:25], s[18:19]
	s_cbranch_execnz .LBB161_415
	s_branch .LBB161_416
.LBB161_1132:
	ds_read_b64 v[20:21], v18 offset:21248
	ds_read_b64 v[22:23], v19 offset:20808
	s_waitcnt lgkmcnt(0)
	v_mul_f32_e32 v24, v23, v21
	v_mul_f32_e32 v21, v22, v21
	v_fma_f32 v22, v22, v20, -v24
	v_fmac_f32_e32 v21, v23, v20
	v_add_f32_e32 v3, v3, v22
	v_add_f32_e32 v4, v4, v21
	s_or_b64 exec, exec, s[24:25]
	v_cmp_gt_u32_e64 s[18:19], 48, v8
	s_and_saveexec_b64 s[24:25], s[18:19]
	s_cbranch_execz .LBB161_456
.LBB161_1133:
	ds_read_b64 v[20:21], v18 offset:21760
	ds_read_b64 v[22:23], v19 offset:20816
	s_waitcnt lgkmcnt(0)
	v_mul_f32_e32 v24, v23, v21
	v_mul_f32_e32 v21, v22, v21
	v_fma_f32 v22, v22, v20, -v24
	v_fmac_f32_e32 v21, v23, v20
	v_add_f32_e32 v3, v3, v22
	v_add_f32_e32 v4, v4, v21
	s_or_b64 exec, exec, s[24:25]
	v_cmp_gt_u32_e64 s[18:19], 40, v8
	s_and_saveexec_b64 s[24:25], s[18:19]
	s_cbranch_execz .LBB161_457
.LBB161_1134:
	ds_read_b64 v[20:21], v18 offset:22272
	ds_read_b64 v[22:23], v19 offset:20824
	s_waitcnt lgkmcnt(0)
	v_mul_f32_e32 v24, v23, v21
	v_mul_f32_e32 v21, v22, v21
	v_fma_f32 v22, v22, v20, -v24
	v_fmac_f32_e32 v21, v23, v20
	v_add_f32_e32 v3, v3, v22
	v_add_f32_e32 v4, v4, v21
	s_or_b64 exec, exec, s[24:25]
	v_cmp_gt_u32_e64 s[18:19], 32, v8
	s_and_saveexec_b64 s[24:25], s[18:19]
	s_cbranch_execz .LBB161_458
.LBB161_1135:
	ds_read_b64 v[20:21], v18 offset:22784
	ds_read_b64 v[22:23], v19 offset:20832
	s_waitcnt lgkmcnt(0)
	v_mul_f32_e32 v24, v23, v21
	v_mul_f32_e32 v21, v22, v21
	v_fma_f32 v22, v22, v20, -v24
	v_fmac_f32_e32 v21, v23, v20
	v_add_f32_e32 v3, v3, v22
	v_add_f32_e32 v4, v4, v21
	s_or_b64 exec, exec, s[24:25]
	v_cmp_gt_u32_e64 s[18:19], 24, v8
	s_and_saveexec_b64 s[24:25], s[18:19]
	s_cbranch_execz .LBB161_459
.LBB161_1136:
	ds_read_b64 v[20:21], v18 offset:23296
	ds_read_b64 v[22:23], v19 offset:20840
	s_waitcnt lgkmcnt(0)
	v_mul_f32_e32 v24, v23, v21
	v_mul_f32_e32 v21, v22, v21
	v_fma_f32 v22, v22, v20, -v24
	v_fmac_f32_e32 v21, v23, v20
	v_add_f32_e32 v3, v3, v22
	v_add_f32_e32 v4, v4, v21
	s_or_b64 exec, exec, s[24:25]
	s_and_saveexec_b64 s[18:19], s[10:11]
	s_cbranch_execz .LBB161_460
.LBB161_1137:
	ds_read_b64 v[20:21], v18 offset:23808
	ds_read_b64 v[18:19], v19 offset:20848
	s_waitcnt lgkmcnt(0)
	v_mul_f32_e32 v22, v19, v21
	v_mul_f32_e32 v21, v18, v21
	v_fma_f32 v18, v18, v20, -v22
	v_fmac_f32_e32 v21, v19, v20
	v_add_f32_e32 v3, v3, v18
	v_add_f32_e32 v4, v4, v21
	s_or_b64 exec, exec, s[18:19]
	v_cmp_gt_u32_e64 s[18:19], 8, v8
	s_and_saveexec_b64 s[24:25], s[18:19]
	s_cbranch_execnz .LBB161_461
	s_branch .LBB161_462
.LBB161_1138:
	ds_read_b64 v[20:21], v18 offset:19200
	ds_read_b64 v[22:23], v19 offset:18728
	s_waitcnt lgkmcnt(0)
	v_mul_f32_e32 v24, v23, v21
	v_mul_f32_e32 v21, v22, v21
	v_fma_f32 v22, v22, v20, -v24
	v_fmac_f32_e32 v21, v23, v20
	v_add_f32_e32 v3, v3, v22
	v_add_f32_e32 v4, v4, v21
	s_or_b64 exec, exec, s[24:25]
	v_cmp_gt_u32_e64 s[18:19], 8, v8
	s_and_saveexec_b64 s[24:25], s[18:19]
	s_cbranch_execz .LBB161_518
.LBB161_1139:
	ds_read_b64 v[20:21], v18 offset:19712
	ds_read_b64 v[18:19], v19 offset:18736
	s_waitcnt lgkmcnt(0)
	v_mul_f32_e32 v22, v19, v21
	v_mul_f32_e32 v21, v18, v21
	v_fma_f32 v18, v18, v20, -v22
	v_fmac_f32_e32 v21, v19, v20
	v_add_f32_e32 v3, v3, v18
	v_add_f32_e32 v4, v4, v21
	s_or_b64 exec, exec, s[24:25]
	v_cmp_gt_u32_e64 s[18:19], 4, v8
	s_and_saveexec_b64 s[24:25], s[18:19]
	s_cbranch_execnz .LBB161_519
	s_branch .LBB161_520
.LBB161_1140:
	ds_read_b64 v[23:24], v21 offset:31232
	ds_read_b64 v[25:26], v22 offset:16872
	s_waitcnt lgkmcnt(0)
	v_mul_f32_e32 v27, v26, v24
	v_mul_f32_e32 v24, v25, v24
	v_fma_f32 v25, v25, v23, -v27
	v_fmac_f32_e32 v24, v26, v23
	v_add_f32_e32 v3, v3, v25
	v_add_f32_e32 v4, v4, v24
	s_or_b64 exec, exec, s[94:95]
	s_and_saveexec_b64 s[24:25], s[12:13]
	s_cbranch_execz .LBB161_616
.LBB161_1141:
	ds_read_b64 v[23:24], v21 offset:31744
	ds_read_b64 v[25:26], v22 offset:16880
	s_waitcnt lgkmcnt(0)
	v_mul_f32_e32 v27, v26, v24
	v_mul_f32_e32 v24, v25, v24
	v_fma_f32 v25, v25, v23, -v27
	v_fmac_f32_e32 v24, v26, v23
	v_add_f32_e32 v3, v3, v25
	v_add_f32_e32 v4, v4, v24
	s_or_b64 exec, exec, s[24:25]
	v_cmp_gt_u32_e64 s[24:25], 32, v8
	s_and_saveexec_b64 s[94:95], s[24:25]
	s_cbranch_execnz .LBB161_617
	s_branch .LBB161_618
.LBB161_1142:
	ds_read_b64 v[20:21], v18 offset:15040
	ds_read_b64 v[22:23], v19 offset:14568
	s_waitcnt lgkmcnt(0)
	v_mul_f32_e32 v24, v23, v21
	v_mul_f32_e32 v21, v22, v21
	v_fma_f32 v22, v22, v20, -v24
	v_fmac_f32_e32 v21, v23, v20
	v_add_f32_e32 v3, v3, v22
	v_add_f32_e32 v4, v4, v21
	s_or_b64 exec, exec, s[20:21]
	v_cmp_gt_u32_e64 s[16:17], 8, v8
	s_and_saveexec_b64 s[20:21], s[16:17]
	s_cbranch_execz .LBB161_654
.LBB161_1143:
	ds_read_b64 v[20:21], v18 offset:15552
	ds_read_b64 v[18:19], v19 offset:14576
	s_waitcnt lgkmcnt(0)
	v_mul_f32_e32 v22, v19, v21
	v_mul_f32_e32 v21, v18, v21
	v_fma_f32 v18, v18, v20, -v22
	v_fmac_f32_e32 v21, v19, v20
	v_add_f32_e32 v3, v3, v18
	v_add_f32_e32 v4, v4, v21
	s_or_b64 exec, exec, s[20:21]
	v_cmp_gt_u32_e64 s[16:17], 4, v8
	s_and_saveexec_b64 s[20:21], s[16:17]
	s_cbranch_execnz .LBB161_655
	s_branch .LBB161_656
.LBB161_1144:
	ds_read_b64 v[20:21], v18 offset:12928
	ds_read_b64 v[22:23], v19 offset:12488
	s_waitcnt lgkmcnt(0)
	v_mul_f32_e32 v24, v23, v21
	v_mul_f32_e32 v21, v22, v21
	v_fma_f32 v22, v22, v20, -v24
	v_fmac_f32_e32 v21, v23, v20
	v_add_f32_e32 v3, v3, v22
	v_add_f32_e32 v4, v4, v21
	s_or_b64 exec, exec, s[20:21]
	v_cmp_gt_u32_e64 s[16:17], 48, v8
	s_and_saveexec_b64 s[20:21], s[16:17]
	s_cbranch_execz .LBB161_696
.LBB161_1145:
	ds_read_b64 v[20:21], v18 offset:13440
	ds_read_b64 v[22:23], v19 offset:12496
	s_waitcnt lgkmcnt(0)
	v_mul_f32_e32 v24, v23, v21
	v_mul_f32_e32 v21, v22, v21
	v_fma_f32 v22, v22, v20, -v24
	v_fmac_f32_e32 v21, v23, v20
	v_add_f32_e32 v3, v3, v22
	v_add_f32_e32 v4, v4, v21
	s_or_b64 exec, exec, s[20:21]
	v_cmp_gt_u32_e64 s[16:17], 40, v8
	s_and_saveexec_b64 s[20:21], s[16:17]
	s_cbranch_execz .LBB161_697
.LBB161_1146:
	ds_read_b64 v[20:21], v18 offset:13952
	ds_read_b64 v[22:23], v19 offset:12504
	s_waitcnt lgkmcnt(0)
	v_mul_f32_e32 v24, v23, v21
	v_mul_f32_e32 v21, v22, v21
	v_fma_f32 v22, v22, v20, -v24
	v_fmac_f32_e32 v21, v23, v20
	v_add_f32_e32 v3, v3, v22
	v_add_f32_e32 v4, v4, v21
	s_or_b64 exec, exec, s[20:21]
	v_cmp_gt_u32_e64 s[16:17], 32, v8
	s_and_saveexec_b64 s[20:21], s[16:17]
	s_cbranch_execz .LBB161_698
.LBB161_1147:
	ds_read_b64 v[20:21], v18 offset:14464
	ds_read_b64 v[22:23], v19 offset:12512
	s_waitcnt lgkmcnt(0)
	v_mul_f32_e32 v24, v23, v21
	v_mul_f32_e32 v21, v22, v21
	v_fma_f32 v22, v22, v20, -v24
	v_fmac_f32_e32 v21, v23, v20
	v_add_f32_e32 v3, v3, v22
	v_add_f32_e32 v4, v4, v21
	s_or_b64 exec, exec, s[20:21]
	v_cmp_gt_u32_e64 s[16:17], 24, v8
	s_and_saveexec_b64 s[20:21], s[16:17]
	s_cbranch_execz .LBB161_699
.LBB161_1148:
	ds_read_b64 v[20:21], v18 offset:14976
	ds_read_b64 v[22:23], v19 offset:12520
	s_waitcnt lgkmcnt(0)
	v_mul_f32_e32 v24, v23, v21
	v_mul_f32_e32 v21, v22, v21
	v_fma_f32 v22, v22, v20, -v24
	v_fmac_f32_e32 v21, v23, v20
	v_add_f32_e32 v3, v3, v22
	v_add_f32_e32 v4, v4, v21
	s_or_b64 exec, exec, s[20:21]
	s_and_saveexec_b64 s[16:17], s[10:11]
	s_cbranch_execz .LBB161_700
.LBB161_1149:
	ds_read_b64 v[20:21], v18 offset:15488
	ds_read_b64 v[18:19], v19 offset:12528
	s_waitcnt lgkmcnt(0)
	v_mul_f32_e32 v22, v19, v21
	v_mul_f32_e32 v21, v18, v21
	v_fma_f32 v18, v18, v20, -v22
	v_fmac_f32_e32 v21, v19, v20
	v_add_f32_e32 v3, v3, v18
	v_add_f32_e32 v4, v4, v21
	s_or_b64 exec, exec, s[16:17]
	v_cmp_gt_u32_e64 s[16:17], 8, v8
	s_and_saveexec_b64 s[20:21], s[16:17]
	s_cbranch_execnz .LBB161_701
	s_branch .LBB161_702
.LBB161_1150:
	ds_read_b64 v[20:21], v18 offset:10880
	ds_read_b64 v[22:23], v19 offset:10408
	s_waitcnt lgkmcnt(0)
	v_mul_f32_e32 v24, v23, v21
	v_mul_f32_e32 v21, v22, v21
	v_fma_f32 v22, v22, v20, -v24
	v_fmac_f32_e32 v21, v23, v20
	v_add_f32_e32 v3, v3, v22
	v_add_f32_e32 v4, v4, v21
	s_or_b64 exec, exec, s[20:21]
	v_cmp_gt_u32_e64 s[16:17], 8, v8
	s_and_saveexec_b64 s[20:21], s[16:17]
	s_cbranch_execz .LBB161_758
.LBB161_1151:
	ds_read_b64 v[20:21], v18 offset:11392
	ds_read_b64 v[18:19], v19 offset:10416
	s_waitcnt lgkmcnt(0)
	v_mul_f32_e32 v22, v19, v21
	v_mul_f32_e32 v21, v18, v21
	v_fma_f32 v18, v18, v20, -v22
	v_fmac_f32_e32 v21, v19, v20
	v_add_f32_e32 v3, v3, v18
	v_add_f32_e32 v4, v4, v21
	s_or_b64 exec, exec, s[20:21]
	v_cmp_gt_u32_e64 s[16:17], 4, v8
	s_and_saveexec_b64 s[20:21], s[16:17]
	s_cbranch_execnz .LBB161_759
	s_branch .LBB161_760
.LBB161_1152:
	ds_read_b64 v[20:21], v18 offset:13824
	ds_read_b64 v[22:23], v19 offset:8408
	s_waitcnt lgkmcnt(0)
	v_mul_f32_e32 v24, v23, v21
	v_mul_f32_e32 v21, v22, v21
	v_fma_f32 v22, v22, v20, -v24
	v_fmac_f32_e32 v21, v23, v20
	v_add_f32_e32 v3, v3, v22
	v_add_f32_e32 v4, v4, v21
	s_or_b64 exec, exec, s[20:21]
	s_and_saveexec_b64 s[16:17], s[12:13]
	s_cbranch_execz .LBB161_820
.LBB161_1153:
	ds_read_b64 v[20:21], v18 offset:14336
	ds_read_b64 v[22:23], v19 offset:8416
	s_waitcnt lgkmcnt(0)
	v_mul_f32_e32 v24, v23, v21
	v_mul_f32_e32 v21, v22, v21
	v_fma_f32 v22, v22, v20, -v24
	v_fmac_f32_e32 v21, v23, v20
	v_add_f32_e32 v3, v3, v22
	v_add_f32_e32 v4, v4, v21
	s_or_b64 exec, exec, s[16:17]
	v_cmp_gt_u32_e64 s[16:17], 48, v8
	s_and_saveexec_b64 s[20:21], s[16:17]
	s_cbranch_execz .LBB161_821
.LBB161_1154:
	ds_read_b64 v[20:21], v18 offset:14848
	ds_read_b64 v[22:23], v19 offset:8424
	s_waitcnt lgkmcnt(0)
	v_mul_f32_e32 v24, v23, v21
	v_mul_f32_e32 v21, v22, v21
	v_fma_f32 v22, v22, v20, -v24
	v_fmac_f32_e32 v21, v23, v20
	v_add_f32_e32 v3, v3, v22
	v_add_f32_e32 v4, v4, v21
	s_or_b64 exec, exec, s[20:21]
	v_cmp_gt_u32_e64 s[16:17], 32, v8
	s_and_saveexec_b64 s[20:21], s[16:17]
	s_cbranch_execz .LBB161_822
.LBB161_1155:
	ds_read_b64 v[20:21], v18 offset:15360
	ds_read_b64 v[18:19], v19 offset:8432
	s_waitcnt lgkmcnt(0)
	v_mul_f32_e32 v22, v19, v21
	v_mul_f32_e32 v21, v18, v21
	v_fma_f32 v18, v18, v20, -v22
	v_fmac_f32_e32 v21, v19, v20
	v_add_f32_e32 v3, v3, v18
	v_add_f32_e32 v4, v4, v21
	s_or_b64 exec, exec, s[20:21]
	v_cmp_gt_u32_e64 s[16:17], 16, v8
	s_and_saveexec_b64 s[20:21], s[16:17]
	s_cbranch_execnz .LBB161_823
	s_branch .LBB161_824
.LBB161_1156:
	ds_read_b64 v[17:18], v15 offset:6720
	ds_read_b64 v[19:20], v16 offset:6248
	s_waitcnt lgkmcnt(0)
	v_mul_f32_e32 v21, v20, v18
	v_mul_f32_e32 v18, v19, v18
	v_fma_f32 v19, v19, v17, -v21
	v_fmac_f32_e32 v18, v20, v17
	v_add_f32_e32 v3, v3, v19
	v_add_f32_e32 v4, v4, v18
	s_or_b64 exec, exec, s[16:17]
	v_cmp_gt_u32_e64 s[14:15], 8, v8
	s_and_saveexec_b64 s[16:17], s[14:15]
	s_cbranch_execz .LBB161_912
.LBB161_1157:
	ds_read_b64 v[17:18], v15 offset:7232
	ds_read_b64 v[15:16], v16 offset:6256
	s_waitcnt lgkmcnt(0)
	v_mul_f32_e32 v19, v16, v18
	v_mul_f32_e32 v18, v15, v18
	v_fma_f32 v15, v15, v17, -v19
	v_fmac_f32_e32 v18, v16, v17
	v_add_f32_e32 v3, v3, v15
	v_add_f32_e32 v4, v4, v18
	s_or_b64 exec, exec, s[16:17]
	v_cmp_gt_u32_e64 s[14:15], 4, v8
	s_and_saveexec_b64 s[16:17], s[14:15]
	s_cbranch_execnz .LBB161_913
	s_branch .LBB161_914
.LBB161_1158:
	ds_read_b64 v[17:18], v15 offset:4608
	ds_read_b64 v[19:20], v16 offset:4168
	s_waitcnt lgkmcnt(0)
	v_mul_f32_e32 v21, v20, v18
	v_mul_f32_e32 v18, v19, v18
	v_fma_f32 v19, v19, v17, -v21
	v_fmac_f32_e32 v18, v20, v17
	v_add_f32_e32 v3, v3, v19
	v_add_f32_e32 v4, v4, v18
	s_or_b64 exec, exec, s[16:17]
	v_cmp_gt_u32_e64 s[14:15], 48, v8
	s_and_saveexec_b64 s[16:17], s[14:15]
	s_cbranch_execz .LBB161_954
.LBB161_1159:
	ds_read_b64 v[17:18], v15 offset:5120
	ds_read_b64 v[19:20], v16 offset:4176
	s_waitcnt lgkmcnt(0)
	v_mul_f32_e32 v21, v20, v18
	v_mul_f32_e32 v18, v19, v18
	v_fma_f32 v19, v19, v17, -v21
	v_fmac_f32_e32 v18, v20, v17
	v_add_f32_e32 v3, v3, v19
	v_add_f32_e32 v4, v4, v18
	s_or_b64 exec, exec, s[16:17]
	v_cmp_gt_u32_e64 s[14:15], 40, v8
	s_and_saveexec_b64 s[16:17], s[14:15]
	s_cbranch_execz .LBB161_955
.LBB161_1160:
	ds_read_b64 v[17:18], v15 offset:5632
	ds_read_b64 v[19:20], v16 offset:4184
	s_waitcnt lgkmcnt(0)
	v_mul_f32_e32 v21, v20, v18
	v_mul_f32_e32 v18, v19, v18
	v_fma_f32 v19, v19, v17, -v21
	v_fmac_f32_e32 v18, v20, v17
	v_add_f32_e32 v3, v3, v19
	v_add_f32_e32 v4, v4, v18
	s_or_b64 exec, exec, s[16:17]
	v_cmp_gt_u32_e64 s[14:15], 32, v8
	s_and_saveexec_b64 s[16:17], s[14:15]
	s_cbranch_execz .LBB161_956
.LBB161_1161:
	ds_read_b64 v[17:18], v15 offset:6144
	ds_read_b64 v[19:20], v16 offset:4192
	s_waitcnt lgkmcnt(0)
	v_mul_f32_e32 v21, v20, v18
	v_mul_f32_e32 v18, v19, v18
	v_fma_f32 v19, v19, v17, -v21
	v_fmac_f32_e32 v18, v20, v17
	v_add_f32_e32 v3, v3, v19
	v_add_f32_e32 v4, v4, v18
	s_or_b64 exec, exec, s[16:17]
	v_cmp_gt_u32_e64 s[14:15], 24, v8
	s_and_saveexec_b64 s[16:17], s[14:15]
	s_cbranch_execz .LBB161_957
.LBB161_1162:
	ds_read_b64 v[17:18], v15 offset:6656
	ds_read_b64 v[19:20], v16 offset:4200
	s_waitcnt lgkmcnt(0)
	v_mul_f32_e32 v21, v20, v18
	v_mul_f32_e32 v18, v19, v18
	v_fma_f32 v19, v19, v17, -v21
	v_fmac_f32_e32 v18, v20, v17
	v_add_f32_e32 v3, v3, v19
	v_add_f32_e32 v4, v4, v18
	s_or_b64 exec, exec, s[16:17]
	s_and_saveexec_b64 s[14:15], s[10:11]
	s_cbranch_execz .LBB161_958
.LBB161_1163:
	ds_read_b64 v[17:18], v15 offset:7168
	ds_read_b64 v[15:16], v16 offset:4208
	s_waitcnt lgkmcnt(0)
	v_mul_f32_e32 v19, v16, v18
	v_mul_f32_e32 v18, v15, v18
	v_fma_f32 v15, v15, v17, -v19
	v_fmac_f32_e32 v18, v16, v17
	v_add_f32_e32 v3, v3, v15
	v_add_f32_e32 v4, v4, v18
	s_or_b64 exec, exec, s[14:15]
	v_cmp_gt_u32_e64 s[14:15], 8, v8
	s_and_saveexec_b64 s[16:17], s[14:15]
	s_cbranch_execnz .LBB161_959
	s_branch .LBB161_960
.LBB161_1164:
	ds_read_b64 v[14:15], v12 offset:2560
	ds_read_b64 v[16:17], v13 offset:2088
	s_waitcnt lgkmcnt(0)
	v_mul_f32_e32 v18, v17, v15
	v_mul_f32_e32 v15, v16, v15
	v_fma_f32 v16, v16, v14, -v18
	v_fmac_f32_e32 v15, v17, v14
	v_add_f32_e32 v3, v3, v16
	v_add_f32_e32 v4, v4, v15
	s_or_b64 exec, exec, s[14:15]
	v_cmp_gt_u32_e64 s[12:13], 8, v8
	s_and_saveexec_b64 s[14:15], s[12:13]
	s_cbranch_execz .LBB161_1016
.LBB161_1165:
	ds_read_b64 v[14:15], v12 offset:3072
	ds_read_b64 v[12:13], v13 offset:2096
	s_waitcnt lgkmcnt(0)
	v_mul_f32_e32 v16, v13, v15
	v_mul_f32_e32 v15, v12, v15
	v_fma_f32 v12, v12, v14, -v16
	v_fmac_f32_e32 v15, v13, v14
	v_add_f32_e32 v3, v3, v12
	v_add_f32_e32 v4, v4, v15
	s_or_b64 exec, exec, s[14:15]
	v_cmp_gt_u32_e64 s[12:13], 4, v8
	s_and_saveexec_b64 s[14:15], s[12:13]
	s_cbranch_execnz .LBB161_1017
	s_branch .LBB161_1018
	.section	.rodata,"a",@progbits
	.p2align	6, 0x0
	.amdhsa_kernel _ZL19rocblas_trsv_deviceILi64ELi16ELb0ELb1ELb0ELb0E19rocblas_complex_numIfES1_PKPKS1_PKPS1_EviT7_lllT6_T8_lllPii
		.amdhsa_group_segment_fixed_size 41480
		.amdhsa_private_segment_fixed_size 48
		.amdhsa_kernarg_size 352
		.amdhsa_user_sgpr_count 8
		.amdhsa_user_sgpr_private_segment_buffer 1
		.amdhsa_user_sgpr_dispatch_ptr 0
		.amdhsa_user_sgpr_queue_ptr 0
		.amdhsa_user_sgpr_kernarg_segment_ptr 1
		.amdhsa_user_sgpr_dispatch_id 0
		.amdhsa_user_sgpr_flat_scratch_init 1
		.amdhsa_user_sgpr_private_segment_size 0
		.amdhsa_uses_dynamic_stack 0
		.amdhsa_system_sgpr_private_segment_wavefront_offset 1
		.amdhsa_system_sgpr_workgroup_id_x 1
		.amdhsa_system_sgpr_workgroup_id_y 0
		.amdhsa_system_sgpr_workgroup_id_z 1
		.amdhsa_system_sgpr_workgroup_info 0
		.amdhsa_system_vgpr_workitem_id 1
		.amdhsa_next_free_vgpr 49
		.amdhsa_next_free_sgpr 100
		.amdhsa_reserve_vcc 1
		.amdhsa_reserve_flat_scratch 1
		.amdhsa_float_round_mode_32 0
		.amdhsa_float_round_mode_16_64 0
		.amdhsa_float_denorm_mode_32 3
		.amdhsa_float_denorm_mode_16_64 3
		.amdhsa_dx10_clamp 1
		.amdhsa_ieee_mode 1
		.amdhsa_fp16_overflow 0
		.amdhsa_exception_fp_ieee_invalid_op 0
		.amdhsa_exception_fp_denorm_src 0
		.amdhsa_exception_fp_ieee_div_zero 0
		.amdhsa_exception_fp_ieee_overflow 0
		.amdhsa_exception_fp_ieee_underflow 0
		.amdhsa_exception_fp_ieee_inexact 0
		.amdhsa_exception_int_div_zero 0
	.end_amdhsa_kernel
	.section	.text._ZL19rocblas_trsv_deviceILi64ELi16ELb0ELb1ELb0ELb0E19rocblas_complex_numIfES1_PKPKS1_PKPS1_EviT7_lllT6_T8_lllPii,"axG",@progbits,_ZL19rocblas_trsv_deviceILi64ELi16ELb0ELb1ELb0ELb0E19rocblas_complex_numIfES1_PKPKS1_PKPS1_EviT7_lllT6_T8_lllPii,comdat
.Lfunc_end161:
	.size	_ZL19rocblas_trsv_deviceILi64ELi16ELb0ELb1ELb0ELb0E19rocblas_complex_numIfES1_PKPKS1_PKPS1_EviT7_lllT6_T8_lllPii, .Lfunc_end161-_ZL19rocblas_trsv_deviceILi64ELi16ELb0ELb1ELb0ELb0E19rocblas_complex_numIfES1_PKPKS1_PKPS1_EviT7_lllT6_T8_lllPii
                                        ; -- End function
	.set _ZL19rocblas_trsv_deviceILi64ELi16ELb0ELb1ELb0ELb0E19rocblas_complex_numIfES1_PKPKS1_PKPS1_EviT7_lllT6_T8_lllPii.num_vgpr, 31
	.set _ZL19rocblas_trsv_deviceILi64ELi16ELb0ELb1ELb0ELb0E19rocblas_complex_numIfES1_PKPKS1_PKPS1_EviT7_lllT6_T8_lllPii.num_agpr, 0
	.set _ZL19rocblas_trsv_deviceILi64ELi16ELb0ELb1ELb0ELb0E19rocblas_complex_numIfES1_PKPKS1_PKPS1_EviT7_lllT6_T8_lllPii.numbered_sgpr, 100
	.set _ZL19rocblas_trsv_deviceILi64ELi16ELb0ELb1ELb0ELb0E19rocblas_complex_numIfES1_PKPKS1_PKPS1_EviT7_lllT6_T8_lllPii.num_named_barrier, 0
	.set _ZL19rocblas_trsv_deviceILi64ELi16ELb0ELb1ELb0ELb0E19rocblas_complex_numIfES1_PKPKS1_PKPS1_EviT7_lllT6_T8_lllPii.private_seg_size, 48
	.set _ZL19rocblas_trsv_deviceILi64ELi16ELb0ELb1ELb0ELb0E19rocblas_complex_numIfES1_PKPKS1_PKPS1_EviT7_lllT6_T8_lllPii.uses_vcc, 1
	.set _ZL19rocblas_trsv_deviceILi64ELi16ELb0ELb1ELb0ELb0E19rocblas_complex_numIfES1_PKPKS1_PKPS1_EviT7_lllT6_T8_lllPii.uses_flat_scratch, 1
	.set _ZL19rocblas_trsv_deviceILi64ELi16ELb0ELb1ELb0ELb0E19rocblas_complex_numIfES1_PKPKS1_PKPS1_EviT7_lllT6_T8_lllPii.has_dyn_sized_stack, 0
	.set _ZL19rocblas_trsv_deviceILi64ELi16ELb0ELb1ELb0ELb0E19rocblas_complex_numIfES1_PKPKS1_PKPS1_EviT7_lllT6_T8_lllPii.has_recursion, 0
	.set _ZL19rocblas_trsv_deviceILi64ELi16ELb0ELb1ELb0ELb0E19rocblas_complex_numIfES1_PKPKS1_PKPS1_EviT7_lllT6_T8_lllPii.has_indirect_call, 0
	.section	.AMDGPU.csdata,"",@progbits
; Kernel info:
; codeLenInByte = 50400
; TotalNumSgprs: 106
; NumVgprs: 31
; ScratchSize: 48
; MemoryBound: 1
; FloatMode: 240
; IeeeMode: 1
; LDSByteSize: 41480 bytes/workgroup (compile time only)
; SGPRBlocks: 13
; VGPRBlocks: 12
; NumSGPRsForWavesPerEU: 106
; NumVGPRsForWavesPerEU: 49
; Occupancy: 4
; WaveLimiterHint : 1
; COMPUTE_PGM_RSRC2:SCRATCH_EN: 1
; COMPUTE_PGM_RSRC2:USER_SGPR: 8
; COMPUTE_PGM_RSRC2:TRAP_HANDLER: 0
; COMPUTE_PGM_RSRC2:TGID_X_EN: 1
; COMPUTE_PGM_RSRC2:TGID_Y_EN: 0
; COMPUTE_PGM_RSRC2:TGID_Z_EN: 1
; COMPUTE_PGM_RSRC2:TIDIG_COMP_CNT: 1
	.section	.text._ZL19rocblas_trsv_deviceILi64ELi16ELb0ELb1ELb1ELb0E19rocblas_complex_numIfES1_PKPKS1_PKPS1_EviT7_lllT6_T8_lllPii,"axG",@progbits,_ZL19rocblas_trsv_deviceILi64ELi16ELb0ELb1ELb1ELb0E19rocblas_complex_numIfES1_PKPKS1_PKPS1_EviT7_lllT6_T8_lllPii,comdat
	.globl	_ZL19rocblas_trsv_deviceILi64ELi16ELb0ELb1ELb1ELb0E19rocblas_complex_numIfES1_PKPKS1_PKPS1_EviT7_lllT6_T8_lllPii ; -- Begin function _ZL19rocblas_trsv_deviceILi64ELi16ELb0ELb1ELb1ELb0E19rocblas_complex_numIfES1_PKPKS1_PKPS1_EviT7_lllT6_T8_lllPii
	.p2align	8
	.type	_ZL19rocblas_trsv_deviceILi64ELi16ELb0ELb1ELb1ELb0E19rocblas_complex_numIfES1_PKPKS1_PKPS1_EviT7_lllT6_T8_lllPii,@function
_ZL19rocblas_trsv_deviceILi64ELi16ELb0ELb1ELb1ELb0E19rocblas_complex_numIfES1_PKPKS1_PKPS1_EviT7_lllT6_T8_lllPii: ; @_ZL19rocblas_trsv_deviceILi64ELi16ELb0ELb1ELb1ELb0E19rocblas_complex_numIfES1_PKPKS1_PKPS1_EviT7_lllT6_T8_lllPii
; %bb.0:
	s_mov_b32 s24, s7
	s_load_dwordx4 s[0:3], s[4:5], 0x8
	s_load_dword s7, s[4:5], 0x0
	s_mov_b32 s25, 0
	s_lshl_b64 s[8:9], s[24:25], 3
	v_mov_b32_e32 v2, v1
	s_waitcnt lgkmcnt(0)
	s_add_u32 s0, s0, s8
	s_addc_u32 s1, s1, s9
	s_load_dwordx2 s[10:11], s[0:1], 0x0
	s_load_dwordx2 s[30:31], s[4:5], 0x18
	;; [unrolled: 1-line block ×3, first 2 shown]
	s_load_dwordx4 s[12:15], s[4:5], 0x30
	s_load_dwordx2 s[26:27], s[4:5], 0x40
	s_lshl_b64 s[0:1], s[2:3], 3
	s_waitcnt lgkmcnt(0)
	s_add_u32 s93, s10, s0
	s_addc_u32 s94, s11, s1
	s_add_u32 s0, s12, s8
	s_addc_u32 s1, s13, s9
	s_load_dwordx2 s[20:21], s[0:1], 0x0
	s_load_dword s95, s[4:5], 0x6c
	s_cmp_eq_u32 s6, 0
	s_cbranch_scc1 .LBB162_10
; %bb.1:
	s_lshl_b32 s33, s6, 6
	v_add_u32_e32 v1, s33, v0
	v_ashrrev_i32_e32 v3, 31, v1
	v_mul_lo_u32 v5, s30, v3
	v_mul_lo_u32 v6, s31, v1
	v_mad_u64_u32 v[3:4], s[0:1], s30, v1, 0
	v_add_u32_e32 v7, s33, v2
	v_subrev_u32_e32 v7, 64, v7
	v_add3_u32 v4, v4, v5, v6
	v_lshlrev_b64 v[3:4], 3, v[3:4]
	v_ashrrev_i32_e32 v8, 31, v7
	v_cmp_gt_i32_e32 vcc, s7, v1
	v_mov_b32_e32 v1, s94
	v_add_co_u32_e64 v5, s[0:1], s93, v3
	v_addc_co_u32_e64 v1, s[0:1], v1, v4, s[0:1]
	v_lshlrev_b64 v[3:4], 3, v[7:8]
	v_mov_b32_e32 v6, 0
	v_add_co_u32_e64 v11, s[0:1], v5, v3
	v_addc_co_u32_e64 v12, s[0:1], v1, v4, s[0:1]
	v_cmp_gt_i32_e64 s[0:1], s7, v7
	s_and_b64 s[2:3], s[0:1], vcc
	v_mov_b32_e32 v3, 0
	v_mov_b32_e32 v5, 0
	s_waitcnt lgkmcnt(0)
	s_barrier
	s_and_saveexec_b64 s[0:1], s[2:3]
	s_cbranch_execz .LBB162_3
; %bb.2:
	flat_load_dwordx2 v[5:6], v[11:12]
.LBB162_3:
	s_or_b64 exec, exec, s[0:1]
	v_add_u32_e32 v1, 16, v7
	v_cmp_gt_i32_e64 s[0:1], s7, v1
	s_and_b64 s[2:3], s[0:1], vcc
	v_mov_b32_e32 v4, 0
	s_waitcnt vmcnt(0) lgkmcnt(0)
	s_barrier
	s_and_saveexec_b64 s[0:1], s[2:3]
	s_cbranch_execz .LBB162_5
; %bb.4:
	flat_load_dwordx2 v[3:4], v[11:12] offset:128
.LBB162_5:
	s_or_b64 exec, exec, s[0:1]
	v_add_u32_e32 v1, 32, v7
	v_cmp_gt_i32_e64 s[0:1], s7, v1
	s_and_b64 s[2:3], s[0:1], vcc
	v_mov_b32_e32 v8, 0
	v_mov_b32_e32 v9, 0
	;; [unrolled: 1-line block ×3, first 2 shown]
	s_waitcnt vmcnt(0) lgkmcnt(0)
	s_barrier
	s_and_saveexec_b64 s[0:1], s[2:3]
	s_cbranch_execz .LBB162_7
; %bb.6:
	flat_load_dwordx2 v[9:10], v[11:12] offset:256
.LBB162_7:
	s_or_b64 exec, exec, s[0:1]
	v_add_u32_e32 v1, 48, v7
	v_cmp_gt_i32_e64 s[0:1], s7, v1
	s_and_b64 s[2:3], s[0:1], vcc
	v_mov_b32_e32 v7, 0
	s_waitcnt vmcnt(0) lgkmcnt(0)
	s_barrier
	s_and_saveexec_b64 s[0:1], s[2:3]
	s_cbranch_execz .LBB162_9
; %bb.8:
	flat_load_dwordx2 v[7:8], v[11:12] offset:384
.LBB162_9:
	s_or_b64 exec, exec, s[0:1]
	s_branch .LBB162_11
.LBB162_10:
                                        ; implicit-def: $vgpr8
                                        ; implicit-def: $vgpr10
                                        ; implicit-def: $vgpr4
                                        ; implicit-def: $vgpr6
	s_mov_b32 s33, s25
.LBB162_11:
	s_ashr_i32 s0, s7, 31
	s_lshr_b32 s0, s0, 26
	s_add_i32 s0, s7, s0
	s_andn2_b32 s0, s0, 63
	s_sub_i32 s92, s7, s0
	s_add_i32 s0, s7, -1
	s_ashr_i32 s1, s0, 31
	s_lshr_b32 s1, s1, 26
	s_add_i32 s0, s0, s1
	s_ashr_i32 s0, s0, 6
	s_cmp_eq_u32 s0, s6
	s_cselect_b64 s[0:1], -1, 0
	s_cmp_lg_u32 s92, 0
	s_cselect_b64 s[2:3], -1, 0
	s_and_b64 s[28:29], s[2:3], s[0:1]
	s_cmp_lt_i32 s6, 5
	s_cselect_b64 s[2:3], -1, 0
	s_or_b64 s[0:1], s[2:3], s[28:29]
	s_ashr_i32 s36, s33, 31
	s_add_u32 s10, s30, 1
	v_mov_b32_e32 v1, 0
	v_mov_b32_e32 v11, s33
	v_mad_u64_u32 v[11:12], s[8:9], s10, v11, v[0:1]
	s_addc_u32 s11, s31, 0
	s_mul_i32 s8, s10, s36
	s_mul_i32 s11, s11, s33
	v_lshlrev_b32_e32 v17, 6, v0
	s_add_i32 s8, s8, s11
	s_mov_b64 s[12:13], -1
	v_add_u32_e32 v12, s8, v12
	s_and_b64 vcc, exec, s[28:29]
	v_add_u32_e32 v18, v2, v17
	v_cmp_le_u32_e64 s[8:9], v2, v0
	v_lshl_add_u32 v1, v2, 6, v0
	s_cbranch_vccnz .LBB162_69
; %bb.12:
	v_mad_u64_u32 v[13:14], s[10:11], s30, v2, v[11:12]
	v_cndmask_b32_e64 v19, v1, v18, s[2:3]
	v_mad_u64_u32 v[14:15], s[10:11], s31, v2, v[14:15]
	s_and_saveexec_b64 s[2:3], s[8:9]
	s_xor_b64 s[2:3], exec, s[2:3]
	s_cbranch_execz .LBB162_24
; %bb.13:
	v_cmp_ne_u32_e32 vcc, v0, v2
	s_and_saveexec_b64 s[8:9], vcc
	s_xor_b64 s[8:9], exec, s[8:9]
	s_cbranch_execz .LBB162_17
; %bb.14:
	v_or_b32_e32 v13, v2, v0
	v_cmp_gt_u32_e32 vcc, 64, v13
	s_and_saveexec_b64 s[10:11], vcc
; %bb.15:
	v_mov_b32_e32 v13, 0
	v_lshlrev_b32_e32 v15, 3, v19
	v_mov_b32_e32 v14, v13
	ds_write_b64 v15, v[13:14]
; %bb.16:
	s_or_b64 exec, exec, s[10:11]
                                        ; implicit-def: $vgpr19
                                        ; implicit-def: $vgpr13_vgpr14
.LBB162_17:
	s_andn2_saveexec_b64 s[8:9], s[8:9]
	s_cbranch_execz .LBB162_23
; %bb.18:
	v_lshlrev_b64 v[13:14], 3, v[13:14]
	v_mov_b32_e32 v15, s94
	v_add_co_u32_e32 v13, vcc, s93, v13
	v_addc_co_u32_e32 v14, vcc, v15, v14, vcc
	flat_load_dwordx2 v[13:14], v[13:14]
                                        ; implicit-def: $vgpr15
	s_waitcnt vmcnt(0) lgkmcnt(0)
	v_cmp_ngt_f32_e64 s[10:11], |v13|, |v14|
	s_and_saveexec_b64 s[12:13], s[10:11]
	s_xor_b64 s[10:11], exec, s[12:13]
	s_cbranch_execz .LBB162_20
; %bb.19:
	v_div_scale_f32 v15, s[12:13], -v14, -v14, v13
	v_div_scale_f32 v16, vcc, v13, -v14, v13
	v_rcp_f32_e32 v20, v15
	v_fma_f32 v21, -v15, v20, 1.0
	v_fmac_f32_e32 v20, v21, v20
	v_mul_f32_e32 v21, v16, v20
	v_fma_f32 v22, -v15, v21, v16
	v_fmac_f32_e32 v21, v22, v20
	v_fma_f32 v15, -v15, v21, v16
	v_div_fmas_f32 v15, v15, v20, v21
	v_div_fixup_f32 v15, v15, -v14, v13
	v_fma_f32 v13, v13, v15, -v14
	v_div_scale_f32 v14, s[12:13], v13, v13, 1.0
	v_div_scale_f32 v16, vcc, 1.0, v13, 1.0
	v_rcp_f32_e32 v20, v14
	v_fma_f32 v21, -v14, v20, 1.0
	v_fmac_f32_e32 v20, v21, v20
	v_mul_f32_e32 v21, v16, v20
	v_fma_f32 v22, -v14, v21, v16
	v_fmac_f32_e32 v21, v22, v20
	v_fma_f32 v14, -v14, v21, v16
	v_div_fmas_f32 v14, v14, v20, v21
	v_div_fixup_f32 v13, v14, v13, 1.0
	v_mul_f32_e32 v15, v15, v13
	v_xor_b32_e32 v16, 0x80000000, v13
                                        ; implicit-def: $vgpr13_vgpr14
.LBB162_20:
	s_andn2_saveexec_b64 s[10:11], s[10:11]
	s_cbranch_execz .LBB162_22
; %bb.21:
	v_div_scale_f32 v15, s[12:13], v13, v13, -v14
	v_div_scale_f32 v16, vcc, -v14, v13, -v14
	v_rcp_f32_e32 v20, v15
	v_fma_f32 v21, -v15, v20, 1.0
	v_fmac_f32_e32 v20, v21, v20
	v_mul_f32_e32 v21, v16, v20
	v_fma_f32 v22, -v15, v21, v16
	v_fmac_f32_e32 v21, v22, v20
	v_fma_f32 v15, -v15, v21, v16
	v_div_fmas_f32 v15, v15, v20, v21
	v_div_fixup_f32 v16, v15, v13, -v14
	v_fma_f32 v13, -v14, v16, v13
	v_div_scale_f32 v14, s[12:13], v13, v13, 1.0
	v_div_scale_f32 v15, vcc, 1.0, v13, 1.0
	v_rcp_f32_e32 v20, v14
	v_fma_f32 v21, -v14, v20, 1.0
	v_fmac_f32_e32 v20, v21, v20
	v_mul_f32_e32 v21, v15, v20
	v_fma_f32 v22, -v14, v21, v15
	v_fmac_f32_e32 v21, v22, v20
	v_fma_f32 v14, -v14, v21, v15
	v_div_fmas_f32 v14, v14, v20, v21
	v_div_fixup_f32 v15, v14, v13, 1.0
	v_mul_f32_e64 v16, v16, -v15
.LBB162_22:
	s_or_b64 exec, exec, s[10:11]
	v_lshlrev_b32_e32 v13, 3, v19
	ds_write_b64 v13, v[15:16]
.LBB162_23:
	s_or_b64 exec, exec, s[8:9]
                                        ; implicit-def: $vgpr13_vgpr14
                                        ; implicit-def: $vgpr19
.LBB162_24:
	s_andn2_saveexec_b64 s[2:3], s[2:3]
	s_cbranch_execz .LBB162_26
; %bb.25:
	v_lshlrev_b64 v[13:14], 3, v[13:14]
	v_mov_b32_e32 v15, s94
	v_add_co_u32_e32 v13, vcc, s93, v13
	v_addc_co_u32_e32 v14, vcc, v15, v14, vcc
	flat_load_dwordx2 v[13:14], v[13:14]
	v_lshlrev_b32_e32 v15, 3, v19
	s_waitcnt vmcnt(0) lgkmcnt(0)
	v_xor_b32_e32 v13, 0x80000000, v13
	ds_write_b64 v15, v[13:14]
.LBB162_26:
	s_or_b64 exec, exec, s[2:3]
	v_add_u32_e32 v15, 16, v2
	v_mad_u64_u32 v[13:14], s[2:3], s30, v15, v[11:12]
	v_lshl_add_u32 v16, v15, 6, v0
	v_cmp_le_u32_e32 vcc, v15, v0
	v_mad_u64_u32 v[20:21], s[2:3], s31, v15, v[14:15]
	v_add_u32_e32 v14, v15, v17
	v_cndmask_b32_e64 v19, v16, v14, s[0:1]
	v_mov_b32_e32 v14, v20
	s_and_saveexec_b64 s[2:3], vcc
	s_xor_b64 s[2:3], exec, s[2:3]
	s_cbranch_execz .LBB162_38
; %bb.27:
	v_cmp_ne_u32_e32 vcc, v0, v15
	s_and_saveexec_b64 s[8:9], vcc
	s_xor_b64 s[8:9], exec, s[8:9]
	s_cbranch_execz .LBB162_31
; %bb.28:
	v_or_b32_e32 v13, v15, v0
	v_cmp_gt_u32_e32 vcc, 64, v13
	s_and_saveexec_b64 s[10:11], vcc
; %bb.29:
	v_mov_b32_e32 v13, 0
	v_lshlrev_b32_e32 v15, 3, v19
	v_mov_b32_e32 v14, v13
	ds_write_b64 v15, v[13:14]
; %bb.30:
	s_or_b64 exec, exec, s[10:11]
                                        ; implicit-def: $vgpr19
                                        ; implicit-def: $vgpr13_vgpr14
.LBB162_31:
	s_andn2_saveexec_b64 s[8:9], s[8:9]
	s_cbranch_execz .LBB162_37
; %bb.32:
	v_lshlrev_b64 v[13:14], 3, v[13:14]
	v_mov_b32_e32 v15, s94
	v_add_co_u32_e32 v13, vcc, s93, v13
	v_addc_co_u32_e32 v14, vcc, v15, v14, vcc
	flat_load_dwordx2 v[13:14], v[13:14]
                                        ; implicit-def: $vgpr15
	s_waitcnt vmcnt(0) lgkmcnt(0)
	v_cmp_ngt_f32_e64 s[10:11], |v13|, |v14|
	s_and_saveexec_b64 s[12:13], s[10:11]
	s_xor_b64 s[10:11], exec, s[12:13]
	s_cbranch_execz .LBB162_34
; %bb.33:
	v_div_scale_f32 v15, s[12:13], -v14, -v14, v13
	v_div_scale_f32 v16, vcc, v13, -v14, v13
	v_rcp_f32_e32 v20, v15
	v_fma_f32 v21, -v15, v20, 1.0
	v_fmac_f32_e32 v20, v21, v20
	v_mul_f32_e32 v21, v16, v20
	v_fma_f32 v22, -v15, v21, v16
	v_fmac_f32_e32 v21, v22, v20
	v_fma_f32 v15, -v15, v21, v16
	v_div_fmas_f32 v15, v15, v20, v21
	v_div_fixup_f32 v15, v15, -v14, v13
	v_fma_f32 v13, v13, v15, -v14
	v_div_scale_f32 v14, s[12:13], v13, v13, 1.0
	v_div_scale_f32 v16, vcc, 1.0, v13, 1.0
	v_rcp_f32_e32 v20, v14
	v_fma_f32 v21, -v14, v20, 1.0
	v_fmac_f32_e32 v20, v21, v20
	v_mul_f32_e32 v21, v16, v20
	v_fma_f32 v22, -v14, v21, v16
	v_fmac_f32_e32 v21, v22, v20
	v_fma_f32 v14, -v14, v21, v16
	v_div_fmas_f32 v14, v14, v20, v21
	v_div_fixup_f32 v13, v14, v13, 1.0
	v_mul_f32_e32 v15, v15, v13
	v_xor_b32_e32 v16, 0x80000000, v13
                                        ; implicit-def: $vgpr13_vgpr14
.LBB162_34:
	s_andn2_saveexec_b64 s[10:11], s[10:11]
	s_cbranch_execz .LBB162_36
; %bb.35:
	v_div_scale_f32 v15, s[12:13], v13, v13, -v14
	v_div_scale_f32 v16, vcc, -v14, v13, -v14
	v_rcp_f32_e32 v20, v15
	v_fma_f32 v21, -v15, v20, 1.0
	v_fmac_f32_e32 v20, v21, v20
	v_mul_f32_e32 v21, v16, v20
	v_fma_f32 v22, -v15, v21, v16
	v_fmac_f32_e32 v21, v22, v20
	v_fma_f32 v15, -v15, v21, v16
	v_div_fmas_f32 v15, v15, v20, v21
	v_div_fixup_f32 v16, v15, v13, -v14
	v_fma_f32 v13, -v14, v16, v13
	v_div_scale_f32 v14, s[12:13], v13, v13, 1.0
	v_div_scale_f32 v15, vcc, 1.0, v13, 1.0
	v_rcp_f32_e32 v20, v14
	v_fma_f32 v21, -v14, v20, 1.0
	v_fmac_f32_e32 v20, v21, v20
	v_mul_f32_e32 v21, v15, v20
	v_fma_f32 v22, -v14, v21, v15
	v_fmac_f32_e32 v21, v22, v20
	v_fma_f32 v14, -v14, v21, v15
	v_div_fmas_f32 v14, v14, v20, v21
	v_div_fixup_f32 v15, v14, v13, 1.0
	v_mul_f32_e64 v16, v16, -v15
.LBB162_36:
	s_or_b64 exec, exec, s[10:11]
	v_lshlrev_b32_e32 v13, 3, v19
	ds_write_b64 v13, v[15:16]
.LBB162_37:
	s_or_b64 exec, exec, s[8:9]
                                        ; implicit-def: $vgpr13_vgpr14
                                        ; implicit-def: $vgpr19
.LBB162_38:
	s_andn2_saveexec_b64 s[2:3], s[2:3]
	s_cbranch_execz .LBB162_40
; %bb.39:
	v_lshlrev_b64 v[13:14], 3, v[13:14]
	v_mov_b32_e32 v15, s94
	v_add_co_u32_e32 v13, vcc, s93, v13
	v_addc_co_u32_e32 v14, vcc, v15, v14, vcc
	flat_load_dwordx2 v[13:14], v[13:14]
	v_lshlrev_b32_e32 v15, 3, v19
	s_waitcnt vmcnt(0) lgkmcnt(0)
	v_xor_b32_e32 v13, 0x80000000, v13
	ds_write_b64 v15, v[13:14]
.LBB162_40:
	s_or_b64 exec, exec, s[2:3]
	v_add_u32_e32 v15, 32, v2
	v_mad_u64_u32 v[13:14], s[2:3], s30, v15, v[11:12]
	v_lshl_add_u32 v16, v15, 6, v0
	v_cmp_le_u32_e32 vcc, v15, v0
	v_mad_u64_u32 v[20:21], s[2:3], s31, v15, v[14:15]
	v_add_u32_e32 v14, v15, v17
	v_cndmask_b32_e64 v19, v16, v14, s[0:1]
	v_mov_b32_e32 v14, v20
	s_and_saveexec_b64 s[2:3], vcc
	s_xor_b64 s[2:3], exec, s[2:3]
	s_cbranch_execz .LBB162_52
; %bb.41:
	v_cmp_ne_u32_e32 vcc, v0, v15
	s_and_saveexec_b64 s[8:9], vcc
	s_xor_b64 s[8:9], exec, s[8:9]
	s_cbranch_execz .LBB162_45
; %bb.42:
	v_or_b32_e32 v13, v15, v0
	v_cmp_gt_u32_e32 vcc, 64, v13
	s_and_saveexec_b64 s[10:11], vcc
; %bb.43:
	v_mov_b32_e32 v13, 0
	v_lshlrev_b32_e32 v15, 3, v19
	v_mov_b32_e32 v14, v13
	ds_write_b64 v15, v[13:14]
; %bb.44:
	s_or_b64 exec, exec, s[10:11]
                                        ; implicit-def: $vgpr19
                                        ; implicit-def: $vgpr13_vgpr14
.LBB162_45:
	s_andn2_saveexec_b64 s[8:9], s[8:9]
	s_cbranch_execz .LBB162_51
; %bb.46:
	v_lshlrev_b64 v[13:14], 3, v[13:14]
	v_mov_b32_e32 v15, s94
	v_add_co_u32_e32 v13, vcc, s93, v13
	v_addc_co_u32_e32 v14, vcc, v15, v14, vcc
	flat_load_dwordx2 v[13:14], v[13:14]
                                        ; implicit-def: $vgpr15
	s_waitcnt vmcnt(0) lgkmcnt(0)
	v_cmp_ngt_f32_e64 s[10:11], |v13|, |v14|
	s_and_saveexec_b64 s[12:13], s[10:11]
	s_xor_b64 s[10:11], exec, s[12:13]
	s_cbranch_execz .LBB162_48
; %bb.47:
	v_div_scale_f32 v15, s[12:13], -v14, -v14, v13
	v_div_scale_f32 v16, vcc, v13, -v14, v13
	v_rcp_f32_e32 v20, v15
	v_fma_f32 v21, -v15, v20, 1.0
	v_fmac_f32_e32 v20, v21, v20
	v_mul_f32_e32 v21, v16, v20
	v_fma_f32 v22, -v15, v21, v16
	v_fmac_f32_e32 v21, v22, v20
	v_fma_f32 v15, -v15, v21, v16
	v_div_fmas_f32 v15, v15, v20, v21
	v_div_fixup_f32 v15, v15, -v14, v13
	v_fma_f32 v13, v13, v15, -v14
	v_div_scale_f32 v14, s[12:13], v13, v13, 1.0
	v_div_scale_f32 v16, vcc, 1.0, v13, 1.0
	v_rcp_f32_e32 v20, v14
	v_fma_f32 v21, -v14, v20, 1.0
	v_fmac_f32_e32 v20, v21, v20
	v_mul_f32_e32 v21, v16, v20
	v_fma_f32 v22, -v14, v21, v16
	v_fmac_f32_e32 v21, v22, v20
	v_fma_f32 v14, -v14, v21, v16
	v_div_fmas_f32 v14, v14, v20, v21
	v_div_fixup_f32 v13, v14, v13, 1.0
	v_mul_f32_e32 v15, v15, v13
	v_xor_b32_e32 v16, 0x80000000, v13
                                        ; implicit-def: $vgpr13_vgpr14
.LBB162_48:
	s_andn2_saveexec_b64 s[10:11], s[10:11]
	s_cbranch_execz .LBB162_50
; %bb.49:
	v_div_scale_f32 v15, s[12:13], v13, v13, -v14
	v_div_scale_f32 v16, vcc, -v14, v13, -v14
	v_rcp_f32_e32 v20, v15
	v_fma_f32 v21, -v15, v20, 1.0
	v_fmac_f32_e32 v20, v21, v20
	v_mul_f32_e32 v21, v16, v20
	v_fma_f32 v22, -v15, v21, v16
	v_fmac_f32_e32 v21, v22, v20
	v_fma_f32 v15, -v15, v21, v16
	v_div_fmas_f32 v15, v15, v20, v21
	v_div_fixup_f32 v16, v15, v13, -v14
	v_fma_f32 v13, -v14, v16, v13
	v_div_scale_f32 v14, s[12:13], v13, v13, 1.0
	v_div_scale_f32 v15, vcc, 1.0, v13, 1.0
	v_rcp_f32_e32 v20, v14
	v_fma_f32 v21, -v14, v20, 1.0
	v_fmac_f32_e32 v20, v21, v20
	v_mul_f32_e32 v21, v15, v20
	v_fma_f32 v22, -v14, v21, v15
	v_fmac_f32_e32 v21, v22, v20
	v_fma_f32 v14, -v14, v21, v15
	v_div_fmas_f32 v14, v14, v20, v21
	v_div_fixup_f32 v15, v14, v13, 1.0
	v_mul_f32_e64 v16, v16, -v15
.LBB162_50:
	s_or_b64 exec, exec, s[10:11]
	v_lshlrev_b32_e32 v13, 3, v19
	ds_write_b64 v13, v[15:16]
.LBB162_51:
	s_or_b64 exec, exec, s[8:9]
                                        ; implicit-def: $vgpr13_vgpr14
                                        ; implicit-def: $vgpr19
.LBB162_52:
	s_andn2_saveexec_b64 s[2:3], s[2:3]
	s_cbranch_execz .LBB162_54
; %bb.53:
	v_lshlrev_b64 v[13:14], 3, v[13:14]
	v_mov_b32_e32 v15, s94
	v_add_co_u32_e32 v13, vcc, s93, v13
	v_addc_co_u32_e32 v14, vcc, v15, v14, vcc
	flat_load_dwordx2 v[13:14], v[13:14]
	v_lshlrev_b32_e32 v15, 3, v19
	s_waitcnt vmcnt(0) lgkmcnt(0)
	v_xor_b32_e32 v13, 0x80000000, v13
	ds_write_b64 v15, v[13:14]
.LBB162_54:
	s_or_b64 exec, exec, s[2:3]
	v_add_u32_e32 v15, 48, v2
	v_mad_u64_u32 v[13:14], s[2:3], s30, v15, v[11:12]
	v_lshl_add_u32 v16, v15, 6, v0
	v_cmp_le_u32_e32 vcc, v15, v0
	v_mad_u64_u32 v[20:21], s[2:3], s31, v15, v[14:15]
	v_add_u32_e32 v14, v15, v17
	v_cndmask_b32_e64 v19, v16, v14, s[0:1]
	v_mov_b32_e32 v14, v20
	s_and_saveexec_b64 s[2:3], vcc
	s_xor_b64 s[2:3], exec, s[2:3]
	s_cbranch_execz .LBB162_66
; %bb.55:
	v_cmp_ne_u32_e32 vcc, v0, v15
	s_and_saveexec_b64 s[8:9], vcc
	s_xor_b64 s[8:9], exec, s[8:9]
	s_cbranch_execz .LBB162_59
; %bb.56:
	v_or_b32_e32 v13, v15, v0
	v_cmp_gt_u32_e32 vcc, 64, v13
	s_and_saveexec_b64 s[10:11], vcc
; %bb.57:
	v_mov_b32_e32 v13, 0
	v_lshlrev_b32_e32 v15, 3, v19
	v_mov_b32_e32 v14, v13
	ds_write_b64 v15, v[13:14]
; %bb.58:
	s_or_b64 exec, exec, s[10:11]
                                        ; implicit-def: $vgpr19
                                        ; implicit-def: $vgpr13_vgpr14
.LBB162_59:
	s_andn2_saveexec_b64 s[8:9], s[8:9]
	s_cbranch_execz .LBB162_65
; %bb.60:
	v_lshlrev_b64 v[13:14], 3, v[13:14]
	v_mov_b32_e32 v15, s94
	v_add_co_u32_e32 v13, vcc, s93, v13
	v_addc_co_u32_e32 v14, vcc, v15, v14, vcc
	flat_load_dwordx2 v[13:14], v[13:14]
                                        ; implicit-def: $vgpr15
	s_waitcnt vmcnt(0) lgkmcnt(0)
	v_cmp_ngt_f32_e64 s[10:11], |v13|, |v14|
	s_and_saveexec_b64 s[12:13], s[10:11]
	s_xor_b64 s[10:11], exec, s[12:13]
	s_cbranch_execz .LBB162_62
; %bb.61:
	v_div_scale_f32 v15, s[12:13], -v14, -v14, v13
	v_div_scale_f32 v16, vcc, v13, -v14, v13
	v_rcp_f32_e32 v20, v15
	v_fma_f32 v21, -v15, v20, 1.0
	v_fmac_f32_e32 v20, v21, v20
	v_mul_f32_e32 v21, v16, v20
	v_fma_f32 v22, -v15, v21, v16
	v_fmac_f32_e32 v21, v22, v20
	v_fma_f32 v15, -v15, v21, v16
	v_div_fmas_f32 v15, v15, v20, v21
	v_div_fixup_f32 v15, v15, -v14, v13
	v_fma_f32 v13, v13, v15, -v14
	v_div_scale_f32 v14, s[12:13], v13, v13, 1.0
	v_div_scale_f32 v16, vcc, 1.0, v13, 1.0
	v_rcp_f32_e32 v20, v14
	v_fma_f32 v21, -v14, v20, 1.0
	v_fmac_f32_e32 v20, v21, v20
	v_mul_f32_e32 v21, v16, v20
	v_fma_f32 v22, -v14, v21, v16
	v_fmac_f32_e32 v21, v22, v20
	v_fma_f32 v14, -v14, v21, v16
	v_div_fmas_f32 v14, v14, v20, v21
	v_div_fixup_f32 v13, v14, v13, 1.0
	v_mul_f32_e32 v15, v15, v13
	v_xor_b32_e32 v16, 0x80000000, v13
                                        ; implicit-def: $vgpr13_vgpr14
.LBB162_62:
	s_andn2_saveexec_b64 s[10:11], s[10:11]
	s_cbranch_execz .LBB162_64
; %bb.63:
	v_div_scale_f32 v15, s[12:13], v13, v13, -v14
	v_div_scale_f32 v16, vcc, -v14, v13, -v14
	v_rcp_f32_e32 v20, v15
	v_fma_f32 v21, -v15, v20, 1.0
	v_fmac_f32_e32 v20, v21, v20
	v_mul_f32_e32 v21, v16, v20
	v_fma_f32 v22, -v15, v21, v16
	v_fmac_f32_e32 v21, v22, v20
	v_fma_f32 v15, -v15, v21, v16
	v_div_fmas_f32 v15, v15, v20, v21
	v_div_fixup_f32 v16, v15, v13, -v14
	v_fma_f32 v13, -v14, v16, v13
	v_div_scale_f32 v14, s[12:13], v13, v13, 1.0
	v_div_scale_f32 v15, vcc, 1.0, v13, 1.0
	v_rcp_f32_e32 v20, v14
	v_fma_f32 v21, -v14, v20, 1.0
	v_fmac_f32_e32 v20, v21, v20
	v_mul_f32_e32 v21, v15, v20
	v_fma_f32 v22, -v14, v21, v15
	v_fmac_f32_e32 v21, v22, v20
	v_fma_f32 v14, -v14, v21, v15
	v_div_fmas_f32 v14, v14, v20, v21
	v_div_fixup_f32 v15, v14, v13, 1.0
	v_mul_f32_e64 v16, v16, -v15
.LBB162_64:
	s_or_b64 exec, exec, s[10:11]
	v_lshlrev_b32_e32 v13, 3, v19
	ds_write_b64 v13, v[15:16]
.LBB162_65:
	s_or_b64 exec, exec, s[8:9]
                                        ; implicit-def: $vgpr13_vgpr14
                                        ; implicit-def: $vgpr19
.LBB162_66:
	s_andn2_saveexec_b64 s[2:3], s[2:3]
	s_cbranch_execz .LBB162_68
; %bb.67:
	v_lshlrev_b64 v[13:14], 3, v[13:14]
	v_mov_b32_e32 v15, s94
	v_add_co_u32_e32 v13, vcc, s93, v13
	v_addc_co_u32_e32 v14, vcc, v15, v14, vcc
	flat_load_dwordx2 v[13:14], v[13:14]
	v_lshlrev_b32_e32 v15, 3, v19
	s_waitcnt vmcnt(0) lgkmcnt(0)
	v_xor_b32_e32 v13, 0x80000000, v13
	ds_write_b64 v15, v[13:14]
.LBB162_68:
	s_or_b64 exec, exec, s[2:3]
	s_mov_b64 s[12:13], 0
.LBB162_69:
	s_xor_b64 s[10:11], s[0:1], -1
	s_and_b64 vcc, exec, s[12:13]
	s_cbranch_vccz .LBB162_127
; %bb.70:
	v_mad_u64_u32 v[13:14], s[2:3], s30, v2, v[11:12]
	v_cmp_le_u32_e32 vcc, v2, v0
	v_cmp_gt_i32_e64 s[2:3], s92, v0
	v_mad_u64_u32 v[14:15], s[8:9], s31, v2, v[14:15]
	v_max_i32_e32 v15, v2, v0
	v_cmp_le_i32_e64 s[8:9], s92, v15
	s_or_b64 s[8:9], s[8:9], vcc
	s_and_saveexec_b64 s[12:13], s[8:9]
	s_xor_b64 s[8:9], exec, s[12:13]
	s_cbranch_execz .LBB162_82
; %bb.71:
	v_cmp_ne_u32_e32 vcc, v0, v2
	s_xor_b64 s[12:13], s[2:3], -1
	s_or_b64 s[12:13], s[12:13], vcc
	s_and_saveexec_b64 s[14:15], s[12:13]
	s_xor_b64 s[12:13], exec, s[14:15]
	s_cbranch_execz .LBB162_75
; %bb.72:
	v_or_b32_e32 v13, v2, v0
	v_cmp_gt_u32_e32 vcc, 64, v13
	s_and_saveexec_b64 s[14:15], vcc
; %bb.73:
	v_mov_b32_e32 v13, 0
	v_lshlrev_b32_e32 v15, 3, v18
	v_mov_b32_e32 v14, v13
	ds_write_b64 v15, v[13:14]
; %bb.74:
	s_or_b64 exec, exec, s[14:15]
                                        ; implicit-def: $vgpr18
                                        ; implicit-def: $vgpr13_vgpr14
.LBB162_75:
	s_andn2_saveexec_b64 s[12:13], s[12:13]
	s_cbranch_execz .LBB162_81
; %bb.76:
	v_lshlrev_b64 v[13:14], 3, v[13:14]
	v_mov_b32_e32 v15, s94
	v_add_co_u32_e32 v13, vcc, s93, v13
	v_addc_co_u32_e32 v14, vcc, v15, v14, vcc
	flat_load_dwordx2 v[13:14], v[13:14]
                                        ; implicit-def: $vgpr15
	s_waitcnt vmcnt(0) lgkmcnt(0)
	v_cmp_ngt_f32_e64 s[14:15], |v13|, |v14|
	s_and_saveexec_b64 s[16:17], s[14:15]
	s_xor_b64 s[14:15], exec, s[16:17]
	s_cbranch_execz .LBB162_78
; %bb.77:
	v_div_scale_f32 v15, s[16:17], -v14, -v14, v13
	v_div_scale_f32 v16, vcc, v13, -v14, v13
	v_rcp_f32_e32 v19, v15
	v_fma_f32 v20, -v15, v19, 1.0
	v_fmac_f32_e32 v19, v20, v19
	v_mul_f32_e32 v20, v16, v19
	v_fma_f32 v21, -v15, v20, v16
	v_fmac_f32_e32 v20, v21, v19
	v_fma_f32 v15, -v15, v20, v16
	v_div_fmas_f32 v15, v15, v19, v20
	v_div_fixup_f32 v15, v15, -v14, v13
	v_fma_f32 v13, v13, v15, -v14
	v_div_scale_f32 v14, s[16:17], v13, v13, 1.0
	v_div_scale_f32 v16, vcc, 1.0, v13, 1.0
	v_rcp_f32_e32 v19, v14
	v_fma_f32 v20, -v14, v19, 1.0
	v_fmac_f32_e32 v19, v20, v19
	v_mul_f32_e32 v20, v16, v19
	v_fma_f32 v21, -v14, v20, v16
	v_fmac_f32_e32 v20, v21, v19
	v_fma_f32 v14, -v14, v20, v16
	v_div_fmas_f32 v14, v14, v19, v20
	v_div_fixup_f32 v13, v14, v13, 1.0
	v_mul_f32_e32 v15, v15, v13
	v_xor_b32_e32 v16, 0x80000000, v13
                                        ; implicit-def: $vgpr13_vgpr14
.LBB162_78:
	s_andn2_saveexec_b64 s[14:15], s[14:15]
	s_cbranch_execz .LBB162_80
; %bb.79:
	v_div_scale_f32 v15, s[16:17], v13, v13, -v14
	v_div_scale_f32 v16, vcc, -v14, v13, -v14
	v_rcp_f32_e32 v19, v15
	v_fma_f32 v20, -v15, v19, 1.0
	v_fmac_f32_e32 v19, v20, v19
	v_mul_f32_e32 v20, v16, v19
	v_fma_f32 v21, -v15, v20, v16
	v_fmac_f32_e32 v20, v21, v19
	v_fma_f32 v15, -v15, v20, v16
	v_div_fmas_f32 v15, v15, v19, v20
	v_div_fixup_f32 v16, v15, v13, -v14
	v_fma_f32 v13, -v14, v16, v13
	v_div_scale_f32 v14, s[16:17], v13, v13, 1.0
	v_div_scale_f32 v15, vcc, 1.0, v13, 1.0
	v_rcp_f32_e32 v19, v14
	v_fma_f32 v20, -v14, v19, 1.0
	v_fmac_f32_e32 v19, v20, v19
	v_mul_f32_e32 v20, v15, v19
	v_fma_f32 v21, -v14, v20, v15
	v_fmac_f32_e32 v20, v21, v19
	v_fma_f32 v14, -v14, v20, v15
	v_div_fmas_f32 v14, v14, v19, v20
	v_div_fixup_f32 v15, v14, v13, 1.0
	v_mul_f32_e64 v16, v16, -v15
.LBB162_80:
	s_or_b64 exec, exec, s[14:15]
	v_lshlrev_b32_e32 v13, 3, v18
	ds_write_b64 v13, v[15:16]
.LBB162_81:
	s_or_b64 exec, exec, s[12:13]
                                        ; implicit-def: $vgpr13_vgpr14
                                        ; implicit-def: $vgpr18
.LBB162_82:
	s_andn2_saveexec_b64 s[8:9], s[8:9]
	s_cbranch_execz .LBB162_84
; %bb.83:
	v_lshlrev_b64 v[13:14], 3, v[13:14]
	v_mov_b32_e32 v15, s94
	v_add_co_u32_e32 v13, vcc, s93, v13
	v_addc_co_u32_e32 v14, vcc, v15, v14, vcc
	flat_load_dwordx2 v[13:14], v[13:14]
	v_lshlrev_b32_e32 v15, 3, v18
	s_waitcnt vmcnt(0) lgkmcnt(0)
	v_xor_b32_e32 v13, 0x80000000, v13
	ds_write_b64 v15, v[13:14]
.LBB162_84:
	s_or_b64 exec, exec, s[8:9]
	v_add_u32_e32 v15, 16, v2
	v_mad_u64_u32 v[13:14], s[8:9], s30, v15, v[11:12]
	v_cmp_gt_u32_e32 vcc, v15, v0
	v_add_u32_e32 v16, v15, v17
	v_mad_u64_u32 v[19:20], s[8:9], s31, v15, v[14:15]
	v_cmp_gt_i32_e64 s[8:9], s92, v15
	s_and_b64 s[8:9], vcc, s[8:9]
	v_lshl_add_u32 v14, v15, 6, v0
	s_and_b64 s[8:9], s[2:3], s[8:9]
	v_cndmask_b32_e64 v18, v14, v16, s[0:1]
	v_mov_b32_e32 v14, v19
	s_xor_b64 s[8:9], s[8:9], -1
	s_and_saveexec_b64 s[12:13], s[8:9]
	s_xor_b64 s[8:9], exec, s[12:13]
	s_cbranch_execz .LBB162_96
; %bb.85:
	v_cmp_ne_u32_e32 vcc, v0, v15
	s_xor_b64 s[12:13], s[2:3], -1
	s_or_b64 s[12:13], s[12:13], vcc
	s_and_saveexec_b64 s[14:15], s[12:13]
	s_xor_b64 s[12:13], exec, s[14:15]
	s_cbranch_execz .LBB162_89
; %bb.86:
	v_or_b32_e32 v13, v15, v0
	v_cmp_gt_u32_e32 vcc, 64, v13
	s_and_saveexec_b64 s[14:15], vcc
; %bb.87:
	v_mov_b32_e32 v13, 0
	v_lshlrev_b32_e32 v15, 3, v18
	v_mov_b32_e32 v14, v13
	ds_write_b64 v15, v[13:14]
; %bb.88:
	s_or_b64 exec, exec, s[14:15]
                                        ; implicit-def: $vgpr18
                                        ; implicit-def: $vgpr13_vgpr14
.LBB162_89:
	s_andn2_saveexec_b64 s[12:13], s[12:13]
	s_cbranch_execz .LBB162_95
; %bb.90:
	v_lshlrev_b64 v[13:14], 3, v[13:14]
	v_mov_b32_e32 v15, s94
	v_add_co_u32_e32 v13, vcc, s93, v13
	v_addc_co_u32_e32 v14, vcc, v15, v14, vcc
	flat_load_dwordx2 v[13:14], v[13:14]
                                        ; implicit-def: $vgpr15
	s_waitcnt vmcnt(0) lgkmcnt(0)
	v_cmp_ngt_f32_e64 s[14:15], |v13|, |v14|
	s_and_saveexec_b64 s[16:17], s[14:15]
	s_xor_b64 s[14:15], exec, s[16:17]
	s_cbranch_execz .LBB162_92
; %bb.91:
	v_div_scale_f32 v15, s[16:17], -v14, -v14, v13
	v_div_scale_f32 v16, vcc, v13, -v14, v13
	v_rcp_f32_e32 v19, v15
	v_fma_f32 v20, -v15, v19, 1.0
	v_fmac_f32_e32 v19, v20, v19
	v_mul_f32_e32 v20, v16, v19
	v_fma_f32 v21, -v15, v20, v16
	v_fmac_f32_e32 v20, v21, v19
	v_fma_f32 v15, -v15, v20, v16
	v_div_fmas_f32 v15, v15, v19, v20
	v_div_fixup_f32 v15, v15, -v14, v13
	v_fma_f32 v13, v13, v15, -v14
	v_div_scale_f32 v14, s[16:17], v13, v13, 1.0
	v_div_scale_f32 v16, vcc, 1.0, v13, 1.0
	v_rcp_f32_e32 v19, v14
	v_fma_f32 v20, -v14, v19, 1.0
	v_fmac_f32_e32 v19, v20, v19
	v_mul_f32_e32 v20, v16, v19
	v_fma_f32 v21, -v14, v20, v16
	v_fmac_f32_e32 v20, v21, v19
	v_fma_f32 v14, -v14, v20, v16
	v_div_fmas_f32 v14, v14, v19, v20
	v_div_fixup_f32 v13, v14, v13, 1.0
	v_mul_f32_e32 v15, v15, v13
	v_xor_b32_e32 v16, 0x80000000, v13
                                        ; implicit-def: $vgpr13_vgpr14
.LBB162_92:
	s_andn2_saveexec_b64 s[14:15], s[14:15]
	s_cbranch_execz .LBB162_94
; %bb.93:
	v_div_scale_f32 v15, s[16:17], v13, v13, -v14
	v_div_scale_f32 v16, vcc, -v14, v13, -v14
	v_rcp_f32_e32 v19, v15
	v_fma_f32 v20, -v15, v19, 1.0
	v_fmac_f32_e32 v19, v20, v19
	v_mul_f32_e32 v20, v16, v19
	v_fma_f32 v21, -v15, v20, v16
	v_fmac_f32_e32 v20, v21, v19
	v_fma_f32 v15, -v15, v20, v16
	v_div_fmas_f32 v15, v15, v19, v20
	v_div_fixup_f32 v16, v15, v13, -v14
	v_fma_f32 v13, -v14, v16, v13
	v_div_scale_f32 v14, s[16:17], v13, v13, 1.0
	v_div_scale_f32 v15, vcc, 1.0, v13, 1.0
	v_rcp_f32_e32 v19, v14
	v_fma_f32 v20, -v14, v19, 1.0
	v_fmac_f32_e32 v19, v20, v19
	v_mul_f32_e32 v20, v15, v19
	v_fma_f32 v21, -v14, v20, v15
	v_fmac_f32_e32 v20, v21, v19
	v_fma_f32 v14, -v14, v20, v15
	v_div_fmas_f32 v14, v14, v19, v20
	v_div_fixup_f32 v15, v14, v13, 1.0
	v_mul_f32_e64 v16, v16, -v15
.LBB162_94:
	s_or_b64 exec, exec, s[14:15]
	v_lshlrev_b32_e32 v13, 3, v18
	ds_write_b64 v13, v[15:16]
.LBB162_95:
	s_or_b64 exec, exec, s[12:13]
                                        ; implicit-def: $vgpr13_vgpr14
                                        ; implicit-def: $vgpr18
.LBB162_96:
	s_andn2_saveexec_b64 s[8:9], s[8:9]
	s_cbranch_execz .LBB162_98
; %bb.97:
	v_lshlrev_b64 v[13:14], 3, v[13:14]
	v_mov_b32_e32 v15, s94
	v_add_co_u32_e32 v13, vcc, s93, v13
	v_addc_co_u32_e32 v14, vcc, v15, v14, vcc
	flat_load_dwordx2 v[13:14], v[13:14]
	v_lshlrev_b32_e32 v15, 3, v18
	s_waitcnt vmcnt(0) lgkmcnt(0)
	v_xor_b32_e32 v13, 0x80000000, v13
	ds_write_b64 v15, v[13:14]
.LBB162_98:
	s_or_b64 exec, exec, s[8:9]
	v_add_u32_e32 v15, 32, v2
	v_mad_u64_u32 v[13:14], s[8:9], s30, v15, v[11:12]
	v_cmp_gt_u32_e32 vcc, v15, v0
	v_add_u32_e32 v16, v15, v17
	v_mad_u64_u32 v[19:20], s[8:9], s31, v15, v[14:15]
	v_cmp_gt_i32_e64 s[8:9], s92, v15
	s_and_b64 s[8:9], vcc, s[8:9]
	v_lshl_add_u32 v14, v15, 6, v0
	s_and_b64 s[8:9], s[2:3], s[8:9]
	v_cndmask_b32_e64 v18, v14, v16, s[0:1]
	v_mov_b32_e32 v14, v19
	s_xor_b64 s[8:9], s[8:9], -1
	s_and_saveexec_b64 s[12:13], s[8:9]
	s_xor_b64 s[8:9], exec, s[12:13]
	s_cbranch_execz .LBB162_110
; %bb.99:
	v_cmp_ne_u32_e32 vcc, v0, v15
	s_xor_b64 s[12:13], s[2:3], -1
	s_or_b64 s[12:13], s[12:13], vcc
	s_and_saveexec_b64 s[14:15], s[12:13]
	s_xor_b64 s[12:13], exec, s[14:15]
	s_cbranch_execz .LBB162_103
; %bb.100:
	v_or_b32_e32 v13, v15, v0
	v_cmp_gt_u32_e32 vcc, 64, v13
	s_and_saveexec_b64 s[14:15], vcc
; %bb.101:
	v_mov_b32_e32 v13, 0
	v_lshlrev_b32_e32 v15, 3, v18
	v_mov_b32_e32 v14, v13
	ds_write_b64 v15, v[13:14]
; %bb.102:
	s_or_b64 exec, exec, s[14:15]
                                        ; implicit-def: $vgpr18
                                        ; implicit-def: $vgpr13_vgpr14
.LBB162_103:
	s_andn2_saveexec_b64 s[12:13], s[12:13]
	s_cbranch_execz .LBB162_109
; %bb.104:
	v_lshlrev_b64 v[13:14], 3, v[13:14]
	v_mov_b32_e32 v15, s94
	v_add_co_u32_e32 v13, vcc, s93, v13
	v_addc_co_u32_e32 v14, vcc, v15, v14, vcc
	flat_load_dwordx2 v[13:14], v[13:14]
                                        ; implicit-def: $vgpr15
	s_waitcnt vmcnt(0) lgkmcnt(0)
	v_cmp_ngt_f32_e64 s[14:15], |v13|, |v14|
	s_and_saveexec_b64 s[16:17], s[14:15]
	s_xor_b64 s[14:15], exec, s[16:17]
	s_cbranch_execz .LBB162_106
; %bb.105:
	v_div_scale_f32 v15, s[16:17], -v14, -v14, v13
	v_div_scale_f32 v16, vcc, v13, -v14, v13
	v_rcp_f32_e32 v19, v15
	v_fma_f32 v20, -v15, v19, 1.0
	v_fmac_f32_e32 v19, v20, v19
	v_mul_f32_e32 v20, v16, v19
	v_fma_f32 v21, -v15, v20, v16
	v_fmac_f32_e32 v20, v21, v19
	v_fma_f32 v15, -v15, v20, v16
	v_div_fmas_f32 v15, v15, v19, v20
	v_div_fixup_f32 v15, v15, -v14, v13
	v_fma_f32 v13, v13, v15, -v14
	v_div_scale_f32 v14, s[16:17], v13, v13, 1.0
	v_div_scale_f32 v16, vcc, 1.0, v13, 1.0
	v_rcp_f32_e32 v19, v14
	v_fma_f32 v20, -v14, v19, 1.0
	v_fmac_f32_e32 v19, v20, v19
	v_mul_f32_e32 v20, v16, v19
	v_fma_f32 v21, -v14, v20, v16
	v_fmac_f32_e32 v20, v21, v19
	v_fma_f32 v14, -v14, v20, v16
	v_div_fmas_f32 v14, v14, v19, v20
	v_div_fixup_f32 v13, v14, v13, 1.0
	v_mul_f32_e32 v15, v15, v13
	v_xor_b32_e32 v16, 0x80000000, v13
                                        ; implicit-def: $vgpr13_vgpr14
.LBB162_106:
	s_andn2_saveexec_b64 s[14:15], s[14:15]
	s_cbranch_execz .LBB162_108
; %bb.107:
	v_div_scale_f32 v15, s[16:17], v13, v13, -v14
	v_div_scale_f32 v16, vcc, -v14, v13, -v14
	v_rcp_f32_e32 v19, v15
	v_fma_f32 v20, -v15, v19, 1.0
	v_fmac_f32_e32 v19, v20, v19
	v_mul_f32_e32 v20, v16, v19
	v_fma_f32 v21, -v15, v20, v16
	v_fmac_f32_e32 v20, v21, v19
	v_fma_f32 v15, -v15, v20, v16
	v_div_fmas_f32 v15, v15, v19, v20
	v_div_fixup_f32 v16, v15, v13, -v14
	v_fma_f32 v13, -v14, v16, v13
	v_div_scale_f32 v14, s[16:17], v13, v13, 1.0
	v_div_scale_f32 v15, vcc, 1.0, v13, 1.0
	v_rcp_f32_e32 v19, v14
	v_fma_f32 v20, -v14, v19, 1.0
	v_fmac_f32_e32 v19, v20, v19
	v_mul_f32_e32 v20, v15, v19
	v_fma_f32 v21, -v14, v20, v15
	v_fmac_f32_e32 v20, v21, v19
	v_fma_f32 v14, -v14, v20, v15
	v_div_fmas_f32 v14, v14, v19, v20
	v_div_fixup_f32 v15, v14, v13, 1.0
	v_mul_f32_e64 v16, v16, -v15
.LBB162_108:
	s_or_b64 exec, exec, s[14:15]
	v_lshlrev_b32_e32 v13, 3, v18
	ds_write_b64 v13, v[15:16]
.LBB162_109:
	s_or_b64 exec, exec, s[12:13]
                                        ; implicit-def: $vgpr13_vgpr14
                                        ; implicit-def: $vgpr18
.LBB162_110:
	s_andn2_saveexec_b64 s[8:9], s[8:9]
	s_cbranch_execz .LBB162_112
; %bb.111:
	v_lshlrev_b64 v[13:14], 3, v[13:14]
	v_mov_b32_e32 v15, s94
	v_add_co_u32_e32 v13, vcc, s93, v13
	v_addc_co_u32_e32 v14, vcc, v15, v14, vcc
	flat_load_dwordx2 v[13:14], v[13:14]
	v_lshlrev_b32_e32 v15, 3, v18
	s_waitcnt vmcnt(0) lgkmcnt(0)
	v_xor_b32_e32 v13, 0x80000000, v13
	ds_write_b64 v15, v[13:14]
.LBB162_112:
	s_or_b64 exec, exec, s[8:9]
	v_add_u32_e32 v13, 48, v2
	v_mad_u64_u32 v[11:12], s[8:9], s30, v13, v[11:12]
	v_add_u32_e32 v16, v13, v17
	v_cmp_gt_u32_e32 vcc, v13, v0
	v_mad_u64_u32 v[14:15], s[8:9], s31, v13, v[12:13]
	v_lshl_add_u32 v12, v13, 6, v0
	v_cndmask_b32_e64 v15, v12, v16, s[0:1]
	v_cmp_gt_i32_e64 s[0:1], s92, v13
	s_and_b64 s[0:1], vcc, s[0:1]
	s_and_b64 s[0:1], s[2:3], s[0:1]
	v_mov_b32_e32 v12, v14
	s_xor_b64 s[0:1], s[0:1], -1
	s_and_saveexec_b64 s[8:9], s[0:1]
	s_xor_b64 s[0:1], exec, s[8:9]
	s_cbranch_execz .LBB162_124
; %bb.113:
	v_cmp_ne_u32_e32 vcc, v0, v13
	s_xor_b64 s[2:3], s[2:3], -1
	s_or_b64 s[2:3], s[2:3], vcc
	s_and_saveexec_b64 s[8:9], s[2:3]
	s_xor_b64 s[2:3], exec, s[8:9]
	s_cbranch_execz .LBB162_117
; %bb.114:
	v_or_b32_e32 v11, v13, v0
	v_cmp_gt_u32_e32 vcc, 64, v11
	s_and_saveexec_b64 s[8:9], vcc
; %bb.115:
	v_mov_b32_e32 v11, 0
	v_lshlrev_b32_e32 v13, 3, v15
	v_mov_b32_e32 v12, v11
	ds_write_b64 v13, v[11:12]
; %bb.116:
	s_or_b64 exec, exec, s[8:9]
                                        ; implicit-def: $vgpr15
                                        ; implicit-def: $vgpr11_vgpr12
.LBB162_117:
	s_andn2_saveexec_b64 s[2:3], s[2:3]
	s_cbranch_execz .LBB162_123
; %bb.118:
	v_lshlrev_b64 v[11:12], 3, v[11:12]
	v_mov_b32_e32 v13, s94
	v_add_co_u32_e32 v11, vcc, s93, v11
	v_addc_co_u32_e32 v12, vcc, v13, v12, vcc
	flat_load_dwordx2 v[11:12], v[11:12]
                                        ; implicit-def: $vgpr13
	s_waitcnt vmcnt(0) lgkmcnt(0)
	v_cmp_ngt_f32_e64 s[8:9], |v11|, |v12|
	s_and_saveexec_b64 s[12:13], s[8:9]
	s_xor_b64 s[8:9], exec, s[12:13]
	s_cbranch_execz .LBB162_120
; %bb.119:
	v_div_scale_f32 v13, s[12:13], -v12, -v12, v11
	v_div_scale_f32 v14, vcc, v11, -v12, v11
	v_rcp_f32_e32 v16, v13
	v_fma_f32 v17, -v13, v16, 1.0
	v_fmac_f32_e32 v16, v17, v16
	v_mul_f32_e32 v17, v14, v16
	v_fma_f32 v18, -v13, v17, v14
	v_fmac_f32_e32 v17, v18, v16
	v_fma_f32 v13, -v13, v17, v14
	v_div_fmas_f32 v13, v13, v16, v17
	v_div_fixup_f32 v13, v13, -v12, v11
	v_fma_f32 v11, v11, v13, -v12
	v_div_scale_f32 v12, s[12:13], v11, v11, 1.0
	v_div_scale_f32 v14, vcc, 1.0, v11, 1.0
	v_rcp_f32_e32 v16, v12
	v_fma_f32 v17, -v12, v16, 1.0
	v_fmac_f32_e32 v16, v17, v16
	v_mul_f32_e32 v17, v14, v16
	v_fma_f32 v18, -v12, v17, v14
	v_fmac_f32_e32 v17, v18, v16
	v_fma_f32 v12, -v12, v17, v14
	v_div_fmas_f32 v12, v12, v16, v17
	v_div_fixup_f32 v11, v12, v11, 1.0
	v_mul_f32_e32 v13, v13, v11
	v_xor_b32_e32 v14, 0x80000000, v11
                                        ; implicit-def: $vgpr11_vgpr12
.LBB162_120:
	s_andn2_saveexec_b64 s[8:9], s[8:9]
	s_cbranch_execz .LBB162_122
; %bb.121:
	v_div_scale_f32 v13, s[12:13], v11, v11, -v12
	v_div_scale_f32 v14, vcc, -v12, v11, -v12
	v_rcp_f32_e32 v16, v13
	v_fma_f32 v17, -v13, v16, 1.0
	v_fmac_f32_e32 v16, v17, v16
	v_mul_f32_e32 v17, v14, v16
	v_fma_f32 v18, -v13, v17, v14
	v_fmac_f32_e32 v17, v18, v16
	v_fma_f32 v13, -v13, v17, v14
	v_div_fmas_f32 v13, v13, v16, v17
	v_div_fixup_f32 v14, v13, v11, -v12
	v_fma_f32 v11, -v12, v14, v11
	v_div_scale_f32 v12, s[12:13], v11, v11, 1.0
	v_div_scale_f32 v13, vcc, 1.0, v11, 1.0
	v_rcp_f32_e32 v16, v12
	v_fma_f32 v17, -v12, v16, 1.0
	v_fmac_f32_e32 v16, v17, v16
	v_mul_f32_e32 v17, v13, v16
	v_fma_f32 v18, -v12, v17, v13
	v_fmac_f32_e32 v17, v18, v16
	v_fma_f32 v12, -v12, v17, v13
	v_div_fmas_f32 v12, v12, v16, v17
	v_div_fixup_f32 v13, v12, v11, 1.0
	v_mul_f32_e64 v14, v14, -v13
.LBB162_122:
	s_or_b64 exec, exec, s[8:9]
	v_lshlrev_b32_e32 v11, 3, v15
	ds_write_b64 v11, v[13:14]
.LBB162_123:
	s_or_b64 exec, exec, s[2:3]
                                        ; implicit-def: $vgpr11_vgpr12
                                        ; implicit-def: $vgpr15
.LBB162_124:
	s_andn2_saveexec_b64 s[0:1], s[0:1]
	s_cbranch_execz .LBB162_126
; %bb.125:
	v_lshlrev_b64 v[11:12], 3, v[11:12]
	v_mov_b32_e32 v13, s94
	v_add_co_u32_e32 v11, vcc, s93, v11
	v_addc_co_u32_e32 v12, vcc, v13, v12, vcc
	flat_load_dwordx2 v[11:12], v[11:12]
	v_lshlrev_b32_e32 v13, 3, v15
	s_waitcnt vmcnt(0) lgkmcnt(0)
	v_xor_b32_e32 v11, 0x80000000, v11
	ds_write_b64 v13, v[11:12]
.LBB162_126:
	s_or_b64 exec, exec, s[0:1]
.LBB162_127:
	v_cndmask_b32_e64 v11, 0, 1, s[10:11]
	v_cmp_ne_u32_e64 s[46:47], 1, v11
	s_andn2_b64 vcc, exec, s[10:11]
	s_waitcnt vmcnt(0) lgkmcnt(0)
	s_barrier
	s_cbranch_vccnz .LBB162_1049
; %bb.128:
	v_or_b32_e32 v11, v0, v2
	v_cmp_eq_u32_e32 vcc, 0, v11
	s_and_saveexec_b64 s[0:1], vcc
	s_cbranch_execz .LBB162_130
; %bb.129:
	s_movk_i32 s2, 0x1f0
	v_mov_b32_e32 v11, 0
	v_add_u32_e64 v12, s2, 0
	ds_read_b64 v[15:16], v11 offset:32760
	ds_read2st64_b64 v[11:14], v12 offset0:62 offset1:63
	s_movk_i32 s2, 0x7800
	s_waitcnt lgkmcnt(0)
	v_mul_f32_e32 v18, v15, v12
	v_mul_f32_e32 v17, v16, v12
	v_fmac_f32_e32 v18, v16, v11
	v_fma_f32 v12, v15, v11, -v17
	v_mul_f32_e32 v11, v18, v14
	v_fma_f32 v11, v12, v13, -v11
	v_mul_f32_e32 v12, v12, v14
	v_fmac_f32_e32 v12, v18, v13
	v_add_u32_e64 v13, s2, 0
	ds_write2_b64 v13, v[11:12], v[11:12] offset0:191 offset1:254
.LBB162_130:
	s_or_b64 exec, exec, s[0:1]
	v_lshlrev_b32_e32 v11, 6, v2
	v_add_u32_e32 v16, v11, v0
	v_and_b32_e32 v12, v11, v0
	v_xor_b32_e32 v11, v11, v0
	v_lshrrev_b16_e32 v11, 1, v11
	v_add_u16_e32 v15, v12, v11
	v_and_b32_e32 v13, 1, v0
	v_sub_u32_e32 v14, 1, v15
	v_cmp_lt_u32_e64 s[8:9], 3, v16
	v_cmp_gt_u32_e64 s[2:3], 4, v16
	v_mov_b32_e32 v11, 0
	v_mov_b32_e32 v12, 0
	s_waitcnt lgkmcnt(0)
	s_barrier
	buffer_wbinvl1_vol
	s_and_saveexec_b64 s[0:1], s[2:3]
	s_cbranch_execz .LBB162_134
; %bb.131:
	v_lshlrev_b32_e32 v11, 3, v13
	v_lshlrev_b32_e32 v17, 9, v14
	ds_read_b64 v[11:12], v11 offset:32224
	ds_read_b64 v[17:18], v17 offset:32240
	v_cmp_gt_u32_e64 s[10:11], 2, v16
	s_waitcnt lgkmcnt(0)
	v_mul_f32_e32 v19, v18, v12
	v_mul_f32_e32 v12, v17, v12
	v_fma_f32 v17, v17, v11, -v19
	v_fmac_f32_e32 v12, v18, v11
	v_add_f32_e32 v11, 0, v17
	v_add_f32_e32 v12, 0, v12
	s_and_saveexec_b64 s[12:13], s[10:11]
	s_cbranch_execz .LBB162_133
; %bb.132:
	v_lshlrev_b32_e32 v17, 3, v0
	v_mov_b32_e32 v19, 0
	ds_read_b64 v[17:18], v17 offset:32736
	ds_read_b64 v[19:20], v19 offset:32760
	s_waitcnt lgkmcnt(0)
	v_mul_f32_e32 v21, v20, v18
	v_mul_f32_e32 v18, v19, v18
	v_fma_f32 v19, v19, v17, -v21
	v_fmac_f32_e32 v18, v20, v17
	v_add_f32_e32 v11, v11, v19
	v_add_f32_e32 v12, v12, v18
.LBB162_133:
	s_or_b64 exec, exec, s[12:13]
.LBB162_134:
	s_or_b64 exec, exec, s[0:1]
	v_mov_b32_e32 v17, 0x8000
	v_cmp_ne_u32_e64 s[10:11], 0, v13
	s_xor_b64 s[0:1], s[8:9], -1
	v_lshl_add_u32 v15, v15, 3, v17
	s_and_b64 s[40:41], s[10:11], s[0:1]
	s_and_saveexec_b64 s[8:9], s[40:41]
	s_cbranch_execz .LBB162_136
; %bb.135:
	v_mov_b32_e32 v17, 0
	ds_read_b64 v[17:18], v17 offset:31720
	s_waitcnt lgkmcnt(0)
	v_mul_f32_e32 v19, v12, v18
	v_mul_f32_e32 v20, v11, v18
	v_fma_f32 v11, v11, v17, -v19
	v_fmac_f32_e32 v20, v12, v17
	v_xor_b32_e32 v17, 0x80000000, v11
	v_xor_b32_e32 v18, 0x80000000, v20
	v_mov_b32_e32 v12, v20
	ds_write_b64 v15, v[17:18]
.LBB162_136:
	s_or_b64 exec, exec, s[8:9]
	v_cmp_eq_u32_e64 s[8:9], 0, v13
	s_and_b64 s[38:39], s[8:9], s[0:1]
	s_waitcnt lgkmcnt(0)
	s_barrier
	s_and_saveexec_b64 s[0:1], s[38:39]
	s_cbranch_execz .LBB162_138
; %bb.137:
	v_mov_b32_e32 v17, 0
	ds_read_b64 v[17:18], v17 offset:31712
	ds_read_b64 v[19:20], v15
	s_waitcnt lgkmcnt(0)
	v_mul_f32_e32 v21, v20, v18
	v_mul_f32_e32 v18, v19, v18
	v_fma_f32 v19, v19, v17, -v21
	v_fmac_f32_e32 v18, v20, v17
	v_sub_f32_e32 v11, v11, v19
	v_sub_f32_e32 v12, v12, v18
.LBB162_138:
	s_or_b64 exec, exec, s[0:1]
	s_barrier
	s_and_saveexec_b64 s[0:1], s[38:39]
	s_cbranch_execz .LBB162_140
; %bb.139:
	v_mov_b32_e32 v17, 0
	ds_read_b64 v[17:18], v17 offset:31200
	s_waitcnt lgkmcnt(0)
	v_mul_f32_e32 v19, v12, v18
	v_mul_f32_e32 v20, v11, v18
	v_fma_f32 v11, v11, v17, -v19
	v_fmac_f32_e32 v20, v12, v17
	v_xor_b32_e32 v17, 0x80000000, v11
	v_xor_b32_e32 v18, 0x80000000, v20
	v_mov_b32_e32 v12, v20
	ds_write_b64 v15, v[17:18]
.LBB162_140:
	s_or_b64 exec, exec, s[0:1]
	s_waitcnt lgkmcnt(0)
	s_barrier
	s_barrier
	s_and_saveexec_b64 s[0:1], s[2:3]
; %bb.141:
	v_lshlrev_b32_e32 v17, 3, v13
	v_lshl_or_b32 v17, v14, 9, v17
	ds_write_b64 v17, v[11:12] offset:32224
; %bb.142:
	s_or_b64 exec, exec, s[0:1]
	v_cmp_eq_u32_e64 s[12:13], 0, v2
	v_cmp_gt_u32_e64 s[8:9], 2, v0
	s_and_b64 s[42:43], s[12:13], s[8:9]
	s_waitcnt lgkmcnt(0)
	s_barrier
	s_barrier
	s_and_saveexec_b64 s[0:1], s[42:43]
	s_cbranch_execz .LBB162_144
; %bb.143:
	v_lshlrev_b32_e32 v17, 3, v0
	s_movk_i32 s8, 0x1f8
	v_mad_u32_u24 v18, v0, s8, v17
	ds_read_b64 v[11:12], v18 offset:32224
	s_waitcnt lgkmcnt(0)
	ds_write_b64 v17, v[11:12] offset:31216
	ds_read_b64 v[11:12], v18 offset:32232
	s_waitcnt lgkmcnt(0)
	ds_write_b64 v17, v[11:12] offset:31728
.LBB162_144:
	s_or_b64 exec, exec, s[0:1]
	s_waitcnt lgkmcnt(0)
	s_barrier
	s_and_saveexec_b64 s[0:1], vcc
	s_cbranch_execz .LBB162_146
; %bb.145:
	s_movk_i32 s8, 0x1e0
	v_mov_b32_e32 v11, 0
	v_add_u32_e64 v17, s8, 0
	ds_read_b64 v[11:12], v11 offset:31720
	ds_read2st64_b64 v[17:20], v17 offset0:60 offset1:61
	s_movk_i32 s8, 0x7800
	s_waitcnt lgkmcnt(0)
	v_mul_f32_e32 v21, v12, v18
	v_mul_f32_e32 v18, v11, v18
	v_fma_f32 v21, v11, v17, -v21
	v_fmac_f32_e32 v18, v12, v17
	v_mul_f32_e32 v11, v18, v20
	v_mul_f32_e32 v12, v21, v20
	v_fma_f32 v11, v21, v19, -v11
	v_fmac_f32_e32 v12, v18, v19
	v_add_u32_e64 v17, s8, 0
	ds_write2_b64 v17, v[11:12], v[11:12] offset0:61 offset1:124
.LBB162_146:
	s_or_b64 exec, exec, s[0:1]
	v_lshrrev_b32_e32 v19, 2, v16
	v_and_b32_e32 v17, 3, v0
	v_sub_u32_e32 v18, 3, v19
	v_cmp_lt_u32_e64 s[8:9], 15, v16
	v_cmp_gt_u32_e64 s[18:19], 16, v16
	v_mov_b32_e32 v12, 0
	v_mov_b32_e32 v11, 0
	s_waitcnt lgkmcnt(0)
	s_barrier
	buffer_wbinvl1_vol
	s_and_saveexec_b64 s[0:1], s[18:19]
	s_cbranch_execz .LBB162_152
; %bb.147:
	v_lshlrev_b32_e32 v20, 3, v17
	v_lshlrev_b32_e32 v21, 9, v18
	ds_read_b64 v[11:12], v20 offset:31168
	ds_read_b64 v[22:23], v21 offset:31200
	v_cmp_gt_u32_e64 s[10:11], 12, v16
	s_waitcnt lgkmcnt(0)
	v_mul_f32_e32 v24, v23, v12
	v_mul_f32_e32 v12, v22, v12
	v_fma_f32 v22, v22, v11, -v24
	v_fmac_f32_e32 v12, v23, v11
	v_add_f32_e32 v11, 0, v22
	v_add_f32_e32 v12, 0, v12
	s_and_saveexec_b64 s[14:15], s[10:11]
	s_cbranch_execnz .LBB162_1125
; %bb.148:
	s_or_b64 exec, exec, s[14:15]
	v_cmp_gt_u32_e64 s[10:11], 8, v16
	s_and_saveexec_b64 s[14:15], s[10:11]
	s_cbranch_execnz .LBB162_1126
.LBB162_149:
	s_or_b64 exec, exec, s[14:15]
	v_cmp_gt_u32_e64 s[10:11], 4, v16
	s_and_saveexec_b64 s[14:15], s[10:11]
	s_cbranch_execz .LBB162_151
.LBB162_150:
	v_lshlrev_b32_e32 v20, 3, v0
	v_mov_b32_e32 v22, 0
	ds_read_b64 v[20:21], v20 offset:32704
	ds_read_b64 v[22:23], v22 offset:32760
	s_waitcnt lgkmcnt(0)
	v_mul_f32_e32 v24, v23, v21
	v_mul_f32_e32 v21, v22, v21
	v_fma_f32 v22, v22, v20, -v24
	v_fmac_f32_e32 v21, v23, v20
	v_add_f32_e32 v11, v11, v22
	v_add_f32_e32 v12, v12, v21
.LBB162_151:
	s_or_b64 exec, exec, s[14:15]
.LBB162_152:
                                        ; implicit-def: $vgpr38 : SGPR spill to VGPR lane
	v_writelane_b32 v38, s46, 0
	v_writelane_b32 v38, s47, 1
	;; [unrolled: 1-line block ×5, first 2 shown]
	s_or_b64 exec, exec, s[0:1]
	v_mov_b32_e32 v20, 0x8000
	v_cmp_eq_u32_e64 s[10:11], 3, v17
	s_xor_b64 s[0:1], s[8:9], -1
	v_lshl_add_u32 v19, v19, 3, v20
	s_and_b64 s[46:47], s[10:11], s[0:1]
	s_and_saveexec_b64 s[8:9], s[46:47]
	s_cbranch_execz .LBB162_154
; %bb.153:
	v_mov_b32_e32 v20, 0
	ds_read_b64 v[20:21], v20 offset:30680
	s_waitcnt lgkmcnt(0)
	v_mul_f32_e32 v22, v12, v21
	v_mul_f32_e32 v23, v11, v21
	v_fma_f32 v11, v11, v20, -v22
	v_fmac_f32_e32 v23, v12, v20
	v_xor_b32_e32 v20, 0x80000000, v11
	v_xor_b32_e32 v21, 0x80000000, v23
	v_mov_b32_e32 v12, v23
	ds_write_b64 v19, v[20:21]
.LBB162_154:
	s_or_b64 exec, exec, s[8:9]
	v_cmp_ne_u32_e64 s[8:9], 3, v17
	s_and_b64 s[48:49], s[8:9], s[0:1]
	s_waitcnt lgkmcnt(0)
	s_barrier
	s_and_saveexec_b64 s[8:9], s[48:49]
	s_cbranch_execz .LBB162_156
; %bb.155:
	v_lshlrev_b32_e32 v20, 3, v17
	ds_read_b64 v[20:21], v20 offset:30656
	ds_read_b64 v[22:23], v19
	s_waitcnt lgkmcnt(0)
	v_mul_f32_e32 v24, v23, v21
	v_mul_f32_e32 v21, v22, v21
	v_fma_f32 v22, v22, v20, -v24
	v_fmac_f32_e32 v21, v23, v20
	v_sub_f32_e32 v11, v11, v22
	v_sub_f32_e32 v12, v12, v21
.LBB162_156:
	s_or_b64 exec, exec, s[8:9]
	v_cmp_eq_u32_e64 s[8:9], 2, v17
	s_and_b64 s[50:51], s[8:9], s[0:1]
	s_barrier
	s_and_saveexec_b64 s[8:9], s[50:51]
	s_cbranch_execz .LBB162_158
; %bb.157:
	v_mov_b32_e32 v20, 0
	ds_read_b64 v[20:21], v20 offset:30160
	s_waitcnt lgkmcnt(0)
	v_mul_f32_e32 v22, v12, v21
	v_mul_f32_e32 v23, v11, v21
	v_fma_f32 v11, v11, v20, -v22
	v_fmac_f32_e32 v23, v12, v20
	v_xor_b32_e32 v20, 0x80000000, v11
	v_xor_b32_e32 v21, 0x80000000, v23
	v_mov_b32_e32 v12, v23
	ds_write_b64 v19, v[20:21]
.LBB162_158:
	s_or_b64 exec, exec, s[8:9]
	v_cmp_gt_u32_e64 s[8:9], 2, v17
	s_and_b64 s[52:53], s[8:9], s[0:1]
	s_waitcnt lgkmcnt(0)
	s_barrier
	s_and_saveexec_b64 s[8:9], s[52:53]
	s_cbranch_execz .LBB162_160
; %bb.159:
	v_lshlrev_b32_e32 v20, 3, v17
	ds_read_b64 v[20:21], v20 offset:30144
	ds_read_b64 v[22:23], v19
	s_waitcnt lgkmcnt(0)
	v_mul_f32_e32 v24, v23, v21
	v_mul_f32_e32 v21, v22, v21
	v_fma_f32 v22, v22, v20, -v24
	v_fmac_f32_e32 v21, v23, v20
	v_sub_f32_e32 v11, v11, v22
	v_sub_f32_e32 v12, v12, v21
.LBB162_160:
	s_or_b64 exec, exec, s[8:9]
	v_cmp_eq_u32_e64 s[8:9], 1, v17
	s_and_b64 s[54:55], s[8:9], s[0:1]
	s_barrier
	s_and_saveexec_b64 s[8:9], s[54:55]
	s_cbranch_execz .LBB162_162
; %bb.161:
	v_mov_b32_e32 v20, 0
	ds_read_b64 v[20:21], v20 offset:29640
	s_waitcnt lgkmcnt(0)
	v_mul_f32_e32 v22, v12, v21
	v_mul_f32_e32 v23, v11, v21
	v_fma_f32 v11, v11, v20, -v22
	v_fmac_f32_e32 v23, v12, v20
	v_xor_b32_e32 v20, 0x80000000, v11
	v_xor_b32_e32 v21, 0x80000000, v23
	v_mov_b32_e32 v12, v23
	ds_write_b64 v19, v[20:21]
.LBB162_162:
	s_or_b64 exec, exec, s[8:9]
	v_cmp_eq_u32_e64 s[8:9], 0, v17
	s_and_b64 s[44:45], s[8:9], s[0:1]
	s_waitcnt lgkmcnt(0)
	s_barrier
	s_and_saveexec_b64 s[0:1], s[44:45]
	s_cbranch_execz .LBB162_164
; %bb.163:
	v_mov_b32_e32 v20, 0
	ds_read_b64 v[20:21], v20 offset:29632
	ds_read_b64 v[22:23], v19
	s_waitcnt lgkmcnt(0)
	v_mul_f32_e32 v24, v23, v21
	v_mul_f32_e32 v21, v22, v21
	v_fma_f32 v22, v22, v20, -v24
	v_fmac_f32_e32 v21, v23, v20
	v_sub_f32_e32 v11, v11, v22
	v_sub_f32_e32 v12, v12, v21
.LBB162_164:
	s_or_b64 exec, exec, s[0:1]
	s_barrier
	s_and_saveexec_b64 s[0:1], s[44:45]
	s_cbranch_execz .LBB162_166
; %bb.165:
	v_mov_b32_e32 v20, 0
	ds_read_b64 v[20:21], v20 offset:29120
	s_waitcnt lgkmcnt(0)
	v_mul_f32_e32 v22, v12, v21
	v_mul_f32_e32 v23, v11, v21
	v_fma_f32 v11, v11, v20, -v22
	v_fmac_f32_e32 v23, v12, v20
	v_xor_b32_e32 v20, 0x80000000, v11
	v_xor_b32_e32 v21, 0x80000000, v23
	v_mov_b32_e32 v12, v23
	ds_write_b64 v19, v[20:21]
.LBB162_166:
	s_or_b64 exec, exec, s[0:1]
	s_waitcnt lgkmcnt(0)
	s_barrier
	s_barrier
	s_and_saveexec_b64 s[0:1], s[18:19]
; %bb.167:
	v_lshlrev_b32_e32 v20, 3, v17
	v_lshl_or_b32 v20, v18, 9, v20
	ds_write_b64 v20, v[11:12] offset:31168
; %bb.168:
	s_or_b64 exec, exec, s[0:1]
	v_cmp_gt_u32_e64 s[8:9], 4, v0
	s_and_b64 s[56:57], s[12:13], s[8:9]
	s_waitcnt lgkmcnt(0)
	s_barrier
	s_barrier
	s_and_saveexec_b64 s[0:1], s[56:57]
	s_cbranch_execz .LBB162_170
; %bb.169:
	v_lshlrev_b32_e32 v20, 9, v0
	ds_read_b64 v[11:12], v20 offset:31168
	s_movk_i32 s8, 0xfe08
	v_mad_i32_i24 v21, v0, s8, v20
	s_waitcnt lgkmcnt(0)
	ds_write_b64 v21, v[11:12] offset:29152
	ds_read_b64 v[11:12], v20 offset:31176
	s_waitcnt lgkmcnt(0)
	ds_write_b64 v21, v[11:12] offset:29664
	ds_read_b64 v[11:12], v20 offset:31184
	;; [unrolled: 3-line block ×3, first 2 shown]
	s_waitcnt lgkmcnt(0)
	ds_write_b64 v21, v[11:12] offset:30688
.LBB162_170:
	s_or_b64 exec, exec, s[0:1]
	s_waitcnt lgkmcnt(0)
	s_barrier
	s_and_saveexec_b64 s[0:1], vcc
	s_cbranch_execz .LBB162_172
; %bb.171:
	s_movk_i32 s8, 0x1d0
	v_mov_b32_e32 v11, 0
	v_add_u32_e64 v20, s8, 0
	ds_read_b64 v[11:12], v11 offset:30680
	ds_read2st64_b64 v[20:23], v20 offset0:58 offset1:59
	s_movk_i32 s8, 0x7000
	s_waitcnt lgkmcnt(0)
	v_mul_f32_e32 v24, v12, v21
	v_mul_f32_e32 v21, v11, v21
	v_fma_f32 v24, v11, v20, -v24
	v_fmac_f32_e32 v21, v12, v20
	v_mul_f32_e32 v11, v21, v23
	v_mul_f32_e32 v12, v24, v23
	v_fma_f32 v11, v24, v22, -v11
	v_fmac_f32_e32 v12, v21, v22
	v_add_u32_e64 v20, s8, 0
	ds_write2_b64 v20, v[11:12], v[11:12] offset0:187 offset1:250
.LBB162_172:
	s_or_b64 exec, exec, s[0:1]
	v_mov_b32_e32 v11, 0
	v_mov_b32_e32 v12, 0
	s_waitcnt lgkmcnt(0)
	s_barrier
	buffer_wbinvl1_vol
	s_and_saveexec_b64 s[0:1], s[2:3]
	s_cbranch_execz .LBB162_176
; %bb.173:
	v_lshlrev_b32_e32 v11, 3, v13
	v_lshlrev_b32_e32 v20, 9, v14
	ds_read_b64 v[11:12], v11 offset:30144
	ds_read_b64 v[20:21], v20 offset:30160
	v_cmp_gt_u32_e64 s[8:9], 2, v16
	s_waitcnt lgkmcnt(0)
	v_mul_f32_e32 v22, v21, v12
	v_mul_f32_e32 v12, v20, v12
	v_fma_f32 v20, v20, v11, -v22
	v_fmac_f32_e32 v12, v21, v11
	v_add_f32_e32 v11, 0, v20
	v_add_f32_e32 v12, 0, v12
	s_and_saveexec_b64 s[10:11], s[8:9]
	s_cbranch_execz .LBB162_175
; %bb.174:
	v_lshlrev_b32_e32 v20, 3, v0
	v_mov_b32_e32 v22, 0
	ds_read_b64 v[20:21], v20 offset:30656
	ds_read_b64 v[22:23], v22 offset:30680
	s_waitcnt lgkmcnt(0)
	v_mul_f32_e32 v24, v23, v21
	v_mul_f32_e32 v21, v22, v21
	v_fma_f32 v22, v22, v20, -v24
	v_fmac_f32_e32 v21, v23, v20
	v_add_f32_e32 v11, v11, v22
	v_add_f32_e32 v12, v12, v21
.LBB162_175:
	s_or_b64 exec, exec, s[10:11]
.LBB162_176:
	s_or_b64 exec, exec, s[0:1]
	s_and_saveexec_b64 s[0:1], s[40:41]
	s_cbranch_execz .LBB162_178
; %bb.177:
	v_mov_b32_e32 v20, 0
	ds_read_b64 v[20:21], v20 offset:29640
	s_waitcnt lgkmcnt(0)
	v_mul_f32_e32 v22, v12, v21
	v_mul_f32_e32 v23, v11, v21
	v_fma_f32 v11, v11, v20, -v22
	v_fmac_f32_e32 v23, v12, v20
	v_xor_b32_e32 v20, 0x80000000, v11
	v_xor_b32_e32 v21, 0x80000000, v23
	v_mov_b32_e32 v12, v23
	ds_write_b64 v15, v[20:21]
.LBB162_178:
	s_or_b64 exec, exec, s[0:1]
	s_waitcnt lgkmcnt(0)
	s_barrier
	s_and_saveexec_b64 s[0:1], s[38:39]
	s_cbranch_execz .LBB162_180
; %bb.179:
	v_mov_b32_e32 v20, 0
	ds_read_b64 v[20:21], v20 offset:29632
	ds_read_b64 v[22:23], v15
	s_waitcnt lgkmcnt(0)
	v_mul_f32_e32 v24, v23, v21
	v_mul_f32_e32 v21, v22, v21
	v_fma_f32 v22, v22, v20, -v24
	v_fmac_f32_e32 v21, v23, v20
	v_sub_f32_e32 v11, v11, v22
	v_sub_f32_e32 v12, v12, v21
.LBB162_180:
	s_or_b64 exec, exec, s[0:1]
	s_barrier
	s_and_saveexec_b64 s[0:1], s[38:39]
	s_cbranch_execz .LBB162_182
; %bb.181:
	v_mov_b32_e32 v20, 0
	ds_read_b64 v[20:21], v20 offset:29120
	s_waitcnt lgkmcnt(0)
	v_mul_f32_e32 v22, v12, v21
	v_mul_f32_e32 v23, v11, v21
	v_fma_f32 v11, v11, v20, -v22
	v_fmac_f32_e32 v23, v12, v20
	v_xor_b32_e32 v20, 0x80000000, v11
	v_xor_b32_e32 v21, 0x80000000, v23
	v_mov_b32_e32 v12, v23
	ds_write_b64 v15, v[20:21]
.LBB162_182:
	s_or_b64 exec, exec, s[0:1]
	s_waitcnt lgkmcnt(0)
	s_barrier
	s_barrier
	s_and_saveexec_b64 s[0:1], s[2:3]
; %bb.183:
	v_lshlrev_b32_e32 v20, 3, v13
	v_lshl_or_b32 v20, v14, 9, v20
	ds_write_b64 v20, v[11:12] offset:30144
; %bb.184:
	s_or_b64 exec, exec, s[0:1]
	s_waitcnt lgkmcnt(0)
	s_barrier
	s_barrier
	s_and_saveexec_b64 s[0:1], s[42:43]
	s_cbranch_execz .LBB162_186
; %bb.185:
	v_lshlrev_b32_e32 v20, 3, v0
	s_movk_i32 s8, 0x1f8
	v_mad_u32_u24 v21, v0, s8, v20
	ds_read_b64 v[11:12], v21 offset:30144
	s_waitcnt lgkmcnt(0)
	ds_write_b64 v20, v[11:12] offset:29136
	ds_read_b64 v[11:12], v21 offset:30152
	s_waitcnt lgkmcnt(0)
	ds_write_b64 v20, v[11:12] offset:29648
.LBB162_186:
	s_or_b64 exec, exec, s[0:1]
	s_waitcnt lgkmcnt(0)
	s_barrier
	s_and_saveexec_b64 s[0:1], vcc
	s_cbranch_execz .LBB162_188
; %bb.187:
	s_movk_i32 s8, 0x1c0
	v_mov_b32_e32 v11, 0
	v_add_u32_e64 v20, s8, 0
	ds_read_b64 v[11:12], v11 offset:29640
	ds_read2st64_b64 v[20:23], v20 offset0:56 offset1:57
	s_movk_i32 s8, 0x7000
	s_waitcnt lgkmcnt(0)
	v_mul_f32_e32 v24, v12, v21
	v_mul_f32_e32 v21, v11, v21
	v_fma_f32 v24, v11, v20, -v24
	v_fmac_f32_e32 v21, v12, v20
	v_mul_f32_e32 v11, v21, v23
	v_mul_f32_e32 v12, v24, v23
	v_fma_f32 v11, v24, v22, -v11
	v_fmac_f32_e32 v12, v21, v22
	v_add_u32_e64 v20, s8, 0
	ds_write2_b64 v20, v[11:12], v[11:12] offset0:57 offset1:120
.LBB162_188:
	s_or_b64 exec, exec, s[0:1]
	v_lshrrev_b32_e32 v22, 3, v16
	v_and_b32_e32 v20, 7, v0
	v_sub_u32_e32 v21, 7, v22
	v_cmp_lt_u32_e64 s[10:11], 63, v16
	v_cmp_gt_u32_e64 s[8:9], 64, v16
	v_mov_b32_e32 v12, 0
	v_mov_b32_e32 v11, 0
	s_waitcnt lgkmcnt(0)
	s_barrier
	buffer_wbinvl1_vol
	s_and_saveexec_b64 s[0:1], s[8:9]
	s_cbranch_execz .LBB162_198
; %bb.189:
	v_lshlrev_b32_e32 v23, 3, v20
	v_lshlrev_b32_e32 v24, 9, v21
	ds_read_b64 v[11:12], v23 offset:29056
	ds_read_b64 v[25:26], v24 offset:29120
	v_cmp_gt_u32_e64 s[14:15], 56, v16
	s_waitcnt lgkmcnt(0)
	v_mul_f32_e32 v27, v26, v12
	v_mul_f32_e32 v12, v25, v12
	v_fma_f32 v25, v25, v11, -v27
	v_fmac_f32_e32 v12, v26, v11
	v_add_f32_e32 v11, 0, v25
	v_add_f32_e32 v12, 0, v12
	s_and_saveexec_b64 s[16:17], s[14:15]
	s_cbranch_execnz .LBB162_1127
; %bb.190:
	s_or_b64 exec, exec, s[16:17]
	v_cmp_gt_u32_e64 s[14:15], 48, v16
	s_and_saveexec_b64 s[16:17], s[14:15]
	s_cbranch_execnz .LBB162_1128
.LBB162_191:
	s_or_b64 exec, exec, s[16:17]
	v_cmp_gt_u32_e64 s[14:15], 40, v16
	s_and_saveexec_b64 s[16:17], s[14:15]
	s_cbranch_execnz .LBB162_1129
.LBB162_192:
	s_or_b64 exec, exec, s[16:17]
	v_cmp_gt_u32_e64 s[14:15], 32, v16
	s_and_saveexec_b64 s[16:17], s[14:15]
	s_cbranch_execnz .LBB162_1130
.LBB162_193:
	s_or_b64 exec, exec, s[16:17]
	v_cmp_gt_u32_e64 s[14:15], 24, v16
	s_and_saveexec_b64 s[16:17], s[14:15]
	s_cbranch_execnz .LBB162_1131
.LBB162_194:
	s_or_b64 exec, exec, s[16:17]
	s_and_saveexec_b64 s[14:15], s[18:19]
	s_cbranch_execnz .LBB162_1132
.LBB162_195:
	s_or_b64 exec, exec, s[14:15]
	v_cmp_gt_u32_e64 s[14:15], 8, v16
	s_and_saveexec_b64 s[16:17], s[14:15]
	s_cbranch_execz .LBB162_197
.LBB162_196:
	v_lshlrev_b32_e32 v23, 3, v0
	v_mov_b32_e32 v25, 0
	ds_read_b64 v[23:24], v23 offset:32640
	ds_read_b64 v[25:26], v25 offset:32760
	s_waitcnt lgkmcnt(0)
	v_mul_f32_e32 v27, v26, v24
	v_mul_f32_e32 v24, v25, v24
	v_fma_f32 v25, v25, v23, -v27
	v_fmac_f32_e32 v24, v26, v23
	v_add_f32_e32 v11, v11, v25
	v_add_f32_e32 v12, v12, v24
.LBB162_197:
	s_or_b64 exec, exec, s[16:17]
.LBB162_198:
	s_or_b64 exec, exec, s[0:1]
	v_mov_b32_e32 v23, 0x8000
	v_cmp_eq_u32_e64 s[14:15], 7, v20
	s_xor_b64 s[0:1], s[10:11], -1
	v_lshl_add_u32 v22, v22, 3, v23
	s_and_b64 s[60:61], s[14:15], s[0:1]
	s_and_saveexec_b64 s[10:11], s[60:61]
	s_cbranch_execz .LBB162_200
; %bb.199:
	v_mov_b32_e32 v23, 0
	ds_read_b64 v[23:24], v23 offset:28600
	s_waitcnt lgkmcnt(0)
	v_mul_f32_e32 v25, v12, v24
	v_mul_f32_e32 v26, v11, v24
	v_fma_f32 v11, v11, v23, -v25
	v_fmac_f32_e32 v26, v12, v23
	v_xor_b32_e32 v23, 0x80000000, v11
	v_xor_b32_e32 v24, 0x80000000, v26
	v_mov_b32_e32 v12, v26
	ds_write_b64 v22, v[23:24]
.LBB162_200:
	s_or_b64 exec, exec, s[10:11]
	v_cmp_ne_u32_e64 s[10:11], 7, v20
	s_and_b64 s[62:63], s[10:11], s[0:1]
	s_waitcnt lgkmcnt(0)
	s_barrier
	s_and_saveexec_b64 s[10:11], s[62:63]
	s_cbranch_execz .LBB162_202
; %bb.201:
	v_lshlrev_b32_e32 v23, 3, v20
	ds_read_b64 v[23:24], v23 offset:28544
	ds_read_b64 v[25:26], v22
	s_waitcnt lgkmcnt(0)
	v_mul_f32_e32 v27, v26, v24
	v_mul_f32_e32 v24, v25, v24
	v_fma_f32 v25, v25, v23, -v27
	v_fmac_f32_e32 v24, v26, v23
	v_sub_f32_e32 v11, v11, v25
	v_sub_f32_e32 v12, v12, v24
.LBB162_202:
	s_or_b64 exec, exec, s[10:11]
	v_cmp_eq_u32_e64 s[10:11], 6, v20
	s_and_b64 s[64:65], s[10:11], s[0:1]
	s_barrier
	s_and_saveexec_b64 s[10:11], s[64:65]
	s_cbranch_execz .LBB162_204
; %bb.203:
	v_mov_b32_e32 v23, 0
	ds_read_b64 v[23:24], v23 offset:28080
	s_waitcnt lgkmcnt(0)
	v_mul_f32_e32 v25, v12, v24
	v_mul_f32_e32 v26, v11, v24
	v_fma_f32 v11, v11, v23, -v25
	v_fmac_f32_e32 v26, v12, v23
	v_xor_b32_e32 v23, 0x80000000, v11
	v_xor_b32_e32 v24, 0x80000000, v26
	v_mov_b32_e32 v12, v26
	ds_write_b64 v22, v[23:24]
.LBB162_204:
	s_or_b64 exec, exec, s[10:11]
	v_cmp_gt_u32_e64 s[10:11], 6, v20
	s_and_b64 s[66:67], s[10:11], s[0:1]
	s_waitcnt lgkmcnt(0)
	s_barrier
	s_and_saveexec_b64 s[10:11], s[66:67]
	s_cbranch_execz .LBB162_206
; %bb.205:
	v_lshlrev_b32_e32 v23, 3, v20
	ds_read_b64 v[23:24], v23 offset:28032
	ds_read_b64 v[25:26], v22
	s_waitcnt lgkmcnt(0)
	v_mul_f32_e32 v27, v26, v24
	v_mul_f32_e32 v24, v25, v24
	v_fma_f32 v25, v25, v23, -v27
	v_fmac_f32_e32 v24, v26, v23
	v_sub_f32_e32 v11, v11, v25
	v_sub_f32_e32 v12, v12, v24
.LBB162_206:
	s_or_b64 exec, exec, s[10:11]
	v_cmp_eq_u32_e64 s[10:11], 5, v20
	s_and_b64 s[68:69], s[10:11], s[0:1]
	s_barrier
	s_and_saveexec_b64 s[10:11], s[68:69]
	s_cbranch_execz .LBB162_208
; %bb.207:
	v_mov_b32_e32 v23, 0
	ds_read_b64 v[23:24], v23 offset:27560
	s_waitcnt lgkmcnt(0)
	v_mul_f32_e32 v25, v12, v24
	v_mul_f32_e32 v26, v11, v24
	v_fma_f32 v11, v11, v23, -v25
	v_fmac_f32_e32 v26, v12, v23
	v_xor_b32_e32 v23, 0x80000000, v11
	v_xor_b32_e32 v24, 0x80000000, v26
	v_mov_b32_e32 v12, v26
	ds_write_b64 v22, v[23:24]
.LBB162_208:
	s_or_b64 exec, exec, s[10:11]
	v_cmp_gt_u32_e64 s[10:11], 5, v20
	s_and_b64 s[70:71], s[10:11], s[0:1]
	s_waitcnt lgkmcnt(0)
	s_barrier
	s_and_saveexec_b64 s[10:11], s[70:71]
	s_cbranch_execz .LBB162_210
; %bb.209:
	v_lshlrev_b32_e32 v23, 3, v20
	ds_read_b64 v[23:24], v23 offset:27520
	ds_read_b64 v[25:26], v22
	s_waitcnt lgkmcnt(0)
	v_mul_f32_e32 v27, v26, v24
	v_mul_f32_e32 v24, v25, v24
	v_fma_f32 v25, v25, v23, -v27
	v_fmac_f32_e32 v24, v26, v23
	v_sub_f32_e32 v11, v11, v25
	v_sub_f32_e32 v12, v12, v24
.LBB162_210:
	s_or_b64 exec, exec, s[10:11]
	v_cmp_eq_u32_e64 s[10:11], 4, v20
	s_and_b64 s[72:73], s[10:11], s[0:1]
	s_barrier
	s_and_saveexec_b64 s[10:11], s[72:73]
	s_cbranch_execz .LBB162_212
; %bb.211:
	v_mov_b32_e32 v23, 0
	ds_read_b64 v[23:24], v23 offset:27040
	s_waitcnt lgkmcnt(0)
	v_mul_f32_e32 v25, v12, v24
	v_mul_f32_e32 v26, v11, v24
	v_fma_f32 v11, v11, v23, -v25
	v_fmac_f32_e32 v26, v12, v23
	v_xor_b32_e32 v23, 0x80000000, v11
	v_xor_b32_e32 v24, 0x80000000, v26
	v_mov_b32_e32 v12, v26
	ds_write_b64 v22, v[23:24]
.LBB162_212:
	s_or_b64 exec, exec, s[10:11]
	v_cmp_gt_u32_e64 s[10:11], 4, v20
	s_and_b64 s[74:75], s[10:11], s[0:1]
	s_waitcnt lgkmcnt(0)
	s_barrier
	s_and_saveexec_b64 s[10:11], s[74:75]
	s_cbranch_execz .LBB162_214
; %bb.213:
	v_lshlrev_b32_e32 v23, 3, v20
	ds_read_b64 v[23:24], v23 offset:27008
	ds_read_b64 v[25:26], v22
	s_waitcnt lgkmcnt(0)
	v_mul_f32_e32 v27, v26, v24
	v_mul_f32_e32 v24, v25, v24
	v_fma_f32 v25, v25, v23, -v27
	v_fmac_f32_e32 v24, v26, v23
	v_sub_f32_e32 v11, v11, v25
	v_sub_f32_e32 v12, v12, v24
.LBB162_214:
	s_or_b64 exec, exec, s[10:11]
	v_cmp_eq_u32_e64 s[10:11], 3, v20
	s_and_b64 s[76:77], s[10:11], s[0:1]
	s_barrier
	s_and_saveexec_b64 s[10:11], s[76:77]
	s_cbranch_execz .LBB162_216
; %bb.215:
	v_mov_b32_e32 v23, 0
	ds_read_b64 v[23:24], v23 offset:26520
	s_waitcnt lgkmcnt(0)
	v_mul_f32_e32 v25, v12, v24
	v_mul_f32_e32 v26, v11, v24
	v_fma_f32 v11, v11, v23, -v25
	v_fmac_f32_e32 v26, v12, v23
	v_xor_b32_e32 v23, 0x80000000, v11
	v_xor_b32_e32 v24, 0x80000000, v26
	v_mov_b32_e32 v12, v26
	ds_write_b64 v22, v[23:24]
.LBB162_216:
	s_or_b64 exec, exec, s[10:11]
	v_cmp_gt_u32_e64 s[10:11], 3, v20
	s_and_b64 s[78:79], s[10:11], s[0:1]
	s_waitcnt lgkmcnt(0)
	s_barrier
	s_and_saveexec_b64 s[10:11], s[78:79]
	s_cbranch_execz .LBB162_218
; %bb.217:
	v_lshlrev_b32_e32 v23, 3, v20
	ds_read_b64 v[23:24], v23 offset:26496
	ds_read_b64 v[25:26], v22
	s_waitcnt lgkmcnt(0)
	v_mul_f32_e32 v27, v26, v24
	v_mul_f32_e32 v24, v25, v24
	v_fma_f32 v25, v25, v23, -v27
	v_fmac_f32_e32 v24, v26, v23
	v_sub_f32_e32 v11, v11, v25
	v_sub_f32_e32 v12, v12, v24
.LBB162_218:
	s_or_b64 exec, exec, s[10:11]
	v_cmp_eq_u32_e64 s[10:11], 2, v20
	s_and_b64 s[80:81], s[10:11], s[0:1]
	s_barrier
	s_and_saveexec_b64 s[10:11], s[80:81]
	s_cbranch_execz .LBB162_220
; %bb.219:
	v_mov_b32_e32 v23, 0
	ds_read_b64 v[23:24], v23 offset:26000
	s_waitcnt lgkmcnt(0)
	v_mul_f32_e32 v25, v12, v24
	v_mul_f32_e32 v26, v11, v24
	v_fma_f32 v11, v11, v23, -v25
	v_fmac_f32_e32 v26, v12, v23
	v_xor_b32_e32 v23, 0x80000000, v11
	v_xor_b32_e32 v24, 0x80000000, v26
	v_mov_b32_e32 v12, v26
	ds_write_b64 v22, v[23:24]
.LBB162_220:
	s_or_b64 exec, exec, s[10:11]
	v_cmp_gt_u32_e64 s[10:11], 2, v20
	s_and_b64 s[82:83], s[10:11], s[0:1]
	s_waitcnt lgkmcnt(0)
	s_barrier
	s_and_saveexec_b64 s[10:11], s[82:83]
	s_cbranch_execz .LBB162_222
; %bb.221:
	v_lshlrev_b32_e32 v23, 3, v20
	ds_read_b64 v[23:24], v23 offset:25984
	ds_read_b64 v[25:26], v22
	s_waitcnt lgkmcnt(0)
	v_mul_f32_e32 v27, v26, v24
	v_mul_f32_e32 v24, v25, v24
	v_fma_f32 v25, v25, v23, -v27
	v_fmac_f32_e32 v24, v26, v23
	v_sub_f32_e32 v11, v11, v25
	v_sub_f32_e32 v12, v12, v24
.LBB162_222:
	s_or_b64 exec, exec, s[10:11]
	v_cmp_eq_u32_e64 s[10:11], 1, v20
	s_and_b64 s[84:85], s[10:11], s[0:1]
	s_barrier
	s_and_saveexec_b64 s[10:11], s[84:85]
	s_cbranch_execz .LBB162_224
; %bb.223:
	v_mov_b32_e32 v23, 0
	ds_read_b64 v[23:24], v23 offset:25480
	s_waitcnt lgkmcnt(0)
	v_mul_f32_e32 v25, v12, v24
	v_mul_f32_e32 v26, v11, v24
	v_fma_f32 v11, v11, v23, -v25
	v_fmac_f32_e32 v26, v12, v23
	v_xor_b32_e32 v23, 0x80000000, v11
	v_xor_b32_e32 v24, 0x80000000, v26
	v_mov_b32_e32 v12, v26
	ds_write_b64 v22, v[23:24]
.LBB162_224:
	s_or_b64 exec, exec, s[10:11]
	v_cmp_eq_u32_e64 s[10:11], 0, v20
	s_and_b64 s[58:59], s[10:11], s[0:1]
	s_waitcnt lgkmcnt(0)
	s_barrier
	s_and_saveexec_b64 s[0:1], s[58:59]
	s_cbranch_execz .LBB162_226
; %bb.225:
	v_mov_b32_e32 v23, 0
	ds_read_b64 v[23:24], v23 offset:25472
	ds_read_b64 v[25:26], v22
	s_waitcnt lgkmcnt(0)
	v_mul_f32_e32 v27, v26, v24
	v_mul_f32_e32 v24, v25, v24
	v_fma_f32 v25, v25, v23, -v27
	v_fmac_f32_e32 v24, v26, v23
	v_sub_f32_e32 v11, v11, v25
	v_sub_f32_e32 v12, v12, v24
.LBB162_226:
	s_or_b64 exec, exec, s[0:1]
	s_barrier
	s_and_saveexec_b64 s[0:1], s[58:59]
	s_cbranch_execz .LBB162_228
; %bb.227:
	v_mov_b32_e32 v23, 0
	ds_read_b64 v[23:24], v23 offset:24960
	s_waitcnt lgkmcnt(0)
	v_mul_f32_e32 v25, v12, v24
	v_mul_f32_e32 v26, v11, v24
	v_fma_f32 v11, v11, v23, -v25
	v_fmac_f32_e32 v26, v12, v23
	v_xor_b32_e32 v23, 0x80000000, v11
	v_xor_b32_e32 v24, 0x80000000, v26
	v_mov_b32_e32 v12, v26
	ds_write_b64 v22, v[23:24]
.LBB162_228:
	s_or_b64 exec, exec, s[0:1]
	s_waitcnt lgkmcnt(0)
	s_barrier
	s_barrier
	s_and_saveexec_b64 s[0:1], s[8:9]
; %bb.229:
	v_lshlrev_b32_e32 v23, 3, v20
	v_lshl_or_b32 v23, v21, 9, v23
	ds_write_b64 v23, v[11:12] offset:29056
; %bb.230:
	s_or_b64 exec, exec, s[0:1]
	v_cmp_gt_u32_e64 s[10:11], 8, v0
	s_and_b64 s[86:87], s[12:13], s[10:11]
	s_waitcnt lgkmcnt(0)
	s_barrier
	s_barrier
	s_and_saveexec_b64 s[0:1], s[86:87]
	s_cbranch_execz .LBB162_232
; %bb.231:
	v_lshlrev_b32_e32 v23, 9, v0
	ds_read_b64 v[11:12], v23 offset:29056
	s_movk_i32 s10, 0xfe08
	v_mad_i32_i24 v24, v0, s10, v23
	s_waitcnt lgkmcnt(0)
	ds_write_b64 v24, v[11:12] offset:25024
	ds_read_b64 v[11:12], v23 offset:29064
	s_waitcnt lgkmcnt(0)
	ds_write_b64 v24, v[11:12] offset:25536
	ds_read_b64 v[11:12], v23 offset:29072
	;; [unrolled: 3-line block ×7, first 2 shown]
	s_waitcnt lgkmcnt(0)
	ds_write_b64 v24, v[11:12] offset:28608
.LBB162_232:
	s_or_b64 exec, exec, s[0:1]
	s_waitcnt lgkmcnt(0)
	s_barrier
	s_and_saveexec_b64 s[0:1], vcc
	s_cbranch_execz .LBB162_234
; %bb.233:
	s_movk_i32 s10, 0x1b0
	v_mov_b32_e32 v11, 0
	v_add_u32_e64 v23, s10, 0
	ds_read_b64 v[11:12], v11 offset:28600
	ds_read2st64_b64 v[23:26], v23 offset0:54 offset1:55
	s_movk_i32 s10, 0x6800
	s_waitcnt lgkmcnt(0)
	v_mul_f32_e32 v27, v12, v24
	v_mul_f32_e32 v24, v11, v24
	v_fma_f32 v27, v11, v23, -v27
	v_fmac_f32_e32 v24, v12, v23
	v_mul_f32_e32 v11, v24, v26
	v_mul_f32_e32 v12, v27, v26
	v_fma_f32 v11, v27, v25, -v11
	v_fmac_f32_e32 v12, v24, v25
	v_add_u32_e64 v23, s10, 0
	ds_write2_b64 v23, v[11:12], v[11:12] offset0:183 offset1:246
.LBB162_234:
	s_or_b64 exec, exec, s[0:1]
	v_mov_b32_e32 v11, 0
	v_mov_b32_e32 v12, 0
	s_waitcnt lgkmcnt(0)
	s_barrier
	buffer_wbinvl1_vol
	s_and_saveexec_b64 s[0:1], s[2:3]
	s_cbranch_execz .LBB162_238
; %bb.235:
	v_lshlrev_b32_e32 v11, 3, v13
	v_lshlrev_b32_e32 v23, 9, v14
	ds_read_b64 v[11:12], v11 offset:28064
	ds_read_b64 v[23:24], v23 offset:28080
	v_cmp_gt_u32_e64 s[10:11], 2, v16
	s_waitcnt lgkmcnt(0)
	v_mul_f32_e32 v25, v24, v12
	v_mul_f32_e32 v12, v23, v12
	v_fma_f32 v23, v23, v11, -v25
	v_fmac_f32_e32 v12, v24, v11
	v_add_f32_e32 v11, 0, v23
	v_add_f32_e32 v12, 0, v12
	s_and_saveexec_b64 s[14:15], s[10:11]
	s_cbranch_execz .LBB162_237
; %bb.236:
	v_lshlrev_b32_e32 v23, 3, v0
	v_mov_b32_e32 v25, 0
	ds_read_b64 v[23:24], v23 offset:28576
	ds_read_b64 v[25:26], v25 offset:28600
	s_waitcnt lgkmcnt(0)
	v_mul_f32_e32 v27, v26, v24
	v_mul_f32_e32 v24, v25, v24
	v_fma_f32 v25, v25, v23, -v27
	v_fmac_f32_e32 v24, v26, v23
	v_add_f32_e32 v11, v11, v25
	v_add_f32_e32 v12, v12, v24
.LBB162_237:
	s_or_b64 exec, exec, s[14:15]
.LBB162_238:
	s_or_b64 exec, exec, s[0:1]
	s_and_saveexec_b64 s[0:1], s[40:41]
	s_cbranch_execz .LBB162_240
; %bb.239:
	v_mov_b32_e32 v23, 0
	ds_read_b64 v[23:24], v23 offset:27560
	s_waitcnt lgkmcnt(0)
	v_mul_f32_e32 v25, v12, v24
	v_mul_f32_e32 v26, v11, v24
	v_fma_f32 v11, v11, v23, -v25
	v_fmac_f32_e32 v26, v12, v23
	v_xor_b32_e32 v23, 0x80000000, v11
	v_xor_b32_e32 v24, 0x80000000, v26
	v_mov_b32_e32 v12, v26
	ds_write_b64 v15, v[23:24]
.LBB162_240:
	s_or_b64 exec, exec, s[0:1]
	s_waitcnt lgkmcnt(0)
	s_barrier
	s_and_saveexec_b64 s[0:1], s[38:39]
	s_cbranch_execz .LBB162_242
; %bb.241:
	v_mov_b32_e32 v23, 0
	ds_read_b64 v[23:24], v23 offset:27552
	ds_read_b64 v[25:26], v15
	s_waitcnt lgkmcnt(0)
	v_mul_f32_e32 v27, v26, v24
	v_mul_f32_e32 v24, v25, v24
	v_fma_f32 v25, v25, v23, -v27
	v_fmac_f32_e32 v24, v26, v23
	v_sub_f32_e32 v11, v11, v25
	v_sub_f32_e32 v12, v12, v24
.LBB162_242:
	s_or_b64 exec, exec, s[0:1]
	s_barrier
	s_and_saveexec_b64 s[0:1], s[38:39]
	s_cbranch_execz .LBB162_244
; %bb.243:
	v_mov_b32_e32 v23, 0
	ds_read_b64 v[23:24], v23 offset:27040
	s_waitcnt lgkmcnt(0)
	v_mul_f32_e32 v25, v12, v24
	v_mul_f32_e32 v26, v11, v24
	v_fma_f32 v11, v11, v23, -v25
	v_fmac_f32_e32 v26, v12, v23
	v_xor_b32_e32 v23, 0x80000000, v11
	v_xor_b32_e32 v24, 0x80000000, v26
	v_mov_b32_e32 v12, v26
	ds_write_b64 v15, v[23:24]
.LBB162_244:
	s_or_b64 exec, exec, s[0:1]
	s_waitcnt lgkmcnt(0)
	s_barrier
	s_barrier
	s_and_saveexec_b64 s[0:1], s[2:3]
; %bb.245:
	v_lshlrev_b32_e32 v23, 3, v13
	v_lshl_or_b32 v23, v14, 9, v23
	ds_write_b64 v23, v[11:12] offset:28064
; %bb.246:
	s_or_b64 exec, exec, s[0:1]
	s_waitcnt lgkmcnt(0)
	s_barrier
	s_barrier
	s_and_saveexec_b64 s[0:1], s[42:43]
	s_cbranch_execz .LBB162_248
; %bb.247:
	v_lshlrev_b32_e32 v23, 3, v0
	s_movk_i32 s10, 0x1f8
	v_mad_u32_u24 v24, v0, s10, v23
	ds_read_b64 v[11:12], v24 offset:28064
	s_waitcnt lgkmcnt(0)
	ds_write_b64 v23, v[11:12] offset:27056
	ds_read_b64 v[11:12], v24 offset:28072
	s_waitcnt lgkmcnt(0)
	ds_write_b64 v23, v[11:12] offset:27568
.LBB162_248:
	s_or_b64 exec, exec, s[0:1]
	s_waitcnt lgkmcnt(0)
	s_barrier
	s_and_saveexec_b64 s[0:1], vcc
	s_cbranch_execz .LBB162_250
; %bb.249:
	s_movk_i32 s10, 0x1a0
	v_mov_b32_e32 v11, 0
	v_add_u32_e64 v23, s10, 0
	ds_read_b64 v[11:12], v11 offset:27560
	ds_read2st64_b64 v[23:26], v23 offset0:52 offset1:53
	s_movk_i32 s10, 0x6800
	s_waitcnt lgkmcnt(0)
	v_mul_f32_e32 v27, v12, v24
	v_mul_f32_e32 v24, v11, v24
	v_fma_f32 v27, v11, v23, -v27
	v_fmac_f32_e32 v24, v12, v23
	v_mul_f32_e32 v11, v24, v26
	v_mul_f32_e32 v12, v27, v26
	v_fma_f32 v11, v27, v25, -v11
	v_fmac_f32_e32 v12, v24, v25
	v_add_u32_e64 v23, s10, 0
	ds_write2_b64 v23, v[11:12], v[11:12] offset0:53 offset1:116
.LBB162_250:
	s_or_b64 exec, exec, s[0:1]
	v_mov_b32_e32 v12, 0
	v_mov_b32_e32 v11, 0
	s_waitcnt lgkmcnt(0)
	s_barrier
	buffer_wbinvl1_vol
	s_and_saveexec_b64 s[0:1], s[18:19]
	s_cbranch_execz .LBB162_256
; %bb.251:
	v_lshlrev_b32_e32 v23, 3, v17
	v_lshlrev_b32_e32 v24, 9, v18
	ds_read_b64 v[11:12], v23 offset:27008
	ds_read_b64 v[25:26], v24 offset:27040
	v_cmp_gt_u32_e64 s[10:11], 12, v16
	s_waitcnt lgkmcnt(0)
	v_mul_f32_e32 v27, v26, v12
	v_mul_f32_e32 v12, v25, v12
	v_fma_f32 v25, v25, v11, -v27
	v_fmac_f32_e32 v12, v26, v11
	v_add_f32_e32 v11, 0, v25
	v_add_f32_e32 v12, 0, v12
	s_and_saveexec_b64 s[14:15], s[10:11]
	s_cbranch_execnz .LBB162_1133
; %bb.252:
	s_or_b64 exec, exec, s[14:15]
	v_cmp_gt_u32_e64 s[10:11], 8, v16
	s_and_saveexec_b64 s[14:15], s[10:11]
	s_cbranch_execnz .LBB162_1134
.LBB162_253:
	s_or_b64 exec, exec, s[14:15]
	v_cmp_gt_u32_e64 s[10:11], 4, v16
	s_and_saveexec_b64 s[14:15], s[10:11]
	s_cbranch_execz .LBB162_255
.LBB162_254:
	v_lshlrev_b32_e32 v23, 3, v0
	v_mov_b32_e32 v25, 0
	ds_read_b64 v[23:24], v23 offset:28544
	ds_read_b64 v[25:26], v25 offset:28600
	s_waitcnt lgkmcnt(0)
	v_mul_f32_e32 v27, v26, v24
	v_mul_f32_e32 v24, v25, v24
	v_fma_f32 v25, v25, v23, -v27
	v_fmac_f32_e32 v24, v26, v23
	v_add_f32_e32 v11, v11, v25
	v_add_f32_e32 v12, v12, v24
.LBB162_255:
	s_or_b64 exec, exec, s[14:15]
.LBB162_256:
	s_or_b64 exec, exec, s[0:1]
	s_and_saveexec_b64 s[0:1], s[46:47]
	s_cbranch_execz .LBB162_258
; %bb.257:
	v_mov_b32_e32 v23, 0
	ds_read_b64 v[23:24], v23 offset:26520
	s_waitcnt lgkmcnt(0)
	v_mul_f32_e32 v25, v12, v24
	v_mul_f32_e32 v26, v11, v24
	v_fma_f32 v11, v11, v23, -v25
	v_fmac_f32_e32 v26, v12, v23
	v_xor_b32_e32 v23, 0x80000000, v11
	v_xor_b32_e32 v24, 0x80000000, v26
	v_mov_b32_e32 v12, v26
	ds_write_b64 v19, v[23:24]
.LBB162_258:
	s_or_b64 exec, exec, s[0:1]
	s_waitcnt lgkmcnt(0)
	s_barrier
	s_and_saveexec_b64 s[0:1], s[48:49]
	s_cbranch_execz .LBB162_260
; %bb.259:
	v_lshlrev_b32_e32 v23, 3, v17
	ds_read_b64 v[23:24], v23 offset:26496
	ds_read_b64 v[25:26], v19
	s_waitcnt lgkmcnt(0)
	v_mul_f32_e32 v27, v26, v24
	v_mul_f32_e32 v24, v25, v24
	v_fma_f32 v25, v25, v23, -v27
	v_fmac_f32_e32 v24, v26, v23
	v_sub_f32_e32 v11, v11, v25
	v_sub_f32_e32 v12, v12, v24
.LBB162_260:
	s_or_b64 exec, exec, s[0:1]
	s_barrier
	s_and_saveexec_b64 s[0:1], s[50:51]
	s_cbranch_execz .LBB162_262
; %bb.261:
	v_mov_b32_e32 v23, 0
	ds_read_b64 v[23:24], v23 offset:26000
	s_waitcnt lgkmcnt(0)
	v_mul_f32_e32 v25, v12, v24
	v_mul_f32_e32 v26, v11, v24
	v_fma_f32 v11, v11, v23, -v25
	v_fmac_f32_e32 v26, v12, v23
	v_xor_b32_e32 v23, 0x80000000, v11
	v_xor_b32_e32 v24, 0x80000000, v26
	v_mov_b32_e32 v12, v26
	ds_write_b64 v19, v[23:24]
.LBB162_262:
	s_or_b64 exec, exec, s[0:1]
	s_waitcnt lgkmcnt(0)
	s_barrier
	s_and_saveexec_b64 s[0:1], s[52:53]
	s_cbranch_execz .LBB162_264
; %bb.263:
	v_lshlrev_b32_e32 v23, 3, v17
	ds_read_b64 v[23:24], v23 offset:25984
	ds_read_b64 v[25:26], v19
	s_waitcnt lgkmcnt(0)
	v_mul_f32_e32 v27, v26, v24
	v_mul_f32_e32 v24, v25, v24
	v_fma_f32 v25, v25, v23, -v27
	v_fmac_f32_e32 v24, v26, v23
	v_sub_f32_e32 v11, v11, v25
	v_sub_f32_e32 v12, v12, v24
.LBB162_264:
	s_or_b64 exec, exec, s[0:1]
	s_barrier
	s_and_saveexec_b64 s[0:1], s[54:55]
	s_cbranch_execz .LBB162_266
; %bb.265:
	v_mov_b32_e32 v23, 0
	ds_read_b64 v[23:24], v23 offset:25480
	s_waitcnt lgkmcnt(0)
	v_mul_f32_e32 v25, v12, v24
	v_mul_f32_e32 v26, v11, v24
	v_fma_f32 v11, v11, v23, -v25
	v_fmac_f32_e32 v26, v12, v23
	v_xor_b32_e32 v23, 0x80000000, v11
	v_xor_b32_e32 v24, 0x80000000, v26
	v_mov_b32_e32 v12, v26
	ds_write_b64 v19, v[23:24]
.LBB162_266:
	s_or_b64 exec, exec, s[0:1]
	s_waitcnt lgkmcnt(0)
	s_barrier
	s_and_saveexec_b64 s[0:1], s[44:45]
	s_cbranch_execz .LBB162_268
; %bb.267:
	v_mov_b32_e32 v23, 0
	ds_read_b64 v[23:24], v23 offset:25472
	ds_read_b64 v[25:26], v19
	s_waitcnt lgkmcnt(0)
	v_mul_f32_e32 v27, v26, v24
	v_mul_f32_e32 v24, v25, v24
	v_fma_f32 v25, v25, v23, -v27
	v_fmac_f32_e32 v24, v26, v23
	v_sub_f32_e32 v11, v11, v25
	v_sub_f32_e32 v12, v12, v24
.LBB162_268:
	s_or_b64 exec, exec, s[0:1]
	s_barrier
	s_and_saveexec_b64 s[0:1], s[44:45]
	s_cbranch_execz .LBB162_270
; %bb.269:
	v_mov_b32_e32 v23, 0
	ds_read_b64 v[23:24], v23 offset:24960
	s_waitcnt lgkmcnt(0)
	v_mul_f32_e32 v25, v12, v24
	v_mul_f32_e32 v26, v11, v24
	v_fma_f32 v11, v11, v23, -v25
	v_fmac_f32_e32 v26, v12, v23
	v_xor_b32_e32 v23, 0x80000000, v11
	v_xor_b32_e32 v24, 0x80000000, v26
	v_mov_b32_e32 v12, v26
	ds_write_b64 v19, v[23:24]
.LBB162_270:
	s_or_b64 exec, exec, s[0:1]
	s_waitcnt lgkmcnt(0)
	s_barrier
	s_barrier
	s_and_saveexec_b64 s[0:1], s[18:19]
; %bb.271:
	v_lshlrev_b32_e32 v23, 3, v17
	v_lshl_or_b32 v23, v18, 9, v23
	ds_write_b64 v23, v[11:12] offset:27008
; %bb.272:
	s_or_b64 exec, exec, s[0:1]
	s_waitcnt lgkmcnt(0)
	s_barrier
	s_barrier
	s_and_saveexec_b64 s[0:1], s[56:57]
	s_cbranch_execz .LBB162_274
; %bb.273:
	v_lshlrev_b32_e32 v23, 9, v0
	ds_read_b64 v[11:12], v23 offset:27008
	s_movk_i32 s10, 0xfe08
	v_mad_i32_i24 v24, v0, s10, v23
	s_waitcnt lgkmcnt(0)
	ds_write_b64 v24, v[11:12] offset:24992
	ds_read_b64 v[11:12], v23 offset:27016
	s_waitcnt lgkmcnt(0)
	ds_write_b64 v24, v[11:12] offset:25504
	ds_read_b64 v[11:12], v23 offset:27024
	;; [unrolled: 3-line block ×3, first 2 shown]
	s_waitcnt lgkmcnt(0)
	ds_write_b64 v24, v[11:12] offset:26528
.LBB162_274:
	s_or_b64 exec, exec, s[0:1]
	s_waitcnt lgkmcnt(0)
	s_barrier
	s_and_saveexec_b64 s[0:1], vcc
	s_cbranch_execz .LBB162_276
; %bb.275:
	s_movk_i32 s10, 0x190
	v_mov_b32_e32 v11, 0
	v_add_u32_e64 v23, s10, 0
	ds_read_b64 v[11:12], v11 offset:26520
	ds_read2st64_b64 v[23:26], v23 offset0:50 offset1:51
	s_movk_i32 s10, 0x6000
	s_waitcnt lgkmcnt(0)
	v_mul_f32_e32 v27, v12, v24
	v_mul_f32_e32 v24, v11, v24
	v_fma_f32 v27, v11, v23, -v27
	v_fmac_f32_e32 v24, v12, v23
	v_mul_f32_e32 v11, v24, v26
	v_mul_f32_e32 v12, v27, v26
	v_fma_f32 v11, v27, v25, -v11
	v_fmac_f32_e32 v12, v24, v25
	v_add_u32_e64 v23, s10, 0
	ds_write2_b64 v23, v[11:12], v[11:12] offset0:179 offset1:242
.LBB162_276:
	s_or_b64 exec, exec, s[0:1]
	v_mov_b32_e32 v11, 0
	v_mov_b32_e32 v12, 0
	s_waitcnt lgkmcnt(0)
	s_barrier
	buffer_wbinvl1_vol
	s_and_saveexec_b64 s[0:1], s[2:3]
	s_cbranch_execz .LBB162_280
; %bb.277:
	v_lshlrev_b32_e32 v11, 3, v13
	v_lshlrev_b32_e32 v23, 9, v14
	ds_read_b64 v[11:12], v11 offset:25984
	ds_read_b64 v[23:24], v23 offset:26000
	v_cmp_gt_u32_e64 s[10:11], 2, v16
	s_waitcnt lgkmcnt(0)
	v_mul_f32_e32 v25, v24, v12
	v_mul_f32_e32 v12, v23, v12
	v_fma_f32 v23, v23, v11, -v25
	v_fmac_f32_e32 v12, v24, v11
	v_add_f32_e32 v11, 0, v23
	v_add_f32_e32 v12, 0, v12
	s_and_saveexec_b64 s[14:15], s[10:11]
	s_cbranch_execz .LBB162_279
; %bb.278:
	v_lshlrev_b32_e32 v23, 3, v0
	v_mov_b32_e32 v25, 0
	ds_read_b64 v[23:24], v23 offset:26496
	ds_read_b64 v[25:26], v25 offset:26520
	s_waitcnt lgkmcnt(0)
	v_mul_f32_e32 v27, v26, v24
	v_mul_f32_e32 v24, v25, v24
	v_fma_f32 v25, v25, v23, -v27
	v_fmac_f32_e32 v24, v26, v23
	v_add_f32_e32 v11, v11, v25
	v_add_f32_e32 v12, v12, v24
.LBB162_279:
	s_or_b64 exec, exec, s[14:15]
.LBB162_280:
	s_or_b64 exec, exec, s[0:1]
	s_and_saveexec_b64 s[0:1], s[40:41]
	s_cbranch_execz .LBB162_282
; %bb.281:
	v_mov_b32_e32 v23, 0
	ds_read_b64 v[23:24], v23 offset:25480
	s_waitcnt lgkmcnt(0)
	v_mul_f32_e32 v25, v12, v24
	v_mul_f32_e32 v26, v11, v24
	v_fma_f32 v11, v11, v23, -v25
	v_fmac_f32_e32 v26, v12, v23
	v_xor_b32_e32 v23, 0x80000000, v11
	v_xor_b32_e32 v24, 0x80000000, v26
	v_mov_b32_e32 v12, v26
	ds_write_b64 v15, v[23:24]
.LBB162_282:
	s_or_b64 exec, exec, s[0:1]
	s_waitcnt lgkmcnt(0)
	s_barrier
	s_and_saveexec_b64 s[0:1], s[38:39]
	s_cbranch_execz .LBB162_284
; %bb.283:
	v_mov_b32_e32 v23, 0
	ds_read_b64 v[23:24], v23 offset:25472
	ds_read_b64 v[25:26], v15
	s_waitcnt lgkmcnt(0)
	v_mul_f32_e32 v27, v26, v24
	v_mul_f32_e32 v24, v25, v24
	v_fma_f32 v25, v25, v23, -v27
	v_fmac_f32_e32 v24, v26, v23
	v_sub_f32_e32 v11, v11, v25
	v_sub_f32_e32 v12, v12, v24
.LBB162_284:
	s_or_b64 exec, exec, s[0:1]
	s_barrier
	s_and_saveexec_b64 s[0:1], s[38:39]
	s_cbranch_execz .LBB162_286
; %bb.285:
	v_mov_b32_e32 v23, 0
	ds_read_b64 v[23:24], v23 offset:24960
	s_waitcnt lgkmcnt(0)
	v_mul_f32_e32 v25, v12, v24
	v_mul_f32_e32 v26, v11, v24
	v_fma_f32 v11, v11, v23, -v25
	v_fmac_f32_e32 v26, v12, v23
	v_xor_b32_e32 v23, 0x80000000, v11
	v_xor_b32_e32 v24, 0x80000000, v26
	v_mov_b32_e32 v12, v26
	ds_write_b64 v15, v[23:24]
.LBB162_286:
	s_or_b64 exec, exec, s[0:1]
	s_waitcnt lgkmcnt(0)
	s_barrier
	s_barrier
	s_and_saveexec_b64 s[0:1], s[2:3]
; %bb.287:
	v_lshlrev_b32_e32 v23, 3, v13
	v_lshl_or_b32 v23, v14, 9, v23
	ds_write_b64 v23, v[11:12] offset:25984
; %bb.288:
	s_or_b64 exec, exec, s[0:1]
	s_waitcnt lgkmcnt(0)
	s_barrier
	s_barrier
	s_and_saveexec_b64 s[0:1], s[42:43]
	s_cbranch_execz .LBB162_290
; %bb.289:
	v_lshlrev_b32_e32 v23, 3, v0
	s_movk_i32 s10, 0x1f8
	v_mad_u32_u24 v24, v0, s10, v23
	ds_read_b64 v[11:12], v24 offset:25984
	s_waitcnt lgkmcnt(0)
	ds_write_b64 v23, v[11:12] offset:24976
	ds_read_b64 v[11:12], v24 offset:25992
	s_waitcnt lgkmcnt(0)
	ds_write_b64 v23, v[11:12] offset:25488
.LBB162_290:
	s_or_b64 exec, exec, s[0:1]
	s_waitcnt lgkmcnt(0)
	s_barrier
	s_and_saveexec_b64 s[0:1], vcc
	s_cbranch_execz .LBB162_292
; %bb.291:
	s_movk_i32 s10, 0x180
	v_mov_b32_e32 v11, 0
	v_add_u32_e64 v23, s10, 0
	ds_read_b64 v[11:12], v11 offset:25480
	ds_read2st64_b64 v[23:26], v23 offset0:48 offset1:49
	s_movk_i32 s10, 0x6000
	s_waitcnt lgkmcnt(0)
	v_mul_f32_e32 v27, v12, v24
	v_mul_f32_e32 v24, v11, v24
	v_fma_f32 v27, v11, v23, -v27
	v_fmac_f32_e32 v24, v12, v23
	v_mul_f32_e32 v11, v24, v26
	v_mul_f32_e32 v12, v27, v26
	v_fma_f32 v11, v27, v25, -v11
	v_fmac_f32_e32 v12, v24, v25
	v_add_u32_e64 v23, s10, 0
	ds_write2_b64 v23, v[11:12], v[11:12] offset0:49 offset1:112
.LBB162_292:
	s_or_b64 exec, exec, s[0:1]
	s_movk_i32 s0, 0xff
	v_lshrrev_b32_e32 v25, 4, v16
	v_cmp_lt_u32_e64 s[14:15], s0, v16
	s_movk_i32 s0, 0x100
	v_and_b32_e32 v23, 15, v0
	v_sub_u32_e32 v24, 15, v25
	v_cmp_gt_u32_e64 s[10:11], s0, v16
	v_mov_b32_e32 v12, 0
	v_mov_b32_e32 v11, 0
	s_waitcnt lgkmcnt(0)
	s_barrier
	buffer_wbinvl1_vol
	s_and_saveexec_b64 s[0:1], s[10:11]
	s_cbranch_execz .LBB162_320
; %bb.293:
	v_lshlrev_b32_e32 v26, 3, v23
	v_lshlrev_b32_e32 v27, 9, v24
	ds_read_b64 v[11:12], v26 offset:24832
	ds_read_b64 v[28:29], v27 offset:24960
	s_movk_i32 s16, 0xf0
	v_cmp_gt_u32_e64 s[16:17], s16, v16
	s_waitcnt lgkmcnt(0)
	v_mul_f32_e32 v30, v29, v12
	v_mul_f32_e32 v12, v28, v12
	v_fma_f32 v28, v28, v11, -v30
	v_fmac_f32_e32 v12, v29, v11
	v_add_f32_e32 v11, 0, v28
	v_add_f32_e32 v12, 0, v12
	s_and_saveexec_b64 s[20:21], s[16:17]
	s_cbranch_execz .LBB162_295
; %bb.294:
	ds_read_b64 v[28:29], v26 offset:25344
	ds_read_b64 v[30:31], v27 offset:24968
	s_waitcnt lgkmcnt(0)
	v_mul_f32_e32 v32, v31, v29
	v_mul_f32_e32 v29, v30, v29
	v_fma_f32 v30, v30, v28, -v32
	v_fmac_f32_e32 v29, v31, v28
	v_add_f32_e32 v11, v11, v30
	v_add_f32_e32 v12, v12, v29
.LBB162_295:
	s_or_b64 exec, exec, s[20:21]
	s_movk_i32 s16, 0xe0
	v_cmp_gt_u32_e64 s[16:17], s16, v16
	s_and_saveexec_b64 s[20:21], s[16:17]
	s_cbranch_execz .LBB162_297
; %bb.296:
	ds_read_b64 v[28:29], v26 offset:25856
	ds_read_b64 v[30:31], v27 offset:24976
	s_waitcnt lgkmcnt(0)
	v_mul_f32_e32 v32, v31, v29
	v_mul_f32_e32 v29, v30, v29
	v_fma_f32 v30, v30, v28, -v32
	v_fmac_f32_e32 v29, v31, v28
	v_add_f32_e32 v11, v11, v30
	v_add_f32_e32 v12, v12, v29
.LBB162_297:
	s_or_b64 exec, exec, s[20:21]
	s_movk_i32 s16, 0xd0
	v_cmp_gt_u32_e64 s[16:17], s16, v16
	;; [unrolled: 16-line block ×10, first 2 shown]
	s_and_saveexec_b64 s[20:21], s[16:17]
	s_cbranch_execnz .LBB162_1135
; %bb.314:
	s_or_b64 exec, exec, s[20:21]
	s_and_saveexec_b64 s[16:17], s[8:9]
	s_cbranch_execnz .LBB162_1136
.LBB162_315:
	s_or_b64 exec, exec, s[16:17]
	v_cmp_gt_u32_e64 s[16:17], 48, v16
	s_and_saveexec_b64 s[20:21], s[16:17]
	s_cbranch_execnz .LBB162_1137
.LBB162_316:
	s_or_b64 exec, exec, s[20:21]
	v_cmp_gt_u32_e64 s[16:17], 32, v16
	s_and_saveexec_b64 s[20:21], s[16:17]
	s_cbranch_execnz .LBB162_1138
.LBB162_317:
	s_or_b64 exec, exec, s[20:21]
	v_cmp_gt_u32_e64 s[16:17], 16, v16
	s_and_saveexec_b64 s[20:21], s[16:17]
	s_cbranch_execz .LBB162_319
.LBB162_318:
	v_lshlrev_b32_e32 v26, 3, v0
	v_mov_b32_e32 v28, 0
	ds_read_b64 v[26:27], v26 offset:32512
	ds_read_b64 v[28:29], v28 offset:32760
	s_waitcnt lgkmcnt(0)
	v_mul_f32_e32 v30, v29, v27
	v_mul_f32_e32 v27, v28, v27
	v_fma_f32 v28, v28, v26, -v30
	v_fmac_f32_e32 v27, v29, v26
	v_add_f32_e32 v11, v11, v28
	v_add_f32_e32 v12, v12, v27
.LBB162_319:
	s_or_b64 exec, exec, s[20:21]
.LBB162_320:
	s_or_b64 exec, exec, s[0:1]
	v_mov_b32_e32 v26, 0x8000
	v_lshl_add_u32 v25, v25, 3, v26
	v_cmp_eq_u32_e64 s[16:17], 15, v23
	s_xor_b64 s[20:21], s[14:15], -1
	s_and_b64 s[14:15], s[16:17], s[20:21]
	s_mov_b64 s[0:1], exec
	v_writelane_b32 v38, s14, 5
	v_writelane_b32 v38, s15, 6
	s_and_b64 s[14:15], s[0:1], s[14:15]
	s_mov_b64 exec, s[14:15]
	s_cbranch_execz .LBB162_322
; %bb.321:
	v_mov_b32_e32 v26, 0
	ds_read_b64 v[26:27], v26 offset:24440
	s_waitcnt lgkmcnt(0)
	v_mul_f32_e32 v28, v12, v27
	v_mul_f32_e32 v29, v11, v27
	v_fma_f32 v11, v11, v26, -v28
	v_fmac_f32_e32 v29, v12, v26
	v_xor_b32_e32 v26, 0x80000000, v11
	v_xor_b32_e32 v27, 0x80000000, v29
	v_mov_b32_e32 v12, v29
	ds_write_b64 v25, v[26:27]
.LBB162_322:
	s_or_b64 exec, exec, s[0:1]
	v_cmp_ne_u32_e64 s[14:15], 15, v23
	s_waitcnt lgkmcnt(0)
	s_barrier
	s_and_b64 s[14:15], s[14:15], s[20:21]
	s_mov_b64 s[0:1], exec
	v_writelane_b32 v38, s14, 7
	v_writelane_b32 v38, s15, 8
	s_and_b64 s[14:15], s[0:1], s[14:15]
	s_mov_b64 exec, s[14:15]
	s_cbranch_execz .LBB162_324
; %bb.323:
	v_lshlrev_b32_e32 v26, 3, v23
	ds_read_b64 v[26:27], v26 offset:24320
	ds_read_b64 v[28:29], v25
	s_waitcnt lgkmcnt(0)
	v_mul_f32_e32 v30, v29, v27
	v_mul_f32_e32 v27, v28, v27
	v_fma_f32 v28, v28, v26, -v30
	v_fmac_f32_e32 v27, v29, v26
	v_sub_f32_e32 v11, v11, v28
	v_sub_f32_e32 v12, v12, v27
.LBB162_324:
	s_or_b64 exec, exec, s[0:1]
	v_cmp_eq_u32_e64 s[14:15], 14, v23
	s_barrier
	s_and_b64 s[14:15], s[14:15], s[20:21]
	s_mov_b64 s[0:1], exec
	v_writelane_b32 v38, s14, 9
	v_writelane_b32 v38, s15, 10
	s_and_b64 s[14:15], s[0:1], s[14:15]
	s_mov_b64 exec, s[14:15]
	s_cbranch_execz .LBB162_326
; %bb.325:
	v_mov_b32_e32 v26, 0
	ds_read_b64 v[26:27], v26 offset:23920
	s_waitcnt lgkmcnt(0)
	v_mul_f32_e32 v28, v12, v27
	v_mul_f32_e32 v29, v11, v27
	v_fma_f32 v11, v11, v26, -v28
	v_fmac_f32_e32 v29, v12, v26
	v_xor_b32_e32 v26, 0x80000000, v11
	v_xor_b32_e32 v27, 0x80000000, v29
	v_mov_b32_e32 v12, v29
	ds_write_b64 v25, v[26:27]
.LBB162_326:
	s_or_b64 exec, exec, s[0:1]
	v_cmp_gt_u32_e64 s[14:15], 14, v23
	s_waitcnt lgkmcnt(0)
	s_barrier
	s_and_b64 s[14:15], s[14:15], s[20:21]
	s_mov_b64 s[0:1], exec
	v_writelane_b32 v38, s14, 11
	v_writelane_b32 v38, s15, 12
	s_and_b64 s[14:15], s[0:1], s[14:15]
	s_mov_b64 exec, s[14:15]
	s_cbranch_execz .LBB162_328
; %bb.327:
	v_lshlrev_b32_e32 v26, 3, v23
	ds_read_b64 v[26:27], v26 offset:23808
	ds_read_b64 v[28:29], v25
	s_waitcnt lgkmcnt(0)
	v_mul_f32_e32 v30, v29, v27
	v_mul_f32_e32 v27, v28, v27
	v_fma_f32 v28, v28, v26, -v30
	v_fmac_f32_e32 v27, v29, v26
	v_sub_f32_e32 v11, v11, v28
	v_sub_f32_e32 v12, v12, v27
.LBB162_328:
	s_or_b64 exec, exec, s[0:1]
	v_cmp_eq_u32_e64 s[14:15], 13, v23
	s_barrier
	s_and_b64 s[14:15], s[14:15], s[20:21]
	s_mov_b64 s[0:1], exec
	v_writelane_b32 v38, s14, 13
	v_writelane_b32 v38, s15, 14
	s_and_b64 s[14:15], s[0:1], s[14:15]
	s_mov_b64 exec, s[14:15]
	s_cbranch_execz .LBB162_330
; %bb.329:
	v_mov_b32_e32 v26, 0
	ds_read_b64 v[26:27], v26 offset:23400
	s_waitcnt lgkmcnt(0)
	v_mul_f32_e32 v28, v12, v27
	v_mul_f32_e32 v29, v11, v27
	v_fma_f32 v11, v11, v26, -v28
	v_fmac_f32_e32 v29, v12, v26
	v_xor_b32_e32 v26, 0x80000000, v11
	v_xor_b32_e32 v27, 0x80000000, v29
	v_mov_b32_e32 v12, v29
	ds_write_b64 v25, v[26:27]
.LBB162_330:
	s_or_b64 exec, exec, s[0:1]
	v_cmp_gt_u32_e64 s[14:15], 13, v23
	s_waitcnt lgkmcnt(0)
	s_barrier
	s_and_b64 s[14:15], s[14:15], s[20:21]
	s_mov_b64 s[0:1], exec
	v_writelane_b32 v38, s14, 15
	v_writelane_b32 v38, s15, 16
	s_and_b64 s[14:15], s[0:1], s[14:15]
	s_mov_b64 exec, s[14:15]
	s_cbranch_execz .LBB162_332
; %bb.331:
	v_lshlrev_b32_e32 v26, 3, v23
	ds_read_b64 v[26:27], v26 offset:23296
	ds_read_b64 v[28:29], v25
	s_waitcnt lgkmcnt(0)
	v_mul_f32_e32 v30, v29, v27
	v_mul_f32_e32 v27, v28, v27
	v_fma_f32 v28, v28, v26, -v30
	v_fmac_f32_e32 v27, v29, v26
	v_sub_f32_e32 v11, v11, v28
	v_sub_f32_e32 v12, v12, v27
.LBB162_332:
	s_or_b64 exec, exec, s[0:1]
	v_cmp_eq_u32_e64 s[14:15], 12, v23
	s_barrier
	s_and_b64 s[14:15], s[14:15], s[20:21]
	s_mov_b64 s[0:1], exec
	v_writelane_b32 v38, s14, 17
	v_writelane_b32 v38, s15, 18
	s_and_b64 s[14:15], s[0:1], s[14:15]
	s_mov_b64 exec, s[14:15]
	s_cbranch_execz .LBB162_334
; %bb.333:
	v_mov_b32_e32 v26, 0
	ds_read_b64 v[26:27], v26 offset:22880
	s_waitcnt lgkmcnt(0)
	v_mul_f32_e32 v28, v12, v27
	v_mul_f32_e32 v29, v11, v27
	v_fma_f32 v11, v11, v26, -v28
	v_fmac_f32_e32 v29, v12, v26
	v_xor_b32_e32 v26, 0x80000000, v11
	v_xor_b32_e32 v27, 0x80000000, v29
	v_mov_b32_e32 v12, v29
	ds_write_b64 v25, v[26:27]
.LBB162_334:
	s_or_b64 exec, exec, s[0:1]
	v_cmp_gt_u32_e64 s[14:15], 12, v23
	s_waitcnt lgkmcnt(0)
	s_barrier
	s_and_b64 s[14:15], s[14:15], s[20:21]
	s_mov_b64 s[0:1], exec
	v_writelane_b32 v38, s14, 19
	v_writelane_b32 v38, s15, 20
	s_and_b64 s[14:15], s[0:1], s[14:15]
	s_mov_b64 exec, s[14:15]
	s_cbranch_execz .LBB162_336
; %bb.335:
	v_lshlrev_b32_e32 v26, 3, v23
	ds_read_b64 v[26:27], v26 offset:22784
	ds_read_b64 v[28:29], v25
	s_waitcnt lgkmcnt(0)
	v_mul_f32_e32 v30, v29, v27
	v_mul_f32_e32 v27, v28, v27
	v_fma_f32 v28, v28, v26, -v30
	v_fmac_f32_e32 v27, v29, v26
	v_sub_f32_e32 v11, v11, v28
	v_sub_f32_e32 v12, v12, v27
.LBB162_336:
	s_or_b64 exec, exec, s[0:1]
	v_cmp_eq_u32_e64 s[14:15], 11, v23
	s_barrier
	s_and_b64 s[14:15], s[14:15], s[20:21]
	s_mov_b64 s[0:1], exec
	v_writelane_b32 v38, s14, 21
	v_writelane_b32 v38, s15, 22
	s_and_b64 s[14:15], s[0:1], s[14:15]
	s_mov_b64 exec, s[14:15]
	s_cbranch_execz .LBB162_338
; %bb.337:
	v_mov_b32_e32 v26, 0
	ds_read_b64 v[26:27], v26 offset:22360
	s_waitcnt lgkmcnt(0)
	v_mul_f32_e32 v28, v12, v27
	v_mul_f32_e32 v29, v11, v27
	v_fma_f32 v11, v11, v26, -v28
	v_fmac_f32_e32 v29, v12, v26
	v_xor_b32_e32 v26, 0x80000000, v11
	v_xor_b32_e32 v27, 0x80000000, v29
	v_mov_b32_e32 v12, v29
	ds_write_b64 v25, v[26:27]
.LBB162_338:
	s_or_b64 exec, exec, s[0:1]
	v_cmp_gt_u32_e64 s[14:15], 11, v23
	s_waitcnt lgkmcnt(0)
	s_barrier
	s_and_b64 s[14:15], s[14:15], s[20:21]
	s_mov_b64 s[0:1], exec
	v_writelane_b32 v38, s14, 23
	v_writelane_b32 v38, s15, 24
	s_and_b64 s[14:15], s[0:1], s[14:15]
	s_mov_b64 exec, s[14:15]
	s_cbranch_execz .LBB162_340
; %bb.339:
	v_lshlrev_b32_e32 v26, 3, v23
	ds_read_b64 v[26:27], v26 offset:22272
	ds_read_b64 v[28:29], v25
	s_waitcnt lgkmcnt(0)
	v_mul_f32_e32 v30, v29, v27
	v_mul_f32_e32 v27, v28, v27
	v_fma_f32 v28, v28, v26, -v30
	v_fmac_f32_e32 v27, v29, v26
	v_sub_f32_e32 v11, v11, v28
	v_sub_f32_e32 v12, v12, v27
.LBB162_340:
	s_or_b64 exec, exec, s[0:1]
	v_cmp_eq_u32_e64 s[14:15], 10, v23
	s_barrier
	s_and_b64 s[14:15], s[14:15], s[20:21]
	s_mov_b64 s[0:1], exec
	v_writelane_b32 v38, s14, 25
	v_writelane_b32 v38, s15, 26
	s_and_b64 s[14:15], s[0:1], s[14:15]
	s_mov_b64 exec, s[14:15]
	s_cbranch_execz .LBB162_342
; %bb.341:
	v_mov_b32_e32 v26, 0
	ds_read_b64 v[26:27], v26 offset:21840
	s_waitcnt lgkmcnt(0)
	v_mul_f32_e32 v28, v12, v27
	v_mul_f32_e32 v29, v11, v27
	v_fma_f32 v11, v11, v26, -v28
	v_fmac_f32_e32 v29, v12, v26
	v_xor_b32_e32 v26, 0x80000000, v11
	v_xor_b32_e32 v27, 0x80000000, v29
	v_mov_b32_e32 v12, v29
	ds_write_b64 v25, v[26:27]
.LBB162_342:
	s_or_b64 exec, exec, s[0:1]
	v_cmp_gt_u32_e64 s[14:15], 10, v23
	s_waitcnt lgkmcnt(0)
	s_barrier
	s_and_b64 s[14:15], s[14:15], s[20:21]
	s_mov_b64 s[0:1], exec
	v_writelane_b32 v38, s14, 27
	v_writelane_b32 v38, s15, 28
	s_and_b64 s[14:15], s[0:1], s[14:15]
	s_mov_b64 exec, s[14:15]
	s_cbranch_execz .LBB162_344
; %bb.343:
	v_lshlrev_b32_e32 v26, 3, v23
	ds_read_b64 v[26:27], v26 offset:21760
	ds_read_b64 v[28:29], v25
	s_waitcnt lgkmcnt(0)
	v_mul_f32_e32 v30, v29, v27
	v_mul_f32_e32 v27, v28, v27
	v_fma_f32 v28, v28, v26, -v30
	v_fmac_f32_e32 v27, v29, v26
	v_sub_f32_e32 v11, v11, v28
	v_sub_f32_e32 v12, v12, v27
.LBB162_344:
	s_or_b64 exec, exec, s[0:1]
	v_cmp_eq_u32_e64 s[14:15], 9, v23
	s_barrier
	s_and_b64 s[14:15], s[14:15], s[20:21]
	s_mov_b64 s[0:1], exec
	v_writelane_b32 v38, s14, 29
	v_writelane_b32 v38, s15, 30
	s_and_b64 s[14:15], s[0:1], s[14:15]
	s_mov_b64 exec, s[14:15]
	s_cbranch_execz .LBB162_346
; %bb.345:
	v_mov_b32_e32 v26, 0
	ds_read_b64 v[26:27], v26 offset:21320
	s_waitcnt lgkmcnt(0)
	v_mul_f32_e32 v28, v12, v27
	v_mul_f32_e32 v29, v11, v27
	v_fma_f32 v11, v11, v26, -v28
	v_fmac_f32_e32 v29, v12, v26
	v_xor_b32_e32 v26, 0x80000000, v11
	v_xor_b32_e32 v27, 0x80000000, v29
	v_mov_b32_e32 v12, v29
	ds_write_b64 v25, v[26:27]
.LBB162_346:
	s_or_b64 exec, exec, s[0:1]
	v_cmp_gt_u32_e64 s[14:15], 9, v23
	s_waitcnt lgkmcnt(0)
	s_barrier
	s_and_b64 s[14:15], s[14:15], s[20:21]
	s_mov_b64 s[0:1], exec
	v_writelane_b32 v38, s14, 31
	v_writelane_b32 v38, s15, 32
	s_and_b64 s[14:15], s[0:1], s[14:15]
	s_mov_b64 exec, s[14:15]
	s_cbranch_execz .LBB162_348
; %bb.347:
	v_lshlrev_b32_e32 v26, 3, v23
	ds_read_b64 v[26:27], v26 offset:21248
	ds_read_b64 v[28:29], v25
	s_waitcnt lgkmcnt(0)
	v_mul_f32_e32 v30, v29, v27
	v_mul_f32_e32 v27, v28, v27
	v_fma_f32 v28, v28, v26, -v30
	v_fmac_f32_e32 v27, v29, v26
	v_sub_f32_e32 v11, v11, v28
	v_sub_f32_e32 v12, v12, v27
.LBB162_348:
	s_or_b64 exec, exec, s[0:1]
	v_cmp_eq_u32_e64 s[14:15], 8, v23
	s_barrier
	s_and_b64 s[14:15], s[14:15], s[20:21]
	s_mov_b64 s[0:1], exec
	v_writelane_b32 v38, s14, 33
	v_writelane_b32 v38, s15, 34
	s_and_b64 s[14:15], s[0:1], s[14:15]
	s_mov_b64 exec, s[14:15]
	s_cbranch_execz .LBB162_350
; %bb.349:
	v_mov_b32_e32 v26, 0
	ds_read_b64 v[26:27], v26 offset:20800
	s_waitcnt lgkmcnt(0)
	v_mul_f32_e32 v28, v12, v27
	v_mul_f32_e32 v29, v11, v27
	v_fma_f32 v11, v11, v26, -v28
	v_fmac_f32_e32 v29, v12, v26
	v_xor_b32_e32 v26, 0x80000000, v11
	v_xor_b32_e32 v27, 0x80000000, v29
	v_mov_b32_e32 v12, v29
	ds_write_b64 v25, v[26:27]
.LBB162_350:
	s_or_b64 exec, exec, s[0:1]
	v_cmp_gt_u32_e64 s[14:15], 8, v23
	s_waitcnt lgkmcnt(0)
	s_barrier
	s_and_b64 s[14:15], s[14:15], s[20:21]
	s_mov_b64 s[0:1], exec
	v_writelane_b32 v38, s14, 35
	v_writelane_b32 v38, s15, 36
	s_and_b64 s[14:15], s[0:1], s[14:15]
	s_mov_b64 exec, s[14:15]
	s_cbranch_execz .LBB162_352
; %bb.351:
	v_lshlrev_b32_e32 v26, 3, v23
	ds_read_b64 v[26:27], v26 offset:20736
	ds_read_b64 v[28:29], v25
	s_waitcnt lgkmcnt(0)
	v_mul_f32_e32 v30, v29, v27
	v_mul_f32_e32 v27, v28, v27
	v_fma_f32 v28, v28, v26, -v30
	v_fmac_f32_e32 v27, v29, v26
	v_sub_f32_e32 v11, v11, v28
	v_sub_f32_e32 v12, v12, v27
.LBB162_352:
	s_or_b64 exec, exec, s[0:1]
	v_cmp_eq_u32_e64 s[14:15], 7, v23
	s_barrier
	s_and_b64 s[14:15], s[14:15], s[20:21]
	s_mov_b64 s[0:1], exec
	v_writelane_b32 v38, s14, 37
	v_writelane_b32 v38, s15, 38
	s_and_b64 s[14:15], s[0:1], s[14:15]
	s_mov_b64 exec, s[14:15]
	s_cbranch_execz .LBB162_354
; %bb.353:
	v_mov_b32_e32 v26, 0
	ds_read_b64 v[26:27], v26 offset:20280
	s_waitcnt lgkmcnt(0)
	v_mul_f32_e32 v28, v12, v27
	v_mul_f32_e32 v29, v11, v27
	v_fma_f32 v11, v11, v26, -v28
	v_fmac_f32_e32 v29, v12, v26
	v_xor_b32_e32 v26, 0x80000000, v11
	v_xor_b32_e32 v27, 0x80000000, v29
	v_mov_b32_e32 v12, v29
	ds_write_b64 v25, v[26:27]
.LBB162_354:
	s_or_b64 exec, exec, s[0:1]
	v_cmp_gt_u32_e64 s[14:15], 7, v23
	s_waitcnt lgkmcnt(0)
	s_barrier
	s_and_b64 s[14:15], s[14:15], s[20:21]
	s_mov_b64 s[0:1], exec
	v_writelane_b32 v38, s14, 39
	v_writelane_b32 v38, s15, 40
	s_and_b64 s[14:15], s[0:1], s[14:15]
	s_mov_b64 exec, s[14:15]
	s_cbranch_execz .LBB162_356
; %bb.355:
	v_lshlrev_b32_e32 v26, 3, v23
	ds_read_b64 v[26:27], v26 offset:20224
	ds_read_b64 v[28:29], v25
	s_waitcnt lgkmcnt(0)
	v_mul_f32_e32 v30, v29, v27
	v_mul_f32_e32 v27, v28, v27
	v_fma_f32 v28, v28, v26, -v30
	v_fmac_f32_e32 v27, v29, v26
	v_sub_f32_e32 v11, v11, v28
	v_sub_f32_e32 v12, v12, v27
.LBB162_356:
	s_or_b64 exec, exec, s[0:1]
	v_cmp_eq_u32_e64 s[14:15], 6, v23
	s_barrier
	s_and_b64 s[14:15], s[14:15], s[20:21]
	s_mov_b64 s[0:1], exec
	v_writelane_b32 v38, s14, 41
	v_writelane_b32 v38, s15, 42
	s_and_b64 s[14:15], s[0:1], s[14:15]
	s_mov_b64 exec, s[14:15]
	s_cbranch_execz .LBB162_358
; %bb.357:
	v_mov_b32_e32 v26, 0
	ds_read_b64 v[26:27], v26 offset:19760
	s_waitcnt lgkmcnt(0)
	v_mul_f32_e32 v28, v12, v27
	v_mul_f32_e32 v29, v11, v27
	v_fma_f32 v11, v11, v26, -v28
	v_fmac_f32_e32 v29, v12, v26
	v_xor_b32_e32 v26, 0x80000000, v11
	v_xor_b32_e32 v27, 0x80000000, v29
	v_mov_b32_e32 v12, v29
	ds_write_b64 v25, v[26:27]
.LBB162_358:
	s_or_b64 exec, exec, s[0:1]
	v_cmp_gt_u32_e64 s[14:15], 6, v23
	s_waitcnt lgkmcnt(0)
	s_barrier
	s_and_b64 s[14:15], s[14:15], s[20:21]
	s_mov_b64 s[0:1], exec
	v_writelane_b32 v38, s14, 43
	v_writelane_b32 v38, s15, 44
	s_and_b64 s[14:15], s[0:1], s[14:15]
	s_mov_b64 exec, s[14:15]
	s_cbranch_execz .LBB162_360
; %bb.359:
	v_lshlrev_b32_e32 v26, 3, v23
	ds_read_b64 v[26:27], v26 offset:19712
	ds_read_b64 v[28:29], v25
	s_waitcnt lgkmcnt(0)
	v_mul_f32_e32 v30, v29, v27
	v_mul_f32_e32 v27, v28, v27
	v_fma_f32 v28, v28, v26, -v30
	v_fmac_f32_e32 v27, v29, v26
	v_sub_f32_e32 v11, v11, v28
	v_sub_f32_e32 v12, v12, v27
.LBB162_360:
	s_or_b64 exec, exec, s[0:1]
	v_cmp_eq_u32_e64 s[14:15], 5, v23
	s_barrier
	s_and_b64 s[14:15], s[14:15], s[20:21]
	s_mov_b64 s[0:1], exec
	v_writelane_b32 v38, s14, 45
	v_writelane_b32 v38, s15, 46
	s_and_b64 s[14:15], s[0:1], s[14:15]
	s_mov_b64 exec, s[14:15]
	s_cbranch_execz .LBB162_362
; %bb.361:
	v_mov_b32_e32 v26, 0
	ds_read_b64 v[26:27], v26 offset:19240
	s_waitcnt lgkmcnt(0)
	v_mul_f32_e32 v28, v12, v27
	v_mul_f32_e32 v29, v11, v27
	v_fma_f32 v11, v11, v26, -v28
	v_fmac_f32_e32 v29, v12, v26
	v_xor_b32_e32 v26, 0x80000000, v11
	v_xor_b32_e32 v27, 0x80000000, v29
	v_mov_b32_e32 v12, v29
	ds_write_b64 v25, v[26:27]
.LBB162_362:
	s_or_b64 exec, exec, s[0:1]
	v_cmp_gt_u32_e64 s[14:15], 5, v23
	s_waitcnt lgkmcnt(0)
	s_barrier
	s_and_b64 s[14:15], s[14:15], s[20:21]
	s_mov_b64 s[0:1], exec
	v_writelane_b32 v38, s14, 47
	v_writelane_b32 v38, s15, 48
	s_and_b64 s[14:15], s[0:1], s[14:15]
	s_mov_b64 exec, s[14:15]
	s_cbranch_execz .LBB162_364
; %bb.363:
	v_lshlrev_b32_e32 v26, 3, v23
	ds_read_b64 v[26:27], v26 offset:19200
	ds_read_b64 v[28:29], v25
	s_waitcnt lgkmcnt(0)
	v_mul_f32_e32 v30, v29, v27
	v_mul_f32_e32 v27, v28, v27
	v_fma_f32 v28, v28, v26, -v30
	v_fmac_f32_e32 v27, v29, v26
	v_sub_f32_e32 v11, v11, v28
	v_sub_f32_e32 v12, v12, v27
.LBB162_364:
	s_or_b64 exec, exec, s[0:1]
	v_cmp_eq_u32_e64 s[14:15], 4, v23
	s_barrier
	s_and_b64 s[14:15], s[14:15], s[20:21]
	s_mov_b64 s[0:1], exec
	v_writelane_b32 v38, s14, 49
	v_writelane_b32 v38, s15, 50
	s_and_b64 s[14:15], s[0:1], s[14:15]
	s_mov_b64 exec, s[14:15]
	s_cbranch_execz .LBB162_366
; %bb.365:
	v_mov_b32_e32 v26, 0
	ds_read_b64 v[26:27], v26 offset:18720
	s_waitcnt lgkmcnt(0)
	v_mul_f32_e32 v28, v12, v27
	v_mul_f32_e32 v29, v11, v27
	v_fma_f32 v11, v11, v26, -v28
	v_fmac_f32_e32 v29, v12, v26
	v_xor_b32_e32 v26, 0x80000000, v11
	v_xor_b32_e32 v27, 0x80000000, v29
	v_mov_b32_e32 v12, v29
	ds_write_b64 v25, v[26:27]
.LBB162_366:
	s_or_b64 exec, exec, s[0:1]
	v_cmp_gt_u32_e64 s[14:15], 4, v23
	s_waitcnt lgkmcnt(0)
	s_barrier
	s_and_b64 s[14:15], s[14:15], s[20:21]
	s_mov_b64 s[0:1], exec
	v_writelane_b32 v38, s14, 51
	v_writelane_b32 v38, s15, 52
	s_and_b64 s[14:15], s[0:1], s[14:15]
	s_mov_b64 exec, s[14:15]
	s_cbranch_execz .LBB162_368
; %bb.367:
	v_lshlrev_b32_e32 v26, 3, v23
	ds_read_b64 v[26:27], v26 offset:18688
	ds_read_b64 v[28:29], v25
	s_waitcnt lgkmcnt(0)
	v_mul_f32_e32 v30, v29, v27
	v_mul_f32_e32 v27, v28, v27
	v_fma_f32 v28, v28, v26, -v30
	v_fmac_f32_e32 v27, v29, v26
	v_sub_f32_e32 v11, v11, v28
	v_sub_f32_e32 v12, v12, v27
.LBB162_368:
	s_or_b64 exec, exec, s[0:1]
	v_cmp_eq_u32_e64 s[14:15], 3, v23
	s_barrier
	s_and_b64 s[14:15], s[14:15], s[20:21]
	s_mov_b64 s[0:1], exec
	v_writelane_b32 v38, s14, 53
	v_writelane_b32 v38, s15, 54
	s_and_b64 s[14:15], s[0:1], s[14:15]
	s_mov_b64 exec, s[14:15]
	s_cbranch_execz .LBB162_370
; %bb.369:
	v_mov_b32_e32 v26, 0
	ds_read_b64 v[26:27], v26 offset:18200
	s_waitcnt lgkmcnt(0)
	v_mul_f32_e32 v28, v12, v27
	v_mul_f32_e32 v29, v11, v27
	v_fma_f32 v11, v11, v26, -v28
	v_fmac_f32_e32 v29, v12, v26
	v_xor_b32_e32 v26, 0x80000000, v11
	v_xor_b32_e32 v27, 0x80000000, v29
	v_mov_b32_e32 v12, v29
	ds_write_b64 v25, v[26:27]
.LBB162_370:
	s_or_b64 exec, exec, s[0:1]
	v_cmp_gt_u32_e64 s[14:15], 3, v23
	s_waitcnt lgkmcnt(0)
	s_barrier
	s_and_b64 s[14:15], s[14:15], s[20:21]
	s_mov_b64 s[0:1], exec
	v_writelane_b32 v38, s14, 55
	v_writelane_b32 v38, s15, 56
	s_and_b64 s[14:15], s[0:1], s[14:15]
	s_mov_b64 exec, s[14:15]
	s_cbranch_execz .LBB162_372
; %bb.371:
	v_lshlrev_b32_e32 v26, 3, v23
	ds_read_b64 v[26:27], v26 offset:18176
	ds_read_b64 v[28:29], v25
	s_waitcnt lgkmcnt(0)
	v_mul_f32_e32 v30, v29, v27
	v_mul_f32_e32 v27, v28, v27
	v_fma_f32 v28, v28, v26, -v30
	v_fmac_f32_e32 v27, v29, v26
	v_sub_f32_e32 v11, v11, v28
	v_sub_f32_e32 v12, v12, v27
.LBB162_372:
	s_or_b64 exec, exec, s[0:1]
	v_cmp_eq_u32_e64 s[14:15], 2, v23
	s_barrier
	s_and_b64 s[14:15], s[14:15], s[20:21]
	s_mov_b64 s[0:1], exec
	v_writelane_b32 v38, s14, 57
	v_writelane_b32 v38, s15, 58
	s_and_b64 s[14:15], s[0:1], s[14:15]
	s_mov_b64 exec, s[14:15]
	s_cbranch_execz .LBB162_374
; %bb.373:
	v_mov_b32_e32 v26, 0
	ds_read_b64 v[26:27], v26 offset:17680
	s_waitcnt lgkmcnt(0)
	v_mul_f32_e32 v28, v12, v27
	v_mul_f32_e32 v29, v11, v27
	v_fma_f32 v11, v11, v26, -v28
	v_fmac_f32_e32 v29, v12, v26
	v_xor_b32_e32 v26, 0x80000000, v11
	v_xor_b32_e32 v27, 0x80000000, v29
	v_mov_b32_e32 v12, v29
	ds_write_b64 v25, v[26:27]
.LBB162_374:
	s_or_b64 exec, exec, s[0:1]
	v_cmp_gt_u32_e64 s[14:15], 2, v23
	s_and_b64 s[22:23], s[14:15], s[20:21]
	s_waitcnt lgkmcnt(0)
	s_barrier
	s_and_saveexec_b64 s[0:1], s[22:23]
	s_cbranch_execz .LBB162_376
; %bb.375:
	v_lshlrev_b32_e32 v26, 3, v23
	ds_read_b64 v[26:27], v26 offset:17664
	ds_read_b64 v[28:29], v25
	s_waitcnt lgkmcnt(0)
	v_mul_f32_e32 v30, v29, v27
	v_mul_f32_e32 v27, v28, v27
	v_fma_f32 v28, v28, v26, -v30
	v_fmac_f32_e32 v27, v29, v26
	v_sub_f32_e32 v11, v11, v28
	v_sub_f32_e32 v12, v12, v27
.LBB162_376:
	s_or_b64 exec, exec, s[0:1]
	v_cmp_eq_u32_e64 s[14:15], 1, v23
	s_and_b64 s[0:1], s[14:15], s[20:21]
	s_barrier
	s_and_saveexec_b64 s[14:15], s[0:1]
	s_cbranch_execz .LBB162_378
; %bb.377:
	v_mov_b32_e32 v26, 0
	ds_read_b64 v[26:27], v26 offset:17160
	s_waitcnt lgkmcnt(0)
	v_mul_f32_e32 v28, v12, v27
	v_mul_f32_e32 v29, v11, v27
	v_fma_f32 v11, v11, v26, -v28
	v_fmac_f32_e32 v29, v12, v26
	v_xor_b32_e32 v26, 0x80000000, v11
	v_xor_b32_e32 v27, 0x80000000, v29
	v_mov_b32_e32 v12, v29
	ds_write_b64 v25, v[26:27]
.LBB162_378:
	s_or_b64 exec, exec, s[14:15]
	v_cmp_eq_u32_e64 s[14:15], 0, v23
	s_and_b64 s[34:35], s[14:15], s[20:21]
	s_waitcnt lgkmcnt(0)
	s_barrier
	s_and_saveexec_b64 s[14:15], s[34:35]
	s_cbranch_execz .LBB162_380
; %bb.379:
	v_mov_b32_e32 v26, 0
	ds_read_b64 v[26:27], v26 offset:17152
	ds_read_b64 v[28:29], v25
	s_waitcnt lgkmcnt(0)
	v_mul_f32_e32 v30, v29, v27
	v_mul_f32_e32 v27, v28, v27
	v_fma_f32 v28, v28, v26, -v30
	v_fmac_f32_e32 v27, v29, v26
	v_sub_f32_e32 v11, v11, v28
	v_sub_f32_e32 v12, v12, v27
.LBB162_380:
	s_or_b64 exec, exec, s[14:15]
	s_barrier
	s_and_saveexec_b64 s[14:15], s[34:35]
	s_cbranch_execz .LBB162_382
; %bb.381:
	v_mov_b32_e32 v26, 0
	ds_read_b64 v[26:27], v26 offset:16640
	s_waitcnt lgkmcnt(0)
	v_mul_f32_e32 v28, v12, v27
	v_mul_f32_e32 v29, v11, v27
	v_fma_f32 v11, v11, v26, -v28
	v_fmac_f32_e32 v29, v12, v26
	v_xor_b32_e32 v26, 0x80000000, v11
	v_xor_b32_e32 v27, 0x80000000, v29
	v_mov_b32_e32 v12, v29
	ds_write_b64 v25, v[26:27]
.LBB162_382:
	s_or_b64 exec, exec, s[14:15]
	s_waitcnt lgkmcnt(0)
	s_barrier
	s_barrier
	s_and_saveexec_b64 s[14:15], s[10:11]
; %bb.383:
	v_lshlrev_b32_e32 v26, 3, v23
	v_lshl_or_b32 v26, v24, 9, v26
	ds_write_b64 v26, v[11:12] offset:24832
; %bb.384:
	s_or_b64 exec, exec, s[14:15]
	v_cmp_gt_u32_e64 s[14:15], 16, v0
	s_and_b64 s[36:37], s[12:13], s[14:15]
	s_waitcnt lgkmcnt(0)
	s_barrier
	s_barrier
	s_and_saveexec_b64 s[14:15], s[36:37]
	s_cbranch_execz .LBB162_386
; %bb.385:
	v_lshlrev_b32_e32 v26, 9, v0
	ds_read_b64 v[11:12], v26 offset:24832
	s_movk_i32 s16, 0xfe08
	v_mad_i32_i24 v27, v0, s16, v26
	s_waitcnt lgkmcnt(0)
	ds_write_b64 v27, v[11:12] offset:16768
	ds_read_b64 v[11:12], v26 offset:24840
	s_waitcnt lgkmcnt(0)
	ds_write_b64 v27, v[11:12] offset:17280
	ds_read_b64 v[11:12], v26 offset:24848
	;; [unrolled: 3-line block ×15, first 2 shown]
	s_waitcnt lgkmcnt(0)
	ds_write_b64 v27, v[11:12] offset:24448
.LBB162_386:
	s_or_b64 exec, exec, s[14:15]
	s_waitcnt lgkmcnt(0)
	s_barrier
	s_and_saveexec_b64 s[14:15], vcc
	s_cbranch_execz .LBB162_388
; %bb.387:
	s_movk_i32 s16, 0x170
	v_mov_b32_e32 v11, 0
	v_add_u32_e64 v26, s16, 0
	ds_read_b64 v[11:12], v11 offset:24440
	ds_read2st64_b64 v[26:29], v26 offset0:46 offset1:47
	s_movk_i32 s16, 0x5800
	s_waitcnt lgkmcnt(0)
	v_mul_f32_e32 v30, v12, v27
	v_mul_f32_e32 v27, v11, v27
	v_fma_f32 v30, v11, v26, -v30
	v_fmac_f32_e32 v27, v12, v26
	v_mul_f32_e32 v11, v27, v29
	v_mul_f32_e32 v12, v30, v29
	v_fma_f32 v11, v30, v28, -v11
	v_fmac_f32_e32 v12, v27, v28
	v_add_u32_e64 v26, s16, 0
	ds_write2_b64 v26, v[11:12], v[11:12] offset0:175 offset1:238
.LBB162_388:
	s_or_b64 exec, exec, s[14:15]
	v_mov_b32_e32 v11, 0
	v_mov_b32_e32 v12, 0
	s_waitcnt lgkmcnt(0)
	s_barrier
	buffer_wbinvl1_vol
	s_and_saveexec_b64 s[16:17], s[2:3]
	s_cbranch_execz .LBB162_392
; %bb.389:
	v_lshlrev_b32_e32 v11, 3, v13
	v_lshlrev_b32_e32 v26, 9, v14
	ds_read_b64 v[11:12], v11 offset:23904
	ds_read_b64 v[26:27], v26 offset:23920
	v_cmp_gt_u32_e64 s[14:15], 2, v16
	s_waitcnt lgkmcnt(0)
	v_mul_f32_e32 v28, v27, v12
	v_mul_f32_e32 v12, v26, v12
	v_fma_f32 v26, v26, v11, -v28
	v_fmac_f32_e32 v12, v27, v11
	v_add_f32_e32 v11, 0, v26
	v_add_f32_e32 v12, 0, v12
	s_and_saveexec_b64 s[20:21], s[14:15]
	s_cbranch_execz .LBB162_391
; %bb.390:
	v_lshlrev_b32_e32 v26, 3, v0
	v_mov_b32_e32 v28, 0
	ds_read_b64 v[26:27], v26 offset:24416
	ds_read_b64 v[28:29], v28 offset:24440
	s_waitcnt lgkmcnt(0)
	v_mul_f32_e32 v30, v29, v27
	v_mul_f32_e32 v27, v28, v27
	v_fma_f32 v28, v28, v26, -v30
	v_fmac_f32_e32 v27, v29, v26
	v_add_f32_e32 v11, v11, v28
	v_add_f32_e32 v12, v12, v27
.LBB162_391:
	s_or_b64 exec, exec, s[20:21]
.LBB162_392:
	s_or_b64 exec, exec, s[16:17]
	s_and_saveexec_b64 s[14:15], s[40:41]
	s_cbranch_execz .LBB162_394
; %bb.393:
	v_mov_b32_e32 v26, 0
	ds_read_b64 v[26:27], v26 offset:23400
	s_waitcnt lgkmcnt(0)
	v_mul_f32_e32 v28, v12, v27
	v_mul_f32_e32 v29, v11, v27
	v_fma_f32 v11, v11, v26, -v28
	v_fmac_f32_e32 v29, v12, v26
	v_xor_b32_e32 v26, 0x80000000, v11
	v_xor_b32_e32 v27, 0x80000000, v29
	v_mov_b32_e32 v12, v29
	ds_write_b64 v15, v[26:27]
.LBB162_394:
	s_or_b64 exec, exec, s[14:15]
	s_waitcnt lgkmcnt(0)
	s_barrier
	s_and_saveexec_b64 s[14:15], s[38:39]
	s_cbranch_execz .LBB162_396
; %bb.395:
	v_mov_b32_e32 v26, 0
	ds_read_b64 v[26:27], v26 offset:23392
	ds_read_b64 v[28:29], v15
	s_waitcnt lgkmcnt(0)
	v_mul_f32_e32 v30, v29, v27
	v_mul_f32_e32 v27, v28, v27
	v_fma_f32 v28, v28, v26, -v30
	v_fmac_f32_e32 v27, v29, v26
	v_sub_f32_e32 v11, v11, v28
	v_sub_f32_e32 v12, v12, v27
.LBB162_396:
	s_or_b64 exec, exec, s[14:15]
	s_barrier
	s_and_saveexec_b64 s[14:15], s[38:39]
	s_cbranch_execz .LBB162_398
; %bb.397:
	v_mov_b32_e32 v26, 0
	ds_read_b64 v[26:27], v26 offset:22880
	s_waitcnt lgkmcnt(0)
	v_mul_f32_e32 v28, v12, v27
	v_mul_f32_e32 v29, v11, v27
	v_fma_f32 v11, v11, v26, -v28
	v_fmac_f32_e32 v29, v12, v26
	v_xor_b32_e32 v26, 0x80000000, v11
	v_xor_b32_e32 v27, 0x80000000, v29
	v_mov_b32_e32 v12, v29
	ds_write_b64 v15, v[26:27]
.LBB162_398:
	s_or_b64 exec, exec, s[14:15]
	s_waitcnt lgkmcnt(0)
	s_barrier
	s_barrier
	s_and_saveexec_b64 s[14:15], s[2:3]
; %bb.399:
	v_lshlrev_b32_e32 v26, 3, v13
	v_lshl_or_b32 v26, v14, 9, v26
	ds_write_b64 v26, v[11:12] offset:23904
; %bb.400:
	s_or_b64 exec, exec, s[14:15]
	s_waitcnt lgkmcnt(0)
	s_barrier
	s_barrier
	s_and_saveexec_b64 s[14:15], s[42:43]
	s_cbranch_execz .LBB162_402
; %bb.401:
	v_lshlrev_b32_e32 v26, 3, v0
	s_movk_i32 s16, 0x1f8
	v_mad_u32_u24 v27, v0, s16, v26
	ds_read_b64 v[11:12], v27 offset:23904
	s_waitcnt lgkmcnt(0)
	ds_write_b64 v26, v[11:12] offset:22896
	ds_read_b64 v[11:12], v27 offset:23912
	s_waitcnt lgkmcnt(0)
	ds_write_b64 v26, v[11:12] offset:23408
.LBB162_402:
	s_or_b64 exec, exec, s[14:15]
	s_waitcnt lgkmcnt(0)
	s_barrier
	s_and_saveexec_b64 s[14:15], vcc
	s_cbranch_execz .LBB162_404
; %bb.403:
	s_movk_i32 s16, 0x160
	v_mov_b32_e32 v11, 0
	v_add_u32_e64 v26, s16, 0
	ds_read_b64 v[11:12], v11 offset:23400
	ds_read2st64_b64 v[26:29], v26 offset0:44 offset1:45
	s_movk_i32 s16, 0x5800
	s_waitcnt lgkmcnt(0)
	v_mul_f32_e32 v30, v12, v27
	v_mul_f32_e32 v27, v11, v27
	v_fma_f32 v30, v11, v26, -v30
	v_fmac_f32_e32 v27, v12, v26
	v_mul_f32_e32 v11, v27, v29
	v_mul_f32_e32 v12, v30, v29
	v_fma_f32 v11, v30, v28, -v11
	v_fmac_f32_e32 v12, v27, v28
	v_add_u32_e64 v26, s16, 0
	ds_write2_b64 v26, v[11:12], v[11:12] offset0:45 offset1:108
.LBB162_404:
	s_or_b64 exec, exec, s[14:15]
	v_mov_b32_e32 v12, 0
	v_mov_b32_e32 v11, 0
	s_waitcnt lgkmcnt(0)
	s_barrier
	buffer_wbinvl1_vol
	s_and_saveexec_b64 s[16:17], s[18:19]
	s_cbranch_execz .LBB162_410
; %bb.405:
	v_lshlrev_b32_e32 v26, 3, v17
	v_lshlrev_b32_e32 v27, 9, v18
	ds_read_b64 v[11:12], v26 offset:22848
	ds_read_b64 v[28:29], v27 offset:22880
	v_cmp_gt_u32_e64 s[14:15], 12, v16
	s_waitcnt lgkmcnt(0)
	v_mul_f32_e32 v30, v29, v12
	v_mul_f32_e32 v12, v28, v12
	v_fma_f32 v28, v28, v11, -v30
	v_fmac_f32_e32 v12, v29, v11
	v_add_f32_e32 v11, 0, v28
	v_add_f32_e32 v12, 0, v12
	s_and_saveexec_b64 s[20:21], s[14:15]
	s_cbranch_execnz .LBB162_1139
; %bb.406:
	s_or_b64 exec, exec, s[20:21]
	v_cmp_gt_u32_e64 s[14:15], 8, v16
	s_and_saveexec_b64 s[20:21], s[14:15]
	s_cbranch_execnz .LBB162_1140
.LBB162_407:
	s_or_b64 exec, exec, s[20:21]
	v_cmp_gt_u32_e64 s[14:15], 4, v16
	s_and_saveexec_b64 s[20:21], s[14:15]
	s_cbranch_execz .LBB162_409
.LBB162_408:
	v_lshlrev_b32_e32 v26, 3, v0
	v_mov_b32_e32 v28, 0
	ds_read_b64 v[26:27], v26 offset:24384
	ds_read_b64 v[28:29], v28 offset:24440
	s_waitcnt lgkmcnt(0)
	v_mul_f32_e32 v30, v29, v27
	v_mul_f32_e32 v27, v28, v27
	v_fma_f32 v28, v28, v26, -v30
	v_fmac_f32_e32 v27, v29, v26
	v_add_f32_e32 v11, v11, v28
	v_add_f32_e32 v12, v12, v27
.LBB162_409:
	s_or_b64 exec, exec, s[20:21]
.LBB162_410:
	s_or_b64 exec, exec, s[16:17]
	s_and_saveexec_b64 s[14:15], s[46:47]
	s_cbranch_execz .LBB162_412
; %bb.411:
	v_mov_b32_e32 v26, 0
	ds_read_b64 v[26:27], v26 offset:22360
	s_waitcnt lgkmcnt(0)
	v_mul_f32_e32 v28, v12, v27
	v_mul_f32_e32 v29, v11, v27
	v_fma_f32 v11, v11, v26, -v28
	v_fmac_f32_e32 v29, v12, v26
	v_xor_b32_e32 v26, 0x80000000, v11
	v_xor_b32_e32 v27, 0x80000000, v29
	v_mov_b32_e32 v12, v29
	ds_write_b64 v19, v[26:27]
.LBB162_412:
	s_or_b64 exec, exec, s[14:15]
	s_waitcnt lgkmcnt(0)
	s_barrier
	s_and_saveexec_b64 s[14:15], s[48:49]
	s_cbranch_execz .LBB162_414
; %bb.413:
	v_lshlrev_b32_e32 v26, 3, v17
	ds_read_b64 v[26:27], v26 offset:22336
	ds_read_b64 v[28:29], v19
	s_waitcnt lgkmcnt(0)
	v_mul_f32_e32 v30, v29, v27
	v_mul_f32_e32 v27, v28, v27
	v_fma_f32 v28, v28, v26, -v30
	v_fmac_f32_e32 v27, v29, v26
	v_sub_f32_e32 v11, v11, v28
	v_sub_f32_e32 v12, v12, v27
.LBB162_414:
	s_or_b64 exec, exec, s[14:15]
	s_barrier
	s_and_saveexec_b64 s[14:15], s[50:51]
	s_cbranch_execz .LBB162_416
; %bb.415:
	v_mov_b32_e32 v26, 0
	ds_read_b64 v[26:27], v26 offset:21840
	s_waitcnt lgkmcnt(0)
	v_mul_f32_e32 v28, v12, v27
	v_mul_f32_e32 v29, v11, v27
	v_fma_f32 v11, v11, v26, -v28
	v_fmac_f32_e32 v29, v12, v26
	v_xor_b32_e32 v26, 0x80000000, v11
	v_xor_b32_e32 v27, 0x80000000, v29
	v_mov_b32_e32 v12, v29
	ds_write_b64 v19, v[26:27]
.LBB162_416:
	s_or_b64 exec, exec, s[14:15]
	s_waitcnt lgkmcnt(0)
	s_barrier
	s_and_saveexec_b64 s[14:15], s[52:53]
	s_cbranch_execz .LBB162_418
; %bb.417:
	v_lshlrev_b32_e32 v26, 3, v17
	ds_read_b64 v[26:27], v26 offset:21824
	ds_read_b64 v[28:29], v19
	s_waitcnt lgkmcnt(0)
	v_mul_f32_e32 v30, v29, v27
	v_mul_f32_e32 v27, v28, v27
	v_fma_f32 v28, v28, v26, -v30
	v_fmac_f32_e32 v27, v29, v26
	v_sub_f32_e32 v11, v11, v28
	v_sub_f32_e32 v12, v12, v27
.LBB162_418:
	s_or_b64 exec, exec, s[14:15]
	s_barrier
	s_and_saveexec_b64 s[14:15], s[54:55]
	s_cbranch_execz .LBB162_420
; %bb.419:
	v_mov_b32_e32 v26, 0
	ds_read_b64 v[26:27], v26 offset:21320
	s_waitcnt lgkmcnt(0)
	v_mul_f32_e32 v28, v12, v27
	v_mul_f32_e32 v29, v11, v27
	v_fma_f32 v11, v11, v26, -v28
	v_fmac_f32_e32 v29, v12, v26
	v_xor_b32_e32 v26, 0x80000000, v11
	v_xor_b32_e32 v27, 0x80000000, v29
	v_mov_b32_e32 v12, v29
	ds_write_b64 v19, v[26:27]
.LBB162_420:
	s_or_b64 exec, exec, s[14:15]
	s_waitcnt lgkmcnt(0)
	s_barrier
	s_and_saveexec_b64 s[14:15], s[44:45]
	s_cbranch_execz .LBB162_422
; %bb.421:
	v_mov_b32_e32 v26, 0
	ds_read_b64 v[26:27], v26 offset:21312
	ds_read_b64 v[28:29], v19
	s_waitcnt lgkmcnt(0)
	v_mul_f32_e32 v30, v29, v27
	v_mul_f32_e32 v27, v28, v27
	v_fma_f32 v28, v28, v26, -v30
	v_fmac_f32_e32 v27, v29, v26
	v_sub_f32_e32 v11, v11, v28
	v_sub_f32_e32 v12, v12, v27
.LBB162_422:
	s_or_b64 exec, exec, s[14:15]
	s_barrier
	s_and_saveexec_b64 s[14:15], s[44:45]
	s_cbranch_execz .LBB162_424
; %bb.423:
	v_mov_b32_e32 v26, 0
	ds_read_b64 v[26:27], v26 offset:20800
	s_waitcnt lgkmcnt(0)
	v_mul_f32_e32 v28, v12, v27
	v_mul_f32_e32 v29, v11, v27
	v_fma_f32 v11, v11, v26, -v28
	v_fmac_f32_e32 v29, v12, v26
	v_xor_b32_e32 v26, 0x80000000, v11
	v_xor_b32_e32 v27, 0x80000000, v29
	v_mov_b32_e32 v12, v29
	ds_write_b64 v19, v[26:27]
.LBB162_424:
	s_or_b64 exec, exec, s[14:15]
	s_waitcnt lgkmcnt(0)
	s_barrier
	s_barrier
	s_and_saveexec_b64 s[14:15], s[18:19]
; %bb.425:
	v_lshlrev_b32_e32 v26, 3, v17
	v_lshl_or_b32 v26, v18, 9, v26
	ds_write_b64 v26, v[11:12] offset:22848
; %bb.426:
	s_or_b64 exec, exec, s[14:15]
	s_waitcnt lgkmcnt(0)
	s_barrier
	s_barrier
	s_and_saveexec_b64 s[14:15], s[56:57]
	s_cbranch_execz .LBB162_428
; %bb.427:
	v_lshlrev_b32_e32 v26, 9, v0
	ds_read_b64 v[11:12], v26 offset:22848
	s_movk_i32 s16, 0xfe08
	v_mad_i32_i24 v27, v0, s16, v26
	s_waitcnt lgkmcnt(0)
	ds_write_b64 v27, v[11:12] offset:20832
	ds_read_b64 v[11:12], v26 offset:22856
	s_waitcnt lgkmcnt(0)
	ds_write_b64 v27, v[11:12] offset:21344
	ds_read_b64 v[11:12], v26 offset:22864
	;; [unrolled: 3-line block ×3, first 2 shown]
	s_waitcnt lgkmcnt(0)
	ds_write_b64 v27, v[11:12] offset:22368
.LBB162_428:
	s_or_b64 exec, exec, s[14:15]
	s_waitcnt lgkmcnt(0)
	s_barrier
	s_and_saveexec_b64 s[14:15], vcc
	s_cbranch_execz .LBB162_430
; %bb.429:
	s_movk_i32 s16, 0x150
	v_mov_b32_e32 v11, 0
	v_add_u32_e64 v26, s16, 0
	ds_read_b64 v[11:12], v11 offset:22360
	ds_read2st64_b64 v[26:29], v26 offset0:42 offset1:43
	s_movk_i32 s16, 0x5000
	s_waitcnt lgkmcnt(0)
	v_mul_f32_e32 v30, v12, v27
	v_mul_f32_e32 v27, v11, v27
	v_fma_f32 v30, v11, v26, -v30
	v_fmac_f32_e32 v27, v12, v26
	v_mul_f32_e32 v11, v27, v29
	v_mul_f32_e32 v12, v30, v29
	v_fma_f32 v11, v30, v28, -v11
	v_fmac_f32_e32 v12, v27, v28
	v_add_u32_e64 v26, s16, 0
	ds_write2_b64 v26, v[11:12], v[11:12] offset0:171 offset1:234
.LBB162_430:
	s_or_b64 exec, exec, s[14:15]
	v_mov_b32_e32 v11, 0
	v_mov_b32_e32 v12, 0
	s_waitcnt lgkmcnt(0)
	s_barrier
	buffer_wbinvl1_vol
	s_and_saveexec_b64 s[16:17], s[2:3]
	s_cbranch_execz .LBB162_434
; %bb.431:
	v_lshlrev_b32_e32 v11, 3, v13
	v_lshlrev_b32_e32 v26, 9, v14
	ds_read_b64 v[11:12], v11 offset:21824
	ds_read_b64 v[26:27], v26 offset:21840
	v_cmp_gt_u32_e64 s[14:15], 2, v16
	s_waitcnt lgkmcnt(0)
	v_mul_f32_e32 v28, v27, v12
	v_mul_f32_e32 v12, v26, v12
	v_fma_f32 v26, v26, v11, -v28
	v_fmac_f32_e32 v12, v27, v11
	v_add_f32_e32 v11, 0, v26
	v_add_f32_e32 v12, 0, v12
	s_and_saveexec_b64 s[20:21], s[14:15]
	s_cbranch_execz .LBB162_433
; %bb.432:
	v_lshlrev_b32_e32 v26, 3, v0
	v_mov_b32_e32 v28, 0
	ds_read_b64 v[26:27], v26 offset:22336
	ds_read_b64 v[28:29], v28 offset:22360
	s_waitcnt lgkmcnt(0)
	v_mul_f32_e32 v30, v29, v27
	v_mul_f32_e32 v27, v28, v27
	v_fma_f32 v28, v28, v26, -v30
	v_fmac_f32_e32 v27, v29, v26
	v_add_f32_e32 v11, v11, v28
	v_add_f32_e32 v12, v12, v27
.LBB162_433:
	s_or_b64 exec, exec, s[20:21]
.LBB162_434:
	s_or_b64 exec, exec, s[16:17]
	s_and_saveexec_b64 s[14:15], s[40:41]
	s_cbranch_execz .LBB162_436
; %bb.435:
	v_mov_b32_e32 v26, 0
	ds_read_b64 v[26:27], v26 offset:21320
	s_waitcnt lgkmcnt(0)
	v_mul_f32_e32 v28, v12, v27
	v_mul_f32_e32 v29, v11, v27
	v_fma_f32 v11, v11, v26, -v28
	v_fmac_f32_e32 v29, v12, v26
	v_xor_b32_e32 v26, 0x80000000, v11
	v_xor_b32_e32 v27, 0x80000000, v29
	v_mov_b32_e32 v12, v29
	ds_write_b64 v15, v[26:27]
.LBB162_436:
	s_or_b64 exec, exec, s[14:15]
	s_waitcnt lgkmcnt(0)
	s_barrier
	s_and_saveexec_b64 s[14:15], s[38:39]
	s_cbranch_execz .LBB162_438
; %bb.437:
	v_mov_b32_e32 v26, 0
	ds_read_b64 v[26:27], v26 offset:21312
	ds_read_b64 v[28:29], v15
	s_waitcnt lgkmcnt(0)
	v_mul_f32_e32 v30, v29, v27
	v_mul_f32_e32 v27, v28, v27
	v_fma_f32 v28, v28, v26, -v30
	v_fmac_f32_e32 v27, v29, v26
	v_sub_f32_e32 v11, v11, v28
	v_sub_f32_e32 v12, v12, v27
.LBB162_438:
	s_or_b64 exec, exec, s[14:15]
	s_barrier
	s_and_saveexec_b64 s[14:15], s[38:39]
	s_cbranch_execz .LBB162_440
; %bb.439:
	v_mov_b32_e32 v26, 0
	ds_read_b64 v[26:27], v26 offset:20800
	s_waitcnt lgkmcnt(0)
	v_mul_f32_e32 v28, v12, v27
	v_mul_f32_e32 v29, v11, v27
	v_fma_f32 v11, v11, v26, -v28
	v_fmac_f32_e32 v29, v12, v26
	v_xor_b32_e32 v26, 0x80000000, v11
	v_xor_b32_e32 v27, 0x80000000, v29
	v_mov_b32_e32 v12, v29
	ds_write_b64 v15, v[26:27]
.LBB162_440:
	s_or_b64 exec, exec, s[14:15]
	s_waitcnt lgkmcnt(0)
	s_barrier
	s_barrier
	s_and_saveexec_b64 s[14:15], s[2:3]
; %bb.441:
	v_lshlrev_b32_e32 v26, 3, v13
	v_lshl_or_b32 v26, v14, 9, v26
	ds_write_b64 v26, v[11:12] offset:21824
; %bb.442:
	s_or_b64 exec, exec, s[14:15]
	s_waitcnt lgkmcnt(0)
	s_barrier
	s_barrier
	s_and_saveexec_b64 s[14:15], s[42:43]
	s_cbranch_execz .LBB162_444
; %bb.443:
	v_lshlrev_b32_e32 v26, 3, v0
	s_movk_i32 s16, 0x1f8
	v_mad_u32_u24 v27, v0, s16, v26
	ds_read_b64 v[11:12], v27 offset:21824
	s_waitcnt lgkmcnt(0)
	ds_write_b64 v26, v[11:12] offset:20816
	ds_read_b64 v[11:12], v27 offset:21832
	s_waitcnt lgkmcnt(0)
	ds_write_b64 v26, v[11:12] offset:21328
.LBB162_444:
	s_or_b64 exec, exec, s[14:15]
	s_waitcnt lgkmcnt(0)
	s_barrier
	s_and_saveexec_b64 s[14:15], vcc
	s_cbranch_execz .LBB162_446
; %bb.445:
	s_movk_i32 s16, 0x140
	v_mov_b32_e32 v11, 0
	v_add_u32_e64 v26, s16, 0
	ds_read_b64 v[11:12], v11 offset:21320
	ds_read2st64_b64 v[26:29], v26 offset0:40 offset1:41
	s_movk_i32 s16, 0x5000
	s_waitcnt lgkmcnt(0)
	v_mul_f32_e32 v30, v12, v27
	v_mul_f32_e32 v27, v11, v27
	v_fma_f32 v30, v11, v26, -v30
	v_fmac_f32_e32 v27, v12, v26
	v_mul_f32_e32 v11, v27, v29
	v_mul_f32_e32 v12, v30, v29
	v_fma_f32 v11, v30, v28, -v11
	v_fmac_f32_e32 v12, v27, v28
	v_add_u32_e64 v26, s16, 0
	ds_write2_b64 v26, v[11:12], v[11:12] offset0:41 offset1:104
.LBB162_446:
	s_or_b64 exec, exec, s[14:15]
	v_mov_b32_e32 v12, 0
	v_mov_b32_e32 v11, 0
	s_waitcnt lgkmcnt(0)
	s_barrier
	buffer_wbinvl1_vol
	s_and_saveexec_b64 s[16:17], s[8:9]
	s_cbranch_execz .LBB162_456
; %bb.447:
	v_lshlrev_b32_e32 v26, 3, v20
	v_lshlrev_b32_e32 v27, 9, v21
	ds_read_b64 v[11:12], v26 offset:20736
	ds_read_b64 v[28:29], v27 offset:20800
	v_cmp_gt_u32_e64 s[14:15], 56, v16
	s_waitcnt lgkmcnt(0)
	v_mul_f32_e32 v30, v29, v12
	v_mul_f32_e32 v12, v28, v12
	v_fma_f32 v28, v28, v11, -v30
	v_fmac_f32_e32 v12, v29, v11
	v_add_f32_e32 v11, 0, v28
	v_add_f32_e32 v12, 0, v12
	s_and_saveexec_b64 s[20:21], s[14:15]
	s_cbranch_execnz .LBB162_1141
; %bb.448:
	s_or_b64 exec, exec, s[20:21]
	v_cmp_gt_u32_e64 s[14:15], 48, v16
	s_and_saveexec_b64 s[20:21], s[14:15]
	s_cbranch_execnz .LBB162_1142
.LBB162_449:
	s_or_b64 exec, exec, s[20:21]
	v_cmp_gt_u32_e64 s[14:15], 40, v16
	s_and_saveexec_b64 s[20:21], s[14:15]
	s_cbranch_execnz .LBB162_1143
.LBB162_450:
	s_or_b64 exec, exec, s[20:21]
	v_cmp_gt_u32_e64 s[14:15], 32, v16
	s_and_saveexec_b64 s[20:21], s[14:15]
	s_cbranch_execnz .LBB162_1144
.LBB162_451:
	s_or_b64 exec, exec, s[20:21]
	v_cmp_gt_u32_e64 s[14:15], 24, v16
	s_and_saveexec_b64 s[20:21], s[14:15]
	s_cbranch_execnz .LBB162_1145
.LBB162_452:
	s_or_b64 exec, exec, s[20:21]
	s_and_saveexec_b64 s[14:15], s[18:19]
	s_cbranch_execnz .LBB162_1146
.LBB162_453:
	s_or_b64 exec, exec, s[14:15]
	v_cmp_gt_u32_e64 s[14:15], 8, v16
	s_and_saveexec_b64 s[20:21], s[14:15]
	s_cbranch_execz .LBB162_455
.LBB162_454:
	v_lshlrev_b32_e32 v26, 3, v0
	v_mov_b32_e32 v28, 0
	ds_read_b64 v[26:27], v26 offset:24320
	ds_read_b64 v[28:29], v28 offset:24440
	s_waitcnt lgkmcnt(0)
	v_mul_f32_e32 v30, v29, v27
	v_mul_f32_e32 v27, v28, v27
	v_fma_f32 v28, v28, v26, -v30
	v_fmac_f32_e32 v27, v29, v26
	v_add_f32_e32 v11, v11, v28
	v_add_f32_e32 v12, v12, v27
.LBB162_455:
	s_or_b64 exec, exec, s[20:21]
.LBB162_456:
	s_or_b64 exec, exec, s[16:17]
	s_and_saveexec_b64 s[14:15], s[60:61]
	s_cbranch_execz .LBB162_458
; %bb.457:
	v_mov_b32_e32 v26, 0
	ds_read_b64 v[26:27], v26 offset:20280
	s_waitcnt lgkmcnt(0)
	v_mul_f32_e32 v28, v12, v27
	v_mul_f32_e32 v29, v11, v27
	v_fma_f32 v11, v11, v26, -v28
	v_fmac_f32_e32 v29, v12, v26
	v_xor_b32_e32 v26, 0x80000000, v11
	v_xor_b32_e32 v27, 0x80000000, v29
	v_mov_b32_e32 v12, v29
	ds_write_b64 v22, v[26:27]
.LBB162_458:
	s_or_b64 exec, exec, s[14:15]
	s_waitcnt lgkmcnt(0)
	s_barrier
	s_and_saveexec_b64 s[14:15], s[62:63]
	s_cbranch_execz .LBB162_460
; %bb.459:
	v_lshlrev_b32_e32 v26, 3, v20
	ds_read_b64 v[26:27], v26 offset:20224
	ds_read_b64 v[28:29], v22
	s_waitcnt lgkmcnt(0)
	v_mul_f32_e32 v30, v29, v27
	v_mul_f32_e32 v27, v28, v27
	v_fma_f32 v28, v28, v26, -v30
	v_fmac_f32_e32 v27, v29, v26
	v_sub_f32_e32 v11, v11, v28
	v_sub_f32_e32 v12, v12, v27
.LBB162_460:
	s_or_b64 exec, exec, s[14:15]
	s_barrier
	s_and_saveexec_b64 s[14:15], s[64:65]
	s_cbranch_execz .LBB162_462
; %bb.461:
	v_mov_b32_e32 v26, 0
	ds_read_b64 v[26:27], v26 offset:19760
	s_waitcnt lgkmcnt(0)
	v_mul_f32_e32 v28, v12, v27
	v_mul_f32_e32 v29, v11, v27
	v_fma_f32 v11, v11, v26, -v28
	v_fmac_f32_e32 v29, v12, v26
	v_xor_b32_e32 v26, 0x80000000, v11
	v_xor_b32_e32 v27, 0x80000000, v29
	v_mov_b32_e32 v12, v29
	ds_write_b64 v22, v[26:27]
.LBB162_462:
	s_or_b64 exec, exec, s[14:15]
	s_waitcnt lgkmcnt(0)
	s_barrier
	s_and_saveexec_b64 s[14:15], s[66:67]
	s_cbranch_execz .LBB162_464
; %bb.463:
	v_lshlrev_b32_e32 v26, 3, v20
	ds_read_b64 v[26:27], v26 offset:19712
	ds_read_b64 v[28:29], v22
	s_waitcnt lgkmcnt(0)
	v_mul_f32_e32 v30, v29, v27
	v_mul_f32_e32 v27, v28, v27
	v_fma_f32 v28, v28, v26, -v30
	v_fmac_f32_e32 v27, v29, v26
	v_sub_f32_e32 v11, v11, v28
	v_sub_f32_e32 v12, v12, v27
.LBB162_464:
	s_or_b64 exec, exec, s[14:15]
	s_barrier
	;; [unrolled: 34-line block ×6, first 2 shown]
	s_and_saveexec_b64 s[14:15], s[84:85]
	s_cbranch_execz .LBB162_482
; %bb.481:
	v_mov_b32_e32 v26, 0
	ds_read_b64 v[26:27], v26 offset:17160
	s_waitcnt lgkmcnt(0)
	v_mul_f32_e32 v28, v12, v27
	v_mul_f32_e32 v29, v11, v27
	v_fma_f32 v11, v11, v26, -v28
	v_fmac_f32_e32 v29, v12, v26
	v_xor_b32_e32 v26, 0x80000000, v11
	v_xor_b32_e32 v27, 0x80000000, v29
	v_mov_b32_e32 v12, v29
	ds_write_b64 v22, v[26:27]
.LBB162_482:
	s_or_b64 exec, exec, s[14:15]
	s_waitcnt lgkmcnt(0)
	s_barrier
	s_and_saveexec_b64 s[14:15], s[58:59]
	s_cbranch_execz .LBB162_484
; %bb.483:
	v_mov_b32_e32 v26, 0
	ds_read_b64 v[26:27], v26 offset:17152
	ds_read_b64 v[28:29], v22
	s_waitcnt lgkmcnt(0)
	v_mul_f32_e32 v30, v29, v27
	v_mul_f32_e32 v27, v28, v27
	v_fma_f32 v28, v28, v26, -v30
	v_fmac_f32_e32 v27, v29, v26
	v_sub_f32_e32 v11, v11, v28
	v_sub_f32_e32 v12, v12, v27
.LBB162_484:
	s_or_b64 exec, exec, s[14:15]
	s_barrier
	s_and_saveexec_b64 s[14:15], s[58:59]
	s_cbranch_execz .LBB162_486
; %bb.485:
	v_mov_b32_e32 v26, 0
	ds_read_b64 v[26:27], v26 offset:16640
	s_waitcnt lgkmcnt(0)
	v_mul_f32_e32 v28, v12, v27
	v_mul_f32_e32 v29, v11, v27
	v_fma_f32 v11, v11, v26, -v28
	v_fmac_f32_e32 v29, v12, v26
	v_xor_b32_e32 v26, 0x80000000, v11
	v_xor_b32_e32 v27, 0x80000000, v29
	v_mov_b32_e32 v12, v29
	ds_write_b64 v22, v[26:27]
.LBB162_486:
	s_or_b64 exec, exec, s[14:15]
	s_waitcnt lgkmcnt(0)
	s_barrier
	s_barrier
	s_and_saveexec_b64 s[14:15], s[8:9]
; %bb.487:
	v_lshlrev_b32_e32 v26, 3, v20
	v_lshl_or_b32 v26, v21, 9, v26
	ds_write_b64 v26, v[11:12] offset:20736
; %bb.488:
	s_or_b64 exec, exec, s[14:15]
	s_waitcnt lgkmcnt(0)
	s_barrier
	s_barrier
	s_and_saveexec_b64 s[14:15], s[86:87]
	s_cbranch_execz .LBB162_490
; %bb.489:
	v_lshlrev_b32_e32 v26, 9, v0
	ds_read_b64 v[11:12], v26 offset:20736
	s_movk_i32 s16, 0xfe08
	v_mad_i32_i24 v27, v0, s16, v26
	s_waitcnt lgkmcnt(0)
	ds_write_b64 v27, v[11:12] offset:16704
	ds_read_b64 v[11:12], v26 offset:20744
	s_waitcnt lgkmcnt(0)
	ds_write_b64 v27, v[11:12] offset:17216
	ds_read_b64 v[11:12], v26 offset:20752
	;; [unrolled: 3-line block ×7, first 2 shown]
	s_waitcnt lgkmcnt(0)
	ds_write_b64 v27, v[11:12] offset:20288
.LBB162_490:
	s_or_b64 exec, exec, s[14:15]
	s_waitcnt lgkmcnt(0)
	s_barrier
	s_and_saveexec_b64 s[14:15], vcc
	s_cbranch_execz .LBB162_492
; %bb.491:
	s_movk_i32 s16, 0x130
	v_mov_b32_e32 v11, 0
	v_add_u32_e64 v26, s16, 0
	ds_read_b64 v[11:12], v11 offset:20280
	ds_read2st64_b64 v[26:29], v26 offset0:38 offset1:39
	s_movk_i32 s16, 0x4800
	s_waitcnt lgkmcnt(0)
	v_mul_f32_e32 v30, v12, v27
	v_mul_f32_e32 v27, v11, v27
	v_fma_f32 v30, v11, v26, -v30
	v_fmac_f32_e32 v27, v12, v26
	v_mul_f32_e32 v11, v27, v29
	v_mul_f32_e32 v12, v30, v29
	v_fma_f32 v11, v30, v28, -v11
	v_fmac_f32_e32 v12, v27, v28
	v_add_u32_e64 v26, s16, 0
	ds_write2_b64 v26, v[11:12], v[11:12] offset0:167 offset1:230
.LBB162_492:
	s_or_b64 exec, exec, s[14:15]
	v_mov_b32_e32 v11, 0
	v_mov_b32_e32 v12, 0
	s_waitcnt lgkmcnt(0)
	s_barrier
	buffer_wbinvl1_vol
	s_and_saveexec_b64 s[16:17], s[2:3]
	s_cbranch_execz .LBB162_496
; %bb.493:
	v_lshlrev_b32_e32 v11, 3, v13
	v_lshlrev_b32_e32 v26, 9, v14
	ds_read_b64 v[11:12], v11 offset:19744
	ds_read_b64 v[26:27], v26 offset:19760
	v_cmp_gt_u32_e64 s[14:15], 2, v16
	s_waitcnt lgkmcnt(0)
	v_mul_f32_e32 v28, v27, v12
	v_mul_f32_e32 v12, v26, v12
	v_fma_f32 v26, v26, v11, -v28
	v_fmac_f32_e32 v12, v27, v11
	v_add_f32_e32 v11, 0, v26
	v_add_f32_e32 v12, 0, v12
	s_and_saveexec_b64 s[20:21], s[14:15]
	s_cbranch_execz .LBB162_495
; %bb.494:
	v_lshlrev_b32_e32 v26, 3, v0
	v_mov_b32_e32 v28, 0
	ds_read_b64 v[26:27], v26 offset:20256
	ds_read_b64 v[28:29], v28 offset:20280
	s_waitcnt lgkmcnt(0)
	v_mul_f32_e32 v30, v29, v27
	v_mul_f32_e32 v27, v28, v27
	v_fma_f32 v28, v28, v26, -v30
	v_fmac_f32_e32 v27, v29, v26
	v_add_f32_e32 v11, v11, v28
	v_add_f32_e32 v12, v12, v27
.LBB162_495:
	s_or_b64 exec, exec, s[20:21]
.LBB162_496:
	s_or_b64 exec, exec, s[16:17]
	s_and_saveexec_b64 s[14:15], s[40:41]
	s_cbranch_execz .LBB162_498
; %bb.497:
	v_mov_b32_e32 v26, 0
	ds_read_b64 v[26:27], v26 offset:19240
	s_waitcnt lgkmcnt(0)
	v_mul_f32_e32 v28, v12, v27
	v_mul_f32_e32 v29, v11, v27
	v_fma_f32 v11, v11, v26, -v28
	v_fmac_f32_e32 v29, v12, v26
	v_xor_b32_e32 v26, 0x80000000, v11
	v_xor_b32_e32 v27, 0x80000000, v29
	v_mov_b32_e32 v12, v29
	ds_write_b64 v15, v[26:27]
.LBB162_498:
	s_or_b64 exec, exec, s[14:15]
	s_waitcnt lgkmcnt(0)
	s_barrier
	s_and_saveexec_b64 s[14:15], s[38:39]
	s_cbranch_execz .LBB162_500
; %bb.499:
	v_mov_b32_e32 v26, 0
	ds_read_b64 v[26:27], v26 offset:19232
	ds_read_b64 v[28:29], v15
	s_waitcnt lgkmcnt(0)
	v_mul_f32_e32 v30, v29, v27
	v_mul_f32_e32 v27, v28, v27
	v_fma_f32 v28, v28, v26, -v30
	v_fmac_f32_e32 v27, v29, v26
	v_sub_f32_e32 v11, v11, v28
	v_sub_f32_e32 v12, v12, v27
.LBB162_500:
	s_or_b64 exec, exec, s[14:15]
	s_barrier
	s_and_saveexec_b64 s[14:15], s[38:39]
	s_cbranch_execz .LBB162_502
; %bb.501:
	v_mov_b32_e32 v26, 0
	ds_read_b64 v[26:27], v26 offset:18720
	s_waitcnt lgkmcnt(0)
	v_mul_f32_e32 v28, v12, v27
	v_mul_f32_e32 v29, v11, v27
	v_fma_f32 v11, v11, v26, -v28
	v_fmac_f32_e32 v29, v12, v26
	v_xor_b32_e32 v26, 0x80000000, v11
	v_xor_b32_e32 v27, 0x80000000, v29
	v_mov_b32_e32 v12, v29
	ds_write_b64 v15, v[26:27]
.LBB162_502:
	s_or_b64 exec, exec, s[14:15]
	s_waitcnt lgkmcnt(0)
	s_barrier
	s_barrier
	s_and_saveexec_b64 s[14:15], s[2:3]
; %bb.503:
	v_lshlrev_b32_e32 v26, 3, v13
	v_lshl_or_b32 v26, v14, 9, v26
	ds_write_b64 v26, v[11:12] offset:19744
; %bb.504:
	s_or_b64 exec, exec, s[14:15]
	s_waitcnt lgkmcnt(0)
	s_barrier
	s_barrier
	s_and_saveexec_b64 s[14:15], s[42:43]
	s_cbranch_execz .LBB162_506
; %bb.505:
	v_lshlrev_b32_e32 v26, 3, v0
	s_movk_i32 s16, 0x1f8
	v_mad_u32_u24 v27, v0, s16, v26
	ds_read_b64 v[11:12], v27 offset:19744
	s_waitcnt lgkmcnt(0)
	ds_write_b64 v26, v[11:12] offset:18736
	ds_read_b64 v[11:12], v27 offset:19752
	s_waitcnt lgkmcnt(0)
	ds_write_b64 v26, v[11:12] offset:19248
.LBB162_506:
	s_or_b64 exec, exec, s[14:15]
	s_waitcnt lgkmcnt(0)
	s_barrier
	s_and_saveexec_b64 s[14:15], vcc
	s_cbranch_execz .LBB162_508
; %bb.507:
	s_movk_i32 s16, 0x120
	v_mov_b32_e32 v11, 0
	v_add_u32_e64 v26, s16, 0
	ds_read_b64 v[11:12], v11 offset:19240
	ds_read2st64_b64 v[26:29], v26 offset0:36 offset1:37
	s_movk_i32 s16, 0x4800
	s_waitcnt lgkmcnt(0)
	v_mul_f32_e32 v30, v12, v27
	v_mul_f32_e32 v27, v11, v27
	v_fma_f32 v30, v11, v26, -v30
	v_fmac_f32_e32 v27, v12, v26
	v_mul_f32_e32 v11, v27, v29
	v_mul_f32_e32 v12, v30, v29
	v_fma_f32 v11, v30, v28, -v11
	v_fmac_f32_e32 v12, v27, v28
	v_add_u32_e64 v26, s16, 0
	ds_write2_b64 v26, v[11:12], v[11:12] offset0:37 offset1:100
.LBB162_508:
	s_or_b64 exec, exec, s[14:15]
	v_mov_b32_e32 v12, 0
	v_mov_b32_e32 v11, 0
	s_waitcnt lgkmcnt(0)
	s_barrier
	buffer_wbinvl1_vol
	s_and_saveexec_b64 s[16:17], s[18:19]
	s_cbranch_execz .LBB162_514
; %bb.509:
	v_lshlrev_b32_e32 v26, 3, v17
	v_lshlrev_b32_e32 v27, 9, v18
	ds_read_b64 v[11:12], v26 offset:18688
	ds_read_b64 v[28:29], v27 offset:18720
	v_cmp_gt_u32_e64 s[14:15], 12, v16
	s_waitcnt lgkmcnt(0)
	v_mul_f32_e32 v30, v29, v12
	v_mul_f32_e32 v12, v28, v12
	v_fma_f32 v28, v28, v11, -v30
	v_fmac_f32_e32 v12, v29, v11
	v_add_f32_e32 v11, 0, v28
	v_add_f32_e32 v12, 0, v12
	s_and_saveexec_b64 s[20:21], s[14:15]
	s_cbranch_execnz .LBB162_1147
; %bb.510:
	s_or_b64 exec, exec, s[20:21]
	v_cmp_gt_u32_e64 s[14:15], 8, v16
	s_and_saveexec_b64 s[20:21], s[14:15]
	s_cbranch_execnz .LBB162_1148
.LBB162_511:
	s_or_b64 exec, exec, s[20:21]
	v_cmp_gt_u32_e64 s[14:15], 4, v16
	s_and_saveexec_b64 s[20:21], s[14:15]
	s_cbranch_execz .LBB162_513
.LBB162_512:
	v_lshlrev_b32_e32 v26, 3, v0
	v_mov_b32_e32 v28, 0
	ds_read_b64 v[26:27], v26 offset:20224
	ds_read_b64 v[28:29], v28 offset:20280
	s_waitcnt lgkmcnt(0)
	v_mul_f32_e32 v30, v29, v27
	v_mul_f32_e32 v27, v28, v27
	v_fma_f32 v28, v28, v26, -v30
	v_fmac_f32_e32 v27, v29, v26
	v_add_f32_e32 v11, v11, v28
	v_add_f32_e32 v12, v12, v27
.LBB162_513:
	s_or_b64 exec, exec, s[20:21]
.LBB162_514:
	s_or_b64 exec, exec, s[16:17]
	s_and_saveexec_b64 s[14:15], s[46:47]
	s_cbranch_execz .LBB162_516
; %bb.515:
	v_mov_b32_e32 v26, 0
	ds_read_b64 v[26:27], v26 offset:18200
	s_waitcnt lgkmcnt(0)
	v_mul_f32_e32 v28, v12, v27
	v_mul_f32_e32 v29, v11, v27
	v_fma_f32 v11, v11, v26, -v28
	v_fmac_f32_e32 v29, v12, v26
	v_xor_b32_e32 v26, 0x80000000, v11
	v_xor_b32_e32 v27, 0x80000000, v29
	v_mov_b32_e32 v12, v29
	ds_write_b64 v19, v[26:27]
.LBB162_516:
	s_or_b64 exec, exec, s[14:15]
	s_waitcnt lgkmcnt(0)
	s_barrier
	s_and_saveexec_b64 s[14:15], s[48:49]
	s_cbranch_execz .LBB162_518
; %bb.517:
	v_lshlrev_b32_e32 v26, 3, v17
	ds_read_b64 v[26:27], v26 offset:18176
	ds_read_b64 v[28:29], v19
	s_waitcnt lgkmcnt(0)
	v_mul_f32_e32 v30, v29, v27
	v_mul_f32_e32 v27, v28, v27
	v_fma_f32 v28, v28, v26, -v30
	v_fmac_f32_e32 v27, v29, v26
	v_sub_f32_e32 v11, v11, v28
	v_sub_f32_e32 v12, v12, v27
.LBB162_518:
	s_or_b64 exec, exec, s[14:15]
	s_barrier
	s_and_saveexec_b64 s[14:15], s[50:51]
	s_cbranch_execz .LBB162_520
; %bb.519:
	v_mov_b32_e32 v26, 0
	ds_read_b64 v[26:27], v26 offset:17680
	s_waitcnt lgkmcnt(0)
	v_mul_f32_e32 v28, v12, v27
	v_mul_f32_e32 v29, v11, v27
	v_fma_f32 v11, v11, v26, -v28
	v_fmac_f32_e32 v29, v12, v26
	v_xor_b32_e32 v26, 0x80000000, v11
	v_xor_b32_e32 v27, 0x80000000, v29
	v_mov_b32_e32 v12, v29
	ds_write_b64 v19, v[26:27]
.LBB162_520:
	s_or_b64 exec, exec, s[14:15]
	s_waitcnt lgkmcnt(0)
	s_barrier
	s_and_saveexec_b64 s[14:15], s[52:53]
	s_cbranch_execz .LBB162_522
; %bb.521:
	v_lshlrev_b32_e32 v26, 3, v17
	ds_read_b64 v[26:27], v26 offset:17664
	ds_read_b64 v[28:29], v19
	s_waitcnt lgkmcnt(0)
	v_mul_f32_e32 v30, v29, v27
	v_mul_f32_e32 v27, v28, v27
	v_fma_f32 v28, v28, v26, -v30
	v_fmac_f32_e32 v27, v29, v26
	v_sub_f32_e32 v11, v11, v28
	v_sub_f32_e32 v12, v12, v27
.LBB162_522:
	s_or_b64 exec, exec, s[14:15]
	s_barrier
	s_and_saveexec_b64 s[14:15], s[54:55]
	s_cbranch_execz .LBB162_524
; %bb.523:
	v_mov_b32_e32 v26, 0
	ds_read_b64 v[26:27], v26 offset:17160
	s_waitcnt lgkmcnt(0)
	v_mul_f32_e32 v28, v12, v27
	v_mul_f32_e32 v29, v11, v27
	v_fma_f32 v11, v11, v26, -v28
	v_fmac_f32_e32 v29, v12, v26
	v_xor_b32_e32 v26, 0x80000000, v11
	v_xor_b32_e32 v27, 0x80000000, v29
	v_mov_b32_e32 v12, v29
	ds_write_b64 v19, v[26:27]
.LBB162_524:
	s_or_b64 exec, exec, s[14:15]
	s_waitcnt lgkmcnt(0)
	s_barrier
	s_and_saveexec_b64 s[14:15], s[44:45]
	s_cbranch_execz .LBB162_526
; %bb.525:
	v_mov_b32_e32 v26, 0
	ds_read_b64 v[26:27], v26 offset:17152
	ds_read_b64 v[28:29], v19
	s_waitcnt lgkmcnt(0)
	v_mul_f32_e32 v30, v29, v27
	v_mul_f32_e32 v27, v28, v27
	v_fma_f32 v28, v28, v26, -v30
	v_fmac_f32_e32 v27, v29, v26
	v_sub_f32_e32 v11, v11, v28
	v_sub_f32_e32 v12, v12, v27
.LBB162_526:
	s_or_b64 exec, exec, s[14:15]
	s_barrier
	s_and_saveexec_b64 s[14:15], s[44:45]
	s_cbranch_execz .LBB162_528
; %bb.527:
	v_mov_b32_e32 v26, 0
	ds_read_b64 v[26:27], v26 offset:16640
	s_waitcnt lgkmcnt(0)
	v_mul_f32_e32 v28, v12, v27
	v_mul_f32_e32 v29, v11, v27
	v_fma_f32 v11, v11, v26, -v28
	v_fmac_f32_e32 v29, v12, v26
	v_xor_b32_e32 v26, 0x80000000, v11
	v_xor_b32_e32 v27, 0x80000000, v29
	v_mov_b32_e32 v12, v29
	ds_write_b64 v19, v[26:27]
.LBB162_528:
	s_or_b64 exec, exec, s[14:15]
	s_waitcnt lgkmcnt(0)
	s_barrier
	s_barrier
	s_and_saveexec_b64 s[14:15], s[18:19]
; %bb.529:
	v_lshlrev_b32_e32 v26, 3, v17
	v_lshl_or_b32 v26, v18, 9, v26
	ds_write_b64 v26, v[11:12] offset:18688
; %bb.530:
	s_or_b64 exec, exec, s[14:15]
	s_waitcnt lgkmcnt(0)
	s_barrier
	s_barrier
	s_and_saveexec_b64 s[14:15], s[56:57]
	s_cbranch_execz .LBB162_532
; %bb.531:
	v_lshlrev_b32_e32 v26, 9, v0
	ds_read_b64 v[11:12], v26 offset:18688
	s_movk_i32 s16, 0xfe08
	v_mad_i32_i24 v27, v0, s16, v26
	s_waitcnt lgkmcnt(0)
	ds_write_b64 v27, v[11:12] offset:16672
	ds_read_b64 v[11:12], v26 offset:18696
	s_waitcnt lgkmcnt(0)
	ds_write_b64 v27, v[11:12] offset:17184
	ds_read_b64 v[11:12], v26 offset:18704
	;; [unrolled: 3-line block ×3, first 2 shown]
	s_waitcnt lgkmcnt(0)
	ds_write_b64 v27, v[11:12] offset:18208
.LBB162_532:
	s_or_b64 exec, exec, s[14:15]
	s_waitcnt lgkmcnt(0)
	s_barrier
	s_and_saveexec_b64 s[14:15], vcc
	s_cbranch_execz .LBB162_534
; %bb.533:
	s_movk_i32 s16, 0x110
	v_mov_b32_e32 v11, 0
	v_add_u32_e64 v26, s16, 0
	ds_read_b64 v[11:12], v11 offset:18200
	ds_read2st64_b64 v[26:29], v26 offset0:34 offset1:35
	s_movk_i32 s16, 0x4000
	s_waitcnt lgkmcnt(0)
	v_mul_f32_e32 v30, v12, v27
	v_mul_f32_e32 v27, v11, v27
	v_fma_f32 v30, v11, v26, -v30
	v_fmac_f32_e32 v27, v12, v26
	v_mul_f32_e32 v11, v27, v29
	v_mul_f32_e32 v12, v30, v29
	v_fma_f32 v11, v30, v28, -v11
	v_fmac_f32_e32 v12, v27, v28
	v_add_u32_e64 v26, s16, 0
	ds_write2_b64 v26, v[11:12], v[11:12] offset0:163 offset1:226
.LBB162_534:
	s_or_b64 exec, exec, s[14:15]
	v_mov_b32_e32 v11, 0
	v_mov_b32_e32 v12, 0
	s_waitcnt lgkmcnt(0)
	s_barrier
	buffer_wbinvl1_vol
	s_and_saveexec_b64 s[16:17], s[2:3]
	s_cbranch_execz .LBB162_538
; %bb.535:
	v_lshlrev_b32_e32 v11, 3, v13
	v_lshlrev_b32_e32 v26, 9, v14
	ds_read_b64 v[11:12], v11 offset:17664
	ds_read_b64 v[26:27], v26 offset:17680
	v_cmp_gt_u32_e64 s[14:15], 2, v16
	s_waitcnt lgkmcnt(0)
	v_mul_f32_e32 v28, v27, v12
	v_mul_f32_e32 v12, v26, v12
	v_fma_f32 v26, v26, v11, -v28
	v_fmac_f32_e32 v12, v27, v11
	v_add_f32_e32 v11, 0, v26
	v_add_f32_e32 v12, 0, v12
	s_and_saveexec_b64 s[20:21], s[14:15]
	s_cbranch_execz .LBB162_537
; %bb.536:
	v_lshlrev_b32_e32 v26, 3, v0
	v_mov_b32_e32 v28, 0
	ds_read_b64 v[26:27], v26 offset:18176
	ds_read_b64 v[28:29], v28 offset:18200
	s_waitcnt lgkmcnt(0)
	v_mul_f32_e32 v30, v29, v27
	v_mul_f32_e32 v27, v28, v27
	v_fma_f32 v28, v28, v26, -v30
	v_fmac_f32_e32 v27, v29, v26
	v_add_f32_e32 v11, v11, v28
	v_add_f32_e32 v12, v12, v27
.LBB162_537:
	s_or_b64 exec, exec, s[20:21]
.LBB162_538:
	s_or_b64 exec, exec, s[16:17]
	s_and_saveexec_b64 s[14:15], s[40:41]
	s_cbranch_execz .LBB162_540
; %bb.539:
	v_mov_b32_e32 v26, 0
	ds_read_b64 v[26:27], v26 offset:17160
	s_waitcnt lgkmcnt(0)
	v_mul_f32_e32 v28, v12, v27
	v_mul_f32_e32 v29, v11, v27
	v_fma_f32 v11, v11, v26, -v28
	v_fmac_f32_e32 v29, v12, v26
	v_xor_b32_e32 v26, 0x80000000, v11
	v_xor_b32_e32 v27, 0x80000000, v29
	v_mov_b32_e32 v12, v29
	ds_write_b64 v15, v[26:27]
.LBB162_540:
	s_or_b64 exec, exec, s[14:15]
	s_waitcnt lgkmcnt(0)
	s_barrier
	s_and_saveexec_b64 s[14:15], s[38:39]
	s_cbranch_execz .LBB162_542
; %bb.541:
	v_mov_b32_e32 v26, 0
	ds_read_b64 v[26:27], v26 offset:17152
	ds_read_b64 v[28:29], v15
	s_waitcnt lgkmcnt(0)
	v_mul_f32_e32 v30, v29, v27
	v_mul_f32_e32 v27, v28, v27
	v_fma_f32 v28, v28, v26, -v30
	v_fmac_f32_e32 v27, v29, v26
	v_sub_f32_e32 v11, v11, v28
	v_sub_f32_e32 v12, v12, v27
.LBB162_542:
	s_or_b64 exec, exec, s[14:15]
	s_barrier
	s_and_saveexec_b64 s[14:15], s[38:39]
	s_cbranch_execz .LBB162_544
; %bb.543:
	v_mov_b32_e32 v26, 0
	ds_read_b64 v[26:27], v26 offset:16640
	s_waitcnt lgkmcnt(0)
	v_mul_f32_e32 v28, v12, v27
	v_mul_f32_e32 v29, v11, v27
	v_fma_f32 v11, v11, v26, -v28
	v_fmac_f32_e32 v29, v12, v26
	v_xor_b32_e32 v26, 0x80000000, v11
	v_xor_b32_e32 v27, 0x80000000, v29
	v_mov_b32_e32 v12, v29
	ds_write_b64 v15, v[26:27]
.LBB162_544:
	s_or_b64 exec, exec, s[14:15]
	s_waitcnt lgkmcnt(0)
	s_barrier
	s_barrier
	s_and_saveexec_b64 s[14:15], s[2:3]
; %bb.545:
	v_lshlrev_b32_e32 v26, 3, v13
	v_lshl_or_b32 v26, v14, 9, v26
	ds_write_b64 v26, v[11:12] offset:17664
; %bb.546:
	s_or_b64 exec, exec, s[14:15]
	s_waitcnt lgkmcnt(0)
	s_barrier
	s_barrier
	s_and_saveexec_b64 s[14:15], s[42:43]
	s_cbranch_execz .LBB162_548
; %bb.547:
	v_lshlrev_b32_e32 v26, 3, v0
	s_movk_i32 s16, 0x1f8
	v_mad_u32_u24 v27, v0, s16, v26
	ds_read_b64 v[11:12], v27 offset:17664
	s_waitcnt lgkmcnt(0)
	ds_write_b64 v26, v[11:12] offset:16656
	ds_read_b64 v[11:12], v27 offset:17672
	s_waitcnt lgkmcnt(0)
	ds_write_b64 v26, v[11:12] offset:17168
.LBB162_548:
	s_or_b64 exec, exec, s[14:15]
	s_waitcnt lgkmcnt(0)
	s_barrier
	s_and_saveexec_b64 s[14:15], vcc
	s_cbranch_execz .LBB162_550
; %bb.549:
	s_movk_i32 s16, 0x100
	v_mov_b32_e32 v11, 0
	v_add_u32_e64 v26, s16, 0
	ds_read_b64 v[11:12], v11 offset:17160
	ds_read2st64_b64 v[26:29], v26 offset0:32 offset1:33
	s_movk_i32 s16, 0x4000
	s_waitcnt lgkmcnt(0)
	v_mul_f32_e32 v30, v12, v27
	v_mul_f32_e32 v27, v11, v27
	v_fma_f32 v30, v11, v26, -v30
	v_fmac_f32_e32 v27, v12, v26
	v_mul_f32_e32 v11, v27, v29
	v_mul_f32_e32 v12, v30, v29
	v_fma_f32 v11, v30, v28, -v11
	v_fmac_f32_e32 v12, v27, v28
	v_add_u32_e64 v26, s16, 0
	ds_write2_b64 v26, v[11:12], v[11:12] offset0:33 offset1:96
.LBB162_550:
	s_or_b64 exec, exec, s[14:15]
	s_movk_i32 s14, 0x3ff
	v_lshrrev_b32_e32 v28, 5, v16
	v_cmp_lt_u32_e64 s[16:17], s14, v16
	s_movk_i32 s14, 0x400
	v_and_b32_e32 v26, 31, v0
	v_sub_u32_e32 v27, 31, v28
	v_cmp_gt_u32_e64 s[14:15], s14, v16
	v_mov_b32_e32 v12, 0
	v_mov_b32_e32 v11, 0
	s_waitcnt lgkmcnt(0)
	s_barrier
	buffer_wbinvl1_vol
	s_and_saveexec_b64 s[88:89], s[14:15]
	s_cbranch_execz .LBB162_612
; %bb.551:
	v_lshlrev_b32_e32 v29, 3, v26
	v_lshlrev_b32_e32 v30, 9, v27
	ds_read_b64 v[11:12], v29 offset:16384
	ds_read_b64 v[31:32], v30 offset:16640
	s_movk_i32 s20, 0x3e0
	v_cmp_gt_u32_e64 s[20:21], s20, v16
	s_waitcnt lgkmcnt(0)
	v_mul_f32_e32 v33, v32, v12
	v_mul_f32_e32 v12, v31, v12
	v_fma_f32 v31, v31, v11, -v33
	v_fmac_f32_e32 v12, v32, v11
	v_add_f32_e32 v11, 0, v31
	v_add_f32_e32 v12, 0, v12
	s_and_saveexec_b64 s[90:91], s[20:21]
	s_cbranch_execz .LBB162_553
; %bb.552:
	ds_read_b64 v[31:32], v29 offset:16896
	ds_read_b64 v[33:34], v30 offset:16648
	s_waitcnt lgkmcnt(0)
	v_mul_f32_e32 v35, v34, v32
	v_mul_f32_e32 v32, v33, v32
	v_fma_f32 v33, v33, v31, -v35
	v_fmac_f32_e32 v32, v34, v31
	v_add_f32_e32 v11, v11, v33
	v_add_f32_e32 v12, v12, v32
.LBB162_553:
	s_or_b64 exec, exec, s[90:91]
	s_movk_i32 s20, 0x3c0
	v_cmp_gt_u32_e64 s[20:21], s20, v16
	s_and_saveexec_b64 s[90:91], s[20:21]
	s_cbranch_execz .LBB162_555
; %bb.554:
	ds_read_b64 v[31:32], v29 offset:17408
	ds_read_b64 v[33:34], v30 offset:16656
	s_waitcnt lgkmcnt(0)
	v_mul_f32_e32 v35, v34, v32
	v_mul_f32_e32 v32, v33, v32
	v_fma_f32 v33, v33, v31, -v35
	v_fmac_f32_e32 v32, v34, v31
	v_add_f32_e32 v11, v11, v33
	v_add_f32_e32 v12, v12, v32
.LBB162_555:
	s_or_b64 exec, exec, s[90:91]
	s_movk_i32 s20, 0x3a0
	v_cmp_gt_u32_e64 s[20:21], s20, v16
	;; [unrolled: 16-line block ×22, first 2 shown]
	s_and_saveexec_b64 s[90:91], s[20:21]
	s_cbranch_execz .LBB162_597
; %bb.596:
	ds_read_b64 v[31:32], v29 offset:28160
	ds_read_b64 v[33:34], v30 offset:16824
	s_waitcnt lgkmcnt(0)
	v_mul_f32_e32 v35, v34, v32
	v_mul_f32_e32 v32, v33, v32
	v_fma_f32 v33, v33, v31, -v35
	v_fmac_f32_e32 v32, v34, v31
	v_add_f32_e32 v11, v11, v33
	v_add_f32_e32 v12, v12, v32
.LBB162_597:
	s_or_b64 exec, exec, s[90:91]
	s_and_saveexec_b64 s[20:21], s[10:11]
	s_cbranch_execz .LBB162_599
; %bb.598:
	ds_read_b64 v[31:32], v29 offset:28672
	ds_read_b64 v[33:34], v30 offset:16832
	s_waitcnt lgkmcnt(0)
	v_mul_f32_e32 v35, v34, v32
	v_mul_f32_e32 v32, v33, v32
	v_fma_f32 v33, v33, v31, -v35
	v_fmac_f32_e32 v32, v34, v31
	v_add_f32_e32 v11, v11, v33
	v_add_f32_e32 v12, v12, v32
.LBB162_599:
	s_or_b64 exec, exec, s[20:21]
	s_movk_i32 s20, 0xe0
	v_cmp_gt_u32_e64 s[20:21], s20, v16
	s_and_saveexec_b64 s[90:91], s[20:21]
	s_cbranch_execz .LBB162_601
; %bb.600:
	ds_read_b64 v[31:32], v29 offset:29184
	ds_read_b64 v[33:34], v30 offset:16840
	s_waitcnt lgkmcnt(0)
	v_mul_f32_e32 v35, v34, v32
	v_mul_f32_e32 v32, v33, v32
	v_fma_f32 v33, v33, v31, -v35
	v_fmac_f32_e32 v32, v34, v31
	v_add_f32_e32 v11, v11, v33
	v_add_f32_e32 v12, v12, v32
.LBB162_601:
	s_or_b64 exec, exec, s[90:91]
	s_movk_i32 s20, 0xc0
	v_cmp_gt_u32_e64 s[20:21], s20, v16
	;; [unrolled: 16-line block ×5, first 2 shown]
	s_and_saveexec_b64 s[90:91], s[20:21]
	s_cbranch_execnz .LBB162_1149
; %bb.608:
	s_or_b64 exec, exec, s[90:91]
	s_and_saveexec_b64 s[20:21], s[8:9]
	s_cbranch_execnz .LBB162_1150
.LBB162_609:
	s_or_b64 exec, exec, s[20:21]
	v_cmp_gt_u32_e64 s[20:21], 32, v16
	s_and_saveexec_b64 s[90:91], s[20:21]
	s_cbranch_execz .LBB162_611
.LBB162_610:
	ds_read_b64 v[31:32], v29 offset:32256
	ds_read_b64 v[29:30], v30 offset:16888
	s_waitcnt lgkmcnt(0)
	v_mul_f32_e32 v33, v30, v32
	v_mul_f32_e32 v32, v29, v32
	v_fma_f32 v29, v29, v31, -v33
	v_fmac_f32_e32 v32, v30, v31
	v_add_f32_e32 v11, v11, v29
	v_add_f32_e32 v12, v12, v32
.LBB162_611:
	s_or_b64 exec, exec, s[90:91]
.LBB162_612:
	s_or_b64 exec, exec, s[88:89]
	v_mov_b32_e32 v29, 0x8000
	s_movk_i32 s20, 0x208
	v_lshlrev_b32_e32 v30, 9, v26
	v_mov_b32_e32 v31, 0x3c00
	v_lshl_add_u32 v28, v28, 3, v29
	v_mul_u32_u24_e32 v29, 0x208, v26
	v_sub_u32_e32 v30, 0, v30
	v_mad_u32_u24 v31, v26, s20, v31
	s_mov_b32 s88, 31
	s_xor_b64 s[20:21], s[16:17], -1
	s_branch .LBB162_614
.LBB162_613:                            ;   in Loop: Header=BB162_614 Depth=1
	s_or_b64 exec, exec, s[16:17]
	s_add_i32 s88, s88, -2
	s_cmp_eq_u32 s89, 0
	v_add_u32_e32 v30, 0xfffffc00, v30
	s_barrier
	s_cbranch_scc1 .LBB162_622
.LBB162_614:                            ; =>This Inner Loop Header: Depth=1
	s_movk_i32 s16, 0xc200
	v_cmp_eq_u32_e64 s[16:17], s16, v30
	s_and_b64 s[90:91], s[20:21], s[16:17]
	s_and_saveexec_b64 s[16:17], s[90:91]
	s_cbranch_execz .LBB162_616
; %bb.615:                              ;   in Loop: Header=BB162_614 Depth=1
	ds_read_b64 v[32:33], v29
	s_waitcnt lgkmcnt(0)
	v_mul_f32_e32 v34, v12, v33
	v_mul_f32_e32 v35, v11, v33
	v_fma_f32 v11, v11, v32, -v34
	v_fmac_f32_e32 v35, v12, v32
	v_xor_b32_e32 v32, 0x80000000, v11
	v_xor_b32_e32 v33, 0x80000000, v35
	v_mov_b32_e32 v12, v35
	ds_write_b64 v28, v[32:33]
.LBB162_616:                            ;   in Loop: Header=BB162_614 Depth=1
	s_or_b64 exec, exec, s[16:17]
	v_cmp_gt_u32_e64 s[16:17], s88, v26
	s_and_b64 s[90:91], s[20:21], s[16:17]
	v_add_u32_e32 v32, v31, v30
	s_waitcnt lgkmcnt(0)
	s_barrier
	s_and_saveexec_b64 s[16:17], s[90:91]
	s_cbranch_execz .LBB162_618
; %bb.617:                              ;   in Loop: Header=BB162_614 Depth=1
	ds_read_b64 v[33:34], v32 offset:512
	ds_read_b64 v[35:36], v28
	s_waitcnt lgkmcnt(0)
	v_mul_f32_e32 v37, v36, v34
	v_mul_f32_e32 v34, v35, v34
	v_fma_f32 v35, v35, v33, -v37
	v_fmac_f32_e32 v34, v36, v33
	v_sub_f32_e32 v11, v11, v35
	v_sub_f32_e32 v12, v12, v34
.LBB162_618:                            ;   in Loop: Header=BB162_614 Depth=1
	s_or_b64 exec, exec, s[16:17]
	s_add_i32 s89, s88, -1
	v_cmp_eq_u32_e64 s[16:17], s89, v26
	s_and_b64 s[90:91], s[20:21], s[16:17]
	s_barrier
	s_and_saveexec_b64 s[16:17], s[90:91]
	s_cbranch_execz .LBB162_620
; %bb.619:                              ;   in Loop: Header=BB162_614 Depth=1
	ds_read_b64 v[33:34], v29
	s_waitcnt lgkmcnt(0)
	v_mul_f32_e32 v35, v12, v34
	v_mul_f32_e32 v36, v11, v34
	v_fma_f32 v11, v11, v33, -v35
	v_fmac_f32_e32 v36, v12, v33
	v_xor_b32_e32 v33, 0x80000000, v11
	v_xor_b32_e32 v34, 0x80000000, v36
	v_mov_b32_e32 v12, v36
	ds_write_b64 v28, v[33:34]
.LBB162_620:                            ;   in Loop: Header=BB162_614 Depth=1
	s_or_b64 exec, exec, s[16:17]
	v_cmp_gt_u32_e64 s[16:17], s89, v26
	s_and_b64 s[90:91], s[20:21], s[16:17]
	s_waitcnt lgkmcnt(0)
	s_barrier
	s_and_saveexec_b64 s[16:17], s[90:91]
	s_cbranch_execz .LBB162_613
; %bb.621:                              ;   in Loop: Header=BB162_614 Depth=1
	ds_read_b64 v[32:33], v32
	ds_read_b64 v[34:35], v28
	s_waitcnt lgkmcnt(0)
	v_mul_f32_e32 v36, v35, v33
	v_mul_f32_e32 v33, v34, v33
	v_fma_f32 v34, v34, v32, -v36
	v_fmac_f32_e32 v33, v35, v32
	v_sub_f32_e32 v11, v11, v34
	v_sub_f32_e32 v12, v12, v33
	s_branch .LBB162_613
.LBB162_622:
	s_and_saveexec_b64 s[16:17], s[14:15]
; %bb.623:
	v_lshlrev_b32_e32 v26, 3, v26
	v_lshl_or_b32 v26, v27, 9, v26
	ds_write_b64 v26, v[11:12] offset:16384
; %bb.624:
	s_or_b64 exec, exec, s[16:17]
	v_cmp_gt_u32_e64 s[14:15], 32, v0
	s_and_b64 s[14:15], s[12:13], s[14:15]
	s_waitcnt lgkmcnt(0)
	s_barrier
	s_barrier
	s_and_saveexec_b64 s[12:13], s[14:15]
	s_cbranch_execz .LBB162_626
; %bb.625:
	v_lshlrev_b32_e32 v26, 9, v0
	ds_read_b64 v[11:12], v26 offset:16384
	s_movk_i32 s14, 0xfe08
	v_mad_i32_i24 v27, v0, s14, v26
	s_waitcnt lgkmcnt(0)
	ds_write_b64 v27, v[11:12] offset:256
	ds_read_b64 v[11:12], v26 offset:16392
	s_waitcnt lgkmcnt(0)
	ds_write_b64 v27, v[11:12] offset:768
	ds_read_b64 v[11:12], v26 offset:16400
	;; [unrolled: 3-line block ×31, first 2 shown]
	s_waitcnt lgkmcnt(0)
	ds_write_b64 v27, v[11:12] offset:16128
.LBB162_626:
	s_or_b64 exec, exec, s[12:13]
	s_waitcnt lgkmcnt(0)
	s_barrier
	s_and_saveexec_b64 s[12:13], vcc
	s_cbranch_execz .LBB162_628
; %bb.627:
	s_movk_i32 s14, 0xf0
	v_mov_b32_e32 v11, 0
	v_add_u32_e64 v26, s14, 0
	ds_read_b64 v[11:12], v11 offset:16120
	ds_read2st64_b64 v[26:29], v26 offset0:30 offset1:31
	s_movk_i32 s14, 0x3800
	s_waitcnt lgkmcnt(0)
	v_mul_f32_e32 v30, v12, v27
	v_mul_f32_e32 v27, v11, v27
	v_fma_f32 v30, v11, v26, -v30
	v_fmac_f32_e32 v27, v12, v26
	v_mul_f32_e32 v11, v27, v29
	v_mul_f32_e32 v12, v30, v29
	v_fma_f32 v11, v30, v28, -v11
	v_fmac_f32_e32 v12, v27, v28
	v_add_u32_e64 v26, s14, 0
	ds_write2_b64 v26, v[11:12], v[11:12] offset0:159 offset1:222
.LBB162_628:
	s_or_b64 exec, exec, s[12:13]
	v_mov_b32_e32 v11, 0
	v_mov_b32_e32 v12, 0
	s_waitcnt lgkmcnt(0)
	s_barrier
	buffer_wbinvl1_vol
	s_and_saveexec_b64 s[14:15], s[2:3]
	s_cbranch_execz .LBB162_632
; %bb.629:
	v_lshlrev_b32_e32 v11, 3, v13
	v_lshlrev_b32_e32 v26, 9, v14
	ds_read_b64 v[11:12], v11 offset:15584
	ds_read_b64 v[26:27], v26 offset:15600
	v_cmp_gt_u32_e64 s[12:13], 2, v16
	s_waitcnt lgkmcnt(0)
	v_mul_f32_e32 v28, v27, v12
	v_mul_f32_e32 v12, v26, v12
	v_fma_f32 v26, v26, v11, -v28
	v_fmac_f32_e32 v12, v27, v11
	v_add_f32_e32 v11, 0, v26
	v_add_f32_e32 v12, 0, v12
	s_and_saveexec_b64 s[16:17], s[12:13]
	s_cbranch_execz .LBB162_631
; %bb.630:
	v_lshlrev_b32_e32 v26, 3, v0
	v_mov_b32_e32 v28, 0
	ds_read_b64 v[26:27], v26 offset:16096
	ds_read_b64 v[28:29], v28 offset:16120
	s_waitcnt lgkmcnt(0)
	v_mul_f32_e32 v30, v29, v27
	v_mul_f32_e32 v27, v28, v27
	v_fma_f32 v28, v28, v26, -v30
	v_fmac_f32_e32 v27, v29, v26
	v_add_f32_e32 v11, v11, v28
	v_add_f32_e32 v12, v12, v27
.LBB162_631:
	s_or_b64 exec, exec, s[16:17]
.LBB162_632:
	s_or_b64 exec, exec, s[14:15]
	s_and_saveexec_b64 s[12:13], s[40:41]
	s_cbranch_execz .LBB162_634
; %bb.633:
	v_mov_b32_e32 v26, 0
	ds_read_b64 v[26:27], v26 offset:15080
	s_waitcnt lgkmcnt(0)
	v_mul_f32_e32 v28, v12, v27
	v_mul_f32_e32 v29, v11, v27
	v_fma_f32 v11, v11, v26, -v28
	v_fmac_f32_e32 v29, v12, v26
	v_xor_b32_e32 v26, 0x80000000, v11
	v_xor_b32_e32 v27, 0x80000000, v29
	v_mov_b32_e32 v12, v29
	ds_write_b64 v15, v[26:27]
.LBB162_634:
	s_or_b64 exec, exec, s[12:13]
	s_waitcnt lgkmcnt(0)
	s_barrier
	s_and_saveexec_b64 s[12:13], s[38:39]
	s_cbranch_execz .LBB162_636
; %bb.635:
	v_mov_b32_e32 v26, 0
	ds_read_b64 v[26:27], v26 offset:15072
	ds_read_b64 v[28:29], v15
	s_waitcnt lgkmcnt(0)
	v_mul_f32_e32 v30, v29, v27
	v_mul_f32_e32 v27, v28, v27
	v_fma_f32 v28, v28, v26, -v30
	v_fmac_f32_e32 v27, v29, v26
	v_sub_f32_e32 v11, v11, v28
	v_sub_f32_e32 v12, v12, v27
.LBB162_636:
	s_or_b64 exec, exec, s[12:13]
	s_barrier
	s_and_saveexec_b64 s[12:13], s[38:39]
	s_cbranch_execz .LBB162_638
; %bb.637:
	v_mov_b32_e32 v26, 0
	ds_read_b64 v[26:27], v26 offset:14560
	s_waitcnt lgkmcnt(0)
	v_mul_f32_e32 v28, v12, v27
	v_mul_f32_e32 v29, v11, v27
	v_fma_f32 v11, v11, v26, -v28
	v_fmac_f32_e32 v29, v12, v26
	v_xor_b32_e32 v26, 0x80000000, v11
	v_xor_b32_e32 v27, 0x80000000, v29
	v_mov_b32_e32 v12, v29
	ds_write_b64 v15, v[26:27]
.LBB162_638:
	s_or_b64 exec, exec, s[12:13]
	s_waitcnt lgkmcnt(0)
	s_barrier
	s_barrier
	s_and_saveexec_b64 s[12:13], s[2:3]
; %bb.639:
	v_lshlrev_b32_e32 v26, 3, v13
	v_lshl_or_b32 v26, v14, 9, v26
	ds_write_b64 v26, v[11:12] offset:15584
; %bb.640:
	s_or_b64 exec, exec, s[12:13]
	s_waitcnt lgkmcnt(0)
	s_barrier
	s_barrier
	s_and_saveexec_b64 s[12:13], s[42:43]
	s_cbranch_execz .LBB162_642
; %bb.641:
	v_lshlrev_b32_e32 v26, 3, v0
	s_movk_i32 s14, 0x1f8
	v_mad_u32_u24 v27, v0, s14, v26
	ds_read_b64 v[11:12], v27 offset:15584
	s_waitcnt lgkmcnt(0)
	ds_write_b64 v26, v[11:12] offset:14576
	ds_read_b64 v[11:12], v27 offset:15592
	s_waitcnt lgkmcnt(0)
	ds_write_b64 v26, v[11:12] offset:15088
.LBB162_642:
	s_or_b64 exec, exec, s[12:13]
	s_waitcnt lgkmcnt(0)
	s_barrier
	s_and_saveexec_b64 s[12:13], vcc
	s_cbranch_execz .LBB162_644
; %bb.643:
	s_movk_i32 s14, 0xe0
	v_mov_b32_e32 v11, 0
	v_add_u32_e64 v26, s14, 0
	ds_read_b64 v[11:12], v11 offset:15080
	ds_read2st64_b64 v[26:29], v26 offset0:28 offset1:29
	s_movk_i32 s14, 0x3800
	s_waitcnt lgkmcnt(0)
	v_mul_f32_e32 v30, v12, v27
	v_mul_f32_e32 v27, v11, v27
	v_fma_f32 v30, v11, v26, -v30
	v_fmac_f32_e32 v27, v12, v26
	v_mul_f32_e32 v11, v27, v29
	v_mul_f32_e32 v12, v30, v29
	v_fma_f32 v11, v30, v28, -v11
	v_fmac_f32_e32 v12, v27, v28
	v_add_u32_e64 v26, s14, 0
	ds_write2_b64 v26, v[11:12], v[11:12] offset0:29 offset1:92
.LBB162_644:
	s_or_b64 exec, exec, s[12:13]
	v_mov_b32_e32 v12, 0
	v_mov_b32_e32 v11, 0
	s_waitcnt lgkmcnt(0)
	s_barrier
	buffer_wbinvl1_vol
	s_and_saveexec_b64 s[14:15], s[18:19]
	s_cbranch_execz .LBB162_650
; %bb.645:
	v_lshlrev_b32_e32 v26, 3, v17
	v_lshlrev_b32_e32 v27, 9, v18
	ds_read_b64 v[11:12], v26 offset:14528
	ds_read_b64 v[28:29], v27 offset:14560
	v_cmp_gt_u32_e64 s[12:13], 12, v16
	s_waitcnt lgkmcnt(0)
	v_mul_f32_e32 v30, v29, v12
	v_mul_f32_e32 v12, v28, v12
	v_fma_f32 v28, v28, v11, -v30
	v_fmac_f32_e32 v12, v29, v11
	v_add_f32_e32 v11, 0, v28
	v_add_f32_e32 v12, 0, v12
	s_and_saveexec_b64 s[16:17], s[12:13]
	s_cbranch_execnz .LBB162_1151
; %bb.646:
	s_or_b64 exec, exec, s[16:17]
	v_cmp_gt_u32_e64 s[12:13], 8, v16
	s_and_saveexec_b64 s[16:17], s[12:13]
	s_cbranch_execnz .LBB162_1152
.LBB162_647:
	s_or_b64 exec, exec, s[16:17]
	v_cmp_gt_u32_e64 s[12:13], 4, v16
	s_and_saveexec_b64 s[16:17], s[12:13]
	s_cbranch_execz .LBB162_649
.LBB162_648:
	v_lshlrev_b32_e32 v26, 3, v0
	v_mov_b32_e32 v28, 0
	ds_read_b64 v[26:27], v26 offset:16064
	ds_read_b64 v[28:29], v28 offset:16120
	s_waitcnt lgkmcnt(0)
	v_mul_f32_e32 v30, v29, v27
	v_mul_f32_e32 v27, v28, v27
	v_fma_f32 v28, v28, v26, -v30
	v_fmac_f32_e32 v27, v29, v26
	v_add_f32_e32 v11, v11, v28
	v_add_f32_e32 v12, v12, v27
.LBB162_649:
	s_or_b64 exec, exec, s[16:17]
.LBB162_650:
	s_or_b64 exec, exec, s[14:15]
	s_and_saveexec_b64 s[12:13], s[46:47]
	s_cbranch_execz .LBB162_652
; %bb.651:
	v_mov_b32_e32 v26, 0
	ds_read_b64 v[26:27], v26 offset:14040
	s_waitcnt lgkmcnt(0)
	v_mul_f32_e32 v28, v12, v27
	v_mul_f32_e32 v29, v11, v27
	v_fma_f32 v11, v11, v26, -v28
	v_fmac_f32_e32 v29, v12, v26
	v_xor_b32_e32 v26, 0x80000000, v11
	v_xor_b32_e32 v27, 0x80000000, v29
	v_mov_b32_e32 v12, v29
	ds_write_b64 v19, v[26:27]
.LBB162_652:
	s_or_b64 exec, exec, s[12:13]
	s_waitcnt lgkmcnt(0)
	s_barrier
	s_and_saveexec_b64 s[12:13], s[48:49]
	s_cbranch_execz .LBB162_654
; %bb.653:
	v_lshlrev_b32_e32 v26, 3, v17
	ds_read_b64 v[26:27], v26 offset:14016
	ds_read_b64 v[28:29], v19
	s_waitcnt lgkmcnt(0)
	v_mul_f32_e32 v30, v29, v27
	v_mul_f32_e32 v27, v28, v27
	v_fma_f32 v28, v28, v26, -v30
	v_fmac_f32_e32 v27, v29, v26
	v_sub_f32_e32 v11, v11, v28
	v_sub_f32_e32 v12, v12, v27
.LBB162_654:
	s_or_b64 exec, exec, s[12:13]
	s_barrier
	s_and_saveexec_b64 s[12:13], s[50:51]
	s_cbranch_execz .LBB162_656
; %bb.655:
	v_mov_b32_e32 v26, 0
	ds_read_b64 v[26:27], v26 offset:13520
	s_waitcnt lgkmcnt(0)
	v_mul_f32_e32 v28, v12, v27
	v_mul_f32_e32 v29, v11, v27
	v_fma_f32 v11, v11, v26, -v28
	v_fmac_f32_e32 v29, v12, v26
	v_xor_b32_e32 v26, 0x80000000, v11
	v_xor_b32_e32 v27, 0x80000000, v29
	v_mov_b32_e32 v12, v29
	ds_write_b64 v19, v[26:27]
.LBB162_656:
	s_or_b64 exec, exec, s[12:13]
	s_waitcnt lgkmcnt(0)
	s_barrier
	s_and_saveexec_b64 s[12:13], s[52:53]
	s_cbranch_execz .LBB162_658
; %bb.657:
	v_lshlrev_b32_e32 v26, 3, v17
	ds_read_b64 v[26:27], v26 offset:13504
	ds_read_b64 v[28:29], v19
	s_waitcnt lgkmcnt(0)
	v_mul_f32_e32 v30, v29, v27
	v_mul_f32_e32 v27, v28, v27
	v_fma_f32 v28, v28, v26, -v30
	v_fmac_f32_e32 v27, v29, v26
	v_sub_f32_e32 v11, v11, v28
	v_sub_f32_e32 v12, v12, v27
.LBB162_658:
	s_or_b64 exec, exec, s[12:13]
	s_barrier
	s_and_saveexec_b64 s[12:13], s[54:55]
	s_cbranch_execz .LBB162_660
; %bb.659:
	v_mov_b32_e32 v26, 0
	ds_read_b64 v[26:27], v26 offset:13000
	s_waitcnt lgkmcnt(0)
	v_mul_f32_e32 v28, v12, v27
	v_mul_f32_e32 v29, v11, v27
	v_fma_f32 v11, v11, v26, -v28
	v_fmac_f32_e32 v29, v12, v26
	v_xor_b32_e32 v26, 0x80000000, v11
	v_xor_b32_e32 v27, 0x80000000, v29
	v_mov_b32_e32 v12, v29
	ds_write_b64 v19, v[26:27]
.LBB162_660:
	s_or_b64 exec, exec, s[12:13]
	s_waitcnt lgkmcnt(0)
	s_barrier
	s_and_saveexec_b64 s[12:13], s[44:45]
	s_cbranch_execz .LBB162_662
; %bb.661:
	v_mov_b32_e32 v26, 0
	ds_read_b64 v[26:27], v26 offset:12992
	ds_read_b64 v[28:29], v19
	s_waitcnt lgkmcnt(0)
	v_mul_f32_e32 v30, v29, v27
	v_mul_f32_e32 v27, v28, v27
	v_fma_f32 v28, v28, v26, -v30
	v_fmac_f32_e32 v27, v29, v26
	v_sub_f32_e32 v11, v11, v28
	v_sub_f32_e32 v12, v12, v27
.LBB162_662:
	s_or_b64 exec, exec, s[12:13]
	s_barrier
	s_and_saveexec_b64 s[12:13], s[44:45]
	s_cbranch_execz .LBB162_664
; %bb.663:
	v_mov_b32_e32 v26, 0
	ds_read_b64 v[26:27], v26 offset:12480
	s_waitcnt lgkmcnt(0)
	v_mul_f32_e32 v28, v12, v27
	v_mul_f32_e32 v29, v11, v27
	v_fma_f32 v11, v11, v26, -v28
	v_fmac_f32_e32 v29, v12, v26
	v_xor_b32_e32 v26, 0x80000000, v11
	v_xor_b32_e32 v27, 0x80000000, v29
	v_mov_b32_e32 v12, v29
	ds_write_b64 v19, v[26:27]
.LBB162_664:
	s_or_b64 exec, exec, s[12:13]
	s_waitcnt lgkmcnt(0)
	s_barrier
	s_barrier
	s_and_saveexec_b64 s[12:13], s[18:19]
; %bb.665:
	v_lshlrev_b32_e32 v26, 3, v17
	v_lshl_or_b32 v26, v18, 9, v26
	ds_write_b64 v26, v[11:12] offset:14528
; %bb.666:
	s_or_b64 exec, exec, s[12:13]
	s_waitcnt lgkmcnt(0)
	s_barrier
	s_barrier
	s_and_saveexec_b64 s[12:13], s[56:57]
	s_cbranch_execz .LBB162_668
; %bb.667:
	v_lshlrev_b32_e32 v26, 9, v0
	ds_read_b64 v[11:12], v26 offset:14528
	s_movk_i32 s14, 0xfe08
	v_mad_i32_i24 v27, v0, s14, v26
	s_waitcnt lgkmcnt(0)
	ds_write_b64 v27, v[11:12] offset:12512
	ds_read_b64 v[11:12], v26 offset:14536
	s_waitcnt lgkmcnt(0)
	ds_write_b64 v27, v[11:12] offset:13024
	ds_read_b64 v[11:12], v26 offset:14544
	;; [unrolled: 3-line block ×3, first 2 shown]
	s_waitcnt lgkmcnt(0)
	ds_write_b64 v27, v[11:12] offset:14048
.LBB162_668:
	s_or_b64 exec, exec, s[12:13]
	s_waitcnt lgkmcnt(0)
	s_barrier
	s_and_saveexec_b64 s[12:13], vcc
	s_cbranch_execz .LBB162_670
; %bb.669:
	s_movk_i32 s14, 0xd0
	v_mov_b32_e32 v11, 0
	v_add_u32_e64 v26, s14, 0
	ds_read_b64 v[11:12], v11 offset:14040
	ds_read2st64_b64 v[26:29], v26 offset0:26 offset1:27
	s_movk_i32 s14, 0x3000
	s_waitcnt lgkmcnt(0)
	v_mul_f32_e32 v30, v12, v27
	v_mul_f32_e32 v27, v11, v27
	v_fma_f32 v30, v11, v26, -v30
	v_fmac_f32_e32 v27, v12, v26
	v_mul_f32_e32 v11, v27, v29
	v_mul_f32_e32 v12, v30, v29
	v_fma_f32 v11, v30, v28, -v11
	v_fmac_f32_e32 v12, v27, v28
	v_add_u32_e64 v26, s14, 0
	ds_write2_b64 v26, v[11:12], v[11:12] offset0:155 offset1:218
.LBB162_670:
	s_or_b64 exec, exec, s[12:13]
	v_mov_b32_e32 v11, 0
	v_mov_b32_e32 v12, 0
	s_waitcnt lgkmcnt(0)
	s_barrier
	buffer_wbinvl1_vol
	s_and_saveexec_b64 s[14:15], s[2:3]
	s_cbranch_execz .LBB162_674
; %bb.671:
	v_lshlrev_b32_e32 v11, 3, v13
	v_lshlrev_b32_e32 v26, 9, v14
	ds_read_b64 v[11:12], v11 offset:13504
	ds_read_b64 v[26:27], v26 offset:13520
	v_cmp_gt_u32_e64 s[12:13], 2, v16
	s_waitcnt lgkmcnt(0)
	v_mul_f32_e32 v28, v27, v12
	v_mul_f32_e32 v12, v26, v12
	v_fma_f32 v26, v26, v11, -v28
	v_fmac_f32_e32 v12, v27, v11
	v_add_f32_e32 v11, 0, v26
	v_add_f32_e32 v12, 0, v12
	s_and_saveexec_b64 s[16:17], s[12:13]
	s_cbranch_execz .LBB162_673
; %bb.672:
	v_lshlrev_b32_e32 v26, 3, v0
	v_mov_b32_e32 v28, 0
	ds_read_b64 v[26:27], v26 offset:14016
	ds_read_b64 v[28:29], v28 offset:14040
	s_waitcnt lgkmcnt(0)
	v_mul_f32_e32 v30, v29, v27
	v_mul_f32_e32 v27, v28, v27
	v_fma_f32 v28, v28, v26, -v30
	v_fmac_f32_e32 v27, v29, v26
	v_add_f32_e32 v11, v11, v28
	v_add_f32_e32 v12, v12, v27
.LBB162_673:
	s_or_b64 exec, exec, s[16:17]
.LBB162_674:
	s_or_b64 exec, exec, s[14:15]
	s_and_saveexec_b64 s[12:13], s[40:41]
	s_cbranch_execz .LBB162_676
; %bb.675:
	v_mov_b32_e32 v26, 0
	ds_read_b64 v[26:27], v26 offset:13000
	s_waitcnt lgkmcnt(0)
	v_mul_f32_e32 v28, v12, v27
	v_mul_f32_e32 v29, v11, v27
	v_fma_f32 v11, v11, v26, -v28
	v_fmac_f32_e32 v29, v12, v26
	v_xor_b32_e32 v26, 0x80000000, v11
	v_xor_b32_e32 v27, 0x80000000, v29
	v_mov_b32_e32 v12, v29
	ds_write_b64 v15, v[26:27]
.LBB162_676:
	s_or_b64 exec, exec, s[12:13]
	s_waitcnt lgkmcnt(0)
	s_barrier
	s_and_saveexec_b64 s[12:13], s[38:39]
	s_cbranch_execz .LBB162_678
; %bb.677:
	v_mov_b32_e32 v26, 0
	ds_read_b64 v[26:27], v26 offset:12992
	ds_read_b64 v[28:29], v15
	s_waitcnt lgkmcnt(0)
	v_mul_f32_e32 v30, v29, v27
	v_mul_f32_e32 v27, v28, v27
	v_fma_f32 v28, v28, v26, -v30
	v_fmac_f32_e32 v27, v29, v26
	v_sub_f32_e32 v11, v11, v28
	v_sub_f32_e32 v12, v12, v27
.LBB162_678:
	s_or_b64 exec, exec, s[12:13]
	s_barrier
	s_and_saveexec_b64 s[12:13], s[38:39]
	s_cbranch_execz .LBB162_680
; %bb.679:
	v_mov_b32_e32 v26, 0
	ds_read_b64 v[26:27], v26 offset:12480
	s_waitcnt lgkmcnt(0)
	v_mul_f32_e32 v28, v12, v27
	v_mul_f32_e32 v29, v11, v27
	v_fma_f32 v11, v11, v26, -v28
	v_fmac_f32_e32 v29, v12, v26
	v_xor_b32_e32 v26, 0x80000000, v11
	v_xor_b32_e32 v27, 0x80000000, v29
	v_mov_b32_e32 v12, v29
	ds_write_b64 v15, v[26:27]
.LBB162_680:
	s_or_b64 exec, exec, s[12:13]
	s_waitcnt lgkmcnt(0)
	s_barrier
	s_barrier
	s_and_saveexec_b64 s[12:13], s[2:3]
; %bb.681:
	v_lshlrev_b32_e32 v26, 3, v13
	v_lshl_or_b32 v26, v14, 9, v26
	ds_write_b64 v26, v[11:12] offset:13504
; %bb.682:
	s_or_b64 exec, exec, s[12:13]
	s_waitcnt lgkmcnt(0)
	s_barrier
	s_barrier
	s_and_saveexec_b64 s[12:13], s[42:43]
	s_cbranch_execz .LBB162_684
; %bb.683:
	v_lshlrev_b32_e32 v26, 3, v0
	s_movk_i32 s14, 0x1f8
	v_mad_u32_u24 v27, v0, s14, v26
	ds_read_b64 v[11:12], v27 offset:13504
	s_waitcnt lgkmcnt(0)
	ds_write_b64 v26, v[11:12] offset:12496
	ds_read_b64 v[11:12], v27 offset:13512
	s_waitcnt lgkmcnt(0)
	ds_write_b64 v26, v[11:12] offset:13008
.LBB162_684:
	s_or_b64 exec, exec, s[12:13]
	s_waitcnt lgkmcnt(0)
	s_barrier
	s_and_saveexec_b64 s[12:13], vcc
	s_cbranch_execz .LBB162_686
; %bb.685:
	s_movk_i32 s14, 0xc0
	v_mov_b32_e32 v11, 0
	v_add_u32_e64 v26, s14, 0
	ds_read_b64 v[11:12], v11 offset:13000
	ds_read2st64_b64 v[26:29], v26 offset0:24 offset1:25
	s_movk_i32 s14, 0x3000
	s_waitcnt lgkmcnt(0)
	v_mul_f32_e32 v30, v12, v27
	v_mul_f32_e32 v27, v11, v27
	v_fma_f32 v30, v11, v26, -v30
	v_fmac_f32_e32 v27, v12, v26
	v_mul_f32_e32 v11, v27, v29
	v_mul_f32_e32 v12, v30, v29
	v_fma_f32 v11, v30, v28, -v11
	v_fmac_f32_e32 v12, v27, v28
	v_add_u32_e64 v26, s14, 0
	ds_write2_b64 v26, v[11:12], v[11:12] offset0:25 offset1:88
.LBB162_686:
	s_or_b64 exec, exec, s[12:13]
	v_mov_b32_e32 v12, 0
	v_mov_b32_e32 v11, 0
	s_waitcnt lgkmcnt(0)
	s_barrier
	buffer_wbinvl1_vol
	s_and_saveexec_b64 s[14:15], s[8:9]
	s_cbranch_execz .LBB162_696
; %bb.687:
	v_lshlrev_b32_e32 v26, 3, v20
	v_lshlrev_b32_e32 v27, 9, v21
	ds_read_b64 v[11:12], v26 offset:12416
	ds_read_b64 v[28:29], v27 offset:12480
	v_cmp_gt_u32_e64 s[12:13], 56, v16
	s_waitcnt lgkmcnt(0)
	v_mul_f32_e32 v30, v29, v12
	v_mul_f32_e32 v12, v28, v12
	v_fma_f32 v28, v28, v11, -v30
	v_fmac_f32_e32 v12, v29, v11
	v_add_f32_e32 v11, 0, v28
	v_add_f32_e32 v12, 0, v12
	s_and_saveexec_b64 s[16:17], s[12:13]
	s_cbranch_execnz .LBB162_1153
; %bb.688:
	s_or_b64 exec, exec, s[16:17]
	v_cmp_gt_u32_e64 s[12:13], 48, v16
	s_and_saveexec_b64 s[16:17], s[12:13]
	s_cbranch_execnz .LBB162_1154
.LBB162_689:
	s_or_b64 exec, exec, s[16:17]
	v_cmp_gt_u32_e64 s[12:13], 40, v16
	s_and_saveexec_b64 s[16:17], s[12:13]
	s_cbranch_execnz .LBB162_1155
.LBB162_690:
	s_or_b64 exec, exec, s[16:17]
	v_cmp_gt_u32_e64 s[12:13], 32, v16
	s_and_saveexec_b64 s[16:17], s[12:13]
	s_cbranch_execnz .LBB162_1156
.LBB162_691:
	s_or_b64 exec, exec, s[16:17]
	v_cmp_gt_u32_e64 s[12:13], 24, v16
	s_and_saveexec_b64 s[16:17], s[12:13]
	s_cbranch_execnz .LBB162_1157
.LBB162_692:
	s_or_b64 exec, exec, s[16:17]
	s_and_saveexec_b64 s[12:13], s[18:19]
	s_cbranch_execnz .LBB162_1158
.LBB162_693:
	s_or_b64 exec, exec, s[12:13]
	v_cmp_gt_u32_e64 s[12:13], 8, v16
	s_and_saveexec_b64 s[16:17], s[12:13]
	s_cbranch_execz .LBB162_695
.LBB162_694:
	v_lshlrev_b32_e32 v26, 3, v0
	v_mov_b32_e32 v28, 0
	ds_read_b64 v[26:27], v26 offset:16000
	ds_read_b64 v[28:29], v28 offset:16120
	s_waitcnt lgkmcnt(0)
	v_mul_f32_e32 v30, v29, v27
	v_mul_f32_e32 v27, v28, v27
	v_fma_f32 v28, v28, v26, -v30
	v_fmac_f32_e32 v27, v29, v26
	v_add_f32_e32 v11, v11, v28
	v_add_f32_e32 v12, v12, v27
.LBB162_695:
	s_or_b64 exec, exec, s[16:17]
.LBB162_696:
	s_or_b64 exec, exec, s[14:15]
	s_and_saveexec_b64 s[12:13], s[60:61]
	s_cbranch_execz .LBB162_698
; %bb.697:
	v_mov_b32_e32 v26, 0
	ds_read_b64 v[26:27], v26 offset:11960
	s_waitcnt lgkmcnt(0)
	v_mul_f32_e32 v28, v12, v27
	v_mul_f32_e32 v29, v11, v27
	v_fma_f32 v11, v11, v26, -v28
	v_fmac_f32_e32 v29, v12, v26
	v_xor_b32_e32 v26, 0x80000000, v11
	v_xor_b32_e32 v27, 0x80000000, v29
	v_mov_b32_e32 v12, v29
	ds_write_b64 v22, v[26:27]
.LBB162_698:
	s_or_b64 exec, exec, s[12:13]
	s_waitcnt lgkmcnt(0)
	s_barrier
	s_and_saveexec_b64 s[12:13], s[62:63]
	s_cbranch_execz .LBB162_700
; %bb.699:
	v_lshlrev_b32_e32 v26, 3, v20
	ds_read_b64 v[26:27], v26 offset:11904
	ds_read_b64 v[28:29], v22
	s_waitcnt lgkmcnt(0)
	v_mul_f32_e32 v30, v29, v27
	v_mul_f32_e32 v27, v28, v27
	v_fma_f32 v28, v28, v26, -v30
	v_fmac_f32_e32 v27, v29, v26
	v_sub_f32_e32 v11, v11, v28
	v_sub_f32_e32 v12, v12, v27
.LBB162_700:
	s_or_b64 exec, exec, s[12:13]
	s_barrier
	s_and_saveexec_b64 s[12:13], s[64:65]
	s_cbranch_execz .LBB162_702
; %bb.701:
	v_mov_b32_e32 v26, 0
	ds_read_b64 v[26:27], v26 offset:11440
	s_waitcnt lgkmcnt(0)
	v_mul_f32_e32 v28, v12, v27
	v_mul_f32_e32 v29, v11, v27
	v_fma_f32 v11, v11, v26, -v28
	v_fmac_f32_e32 v29, v12, v26
	v_xor_b32_e32 v26, 0x80000000, v11
	v_xor_b32_e32 v27, 0x80000000, v29
	v_mov_b32_e32 v12, v29
	ds_write_b64 v22, v[26:27]
.LBB162_702:
	s_or_b64 exec, exec, s[12:13]
	s_waitcnt lgkmcnt(0)
	s_barrier
	s_and_saveexec_b64 s[12:13], s[66:67]
	s_cbranch_execz .LBB162_704
; %bb.703:
	v_lshlrev_b32_e32 v26, 3, v20
	ds_read_b64 v[26:27], v26 offset:11392
	ds_read_b64 v[28:29], v22
	s_waitcnt lgkmcnt(0)
	v_mul_f32_e32 v30, v29, v27
	v_mul_f32_e32 v27, v28, v27
	v_fma_f32 v28, v28, v26, -v30
	v_fmac_f32_e32 v27, v29, v26
	v_sub_f32_e32 v11, v11, v28
	v_sub_f32_e32 v12, v12, v27
.LBB162_704:
	s_or_b64 exec, exec, s[12:13]
	s_barrier
	;; [unrolled: 34-line block ×6, first 2 shown]
	s_and_saveexec_b64 s[12:13], s[84:85]
	s_cbranch_execz .LBB162_722
; %bb.721:
	v_mov_b32_e32 v26, 0
	ds_read_b64 v[26:27], v26 offset:8840
	s_waitcnt lgkmcnt(0)
	v_mul_f32_e32 v28, v12, v27
	v_mul_f32_e32 v29, v11, v27
	v_fma_f32 v11, v11, v26, -v28
	v_fmac_f32_e32 v29, v12, v26
	v_xor_b32_e32 v26, 0x80000000, v11
	v_xor_b32_e32 v27, 0x80000000, v29
	v_mov_b32_e32 v12, v29
	ds_write_b64 v22, v[26:27]
.LBB162_722:
	s_or_b64 exec, exec, s[12:13]
	s_waitcnt lgkmcnt(0)
	s_barrier
	s_and_saveexec_b64 s[12:13], s[58:59]
	s_cbranch_execz .LBB162_724
; %bb.723:
	v_mov_b32_e32 v26, 0
	ds_read_b64 v[26:27], v26 offset:8832
	ds_read_b64 v[28:29], v22
	s_waitcnt lgkmcnt(0)
	v_mul_f32_e32 v30, v29, v27
	v_mul_f32_e32 v27, v28, v27
	v_fma_f32 v28, v28, v26, -v30
	v_fmac_f32_e32 v27, v29, v26
	v_sub_f32_e32 v11, v11, v28
	v_sub_f32_e32 v12, v12, v27
.LBB162_724:
	s_or_b64 exec, exec, s[12:13]
	s_barrier
	s_and_saveexec_b64 s[12:13], s[58:59]
	s_cbranch_execz .LBB162_726
; %bb.725:
	v_mov_b32_e32 v26, 0
	ds_read_b64 v[26:27], v26 offset:8320
	s_waitcnt lgkmcnt(0)
	v_mul_f32_e32 v28, v12, v27
	v_mul_f32_e32 v29, v11, v27
	v_fma_f32 v11, v11, v26, -v28
	v_fmac_f32_e32 v29, v12, v26
	v_xor_b32_e32 v26, 0x80000000, v11
	v_xor_b32_e32 v27, 0x80000000, v29
	v_mov_b32_e32 v12, v29
	ds_write_b64 v22, v[26:27]
.LBB162_726:
	s_or_b64 exec, exec, s[12:13]
	s_waitcnt lgkmcnt(0)
	s_barrier
	s_barrier
	s_and_saveexec_b64 s[12:13], s[8:9]
; %bb.727:
	v_lshlrev_b32_e32 v26, 3, v20
	v_lshl_or_b32 v26, v21, 9, v26
	ds_write_b64 v26, v[11:12] offset:12416
; %bb.728:
	s_or_b64 exec, exec, s[12:13]
	s_waitcnt lgkmcnt(0)
	s_barrier
	s_barrier
	s_and_saveexec_b64 s[12:13], s[86:87]
	s_cbranch_execz .LBB162_730
; %bb.729:
	v_lshlrev_b32_e32 v26, 9, v0
	ds_read_b64 v[11:12], v26 offset:12416
	s_movk_i32 s14, 0xfe08
	v_mad_i32_i24 v27, v0, s14, v26
	s_waitcnt lgkmcnt(0)
	ds_write_b64 v27, v[11:12] offset:8384
	ds_read_b64 v[11:12], v26 offset:12424
	s_waitcnt lgkmcnt(0)
	ds_write_b64 v27, v[11:12] offset:8896
	ds_read_b64 v[11:12], v26 offset:12432
	;; [unrolled: 3-line block ×7, first 2 shown]
	s_waitcnt lgkmcnt(0)
	ds_write_b64 v27, v[11:12] offset:11968
.LBB162_730:
	s_or_b64 exec, exec, s[12:13]
	s_waitcnt lgkmcnt(0)
	s_barrier
	s_and_saveexec_b64 s[12:13], vcc
	s_cbranch_execz .LBB162_732
; %bb.731:
	s_movk_i32 s14, 0xb0
	v_mov_b32_e32 v11, 0
	v_add_u32_e64 v26, s14, 0
	ds_read_b64 v[11:12], v11 offset:11960
	ds_read2st64_b64 v[26:29], v26 offset0:22 offset1:23
	s_movk_i32 s14, 0x2800
	s_waitcnt lgkmcnt(0)
	v_mul_f32_e32 v30, v12, v27
	v_mul_f32_e32 v27, v11, v27
	v_fma_f32 v30, v11, v26, -v30
	v_fmac_f32_e32 v27, v12, v26
	v_mul_f32_e32 v11, v27, v29
	v_mul_f32_e32 v12, v30, v29
	v_fma_f32 v11, v30, v28, -v11
	v_fmac_f32_e32 v12, v27, v28
	v_add_u32_e64 v26, s14, 0
	ds_write2_b64 v26, v[11:12], v[11:12] offset0:151 offset1:214
.LBB162_732:
	s_or_b64 exec, exec, s[12:13]
	v_mov_b32_e32 v11, 0
	v_mov_b32_e32 v12, 0
	s_waitcnt lgkmcnt(0)
	s_barrier
	buffer_wbinvl1_vol
	s_and_saveexec_b64 s[14:15], s[2:3]
	s_cbranch_execz .LBB162_736
; %bb.733:
	v_lshlrev_b32_e32 v11, 3, v13
	v_lshlrev_b32_e32 v26, 9, v14
	ds_read_b64 v[11:12], v11 offset:11424
	ds_read_b64 v[26:27], v26 offset:11440
	v_cmp_gt_u32_e64 s[12:13], 2, v16
	s_waitcnt lgkmcnt(0)
	v_mul_f32_e32 v28, v27, v12
	v_mul_f32_e32 v12, v26, v12
	v_fma_f32 v26, v26, v11, -v28
	v_fmac_f32_e32 v12, v27, v11
	v_add_f32_e32 v11, 0, v26
	v_add_f32_e32 v12, 0, v12
	s_and_saveexec_b64 s[16:17], s[12:13]
	s_cbranch_execz .LBB162_735
; %bb.734:
	v_lshlrev_b32_e32 v26, 3, v0
	v_mov_b32_e32 v28, 0
	ds_read_b64 v[26:27], v26 offset:11936
	ds_read_b64 v[28:29], v28 offset:11960
	s_waitcnt lgkmcnt(0)
	v_mul_f32_e32 v30, v29, v27
	v_mul_f32_e32 v27, v28, v27
	v_fma_f32 v28, v28, v26, -v30
	v_fmac_f32_e32 v27, v29, v26
	v_add_f32_e32 v11, v11, v28
	v_add_f32_e32 v12, v12, v27
.LBB162_735:
	s_or_b64 exec, exec, s[16:17]
.LBB162_736:
	s_or_b64 exec, exec, s[14:15]
	s_and_saveexec_b64 s[12:13], s[40:41]
	s_cbranch_execz .LBB162_738
; %bb.737:
	v_mov_b32_e32 v26, 0
	ds_read_b64 v[26:27], v26 offset:10920
	s_waitcnt lgkmcnt(0)
	v_mul_f32_e32 v28, v12, v27
	v_mul_f32_e32 v29, v11, v27
	v_fma_f32 v11, v11, v26, -v28
	v_fmac_f32_e32 v29, v12, v26
	v_xor_b32_e32 v26, 0x80000000, v11
	v_xor_b32_e32 v27, 0x80000000, v29
	v_mov_b32_e32 v12, v29
	ds_write_b64 v15, v[26:27]
.LBB162_738:
	s_or_b64 exec, exec, s[12:13]
	s_waitcnt lgkmcnt(0)
	s_barrier
	s_and_saveexec_b64 s[12:13], s[38:39]
	s_cbranch_execz .LBB162_740
; %bb.739:
	v_mov_b32_e32 v26, 0
	ds_read_b64 v[26:27], v26 offset:10912
	ds_read_b64 v[28:29], v15
	s_waitcnt lgkmcnt(0)
	v_mul_f32_e32 v30, v29, v27
	v_mul_f32_e32 v27, v28, v27
	v_fma_f32 v28, v28, v26, -v30
	v_fmac_f32_e32 v27, v29, v26
	v_sub_f32_e32 v11, v11, v28
	v_sub_f32_e32 v12, v12, v27
.LBB162_740:
	s_or_b64 exec, exec, s[12:13]
	s_barrier
	s_and_saveexec_b64 s[12:13], s[38:39]
	s_cbranch_execz .LBB162_742
; %bb.741:
	v_mov_b32_e32 v26, 0
	ds_read_b64 v[26:27], v26 offset:10400
	s_waitcnt lgkmcnt(0)
	v_mul_f32_e32 v28, v12, v27
	v_mul_f32_e32 v29, v11, v27
	v_fma_f32 v11, v11, v26, -v28
	v_fmac_f32_e32 v29, v12, v26
	v_xor_b32_e32 v26, 0x80000000, v11
	v_xor_b32_e32 v27, 0x80000000, v29
	v_mov_b32_e32 v12, v29
	ds_write_b64 v15, v[26:27]
.LBB162_742:
	s_or_b64 exec, exec, s[12:13]
	s_waitcnt lgkmcnt(0)
	s_barrier
	s_barrier
	s_and_saveexec_b64 s[12:13], s[2:3]
; %bb.743:
	v_lshlrev_b32_e32 v26, 3, v13
	v_lshl_or_b32 v26, v14, 9, v26
	ds_write_b64 v26, v[11:12] offset:11424
; %bb.744:
	s_or_b64 exec, exec, s[12:13]
	s_waitcnt lgkmcnt(0)
	s_barrier
	s_barrier
	s_and_saveexec_b64 s[12:13], s[42:43]
	s_cbranch_execz .LBB162_746
; %bb.745:
	v_lshlrev_b32_e32 v26, 3, v0
	s_movk_i32 s14, 0x1f8
	v_mad_u32_u24 v27, v0, s14, v26
	ds_read_b64 v[11:12], v27 offset:11424
	s_waitcnt lgkmcnt(0)
	ds_write_b64 v26, v[11:12] offset:10416
	ds_read_b64 v[11:12], v27 offset:11432
	s_waitcnt lgkmcnt(0)
	ds_write_b64 v26, v[11:12] offset:10928
.LBB162_746:
	s_or_b64 exec, exec, s[12:13]
	s_waitcnt lgkmcnt(0)
	s_barrier
	s_and_saveexec_b64 s[12:13], vcc
	s_cbranch_execz .LBB162_748
; %bb.747:
	s_movk_i32 s14, 0xa0
	v_mov_b32_e32 v11, 0
	v_add_u32_e64 v26, s14, 0
	ds_read_b64 v[11:12], v11 offset:10920
	ds_read2st64_b64 v[26:29], v26 offset0:20 offset1:21
	s_movk_i32 s14, 0x2800
	s_waitcnt lgkmcnt(0)
	v_mul_f32_e32 v30, v12, v27
	v_mul_f32_e32 v27, v11, v27
	v_fma_f32 v30, v11, v26, -v30
	v_fmac_f32_e32 v27, v12, v26
	v_mul_f32_e32 v11, v27, v29
	v_mul_f32_e32 v12, v30, v29
	v_fma_f32 v11, v30, v28, -v11
	v_fmac_f32_e32 v12, v27, v28
	v_add_u32_e64 v26, s14, 0
	ds_write2_b64 v26, v[11:12], v[11:12] offset0:21 offset1:84
.LBB162_748:
	s_or_b64 exec, exec, s[12:13]
	v_mov_b32_e32 v12, 0
	v_mov_b32_e32 v11, 0
	s_waitcnt lgkmcnt(0)
	s_barrier
	buffer_wbinvl1_vol
	s_and_saveexec_b64 s[14:15], s[18:19]
	s_cbranch_execz .LBB162_754
; %bb.749:
	v_lshlrev_b32_e32 v26, 3, v17
	v_lshlrev_b32_e32 v27, 9, v18
	ds_read_b64 v[11:12], v26 offset:10368
	ds_read_b64 v[28:29], v27 offset:10400
	v_cmp_gt_u32_e64 s[12:13], 12, v16
	s_waitcnt lgkmcnt(0)
	v_mul_f32_e32 v30, v29, v12
	v_mul_f32_e32 v12, v28, v12
	v_fma_f32 v28, v28, v11, -v30
	v_fmac_f32_e32 v12, v29, v11
	v_add_f32_e32 v11, 0, v28
	v_add_f32_e32 v12, 0, v12
	s_and_saveexec_b64 s[16:17], s[12:13]
	s_cbranch_execnz .LBB162_1159
; %bb.750:
	s_or_b64 exec, exec, s[16:17]
	v_cmp_gt_u32_e64 s[12:13], 8, v16
	s_and_saveexec_b64 s[16:17], s[12:13]
	s_cbranch_execnz .LBB162_1160
.LBB162_751:
	s_or_b64 exec, exec, s[16:17]
	v_cmp_gt_u32_e64 s[12:13], 4, v16
	s_and_saveexec_b64 s[16:17], s[12:13]
	s_cbranch_execz .LBB162_753
.LBB162_752:
	v_lshlrev_b32_e32 v26, 3, v0
	v_mov_b32_e32 v28, 0
	ds_read_b64 v[26:27], v26 offset:11904
	ds_read_b64 v[28:29], v28 offset:11960
	s_waitcnt lgkmcnt(0)
	v_mul_f32_e32 v30, v29, v27
	v_mul_f32_e32 v27, v28, v27
	v_fma_f32 v28, v28, v26, -v30
	v_fmac_f32_e32 v27, v29, v26
	v_add_f32_e32 v11, v11, v28
	v_add_f32_e32 v12, v12, v27
.LBB162_753:
	s_or_b64 exec, exec, s[16:17]
.LBB162_754:
	s_or_b64 exec, exec, s[14:15]
	s_and_saveexec_b64 s[12:13], s[46:47]
	s_cbranch_execz .LBB162_756
; %bb.755:
	v_mov_b32_e32 v26, 0
	ds_read_b64 v[26:27], v26 offset:9880
	s_waitcnt lgkmcnt(0)
	v_mul_f32_e32 v28, v12, v27
	v_mul_f32_e32 v29, v11, v27
	v_fma_f32 v11, v11, v26, -v28
	v_fmac_f32_e32 v29, v12, v26
	v_xor_b32_e32 v26, 0x80000000, v11
	v_xor_b32_e32 v27, 0x80000000, v29
	v_mov_b32_e32 v12, v29
	ds_write_b64 v19, v[26:27]
.LBB162_756:
	s_or_b64 exec, exec, s[12:13]
	s_waitcnt lgkmcnt(0)
	s_barrier
	s_and_saveexec_b64 s[12:13], s[48:49]
	s_cbranch_execz .LBB162_758
; %bb.757:
	v_lshlrev_b32_e32 v26, 3, v17
	ds_read_b64 v[26:27], v26 offset:9856
	ds_read_b64 v[28:29], v19
	s_waitcnt lgkmcnt(0)
	v_mul_f32_e32 v30, v29, v27
	v_mul_f32_e32 v27, v28, v27
	v_fma_f32 v28, v28, v26, -v30
	v_fmac_f32_e32 v27, v29, v26
	v_sub_f32_e32 v11, v11, v28
	v_sub_f32_e32 v12, v12, v27
.LBB162_758:
	s_or_b64 exec, exec, s[12:13]
	s_barrier
	s_and_saveexec_b64 s[12:13], s[50:51]
	s_cbranch_execz .LBB162_760
; %bb.759:
	v_mov_b32_e32 v26, 0
	ds_read_b64 v[26:27], v26 offset:9360
	s_waitcnt lgkmcnt(0)
	v_mul_f32_e32 v28, v12, v27
	v_mul_f32_e32 v29, v11, v27
	v_fma_f32 v11, v11, v26, -v28
	v_fmac_f32_e32 v29, v12, v26
	v_xor_b32_e32 v26, 0x80000000, v11
	v_xor_b32_e32 v27, 0x80000000, v29
	v_mov_b32_e32 v12, v29
	ds_write_b64 v19, v[26:27]
.LBB162_760:
	s_or_b64 exec, exec, s[12:13]
	s_waitcnt lgkmcnt(0)
	s_barrier
	s_and_saveexec_b64 s[12:13], s[52:53]
	s_cbranch_execz .LBB162_762
; %bb.761:
	v_lshlrev_b32_e32 v26, 3, v17
	ds_read_b64 v[26:27], v26 offset:9344
	ds_read_b64 v[28:29], v19
	s_waitcnt lgkmcnt(0)
	v_mul_f32_e32 v30, v29, v27
	v_mul_f32_e32 v27, v28, v27
	v_fma_f32 v28, v28, v26, -v30
	v_fmac_f32_e32 v27, v29, v26
	v_sub_f32_e32 v11, v11, v28
	v_sub_f32_e32 v12, v12, v27
.LBB162_762:
	s_or_b64 exec, exec, s[12:13]
	s_barrier
	s_and_saveexec_b64 s[12:13], s[54:55]
	s_cbranch_execz .LBB162_764
; %bb.763:
	v_mov_b32_e32 v26, 0
	ds_read_b64 v[26:27], v26 offset:8840
	s_waitcnt lgkmcnt(0)
	v_mul_f32_e32 v28, v12, v27
	v_mul_f32_e32 v29, v11, v27
	v_fma_f32 v11, v11, v26, -v28
	v_fmac_f32_e32 v29, v12, v26
	v_xor_b32_e32 v26, 0x80000000, v11
	v_xor_b32_e32 v27, 0x80000000, v29
	v_mov_b32_e32 v12, v29
	ds_write_b64 v19, v[26:27]
.LBB162_764:
	s_or_b64 exec, exec, s[12:13]
	s_waitcnt lgkmcnt(0)
	s_barrier
	s_and_saveexec_b64 s[12:13], s[44:45]
	s_cbranch_execz .LBB162_766
; %bb.765:
	v_mov_b32_e32 v26, 0
	ds_read_b64 v[26:27], v26 offset:8832
	ds_read_b64 v[28:29], v19
	s_waitcnt lgkmcnt(0)
	v_mul_f32_e32 v30, v29, v27
	v_mul_f32_e32 v27, v28, v27
	v_fma_f32 v28, v28, v26, -v30
	v_fmac_f32_e32 v27, v29, v26
	v_sub_f32_e32 v11, v11, v28
	v_sub_f32_e32 v12, v12, v27
.LBB162_766:
	s_or_b64 exec, exec, s[12:13]
	s_barrier
	s_and_saveexec_b64 s[12:13], s[44:45]
	s_cbranch_execz .LBB162_768
; %bb.767:
	v_mov_b32_e32 v26, 0
	ds_read_b64 v[26:27], v26 offset:8320
	s_waitcnt lgkmcnt(0)
	v_mul_f32_e32 v28, v12, v27
	v_mul_f32_e32 v29, v11, v27
	v_fma_f32 v11, v11, v26, -v28
	v_fmac_f32_e32 v29, v12, v26
	v_xor_b32_e32 v26, 0x80000000, v11
	v_xor_b32_e32 v27, 0x80000000, v29
	v_mov_b32_e32 v12, v29
	ds_write_b64 v19, v[26:27]
.LBB162_768:
	s_or_b64 exec, exec, s[12:13]
	s_waitcnt lgkmcnt(0)
	s_barrier
	s_barrier
	s_and_saveexec_b64 s[12:13], s[18:19]
; %bb.769:
	v_lshlrev_b32_e32 v26, 3, v17
	v_lshl_or_b32 v26, v18, 9, v26
	ds_write_b64 v26, v[11:12] offset:10368
; %bb.770:
	s_or_b64 exec, exec, s[12:13]
	s_waitcnt lgkmcnt(0)
	s_barrier
	s_barrier
	s_and_saveexec_b64 s[12:13], s[56:57]
	s_cbranch_execz .LBB162_772
; %bb.771:
	v_lshlrev_b32_e32 v26, 9, v0
	ds_read_b64 v[11:12], v26 offset:10368
	s_movk_i32 s14, 0xfe08
	v_mad_i32_i24 v27, v0, s14, v26
	s_waitcnt lgkmcnt(0)
	ds_write_b64 v27, v[11:12] offset:8352
	ds_read_b64 v[11:12], v26 offset:10376
	s_waitcnt lgkmcnt(0)
	ds_write_b64 v27, v[11:12] offset:8864
	ds_read_b64 v[11:12], v26 offset:10384
	;; [unrolled: 3-line block ×3, first 2 shown]
	s_waitcnt lgkmcnt(0)
	ds_write_b64 v27, v[11:12] offset:9888
.LBB162_772:
	s_or_b64 exec, exec, s[12:13]
	s_waitcnt lgkmcnt(0)
	s_barrier
	s_and_saveexec_b64 s[12:13], vcc
	s_cbranch_execz .LBB162_774
; %bb.773:
	s_movk_i32 s14, 0x90
	v_mov_b32_e32 v11, 0
	v_add_u32_e64 v26, s14, 0
	ds_read_b64 v[11:12], v11 offset:9880
	ds_read2st64_b64 v[26:29], v26 offset0:18 offset1:19
	s_movk_i32 s14, 0x2000
	s_waitcnt lgkmcnt(0)
	v_mul_f32_e32 v30, v12, v27
	v_mul_f32_e32 v27, v11, v27
	v_fma_f32 v30, v11, v26, -v30
	v_fmac_f32_e32 v27, v12, v26
	v_mul_f32_e32 v11, v27, v29
	v_mul_f32_e32 v12, v30, v29
	v_fma_f32 v11, v30, v28, -v11
	v_fmac_f32_e32 v12, v27, v28
	v_add_u32_e64 v26, s14, 0
	ds_write2_b64 v26, v[11:12], v[11:12] offset0:147 offset1:210
.LBB162_774:
	s_or_b64 exec, exec, s[12:13]
	v_mov_b32_e32 v11, 0
	v_mov_b32_e32 v12, 0
	s_waitcnt lgkmcnt(0)
	s_barrier
	buffer_wbinvl1_vol
	s_and_saveexec_b64 s[14:15], s[2:3]
	s_cbranch_execz .LBB162_778
; %bb.775:
	v_lshlrev_b32_e32 v11, 3, v13
	v_lshlrev_b32_e32 v26, 9, v14
	ds_read_b64 v[11:12], v11 offset:9344
	ds_read_b64 v[26:27], v26 offset:9360
	v_cmp_gt_u32_e64 s[12:13], 2, v16
	s_waitcnt lgkmcnt(0)
	v_mul_f32_e32 v28, v27, v12
	v_mul_f32_e32 v12, v26, v12
	v_fma_f32 v26, v26, v11, -v28
	v_fmac_f32_e32 v12, v27, v11
	v_add_f32_e32 v11, 0, v26
	v_add_f32_e32 v12, 0, v12
	s_and_saveexec_b64 s[16:17], s[12:13]
	s_cbranch_execz .LBB162_777
; %bb.776:
	v_lshlrev_b32_e32 v26, 3, v0
	v_mov_b32_e32 v28, 0
	ds_read_b64 v[26:27], v26 offset:9856
	ds_read_b64 v[28:29], v28 offset:9880
	s_waitcnt lgkmcnt(0)
	v_mul_f32_e32 v30, v29, v27
	v_mul_f32_e32 v27, v28, v27
	v_fma_f32 v28, v28, v26, -v30
	v_fmac_f32_e32 v27, v29, v26
	v_add_f32_e32 v11, v11, v28
	v_add_f32_e32 v12, v12, v27
.LBB162_777:
	s_or_b64 exec, exec, s[16:17]
.LBB162_778:
	s_or_b64 exec, exec, s[14:15]
	s_and_saveexec_b64 s[12:13], s[40:41]
	s_cbranch_execz .LBB162_780
; %bb.779:
	v_mov_b32_e32 v26, 0
	ds_read_b64 v[26:27], v26 offset:8840
	s_waitcnt lgkmcnt(0)
	v_mul_f32_e32 v28, v12, v27
	v_mul_f32_e32 v29, v11, v27
	v_fma_f32 v11, v11, v26, -v28
	v_fmac_f32_e32 v29, v12, v26
	v_xor_b32_e32 v26, 0x80000000, v11
	v_xor_b32_e32 v27, 0x80000000, v29
	v_mov_b32_e32 v12, v29
	ds_write_b64 v15, v[26:27]
.LBB162_780:
	s_or_b64 exec, exec, s[12:13]
	s_waitcnt lgkmcnt(0)
	s_barrier
	s_and_saveexec_b64 s[12:13], s[38:39]
	s_cbranch_execz .LBB162_782
; %bb.781:
	v_mov_b32_e32 v26, 0
	ds_read_b64 v[26:27], v26 offset:8832
	ds_read_b64 v[28:29], v15
	s_waitcnt lgkmcnt(0)
	v_mul_f32_e32 v30, v29, v27
	v_mul_f32_e32 v27, v28, v27
	v_fma_f32 v28, v28, v26, -v30
	v_fmac_f32_e32 v27, v29, v26
	v_sub_f32_e32 v11, v11, v28
	v_sub_f32_e32 v12, v12, v27
.LBB162_782:
	s_or_b64 exec, exec, s[12:13]
	s_barrier
	s_and_saveexec_b64 s[12:13], s[38:39]
	s_cbranch_execz .LBB162_784
; %bb.783:
	v_mov_b32_e32 v26, 0
	ds_read_b64 v[26:27], v26 offset:8320
	s_waitcnt lgkmcnt(0)
	v_mul_f32_e32 v28, v12, v27
	v_mul_f32_e32 v29, v11, v27
	v_fma_f32 v11, v11, v26, -v28
	v_fmac_f32_e32 v29, v12, v26
	v_xor_b32_e32 v26, 0x80000000, v11
	v_xor_b32_e32 v27, 0x80000000, v29
	v_mov_b32_e32 v12, v29
	ds_write_b64 v15, v[26:27]
.LBB162_784:
	s_or_b64 exec, exec, s[12:13]
	s_waitcnt lgkmcnt(0)
	s_barrier
	s_barrier
	s_and_saveexec_b64 s[12:13], s[2:3]
; %bb.785:
	v_lshlrev_b32_e32 v26, 3, v13
	v_lshl_or_b32 v26, v14, 9, v26
	ds_write_b64 v26, v[11:12] offset:9344
; %bb.786:
	s_or_b64 exec, exec, s[12:13]
	s_waitcnt lgkmcnt(0)
	s_barrier
	s_barrier
	s_and_saveexec_b64 s[12:13], s[42:43]
	s_cbranch_execz .LBB162_788
; %bb.787:
	v_lshlrev_b32_e32 v26, 3, v0
	s_movk_i32 s14, 0x1f8
	v_mad_u32_u24 v27, v0, s14, v26
	ds_read_b64 v[11:12], v27 offset:9344
	s_waitcnt lgkmcnt(0)
	ds_write_b64 v26, v[11:12] offset:8336
	ds_read_b64 v[11:12], v27 offset:9352
	s_waitcnt lgkmcnt(0)
	ds_write_b64 v26, v[11:12] offset:8848
.LBB162_788:
	s_or_b64 exec, exec, s[12:13]
	s_waitcnt lgkmcnt(0)
	s_barrier
	s_and_saveexec_b64 s[12:13], vcc
	s_cbranch_execz .LBB162_790
; %bb.789:
	s_movk_i32 s14, 0x80
	v_mov_b32_e32 v11, 0
	v_add_u32_e64 v26, s14, 0
	ds_read_b64 v[11:12], v11 offset:8840
	ds_read2st64_b64 v[26:29], v26 offset0:16 offset1:17
	s_movk_i32 s14, 0x2000
	s_waitcnt lgkmcnt(0)
	v_mul_f32_e32 v30, v12, v27
	v_mul_f32_e32 v27, v11, v27
	v_fma_f32 v30, v11, v26, -v30
	v_fmac_f32_e32 v27, v12, v26
	v_mul_f32_e32 v11, v27, v29
	v_mul_f32_e32 v12, v30, v29
	v_fma_f32 v11, v30, v28, -v11
	v_fmac_f32_e32 v12, v27, v28
	v_add_u32_e64 v26, s14, 0
	ds_write2_b64 v26, v[11:12], v[11:12] offset0:17 offset1:80
.LBB162_790:
	s_or_b64 exec, exec, s[12:13]
	v_mov_b32_e32 v12, 0
	v_mov_b32_e32 v11, 0
	s_waitcnt lgkmcnt(0)
	s_barrier
	buffer_wbinvl1_vol
	s_and_saveexec_b64 s[14:15], s[10:11]
	s_cbranch_execz .LBB162_818
; %bb.791:
	v_lshlrev_b32_e32 v26, 3, v23
	v_lshlrev_b32_e32 v27, 9, v24
	ds_read_b64 v[11:12], v26 offset:8192
	ds_read_b64 v[28:29], v27 offset:8320
	s_movk_i32 s12, 0xf0
	v_cmp_gt_u32_e64 s[12:13], s12, v16
	s_waitcnt lgkmcnt(0)
	v_mul_f32_e32 v30, v29, v12
	v_mul_f32_e32 v12, v28, v12
	v_fma_f32 v28, v28, v11, -v30
	v_fmac_f32_e32 v12, v29, v11
	v_add_f32_e32 v11, 0, v28
	v_add_f32_e32 v12, 0, v12
	s_and_saveexec_b64 s[16:17], s[12:13]
	s_cbranch_execz .LBB162_793
; %bb.792:
	ds_read_b64 v[28:29], v26 offset:8704
	ds_read_b64 v[30:31], v27 offset:8328
	s_waitcnt lgkmcnt(0)
	v_mul_f32_e32 v32, v31, v29
	v_mul_f32_e32 v29, v30, v29
	v_fma_f32 v30, v30, v28, -v32
	v_fmac_f32_e32 v29, v31, v28
	v_add_f32_e32 v11, v11, v30
	v_add_f32_e32 v12, v12, v29
.LBB162_793:
	s_or_b64 exec, exec, s[16:17]
	s_movk_i32 s12, 0xe0
	v_cmp_gt_u32_e64 s[12:13], s12, v16
	s_and_saveexec_b64 s[16:17], s[12:13]
	s_cbranch_execz .LBB162_795
; %bb.794:
	ds_read_b64 v[28:29], v26 offset:9216
	ds_read_b64 v[30:31], v27 offset:8336
	s_waitcnt lgkmcnt(0)
	v_mul_f32_e32 v32, v31, v29
	v_mul_f32_e32 v29, v30, v29
	v_fma_f32 v30, v30, v28, -v32
	v_fmac_f32_e32 v29, v31, v28
	v_add_f32_e32 v11, v11, v30
	v_add_f32_e32 v12, v12, v29
.LBB162_795:
	s_or_b64 exec, exec, s[16:17]
	s_movk_i32 s12, 0xd0
	v_cmp_gt_u32_e64 s[12:13], s12, v16
	;; [unrolled: 16-line block ×10, first 2 shown]
	s_and_saveexec_b64 s[16:17], s[12:13]
	s_cbranch_execnz .LBB162_1161
; %bb.812:
	s_or_b64 exec, exec, s[16:17]
	s_and_saveexec_b64 s[12:13], s[8:9]
	s_cbranch_execnz .LBB162_1162
.LBB162_813:
	s_or_b64 exec, exec, s[12:13]
	v_cmp_gt_u32_e64 s[12:13], 48, v16
	s_and_saveexec_b64 s[16:17], s[12:13]
	s_cbranch_execnz .LBB162_1163
.LBB162_814:
	s_or_b64 exec, exec, s[16:17]
	v_cmp_gt_u32_e64 s[12:13], 32, v16
	s_and_saveexec_b64 s[16:17], s[12:13]
	s_cbranch_execnz .LBB162_1164
.LBB162_815:
	s_or_b64 exec, exec, s[16:17]
	v_cmp_gt_u32_e64 s[12:13], 16, v16
	s_and_saveexec_b64 s[16:17], s[12:13]
	s_cbranch_execz .LBB162_817
.LBB162_816:
	v_lshlrev_b32_e32 v26, 3, v0
	v_mov_b32_e32 v28, 0
	ds_read_b64 v[26:27], v26 offset:15872
	ds_read_b64 v[28:29], v28 offset:16120
	s_waitcnt lgkmcnt(0)
	v_mul_f32_e32 v30, v29, v27
	v_mul_f32_e32 v27, v28, v27
	v_fma_f32 v28, v28, v26, -v30
	v_fmac_f32_e32 v27, v29, v26
	v_add_f32_e32 v11, v11, v28
	v_add_f32_e32 v12, v12, v27
.LBB162_817:
	s_or_b64 exec, exec, s[16:17]
.LBB162_818:
	s_or_b64 exec, exec, s[14:15]
	s_mov_b64 s[12:13], exec
	v_readlane_b32 s14, v38, 5
	v_readlane_b32 s15, v38, 6
	s_and_b64 s[14:15], s[12:13], s[14:15]
	s_mov_b64 exec, s[14:15]
	s_cbranch_execz .LBB162_820
; %bb.819:
	v_mov_b32_e32 v26, 0
	ds_read_b64 v[26:27], v26 offset:7800
	s_waitcnt lgkmcnt(0)
	v_mul_f32_e32 v28, v12, v27
	v_mul_f32_e32 v29, v11, v27
	v_fma_f32 v11, v11, v26, -v28
	v_fmac_f32_e32 v29, v12, v26
	v_xor_b32_e32 v26, 0x80000000, v11
	v_xor_b32_e32 v27, 0x80000000, v29
	v_mov_b32_e32 v12, v29
	ds_write_b64 v25, v[26:27]
.LBB162_820:
	s_or_b64 exec, exec, s[12:13]
	s_waitcnt lgkmcnt(0)
	s_barrier
	s_mov_b64 s[12:13], exec
	v_readlane_b32 s14, v38, 7
	v_readlane_b32 s15, v38, 8
	s_and_b64 s[14:15], s[12:13], s[14:15]
	s_mov_b64 exec, s[14:15]
	s_cbranch_execz .LBB162_822
; %bb.821:
	v_lshlrev_b32_e32 v26, 3, v23
	ds_read_b64 v[26:27], v26 offset:7680
	ds_read_b64 v[28:29], v25
	s_waitcnt lgkmcnt(0)
	v_mul_f32_e32 v30, v29, v27
	v_mul_f32_e32 v27, v28, v27
	v_fma_f32 v28, v28, v26, -v30
	v_fmac_f32_e32 v27, v29, v26
	v_sub_f32_e32 v11, v11, v28
	v_sub_f32_e32 v12, v12, v27
.LBB162_822:
	s_or_b64 exec, exec, s[12:13]
	s_barrier
	s_mov_b64 s[12:13], exec
	v_readlane_b32 s14, v38, 9
	v_readlane_b32 s15, v38, 10
	s_and_b64 s[14:15], s[12:13], s[14:15]
	s_mov_b64 exec, s[14:15]
	s_cbranch_execz .LBB162_824
; %bb.823:
	v_mov_b32_e32 v26, 0
	ds_read_b64 v[26:27], v26 offset:7280
	s_waitcnt lgkmcnt(0)
	v_mul_f32_e32 v28, v12, v27
	v_mul_f32_e32 v29, v11, v27
	v_fma_f32 v11, v11, v26, -v28
	v_fmac_f32_e32 v29, v12, v26
	v_xor_b32_e32 v26, 0x80000000, v11
	v_xor_b32_e32 v27, 0x80000000, v29
	v_mov_b32_e32 v12, v29
	ds_write_b64 v25, v[26:27]
.LBB162_824:
	s_or_b64 exec, exec, s[12:13]
	s_waitcnt lgkmcnt(0)
	s_barrier
	s_mov_b64 s[12:13], exec
	v_readlane_b32 s14, v38, 11
	v_readlane_b32 s15, v38, 12
	s_and_b64 s[14:15], s[12:13], s[14:15]
	s_mov_b64 exec, s[14:15]
	s_cbranch_execz .LBB162_826
; %bb.825:
	v_lshlrev_b32_e32 v26, 3, v23
	ds_read_b64 v[26:27], v26 offset:7168
	ds_read_b64 v[28:29], v25
	s_waitcnt lgkmcnt(0)
	v_mul_f32_e32 v30, v29, v27
	v_mul_f32_e32 v27, v28, v27
	v_fma_f32 v28, v28, v26, -v30
	v_fmac_f32_e32 v27, v29, v26
	v_sub_f32_e32 v11, v11, v28
	v_sub_f32_e32 v12, v12, v27
.LBB162_826:
	s_or_b64 exec, exec, s[12:13]
	s_barrier
	;; [unrolled: 42-line block ×13, first 2 shown]
	s_mov_b64 s[12:13], exec
	v_readlane_b32 s14, v38, 57
	v_readlane_b32 s15, v38, 58
	s_and_b64 s[14:15], s[12:13], s[14:15]
	s_mov_b64 exec, s[14:15]
	s_cbranch_execz .LBB162_872
; %bb.871:
	v_mov_b32_e32 v26, 0
	ds_read_b64 v[26:27], v26 offset:1040
	s_waitcnt lgkmcnt(0)
	v_mul_f32_e32 v28, v12, v27
	v_mul_f32_e32 v29, v11, v27
	v_fma_f32 v11, v11, v26, -v28
	v_fmac_f32_e32 v29, v12, v26
	v_xor_b32_e32 v26, 0x80000000, v11
	v_xor_b32_e32 v27, 0x80000000, v29
	v_mov_b32_e32 v12, v29
	ds_write_b64 v25, v[26:27]
.LBB162_872:
	s_or_b64 exec, exec, s[12:13]
	s_waitcnt lgkmcnt(0)
	s_barrier
	s_and_saveexec_b64 s[12:13], s[22:23]
	s_cbranch_execz .LBB162_874
; %bb.873:
	v_lshlrev_b32_e32 v26, 3, v23
	ds_read_b64 v[26:27], v26 offset:1024
	ds_read_b64 v[28:29], v25
	s_waitcnt lgkmcnt(0)
	v_mul_f32_e32 v30, v29, v27
	v_mul_f32_e32 v27, v28, v27
	v_fma_f32 v28, v28, v26, -v30
	v_fmac_f32_e32 v27, v29, v26
	v_sub_f32_e32 v11, v11, v28
	v_sub_f32_e32 v12, v12, v27
.LBB162_874:
	s_or_b64 exec, exec, s[12:13]
	s_barrier
	s_and_saveexec_b64 s[12:13], s[0:1]
	s_cbranch_execz .LBB162_876
; %bb.875:
	v_mov_b32_e32 v26, 0
	ds_read_b64 v[26:27], v26 offset:520
	s_waitcnt lgkmcnt(0)
	v_mul_f32_e32 v28, v12, v27
	v_mul_f32_e32 v29, v11, v27
	v_fma_f32 v11, v11, v26, -v28
	v_fmac_f32_e32 v29, v12, v26
	v_xor_b32_e32 v26, 0x80000000, v11
	v_xor_b32_e32 v27, 0x80000000, v29
	v_mov_b32_e32 v12, v29
	ds_write_b64 v25, v[26:27]
.LBB162_876:
	s_or_b64 exec, exec, s[12:13]
	s_waitcnt lgkmcnt(0)
	s_barrier
	s_and_saveexec_b64 s[0:1], s[34:35]
	s_cbranch_execz .LBB162_878
; %bb.877:
	v_mov_b32_e32 v26, 0
	ds_read_b64 v[26:27], v26 offset:512
	ds_read_b64 v[28:29], v25
	s_waitcnt lgkmcnt(0)
	v_mul_f32_e32 v30, v29, v27
	v_mul_f32_e32 v27, v28, v27
	v_fma_f32 v28, v28, v26, -v30
	v_fmac_f32_e32 v27, v29, v26
	v_sub_f32_e32 v11, v11, v28
	v_sub_f32_e32 v12, v12, v27
.LBB162_878:
	s_or_b64 exec, exec, s[0:1]
	s_barrier
	s_and_saveexec_b64 s[0:1], s[34:35]
	s_cbranch_execz .LBB162_880
; %bb.879:
	v_mov_b32_e32 v26, 0
	ds_read_b64 v[26:27], v26
	s_waitcnt lgkmcnt(0)
	v_mul_f32_e32 v28, v12, v27
	v_mul_f32_e32 v29, v11, v27
	v_fma_f32 v11, v11, v26, -v28
	v_fmac_f32_e32 v29, v12, v26
	v_xor_b32_e32 v26, 0x80000000, v11
	v_xor_b32_e32 v27, 0x80000000, v29
	v_mov_b32_e32 v12, v29
	ds_write_b64 v25, v[26:27]
.LBB162_880:
	s_or_b64 exec, exec, s[0:1]
	s_waitcnt lgkmcnt(0)
	s_barrier
	s_barrier
	s_and_saveexec_b64 s[0:1], s[10:11]
; %bb.881:
	v_lshlrev_b32_e32 v23, 3, v23
	v_lshl_or_b32 v23, v24, 9, v23
	ds_write_b64 v23, v[11:12] offset:8192
; %bb.882:
	s_or_b64 exec, exec, s[0:1]
	s_waitcnt lgkmcnt(0)
	s_barrier
	s_barrier
	s_and_saveexec_b64 s[0:1], s[36:37]
	s_cbranch_execz .LBB162_884
; %bb.883:
	v_lshlrev_b32_e32 v23, 9, v0
	ds_read_b64 v[11:12], v23 offset:8192
	s_movk_i32 s10, 0xfe08
	v_mad_i32_i24 v24, v0, s10, v23
	s_waitcnt lgkmcnt(0)
	ds_write_b64 v24, v[11:12] offset:128
	ds_read_b64 v[11:12], v23 offset:8200
	s_waitcnt lgkmcnt(0)
	ds_write_b64 v24, v[11:12] offset:640
	ds_read_b64 v[11:12], v23 offset:8208
	;; [unrolled: 3-line block ×15, first 2 shown]
	s_waitcnt lgkmcnt(0)
	ds_write_b64 v24, v[11:12] offset:7808
.LBB162_884:
	s_or_b64 exec, exec, s[0:1]
	s_waitcnt lgkmcnt(0)
	s_barrier
	s_and_saveexec_b64 s[0:1], vcc
	s_cbranch_execz .LBB162_886
; %bb.885:
	s_movk_i32 s10, 0x70
	v_mov_b32_e32 v11, 0
	v_add_u32_e64 v23, s10, 0
	ds_read_b64 v[11:12], v11 offset:7800
	ds_read2st64_b64 v[23:26], v23 offset0:14 offset1:15
	s_movk_i32 s10, 0x1800
	s_waitcnt lgkmcnt(0)
	v_mul_f32_e32 v27, v12, v24
	v_mul_f32_e32 v24, v11, v24
	v_fma_f32 v27, v11, v23, -v27
	v_fmac_f32_e32 v24, v12, v23
	v_mul_f32_e32 v11, v24, v26
	v_mul_f32_e32 v12, v27, v26
	v_fma_f32 v11, v27, v25, -v11
	v_fmac_f32_e32 v12, v24, v25
	v_add_u32_e64 v23, s10, 0
	ds_write2_b64 v23, v[11:12], v[11:12] offset0:143 offset1:206
.LBB162_886:
	s_or_b64 exec, exec, s[0:1]
	v_mov_b32_e32 v11, 0
	v_mov_b32_e32 v12, 0
	s_waitcnt lgkmcnt(0)
	s_barrier
	buffer_wbinvl1_vol
	s_and_saveexec_b64 s[0:1], s[2:3]
	s_cbranch_execz .LBB162_890
; %bb.887:
	v_lshlrev_b32_e32 v11, 3, v13
	v_lshlrev_b32_e32 v23, 9, v14
	ds_read_b64 v[11:12], v11 offset:7264
	ds_read_b64 v[23:24], v23 offset:7280
	v_cmp_gt_u32_e64 s[10:11], 2, v16
	s_waitcnt lgkmcnt(0)
	v_mul_f32_e32 v25, v24, v12
	v_mul_f32_e32 v12, v23, v12
	v_fma_f32 v23, v23, v11, -v25
	v_fmac_f32_e32 v12, v24, v11
	v_add_f32_e32 v11, 0, v23
	v_add_f32_e32 v12, 0, v12
	s_and_saveexec_b64 s[12:13], s[10:11]
	s_cbranch_execz .LBB162_889
; %bb.888:
	v_lshlrev_b32_e32 v23, 3, v0
	v_mov_b32_e32 v25, 0
	ds_read_b64 v[23:24], v23 offset:7776
	ds_read_b64 v[25:26], v25 offset:7800
	s_waitcnt lgkmcnt(0)
	v_mul_f32_e32 v27, v26, v24
	v_mul_f32_e32 v24, v25, v24
	v_fma_f32 v25, v25, v23, -v27
	v_fmac_f32_e32 v24, v26, v23
	v_add_f32_e32 v11, v11, v25
	v_add_f32_e32 v12, v12, v24
.LBB162_889:
	s_or_b64 exec, exec, s[12:13]
.LBB162_890:
	s_or_b64 exec, exec, s[0:1]
	s_and_saveexec_b64 s[0:1], s[40:41]
	s_cbranch_execz .LBB162_892
; %bb.891:
	v_mov_b32_e32 v23, 0
	ds_read_b64 v[23:24], v23 offset:6760
	s_waitcnt lgkmcnt(0)
	v_mul_f32_e32 v25, v12, v24
	v_mul_f32_e32 v26, v11, v24
	v_fma_f32 v11, v11, v23, -v25
	v_fmac_f32_e32 v26, v12, v23
	v_xor_b32_e32 v23, 0x80000000, v11
	v_xor_b32_e32 v24, 0x80000000, v26
	v_mov_b32_e32 v12, v26
	ds_write_b64 v15, v[23:24]
.LBB162_892:
	s_or_b64 exec, exec, s[0:1]
	s_waitcnt lgkmcnt(0)
	s_barrier
	s_and_saveexec_b64 s[0:1], s[38:39]
	s_cbranch_execz .LBB162_894
; %bb.893:
	v_mov_b32_e32 v23, 0
	ds_read_b64 v[23:24], v23 offset:6752
	ds_read_b64 v[25:26], v15
	s_waitcnt lgkmcnt(0)
	v_mul_f32_e32 v27, v26, v24
	v_mul_f32_e32 v24, v25, v24
	v_fma_f32 v25, v25, v23, -v27
	v_fmac_f32_e32 v24, v26, v23
	v_sub_f32_e32 v11, v11, v25
	v_sub_f32_e32 v12, v12, v24
.LBB162_894:
	s_or_b64 exec, exec, s[0:1]
	s_barrier
	s_and_saveexec_b64 s[0:1], s[38:39]
	s_cbranch_execz .LBB162_896
; %bb.895:
	v_mov_b32_e32 v23, 0
	ds_read_b64 v[23:24], v23 offset:6240
	s_waitcnt lgkmcnt(0)
	v_mul_f32_e32 v25, v12, v24
	v_mul_f32_e32 v26, v11, v24
	v_fma_f32 v11, v11, v23, -v25
	v_fmac_f32_e32 v26, v12, v23
	v_xor_b32_e32 v23, 0x80000000, v11
	v_xor_b32_e32 v24, 0x80000000, v26
	v_mov_b32_e32 v12, v26
	ds_write_b64 v15, v[23:24]
.LBB162_896:
	s_or_b64 exec, exec, s[0:1]
	s_waitcnt lgkmcnt(0)
	s_barrier
	s_barrier
	s_and_saveexec_b64 s[0:1], s[2:3]
; %bb.897:
	v_lshlrev_b32_e32 v23, 3, v13
	v_lshl_or_b32 v23, v14, 9, v23
	ds_write_b64 v23, v[11:12] offset:7264
; %bb.898:
	s_or_b64 exec, exec, s[0:1]
	s_waitcnt lgkmcnt(0)
	s_barrier
	s_barrier
	s_and_saveexec_b64 s[0:1], s[42:43]
	s_cbranch_execz .LBB162_900
; %bb.899:
	v_lshlrev_b32_e32 v23, 3, v0
	s_movk_i32 s10, 0x1f8
	v_mad_u32_u24 v24, v0, s10, v23
	ds_read_b64 v[11:12], v24 offset:7264
	s_waitcnt lgkmcnt(0)
	ds_write_b64 v23, v[11:12] offset:6256
	ds_read_b64 v[11:12], v24 offset:7272
	s_waitcnt lgkmcnt(0)
	ds_write_b64 v23, v[11:12] offset:6768
.LBB162_900:
	s_or_b64 exec, exec, s[0:1]
	s_waitcnt lgkmcnt(0)
	s_barrier
	s_and_saveexec_b64 s[0:1], vcc
	s_cbranch_execz .LBB162_902
; %bb.901:
	s_movk_i32 s10, 0x60
	v_mov_b32_e32 v11, 0
	v_add_u32_e64 v23, s10, 0
	ds_read_b64 v[11:12], v11 offset:6760
	ds_read2st64_b64 v[23:26], v23 offset0:12 offset1:13
	s_movk_i32 s10, 0x1800
	s_waitcnt lgkmcnt(0)
	v_mul_f32_e32 v27, v12, v24
	v_mul_f32_e32 v24, v11, v24
	v_fma_f32 v27, v11, v23, -v27
	v_fmac_f32_e32 v24, v12, v23
	v_mul_f32_e32 v11, v24, v26
	v_mul_f32_e32 v12, v27, v26
	v_fma_f32 v11, v27, v25, -v11
	v_fmac_f32_e32 v12, v24, v25
	v_add_u32_e64 v23, s10, 0
	ds_write2_b64 v23, v[11:12], v[11:12] offset0:13 offset1:76
.LBB162_902:
	s_or_b64 exec, exec, s[0:1]
	v_mov_b32_e32 v12, 0
	v_mov_b32_e32 v11, 0
	s_waitcnt lgkmcnt(0)
	s_barrier
	buffer_wbinvl1_vol
	s_and_saveexec_b64 s[0:1], s[18:19]
	s_cbranch_execz .LBB162_908
; %bb.903:
	v_lshlrev_b32_e32 v23, 3, v17
	v_lshlrev_b32_e32 v24, 9, v18
	ds_read_b64 v[11:12], v23 offset:6208
	ds_read_b64 v[25:26], v24 offset:6240
	v_cmp_gt_u32_e64 s[10:11], 12, v16
	s_waitcnt lgkmcnt(0)
	v_mul_f32_e32 v27, v26, v12
	v_mul_f32_e32 v12, v25, v12
	v_fma_f32 v25, v25, v11, -v27
	v_fmac_f32_e32 v12, v26, v11
	v_add_f32_e32 v11, 0, v25
	v_add_f32_e32 v12, 0, v12
	s_and_saveexec_b64 s[12:13], s[10:11]
	s_cbranch_execnz .LBB162_1165
; %bb.904:
	s_or_b64 exec, exec, s[12:13]
	v_cmp_gt_u32_e64 s[10:11], 8, v16
	s_and_saveexec_b64 s[12:13], s[10:11]
	s_cbranch_execnz .LBB162_1166
.LBB162_905:
	s_or_b64 exec, exec, s[12:13]
	v_cmp_gt_u32_e64 s[10:11], 4, v16
	s_and_saveexec_b64 s[12:13], s[10:11]
	s_cbranch_execz .LBB162_907
.LBB162_906:
	v_lshlrev_b32_e32 v23, 3, v0
	v_mov_b32_e32 v25, 0
	ds_read_b64 v[23:24], v23 offset:7744
	ds_read_b64 v[25:26], v25 offset:7800
	s_waitcnt lgkmcnt(0)
	v_mul_f32_e32 v27, v26, v24
	v_mul_f32_e32 v24, v25, v24
	v_fma_f32 v25, v25, v23, -v27
	v_fmac_f32_e32 v24, v26, v23
	v_add_f32_e32 v11, v11, v25
	v_add_f32_e32 v12, v12, v24
.LBB162_907:
	s_or_b64 exec, exec, s[12:13]
.LBB162_908:
	s_or_b64 exec, exec, s[0:1]
	s_and_saveexec_b64 s[0:1], s[46:47]
	s_cbranch_execz .LBB162_910
; %bb.909:
	v_mov_b32_e32 v23, 0
	ds_read_b64 v[23:24], v23 offset:5720
	s_waitcnt lgkmcnt(0)
	v_mul_f32_e32 v25, v12, v24
	v_mul_f32_e32 v26, v11, v24
	v_fma_f32 v11, v11, v23, -v25
	v_fmac_f32_e32 v26, v12, v23
	v_xor_b32_e32 v23, 0x80000000, v11
	v_xor_b32_e32 v24, 0x80000000, v26
	v_mov_b32_e32 v12, v26
	ds_write_b64 v19, v[23:24]
.LBB162_910:
	s_or_b64 exec, exec, s[0:1]
	s_waitcnt lgkmcnt(0)
	s_barrier
	s_and_saveexec_b64 s[0:1], s[48:49]
	s_cbranch_execz .LBB162_912
; %bb.911:
	v_lshlrev_b32_e32 v23, 3, v17
	ds_read_b64 v[23:24], v23 offset:5696
	ds_read_b64 v[25:26], v19
	s_waitcnt lgkmcnt(0)
	v_mul_f32_e32 v27, v26, v24
	v_mul_f32_e32 v24, v25, v24
	v_fma_f32 v25, v25, v23, -v27
	v_fmac_f32_e32 v24, v26, v23
	v_sub_f32_e32 v11, v11, v25
	v_sub_f32_e32 v12, v12, v24
.LBB162_912:
	s_or_b64 exec, exec, s[0:1]
	s_barrier
	s_and_saveexec_b64 s[0:1], s[50:51]
	s_cbranch_execz .LBB162_914
; %bb.913:
	v_mov_b32_e32 v23, 0
	ds_read_b64 v[23:24], v23 offset:5200
	s_waitcnt lgkmcnt(0)
	v_mul_f32_e32 v25, v12, v24
	v_mul_f32_e32 v26, v11, v24
	v_fma_f32 v11, v11, v23, -v25
	v_fmac_f32_e32 v26, v12, v23
	v_xor_b32_e32 v23, 0x80000000, v11
	v_xor_b32_e32 v24, 0x80000000, v26
	v_mov_b32_e32 v12, v26
	ds_write_b64 v19, v[23:24]
.LBB162_914:
	s_or_b64 exec, exec, s[0:1]
	s_waitcnt lgkmcnt(0)
	s_barrier
	s_and_saveexec_b64 s[0:1], s[52:53]
	s_cbranch_execz .LBB162_916
; %bb.915:
	v_lshlrev_b32_e32 v23, 3, v17
	ds_read_b64 v[23:24], v23 offset:5184
	ds_read_b64 v[25:26], v19
	s_waitcnt lgkmcnt(0)
	v_mul_f32_e32 v27, v26, v24
	v_mul_f32_e32 v24, v25, v24
	v_fma_f32 v25, v25, v23, -v27
	v_fmac_f32_e32 v24, v26, v23
	v_sub_f32_e32 v11, v11, v25
	v_sub_f32_e32 v12, v12, v24
.LBB162_916:
	s_or_b64 exec, exec, s[0:1]
	s_barrier
	s_and_saveexec_b64 s[0:1], s[54:55]
	s_cbranch_execz .LBB162_918
; %bb.917:
	v_mov_b32_e32 v23, 0
	ds_read_b64 v[23:24], v23 offset:4680
	s_waitcnt lgkmcnt(0)
	v_mul_f32_e32 v25, v12, v24
	v_mul_f32_e32 v26, v11, v24
	v_fma_f32 v11, v11, v23, -v25
	v_fmac_f32_e32 v26, v12, v23
	v_xor_b32_e32 v23, 0x80000000, v11
	v_xor_b32_e32 v24, 0x80000000, v26
	v_mov_b32_e32 v12, v26
	ds_write_b64 v19, v[23:24]
.LBB162_918:
	s_or_b64 exec, exec, s[0:1]
	s_waitcnt lgkmcnt(0)
	s_barrier
	s_and_saveexec_b64 s[0:1], s[44:45]
	s_cbranch_execz .LBB162_920
; %bb.919:
	v_mov_b32_e32 v23, 0
	ds_read_b64 v[23:24], v23 offset:4672
	ds_read_b64 v[25:26], v19
	s_waitcnt lgkmcnt(0)
	v_mul_f32_e32 v27, v26, v24
	v_mul_f32_e32 v24, v25, v24
	v_fma_f32 v25, v25, v23, -v27
	v_fmac_f32_e32 v24, v26, v23
	v_sub_f32_e32 v11, v11, v25
	v_sub_f32_e32 v12, v12, v24
.LBB162_920:
	s_or_b64 exec, exec, s[0:1]
	s_barrier
	s_and_saveexec_b64 s[0:1], s[44:45]
	s_cbranch_execz .LBB162_922
; %bb.921:
	v_mov_b32_e32 v23, 0
	ds_read_b64 v[23:24], v23 offset:4160
	s_waitcnt lgkmcnt(0)
	v_mul_f32_e32 v25, v12, v24
	v_mul_f32_e32 v26, v11, v24
	v_fma_f32 v11, v11, v23, -v25
	v_fmac_f32_e32 v26, v12, v23
	v_xor_b32_e32 v23, 0x80000000, v11
	v_xor_b32_e32 v24, 0x80000000, v26
	v_mov_b32_e32 v12, v26
	ds_write_b64 v19, v[23:24]
.LBB162_922:
	s_or_b64 exec, exec, s[0:1]
	s_waitcnt lgkmcnt(0)
	s_barrier
	s_barrier
	s_and_saveexec_b64 s[0:1], s[18:19]
; %bb.923:
	v_lshlrev_b32_e32 v23, 3, v17
	v_lshl_or_b32 v23, v18, 9, v23
	ds_write_b64 v23, v[11:12] offset:6208
; %bb.924:
	s_or_b64 exec, exec, s[0:1]
	s_waitcnt lgkmcnt(0)
	s_barrier
	s_barrier
	s_and_saveexec_b64 s[0:1], s[56:57]
	s_cbranch_execz .LBB162_926
; %bb.925:
	v_lshlrev_b32_e32 v23, 9, v0
	ds_read_b64 v[11:12], v23 offset:6208
	s_movk_i32 s10, 0xfe08
	v_mad_i32_i24 v24, v0, s10, v23
	s_waitcnt lgkmcnt(0)
	ds_write_b64 v24, v[11:12] offset:4192
	ds_read_b64 v[11:12], v23 offset:6216
	s_waitcnt lgkmcnt(0)
	ds_write_b64 v24, v[11:12] offset:4704
	ds_read_b64 v[11:12], v23 offset:6224
	;; [unrolled: 3-line block ×3, first 2 shown]
	s_waitcnt lgkmcnt(0)
	ds_write_b64 v24, v[11:12] offset:5728
.LBB162_926:
	s_or_b64 exec, exec, s[0:1]
	s_waitcnt lgkmcnt(0)
	s_barrier
	s_and_saveexec_b64 s[0:1], vcc
	s_cbranch_execz .LBB162_928
; %bb.927:
	s_movk_i32 s10, 0x50
	v_mov_b32_e32 v11, 0
	v_add_u32_e64 v23, s10, 0
	ds_read_b64 v[11:12], v11 offset:5720
	ds_read2st64_b64 v[23:26], v23 offset0:10 offset1:11
	s_movk_i32 s10, 0x1000
	s_waitcnt lgkmcnt(0)
	v_mul_f32_e32 v27, v12, v24
	v_mul_f32_e32 v24, v11, v24
	v_fma_f32 v27, v11, v23, -v27
	v_fmac_f32_e32 v24, v12, v23
	v_mul_f32_e32 v11, v24, v26
	v_mul_f32_e32 v12, v27, v26
	v_fma_f32 v11, v27, v25, -v11
	v_fmac_f32_e32 v12, v24, v25
	v_add_u32_e64 v23, s10, 0
	ds_write2_b64 v23, v[11:12], v[11:12] offset0:139 offset1:202
.LBB162_928:
	s_or_b64 exec, exec, s[0:1]
	v_mov_b32_e32 v11, 0
	v_mov_b32_e32 v12, 0
	s_waitcnt lgkmcnt(0)
	s_barrier
	buffer_wbinvl1_vol
	s_and_saveexec_b64 s[0:1], s[2:3]
	s_cbranch_execz .LBB162_932
; %bb.929:
	v_lshlrev_b32_e32 v11, 3, v13
	v_lshlrev_b32_e32 v23, 9, v14
	ds_read_b64 v[11:12], v11 offset:5184
	ds_read_b64 v[23:24], v23 offset:5200
	v_cmp_gt_u32_e64 s[10:11], 2, v16
	s_waitcnt lgkmcnt(0)
	v_mul_f32_e32 v25, v24, v12
	v_mul_f32_e32 v12, v23, v12
	v_fma_f32 v23, v23, v11, -v25
	v_fmac_f32_e32 v12, v24, v11
	v_add_f32_e32 v11, 0, v23
	v_add_f32_e32 v12, 0, v12
	s_and_saveexec_b64 s[12:13], s[10:11]
	s_cbranch_execz .LBB162_931
; %bb.930:
	v_lshlrev_b32_e32 v23, 3, v0
	v_mov_b32_e32 v25, 0
	ds_read_b64 v[23:24], v23 offset:5696
	ds_read_b64 v[25:26], v25 offset:5720
	s_waitcnt lgkmcnt(0)
	v_mul_f32_e32 v27, v26, v24
	v_mul_f32_e32 v24, v25, v24
	v_fma_f32 v25, v25, v23, -v27
	v_fmac_f32_e32 v24, v26, v23
	v_add_f32_e32 v11, v11, v25
	v_add_f32_e32 v12, v12, v24
.LBB162_931:
	s_or_b64 exec, exec, s[12:13]
.LBB162_932:
	s_or_b64 exec, exec, s[0:1]
	s_and_saveexec_b64 s[0:1], s[40:41]
	s_cbranch_execz .LBB162_934
; %bb.933:
	v_mov_b32_e32 v23, 0
	ds_read_b64 v[23:24], v23 offset:4680
	s_waitcnt lgkmcnt(0)
	v_mul_f32_e32 v25, v12, v24
	v_mul_f32_e32 v26, v11, v24
	v_fma_f32 v11, v11, v23, -v25
	v_fmac_f32_e32 v26, v12, v23
	v_xor_b32_e32 v23, 0x80000000, v11
	v_xor_b32_e32 v24, 0x80000000, v26
	v_mov_b32_e32 v12, v26
	ds_write_b64 v15, v[23:24]
.LBB162_934:
	s_or_b64 exec, exec, s[0:1]
	s_waitcnt lgkmcnt(0)
	s_barrier
	s_and_saveexec_b64 s[0:1], s[38:39]
	s_cbranch_execz .LBB162_936
; %bb.935:
	v_mov_b32_e32 v23, 0
	ds_read_b64 v[23:24], v23 offset:4672
	ds_read_b64 v[25:26], v15
	s_waitcnt lgkmcnt(0)
	v_mul_f32_e32 v27, v26, v24
	v_mul_f32_e32 v24, v25, v24
	v_fma_f32 v25, v25, v23, -v27
	v_fmac_f32_e32 v24, v26, v23
	v_sub_f32_e32 v11, v11, v25
	v_sub_f32_e32 v12, v12, v24
.LBB162_936:
	s_or_b64 exec, exec, s[0:1]
	s_barrier
	s_and_saveexec_b64 s[0:1], s[38:39]
	s_cbranch_execz .LBB162_938
; %bb.937:
	v_mov_b32_e32 v23, 0
	ds_read_b64 v[23:24], v23 offset:4160
	s_waitcnt lgkmcnt(0)
	v_mul_f32_e32 v25, v12, v24
	v_mul_f32_e32 v26, v11, v24
	v_fma_f32 v11, v11, v23, -v25
	v_fmac_f32_e32 v26, v12, v23
	v_xor_b32_e32 v23, 0x80000000, v11
	v_xor_b32_e32 v24, 0x80000000, v26
	v_mov_b32_e32 v12, v26
	ds_write_b64 v15, v[23:24]
.LBB162_938:
	s_or_b64 exec, exec, s[0:1]
	s_waitcnt lgkmcnt(0)
	s_barrier
	s_barrier
	s_and_saveexec_b64 s[0:1], s[2:3]
; %bb.939:
	v_lshlrev_b32_e32 v23, 3, v13
	v_lshl_or_b32 v23, v14, 9, v23
	ds_write_b64 v23, v[11:12] offset:5184
; %bb.940:
	s_or_b64 exec, exec, s[0:1]
	s_waitcnt lgkmcnt(0)
	s_barrier
	s_barrier
	s_and_saveexec_b64 s[0:1], s[42:43]
	s_cbranch_execz .LBB162_942
; %bb.941:
	v_lshlrev_b32_e32 v23, 3, v0
	s_movk_i32 s10, 0x1f8
	v_mad_u32_u24 v24, v0, s10, v23
	ds_read_b64 v[11:12], v24 offset:5184
	s_waitcnt lgkmcnt(0)
	ds_write_b64 v23, v[11:12] offset:4176
	ds_read_b64 v[11:12], v24 offset:5192
	s_waitcnt lgkmcnt(0)
	ds_write_b64 v23, v[11:12] offset:4688
.LBB162_942:
	s_or_b64 exec, exec, s[0:1]
	s_waitcnt lgkmcnt(0)
	s_barrier
	s_and_saveexec_b64 s[0:1], vcc
	s_cbranch_execz .LBB162_944
; %bb.943:
	v_mov_b32_e32 v11, 0
	v_add_u32_e64 v12, 64, 0
	ds_read2st64_b64 v[23:26], v12 offset0:8 offset1:9
	ds_read_b64 v[11:12], v11 offset:4680
	s_movk_i32 s10, 0x1000
	s_waitcnt lgkmcnt(0)
	v_mul_f32_e32 v27, v12, v24
	v_mul_f32_e32 v24, v11, v24
	v_fma_f32 v27, v11, v23, -v27
	v_fmac_f32_e32 v24, v12, v23
	v_mul_f32_e32 v11, v24, v26
	v_mul_f32_e32 v12, v27, v26
	v_fma_f32 v11, v27, v25, -v11
	v_fmac_f32_e32 v12, v24, v25
	v_add_u32_e64 v23, s10, 0
	ds_write2_b64 v23, v[11:12], v[11:12] offset0:9 offset1:72
.LBB162_944:
	s_or_b64 exec, exec, s[0:1]
	v_mov_b32_e32 v12, 0
	v_mov_b32_e32 v11, 0
	s_waitcnt lgkmcnt(0)
	s_barrier
	buffer_wbinvl1_vol
	s_and_saveexec_b64 s[0:1], s[8:9]
	s_cbranch_execz .LBB162_954
; %bb.945:
	v_lshlrev_b32_e32 v23, 3, v20
	v_lshlrev_b32_e32 v24, 9, v21
	ds_read_b64 v[11:12], v23 offset:4096
	ds_read_b64 v[25:26], v24 offset:4160
	v_cmp_gt_u32_e64 s[10:11], 56, v16
	s_waitcnt lgkmcnt(0)
	v_mul_f32_e32 v27, v26, v12
	v_mul_f32_e32 v12, v25, v12
	v_fma_f32 v25, v25, v11, -v27
	v_fmac_f32_e32 v12, v26, v11
	v_add_f32_e32 v11, 0, v25
	v_add_f32_e32 v12, 0, v12
	s_and_saveexec_b64 s[12:13], s[10:11]
	s_cbranch_execnz .LBB162_1167
; %bb.946:
	s_or_b64 exec, exec, s[12:13]
	v_cmp_gt_u32_e64 s[10:11], 48, v16
	s_and_saveexec_b64 s[12:13], s[10:11]
	s_cbranch_execnz .LBB162_1168
.LBB162_947:
	s_or_b64 exec, exec, s[12:13]
	v_cmp_gt_u32_e64 s[10:11], 40, v16
	s_and_saveexec_b64 s[12:13], s[10:11]
	s_cbranch_execnz .LBB162_1169
.LBB162_948:
	s_or_b64 exec, exec, s[12:13]
	v_cmp_gt_u32_e64 s[10:11], 32, v16
	s_and_saveexec_b64 s[12:13], s[10:11]
	s_cbranch_execnz .LBB162_1170
.LBB162_949:
	s_or_b64 exec, exec, s[12:13]
	v_cmp_gt_u32_e64 s[10:11], 24, v16
	s_and_saveexec_b64 s[12:13], s[10:11]
	s_cbranch_execnz .LBB162_1171
.LBB162_950:
	s_or_b64 exec, exec, s[12:13]
	s_and_saveexec_b64 s[10:11], s[18:19]
	s_cbranch_execnz .LBB162_1172
.LBB162_951:
	s_or_b64 exec, exec, s[10:11]
	v_cmp_gt_u32_e64 s[10:11], 8, v16
	s_and_saveexec_b64 s[12:13], s[10:11]
	s_cbranch_execz .LBB162_953
.LBB162_952:
	v_lshlrev_b32_e32 v23, 3, v0
	v_mov_b32_e32 v25, 0
	ds_read_b64 v[23:24], v23 offset:7680
	ds_read_b64 v[25:26], v25 offset:7800
	s_waitcnt lgkmcnt(0)
	v_mul_f32_e32 v27, v26, v24
	v_mul_f32_e32 v24, v25, v24
	v_fma_f32 v25, v25, v23, -v27
	v_fmac_f32_e32 v24, v26, v23
	v_add_f32_e32 v11, v11, v25
	v_add_f32_e32 v12, v12, v24
.LBB162_953:
	s_or_b64 exec, exec, s[12:13]
.LBB162_954:
	s_or_b64 exec, exec, s[0:1]
	s_and_saveexec_b64 s[0:1], s[60:61]
	s_cbranch_execz .LBB162_956
; %bb.955:
	v_mov_b32_e32 v23, 0
	ds_read_b64 v[23:24], v23 offset:3640
	s_waitcnt lgkmcnt(0)
	v_mul_f32_e32 v25, v12, v24
	v_mul_f32_e32 v26, v11, v24
	v_fma_f32 v11, v11, v23, -v25
	v_fmac_f32_e32 v26, v12, v23
	v_xor_b32_e32 v23, 0x80000000, v11
	v_xor_b32_e32 v24, 0x80000000, v26
	v_mov_b32_e32 v12, v26
	ds_write_b64 v22, v[23:24]
.LBB162_956:
	s_or_b64 exec, exec, s[0:1]
	s_waitcnt lgkmcnt(0)
	s_barrier
	s_and_saveexec_b64 s[0:1], s[62:63]
	s_cbranch_execz .LBB162_958
; %bb.957:
	v_lshlrev_b32_e32 v23, 3, v20
	ds_read_b64 v[23:24], v23 offset:3584
	ds_read_b64 v[25:26], v22
	s_waitcnt lgkmcnt(0)
	v_mul_f32_e32 v27, v26, v24
	v_mul_f32_e32 v24, v25, v24
	v_fma_f32 v25, v25, v23, -v27
	v_fmac_f32_e32 v24, v26, v23
	v_sub_f32_e32 v11, v11, v25
	v_sub_f32_e32 v12, v12, v24
.LBB162_958:
	s_or_b64 exec, exec, s[0:1]
	s_barrier
	s_and_saveexec_b64 s[0:1], s[64:65]
	s_cbranch_execz .LBB162_960
; %bb.959:
	v_mov_b32_e32 v23, 0
	ds_read_b64 v[23:24], v23 offset:3120
	s_waitcnt lgkmcnt(0)
	v_mul_f32_e32 v25, v12, v24
	v_mul_f32_e32 v26, v11, v24
	v_fma_f32 v11, v11, v23, -v25
	v_fmac_f32_e32 v26, v12, v23
	v_xor_b32_e32 v23, 0x80000000, v11
	v_xor_b32_e32 v24, 0x80000000, v26
	v_mov_b32_e32 v12, v26
	ds_write_b64 v22, v[23:24]
.LBB162_960:
	s_or_b64 exec, exec, s[0:1]
	s_waitcnt lgkmcnt(0)
	s_barrier
	s_and_saveexec_b64 s[0:1], s[66:67]
	s_cbranch_execz .LBB162_962
; %bb.961:
	v_lshlrev_b32_e32 v23, 3, v20
	ds_read_b64 v[23:24], v23 offset:3072
	ds_read_b64 v[25:26], v22
	s_waitcnt lgkmcnt(0)
	v_mul_f32_e32 v27, v26, v24
	v_mul_f32_e32 v24, v25, v24
	v_fma_f32 v25, v25, v23, -v27
	v_fmac_f32_e32 v24, v26, v23
	v_sub_f32_e32 v11, v11, v25
	v_sub_f32_e32 v12, v12, v24
.LBB162_962:
	s_or_b64 exec, exec, s[0:1]
	s_barrier
	;; [unrolled: 34-line block ×6, first 2 shown]
	s_and_saveexec_b64 s[0:1], s[84:85]
	s_cbranch_execz .LBB162_980
; %bb.979:
	v_mov_b32_e32 v23, 0
	ds_read_b64 v[23:24], v23 offset:520
	s_waitcnt lgkmcnt(0)
	v_mul_f32_e32 v25, v12, v24
	v_mul_f32_e32 v26, v11, v24
	v_fma_f32 v11, v11, v23, -v25
	v_fmac_f32_e32 v26, v12, v23
	v_xor_b32_e32 v23, 0x80000000, v11
	v_xor_b32_e32 v24, 0x80000000, v26
	v_mov_b32_e32 v12, v26
	ds_write_b64 v22, v[23:24]
.LBB162_980:
	s_or_b64 exec, exec, s[0:1]
	s_waitcnt lgkmcnt(0)
	s_barrier
	s_and_saveexec_b64 s[0:1], s[58:59]
	s_cbranch_execz .LBB162_982
; %bb.981:
	v_mov_b32_e32 v23, 0
	ds_read_b64 v[23:24], v23 offset:512
	ds_read_b64 v[25:26], v22
	s_waitcnt lgkmcnt(0)
	v_mul_f32_e32 v27, v26, v24
	v_mul_f32_e32 v24, v25, v24
	v_fma_f32 v25, v25, v23, -v27
	v_fmac_f32_e32 v24, v26, v23
	v_sub_f32_e32 v11, v11, v25
	v_sub_f32_e32 v12, v12, v24
.LBB162_982:
	s_or_b64 exec, exec, s[0:1]
	s_barrier
	s_and_saveexec_b64 s[0:1], s[58:59]
	s_cbranch_execz .LBB162_984
; %bb.983:
	v_mov_b32_e32 v23, 0
	ds_read_b64 v[23:24], v23
	s_waitcnt lgkmcnt(0)
	v_mul_f32_e32 v25, v12, v24
	v_mul_f32_e32 v26, v11, v24
	v_fma_f32 v11, v11, v23, -v25
	v_fmac_f32_e32 v26, v12, v23
	v_xor_b32_e32 v23, 0x80000000, v11
	v_xor_b32_e32 v24, 0x80000000, v26
	v_mov_b32_e32 v12, v26
	ds_write_b64 v22, v[23:24]
.LBB162_984:
	s_or_b64 exec, exec, s[0:1]
	s_waitcnt lgkmcnt(0)
	s_barrier
	s_barrier
	s_and_saveexec_b64 s[0:1], s[8:9]
; %bb.985:
	v_lshlrev_b32_e32 v20, 3, v20
	v_lshl_or_b32 v20, v21, 9, v20
	ds_write_b64 v20, v[11:12] offset:4096
; %bb.986:
	s_or_b64 exec, exec, s[0:1]
	s_waitcnt lgkmcnt(0)
	s_barrier
	s_barrier
	s_and_saveexec_b64 s[0:1], s[86:87]
	s_cbranch_execz .LBB162_988
; %bb.987:
	v_lshlrev_b32_e32 v20, 9, v0
	ds_read_b64 v[11:12], v20 offset:4096
	s_movk_i32 s8, 0xfe08
	v_mad_i32_i24 v21, v0, s8, v20
	s_waitcnt lgkmcnt(0)
	ds_write_b64 v21, v[11:12] offset:64
	ds_read_b64 v[11:12], v20 offset:4104
	s_waitcnt lgkmcnt(0)
	ds_write_b64 v21, v[11:12] offset:576
	ds_read_b64 v[11:12], v20 offset:4112
	;; [unrolled: 3-line block ×7, first 2 shown]
	s_waitcnt lgkmcnt(0)
	ds_write_b64 v21, v[11:12] offset:3648
.LBB162_988:
	s_or_b64 exec, exec, s[0:1]
	s_waitcnt lgkmcnt(0)
	s_barrier
	s_and_saveexec_b64 s[0:1], vcc
	s_cbranch_execz .LBB162_990
; %bb.989:
	v_mov_b32_e32 v11, 0
	v_add_u32_e64 v12, 48, 0
	ds_read2st64_b64 v[20:23], v12 offset0:6 offset1:7
	ds_read_b64 v[11:12], v11 offset:3640
	s_movk_i32 s8, 0x800
	s_waitcnt lgkmcnt(0)
	v_mul_f32_e32 v24, v12, v21
	v_mul_f32_e32 v21, v11, v21
	v_fma_f32 v24, v11, v20, -v24
	v_fmac_f32_e32 v21, v12, v20
	v_mul_f32_e32 v11, v21, v23
	v_mul_f32_e32 v12, v24, v23
	v_fma_f32 v11, v24, v22, -v11
	v_fmac_f32_e32 v12, v21, v22
	v_add_u32_e64 v20, s8, 0
	ds_write2_b64 v20, v[11:12], v[11:12] offset0:135 offset1:198
.LBB162_990:
	s_or_b64 exec, exec, s[0:1]
	v_mov_b32_e32 v11, 0
	v_mov_b32_e32 v12, 0
	s_waitcnt lgkmcnt(0)
	s_barrier
	buffer_wbinvl1_vol
	s_and_saveexec_b64 s[0:1], s[2:3]
	s_cbranch_execz .LBB162_994
; %bb.991:
	v_lshlrev_b32_e32 v11, 3, v13
	v_lshlrev_b32_e32 v20, 9, v14
	ds_read_b64 v[11:12], v11 offset:3104
	ds_read_b64 v[20:21], v20 offset:3120
	v_cmp_gt_u32_e64 s[8:9], 2, v16
	s_waitcnt lgkmcnt(0)
	v_mul_f32_e32 v22, v21, v12
	v_mul_f32_e32 v12, v20, v12
	v_fma_f32 v20, v20, v11, -v22
	v_fmac_f32_e32 v12, v21, v11
	v_add_f32_e32 v11, 0, v20
	v_add_f32_e32 v12, 0, v12
	s_and_saveexec_b64 s[10:11], s[8:9]
	s_cbranch_execz .LBB162_993
; %bb.992:
	v_lshlrev_b32_e32 v20, 3, v0
	v_mov_b32_e32 v22, 0
	ds_read_b64 v[20:21], v20 offset:3616
	ds_read_b64 v[22:23], v22 offset:3640
	s_waitcnt lgkmcnt(0)
	v_mul_f32_e32 v24, v23, v21
	v_mul_f32_e32 v21, v22, v21
	v_fma_f32 v22, v22, v20, -v24
	v_fmac_f32_e32 v21, v23, v20
	v_add_f32_e32 v11, v11, v22
	v_add_f32_e32 v12, v12, v21
.LBB162_993:
	s_or_b64 exec, exec, s[10:11]
.LBB162_994:
	s_or_b64 exec, exec, s[0:1]
	s_and_saveexec_b64 s[0:1], s[40:41]
	s_cbranch_execz .LBB162_996
; %bb.995:
	v_mov_b32_e32 v20, 0
	ds_read_b64 v[20:21], v20 offset:2600
	s_waitcnt lgkmcnt(0)
	v_mul_f32_e32 v22, v12, v21
	v_mul_f32_e32 v23, v11, v21
	v_fma_f32 v11, v11, v20, -v22
	v_fmac_f32_e32 v23, v12, v20
	v_xor_b32_e32 v20, 0x80000000, v11
	v_xor_b32_e32 v21, 0x80000000, v23
	v_mov_b32_e32 v12, v23
	ds_write_b64 v15, v[20:21]
.LBB162_996:
	s_or_b64 exec, exec, s[0:1]
	s_waitcnt lgkmcnt(0)
	s_barrier
	s_and_saveexec_b64 s[0:1], s[38:39]
	s_cbranch_execz .LBB162_998
; %bb.997:
	v_mov_b32_e32 v20, 0
	ds_read_b64 v[20:21], v20 offset:2592
	ds_read_b64 v[22:23], v15
	s_waitcnt lgkmcnt(0)
	v_mul_f32_e32 v24, v23, v21
	v_mul_f32_e32 v21, v22, v21
	v_fma_f32 v22, v22, v20, -v24
	v_fmac_f32_e32 v21, v23, v20
	v_sub_f32_e32 v11, v11, v22
	v_sub_f32_e32 v12, v12, v21
.LBB162_998:
	s_or_b64 exec, exec, s[0:1]
	s_barrier
	s_and_saveexec_b64 s[0:1], s[38:39]
	s_cbranch_execz .LBB162_1000
; %bb.999:
	v_mov_b32_e32 v20, 0
	ds_read_b64 v[20:21], v20 offset:2080
	s_waitcnt lgkmcnt(0)
	v_mul_f32_e32 v22, v12, v21
	v_mul_f32_e32 v23, v11, v21
	v_fma_f32 v11, v11, v20, -v22
	v_fmac_f32_e32 v23, v12, v20
	v_xor_b32_e32 v20, 0x80000000, v11
	v_xor_b32_e32 v21, 0x80000000, v23
	v_mov_b32_e32 v12, v23
	ds_write_b64 v15, v[20:21]
.LBB162_1000:
	s_or_b64 exec, exec, s[0:1]
	s_waitcnt lgkmcnt(0)
	s_barrier
	s_barrier
	s_and_saveexec_b64 s[0:1], s[2:3]
; %bb.1001:
	v_lshlrev_b32_e32 v20, 3, v13
	v_lshl_or_b32 v20, v14, 9, v20
	ds_write_b64 v20, v[11:12] offset:3104
; %bb.1002:
	s_or_b64 exec, exec, s[0:1]
	s_waitcnt lgkmcnt(0)
	s_barrier
	s_barrier
	s_and_saveexec_b64 s[0:1], s[42:43]
	s_cbranch_execz .LBB162_1004
; %bb.1003:
	v_lshlrev_b32_e32 v20, 3, v0
	s_movk_i32 s8, 0x1f8
	v_mad_u32_u24 v21, v0, s8, v20
	ds_read_b64 v[11:12], v21 offset:3104
	s_waitcnt lgkmcnt(0)
	ds_write_b64 v20, v[11:12] offset:2096
	ds_read_b64 v[11:12], v21 offset:3112
	s_waitcnt lgkmcnt(0)
	ds_write_b64 v20, v[11:12] offset:2608
.LBB162_1004:
	s_or_b64 exec, exec, s[0:1]
	s_waitcnt lgkmcnt(0)
	s_barrier
	s_and_saveexec_b64 s[0:1], vcc
	s_cbranch_execz .LBB162_1006
; %bb.1005:
	v_mov_b32_e32 v11, 0
	v_add_u32_e64 v12, 32, 0
	ds_read2st64_b64 v[20:23], v12 offset0:4 offset1:5
	ds_read_b64 v[11:12], v11 offset:2600
	s_movk_i32 s8, 0x800
	s_waitcnt lgkmcnt(0)
	v_mul_f32_e32 v24, v12, v21
	v_mul_f32_e32 v21, v11, v21
	v_fma_f32 v24, v11, v20, -v24
	v_fmac_f32_e32 v21, v12, v20
	v_mul_f32_e32 v11, v21, v23
	v_mul_f32_e32 v12, v24, v23
	v_fma_f32 v11, v24, v22, -v11
	v_fmac_f32_e32 v12, v21, v22
	v_add_u32_e64 v20, s8, 0
	ds_write2_b64 v20, v[11:12], v[11:12] offset0:5 offset1:68
.LBB162_1006:
	s_or_b64 exec, exec, s[0:1]
	v_mov_b32_e32 v12, 0
	v_mov_b32_e32 v11, 0
	s_waitcnt lgkmcnt(0)
	s_barrier
	buffer_wbinvl1_vol
	s_and_saveexec_b64 s[0:1], s[18:19]
	s_cbranch_execz .LBB162_1012
; %bb.1007:
	v_lshlrev_b32_e32 v20, 3, v17
	v_lshlrev_b32_e32 v21, 9, v18
	ds_read_b64 v[11:12], v20 offset:2048
	ds_read_b64 v[22:23], v21 offset:2080
	v_cmp_gt_u32_e64 s[8:9], 12, v16
	s_waitcnt lgkmcnt(0)
	v_mul_f32_e32 v24, v23, v12
	v_mul_f32_e32 v12, v22, v12
	v_fma_f32 v22, v22, v11, -v24
	v_fmac_f32_e32 v12, v23, v11
	v_add_f32_e32 v11, 0, v22
	v_add_f32_e32 v12, 0, v12
	s_and_saveexec_b64 s[10:11], s[8:9]
	s_cbranch_execnz .LBB162_1173
; %bb.1008:
	s_or_b64 exec, exec, s[10:11]
	v_cmp_gt_u32_e64 s[8:9], 8, v16
	s_and_saveexec_b64 s[10:11], s[8:9]
	s_cbranch_execnz .LBB162_1174
.LBB162_1009:
	s_or_b64 exec, exec, s[10:11]
	v_cmp_gt_u32_e64 s[8:9], 4, v16
	s_and_saveexec_b64 s[10:11], s[8:9]
	s_cbranch_execz .LBB162_1011
.LBB162_1010:
	v_lshlrev_b32_e32 v20, 3, v0
	v_mov_b32_e32 v22, 0
	ds_read_b64 v[20:21], v20 offset:3584
	ds_read_b64 v[22:23], v22 offset:3640
	s_waitcnt lgkmcnt(0)
	v_mul_f32_e32 v24, v23, v21
	v_mul_f32_e32 v21, v22, v21
	v_fma_f32 v22, v22, v20, -v24
	v_fmac_f32_e32 v21, v23, v20
	v_add_f32_e32 v11, v11, v22
	v_add_f32_e32 v12, v12, v21
.LBB162_1011:
	s_or_b64 exec, exec, s[10:11]
.LBB162_1012:
	s_or_b64 exec, exec, s[0:1]
	s_and_saveexec_b64 s[0:1], s[46:47]
	s_cbranch_execz .LBB162_1014
; %bb.1013:
	v_mov_b32_e32 v20, 0
	ds_read_b64 v[20:21], v20 offset:1560
	s_waitcnt lgkmcnt(0)
	v_mul_f32_e32 v22, v12, v21
	v_mul_f32_e32 v23, v11, v21
	v_fma_f32 v11, v11, v20, -v22
	v_fmac_f32_e32 v23, v12, v20
	v_xor_b32_e32 v20, 0x80000000, v11
	v_xor_b32_e32 v21, 0x80000000, v23
	v_mov_b32_e32 v12, v23
	ds_write_b64 v19, v[20:21]
.LBB162_1014:
	s_or_b64 exec, exec, s[0:1]
	s_waitcnt lgkmcnt(0)
	s_barrier
	s_and_saveexec_b64 s[0:1], s[48:49]
	s_load_dwordx2 s[22:23], s[4:5], 0x28
	v_readlane_b32 s20, v38, 2
	v_readlane_b32 s46, v38, 0
	;; [unrolled: 1-line block ×5, first 2 shown]
	s_cbranch_execz .LBB162_1016
; %bb.1015:
	v_lshlrev_b32_e32 v20, 3, v17
	ds_read_b64 v[20:21], v20 offset:1536
	ds_read_b64 v[22:23], v19
	s_waitcnt lgkmcnt(0)
	v_mul_f32_e32 v24, v23, v21
	v_mul_f32_e32 v21, v22, v21
	v_fma_f32 v22, v22, v20, -v24
	v_fmac_f32_e32 v21, v23, v20
	v_sub_f32_e32 v11, v11, v22
	v_sub_f32_e32 v12, v12, v21
.LBB162_1016:
	s_or_b64 exec, exec, s[0:1]
	s_waitcnt lgkmcnt(0)
	s_barrier
	s_and_saveexec_b64 s[0:1], s[50:51]
	s_cbranch_execz .LBB162_1018
; %bb.1017:
	v_mov_b32_e32 v20, 0
	ds_read_b64 v[20:21], v20 offset:1040
	s_waitcnt lgkmcnt(0)
	v_mul_f32_e32 v22, v12, v21
	v_mul_f32_e32 v23, v11, v21
	v_fma_f32 v11, v11, v20, -v22
	v_fmac_f32_e32 v23, v12, v20
	v_xor_b32_e32 v20, 0x80000000, v11
	v_xor_b32_e32 v21, 0x80000000, v23
	v_mov_b32_e32 v12, v23
	ds_write_b64 v19, v[20:21]
.LBB162_1018:
	s_or_b64 exec, exec, s[0:1]
	s_waitcnt lgkmcnt(0)
	s_barrier
	s_and_saveexec_b64 s[0:1], s[52:53]
	s_cbranch_execz .LBB162_1020
; %bb.1019:
	v_lshlrev_b32_e32 v20, 3, v17
	ds_read_b64 v[20:21], v20 offset:1024
	ds_read_b64 v[22:23], v19
	s_waitcnt lgkmcnt(0)
	v_mul_f32_e32 v24, v23, v21
	v_mul_f32_e32 v21, v22, v21
	v_fma_f32 v22, v22, v20, -v24
	v_fmac_f32_e32 v21, v23, v20
	v_sub_f32_e32 v11, v11, v22
	v_sub_f32_e32 v12, v12, v21
.LBB162_1020:
	s_or_b64 exec, exec, s[0:1]
	s_barrier
	s_and_saveexec_b64 s[0:1], s[54:55]
	s_cbranch_execz .LBB162_1022
; %bb.1021:
	v_mov_b32_e32 v20, 0
	ds_read_b64 v[20:21], v20 offset:520
	s_waitcnt lgkmcnt(0)
	v_mul_f32_e32 v22, v12, v21
	v_mul_f32_e32 v23, v11, v21
	v_fma_f32 v11, v11, v20, -v22
	v_fmac_f32_e32 v23, v12, v20
	v_xor_b32_e32 v20, 0x80000000, v11
	v_xor_b32_e32 v21, 0x80000000, v23
	v_mov_b32_e32 v12, v23
	ds_write_b64 v19, v[20:21]
.LBB162_1022:
	s_or_b64 exec, exec, s[0:1]
	s_waitcnt lgkmcnt(0)
	s_barrier
	s_and_saveexec_b64 s[0:1], s[44:45]
	s_cbranch_execz .LBB162_1024
; %bb.1023:
	v_mov_b32_e32 v20, 0
	ds_read_b64 v[20:21], v20 offset:512
	ds_read_b64 v[22:23], v19
	s_waitcnt lgkmcnt(0)
	v_mul_f32_e32 v24, v23, v21
	v_mul_f32_e32 v21, v22, v21
	v_fma_f32 v22, v22, v20, -v24
	v_fmac_f32_e32 v21, v23, v20
	v_sub_f32_e32 v11, v11, v22
	v_sub_f32_e32 v12, v12, v21
.LBB162_1024:
	s_or_b64 exec, exec, s[0:1]
	s_barrier
	s_and_saveexec_b64 s[0:1], s[44:45]
	s_cbranch_execz .LBB162_1026
; %bb.1025:
	v_mov_b32_e32 v20, 0
	ds_read_b64 v[20:21], v20
	s_waitcnt lgkmcnt(0)
	v_mul_f32_e32 v22, v12, v21
	v_mul_f32_e32 v23, v11, v21
	v_fma_f32 v11, v11, v20, -v22
	v_fmac_f32_e32 v23, v12, v20
	v_xor_b32_e32 v20, 0x80000000, v11
	v_xor_b32_e32 v21, 0x80000000, v23
	v_mov_b32_e32 v12, v23
	ds_write_b64 v19, v[20:21]
.LBB162_1026:
	s_or_b64 exec, exec, s[0:1]
	s_waitcnt lgkmcnt(0)
	s_barrier
	s_barrier
	s_and_saveexec_b64 s[0:1], s[18:19]
; %bb.1027:
	v_lshlrev_b32_e32 v17, 3, v17
	v_lshl_or_b32 v17, v18, 9, v17
	ds_write_b64 v17, v[11:12] offset:2048
; %bb.1028:
	s_or_b64 exec, exec, s[0:1]
	s_waitcnt lgkmcnt(0)
	s_barrier
	s_barrier
	s_and_saveexec_b64 s[0:1], s[56:57]
	s_cbranch_execz .LBB162_1030
; %bb.1029:
	v_lshlrev_b32_e32 v17, 9, v0
	ds_read_b64 v[11:12], v17 offset:2048
	s_movk_i32 s8, 0xfe08
	v_mad_i32_i24 v18, v0, s8, v17
	s_waitcnt lgkmcnt(0)
	ds_write_b64 v18, v[11:12] offset:32
	ds_read_b64 v[11:12], v17 offset:2056
	s_waitcnt lgkmcnt(0)
	ds_write_b64 v18, v[11:12] offset:544
	ds_read_b64 v[11:12], v17 offset:2064
	;; [unrolled: 3-line block ×3, first 2 shown]
	s_waitcnt lgkmcnt(0)
	ds_write_b64 v18, v[11:12] offset:1568
.LBB162_1030:
	s_or_b64 exec, exec, s[0:1]
	s_waitcnt lgkmcnt(0)
	s_barrier
	s_and_saveexec_b64 s[0:1], vcc
	s_cbranch_execz .LBB162_1032
; %bb.1031:
	v_mov_b32_e32 v21, 0
	ds_read2_b64 v[17:20], v21 offset0:130 offset1:194
	ds_read_b64 v[11:12], v21 offset:1560
	s_waitcnt lgkmcnt(0)
	v_mul_f32_e32 v22, v12, v18
	v_mul_f32_e32 v18, v11, v18
	v_fma_f32 v11, v11, v17, -v22
	v_fmac_f32_e32 v18, v12, v17
	v_mul_f32_e32 v17, v18, v20
	v_mul_f32_e32 v12, v11, v20
	v_fma_f32 v11, v11, v19, -v17
	v_fmac_f32_e32 v12, v18, v19
	ds_write2_b64 v21, v[11:12], v[11:12] offset0:131 offset1:194
.LBB162_1032:
	s_or_b64 exec, exec, s[0:1]
	v_mov_b32_e32 v11, 0
	v_mov_b32_e32 v12, 0
	s_waitcnt lgkmcnt(0)
	s_barrier
	buffer_wbinvl1_vol
	s_and_saveexec_b64 s[0:1], s[2:3]
	s_cbranch_execz .LBB162_1036
; %bb.1033:
	v_lshlrev_b32_e32 v11, 3, v13
	v_lshlrev_b32_e32 v17, 9, v14
	ds_read_b64 v[11:12], v11 offset:1024
	ds_read_b64 v[17:18], v17 offset:1040
	v_cmp_gt_u32_e64 s[8:9], 2, v16
	s_waitcnt lgkmcnt(0)
	v_mul_f32_e32 v19, v18, v12
	v_mul_f32_e32 v12, v17, v12
	v_fma_f32 v17, v17, v11, -v19
	v_fmac_f32_e32 v12, v18, v11
	v_add_f32_e32 v11, 0, v17
	v_add_f32_e32 v12, 0, v12
	s_and_saveexec_b64 s[10:11], s[8:9]
	s_cbranch_execz .LBB162_1035
; %bb.1034:
	v_lshlrev_b32_e32 v16, 3, v0
	v_mov_b32_e32 v18, 0
	ds_read_b64 v[16:17], v16 offset:1536
	ds_read_b64 v[18:19], v18 offset:1560
	s_waitcnt lgkmcnt(0)
	v_mul_f32_e32 v20, v19, v17
	v_mul_f32_e32 v17, v18, v17
	v_fma_f32 v18, v18, v16, -v20
	v_fmac_f32_e32 v17, v19, v16
	v_add_f32_e32 v11, v11, v18
	v_add_f32_e32 v12, v12, v17
.LBB162_1035:
	s_or_b64 exec, exec, s[10:11]
.LBB162_1036:
	s_or_b64 exec, exec, s[0:1]
	s_and_saveexec_b64 s[0:1], s[40:41]
	s_cbranch_execz .LBB162_1038
; %bb.1037:
	v_mov_b32_e32 v16, 0
	ds_read_b64 v[16:17], v16 offset:520
	s_waitcnt lgkmcnt(0)
	v_mul_f32_e32 v18, v12, v17
	v_mul_f32_e32 v19, v11, v17
	v_fma_f32 v11, v11, v16, -v18
	v_fmac_f32_e32 v19, v12, v16
	v_xor_b32_e32 v16, 0x80000000, v11
	v_xor_b32_e32 v17, 0x80000000, v19
	v_mov_b32_e32 v12, v19
	ds_write_b64 v15, v[16:17]
.LBB162_1038:
	s_or_b64 exec, exec, s[0:1]
	s_waitcnt lgkmcnt(0)
	s_barrier
	s_and_saveexec_b64 s[0:1], s[38:39]
	s_cbranch_execz .LBB162_1040
; %bb.1039:
	v_mov_b32_e32 v16, 0
	ds_read_b64 v[16:17], v16 offset:512
	ds_read_b64 v[18:19], v15
	s_waitcnt lgkmcnt(0)
	v_mul_f32_e32 v20, v19, v17
	v_mul_f32_e32 v17, v18, v17
	v_fma_f32 v18, v18, v16, -v20
	v_fmac_f32_e32 v17, v19, v16
	v_sub_f32_e32 v11, v11, v18
	v_sub_f32_e32 v12, v12, v17
.LBB162_1040:
	s_or_b64 exec, exec, s[0:1]
	s_barrier
	s_and_saveexec_b64 s[0:1], s[38:39]
	s_cbranch_execz .LBB162_1042
; %bb.1041:
	v_mov_b32_e32 v16, 0
	ds_read_b64 v[16:17], v16
	s_waitcnt lgkmcnt(0)
	v_mul_f32_e32 v18, v12, v17
	v_mul_f32_e32 v19, v11, v17
	v_fma_f32 v11, v11, v16, -v18
	v_fmac_f32_e32 v19, v12, v16
	v_xor_b32_e32 v16, 0x80000000, v11
	v_xor_b32_e32 v17, 0x80000000, v19
	v_mov_b32_e32 v12, v19
	ds_write_b64 v15, v[16:17]
.LBB162_1042:
	s_or_b64 exec, exec, s[0:1]
	s_waitcnt lgkmcnt(0)
	s_barrier
	s_barrier
	s_and_saveexec_b64 s[0:1], s[2:3]
; %bb.1043:
	v_lshlrev_b32_e32 v13, 3, v13
	v_lshl_or_b32 v13, v14, 9, v13
	ds_write_b64 v13, v[11:12] offset:1024
; %bb.1044:
	s_or_b64 exec, exec, s[0:1]
	s_waitcnt lgkmcnt(0)
	s_barrier
	s_barrier
	s_and_saveexec_b64 s[0:1], s[42:43]
	s_cbranch_execz .LBB162_1046
; %bb.1045:
	v_lshlrev_b32_e32 v13, 3, v0
	s_movk_i32 s2, 0x1f8
	v_mad_u32_u24 v14, v0, s2, v13
	ds_read_b64 v[11:12], v14 offset:1024
	s_waitcnt lgkmcnt(0)
	ds_write_b64 v13, v[11:12] offset:16
	ds_read_b64 v[11:12], v14 offset:1032
	s_waitcnt lgkmcnt(0)
	ds_write_b64 v13, v[11:12] offset:528
.LBB162_1046:
	s_or_b64 exec, exec, s[0:1]
	s_waitcnt lgkmcnt(0)
	s_barrier
	s_and_saveexec_b64 s[0:1], vcc
	s_cbranch_execz .LBB162_1048
; %bb.1047:
	v_mov_b32_e32 v17, 0
	ds_read2st64_b64 v[11:14], v17 offset1:1
	ds_read_b64 v[15:16], v17 offset:520
	s_waitcnt lgkmcnt(0)
	v_mul_f32_e32 v18, v16, v12
	v_mul_f32_e32 v19, v15, v12
	v_fma_f32 v15, v15, v11, -v18
	v_fmac_f32_e32 v19, v16, v11
	v_mul_f32_e32 v11, v19, v14
	v_mul_f32_e32 v12, v15, v14
	v_fma_f32 v11, v15, v13, -v11
	v_fmac_f32_e32 v12, v19, v13
	ds_write2_b64 v17, v[11:12], v[11:12] offset0:1 offset1:64
.LBB162_1048:
	s_or_b64 exec, exec, s[0:1]
.LBB162_1049:
	s_load_dwordx4 s[0:3], s[4:5], 0x30
	v_cmp_le_i32_e32 vcc, s92, v0
	v_mov_b32_e32 v11, 0
	v_add_u32_e32 v13, s33, v0
	v_mov_b32_e32 v12, 0
	s_waitcnt lgkmcnt(0)
	s_lshl_b64 s[0:1], s[2:3], 3
	s_add_u32 s20, s20, s0
	s_addc_u32 s21, s21, s1
	s_and_b64 s[14:15], vcc, s[28:29]
	v_cmp_eq_u32_e64 s[2:3], 0, v2
	s_xor_b64 s[0:1], s[14:15], -1
	s_and_b64 s[8:9], s[2:3], s[0:1]
	s_barrier
	s_and_saveexec_b64 s[0:1], s[8:9]
	s_cbranch_execz .LBB162_1051
; %bb.1050:
	v_ashrrev_i32_e32 v14, 31, v13
	v_mul_lo_u32 v15, s27, v13
	v_mad_u64_u32 v[11:12], s[8:9], s26, v13, 0
	v_mul_lo_u32 v14, s26, v14
	v_add3_u32 v12, v12, v14, v15
	v_lshlrev_b64 v[11:12], 3, v[11:12]
	v_mov_b32_e32 v14, s21
	v_add_co_u32_e32 v11, vcc, s20, v11
	v_addc_co_u32_e32 v12, vcc, v14, v12, vcc
	flat_load_dwordx2 v[14:15], v[11:12]
	s_waitcnt vmcnt(0) lgkmcnt(0)
	v_mul_f32_e32 v11, s22, v14
	v_mul_f32_e32 v12, s22, v15
	v_fma_f32 v11, s23, v15, -v11
	v_fma_f32 v12, v14, -s23, -v12
.LBB162_1051:
	s_or_b64 exec, exec, s[0:1]
	s_load_dwordx2 s[0:1], s[4:5], 0x50
	s_and_b32 s4, 0xffff, s95
	v_mad_u32_u24 v17, v2, s4, v0
	s_cmp_lt_i32 s6, 1
	v_cmp_eq_u32_e64 s[4:5], 0, v17
	s_cbranch_scc1 .LBB162_1086
; %bb.1052:
	v_mad_u64_u32 v[14:15], s[8:9], s30, v13, 0
	s_mov_b32 s22, 0
	v_cmp_gt_u32_e64 s[12:13], 64, v17
	v_mad_u64_u32 v[15:16], s[8:9], s31, v13, v[15:16]
	s_lshl_b64 s[8:9], s[24:25], 2
	s_waitcnt lgkmcnt(0)
	s_add_u32 s16, s0, s8
	s_addc_u32 s17, s1, s9
	v_cmp_gt_i32_e64 s[8:9], s7, v13
	v_lshlrev_b64 v[13:14], 3, v[14:15]
	v_mov_b32_e32 v16, 0xa000
	v_mov_b32_e32 v15, s94
	v_add_co_u32_e32 v20, vcc, s93, v13
	v_lshl_add_u32 v18, v17, 3, v16
	v_lshl_or_b32 v19, v2, 3, v16
	s_add_i32 s23, s6, -1
	v_addc_co_u32_e32 v21, vcc, v15, v14, vcc
	v_mov_b32_e32 v22, -1
	v_mov_b32_e32 v14, 0
	s_branch .LBB162_1055
.LBB162_1053:                           ;   in Loop: Header=BB162_1055 Depth=1
	ds_read_b64 v[15:16], v19 offset:384
	s_waitcnt vmcnt(0) lgkmcnt(0)
	v_mul_f32_e32 v24, v23, v16
	v_mul_f32_e32 v23, v23, v15
	v_fmac_f32_e32 v24, v13, v15
	v_fma_f32 v13, v13, v16, -v23
	v_add_f32_e32 v11, v11, v24
	v_add_f32_e32 v12, v12, v13
.LBB162_1054:                           ;   in Loop: Header=BB162_1055 Depth=1
	s_or_b64 exec, exec, s[18:19]
	s_add_i32 s22, s22, 1
	s_cmp_eq_u32 s22, s6
	s_cbranch_scc1 .LBB162_1086
.LBB162_1055:                           ; =>This Loop Header: Depth=1
                                        ;     Child Loop BB162_1057 Depth 2
	v_cmp_gt_i32_e32 vcc, s22, v22
	s_and_b64 s[18:19], s[4:5], vcc
	s_and_saveexec_b64 s[10:11], s[18:19]
	s_cbranch_execz .LBB162_1058
; %bb.1056:                             ;   in Loop: Header=BB162_1055 Depth=1
	global_load_dword v22, v14, s[16:17]
	s_waitcnt vmcnt(0)
	v_cmp_le_i32_e32 vcc, s22, v22
	s_cbranch_vccnz .LBB162_1058
.LBB162_1057:                           ;   Parent Loop BB162_1055 Depth=1
                                        ; =>  This Inner Loop Header: Depth=2
	buffer_wbinvl1_vol
	global_load_dword v22, v14, s[16:17]
	s_waitcnt vmcnt(0)
	v_cmp_gt_i32_e32 vcc, s22, v22
	s_cbranch_vccnz .LBB162_1057
.LBB162_1058:                           ;   in Loop: Header=BB162_1055 Depth=1
	s_or_b64 exec, exec, s[10:11]
	s_lshl_b32 s30, s22, 6
	buffer_wbinvl1_vol
	s_barrier
	s_and_saveexec_b64 s[10:11], s[12:13]
	s_cbranch_execz .LBB162_1063
; %bb.1059:                             ;   in Loop: Header=BB162_1055 Depth=1
	v_or_b32_e32 v13, s30, v17
	v_cmp_le_i32_e32 vcc, s7, v13
	s_and_saveexec_b64 s[18:19], vcc
	s_xor_b64 s[18:19], exec, s[18:19]
; %bb.1060:                             ;   in Loop: Header=BB162_1055 Depth=1
	v_mov_b32_e32 v13, v14
	ds_write_b64 v18, v[13:14]
                                        ; implicit-def: $vgpr13
; %bb.1061:                             ;   in Loop: Header=BB162_1055 Depth=1
	s_andn2_saveexec_b64 s[18:19], s[18:19]
	s_cbranch_execz .LBB162_1063
; %bb.1062:                             ;   in Loop: Header=BB162_1055 Depth=1
	v_mad_u64_u32 v[15:16], s[18:19], s26, v13, 0
	v_mad_u64_u32 v[23:24], s[18:19], s27, v13, v[16:17]
	v_mov_b32_e32 v13, s21
	v_mov_b32_e32 v16, v23
	v_lshlrev_b64 v[15:16], 3, v[15:16]
	v_add_co_u32_e32 v15, vcc, s20, v15
	v_addc_co_u32_e32 v16, vcc, v13, v16, vcc
	flat_load_dwordx2 v[15:16], v[15:16]
	s_waitcnt vmcnt(0) lgkmcnt(0)
	ds_write_b64 v18, v[15:16]
.LBB162_1063:                           ;   in Loop: Header=BB162_1055 Depth=1
	s_or_b64 exec, exec, s[10:11]
	v_add_u32_e32 v13, s30, v2
	v_lshlrev_b64 v[15:16], 3, v[13:14]
	s_cmp_lg_u32 s22, s23
	v_add_co_u32_e32 v15, vcc, v20, v15
	s_cselect_b64 s[10:11], -1, 0
	v_addc_co_u32_e32 v16, vcc, v21, v16, vcc
	v_cmp_gt_i32_e32 vcc, s7, v13
	v_cndmask_b32_e64 v23, 0, 1, s[10:11]
	s_and_b64 s[30:31], vcc, s[8:9]
	v_cmp_ne_u32_e64 s[10:11], 1, v23
	s_waitcnt lgkmcnt(0)
	s_barrier
	s_and_saveexec_b64 s[18:19], s[30:31]
	s_cbranch_execz .LBB162_1069
; %bb.1064:                             ;   in Loop: Header=BB162_1055 Depth=1
	s_and_b64 vcc, exec, s[10:11]
	v_mov_b32_e32 v23, v5
	s_cbranch_vccnz .LBB162_1066
; %bb.1065:                             ;   in Loop: Header=BB162_1055 Depth=1
	flat_load_dword v23, v[15:16]
.LBB162_1066:                           ;   in Loop: Header=BB162_1055 Depth=1
	s_and_b64 vcc, exec, s[10:11]
	v_mov_b32_e32 v24, v6
	s_cbranch_vccnz .LBB162_1068
; %bb.1067:                             ;   in Loop: Header=BB162_1055 Depth=1
	flat_load_dword v24, v[15:16] offset:4
.LBB162_1068:                           ;   in Loop: Header=BB162_1055 Depth=1
	ds_read_b64 v[25:26], v19
	s_waitcnt vmcnt(0) lgkmcnt(0)
	v_mul_f32_e32 v27, v24, v26
	v_mul_f32_e32 v24, v24, v25
	v_fmac_f32_e32 v27, v23, v25
	v_fma_f32 v23, v23, v26, -v24
	v_add_f32_e32 v11, v11, v27
	v_add_f32_e32 v12, v12, v23
.LBB162_1069:                           ;   in Loop: Header=BB162_1055 Depth=1
	s_or_b64 exec, exec, s[18:19]
	v_add_u32_e32 v23, 16, v13
	v_cmp_gt_i32_e32 vcc, s7, v23
	s_and_b64 s[30:31], vcc, s[8:9]
	s_and_saveexec_b64 s[18:19], s[30:31]
	s_cbranch_execz .LBB162_1075
; %bb.1070:                             ;   in Loop: Header=BB162_1055 Depth=1
	s_and_b64 vcc, exec, s[10:11]
	v_mov_b32_e32 v23, v3
	s_cbranch_vccnz .LBB162_1072
; %bb.1071:                             ;   in Loop: Header=BB162_1055 Depth=1
	flat_load_dword v23, v[15:16] offset:128
.LBB162_1072:                           ;   in Loop: Header=BB162_1055 Depth=1
	s_and_b64 vcc, exec, s[10:11]
	v_mov_b32_e32 v24, v4
	s_cbranch_vccnz .LBB162_1074
; %bb.1073:                             ;   in Loop: Header=BB162_1055 Depth=1
	flat_load_dword v24, v[15:16] offset:132
.LBB162_1074:                           ;   in Loop: Header=BB162_1055 Depth=1
	ds_read_b64 v[25:26], v19 offset:128
	s_waitcnt vmcnt(0) lgkmcnt(0)
	v_mul_f32_e32 v27, v24, v26
	v_mul_f32_e32 v24, v24, v25
	v_fmac_f32_e32 v27, v23, v25
	v_fma_f32 v23, v23, v26, -v24
	v_add_f32_e32 v11, v11, v27
	v_add_f32_e32 v12, v12, v23
.LBB162_1075:                           ;   in Loop: Header=BB162_1055 Depth=1
	s_or_b64 exec, exec, s[18:19]
	v_add_u32_e32 v23, 32, v13
	v_cmp_gt_i32_e32 vcc, s7, v23
	s_and_b64 s[30:31], vcc, s[8:9]
	s_and_saveexec_b64 s[18:19], s[30:31]
	s_cbranch_execz .LBB162_1081
; %bb.1076:                             ;   in Loop: Header=BB162_1055 Depth=1
	s_and_b64 vcc, exec, s[10:11]
	v_mov_b32_e32 v23, v9
	s_cbranch_vccnz .LBB162_1078
; %bb.1077:                             ;   in Loop: Header=BB162_1055 Depth=1
	flat_load_dword v23, v[15:16] offset:256
.LBB162_1078:                           ;   in Loop: Header=BB162_1055 Depth=1
	s_and_b64 vcc, exec, s[10:11]
	v_mov_b32_e32 v24, v10
	s_cbranch_vccnz .LBB162_1080
; %bb.1079:                             ;   in Loop: Header=BB162_1055 Depth=1
	flat_load_dword v24, v[15:16] offset:260
.LBB162_1080:                           ;   in Loop: Header=BB162_1055 Depth=1
	ds_read_b64 v[25:26], v19 offset:256
	s_waitcnt vmcnt(0) lgkmcnt(0)
	v_mul_f32_e32 v27, v24, v26
	v_mul_f32_e32 v24, v24, v25
	v_fmac_f32_e32 v27, v23, v25
	v_fma_f32 v23, v23, v26, -v24
	v_add_f32_e32 v11, v11, v27
	v_add_f32_e32 v12, v12, v23
.LBB162_1081:                           ;   in Loop: Header=BB162_1055 Depth=1
	s_or_b64 exec, exec, s[18:19]
	v_add_u32_e32 v13, 48, v13
	v_cmp_gt_i32_e32 vcc, s7, v13
	s_and_b64 s[30:31], vcc, s[8:9]
	s_and_saveexec_b64 s[18:19], s[30:31]
	s_cbranch_execz .LBB162_1054
; %bb.1082:                             ;   in Loop: Header=BB162_1055 Depth=1
	s_and_b64 vcc, exec, s[10:11]
	v_mov_b32_e32 v13, v7
	s_cbranch_vccnz .LBB162_1084
; %bb.1083:                             ;   in Loop: Header=BB162_1055 Depth=1
	flat_load_dword v13, v[15:16] offset:384
.LBB162_1084:                           ;   in Loop: Header=BB162_1055 Depth=1
	s_and_b64 vcc, exec, s[10:11]
	v_mov_b32_e32 v23, v8
	s_cbranch_vccnz .LBB162_1053
; %bb.1085:                             ;   in Loop: Header=BB162_1055 Depth=1
	flat_load_dword v23, v[15:16] offset:388
	s_branch .LBB162_1053
.LBB162_1086:
	s_xor_b64 s[4:5], s[28:29], -1
	v_lshlrev_b32_e32 v1, 3, v1
	ds_write_b64 v1, v[11:12] offset:32768
	s_waitcnt lgkmcnt(0)
	s_barrier
	s_and_saveexec_b64 s[6:7], s[2:3]
	s_cbranch_execz .LBB162_1088
; %bb.1087:
	v_lshlrev_b32_e32 v15, 3, v0
	ds_read2st64_b64 v[3:6], v15 offset0:65 offset1:66
	ds_read2st64_b64 v[7:10], v15 offset0:67 offset1:68
	ds_read_b64 v[13:14], v15 offset:40448
	s_waitcnt lgkmcnt(2)
	v_add_f32_e32 v3, v11, v3
	v_add_f32_e32 v4, v12, v4
	;; [unrolled: 1-line block ×4, first 2 shown]
	ds_read2st64_b64 v[3:6], v15 offset0:69 offset1:70
	s_waitcnt lgkmcnt(2)
	v_add_f32_e32 v7, v11, v7
	v_add_f32_e32 v8, v12, v8
	;; [unrolled: 1-line block ×4, first 2 shown]
	s_waitcnt lgkmcnt(0)
	v_add_f32_e32 v3, v7, v3
	ds_read2st64_b64 v[7:10], v15 offset0:71 offset1:72
	v_add_f32_e32 v4, v11, v4
	v_add_f32_e32 v11, v3, v5
	;; [unrolled: 1-line block ×3, first 2 shown]
	ds_read2st64_b64 v[3:6], v15 offset0:73 offset1:74
	s_waitcnt lgkmcnt(1)
	v_add_f32_e32 v7, v11, v7
	v_add_f32_e32 v8, v12, v8
	;; [unrolled: 1-line block ×4, first 2 shown]
	s_waitcnt lgkmcnt(0)
	v_add_f32_e32 v3, v7, v3
	ds_read2st64_b64 v[7:10], v15 offset0:75 offset1:76
	v_add_f32_e32 v4, v11, v4
	v_add_f32_e32 v11, v3, v5
	;; [unrolled: 1-line block ×3, first 2 shown]
	ds_read2st64_b64 v[3:6], v15 offset0:77 offset1:78
	s_waitcnt lgkmcnt(1)
	v_add_f32_e32 v7, v11, v7
	v_add_f32_e32 v8, v12, v8
	;; [unrolled: 1-line block ×4, first 2 shown]
	s_waitcnt lgkmcnt(0)
	v_add_f32_e32 v3, v7, v3
	v_add_f32_e32 v4, v8, v4
	;; [unrolled: 1-line block ×6, first 2 shown]
	v_cndmask_b32_e64 v11, -v3, 0, s[14:15]
	v_cndmask_b32_e64 v12, -v4, 0, s[14:15]
.LBB162_1088:
	s_or_b64 exec, exec, s[6:7]
	s_and_b64 vcc, exec, s[46:47]
	s_cbranch_vccnz .LBB162_1101
; %bb.1089:
	v_mov_b32_e32 v3, 0xa000
	v_lshl_or_b32 v5, v2, 3, v3
	s_and_saveexec_b64 s[6:7], s[2:3]
; %bb.1090:
	v_lshl_add_u32 v3, v0, 3, v5
	ds_write_b64 v3, v[11:12]
; %bb.1091:
	s_or_b64 exec, exec, s[6:7]
	v_cmp_le_u32_e32 vcc, v2, v0
	v_mov_b32_e32 v3, 0
	v_mov_b32_e32 v4, 0
	s_waitcnt lgkmcnt(0)
	s_barrier
	s_and_saveexec_b64 s[6:7], vcc
	s_cbranch_execz .LBB162_1093
; %bb.1092:
	ds_read_b64 v[3:4], v1
	ds_read_b64 v[6:7], v5
	s_waitcnt lgkmcnt(0)
	v_mul_f32_e32 v8, v7, v4
	v_mul_f32_e32 v4, v6, v4
	v_fma_f32 v6, v6, v3, -v8
	v_fmac_f32_e32 v4, v7, v3
	v_add_f32_e32 v3, 0, v6
	v_add_f32_e32 v4, 0, v4
.LBB162_1093:
	s_or_b64 exec, exec, s[6:7]
	v_add_u32_e32 v6, 16, v2
	v_cmp_ge_u32_e32 vcc, v0, v6
	s_and_saveexec_b64 s[6:7], vcc
	s_cbranch_execz .LBB162_1095
; %bb.1094:
	ds_read_b64 v[6:7], v1 offset:8192
	ds_read_b64 v[8:9], v5 offset:128
	s_waitcnt lgkmcnt(0)
	v_mul_f32_e32 v10, v9, v7
	v_mul_f32_e32 v7, v8, v7
	v_fma_f32 v8, v8, v6, -v10
	v_fmac_f32_e32 v7, v9, v6
	v_add_f32_e32 v3, v3, v8
	v_add_f32_e32 v4, v4, v7
.LBB162_1095:
	s_or_b64 exec, exec, s[6:7]
	v_add_u32_e32 v6, 32, v2
	v_cmp_ge_u32_e32 vcc, v0, v6
	s_and_saveexec_b64 s[6:7], vcc
	s_cbranch_execz .LBB162_1097
; %bb.1096:
	ds_read_b64 v[6:7], v1 offset:16384
	ds_read_b64 v[8:9], v5 offset:256
	s_waitcnt lgkmcnt(0)
	v_mul_f32_e32 v10, v9, v7
	v_mul_f32_e32 v7, v8, v7
	v_fma_f32 v8, v8, v6, -v10
	v_fmac_f32_e32 v7, v9, v6
	v_add_f32_e32 v3, v3, v8
	v_add_f32_e32 v4, v4, v7
.LBB162_1097:
	s_or_b64 exec, exec, s[6:7]
	v_add_u32_e32 v2, 48, v2
	v_add_u32_e32 v6, 0x8000, v1
	v_cmp_ge_u32_e32 vcc, v0, v2
	s_and_saveexec_b64 s[6:7], vcc
	s_cbranch_execz .LBB162_1099
; %bb.1098:
	ds_read_b64 v[1:2], v1 offset:24576
	ds_read_b64 v[7:8], v5 offset:384
	s_waitcnt lgkmcnt(0)
	v_mul_f32_e32 v5, v8, v2
	v_mul_f32_e32 v2, v7, v2
	v_fma_f32 v5, v7, v1, -v5
	v_fmac_f32_e32 v2, v8, v1
	v_add_f32_e32 v3, v3, v5
	v_add_f32_e32 v4, v4, v2
.LBB162_1099:
	s_or_b64 exec, exec, s[6:7]
	s_mov_b64 s[8:9], 0
	s_mov_b64 s[6:7], 0
	ds_write_b64 v6, v[3:4]
	s_waitcnt lgkmcnt(0)
	s_barrier
                                        ; implicit-def: $vgpr5
                                        ; implicit-def: $vgpr6
                                        ; implicit-def: $vgpr1_vgpr2
	s_and_saveexec_b64 s[10:11], s[2:3]
	s_cbranch_execz .LBB162_1114
; %bb.1100:
	v_lshlrev_b32_e32 v18, 3, v0
	ds_read2st64_b64 v[5:8], v18 offset0:65 offset1:66
	ds_read2st64_b64 v[13:16], v18 offset0:67 offset1:68
	ds_read_b64 v[9:10], v18 offset:40448
	s_mov_b64 s[6:7], exec
	s_waitcnt lgkmcnt(2)
	v_add_f32_e32 v1, v3, v5
	v_add_f32_e32 v2, v4, v6
	;; [unrolled: 1-line block ×4, first 2 shown]
	ds_read2st64_b64 v[1:4], v18 offset0:69 offset1:70
	s_waitcnt lgkmcnt(2)
	v_add_f32_e32 v5, v5, v13
	v_add_f32_e32 v6, v6, v14
	;; [unrolled: 1-line block ×4, first 2 shown]
	s_waitcnt lgkmcnt(0)
	v_add_f32_e32 v1, v5, v1
	ds_read2st64_b64 v[5:8], v18 offset0:71 offset1:72
	v_add_f32_e32 v2, v13, v2
	v_add_f32_e32 v13, v1, v3
	;; [unrolled: 1-line block ×3, first 2 shown]
	ds_read2st64_b64 v[1:4], v18 offset0:73 offset1:74
	s_waitcnt lgkmcnt(1)
	v_add_f32_e32 v5, v13, v5
	v_add_f32_e32 v6, v14, v6
	;; [unrolled: 1-line block ×4, first 2 shown]
	s_waitcnt lgkmcnt(0)
	v_add_f32_e32 v1, v5, v1
	ds_read2st64_b64 v[5:8], v18 offset0:75 offset1:76
	v_add_f32_e32 v2, v13, v2
	v_add_f32_e32 v1, v1, v3
	;; [unrolled: 1-line block ×3, first 2 shown]
	ds_read2st64_b64 v[13:16], v18 offset0:77 offset1:78
	s_waitcnt lgkmcnt(1)
	v_add_f32_e32 v1, v1, v5
	v_add_f32_e32 v2, v2, v6
	v_add_u32_e32 v5, s33, v17
	v_add_f32_e32 v3, v1, v7
	v_add_f32_e32 v4, v2, v8
	v_mad_u64_u32 v[1:2], s[12:13], s26, v5, 0
	s_waitcnt lgkmcnt(0)
	v_add_f32_e32 v3, v3, v13
	v_add_f32_e32 v6, v3, v15
	v_mad_u64_u32 v[2:3], s[12:13], s27, v5, v[2:3]
	v_add_f32_e32 v4, v4, v14
	v_add_f32_e32 v3, v4, v16
	;; [unrolled: 1-line block ×4, first 2 shown]
	s_or_b64 exec, exec, s[10:11]
	s_and_b64 vcc, exec, s[8:9]
	s_cbranch_vccnz .LBB162_1102
	s_branch .LBB162_1115
.LBB162_1101:
	s_mov_b64 s[6:7], 0
                                        ; implicit-def: $vgpr5
                                        ; implicit-def: $vgpr6
                                        ; implicit-def: $vgpr1_vgpr2
	s_cbranch_execz .LBB162_1115
.LBB162_1102:
	v_mul_u32_u24_e32 v1, 0x208, v0
	v_lshlrev_b32_e32 v2, 9, v0
	v_sub_u32_e32 v2, v1, v2
	s_mov_b32 s10, 0
	v_mov_b32_e32 v3, 0
	v_mov_b32_e32 v4, v0
	s_branch .LBB162_1104
.LBB162_1103:                           ;   in Loop: Header=BB162_1104 Depth=1
	s_or_b64 exec, exec, s[8:9]
	s_add_i32 s10, s10, 2
	v_add_u32_e32 v2, 0x400, v2
	s_cmp_lg_u32 s10, 64
	v_add_u32_e32 v4, -2, v4
	s_barrier
	s_cbranch_scc0 .LBB162_1112
.LBB162_1104:                           ; =>This Inner Loop Header: Depth=1
	v_cmp_eq_u32_e32 vcc, 0, v4
	s_and_b64 s[12:13], s[2:3], vcc
	s_and_saveexec_b64 s[8:9], s[12:13]
	s_cbranch_execz .LBB162_1106
; %bb.1105:                             ;   in Loop: Header=BB162_1104 Depth=1
	ds_read_b64 v[5:6], v1
	s_waitcnt lgkmcnt(0)
	v_mul_f32_e32 v8, v12, v6
	v_mul_f32_e32 v7, v11, v6
	v_fma_f32 v6, v11, v5, -v8
	v_fmac_f32_e32 v7, v12, v5
	v_mov_b32_e32 v11, v6
	v_mov_b32_e32 v12, v7
	ds_write_b64 v3, v[6:7] offset:41472
.LBB162_1106:                           ;   in Loop: Header=BB162_1104 Depth=1
	s_or_b64 exec, exec, s[8:9]
	v_cmp_lt_u32_e32 vcc, s10, v0
	s_and_b64 s[12:13], s[2:3], vcc
	s_waitcnt lgkmcnt(0)
	s_barrier
	s_and_saveexec_b64 s[8:9], s[12:13]
	s_cbranch_execz .LBB162_1108
; %bb.1107:                             ;   in Loop: Header=BB162_1104 Depth=1
	ds_read_b64 v[5:6], v2
	ds_read_b64 v[7:8], v3 offset:41472
	s_waitcnt lgkmcnt(0)
	v_mul_f32_e32 v9, v8, v6
	v_mul_f32_e32 v6, v7, v6
	v_fma_f32 v7, v7, v5, -v9
	v_fmac_f32_e32 v6, v8, v5
	v_add_f32_e32 v11, v11, v7
	v_add_f32_e32 v12, v12, v6
.LBB162_1108:                           ;   in Loop: Header=BB162_1104 Depth=1
	s_or_b64 exec, exec, s[8:9]
	s_or_b32 s11, s10, 1
	v_cmp_eq_u32_e32 vcc, s11, v0
	s_and_b64 s[12:13], s[2:3], vcc
	s_barrier
	s_and_saveexec_b64 s[8:9], s[12:13]
	s_cbranch_execz .LBB162_1110
; %bb.1109:                             ;   in Loop: Header=BB162_1104 Depth=1
	ds_read_b64 v[5:6], v1
	s_waitcnt lgkmcnt(0)
	v_mul_f32_e32 v8, v12, v6
	v_mul_f32_e32 v7, v11, v6
	v_fma_f32 v6, v11, v5, -v8
	v_fmac_f32_e32 v7, v12, v5
	v_mov_b32_e32 v11, v6
	v_mov_b32_e32 v12, v7
	ds_write_b64 v3, v[6:7] offset:41472
.LBB162_1110:                           ;   in Loop: Header=BB162_1104 Depth=1
	s_or_b64 exec, exec, s[8:9]
	v_cmp_lt_u32_e32 vcc, s11, v0
	s_and_b64 s[12:13], s[2:3], vcc
	s_waitcnt lgkmcnt(0)
	s_barrier
	s_and_saveexec_b64 s[8:9], s[12:13]
	s_cbranch_execz .LBB162_1103
; %bb.1111:                             ;   in Loop: Header=BB162_1104 Depth=1
	ds_read_b64 v[5:6], v2 offset:512
	ds_read_b64 v[7:8], v3 offset:41472
	s_waitcnt lgkmcnt(0)
	v_mul_f32_e32 v9, v8, v6
	v_mul_f32_e32 v6, v7, v6
	v_fma_f32 v7, v7, v5, -v9
	v_fmac_f32_e32 v6, v8, v5
	v_add_f32_e32 v11, v11, v7
	v_add_f32_e32 v12, v12, v6
	s_branch .LBB162_1103
.LBB162_1112:
	s_and_b64 vcc, exec, s[4:5]
	s_cbranch_vccz .LBB162_1116
; %bb.1113:
	s_and_b64 s[4:5], s[2:3], exec
	s_cbranch_execz .LBB162_1117
	s_branch .LBB162_1118
.LBB162_1114:
	s_or_b64 exec, exec, s[10:11]
	s_and_b64 vcc, exec, s[8:9]
	s_cbranch_vccnz .LBB162_1102
.LBB162_1115:
	v_mov_b32_e32 v12, v5
	v_mov_b32_e32 v11, v6
	s_and_saveexec_b64 s[2:3], s[6:7]
	s_cbranch_execnz .LBB162_1121
	s_branch .LBB162_1122
.LBB162_1116:
	s_mov_b64 s[4:5], 0
.LBB162_1117:
	v_cmp_gt_i32_e32 vcc, s92, v0
	s_and_b64 s[2:3], s[2:3], vcc
	s_andn2_b64 s[4:5], s[4:5], exec
	s_and_b64 s[2:3], s[2:3], exec
	s_or_b64 s[4:5], s[4:5], s[2:3]
.LBB162_1118:
                                        ; implicit-def: $vgpr1_vgpr2
	s_and_saveexec_b64 s[2:3], s[4:5]
	s_cbranch_execz .LBB162_1120
; %bb.1119:
	v_mov_b32_e32 v0, s36
	v_add_co_u32_e32 v1, vcc, s33, v17
	v_addc_co_u32_e32 v0, vcc, 0, v0, vcc
	v_mul_lo_u32 v0, v0, s26
	v_mul_lo_u32 v3, v1, s27
	v_mad_u64_u32 v[1:2], s[4:5], v1, s26, 0
	s_or_b64 s[6:7], s[6:7], exec
	v_add3_u32 v2, v2, v3, v0
.LBB162_1120:
	s_or_b64 exec, exec, s[2:3]
	s_and_saveexec_b64 s[2:3], s[6:7]
	s_cbranch_execz .LBB162_1122
.LBB162_1121:
	v_lshlrev_b64 v[0:1], 3, v[1:2]
	v_mov_b32_e32 v2, s21
	v_add_co_u32_e32 v0, vcc, s20, v0
	v_addc_co_u32_e32 v1, vcc, v2, v1, vcc
	flat_store_dwordx2 v[0:1], v[11:12]
.LBB162_1122:
	s_or_b64 exec, exec, s[2:3]
	v_cmp_eq_u32_e32 vcc, 0, v17
	s_waitcnt vmcnt(0) lgkmcnt(0)
	buffer_wbinvl1_vol
	s_barrier
	s_and_saveexec_b64 s[2:3], vcc
	s_cbranch_execz .LBB162_1124
; %bb.1123:
	s_lshl_b64 s[4:5], s[24:25], 2
	s_add_u32 s0, s0, s4
	s_addc_u32 s1, s1, s5
	v_mov_b32_e32 v0, 0
	global_load_dword v1, v0, s[0:1]
	s_waitcnt vmcnt(0)
	v_add_u32_e32 v1, 1, v1
	global_store_dword v0, v1, s[0:1]
.LBB162_1124:
	s_or_b64 exec, exec, s[2:3]
	s_waitcnt vmcnt(0)
	buffer_wbinvl1_vol
	s_endpgm
.LBB162_1125:
	ds_read_b64 v[22:23], v20 offset:31680
	ds_read_b64 v[24:25], v21 offset:31208
	s_waitcnt lgkmcnt(0)
	v_mul_f32_e32 v26, v25, v23
	v_mul_f32_e32 v23, v24, v23
	v_fma_f32 v24, v24, v22, -v26
	v_fmac_f32_e32 v23, v25, v22
	v_add_f32_e32 v11, v11, v24
	v_add_f32_e32 v12, v12, v23
	s_or_b64 exec, exec, s[14:15]
	v_cmp_gt_u32_e64 s[10:11], 8, v16
	s_and_saveexec_b64 s[14:15], s[10:11]
	s_cbranch_execz .LBB162_149
.LBB162_1126:
	ds_read_b64 v[22:23], v20 offset:32192
	ds_read_b64 v[20:21], v21 offset:31216
	s_waitcnt lgkmcnt(0)
	v_mul_f32_e32 v24, v21, v23
	v_mul_f32_e32 v23, v20, v23
	v_fma_f32 v20, v20, v22, -v24
	v_fmac_f32_e32 v23, v21, v22
	v_add_f32_e32 v11, v11, v20
	v_add_f32_e32 v12, v12, v23
	s_or_b64 exec, exec, s[14:15]
	v_cmp_gt_u32_e64 s[10:11], 4, v16
	s_and_saveexec_b64 s[14:15], s[10:11]
	s_cbranch_execnz .LBB162_150
	s_branch .LBB162_151
.LBB162_1127:
	ds_read_b64 v[25:26], v23 offset:29568
	ds_read_b64 v[27:28], v24 offset:29128
	s_waitcnt lgkmcnt(0)
	v_mul_f32_e32 v29, v28, v26
	v_mul_f32_e32 v26, v27, v26
	v_fma_f32 v27, v27, v25, -v29
	v_fmac_f32_e32 v26, v28, v25
	v_add_f32_e32 v11, v11, v27
	v_add_f32_e32 v12, v12, v26
	s_or_b64 exec, exec, s[16:17]
	v_cmp_gt_u32_e64 s[14:15], 48, v16
	s_and_saveexec_b64 s[16:17], s[14:15]
	s_cbranch_execz .LBB162_191
.LBB162_1128:
	ds_read_b64 v[25:26], v23 offset:30080
	ds_read_b64 v[27:28], v24 offset:29136
	s_waitcnt lgkmcnt(0)
	v_mul_f32_e32 v29, v28, v26
	v_mul_f32_e32 v26, v27, v26
	v_fma_f32 v27, v27, v25, -v29
	v_fmac_f32_e32 v26, v28, v25
	v_add_f32_e32 v11, v11, v27
	v_add_f32_e32 v12, v12, v26
	s_or_b64 exec, exec, s[16:17]
	v_cmp_gt_u32_e64 s[14:15], 40, v16
	s_and_saveexec_b64 s[16:17], s[14:15]
	s_cbranch_execz .LBB162_192
.LBB162_1129:
	ds_read_b64 v[25:26], v23 offset:30592
	ds_read_b64 v[27:28], v24 offset:29144
	s_waitcnt lgkmcnt(0)
	v_mul_f32_e32 v29, v28, v26
	v_mul_f32_e32 v26, v27, v26
	v_fma_f32 v27, v27, v25, -v29
	v_fmac_f32_e32 v26, v28, v25
	v_add_f32_e32 v11, v11, v27
	v_add_f32_e32 v12, v12, v26
	s_or_b64 exec, exec, s[16:17]
	v_cmp_gt_u32_e64 s[14:15], 32, v16
	s_and_saveexec_b64 s[16:17], s[14:15]
	s_cbranch_execz .LBB162_193
.LBB162_1130:
	ds_read_b64 v[25:26], v23 offset:31104
	ds_read_b64 v[27:28], v24 offset:29152
	s_waitcnt lgkmcnt(0)
	v_mul_f32_e32 v29, v28, v26
	v_mul_f32_e32 v26, v27, v26
	v_fma_f32 v27, v27, v25, -v29
	v_fmac_f32_e32 v26, v28, v25
	v_add_f32_e32 v11, v11, v27
	v_add_f32_e32 v12, v12, v26
	s_or_b64 exec, exec, s[16:17]
	v_cmp_gt_u32_e64 s[14:15], 24, v16
	s_and_saveexec_b64 s[16:17], s[14:15]
	s_cbranch_execz .LBB162_194
.LBB162_1131:
	ds_read_b64 v[25:26], v23 offset:31616
	ds_read_b64 v[27:28], v24 offset:29160
	s_waitcnt lgkmcnt(0)
	v_mul_f32_e32 v29, v28, v26
	v_mul_f32_e32 v26, v27, v26
	v_fma_f32 v27, v27, v25, -v29
	v_fmac_f32_e32 v26, v28, v25
	v_add_f32_e32 v11, v11, v27
	v_add_f32_e32 v12, v12, v26
	s_or_b64 exec, exec, s[16:17]
	s_and_saveexec_b64 s[14:15], s[18:19]
	s_cbranch_execz .LBB162_195
.LBB162_1132:
	ds_read_b64 v[25:26], v23 offset:32128
	ds_read_b64 v[23:24], v24 offset:29168
	s_waitcnt lgkmcnt(0)
	v_mul_f32_e32 v27, v24, v26
	v_mul_f32_e32 v26, v23, v26
	v_fma_f32 v23, v23, v25, -v27
	v_fmac_f32_e32 v26, v24, v25
	v_add_f32_e32 v11, v11, v23
	v_add_f32_e32 v12, v12, v26
	s_or_b64 exec, exec, s[14:15]
	v_cmp_gt_u32_e64 s[14:15], 8, v16
	s_and_saveexec_b64 s[16:17], s[14:15]
	s_cbranch_execnz .LBB162_196
	s_branch .LBB162_197
.LBB162_1133:
	ds_read_b64 v[25:26], v23 offset:27520
	ds_read_b64 v[27:28], v24 offset:27048
	s_waitcnt lgkmcnt(0)
	v_mul_f32_e32 v29, v28, v26
	v_mul_f32_e32 v26, v27, v26
	v_fma_f32 v27, v27, v25, -v29
	v_fmac_f32_e32 v26, v28, v25
	v_add_f32_e32 v11, v11, v27
	v_add_f32_e32 v12, v12, v26
	s_or_b64 exec, exec, s[14:15]
	v_cmp_gt_u32_e64 s[10:11], 8, v16
	s_and_saveexec_b64 s[14:15], s[10:11]
	s_cbranch_execz .LBB162_253
.LBB162_1134:
	ds_read_b64 v[25:26], v23 offset:28032
	ds_read_b64 v[23:24], v24 offset:27056
	s_waitcnt lgkmcnt(0)
	v_mul_f32_e32 v27, v24, v26
	v_mul_f32_e32 v26, v23, v26
	v_fma_f32 v23, v23, v25, -v27
	v_fmac_f32_e32 v26, v24, v25
	v_add_f32_e32 v11, v11, v23
	v_add_f32_e32 v12, v12, v26
	s_or_b64 exec, exec, s[14:15]
	v_cmp_gt_u32_e64 s[10:11], 4, v16
	s_and_saveexec_b64 s[14:15], s[10:11]
	s_cbranch_execnz .LBB162_254
	s_branch .LBB162_255
.LBB162_1135:
	ds_read_b64 v[28:29], v26 offset:30464
	ds_read_b64 v[30:31], v27 offset:25048
	s_waitcnt lgkmcnt(0)
	v_mul_f32_e32 v32, v31, v29
	v_mul_f32_e32 v29, v30, v29
	v_fma_f32 v30, v30, v28, -v32
	v_fmac_f32_e32 v29, v31, v28
	v_add_f32_e32 v11, v11, v30
	v_add_f32_e32 v12, v12, v29
	s_or_b64 exec, exec, s[20:21]
	s_and_saveexec_b64 s[16:17], s[8:9]
	s_cbranch_execz .LBB162_315
.LBB162_1136:
	ds_read_b64 v[28:29], v26 offset:30976
	ds_read_b64 v[30:31], v27 offset:25056
	s_waitcnt lgkmcnt(0)
	v_mul_f32_e32 v32, v31, v29
	v_mul_f32_e32 v29, v30, v29
	v_fma_f32 v30, v30, v28, -v32
	v_fmac_f32_e32 v29, v31, v28
	v_add_f32_e32 v11, v11, v30
	v_add_f32_e32 v12, v12, v29
	s_or_b64 exec, exec, s[16:17]
	v_cmp_gt_u32_e64 s[16:17], 48, v16
	s_and_saveexec_b64 s[20:21], s[16:17]
	s_cbranch_execz .LBB162_316
.LBB162_1137:
	ds_read_b64 v[28:29], v26 offset:31488
	ds_read_b64 v[30:31], v27 offset:25064
	s_waitcnt lgkmcnt(0)
	v_mul_f32_e32 v32, v31, v29
	v_mul_f32_e32 v29, v30, v29
	v_fma_f32 v30, v30, v28, -v32
	v_fmac_f32_e32 v29, v31, v28
	v_add_f32_e32 v11, v11, v30
	v_add_f32_e32 v12, v12, v29
	s_or_b64 exec, exec, s[20:21]
	v_cmp_gt_u32_e64 s[16:17], 32, v16
	s_and_saveexec_b64 s[20:21], s[16:17]
	s_cbranch_execz .LBB162_317
.LBB162_1138:
	ds_read_b64 v[28:29], v26 offset:32000
	ds_read_b64 v[26:27], v27 offset:25072
	s_waitcnt lgkmcnt(0)
	v_mul_f32_e32 v30, v27, v29
	v_mul_f32_e32 v29, v26, v29
	v_fma_f32 v26, v26, v28, -v30
	v_fmac_f32_e32 v29, v27, v28
	v_add_f32_e32 v11, v11, v26
	v_add_f32_e32 v12, v12, v29
	s_or_b64 exec, exec, s[20:21]
	v_cmp_gt_u32_e64 s[16:17], 16, v16
	s_and_saveexec_b64 s[20:21], s[16:17]
	s_cbranch_execnz .LBB162_318
	s_branch .LBB162_319
.LBB162_1139:
	ds_read_b64 v[28:29], v26 offset:23360
	ds_read_b64 v[30:31], v27 offset:22888
	s_waitcnt lgkmcnt(0)
	v_mul_f32_e32 v32, v31, v29
	v_mul_f32_e32 v29, v30, v29
	v_fma_f32 v30, v30, v28, -v32
	v_fmac_f32_e32 v29, v31, v28
	v_add_f32_e32 v11, v11, v30
	v_add_f32_e32 v12, v12, v29
	s_or_b64 exec, exec, s[20:21]
	v_cmp_gt_u32_e64 s[14:15], 8, v16
	s_and_saveexec_b64 s[20:21], s[14:15]
	s_cbranch_execz .LBB162_407
.LBB162_1140:
	ds_read_b64 v[28:29], v26 offset:23872
	ds_read_b64 v[26:27], v27 offset:22896
	s_waitcnt lgkmcnt(0)
	v_mul_f32_e32 v30, v27, v29
	v_mul_f32_e32 v29, v26, v29
	v_fma_f32 v26, v26, v28, -v30
	v_fmac_f32_e32 v29, v27, v28
	v_add_f32_e32 v11, v11, v26
	v_add_f32_e32 v12, v12, v29
	s_or_b64 exec, exec, s[20:21]
	v_cmp_gt_u32_e64 s[14:15], 4, v16
	s_and_saveexec_b64 s[20:21], s[14:15]
	s_cbranch_execnz .LBB162_408
	s_branch .LBB162_409
.LBB162_1141:
	ds_read_b64 v[28:29], v26 offset:21248
	ds_read_b64 v[30:31], v27 offset:20808
	s_waitcnt lgkmcnt(0)
	v_mul_f32_e32 v32, v31, v29
	v_mul_f32_e32 v29, v30, v29
	v_fma_f32 v30, v30, v28, -v32
	v_fmac_f32_e32 v29, v31, v28
	v_add_f32_e32 v11, v11, v30
	v_add_f32_e32 v12, v12, v29
	s_or_b64 exec, exec, s[20:21]
	v_cmp_gt_u32_e64 s[14:15], 48, v16
	s_and_saveexec_b64 s[20:21], s[14:15]
	s_cbranch_execz .LBB162_449
.LBB162_1142:
	ds_read_b64 v[28:29], v26 offset:21760
	ds_read_b64 v[30:31], v27 offset:20816
	s_waitcnt lgkmcnt(0)
	v_mul_f32_e32 v32, v31, v29
	v_mul_f32_e32 v29, v30, v29
	v_fma_f32 v30, v30, v28, -v32
	v_fmac_f32_e32 v29, v31, v28
	v_add_f32_e32 v11, v11, v30
	v_add_f32_e32 v12, v12, v29
	s_or_b64 exec, exec, s[20:21]
	v_cmp_gt_u32_e64 s[14:15], 40, v16
	s_and_saveexec_b64 s[20:21], s[14:15]
	s_cbranch_execz .LBB162_450
.LBB162_1143:
	ds_read_b64 v[28:29], v26 offset:22272
	ds_read_b64 v[30:31], v27 offset:20824
	s_waitcnt lgkmcnt(0)
	v_mul_f32_e32 v32, v31, v29
	v_mul_f32_e32 v29, v30, v29
	v_fma_f32 v30, v30, v28, -v32
	v_fmac_f32_e32 v29, v31, v28
	v_add_f32_e32 v11, v11, v30
	v_add_f32_e32 v12, v12, v29
	s_or_b64 exec, exec, s[20:21]
	v_cmp_gt_u32_e64 s[14:15], 32, v16
	s_and_saveexec_b64 s[20:21], s[14:15]
	s_cbranch_execz .LBB162_451
.LBB162_1144:
	ds_read_b64 v[28:29], v26 offset:22784
	ds_read_b64 v[30:31], v27 offset:20832
	s_waitcnt lgkmcnt(0)
	v_mul_f32_e32 v32, v31, v29
	v_mul_f32_e32 v29, v30, v29
	v_fma_f32 v30, v30, v28, -v32
	v_fmac_f32_e32 v29, v31, v28
	v_add_f32_e32 v11, v11, v30
	v_add_f32_e32 v12, v12, v29
	s_or_b64 exec, exec, s[20:21]
	v_cmp_gt_u32_e64 s[14:15], 24, v16
	s_and_saveexec_b64 s[20:21], s[14:15]
	s_cbranch_execz .LBB162_452
.LBB162_1145:
	ds_read_b64 v[28:29], v26 offset:23296
	ds_read_b64 v[30:31], v27 offset:20840
	s_waitcnt lgkmcnt(0)
	v_mul_f32_e32 v32, v31, v29
	v_mul_f32_e32 v29, v30, v29
	v_fma_f32 v30, v30, v28, -v32
	v_fmac_f32_e32 v29, v31, v28
	v_add_f32_e32 v11, v11, v30
	v_add_f32_e32 v12, v12, v29
	s_or_b64 exec, exec, s[20:21]
	s_and_saveexec_b64 s[14:15], s[18:19]
	s_cbranch_execz .LBB162_453
.LBB162_1146:
	ds_read_b64 v[28:29], v26 offset:23808
	ds_read_b64 v[26:27], v27 offset:20848
	s_waitcnt lgkmcnt(0)
	v_mul_f32_e32 v30, v27, v29
	v_mul_f32_e32 v29, v26, v29
	v_fma_f32 v26, v26, v28, -v30
	v_fmac_f32_e32 v29, v27, v28
	v_add_f32_e32 v11, v11, v26
	v_add_f32_e32 v12, v12, v29
	s_or_b64 exec, exec, s[14:15]
	v_cmp_gt_u32_e64 s[14:15], 8, v16
	s_and_saveexec_b64 s[20:21], s[14:15]
	s_cbranch_execnz .LBB162_454
	s_branch .LBB162_455
.LBB162_1147:
	ds_read_b64 v[28:29], v26 offset:19200
	ds_read_b64 v[30:31], v27 offset:18728
	s_waitcnt lgkmcnt(0)
	v_mul_f32_e32 v32, v31, v29
	v_mul_f32_e32 v29, v30, v29
	v_fma_f32 v30, v30, v28, -v32
	v_fmac_f32_e32 v29, v31, v28
	v_add_f32_e32 v11, v11, v30
	v_add_f32_e32 v12, v12, v29
	s_or_b64 exec, exec, s[20:21]
	v_cmp_gt_u32_e64 s[14:15], 8, v16
	s_and_saveexec_b64 s[20:21], s[14:15]
	s_cbranch_execz .LBB162_511
.LBB162_1148:
	ds_read_b64 v[28:29], v26 offset:19712
	ds_read_b64 v[26:27], v27 offset:18736
	s_waitcnt lgkmcnt(0)
	v_mul_f32_e32 v30, v27, v29
	v_mul_f32_e32 v29, v26, v29
	v_fma_f32 v26, v26, v28, -v30
	v_fmac_f32_e32 v29, v27, v28
	v_add_f32_e32 v11, v11, v26
	v_add_f32_e32 v12, v12, v29
	s_or_b64 exec, exec, s[20:21]
	v_cmp_gt_u32_e64 s[14:15], 4, v16
	s_and_saveexec_b64 s[20:21], s[14:15]
	s_cbranch_execnz .LBB162_512
	s_branch .LBB162_513
.LBB162_1149:
	ds_read_b64 v[31:32], v29 offset:31232
	ds_read_b64 v[33:34], v30 offset:16872
	s_waitcnt lgkmcnt(0)
	v_mul_f32_e32 v35, v34, v32
	v_mul_f32_e32 v32, v33, v32
	v_fma_f32 v33, v33, v31, -v35
	v_fmac_f32_e32 v32, v34, v31
	v_add_f32_e32 v11, v11, v33
	v_add_f32_e32 v12, v12, v32
	s_or_b64 exec, exec, s[90:91]
	s_and_saveexec_b64 s[20:21], s[8:9]
	s_cbranch_execz .LBB162_609
.LBB162_1150:
	ds_read_b64 v[31:32], v29 offset:31744
	ds_read_b64 v[33:34], v30 offset:16880
	s_waitcnt lgkmcnt(0)
	v_mul_f32_e32 v35, v34, v32
	v_mul_f32_e32 v32, v33, v32
	v_fma_f32 v33, v33, v31, -v35
	v_fmac_f32_e32 v32, v34, v31
	v_add_f32_e32 v11, v11, v33
	v_add_f32_e32 v12, v12, v32
	s_or_b64 exec, exec, s[20:21]
	v_cmp_gt_u32_e64 s[20:21], 32, v16
	s_and_saveexec_b64 s[90:91], s[20:21]
	s_cbranch_execnz .LBB162_610
	s_branch .LBB162_611
.LBB162_1151:
	ds_read_b64 v[28:29], v26 offset:15040
	ds_read_b64 v[30:31], v27 offset:14568
	s_waitcnt lgkmcnt(0)
	v_mul_f32_e32 v32, v31, v29
	v_mul_f32_e32 v29, v30, v29
	v_fma_f32 v30, v30, v28, -v32
	v_fmac_f32_e32 v29, v31, v28
	v_add_f32_e32 v11, v11, v30
	v_add_f32_e32 v12, v12, v29
	s_or_b64 exec, exec, s[16:17]
	v_cmp_gt_u32_e64 s[12:13], 8, v16
	s_and_saveexec_b64 s[16:17], s[12:13]
	s_cbranch_execz .LBB162_647
.LBB162_1152:
	ds_read_b64 v[28:29], v26 offset:15552
	ds_read_b64 v[26:27], v27 offset:14576
	s_waitcnt lgkmcnt(0)
	v_mul_f32_e32 v30, v27, v29
	v_mul_f32_e32 v29, v26, v29
	v_fma_f32 v26, v26, v28, -v30
	v_fmac_f32_e32 v29, v27, v28
	v_add_f32_e32 v11, v11, v26
	v_add_f32_e32 v12, v12, v29
	s_or_b64 exec, exec, s[16:17]
	v_cmp_gt_u32_e64 s[12:13], 4, v16
	s_and_saveexec_b64 s[16:17], s[12:13]
	s_cbranch_execnz .LBB162_648
	s_branch .LBB162_649
.LBB162_1153:
	ds_read_b64 v[28:29], v26 offset:12928
	ds_read_b64 v[30:31], v27 offset:12488
	s_waitcnt lgkmcnt(0)
	v_mul_f32_e32 v32, v31, v29
	v_mul_f32_e32 v29, v30, v29
	v_fma_f32 v30, v30, v28, -v32
	v_fmac_f32_e32 v29, v31, v28
	v_add_f32_e32 v11, v11, v30
	v_add_f32_e32 v12, v12, v29
	s_or_b64 exec, exec, s[16:17]
	v_cmp_gt_u32_e64 s[12:13], 48, v16
	s_and_saveexec_b64 s[16:17], s[12:13]
	s_cbranch_execz .LBB162_689
.LBB162_1154:
	ds_read_b64 v[28:29], v26 offset:13440
	ds_read_b64 v[30:31], v27 offset:12496
	s_waitcnt lgkmcnt(0)
	v_mul_f32_e32 v32, v31, v29
	v_mul_f32_e32 v29, v30, v29
	v_fma_f32 v30, v30, v28, -v32
	v_fmac_f32_e32 v29, v31, v28
	v_add_f32_e32 v11, v11, v30
	v_add_f32_e32 v12, v12, v29
	s_or_b64 exec, exec, s[16:17]
	v_cmp_gt_u32_e64 s[12:13], 40, v16
	s_and_saveexec_b64 s[16:17], s[12:13]
	s_cbranch_execz .LBB162_690
.LBB162_1155:
	ds_read_b64 v[28:29], v26 offset:13952
	ds_read_b64 v[30:31], v27 offset:12504
	s_waitcnt lgkmcnt(0)
	v_mul_f32_e32 v32, v31, v29
	v_mul_f32_e32 v29, v30, v29
	v_fma_f32 v30, v30, v28, -v32
	v_fmac_f32_e32 v29, v31, v28
	v_add_f32_e32 v11, v11, v30
	v_add_f32_e32 v12, v12, v29
	s_or_b64 exec, exec, s[16:17]
	v_cmp_gt_u32_e64 s[12:13], 32, v16
	s_and_saveexec_b64 s[16:17], s[12:13]
	s_cbranch_execz .LBB162_691
.LBB162_1156:
	ds_read_b64 v[28:29], v26 offset:14464
	ds_read_b64 v[30:31], v27 offset:12512
	s_waitcnt lgkmcnt(0)
	v_mul_f32_e32 v32, v31, v29
	v_mul_f32_e32 v29, v30, v29
	v_fma_f32 v30, v30, v28, -v32
	v_fmac_f32_e32 v29, v31, v28
	v_add_f32_e32 v11, v11, v30
	v_add_f32_e32 v12, v12, v29
	s_or_b64 exec, exec, s[16:17]
	v_cmp_gt_u32_e64 s[12:13], 24, v16
	s_and_saveexec_b64 s[16:17], s[12:13]
	s_cbranch_execz .LBB162_692
.LBB162_1157:
	ds_read_b64 v[28:29], v26 offset:14976
	ds_read_b64 v[30:31], v27 offset:12520
	s_waitcnt lgkmcnt(0)
	v_mul_f32_e32 v32, v31, v29
	v_mul_f32_e32 v29, v30, v29
	v_fma_f32 v30, v30, v28, -v32
	v_fmac_f32_e32 v29, v31, v28
	v_add_f32_e32 v11, v11, v30
	v_add_f32_e32 v12, v12, v29
	s_or_b64 exec, exec, s[16:17]
	s_and_saveexec_b64 s[12:13], s[18:19]
	s_cbranch_execz .LBB162_693
.LBB162_1158:
	ds_read_b64 v[28:29], v26 offset:15488
	ds_read_b64 v[26:27], v27 offset:12528
	s_waitcnt lgkmcnt(0)
	v_mul_f32_e32 v30, v27, v29
	v_mul_f32_e32 v29, v26, v29
	v_fma_f32 v26, v26, v28, -v30
	v_fmac_f32_e32 v29, v27, v28
	v_add_f32_e32 v11, v11, v26
	v_add_f32_e32 v12, v12, v29
	s_or_b64 exec, exec, s[12:13]
	v_cmp_gt_u32_e64 s[12:13], 8, v16
	s_and_saveexec_b64 s[16:17], s[12:13]
	s_cbranch_execnz .LBB162_694
	s_branch .LBB162_695
.LBB162_1159:
	ds_read_b64 v[28:29], v26 offset:10880
	ds_read_b64 v[30:31], v27 offset:10408
	s_waitcnt lgkmcnt(0)
	v_mul_f32_e32 v32, v31, v29
	v_mul_f32_e32 v29, v30, v29
	v_fma_f32 v30, v30, v28, -v32
	v_fmac_f32_e32 v29, v31, v28
	v_add_f32_e32 v11, v11, v30
	v_add_f32_e32 v12, v12, v29
	s_or_b64 exec, exec, s[16:17]
	v_cmp_gt_u32_e64 s[12:13], 8, v16
	s_and_saveexec_b64 s[16:17], s[12:13]
	s_cbranch_execz .LBB162_751
.LBB162_1160:
	ds_read_b64 v[28:29], v26 offset:11392
	ds_read_b64 v[26:27], v27 offset:10416
	s_waitcnt lgkmcnt(0)
	v_mul_f32_e32 v30, v27, v29
	v_mul_f32_e32 v29, v26, v29
	v_fma_f32 v26, v26, v28, -v30
	v_fmac_f32_e32 v29, v27, v28
	v_add_f32_e32 v11, v11, v26
	v_add_f32_e32 v12, v12, v29
	s_or_b64 exec, exec, s[16:17]
	v_cmp_gt_u32_e64 s[12:13], 4, v16
	s_and_saveexec_b64 s[16:17], s[12:13]
	s_cbranch_execnz .LBB162_752
	s_branch .LBB162_753
.LBB162_1161:
	ds_read_b64 v[28:29], v26 offset:13824
	ds_read_b64 v[30:31], v27 offset:8408
	s_waitcnt lgkmcnt(0)
	v_mul_f32_e32 v32, v31, v29
	v_mul_f32_e32 v29, v30, v29
	v_fma_f32 v30, v30, v28, -v32
	v_fmac_f32_e32 v29, v31, v28
	v_add_f32_e32 v11, v11, v30
	v_add_f32_e32 v12, v12, v29
	s_or_b64 exec, exec, s[16:17]
	s_and_saveexec_b64 s[12:13], s[8:9]
	s_cbranch_execz .LBB162_813
.LBB162_1162:
	ds_read_b64 v[28:29], v26 offset:14336
	ds_read_b64 v[30:31], v27 offset:8416
	s_waitcnt lgkmcnt(0)
	v_mul_f32_e32 v32, v31, v29
	v_mul_f32_e32 v29, v30, v29
	v_fma_f32 v30, v30, v28, -v32
	v_fmac_f32_e32 v29, v31, v28
	v_add_f32_e32 v11, v11, v30
	v_add_f32_e32 v12, v12, v29
	s_or_b64 exec, exec, s[12:13]
	v_cmp_gt_u32_e64 s[12:13], 48, v16
	s_and_saveexec_b64 s[16:17], s[12:13]
	s_cbranch_execz .LBB162_814
.LBB162_1163:
	ds_read_b64 v[28:29], v26 offset:14848
	ds_read_b64 v[30:31], v27 offset:8424
	s_waitcnt lgkmcnt(0)
	v_mul_f32_e32 v32, v31, v29
	v_mul_f32_e32 v29, v30, v29
	v_fma_f32 v30, v30, v28, -v32
	v_fmac_f32_e32 v29, v31, v28
	v_add_f32_e32 v11, v11, v30
	v_add_f32_e32 v12, v12, v29
	s_or_b64 exec, exec, s[16:17]
	v_cmp_gt_u32_e64 s[12:13], 32, v16
	s_and_saveexec_b64 s[16:17], s[12:13]
	s_cbranch_execz .LBB162_815
.LBB162_1164:
	ds_read_b64 v[28:29], v26 offset:15360
	ds_read_b64 v[26:27], v27 offset:8432
	s_waitcnt lgkmcnt(0)
	v_mul_f32_e32 v30, v27, v29
	v_mul_f32_e32 v29, v26, v29
	v_fma_f32 v26, v26, v28, -v30
	v_fmac_f32_e32 v29, v27, v28
	v_add_f32_e32 v11, v11, v26
	v_add_f32_e32 v12, v12, v29
	s_or_b64 exec, exec, s[16:17]
	v_cmp_gt_u32_e64 s[12:13], 16, v16
	s_and_saveexec_b64 s[16:17], s[12:13]
	s_cbranch_execnz .LBB162_816
	s_branch .LBB162_817
.LBB162_1165:
	ds_read_b64 v[25:26], v23 offset:6720
	ds_read_b64 v[27:28], v24 offset:6248
	s_waitcnt lgkmcnt(0)
	v_mul_f32_e32 v29, v28, v26
	v_mul_f32_e32 v26, v27, v26
	v_fma_f32 v27, v27, v25, -v29
	v_fmac_f32_e32 v26, v28, v25
	v_add_f32_e32 v11, v11, v27
	v_add_f32_e32 v12, v12, v26
	s_or_b64 exec, exec, s[12:13]
	v_cmp_gt_u32_e64 s[10:11], 8, v16
	s_and_saveexec_b64 s[12:13], s[10:11]
	s_cbranch_execz .LBB162_905
.LBB162_1166:
	ds_read_b64 v[25:26], v23 offset:7232
	ds_read_b64 v[23:24], v24 offset:6256
	s_waitcnt lgkmcnt(0)
	v_mul_f32_e32 v27, v24, v26
	v_mul_f32_e32 v26, v23, v26
	v_fma_f32 v23, v23, v25, -v27
	v_fmac_f32_e32 v26, v24, v25
	v_add_f32_e32 v11, v11, v23
	v_add_f32_e32 v12, v12, v26
	s_or_b64 exec, exec, s[12:13]
	v_cmp_gt_u32_e64 s[10:11], 4, v16
	s_and_saveexec_b64 s[12:13], s[10:11]
	s_cbranch_execnz .LBB162_906
	s_branch .LBB162_907
.LBB162_1167:
	ds_read_b64 v[25:26], v23 offset:4608
	ds_read_b64 v[27:28], v24 offset:4168
	s_waitcnt lgkmcnt(0)
	v_mul_f32_e32 v29, v28, v26
	v_mul_f32_e32 v26, v27, v26
	v_fma_f32 v27, v27, v25, -v29
	v_fmac_f32_e32 v26, v28, v25
	v_add_f32_e32 v11, v11, v27
	v_add_f32_e32 v12, v12, v26
	s_or_b64 exec, exec, s[12:13]
	v_cmp_gt_u32_e64 s[10:11], 48, v16
	s_and_saveexec_b64 s[12:13], s[10:11]
	s_cbranch_execz .LBB162_947
.LBB162_1168:
	ds_read_b64 v[25:26], v23 offset:5120
	ds_read_b64 v[27:28], v24 offset:4176
	s_waitcnt lgkmcnt(0)
	v_mul_f32_e32 v29, v28, v26
	v_mul_f32_e32 v26, v27, v26
	v_fma_f32 v27, v27, v25, -v29
	v_fmac_f32_e32 v26, v28, v25
	v_add_f32_e32 v11, v11, v27
	v_add_f32_e32 v12, v12, v26
	s_or_b64 exec, exec, s[12:13]
	v_cmp_gt_u32_e64 s[10:11], 40, v16
	s_and_saveexec_b64 s[12:13], s[10:11]
	s_cbranch_execz .LBB162_948
.LBB162_1169:
	ds_read_b64 v[25:26], v23 offset:5632
	ds_read_b64 v[27:28], v24 offset:4184
	s_waitcnt lgkmcnt(0)
	v_mul_f32_e32 v29, v28, v26
	v_mul_f32_e32 v26, v27, v26
	v_fma_f32 v27, v27, v25, -v29
	v_fmac_f32_e32 v26, v28, v25
	v_add_f32_e32 v11, v11, v27
	v_add_f32_e32 v12, v12, v26
	s_or_b64 exec, exec, s[12:13]
	v_cmp_gt_u32_e64 s[10:11], 32, v16
	s_and_saveexec_b64 s[12:13], s[10:11]
	s_cbranch_execz .LBB162_949
.LBB162_1170:
	ds_read_b64 v[25:26], v23 offset:6144
	ds_read_b64 v[27:28], v24 offset:4192
	s_waitcnt lgkmcnt(0)
	v_mul_f32_e32 v29, v28, v26
	v_mul_f32_e32 v26, v27, v26
	v_fma_f32 v27, v27, v25, -v29
	v_fmac_f32_e32 v26, v28, v25
	v_add_f32_e32 v11, v11, v27
	v_add_f32_e32 v12, v12, v26
	s_or_b64 exec, exec, s[12:13]
	v_cmp_gt_u32_e64 s[10:11], 24, v16
	s_and_saveexec_b64 s[12:13], s[10:11]
	s_cbranch_execz .LBB162_950
.LBB162_1171:
	ds_read_b64 v[25:26], v23 offset:6656
	ds_read_b64 v[27:28], v24 offset:4200
	s_waitcnt lgkmcnt(0)
	v_mul_f32_e32 v29, v28, v26
	v_mul_f32_e32 v26, v27, v26
	v_fma_f32 v27, v27, v25, -v29
	v_fmac_f32_e32 v26, v28, v25
	v_add_f32_e32 v11, v11, v27
	v_add_f32_e32 v12, v12, v26
	s_or_b64 exec, exec, s[12:13]
	s_and_saveexec_b64 s[10:11], s[18:19]
	s_cbranch_execz .LBB162_951
.LBB162_1172:
	ds_read_b64 v[25:26], v23 offset:7168
	ds_read_b64 v[23:24], v24 offset:4208
	s_waitcnt lgkmcnt(0)
	v_mul_f32_e32 v27, v24, v26
	v_mul_f32_e32 v26, v23, v26
	v_fma_f32 v23, v23, v25, -v27
	v_fmac_f32_e32 v26, v24, v25
	v_add_f32_e32 v11, v11, v23
	v_add_f32_e32 v12, v12, v26
	s_or_b64 exec, exec, s[10:11]
	v_cmp_gt_u32_e64 s[10:11], 8, v16
	s_and_saveexec_b64 s[12:13], s[10:11]
	s_cbranch_execnz .LBB162_952
	s_branch .LBB162_953
.LBB162_1173:
	ds_read_b64 v[22:23], v20 offset:2560
	ds_read_b64 v[24:25], v21 offset:2088
	s_waitcnt lgkmcnt(0)
	v_mul_f32_e32 v26, v25, v23
	v_mul_f32_e32 v23, v24, v23
	v_fma_f32 v24, v24, v22, -v26
	v_fmac_f32_e32 v23, v25, v22
	v_add_f32_e32 v11, v11, v24
	v_add_f32_e32 v12, v12, v23
	s_or_b64 exec, exec, s[10:11]
	v_cmp_gt_u32_e64 s[8:9], 8, v16
	s_and_saveexec_b64 s[10:11], s[8:9]
	s_cbranch_execz .LBB162_1009
.LBB162_1174:
	ds_read_b64 v[22:23], v20 offset:3072
	ds_read_b64 v[20:21], v21 offset:2096
	s_waitcnt lgkmcnt(0)
	v_mul_f32_e32 v24, v21, v23
	v_mul_f32_e32 v23, v20, v23
	v_fma_f32 v20, v20, v22, -v24
	v_fmac_f32_e32 v23, v21, v22
	v_add_f32_e32 v11, v11, v20
	v_add_f32_e32 v12, v12, v23
	s_or_b64 exec, exec, s[10:11]
	v_cmp_gt_u32_e64 s[8:9], 4, v16
	s_and_saveexec_b64 s[10:11], s[8:9]
	s_cbranch_execnz .LBB162_1010
	s_branch .LBB162_1011
	.section	.rodata,"a",@progbits
	.p2align	6, 0x0
	.amdhsa_kernel _ZL19rocblas_trsv_deviceILi64ELi16ELb0ELb1ELb1ELb0E19rocblas_complex_numIfES1_PKPKS1_PKPS1_EviT7_lllT6_T8_lllPii
		.amdhsa_group_segment_fixed_size 41480
		.amdhsa_private_segment_fixed_size 0
		.amdhsa_kernarg_size 352
		.amdhsa_user_sgpr_count 6
		.amdhsa_user_sgpr_private_segment_buffer 1
		.amdhsa_user_sgpr_dispatch_ptr 0
		.amdhsa_user_sgpr_queue_ptr 0
		.amdhsa_user_sgpr_kernarg_segment_ptr 1
		.amdhsa_user_sgpr_dispatch_id 0
		.amdhsa_user_sgpr_flat_scratch_init 0
		.amdhsa_user_sgpr_private_segment_size 0
		.amdhsa_uses_dynamic_stack 0
		.amdhsa_system_sgpr_private_segment_wavefront_offset 0
		.amdhsa_system_sgpr_workgroup_id_x 1
		.amdhsa_system_sgpr_workgroup_id_y 0
		.amdhsa_system_sgpr_workgroup_id_z 1
		.amdhsa_system_sgpr_workgroup_info 0
		.amdhsa_system_vgpr_workitem_id 1
		.amdhsa_next_free_vgpr 49
		.amdhsa_next_free_sgpr 98
		.amdhsa_reserve_vcc 1
		.amdhsa_reserve_flat_scratch 0
		.amdhsa_float_round_mode_32 0
		.amdhsa_float_round_mode_16_64 0
		.amdhsa_float_denorm_mode_32 3
		.amdhsa_float_denorm_mode_16_64 3
		.amdhsa_dx10_clamp 1
		.amdhsa_ieee_mode 1
		.amdhsa_fp16_overflow 0
		.amdhsa_exception_fp_ieee_invalid_op 0
		.amdhsa_exception_fp_denorm_src 0
		.amdhsa_exception_fp_ieee_div_zero 0
		.amdhsa_exception_fp_ieee_overflow 0
		.amdhsa_exception_fp_ieee_underflow 0
		.amdhsa_exception_fp_ieee_inexact 0
		.amdhsa_exception_int_div_zero 0
	.end_amdhsa_kernel
	.section	.text._ZL19rocblas_trsv_deviceILi64ELi16ELb0ELb1ELb1ELb0E19rocblas_complex_numIfES1_PKPKS1_PKPS1_EviT7_lllT6_T8_lllPii,"axG",@progbits,_ZL19rocblas_trsv_deviceILi64ELi16ELb0ELb1ELb1ELb0E19rocblas_complex_numIfES1_PKPKS1_PKPS1_EviT7_lllT6_T8_lllPii,comdat
.Lfunc_end162:
	.size	_ZL19rocblas_trsv_deviceILi64ELi16ELb0ELb1ELb1ELb0E19rocblas_complex_numIfES1_PKPKS1_PKPS1_EviT7_lllT6_T8_lllPii, .Lfunc_end162-_ZL19rocblas_trsv_deviceILi64ELi16ELb0ELb1ELb1ELb0E19rocblas_complex_numIfES1_PKPKS1_PKPS1_EviT7_lllT6_T8_lllPii
                                        ; -- End function
	.set _ZL19rocblas_trsv_deviceILi64ELi16ELb0ELb1ELb1ELb0E19rocblas_complex_numIfES1_PKPKS1_PKPS1_EviT7_lllT6_T8_lllPii.num_vgpr, 39
	.set _ZL19rocblas_trsv_deviceILi64ELi16ELb0ELb1ELb1ELb0E19rocblas_complex_numIfES1_PKPKS1_PKPS1_EviT7_lllT6_T8_lllPii.num_agpr, 0
	.set _ZL19rocblas_trsv_deviceILi64ELi16ELb0ELb1ELb1ELb0E19rocblas_complex_numIfES1_PKPKS1_PKPS1_EviT7_lllT6_T8_lllPii.numbered_sgpr, 96
	.set _ZL19rocblas_trsv_deviceILi64ELi16ELb0ELb1ELb1ELb0E19rocblas_complex_numIfES1_PKPKS1_PKPS1_EviT7_lllT6_T8_lllPii.num_named_barrier, 0
	.set _ZL19rocblas_trsv_deviceILi64ELi16ELb0ELb1ELb1ELb0E19rocblas_complex_numIfES1_PKPKS1_PKPS1_EviT7_lllT6_T8_lllPii.private_seg_size, 0
	.set _ZL19rocblas_trsv_deviceILi64ELi16ELb0ELb1ELb1ELb0E19rocblas_complex_numIfES1_PKPKS1_PKPS1_EviT7_lllT6_T8_lllPii.uses_vcc, 1
	.set _ZL19rocblas_trsv_deviceILi64ELi16ELb0ELb1ELb1ELb0E19rocblas_complex_numIfES1_PKPKS1_PKPS1_EviT7_lllT6_T8_lllPii.uses_flat_scratch, 0
	.set _ZL19rocblas_trsv_deviceILi64ELi16ELb0ELb1ELb1ELb0E19rocblas_complex_numIfES1_PKPKS1_PKPS1_EviT7_lllT6_T8_lllPii.has_dyn_sized_stack, 0
	.set _ZL19rocblas_trsv_deviceILi64ELi16ELb0ELb1ELb1ELb0E19rocblas_complex_numIfES1_PKPKS1_PKPS1_EviT7_lllT6_T8_lllPii.has_recursion, 0
	.set _ZL19rocblas_trsv_deviceILi64ELi16ELb0ELb1ELb1ELb0E19rocblas_complex_numIfES1_PKPKS1_PKPS1_EviT7_lllT6_T8_lllPii.has_indirect_call, 0
	.section	.AMDGPU.csdata,"",@progbits
; Kernel info:
; codeLenInByte = 50216
; TotalNumSgprs: 100
; NumVgprs: 39
; ScratchSize: 0
; MemoryBound: 0
; FloatMode: 240
; IeeeMode: 1
; LDSByteSize: 41480 bytes/workgroup (compile time only)
; SGPRBlocks: 12
; VGPRBlocks: 12
; NumSGPRsForWavesPerEU: 102
; NumVGPRsForWavesPerEU: 49
; Occupancy: 4
; WaveLimiterHint : 1
; COMPUTE_PGM_RSRC2:SCRATCH_EN: 0
; COMPUTE_PGM_RSRC2:USER_SGPR: 6
; COMPUTE_PGM_RSRC2:TRAP_HANDLER: 0
; COMPUTE_PGM_RSRC2:TGID_X_EN: 1
; COMPUTE_PGM_RSRC2:TGID_Y_EN: 0
; COMPUTE_PGM_RSRC2:TGID_Z_EN: 1
; COMPUTE_PGM_RSRC2:TIDIG_COMP_CNT: 1
	.section	.text._ZL19rocblas_trsv_deviceILi64ELi16ELb1ELb0ELb0ELb1E19rocblas_complex_numIfES1_PKPKS1_PKPS1_EviT7_lllT6_T8_lllPii,"axG",@progbits,_ZL19rocblas_trsv_deviceILi64ELi16ELb1ELb0ELb0ELb1E19rocblas_complex_numIfES1_PKPKS1_PKPS1_EviT7_lllT6_T8_lllPii,comdat
	.globl	_ZL19rocblas_trsv_deviceILi64ELi16ELb1ELb0ELb0ELb1E19rocblas_complex_numIfES1_PKPKS1_PKPS1_EviT7_lllT6_T8_lllPii ; -- Begin function _ZL19rocblas_trsv_deviceILi64ELi16ELb1ELb0ELb0ELb1E19rocblas_complex_numIfES1_PKPKS1_PKPS1_EviT7_lllT6_T8_lllPii
	.p2align	8
	.type	_ZL19rocblas_trsv_deviceILi64ELi16ELb1ELb0ELb0ELb1E19rocblas_complex_numIfES1_PKPKS1_PKPS1_EviT7_lllT6_T8_lllPii,@function
_ZL19rocblas_trsv_deviceILi64ELi16ELb1ELb0ELb0ELb1E19rocblas_complex_numIfES1_PKPKS1_PKPS1_EviT7_lllT6_T8_lllPii: ; @_ZL19rocblas_trsv_deviceILi64ELi16ELb1ELb0ELb0ELb1E19rocblas_complex_numIfES1_PKPKS1_PKPS1_EviT7_lllT6_T8_lllPii
; %bb.0:
	s_load_dwordx4 s[12:15], s[4:5], 0x8
	s_add_u32 flat_scratch_lo, s6, s10
	s_addc_u32 flat_scratch_hi, s7, 0
	s_add_u32 s0, s0, s10
	s_mov_b32 s24, s9
	s_mov_b32 s25, 0
	s_addc_u32 s1, s1, 0
	s_lshl_b64 s[6:7], s[24:25], 3
	s_waitcnt lgkmcnt(0)
	s_add_u32 s10, s12, s6
	s_addc_u32 s11, s13, s7
	s_load_dwordx2 s[12:13], s[10:11], 0x0
	s_load_dword s33, s[4:5], 0x0
	s_load_dwordx4 s[16:19], s[4:5], 0x30
	s_load_dwordx2 s[28:29], s[4:5], 0x18
	s_lshl_b64 s[10:11], s[14:15], 3
	s_waitcnt lgkmcnt(0)
	s_add_u32 s88, s12, s10
	s_addc_u32 s89, s13, s11
	s_add_u32 s6, s16, s6
	s_addc_u32 s7, s17, s7
	s_load_dwordx2 s[34:35], s[6:7], 0x0
	s_load_dword s20, s[4:5], 0x6c
	s_cmp_eq_u32 s8, 0
	s_cbranch_scc1 .LBB163_18
; %bb.1:
	s_lshl_b32 s9, s8, 6
	v_add_u32_e32 v2, s9, v1
	v_subrev_u32_e32 v4, 64, v2
	v_ashrrev_i32_e32 v2, 31, v4
	v_mul_lo_u32 v7, s28, v2
	v_mul_lo_u32 v8, s29, v4
	v_mad_u64_u32 v[2:3], s[6:7], s28, v4, 0
	v_add_u32_e32 v5, s9, v0
	v_ashrrev_i32_e32 v6, 31, v5
	v_add3_u32 v3, v3, v7, v8
	v_lshlrev_b64 v[2:3], 3, v[2:3]
	v_mov_b32_e32 v7, s89
	v_add_co_u32_e64 v8, s[6:7], s88, v2
	v_addc_co_u32_e64 v7, s[6:7], v7, v3, s[6:7]
	v_lshlrev_b64 v[2:3], 3, v[5:6]
	v_cmp_gt_i32_e32 vcc, s33, v5
	v_add_co_u32_e64 v2, s[6:7], v8, v2
	v_addc_co_u32_e64 v3, s[6:7], v7, v3, s[6:7]
	v_max_i32_e32 v5, v5, v4
	v_cmp_le_i32_e64 s[6:7], s33, v5
	s_waitcnt lgkmcnt(0)
	s_barrier
	s_and_saveexec_b64 s[10:11], s[6:7]
	s_xor_b64 s[6:7], exec, s[10:11]
	s_cbranch_execz .LBB163_3
; %bb.2:
	v_mov_b32_e32 v5, 0
	buffer_store_dword v5, off, s[0:3], 0
	buffer_store_dword v5, off, s[0:3], 0 offset:4
.LBB163_3:
	s_andn2_saveexec_b64 s[6:7], s[6:7]
	s_cbranch_execz .LBB163_5
; %bb.4:
	flat_load_dwordx2 v[5:6], v[2:3]
	s_waitcnt vmcnt(0) lgkmcnt(0)
	buffer_store_dword v6, off, s[0:3], 0 offset:4
	buffer_store_dword v5, off, s[0:3], 0
.LBB163_5:
	s_or_b64 exec, exec, s[6:7]
	v_add_u32_e32 v5, 16, v4
	v_cmp_le_i32_e64 s[6:7], s33, v5
	s_xor_b64 s[10:11], vcc, -1
	s_or_b64 s[6:7], s[10:11], s[6:7]
	s_waitcnt vmcnt(0)
	s_barrier
	s_and_saveexec_b64 s[12:13], s[6:7]
	s_xor_b64 s[6:7], exec, s[12:13]
	s_cbranch_execz .LBB163_7
; %bb.6:
	v_mov_b32_e32 v5, 0
	buffer_store_dword v5, off, s[0:3], 0 offset:8
	buffer_store_dword v5, off, s[0:3], 0 offset:12
.LBB163_7:
	s_andn2_saveexec_b64 s[6:7], s[6:7]
	s_cbranch_execz .LBB163_9
; %bb.8:
	s_lshl_b64 s[12:13], s[28:29], 7
	v_mov_b32_e32 v6, s13
	v_add_co_u32_e32 v5, vcc, s12, v2
	v_addc_co_u32_e32 v6, vcc, v3, v6, vcc
	flat_load_dwordx2 v[5:6], v[5:6]
	s_waitcnt vmcnt(0) lgkmcnt(0)
	buffer_store_dword v6, off, s[0:3], 0 offset:12
	buffer_store_dword v5, off, s[0:3], 0 offset:8
.LBB163_9:
	s_or_b64 exec, exec, s[6:7]
	v_add_u32_e32 v5, 32, v4
	v_cmp_le_i32_e32 vcc, s33, v5
	s_or_b64 s[6:7], s[10:11], vcc
	s_waitcnt vmcnt(0)
	s_barrier
	s_and_saveexec_b64 s[12:13], s[6:7]
	s_xor_b64 s[6:7], exec, s[12:13]
	s_cbranch_execz .LBB163_11
; %bb.10:
	v_mov_b32_e32 v5, 0
	buffer_store_dword v5, off, s[0:3], 0 offset:16
	buffer_store_dword v5, off, s[0:3], 0 offset:20
.LBB163_11:
	s_andn2_saveexec_b64 s[6:7], s[6:7]
	s_cbranch_execz .LBB163_13
; %bb.12:
	s_lshl_b64 s[12:13], s[28:29], 8
	v_mov_b32_e32 v6, s13
	v_add_co_u32_e32 v5, vcc, s12, v2
	v_addc_co_u32_e32 v6, vcc, v3, v6, vcc
	flat_load_dwordx2 v[5:6], v[5:6]
	s_waitcnt vmcnt(0) lgkmcnt(0)
	buffer_store_dword v6, off, s[0:3], 0 offset:20
	buffer_store_dword v5, off, s[0:3], 0 offset:16
.LBB163_13:
	s_or_b64 exec, exec, s[6:7]
	v_add_u32_e32 v4, 48, v4
	v_cmp_le_i32_e32 vcc, s33, v4
	s_or_b64 s[6:7], s[10:11], vcc
	s_waitcnt vmcnt(0)
	s_barrier
	s_and_saveexec_b64 s[10:11], s[6:7]
	s_xor_b64 s[6:7], exec, s[10:11]
	s_cbranch_execz .LBB163_15
; %bb.14:
	v_mov_b32_e32 v2, 0
	buffer_store_dword v2, off, s[0:3], 0 offset:24
	buffer_store_dword v2, off, s[0:3], 0 offset:28
                                        ; implicit-def: $vgpr2_vgpr3
.LBB163_15:
	s_andn2_saveexec_b64 s[6:7], s[6:7]
	s_cbranch_execz .LBB163_17
; %bb.16:
	v_mov_b32_e32 v4, 0x180
	v_mad_u64_u32 v[2:3], s[10:11], s28, v4, v[2:3]
	s_mul_i32 s9, s29, 0x180
	v_add_u32_e32 v3, s9, v3
	flat_load_dwordx2 v[2:3], v[2:3]
	s_waitcnt vmcnt(0) lgkmcnt(0)
	buffer_store_dword v3, off, s[0:3], 0 offset:28
	buffer_store_dword v2, off, s[0:3], 0 offset:24
.LBB163_17:
	s_or_b64 exec, exec, s[6:7]
.LBB163_18:
	s_ashr_i32 s6, s33, 31
	s_lshr_b32 s6, s6, 26
	s_add_i32 s6, s33, s6
	s_andn2_b32 s6, s6, 63
	s_sub_i32 s9, s33, s6
	s_add_i32 s6, s33, -1
	s_ashr_i32 s7, s6, 31
	s_lshr_b32 s7, s7, 26
	s_add_i32 s6, s6, s7
	s_ashr_i32 s6, s6, 6
	s_load_dwordx2 s[26:27], s[4:5], 0x40
	s_cmp_eq_u32 s6, s8
	s_cselect_b64 s[6:7], -1, 0
	s_cmp_lg_u32 s9, 0
	s_cselect_b64 s[10:11], -1, 0
	s_and_b64 s[30:31], s[10:11], s[6:7]
	s_mov_b64 s[10:11], -1
	s_and_b64 vcc, exec, s[30:31]
	v_cmp_le_u32_e64 s[6:7], v0, v1
	v_lshlrev_b32_e32 v8, 3, v0
	v_lshl_add_u32 v7, v1, 6, v0
	s_cbranch_vccnz .LBB163_44
; %bb.19:
	s_add_u32 s10, s28, 1
	s_addc_u32 s11, s29, 0
	s_lshl_b32 s12, s8, 6
	s_ashr_i32 s13, s12, 31
	s_mul_hi_u32 s14, s10, s12
	s_mul_i32 s13, s10, s13
	s_add_i32 s13, s14, s13
	s_mul_i32 s11, s11, s12
	s_add_i32 s11, s13, s11
	s_mul_i32 s10, s10, s12
	s_lshl_b64 s[10:11], s[10:11], 3
	s_add_u32 s10, s88, s10
	s_addc_u32 s11, s89, s11
	v_lshlrev_b32_e32 v2, 3, v0
	v_mov_b32_e32 v3, s11
	v_add_co_u32_e32 v2, vcc, s10, v2
	v_addc_co_u32_e32 v3, vcc, 0, v3, vcc
	s_and_saveexec_b64 s[10:11], s[6:7]
	s_xor_b64 s[6:7], exec, s[10:11]
	s_cbranch_execz .LBB163_23
; %bb.20:
	v_or_b32_e32 v4, v1, v0
	v_cmp_gt_u32_e32 vcc, 64, v4
	s_and_saveexec_b64 s[10:11], vcc
; %bb.21:
	v_mov_b32_e32 v4, 0
	v_lshlrev_b32_e32 v6, 3, v7
	v_mov_b32_e32 v5, v4
	ds_write_b64 v6, v[4:5]
; %bb.22:
	s_or_b64 exec, exec, s[10:11]
.LBB163_23:
	s_andn2_saveexec_b64 s[6:7], s[6:7]
	s_cbranch_execz .LBB163_25
; %bb.24:
	v_mad_u64_u32 v[4:5], s[10:11], s28, v1, 0
	v_mad_u64_u32 v[5:6], s[10:11], s29, v1, v[5:6]
	v_lshlrev_b32_e32 v6, 3, v7
	v_lshlrev_b64 v[4:5], 3, v[4:5]
	v_add_co_u32_e32 v4, vcc, v2, v4
	v_addc_co_u32_e32 v5, vcc, v3, v5, vcc
	flat_load_dwordx2 v[4:5], v[4:5]
	s_waitcnt vmcnt(0) lgkmcnt(0)
	v_xor_b32_e32 v4, 0x80000000, v4
	v_xor_b32_e32 v5, 0x80000000, v5
	ds_write_b64 v6, v[4:5]
.LBB163_25:
	s_or_b64 exec, exec, s[6:7]
	v_add_u32_e32 v5, 16, v1
	v_lshl_add_u32 v4, v5, 6, v0
	v_cmp_le_u32_e32 vcc, v0, v5
	s_and_saveexec_b64 s[6:7], vcc
	s_xor_b64 s[6:7], exec, s[6:7]
	s_cbranch_execz .LBB163_29
; %bb.26:
	v_or_b32_e32 v5, v5, v0
	v_cmp_gt_u32_e32 vcc, 64, v5
	s_and_saveexec_b64 s[10:11], vcc
; %bb.27:
	v_lshlrev_b32_e32 v6, 3, v4
	v_mov_b32_e32 v4, 0
	v_mov_b32_e32 v5, v4
	ds_write_b64 v6, v[4:5]
; %bb.28:
	s_or_b64 exec, exec, s[10:11]
                                        ; implicit-def: $vgpr5
                                        ; implicit-def: $vgpr4
.LBB163_29:
	s_andn2_saveexec_b64 s[6:7], s[6:7]
	s_cbranch_execz .LBB163_31
; %bb.30:
	v_mad_u64_u32 v[9:10], s[10:11], s28, v5, 0
	v_lshlrev_b32_e32 v4, 3, v4
	v_mov_b32_e32 v6, v10
	v_mad_u64_u32 v[5:6], s[10:11], s29, v5, v[6:7]
	v_mov_b32_e32 v10, v5
	v_lshlrev_b64 v[5:6], 3, v[9:10]
	v_add_co_u32_e32 v5, vcc, v2, v5
	v_addc_co_u32_e32 v6, vcc, v3, v6, vcc
	flat_load_dwordx2 v[5:6], v[5:6]
	s_waitcnt vmcnt(0) lgkmcnt(0)
	v_xor_b32_e32 v5, 0x80000000, v5
	v_xor_b32_e32 v6, 0x80000000, v6
	ds_write_b64 v4, v[5:6]
.LBB163_31:
	s_or_b64 exec, exec, s[6:7]
	v_add_u32_e32 v5, 32, v1
	v_lshl_add_u32 v4, v5, 6, v0
	v_cmp_le_u32_e32 vcc, v0, v5
	s_and_saveexec_b64 s[6:7], vcc
	s_xor_b64 s[6:7], exec, s[6:7]
	s_cbranch_execz .LBB163_35
; %bb.32:
	v_or_b32_e32 v5, v5, v0
	v_cmp_gt_u32_e32 vcc, 64, v5
	s_and_saveexec_b64 s[10:11], vcc
; %bb.33:
	v_lshlrev_b32_e32 v6, 3, v4
	v_mov_b32_e32 v4, 0
	v_mov_b32_e32 v5, v4
	ds_write_b64 v6, v[4:5]
; %bb.34:
	s_or_b64 exec, exec, s[10:11]
                                        ; implicit-def: $vgpr5
                                        ; implicit-def: $vgpr4
.LBB163_35:
	s_andn2_saveexec_b64 s[6:7], s[6:7]
	s_cbranch_execz .LBB163_37
; %bb.36:
	v_mad_u64_u32 v[9:10], s[10:11], s28, v5, 0
	v_lshlrev_b32_e32 v4, 3, v4
	v_mov_b32_e32 v6, v10
	v_mad_u64_u32 v[5:6], s[10:11], s29, v5, v[6:7]
	v_mov_b32_e32 v10, v5
	v_lshlrev_b64 v[5:6], 3, v[9:10]
	v_add_co_u32_e32 v5, vcc, v2, v5
	v_addc_co_u32_e32 v6, vcc, v3, v6, vcc
	flat_load_dwordx2 v[5:6], v[5:6]
	s_waitcnt vmcnt(0) lgkmcnt(0)
	v_xor_b32_e32 v5, 0x80000000, v5
	v_xor_b32_e32 v6, 0x80000000, v6
	ds_write_b64 v4, v[5:6]
.LBB163_37:
	s_or_b64 exec, exec, s[6:7]
	v_add_u32_e32 v5, 48, v1
	v_lshl_add_u32 v4, v5, 6, v0
	v_cmp_le_u32_e32 vcc, v0, v5
	s_and_saveexec_b64 s[6:7], vcc
	s_xor_b64 s[6:7], exec, s[6:7]
	s_cbranch_execz .LBB163_41
; %bb.38:
	v_or_b32_e32 v2, v5, v0
	v_cmp_gt_u32_e32 vcc, 64, v2
	s_and_saveexec_b64 s[10:11], vcc
; %bb.39:
	v_mov_b32_e32 v2, 0
	v_lshlrev_b32_e32 v4, 3, v4
	v_mov_b32_e32 v3, v2
	ds_write_b64 v4, v[2:3]
; %bb.40:
	s_or_b64 exec, exec, s[10:11]
                                        ; implicit-def: $vgpr5
                                        ; implicit-def: $vgpr2
                                        ; implicit-def: $vgpr3
                                        ; implicit-def: $vgpr4
.LBB163_41:
	s_andn2_saveexec_b64 s[6:7], s[6:7]
	s_cbranch_execz .LBB163_43
; %bb.42:
	v_mad_u64_u32 v[9:10], s[10:11], s28, v5, 0
	v_lshlrev_b32_e32 v4, 3, v4
	v_mov_b32_e32 v6, v10
	v_mad_u64_u32 v[5:6], s[10:11], s29, v5, v[6:7]
	v_mov_b32_e32 v10, v5
	v_lshlrev_b64 v[5:6], 3, v[9:10]
	v_add_co_u32_e32 v2, vcc, v2, v5
	v_addc_co_u32_e32 v3, vcc, v3, v6, vcc
	flat_load_dwordx2 v[2:3], v[2:3]
	s_waitcnt vmcnt(0) lgkmcnt(0)
	v_xor_b32_e32 v2, 0x80000000, v2
	v_xor_b32_e32 v3, 0x80000000, v3
	ds_write_b64 v4, v[2:3]
.LBB163_43:
	s_or_b64 exec, exec, s[6:7]
	s_mov_b64 s[10:11], 0
.LBB163_44:
	s_and_b64 vcc, exec, s[10:11]
	s_cbranch_vccz .LBB163_70
; %bb.45:
	s_add_u32 s6, s28, 1
	s_addc_u32 s7, s29, 0
	s_lshl_b32 s10, s8, 6
	s_ashr_i32 s11, s10, 31
	s_mul_hi_u32 s12, s6, s10
	s_mul_i32 s11, s6, s11
	s_add_i32 s11, s12, s11
	s_mul_i32 s7, s7, s10
	s_add_i32 s7, s11, s7
	s_mul_i32 s6, s6, s10
	s_lshl_b64 s[6:7], s[6:7], 3
	s_add_u32 s6, s88, s6
	s_addc_u32 s7, s89, s7
	v_lshlrev_b32_e32 v2, 3, v0
	v_mov_b32_e32 v3, s7
	v_add_co_u32_e64 v2, s[6:7], s6, v2
	v_addc_co_u32_e64 v3, s[6:7], 0, v3, s[6:7]
	v_max_i32_e32 v4, v1, v0
	v_cmp_le_u32_e64 s[6:7], v0, v1
	v_cmp_le_i32_e64 s[10:11], s9, v4
	v_cmp_gt_i32_e32 vcc, s9, v0
	s_or_b64 s[6:7], s[10:11], s[6:7]
	s_and_saveexec_b64 s[10:11], s[6:7]
	s_xor_b64 s[10:11], exec, s[10:11]
	s_cbranch_execz .LBB163_49
; %bb.46:
	v_or_b32_e32 v4, v1, v0
	v_cmp_gt_u32_e64 s[6:7], 64, v4
	s_and_saveexec_b64 s[12:13], s[6:7]
; %bb.47:
	v_mov_b32_e32 v4, 0
	v_lshlrev_b32_e32 v6, 3, v7
	v_mov_b32_e32 v5, v4
	ds_write_b64 v6, v[4:5]
; %bb.48:
	s_or_b64 exec, exec, s[12:13]
.LBB163_49:
	s_andn2_saveexec_b64 s[10:11], s[10:11]
	s_cbranch_execz .LBB163_51
; %bb.50:
	v_mad_u64_u32 v[4:5], s[6:7], s28, v1, 0
	v_mad_u64_u32 v[5:6], s[6:7], s29, v1, v[5:6]
	v_lshlrev_b32_e32 v6, 3, v7
	v_lshlrev_b64 v[4:5], 3, v[4:5]
	v_add_co_u32_e64 v4, s[6:7], v2, v4
	v_addc_co_u32_e64 v5, s[6:7], v3, v5, s[6:7]
	flat_load_dwordx2 v[4:5], v[4:5]
	s_waitcnt vmcnt(0) lgkmcnt(0)
	v_xor_b32_e32 v4, 0x80000000, v4
	v_xor_b32_e32 v5, 0x80000000, v5
	ds_write_b64 v6, v[4:5]
.LBB163_51:
	s_or_b64 exec, exec, s[10:11]
	v_add_u32_e32 v5, 16, v1
	v_cmp_gt_u32_e64 s[6:7], v0, v5
	v_cmp_gt_i32_e64 s[10:11], s9, v5
	s_and_b64 s[6:7], s[6:7], s[10:11]
	s_and_b64 s[6:7], s[6:7], vcc
	v_lshl_add_u32 v4, v5, 6, v0
	s_xor_b64 s[6:7], s[6:7], -1
	s_and_saveexec_b64 s[10:11], s[6:7]
	s_xor_b64 s[10:11], exec, s[10:11]
	s_cbranch_execz .LBB163_55
; %bb.52:
	v_or_b32_e32 v5, v5, v0
	v_cmp_gt_u32_e64 s[6:7], 64, v5
	s_and_saveexec_b64 s[12:13], s[6:7]
; %bb.53:
	v_lshlrev_b32_e32 v6, 3, v4
	v_mov_b32_e32 v4, 0
	v_mov_b32_e32 v5, v4
	ds_write_b64 v6, v[4:5]
; %bb.54:
	s_or_b64 exec, exec, s[12:13]
                                        ; implicit-def: $vgpr5
                                        ; implicit-def: $vgpr4
.LBB163_55:
	s_andn2_saveexec_b64 s[10:11], s[10:11]
	s_cbranch_execz .LBB163_57
; %bb.56:
	v_mad_u64_u32 v[9:10], s[6:7], s28, v5, 0
	v_lshlrev_b32_e32 v4, 3, v4
	v_mov_b32_e32 v6, v10
	v_mad_u64_u32 v[5:6], s[6:7], s29, v5, v[6:7]
	v_mov_b32_e32 v10, v5
	v_lshlrev_b64 v[5:6], 3, v[9:10]
	v_add_co_u32_e64 v5, s[6:7], v2, v5
	v_addc_co_u32_e64 v6, s[6:7], v3, v6, s[6:7]
	flat_load_dwordx2 v[5:6], v[5:6]
	s_waitcnt vmcnt(0) lgkmcnt(0)
	v_xor_b32_e32 v5, 0x80000000, v5
	v_xor_b32_e32 v6, 0x80000000, v6
	ds_write_b64 v4, v[5:6]
.LBB163_57:
	s_or_b64 exec, exec, s[10:11]
	v_add_u32_e32 v5, 32, v1
	v_cmp_gt_u32_e64 s[6:7], v0, v5
	v_cmp_gt_i32_e64 s[10:11], s9, v5
	s_and_b64 s[6:7], s[6:7], s[10:11]
	s_and_b64 s[6:7], s[6:7], vcc
	v_lshl_add_u32 v4, v5, 6, v0
	s_xor_b64 s[6:7], s[6:7], -1
	s_and_saveexec_b64 s[10:11], s[6:7]
	s_xor_b64 s[10:11], exec, s[10:11]
	s_cbranch_execz .LBB163_61
; %bb.58:
	v_or_b32_e32 v5, v5, v0
	v_cmp_gt_u32_e64 s[6:7], 64, v5
	s_and_saveexec_b64 s[12:13], s[6:7]
; %bb.59:
	v_lshlrev_b32_e32 v6, 3, v4
	v_mov_b32_e32 v4, 0
	v_mov_b32_e32 v5, v4
	ds_write_b64 v6, v[4:5]
; %bb.60:
	s_or_b64 exec, exec, s[12:13]
                                        ; implicit-def: $vgpr5
                                        ; implicit-def: $vgpr4
.LBB163_61:
	s_andn2_saveexec_b64 s[10:11], s[10:11]
	s_cbranch_execz .LBB163_63
; %bb.62:
	v_mad_u64_u32 v[9:10], s[6:7], s28, v5, 0
	v_lshlrev_b32_e32 v4, 3, v4
	v_mov_b32_e32 v6, v10
	v_mad_u64_u32 v[5:6], s[6:7], s29, v5, v[6:7]
	v_mov_b32_e32 v10, v5
	v_lshlrev_b64 v[5:6], 3, v[9:10]
	v_add_co_u32_e64 v5, s[6:7], v2, v5
	v_addc_co_u32_e64 v6, s[6:7], v3, v6, s[6:7]
	flat_load_dwordx2 v[5:6], v[5:6]
	s_waitcnt vmcnt(0) lgkmcnt(0)
	v_xor_b32_e32 v5, 0x80000000, v5
	v_xor_b32_e32 v6, 0x80000000, v6
	ds_write_b64 v4, v[5:6]
.LBB163_63:
	s_or_b64 exec, exec, s[10:11]
	v_add_u32_e32 v5, 48, v1
	v_cmp_gt_u32_e64 s[6:7], v0, v5
	v_cmp_gt_i32_e64 s[10:11], s9, v5
	s_and_b64 s[6:7], s[6:7], s[10:11]
	s_and_b64 s[6:7], s[6:7], vcc
	v_lshl_add_u32 v4, v5, 6, v0
	s_xor_b64 s[6:7], s[6:7], -1
	s_and_saveexec_b64 s[10:11], s[6:7]
	s_xor_b64 s[6:7], exec, s[10:11]
	s_cbranch_execz .LBB163_67
; %bb.64:
	v_or_b32_e32 v2, v5, v0
	v_cmp_gt_u32_e32 vcc, 64, v2
	s_and_saveexec_b64 s[10:11], vcc
; %bb.65:
	v_mov_b32_e32 v2, 0
	v_lshlrev_b32_e32 v4, 3, v4
	v_mov_b32_e32 v3, v2
	ds_write_b64 v4, v[2:3]
; %bb.66:
	s_or_b64 exec, exec, s[10:11]
                                        ; implicit-def: $vgpr5
                                        ; implicit-def: $vgpr2
                                        ; implicit-def: $vgpr3
                                        ; implicit-def: $vgpr4
.LBB163_67:
	s_andn2_saveexec_b64 s[6:7], s[6:7]
	s_cbranch_execz .LBB163_69
; %bb.68:
	v_mad_u64_u32 v[9:10], s[10:11], s28, v5, 0
	v_lshlrev_b32_e32 v4, 3, v4
	v_mov_b32_e32 v6, v10
	v_mad_u64_u32 v[5:6], s[10:11], s29, v5, v[6:7]
	v_mov_b32_e32 v10, v5
	v_lshlrev_b64 v[5:6], 3, v[9:10]
	v_add_co_u32_e32 v2, vcc, v2, v5
	v_addc_co_u32_e32 v3, vcc, v3, v6, vcc
	flat_load_dwordx2 v[2:3], v[2:3]
	s_waitcnt vmcnt(0) lgkmcnt(0)
	v_xor_b32_e32 v2, 0x80000000, v2
	v_xor_b32_e32 v3, 0x80000000, v3
	ds_write_b64 v4, v[2:3]
.LBB163_69:
	s_or_b64 exec, exec, s[6:7]
.LBB163_70:
	s_cmp_lt_i32 s8, 5
	s_cselect_b64 s[6:7], -1, 0
	s_or_b64 s[36:37], s[6:7], s[30:31]
	s_and_b64 vcc, exec, s[36:37]
	s_waitcnt vmcnt(0) lgkmcnt(0)
	s_barrier
	s_cbranch_vccnz .LBB163_930
; %bb.71:
	v_or_b32_e32 v2, v0, v1
	s_mov_b32 s11, 0
	v_cmp_eq_u32_e32 vcc, 0, v2
	s_and_saveexec_b64 s[6:7], vcc
; %bb.72:
	s_mov_b32 s10, 1.0
	v_mov_b32_e32 v2, s10
	v_mov_b32_e32 v4, 0
	;; [unrolled: 1-line block ×3, first 2 shown]
	ds_write2_b64 v4, v[2:3], v[2:3] offset1:65
; %bb.73:
	s_or_b64 exec, exec, s[6:7]
	v_and_b32_e32 v9, 1, v0
	v_lshrrev_b32_e32 v6, 1, v7
	v_lshlrev_b32_e32 v2, 3, v9
	v_cmp_lt_u32_e64 s[10:11], 3, v7
	v_cmp_gt_u32_e64 s[6:7], 4, v7
	v_lshl_or_b32 v4, v6, 9, v2
	v_mov_b32_e32 v3, 0
	v_mov_b32_e32 v2, 0
	s_waitcnt lgkmcnt(0)
	s_barrier
	s_and_saveexec_b64 s[14:15], s[6:7]
	s_cbranch_execz .LBB163_77
; %bb.74:
	v_mul_u32_u24_e32 v5, 0x208, v6
	ds_read_b64 v[2:3], v4 offset:16
	ds_read_b64 v[10:11], v5
	v_cmp_gt_u32_e64 s[12:13], 2, v7
	s_waitcnt lgkmcnt(0)
	v_mul_f32_e32 v5, v11, v3
	v_mul_f32_e32 v3, v10, v3
	v_fma_f32 v5, v10, v2, -v5
	v_fmac_f32_e32 v3, v11, v2
	v_add_f32_e32 v2, 0, v5
	v_add_f32_e32 v3, 0, v3
	s_and_saveexec_b64 s[16:17], s[12:13]
	s_cbranch_execz .LBB163_76
; %bb.75:
	v_lshlrev_b32_e32 v5, 3, v0
	v_mov_b32_e32 v12, 0
	ds_read_b64 v[10:11], v5 offset:528
	ds_read_b64 v[12:13], v12 offset:8
	s_waitcnt lgkmcnt(0)
	v_mul_f32_e32 v5, v13, v11
	v_mul_f32_e32 v11, v12, v11
	v_fma_f32 v5, v12, v10, -v5
	v_fmac_f32_e32 v11, v13, v10
	v_add_f32_e32 v2, v2, v5
	v_add_f32_e32 v3, v3, v11
.LBB163_76:
	s_or_b64 exec, exec, s[16:17]
	v_xor_b32_e32 v2, 0x80000000, v2
	v_xor_b32_e32 v3, 0x80000000, v3
.LBB163_77:
	s_or_b64 exec, exec, s[14:15]
	v_mov_b32_e32 v5, 0x8000
	v_cmp_eq_u32_e64 s[12:13], 0, v9
	s_xor_b64 s[14:15], s[10:11], -1
	v_lshl_add_u32 v5, v6, 3, v5
	s_and_b64 s[40:41], s[12:13], s[14:15]
	s_and_saveexec_b64 s[10:11], s[40:41]
; %bb.78:
	ds_write_b64 v5, v[2:3]
; %bb.79:
	s_or_b64 exec, exec, s[10:11]
	v_cmp_ne_u32_e64 s[10:11], 0, v9
	s_and_b64 s[38:39], s[10:11], s[14:15]
	s_waitcnt lgkmcnt(0)
	s_barrier
	s_and_saveexec_b64 s[10:11], s[38:39]
	s_cbranch_execz .LBB163_81
; %bb.80:
	v_mov_b32_e32 v9, 0
	ds_read_b64 v[9:10], v9 offset:1048
	ds_read_b64 v[11:12], v5
	s_waitcnt lgkmcnt(0)
	v_mul_f32_e32 v13, v12, v10
	v_mul_f32_e32 v10, v11, v10
	v_fma_f32 v11, v11, v9, -v13
	v_fmac_f32_e32 v10, v12, v9
	v_add_f32_e32 v2, v2, v11
	v_add_f32_e32 v3, v3, v10
.LBB163_81:
	s_or_b64 exec, exec, s[10:11]
	s_barrier
	s_and_saveexec_b64 s[10:11], s[38:39]
; %bb.82:
	ds_write_b64 v5, v[2:3]
; %bb.83:
	s_or_b64 exec, exec, s[10:11]
	s_waitcnt lgkmcnt(0)
	s_barrier
	s_barrier
	s_and_saveexec_b64 s[10:11], s[6:7]
; %bb.84:
	v_xor_b32_e32 v3, 0x80000000, v3
	v_xor_b32_e32 v2, 0x80000000, v2
	ds_write_b64 v4, v[2:3] offset:16
; %bb.85:
	s_or_b64 exec, exec, s[10:11]
	s_waitcnt lgkmcnt(0)
	s_barrier
	s_barrier
	s_and_saveexec_b64 s[10:11], vcc
; %bb.86:
	s_mov_b64 s[12:13], 0x3f800000
	v_mov_b32_e32 v2, s12
	v_mov_b32_e32 v9, 0
	;; [unrolled: 1-line block ×3, first 2 shown]
	ds_write2_b64 v9, v[2:3], v[2:3] offset0:130 offset1:195
; %bb.87:
	s_or_b64 exec, exec, s[10:11]
	v_and_b32_e32 v12, 3, v0
	v_lshrrev_b32_e32 v13, 2, v7
	v_lshlrev_b32_e32 v10, 3, v12
	v_cmp_lt_u32_e64 s[10:11], 15, v7
	v_cmp_gt_u32_e64 s[18:19], 16, v7
	v_lshl_or_b32 v9, v13, 9, v10
	v_mov_b32_e32 v3, 0
	v_mov_b32_e32 v2, 0
	s_waitcnt lgkmcnt(0)
	s_barrier
	s_and_saveexec_b64 s[14:15], s[18:19]
	s_cbranch_execz .LBB163_93
; %bb.88:
	v_mul_u32_u24_e32 v11, 0x208, v13
	ds_read_b64 v[2:3], v9 offset:32
	ds_read_b64 v[14:15], v11
	v_cmp_gt_u32_e64 s[12:13], 12, v7
	s_waitcnt lgkmcnt(0)
	v_mul_f32_e32 v16, v15, v3
	v_mul_f32_e32 v3, v14, v3
	v_fma_f32 v14, v14, v2, -v16
	v_fmac_f32_e32 v3, v15, v2
	v_add_f32_e32 v2, 0, v14
	v_add_f32_e32 v3, 0, v3
	s_and_saveexec_b64 s[16:17], s[12:13]
	s_cbranch_execnz .LBB163_990
; %bb.89:
	s_or_b64 exec, exec, s[16:17]
	v_cmp_gt_u32_e64 s[12:13], 8, v7
	s_and_saveexec_b64 s[16:17], s[12:13]
	s_cbranch_execnz .LBB163_991
.LBB163_90:
	s_or_b64 exec, exec, s[16:17]
	v_cmp_gt_u32_e64 s[12:13], 4, v7
	s_and_saveexec_b64 s[16:17], s[12:13]
	s_cbranch_execz .LBB163_92
.LBB163_91:
	v_lshlrev_b32_e32 v11, 3, v0
	v_mov_b32_e32 v16, 0
	ds_read_b64 v[14:15], v11 offset:1568
	ds_read_b64 v[16:17], v16 offset:24
	s_waitcnt lgkmcnt(0)
	v_mul_f32_e32 v11, v17, v15
	v_mul_f32_e32 v15, v16, v15
	v_fma_f32 v11, v16, v14, -v11
	v_fmac_f32_e32 v15, v17, v14
	v_add_f32_e32 v2, v2, v11
	v_add_f32_e32 v3, v3, v15
.LBB163_92:
	s_or_b64 exec, exec, s[16:17]
	v_xor_b32_e32 v2, 0x80000000, v2
	v_xor_b32_e32 v3, 0x80000000, v3
.LBB163_93:
	s_or_b64 exec, exec, s[14:15]
	v_mov_b32_e32 v11, 0x8000
	v_cmp_eq_u32_e64 s[12:13], 0, v12
	s_xor_b64 s[14:15], s[10:11], -1
	v_lshl_add_u32 v11, v13, 3, v11
	s_and_b64 s[44:45], s[12:13], s[14:15]
	s_and_saveexec_b64 s[10:11], s[44:45]
; %bb.94:
	ds_write_b64 v11, v[2:3]
; %bb.95:
	s_or_b64 exec, exec, s[10:11]
	v_cmp_ne_u32_e64 s[10:11], 0, v12
	s_and_b64 s[46:47], s[10:11], s[14:15]
	s_waitcnt lgkmcnt(0)
	s_barrier
	s_and_saveexec_b64 s[10:11], s[46:47]
	s_cbranch_execz .LBB163_97
; %bb.96:
	ds_read_b64 v[14:15], v10 offset:2080
	ds_read_b64 v[16:17], v11
	s_waitcnt lgkmcnt(0)
	v_mul_f32_e32 v18, v17, v15
	v_mul_f32_e32 v15, v16, v15
	v_fma_f32 v16, v16, v14, -v18
	v_fmac_f32_e32 v15, v17, v14
	v_add_f32_e32 v2, v2, v16
	v_add_f32_e32 v3, v3, v15
.LBB163_97:
	s_or_b64 exec, exec, s[10:11]
	v_cmp_eq_u32_e64 s[10:11], 1, v12
	s_and_b64 s[48:49], s[10:11], s[14:15]
	s_barrier
	s_and_saveexec_b64 s[10:11], s[48:49]
; %bb.98:
	ds_write_b64 v11, v[2:3]
; %bb.99:
	s_or_b64 exec, exec, s[10:11]
	v_cmp_lt_u32_e64 s[10:11], 1, v12
	s_and_b64 s[50:51], s[10:11], s[14:15]
	s_waitcnt lgkmcnt(0)
	s_barrier
	s_and_saveexec_b64 s[10:11], s[50:51]
	s_cbranch_execz .LBB163_101
; %bb.100:
	ds_read_b64 v[14:15], v10 offset:2592
	ds_read_b64 v[16:17], v11
	s_waitcnt lgkmcnt(0)
	v_mul_f32_e32 v18, v17, v15
	v_mul_f32_e32 v15, v16, v15
	v_fma_f32 v16, v16, v14, -v18
	v_fmac_f32_e32 v15, v17, v14
	v_add_f32_e32 v2, v2, v16
	v_add_f32_e32 v3, v3, v15
.LBB163_101:
	s_or_b64 exec, exec, s[10:11]
	v_cmp_eq_u32_e64 s[10:11], 2, v12
	s_and_b64 s[52:53], s[10:11], s[14:15]
	s_barrier
	s_and_saveexec_b64 s[10:11], s[52:53]
; %bb.102:
	ds_write_b64 v11, v[2:3]
; %bb.103:
	s_or_b64 exec, exec, s[10:11]
	v_cmp_eq_u32_e64 s[10:11], 3, v12
	s_and_b64 s[42:43], s[10:11], s[14:15]
	s_waitcnt lgkmcnt(0)
	s_barrier
	s_and_saveexec_b64 s[10:11], s[42:43]
	s_cbranch_execz .LBB163_105
; %bb.104:
	v_mov_b32_e32 v14, 0
	ds_read_b64 v[14:15], v14 offset:3128
	ds_read_b64 v[16:17], v11
	s_waitcnt lgkmcnt(0)
	v_mul_f32_e32 v18, v17, v15
	v_mul_f32_e32 v15, v16, v15
	v_fma_f32 v16, v16, v14, -v18
	v_fmac_f32_e32 v15, v17, v14
	v_add_f32_e32 v2, v2, v16
	v_add_f32_e32 v3, v3, v15
.LBB163_105:
	s_or_b64 exec, exec, s[10:11]
	s_barrier
	s_and_saveexec_b64 s[10:11], s[42:43]
; %bb.106:
	ds_write_b64 v11, v[2:3]
; %bb.107:
	s_or_b64 exec, exec, s[10:11]
	s_waitcnt lgkmcnt(0)
	s_barrier
	s_barrier
	s_and_saveexec_b64 s[10:11], s[18:19]
; %bb.108:
	v_xor_b32_e32 v2, 0x80000000, v2
	v_xor_b32_e32 v3, 0x80000000, v3
	ds_write_b64 v9, v[2:3] offset:32
; %bb.109:
	s_or_b64 exec, exec, s[10:11]
	s_waitcnt lgkmcnt(0)
	s_barrier
	s_barrier
	s_and_saveexec_b64 s[10:11], vcc
	s_cbranch_execz .LBB163_111
; %bb.110:
	s_mov_b64 s[12:13], 0x3f800000
	v_mov_b32_e32 v2, s12
	v_mov_b32_e32 v3, s13
	s_movk_i32 s12, 0x800
	v_add_u32_e64 v14, s12, 0
	ds_write2_b64 v14, v[2:3], v[2:3] offset0:4 offset1:69
.LBB163_111:
	s_or_b64 exec, exec, s[10:11]
	v_mov_b32_e32 v3, 0
	v_mov_b32_e32 v2, 0
	s_waitcnt lgkmcnt(0)
	s_barrier
	s_and_saveexec_b64 s[12:13], s[6:7]
	s_cbranch_execz .LBB163_115
; %bb.112:
	v_mul_u32_u24_e32 v14, 0x208, v6
	ds_read_b64 v[2:3], v4 offset:2096
	ds_read_b64 v[14:15], v14 offset:2080
	v_cmp_gt_u32_e64 s[10:11], 2, v7
	s_waitcnt lgkmcnt(0)
	v_mul_f32_e32 v16, v15, v3
	v_mul_f32_e32 v3, v14, v3
	v_fma_f32 v14, v14, v2, -v16
	v_fmac_f32_e32 v3, v15, v2
	v_add_f32_e32 v2, 0, v14
	v_add_f32_e32 v3, 0, v3
	s_and_saveexec_b64 s[14:15], s[10:11]
	s_cbranch_execz .LBB163_114
; %bb.113:
	v_lshlrev_b32_e32 v14, 3, v0
	v_mov_b32_e32 v16, 0
	ds_read_b64 v[14:15], v14 offset:2608
	ds_read_b64 v[16:17], v16 offset:2088
	s_waitcnt lgkmcnt(0)
	v_mul_f32_e32 v18, v17, v15
	v_mul_f32_e32 v15, v16, v15
	v_fma_f32 v16, v16, v14, -v18
	v_fmac_f32_e32 v15, v17, v14
	v_add_f32_e32 v2, v2, v16
	v_add_f32_e32 v3, v3, v15
.LBB163_114:
	s_or_b64 exec, exec, s[14:15]
	v_xor_b32_e32 v2, 0x80000000, v2
	v_xor_b32_e32 v3, 0x80000000, v3
.LBB163_115:
	s_or_b64 exec, exec, s[12:13]
	s_and_saveexec_b64 s[10:11], s[40:41]
; %bb.116:
	ds_write_b64 v5, v[2:3]
; %bb.117:
	s_or_b64 exec, exec, s[10:11]
	s_waitcnt lgkmcnt(0)
	s_barrier
	s_and_saveexec_b64 s[10:11], s[38:39]
	s_cbranch_execz .LBB163_119
; %bb.118:
	v_mov_b32_e32 v14, 0
	ds_read_b64 v[14:15], v14 offset:3128
	ds_read_b64 v[16:17], v5
	s_waitcnt lgkmcnt(0)
	v_mul_f32_e32 v18, v17, v15
	v_mul_f32_e32 v15, v16, v15
	v_fma_f32 v16, v16, v14, -v18
	v_fmac_f32_e32 v15, v17, v14
	v_add_f32_e32 v2, v2, v16
	v_add_f32_e32 v3, v3, v15
.LBB163_119:
	s_or_b64 exec, exec, s[10:11]
	s_barrier
	s_and_saveexec_b64 s[10:11], s[38:39]
; %bb.120:
	ds_write_b64 v5, v[2:3]
; %bb.121:
	s_or_b64 exec, exec, s[10:11]
	s_waitcnt lgkmcnt(0)
	s_barrier
	s_barrier
	s_and_saveexec_b64 s[10:11], s[6:7]
; %bb.122:
	v_xor_b32_e32 v3, 0x80000000, v3
	v_xor_b32_e32 v2, 0x80000000, v2
	ds_write_b64 v4, v[2:3] offset:2096
; %bb.123:
	s_or_b64 exec, exec, s[10:11]
	s_waitcnt lgkmcnt(0)
	s_barrier
	s_barrier
	s_and_saveexec_b64 s[10:11], vcc
	s_cbranch_execz .LBB163_125
; %bb.124:
	s_mov_b64 s[12:13], 0x3f800000
	v_mov_b32_e32 v2, s12
	v_mov_b32_e32 v3, s13
	s_movk_i32 s12, 0x800
	v_add_u32_e64 v14, s12, 0
	ds_write2_b64 v14, v[2:3], v[2:3] offset0:134 offset1:199
.LBB163_125:
	s_or_b64 exec, exec, s[10:11]
	v_and_b32_e32 v17, 7, v0
	v_lshrrev_b32_e32 v18, 3, v7
	v_lshlrev_b32_e32 v15, 3, v17
	v_cmp_lt_u32_e64 s[12:13], 63, v7
	v_cmp_gt_u32_e64 s[10:11], 64, v7
	v_lshl_or_b32 v14, v18, 9, v15
	v_mov_b32_e32 v3, 0
	v_mov_b32_e32 v2, 0
	s_waitcnt lgkmcnt(0)
	s_barrier
	s_and_saveexec_b64 s[16:17], s[10:11]
	s_cbranch_execz .LBB163_135
; %bb.126:
	v_mul_u32_u24_e32 v16, 0x208, v18
	ds_read_b64 v[2:3], v14 offset:64
	ds_read_b64 v[19:20], v16
	v_cmp_gt_u32_e64 s[14:15], 56, v7
	s_waitcnt lgkmcnt(0)
	v_mul_f32_e32 v21, v20, v3
	v_mul_f32_e32 v3, v19, v3
	v_fma_f32 v19, v19, v2, -v21
	v_fmac_f32_e32 v3, v20, v2
	v_add_f32_e32 v2, 0, v19
	v_add_f32_e32 v3, 0, v3
	s_and_saveexec_b64 s[20:21], s[14:15]
	s_cbranch_execnz .LBB163_992
; %bb.127:
	s_or_b64 exec, exec, s[20:21]
	v_cmp_gt_u32_e64 s[14:15], 48, v7
	s_and_saveexec_b64 s[20:21], s[14:15]
	s_cbranch_execnz .LBB163_993
.LBB163_128:
	s_or_b64 exec, exec, s[20:21]
	v_cmp_gt_u32_e64 s[14:15], 40, v7
	s_and_saveexec_b64 s[20:21], s[14:15]
	s_cbranch_execnz .LBB163_994
.LBB163_129:
	s_or_b64 exec, exec, s[20:21]
	v_cmp_gt_u32_e64 s[14:15], 32, v7
	s_and_saveexec_b64 s[20:21], s[14:15]
	s_cbranch_execnz .LBB163_995
.LBB163_130:
	s_or_b64 exec, exec, s[20:21]
	v_cmp_gt_u32_e64 s[14:15], 24, v7
	s_and_saveexec_b64 s[20:21], s[14:15]
	s_cbranch_execnz .LBB163_996
.LBB163_131:
	s_or_b64 exec, exec, s[20:21]
	v_cmp_gt_u32_e64 s[14:15], 16, v7
	s_and_saveexec_b64 s[20:21], s[14:15]
	s_cbranch_execnz .LBB163_997
.LBB163_132:
	s_or_b64 exec, exec, s[20:21]
	v_cmp_gt_u32_e64 s[14:15], 8, v7
	s_and_saveexec_b64 s[20:21], s[14:15]
	s_cbranch_execz .LBB163_134
.LBB163_133:
	v_lshlrev_b32_e32 v16, 3, v0
	v_mov_b32_e32 v21, 0
	ds_read_b64 v[19:20], v16 offset:3648
	ds_read_b64 v[21:22], v21 offset:56
	s_waitcnt lgkmcnt(0)
	v_mul_f32_e32 v16, v22, v20
	v_mul_f32_e32 v20, v21, v20
	v_fma_f32 v16, v21, v19, -v16
	v_fmac_f32_e32 v20, v22, v19
	v_add_f32_e32 v2, v2, v16
	v_add_f32_e32 v3, v3, v20
.LBB163_134:
	s_or_b64 exec, exec, s[20:21]
	v_xor_b32_e32 v2, 0x80000000, v2
	v_xor_b32_e32 v3, 0x80000000, v3
.LBB163_135:
	s_or_b64 exec, exec, s[16:17]
	v_mov_b32_e32 v16, 0x8000
	v_cmp_eq_u32_e64 s[14:15], 0, v17
	s_xor_b64 s[16:17], s[12:13], -1
	v_lshl_add_u32 v16, v18, 3, v16
	s_and_b64 s[56:57], s[14:15], s[16:17]
	s_and_saveexec_b64 s[12:13], s[56:57]
; %bb.136:
	ds_write_b64 v16, v[2:3]
; %bb.137:
	s_or_b64 exec, exec, s[12:13]
	v_cmp_ne_u32_e64 s[12:13], 0, v17
	s_and_b64 s[58:59], s[12:13], s[16:17]
	s_waitcnt lgkmcnt(0)
	s_barrier
	s_and_saveexec_b64 s[12:13], s[58:59]
	s_cbranch_execz .LBB163_139
; %bb.138:
	ds_read_b64 v[19:20], v15 offset:4160
	ds_read_b64 v[21:22], v16
	s_waitcnt lgkmcnt(0)
	v_mul_f32_e32 v23, v22, v20
	v_mul_f32_e32 v20, v21, v20
	v_fma_f32 v21, v21, v19, -v23
	v_fmac_f32_e32 v20, v22, v19
	v_add_f32_e32 v2, v2, v21
	v_add_f32_e32 v3, v3, v20
.LBB163_139:
	s_or_b64 exec, exec, s[12:13]
	v_cmp_eq_u32_e64 s[12:13], 1, v17
	s_and_b64 s[60:61], s[12:13], s[16:17]
	s_barrier
	s_and_saveexec_b64 s[12:13], s[60:61]
; %bb.140:
	ds_write_b64 v16, v[2:3]
; %bb.141:
	s_or_b64 exec, exec, s[12:13]
	v_cmp_lt_u32_e64 s[12:13], 1, v17
	s_and_b64 s[62:63], s[12:13], s[16:17]
	s_waitcnt lgkmcnt(0)
	s_barrier
	s_and_saveexec_b64 s[12:13], s[62:63]
	s_cbranch_execz .LBB163_143
; %bb.142:
	ds_read_b64 v[19:20], v15 offset:4672
	ds_read_b64 v[21:22], v16
	s_waitcnt lgkmcnt(0)
	v_mul_f32_e32 v23, v22, v20
	v_mul_f32_e32 v20, v21, v20
	v_fma_f32 v21, v21, v19, -v23
	v_fmac_f32_e32 v20, v22, v19
	v_add_f32_e32 v2, v2, v21
	v_add_f32_e32 v3, v3, v20
.LBB163_143:
	s_or_b64 exec, exec, s[12:13]
	v_cmp_eq_u32_e64 s[12:13], 2, v17
	s_and_b64 s[64:65], s[12:13], s[16:17]
	s_barrier
	s_and_saveexec_b64 s[12:13], s[64:65]
; %bb.144:
	ds_write_b64 v16, v[2:3]
; %bb.145:
	s_or_b64 exec, exec, s[12:13]
	v_cmp_lt_u32_e64 s[12:13], 2, v17
	s_and_b64 s[66:67], s[12:13], s[16:17]
	s_waitcnt lgkmcnt(0)
	s_barrier
	s_and_saveexec_b64 s[12:13], s[66:67]
	s_cbranch_execz .LBB163_147
; %bb.146:
	ds_read_b64 v[19:20], v15 offset:5184
	ds_read_b64 v[21:22], v16
	s_waitcnt lgkmcnt(0)
	v_mul_f32_e32 v23, v22, v20
	v_mul_f32_e32 v20, v21, v20
	v_fma_f32 v21, v21, v19, -v23
	v_fmac_f32_e32 v20, v22, v19
	v_add_f32_e32 v2, v2, v21
	v_add_f32_e32 v3, v3, v20
.LBB163_147:
	s_or_b64 exec, exec, s[12:13]
	v_cmp_eq_u32_e64 s[12:13], 3, v17
	s_and_b64 s[68:69], s[12:13], s[16:17]
	s_barrier
	s_and_saveexec_b64 s[12:13], s[68:69]
; %bb.148:
	ds_write_b64 v16, v[2:3]
; %bb.149:
	s_or_b64 exec, exec, s[12:13]
	v_cmp_lt_u32_e64 s[12:13], 3, v17
	s_and_b64 s[70:71], s[12:13], s[16:17]
	s_waitcnt lgkmcnt(0)
	s_barrier
	s_and_saveexec_b64 s[12:13], s[70:71]
	s_cbranch_execz .LBB163_151
; %bb.150:
	ds_read_b64 v[19:20], v15 offset:5696
	ds_read_b64 v[21:22], v16
	s_waitcnt lgkmcnt(0)
	v_mul_f32_e32 v23, v22, v20
	v_mul_f32_e32 v20, v21, v20
	v_fma_f32 v21, v21, v19, -v23
	v_fmac_f32_e32 v20, v22, v19
	v_add_f32_e32 v2, v2, v21
	v_add_f32_e32 v3, v3, v20
.LBB163_151:
	s_or_b64 exec, exec, s[12:13]
	v_cmp_eq_u32_e64 s[12:13], 4, v17
	s_and_b64 s[72:73], s[12:13], s[16:17]
	s_barrier
	s_and_saveexec_b64 s[12:13], s[72:73]
; %bb.152:
	ds_write_b64 v16, v[2:3]
; %bb.153:
	s_or_b64 exec, exec, s[12:13]
	v_cmp_lt_u32_e64 s[12:13], 4, v17
	s_and_b64 s[74:75], s[12:13], s[16:17]
	s_waitcnt lgkmcnt(0)
	s_barrier
	s_and_saveexec_b64 s[12:13], s[74:75]
	s_cbranch_execz .LBB163_155
; %bb.154:
	ds_read_b64 v[19:20], v15 offset:6208
	ds_read_b64 v[21:22], v16
	s_waitcnt lgkmcnt(0)
	v_mul_f32_e32 v23, v22, v20
	v_mul_f32_e32 v20, v21, v20
	v_fma_f32 v21, v21, v19, -v23
	v_fmac_f32_e32 v20, v22, v19
	v_add_f32_e32 v2, v2, v21
	v_add_f32_e32 v3, v3, v20
.LBB163_155:
	s_or_b64 exec, exec, s[12:13]
	v_cmp_eq_u32_e64 s[12:13], 5, v17
	s_and_b64 s[76:77], s[12:13], s[16:17]
	s_barrier
	s_and_saveexec_b64 s[12:13], s[76:77]
; %bb.156:
	ds_write_b64 v16, v[2:3]
; %bb.157:
	s_or_b64 exec, exec, s[12:13]
	v_cmp_lt_u32_e64 s[12:13], 5, v17
	s_and_b64 s[78:79], s[12:13], s[16:17]
	s_waitcnt lgkmcnt(0)
	s_barrier
	s_and_saveexec_b64 s[12:13], s[78:79]
	s_cbranch_execz .LBB163_159
; %bb.158:
	ds_read_b64 v[19:20], v15 offset:6720
	ds_read_b64 v[21:22], v16
	s_waitcnt lgkmcnt(0)
	v_mul_f32_e32 v23, v22, v20
	v_mul_f32_e32 v20, v21, v20
	v_fma_f32 v21, v21, v19, -v23
	v_fmac_f32_e32 v20, v22, v19
	v_add_f32_e32 v2, v2, v21
	v_add_f32_e32 v3, v3, v20
.LBB163_159:
	s_or_b64 exec, exec, s[12:13]
	v_cmp_eq_u32_e64 s[12:13], 6, v17
	s_and_b64 s[80:81], s[12:13], s[16:17]
	s_barrier
	s_and_saveexec_b64 s[12:13], s[80:81]
; %bb.160:
	ds_write_b64 v16, v[2:3]
; %bb.161:
	s_or_b64 exec, exec, s[12:13]
	v_cmp_eq_u32_e64 s[12:13], 7, v17
	s_and_b64 s[54:55], s[12:13], s[16:17]
	s_waitcnt lgkmcnt(0)
	s_barrier
	s_and_saveexec_b64 s[12:13], s[54:55]
	s_cbranch_execz .LBB163_163
; %bb.162:
	v_mov_b32_e32 v19, 0
	ds_read_b64 v[19:20], v19 offset:7288
	ds_read_b64 v[21:22], v16
	s_waitcnt lgkmcnt(0)
	v_mul_f32_e32 v23, v22, v20
	v_mul_f32_e32 v20, v21, v20
	v_fma_f32 v21, v21, v19, -v23
	v_fmac_f32_e32 v20, v22, v19
	v_add_f32_e32 v2, v2, v21
	v_add_f32_e32 v3, v3, v20
.LBB163_163:
	s_or_b64 exec, exec, s[12:13]
	s_barrier
	s_and_saveexec_b64 s[12:13], s[54:55]
; %bb.164:
	ds_write_b64 v16, v[2:3]
; %bb.165:
	s_or_b64 exec, exec, s[12:13]
	s_waitcnt lgkmcnt(0)
	s_barrier
	s_barrier
	s_and_saveexec_b64 s[12:13], s[10:11]
; %bb.166:
	v_xor_b32_e32 v3, 0x80000000, v3
	v_xor_b32_e32 v2, 0x80000000, v2
	ds_write_b64 v14, v[2:3] offset:64
; %bb.167:
	s_or_b64 exec, exec, s[12:13]
	s_waitcnt lgkmcnt(0)
	s_barrier
	s_barrier
	s_and_saveexec_b64 s[12:13], vcc
	s_cbranch_execz .LBB163_169
; %bb.168:
	s_mov_b64 s[14:15], 0x3f800000
	v_mov_b32_e32 v2, s14
	v_mov_b32_e32 v3, s15
	s_movk_i32 s14, 0x1000
	v_add_u32_e64 v19, s14, 0
	ds_write2_b64 v19, v[2:3], v[2:3] offset0:8 offset1:73
.LBB163_169:
	s_or_b64 exec, exec, s[12:13]
	v_mov_b32_e32 v3, 0
	v_mov_b32_e32 v2, 0
	s_waitcnt lgkmcnt(0)
	s_barrier
	s_and_saveexec_b64 s[14:15], s[6:7]
	s_cbranch_execz .LBB163_173
; %bb.170:
	v_mul_u32_u24_e32 v19, 0x208, v6
	ds_read_b64 v[2:3], v4 offset:4176
	ds_read_b64 v[19:20], v19 offset:4160
	v_cmp_gt_u32_e64 s[12:13], 2, v7
	s_waitcnt lgkmcnt(0)
	v_mul_f32_e32 v21, v20, v3
	v_mul_f32_e32 v3, v19, v3
	v_fma_f32 v19, v19, v2, -v21
	v_fmac_f32_e32 v3, v20, v2
	v_add_f32_e32 v2, 0, v19
	v_add_f32_e32 v3, 0, v3
	s_and_saveexec_b64 s[16:17], s[12:13]
	s_cbranch_execz .LBB163_172
; %bb.171:
	v_lshlrev_b32_e32 v19, 3, v0
	v_mov_b32_e32 v21, 0
	ds_read_b64 v[19:20], v19 offset:4688
	ds_read_b64 v[21:22], v21 offset:4168
	s_waitcnt lgkmcnt(0)
	v_mul_f32_e32 v23, v22, v20
	v_mul_f32_e32 v20, v21, v20
	v_fma_f32 v21, v21, v19, -v23
	v_fmac_f32_e32 v20, v22, v19
	v_add_f32_e32 v2, v2, v21
	v_add_f32_e32 v3, v3, v20
.LBB163_172:
	s_or_b64 exec, exec, s[16:17]
	v_xor_b32_e32 v2, 0x80000000, v2
	v_xor_b32_e32 v3, 0x80000000, v3
.LBB163_173:
	s_or_b64 exec, exec, s[14:15]
	s_and_saveexec_b64 s[12:13], s[40:41]
; %bb.174:
	ds_write_b64 v5, v[2:3]
; %bb.175:
	s_or_b64 exec, exec, s[12:13]
	s_waitcnt lgkmcnt(0)
	s_barrier
	s_and_saveexec_b64 s[12:13], s[38:39]
	s_cbranch_execz .LBB163_177
; %bb.176:
	v_mov_b32_e32 v19, 0
	ds_read_b64 v[19:20], v19 offset:5208
	ds_read_b64 v[21:22], v5
	s_waitcnt lgkmcnt(0)
	v_mul_f32_e32 v23, v22, v20
	v_mul_f32_e32 v20, v21, v20
	v_fma_f32 v21, v21, v19, -v23
	v_fmac_f32_e32 v20, v22, v19
	v_add_f32_e32 v2, v2, v21
	v_add_f32_e32 v3, v3, v20
.LBB163_177:
	s_or_b64 exec, exec, s[12:13]
	s_barrier
	s_and_saveexec_b64 s[12:13], s[38:39]
; %bb.178:
	ds_write_b64 v5, v[2:3]
; %bb.179:
	s_or_b64 exec, exec, s[12:13]
	s_waitcnt lgkmcnt(0)
	s_barrier
	s_barrier
	s_and_saveexec_b64 s[12:13], s[6:7]
; %bb.180:
	v_xor_b32_e32 v3, 0x80000000, v3
	v_xor_b32_e32 v2, 0x80000000, v2
	ds_write_b64 v4, v[2:3] offset:4176
; %bb.181:
	s_or_b64 exec, exec, s[12:13]
	s_waitcnt lgkmcnt(0)
	s_barrier
	s_barrier
	s_and_saveexec_b64 s[12:13], vcc
	s_cbranch_execz .LBB163_183
; %bb.182:
	s_mov_b64 s[14:15], 0x3f800000
	v_mov_b32_e32 v2, s14
	v_mov_b32_e32 v3, s15
	s_movk_i32 s14, 0x1000
	v_add_u32_e64 v19, s14, 0
	ds_write2_b64 v19, v[2:3], v[2:3] offset0:138 offset1:203
.LBB163_183:
	s_or_b64 exec, exec, s[12:13]
	v_mov_b32_e32 v3, 0
	v_mov_b32_e32 v2, 0
	s_waitcnt lgkmcnt(0)
	s_barrier
	s_and_saveexec_b64 s[14:15], s[18:19]
	s_cbranch_execz .LBB163_189
; %bb.184:
	v_mul_u32_u24_e32 v19, 0x208, v13
	ds_read_b64 v[2:3], v9 offset:4192
	ds_read_b64 v[20:21], v19 offset:4160
	v_cmp_gt_u32_e64 s[12:13], 12, v7
	s_waitcnt lgkmcnt(0)
	v_mul_f32_e32 v22, v21, v3
	v_mul_f32_e32 v3, v20, v3
	v_fma_f32 v20, v20, v2, -v22
	v_fmac_f32_e32 v3, v21, v2
	v_add_f32_e32 v2, 0, v20
	v_add_f32_e32 v3, 0, v3
	s_and_saveexec_b64 s[16:17], s[12:13]
	s_cbranch_execnz .LBB163_998
; %bb.185:
	s_or_b64 exec, exec, s[16:17]
	v_cmp_gt_u32_e64 s[12:13], 8, v7
	s_and_saveexec_b64 s[16:17], s[12:13]
	s_cbranch_execnz .LBB163_999
.LBB163_186:
	s_or_b64 exec, exec, s[16:17]
	v_cmp_gt_u32_e64 s[12:13], 4, v7
	s_and_saveexec_b64 s[16:17], s[12:13]
	s_cbranch_execz .LBB163_188
.LBB163_187:
	v_lshlrev_b32_e32 v19, 3, v0
	v_mov_b32_e32 v21, 0
	ds_read_b64 v[19:20], v19 offset:5728
	ds_read_b64 v[21:22], v21 offset:4184
	s_waitcnt lgkmcnt(0)
	v_mul_f32_e32 v23, v22, v20
	v_mul_f32_e32 v20, v21, v20
	v_fma_f32 v21, v21, v19, -v23
	v_fmac_f32_e32 v20, v22, v19
	v_add_f32_e32 v2, v2, v21
	v_add_f32_e32 v3, v3, v20
.LBB163_188:
	s_or_b64 exec, exec, s[16:17]
	v_xor_b32_e32 v2, 0x80000000, v2
	v_xor_b32_e32 v3, 0x80000000, v3
.LBB163_189:
	s_or_b64 exec, exec, s[14:15]
	s_and_saveexec_b64 s[12:13], s[44:45]
; %bb.190:
	ds_write_b64 v11, v[2:3]
; %bb.191:
	s_or_b64 exec, exec, s[12:13]
	s_waitcnt lgkmcnt(0)
	s_barrier
	s_and_saveexec_b64 s[12:13], s[46:47]
	s_cbranch_execz .LBB163_193
; %bb.192:
	ds_read_b64 v[19:20], v10 offset:6240
	ds_read_b64 v[21:22], v11
	s_waitcnt lgkmcnt(0)
	v_mul_f32_e32 v23, v22, v20
	v_mul_f32_e32 v20, v21, v20
	v_fma_f32 v21, v21, v19, -v23
	v_fmac_f32_e32 v20, v22, v19
	v_add_f32_e32 v2, v2, v21
	v_add_f32_e32 v3, v3, v20
.LBB163_193:
	s_or_b64 exec, exec, s[12:13]
	s_barrier
	s_and_saveexec_b64 s[12:13], s[48:49]
; %bb.194:
	ds_write_b64 v11, v[2:3]
; %bb.195:
	s_or_b64 exec, exec, s[12:13]
	s_waitcnt lgkmcnt(0)
	s_barrier
	s_and_saveexec_b64 s[12:13], s[50:51]
	s_cbranch_execz .LBB163_197
; %bb.196:
	ds_read_b64 v[19:20], v10 offset:6752
	ds_read_b64 v[21:22], v11
	s_waitcnt lgkmcnt(0)
	v_mul_f32_e32 v23, v22, v20
	v_mul_f32_e32 v20, v21, v20
	v_fma_f32 v21, v21, v19, -v23
	v_fmac_f32_e32 v20, v22, v19
	v_add_f32_e32 v2, v2, v21
	v_add_f32_e32 v3, v3, v20
.LBB163_197:
	s_or_b64 exec, exec, s[12:13]
	s_barrier
	s_and_saveexec_b64 s[12:13], s[52:53]
; %bb.198:
	ds_write_b64 v11, v[2:3]
; %bb.199:
	s_or_b64 exec, exec, s[12:13]
	s_waitcnt lgkmcnt(0)
	s_barrier
	s_and_saveexec_b64 s[12:13], s[42:43]
	s_cbranch_execz .LBB163_201
; %bb.200:
	v_mov_b32_e32 v19, 0
	ds_read_b64 v[19:20], v19 offset:7288
	ds_read_b64 v[21:22], v11
	s_waitcnt lgkmcnt(0)
	v_mul_f32_e32 v23, v22, v20
	v_mul_f32_e32 v20, v21, v20
	v_fma_f32 v21, v21, v19, -v23
	v_fmac_f32_e32 v20, v22, v19
	v_add_f32_e32 v2, v2, v21
	v_add_f32_e32 v3, v3, v20
.LBB163_201:
	s_or_b64 exec, exec, s[12:13]
	s_barrier
	s_and_saveexec_b64 s[12:13], s[42:43]
; %bb.202:
	ds_write_b64 v11, v[2:3]
; %bb.203:
	s_or_b64 exec, exec, s[12:13]
	s_waitcnt lgkmcnt(0)
	s_barrier
	s_barrier
	s_and_saveexec_b64 s[12:13], s[18:19]
; %bb.204:
	v_xor_b32_e32 v2, 0x80000000, v2
	v_xor_b32_e32 v3, 0x80000000, v3
	ds_write_b64 v9, v[2:3] offset:4192
; %bb.205:
	s_or_b64 exec, exec, s[12:13]
	s_waitcnt lgkmcnt(0)
	s_barrier
	s_barrier
	s_and_saveexec_b64 s[12:13], vcc
	s_cbranch_execz .LBB163_207
; %bb.206:
	s_mov_b64 s[14:15], 0x3f800000
	v_mov_b32_e32 v2, s14
	v_mov_b32_e32 v3, s15
	s_movk_i32 s14, 0x1800
	v_add_u32_e64 v19, s14, 0
	ds_write2_b64 v19, v[2:3], v[2:3] offset0:12 offset1:77
.LBB163_207:
	s_or_b64 exec, exec, s[12:13]
	v_mov_b32_e32 v3, 0
	v_mov_b32_e32 v2, 0
	s_waitcnt lgkmcnt(0)
	s_barrier
	s_and_saveexec_b64 s[14:15], s[6:7]
	s_cbranch_execz .LBB163_211
; %bb.208:
	v_mul_u32_u24_e32 v19, 0x208, v6
	ds_read_b64 v[2:3], v4 offset:6256
	ds_read_b64 v[19:20], v19 offset:6240
	v_cmp_gt_u32_e64 s[12:13], 2, v7
	s_waitcnt lgkmcnt(0)
	v_mul_f32_e32 v21, v20, v3
	v_mul_f32_e32 v3, v19, v3
	v_fma_f32 v19, v19, v2, -v21
	v_fmac_f32_e32 v3, v20, v2
	v_add_f32_e32 v2, 0, v19
	v_add_f32_e32 v3, 0, v3
	s_and_saveexec_b64 s[16:17], s[12:13]
	s_cbranch_execz .LBB163_210
; %bb.209:
	v_lshlrev_b32_e32 v19, 3, v0
	v_mov_b32_e32 v21, 0
	ds_read_b64 v[19:20], v19 offset:6768
	ds_read_b64 v[21:22], v21 offset:6248
	s_waitcnt lgkmcnt(0)
	v_mul_f32_e32 v23, v22, v20
	v_mul_f32_e32 v20, v21, v20
	v_fma_f32 v21, v21, v19, -v23
	v_fmac_f32_e32 v20, v22, v19
	v_add_f32_e32 v2, v2, v21
	v_add_f32_e32 v3, v3, v20
.LBB163_210:
	s_or_b64 exec, exec, s[16:17]
	v_xor_b32_e32 v2, 0x80000000, v2
	v_xor_b32_e32 v3, 0x80000000, v3
.LBB163_211:
	s_or_b64 exec, exec, s[14:15]
	s_and_saveexec_b64 s[12:13], s[40:41]
; %bb.212:
	ds_write_b64 v5, v[2:3]
; %bb.213:
	s_or_b64 exec, exec, s[12:13]
	s_waitcnt lgkmcnt(0)
	s_barrier
	s_and_saveexec_b64 s[12:13], s[38:39]
	s_cbranch_execz .LBB163_215
; %bb.214:
	v_mov_b32_e32 v19, 0
	ds_read_b64 v[19:20], v19 offset:7288
	ds_read_b64 v[21:22], v5
	s_waitcnt lgkmcnt(0)
	v_mul_f32_e32 v23, v22, v20
	v_mul_f32_e32 v20, v21, v20
	v_fma_f32 v21, v21, v19, -v23
	v_fmac_f32_e32 v20, v22, v19
	v_add_f32_e32 v2, v2, v21
	v_add_f32_e32 v3, v3, v20
.LBB163_215:
	s_or_b64 exec, exec, s[12:13]
	s_barrier
	s_and_saveexec_b64 s[12:13], s[38:39]
; %bb.216:
	ds_write_b64 v5, v[2:3]
; %bb.217:
	s_or_b64 exec, exec, s[12:13]
	s_waitcnt lgkmcnt(0)
	s_barrier
	s_barrier
	s_and_saveexec_b64 s[12:13], s[6:7]
; %bb.218:
	v_xor_b32_e32 v3, 0x80000000, v3
	v_xor_b32_e32 v2, 0x80000000, v2
	ds_write_b64 v4, v[2:3] offset:6256
; %bb.219:
	s_or_b64 exec, exec, s[12:13]
	s_waitcnt lgkmcnt(0)
	s_barrier
	s_barrier
	s_and_saveexec_b64 s[12:13], vcc
	s_cbranch_execz .LBB163_221
; %bb.220:
	s_mov_b64 s[14:15], 0x3f800000
	v_mov_b32_e32 v2, s14
	v_mov_b32_e32 v3, s15
	s_movk_i32 s14, 0x1800
	v_add_u32_e64 v19, s14, 0
	ds_write2_b64 v19, v[2:3], v[2:3] offset0:142 offset1:207
.LBB163_221:
	s_or_b64 exec, exec, s[12:13]
	v_lshrrev_b32_e32 v23, 4, v7
	v_and_b32_e32 v20, 15, v0
	s_movk_i32 s12, 0xff
	v_lshlrev_b32_e32 v22, 6, v23
	v_cmp_lt_u32_e64 s[14:15], s12, v7
	s_movk_i32 s12, 0x100
	v_or_b32_e32 v2, v22, v20
	v_cmp_gt_u32_e64 s[12:13], s12, v7
	v_lshlrev_b32_e32 v19, 3, v2
	v_mov_b32_e32 v3, 0
	v_mov_b32_e32 v2, 0
	s_waitcnt lgkmcnt(0)
	s_barrier
	s_and_saveexec_b64 s[20:21], s[12:13]
	s_cbranch_execz .LBB163_249
; %bb.222:
	v_mul_u32_u24_e32 v21, 0x208, v23
	ds_read_b64 v[2:3], v19 offset:128
	ds_read_b64 v[24:25], v21
	s_movk_i32 s16, 0xf0
	v_cmp_gt_u32_e64 s[16:17], s16, v7
	s_waitcnt lgkmcnt(0)
	v_mul_f32_e32 v26, v25, v3
	v_mul_f32_e32 v3, v24, v3
	v_fma_f32 v24, v24, v2, -v26
	v_fmac_f32_e32 v3, v25, v2
	v_add_f32_e32 v2, 0, v24
	v_add_f32_e32 v3, 0, v3
	s_and_saveexec_b64 s[22:23], s[16:17]
	s_cbranch_execz .LBB163_224
; %bb.223:
	v_lshlrev_b32_e32 v24, 3, v23
	v_sub_u32_e32 v24, v21, v24
	v_lshl_add_u32 v24, v20, 3, v24
	ds_read_b64 v[24:25], v24 offset:640
	ds_read_b64 v[26:27], v21 offset:8
	s_waitcnt lgkmcnt(0)
	v_mul_f32_e32 v28, v27, v25
	v_mul_f32_e32 v25, v26, v25
	v_fma_f32 v26, v26, v24, -v28
	v_fmac_f32_e32 v25, v27, v24
	v_add_f32_e32 v2, v2, v26
	v_add_f32_e32 v3, v3, v25
.LBB163_224:
	s_or_b64 exec, exec, s[22:23]
	s_movk_i32 s16, 0xe0
	v_cmp_gt_u32_e64 s[16:17], s16, v7
	s_and_saveexec_b64 s[22:23], s[16:17]
	s_cbranch_execz .LBB163_226
; %bb.225:
	v_lshlrev_b32_e32 v24, 3, v23
	v_sub_u32_e32 v24, v21, v24
	v_lshl_add_u32 v24, v20, 3, v24
	ds_read_b64 v[24:25], v24 offset:1152
	ds_read_b64 v[26:27], v21 offset:16
	s_waitcnt lgkmcnt(0)
	v_mul_f32_e32 v28, v27, v25
	v_mul_f32_e32 v25, v26, v25
	v_fma_f32 v26, v26, v24, -v28
	v_fmac_f32_e32 v25, v27, v24
	v_add_f32_e32 v2, v2, v26
	v_add_f32_e32 v3, v3, v25
.LBB163_226:
	s_or_b64 exec, exec, s[22:23]
	s_movk_i32 s16, 0xd0
	v_cmp_gt_u32_e64 s[16:17], s16, v7
	;; [unrolled: 19-line block ×7, first 2 shown]
	s_and_saveexec_b64 s[22:23], s[16:17]
	s_cbranch_execz .LBB163_238
; %bb.237:
	ds_read_b64 v[24:25], v19 offset:4224
	ds_read_b64 v[26:27], v21 offset:64
	s_waitcnt lgkmcnt(0)
	v_mul_f32_e32 v28, v27, v25
	v_mul_f32_e32 v25, v26, v25
	v_fma_f32 v26, v26, v24, -v28
	v_fmac_f32_e32 v25, v27, v24
	v_add_f32_e32 v2, v2, v26
	v_add_f32_e32 v3, v3, v25
.LBB163_238:
	s_or_b64 exec, exec, s[22:23]
	s_movk_i32 s16, 0x70
	v_cmp_gt_u32_e64 s[16:17], s16, v7
	s_and_saveexec_b64 s[22:23], s[16:17]
	s_cbranch_execz .LBB163_240
; %bb.239:
	v_lshlrev_b32_e32 v24, 3, v20
	v_lshl_add_u32 v24, v22, 3, v24
	ds_read_b64 v[24:25], v24 offset:4736
	ds_read_b64 v[26:27], v21 offset:72
	s_waitcnt lgkmcnt(0)
	v_mul_f32_e32 v28, v27, v25
	v_mul_f32_e32 v25, v26, v25
	v_fma_f32 v26, v26, v24, -v28
	v_fmac_f32_e32 v25, v27, v24
	v_add_f32_e32 v2, v2, v26
	v_add_f32_e32 v3, v3, v25
.LBB163_240:
	s_or_b64 exec, exec, s[22:23]
	s_movk_i32 s16, 0x60
	v_cmp_gt_u32_e64 s[16:17], s16, v7
	s_and_saveexec_b64 s[22:23], s[16:17]
	s_cbranch_execz .LBB163_242
; %bb.241:
	v_lshlrev_b32_e32 v24, 3, v20
	v_lshl_add_u32 v24, v22, 3, v24
	ds_read_b64 v[24:25], v24 offset:5248
	ds_read_b64 v[26:27], v21 offset:80
	s_waitcnt lgkmcnt(0)
	v_mul_f32_e32 v28, v27, v25
	v_mul_f32_e32 v25, v26, v25
	v_fma_f32 v26, v26, v24, -v28
	v_fmac_f32_e32 v25, v27, v24
	v_add_f32_e32 v2, v2, v26
	v_add_f32_e32 v3, v3, v25
.LBB163_242:
	s_or_b64 exec, exec, s[22:23]
	s_movk_i32 s16, 0x50
	v_cmp_gt_u32_e64 s[16:17], s16, v7
	s_and_saveexec_b64 s[22:23], s[16:17]
	s_cbranch_execnz .LBB163_1000
; %bb.243:
	s_or_b64 exec, exec, s[22:23]
	v_cmp_gt_u32_e64 s[16:17], 64, v7
	s_and_saveexec_b64 s[22:23], s[16:17]
	s_cbranch_execnz .LBB163_1001
.LBB163_244:
	s_or_b64 exec, exec, s[22:23]
	v_cmp_gt_u32_e64 s[16:17], 48, v7
	s_and_saveexec_b64 s[22:23], s[16:17]
	s_cbranch_execnz .LBB163_1002
.LBB163_245:
	s_or_b64 exec, exec, s[22:23]
	v_cmp_gt_u32_e64 s[16:17], 32, v7
	s_and_saveexec_b64 s[22:23], s[16:17]
	s_cbranch_execnz .LBB163_1003
.LBB163_246:
	s_or_b64 exec, exec, s[22:23]
	v_cmp_gt_u32_e64 s[16:17], 16, v7
	s_and_saveexec_b64 s[22:23], s[16:17]
	s_cbranch_execz .LBB163_248
.LBB163_247:
	v_lshlrev_b32_e32 v21, 3, v0
	v_mov_b32_e32 v26, 0
	ds_read_b64 v[24:25], v21 offset:7808
	ds_read_b64 v[26:27], v26 offset:120
	s_waitcnt lgkmcnt(0)
	v_mul_f32_e32 v21, v27, v25
	v_mul_f32_e32 v25, v26, v25
	v_fma_f32 v21, v26, v24, -v21
	v_fmac_f32_e32 v25, v27, v24
	v_add_f32_e32 v2, v2, v21
	v_add_f32_e32 v3, v3, v25
.LBB163_248:
	s_or_b64 exec, exec, s[22:23]
	v_xor_b32_e32 v2, 0x80000000, v2
	v_xor_b32_e32 v3, 0x80000000, v3
.LBB163_249:
	s_or_b64 exec, exec, s[20:21]
	v_mov_b32_e32 v21, 0x8000
	v_lshl_add_u32 v21, v23, 3, v21
	v_cmp_eq_u32_e64 s[16:17], 0, v20
	s_xor_b64 s[20:21], s[14:15], -1
	s_and_b64 s[16:17], s[16:17], s[20:21]
	s_mov_b64 s[14:15], exec
                                        ; implicit-def: $vgpr35 : SGPR spill to VGPR lane
	v_writelane_b32 v35, s16, 0
	v_writelane_b32 v35, s17, 1
	s_and_b64 s[16:17], s[14:15], s[16:17]
	s_mov_b64 exec, s[16:17]
; %bb.250:
	ds_write_b64 v21, v[2:3]
; %bb.251:
	s_or_b64 exec, exec, s[14:15]
	v_cmp_ne_u32_e64 s[14:15], 0, v20
	s_waitcnt lgkmcnt(0)
	s_barrier
	s_and_b64 s[16:17], s[14:15], s[20:21]
	s_mov_b64 s[14:15], exec
	v_writelane_b32 v35, s16, 2
	v_writelane_b32 v35, s17, 3
	s_and_b64 s[16:17], s[14:15], s[16:17]
	s_mov_b64 exec, s[16:17]
	s_cbranch_execz .LBB163_253
; %bb.252:
	v_lshlrev_b32_e32 v24, 3, v20
	ds_read_b64 v[24:25], v24 offset:8320
	ds_read_b64 v[26:27], v21
	s_waitcnt lgkmcnt(0)
	v_mul_f32_e32 v28, v27, v25
	v_mul_f32_e32 v25, v26, v25
	v_fma_f32 v26, v26, v24, -v28
	v_fmac_f32_e32 v25, v27, v24
	v_add_f32_e32 v2, v2, v26
	v_add_f32_e32 v3, v3, v25
.LBB163_253:
	s_or_b64 exec, exec, s[14:15]
	v_cmp_eq_u32_e64 s[14:15], 1, v20
	s_barrier
	s_and_b64 s[16:17], s[14:15], s[20:21]
	s_mov_b64 s[14:15], exec
	v_writelane_b32 v35, s16, 4
	v_writelane_b32 v35, s17, 5
	s_and_b64 s[16:17], s[14:15], s[16:17]
	s_mov_b64 exec, s[16:17]
; %bb.254:
	ds_write_b64 v21, v[2:3]
; %bb.255:
	s_or_b64 exec, exec, s[14:15]
	v_cmp_lt_u32_e64 s[14:15], 1, v20
	s_waitcnt lgkmcnt(0)
	s_barrier
	s_and_b64 s[16:17], s[14:15], s[20:21]
	s_mov_b64 s[14:15], exec
	v_writelane_b32 v35, s16, 6
	v_writelane_b32 v35, s17, 7
	s_and_b64 s[16:17], s[14:15], s[16:17]
	s_mov_b64 exec, s[16:17]
	s_cbranch_execz .LBB163_257
; %bb.256:
	v_lshlrev_b32_e32 v24, 3, v20
	ds_read_b64 v[24:25], v24 offset:8832
	ds_read_b64 v[26:27], v21
	s_waitcnt lgkmcnt(0)
	v_mul_f32_e32 v28, v27, v25
	v_mul_f32_e32 v25, v26, v25
	v_fma_f32 v26, v26, v24, -v28
	v_fmac_f32_e32 v25, v27, v24
	v_add_f32_e32 v2, v2, v26
	v_add_f32_e32 v3, v3, v25
.LBB163_257:
	s_or_b64 exec, exec, s[14:15]
	v_cmp_eq_u32_e64 s[14:15], 2, v20
	s_barrier
	s_and_b64 s[16:17], s[14:15], s[20:21]
	s_mov_b64 s[14:15], exec
	v_writelane_b32 v35, s16, 8
	v_writelane_b32 v35, s17, 9
	s_and_b64 s[16:17], s[14:15], s[16:17]
	s_mov_b64 exec, s[16:17]
; %bb.258:
	ds_write_b64 v21, v[2:3]
; %bb.259:
	s_or_b64 exec, exec, s[14:15]
	v_cmp_lt_u32_e64 s[14:15], 2, v20
	;; [unrolled: 35-line block ×11, first 2 shown]
	s_and_b64 s[90:91], s[14:15], s[20:21]
	s_waitcnt lgkmcnt(0)
	s_barrier
	s_and_saveexec_b64 s[14:15], s[90:91]
	s_cbranch_execz .LBB163_297
; %bb.296:
	v_lshlrev_b32_e32 v24, 3, v20
	ds_read_b64 v[24:25], v24 offset:13952
	ds_read_b64 v[26:27], v21
	s_waitcnt lgkmcnt(0)
	v_mul_f32_e32 v28, v27, v25
	v_mul_f32_e32 v25, v26, v25
	v_fma_f32 v26, v26, v24, -v28
	v_fmac_f32_e32 v25, v27, v24
	v_add_f32_e32 v2, v2, v26
	v_add_f32_e32 v3, v3, v25
.LBB163_297:
	s_or_b64 exec, exec, s[14:15]
	v_cmp_eq_u32_e64 s[14:15], 12, v20
	s_and_b64 s[92:93], s[14:15], s[20:21]
	s_barrier
	s_and_saveexec_b64 s[14:15], s[92:93]
; %bb.298:
	ds_write_b64 v21, v[2:3]
; %bb.299:
	s_or_b64 exec, exec, s[14:15]
	v_cmp_lt_u32_e64 s[14:15], 12, v20
	s_and_b64 s[94:95], s[14:15], s[20:21]
	s_waitcnt lgkmcnt(0)
	s_barrier
	s_and_saveexec_b64 s[14:15], s[94:95]
	s_cbranch_execz .LBB163_301
; %bb.300:
	v_lshlrev_b32_e32 v24, 3, v20
	ds_read_b64 v[24:25], v24 offset:14464
	ds_read_b64 v[26:27], v21
	s_waitcnt lgkmcnt(0)
	v_mul_f32_e32 v28, v27, v25
	v_mul_f32_e32 v25, v26, v25
	v_fma_f32 v26, v26, v24, -v28
	v_fmac_f32_e32 v25, v27, v24
	v_add_f32_e32 v2, v2, v26
	v_add_f32_e32 v3, v3, v25
.LBB163_301:
	s_or_b64 exec, exec, s[14:15]
	v_cmp_eq_u32_e64 s[14:15], 13, v20
	s_and_b64 s[96:97], s[14:15], s[20:21]
	s_barrier
	s_and_saveexec_b64 s[14:15], s[96:97]
; %bb.302:
	ds_write_b64 v21, v[2:3]
; %bb.303:
	s_or_b64 exec, exec, s[14:15]
	v_cmp_lt_u32_e64 s[14:15], 13, v20
	s_and_b64 s[22:23], s[14:15], s[20:21]
	s_waitcnt lgkmcnt(0)
	s_barrier
	s_and_saveexec_b64 s[14:15], s[22:23]
	s_cbranch_execz .LBB163_305
; %bb.304:
	v_lshlrev_b32_e32 v24, 3, v20
	ds_read_b64 v[24:25], v24 offset:14976
	ds_read_b64 v[26:27], v21
	s_waitcnt lgkmcnt(0)
	v_mul_f32_e32 v28, v27, v25
	v_mul_f32_e32 v25, v26, v25
	v_fma_f32 v26, v26, v24, -v28
	v_fmac_f32_e32 v25, v27, v24
	v_add_f32_e32 v2, v2, v26
	v_add_f32_e32 v3, v3, v25
.LBB163_305:
	s_or_b64 exec, exec, s[14:15]
	v_cmp_eq_u32_e64 s[14:15], 14, v20
	s_and_b64 s[98:99], s[14:15], s[20:21]
	s_barrier
	s_and_saveexec_b64 s[14:15], s[98:99]
; %bb.306:
	ds_write_b64 v21, v[2:3]
; %bb.307:
	s_or_b64 exec, exec, s[14:15]
	v_cmp_eq_u32_e64 s[14:15], 15, v20
	s_and_b64 s[82:83], s[14:15], s[20:21]
	s_waitcnt lgkmcnt(0)
	s_barrier
	s_and_saveexec_b64 s[14:15], s[82:83]
	s_cbranch_execz .LBB163_309
; %bb.308:
	v_mov_b32_e32 v24, 0
	ds_read_b64 v[24:25], v24 offset:15608
	ds_read_b64 v[26:27], v21
	s_waitcnt lgkmcnt(0)
	v_mul_f32_e32 v28, v27, v25
	v_mul_f32_e32 v25, v26, v25
	v_fma_f32 v26, v26, v24, -v28
	v_fmac_f32_e32 v25, v27, v24
	v_add_f32_e32 v2, v2, v26
	v_add_f32_e32 v3, v3, v25
.LBB163_309:
	s_or_b64 exec, exec, s[14:15]
	s_barrier
	s_and_saveexec_b64 s[14:15], s[82:83]
; %bb.310:
	ds_write_b64 v21, v[2:3]
; %bb.311:
	s_or_b64 exec, exec, s[14:15]
	s_waitcnt lgkmcnt(0)
	s_barrier
	s_barrier
	s_and_saveexec_b64 s[14:15], s[12:13]
; %bb.312:
	v_xor_b32_e32 v2, 0x80000000, v2
	v_xor_b32_e32 v3, 0x80000000, v3
	ds_write_b64 v19, v[2:3] offset:128
; %bb.313:
	s_or_b64 exec, exec, s[14:15]
	s_waitcnt lgkmcnt(0)
	s_barrier
	s_barrier
	s_and_saveexec_b64 s[14:15], vcc
	s_cbranch_execz .LBB163_315
; %bb.314:
	s_mov_b64 s[16:17], 0x3f800000
	v_mov_b32_e32 v2, s16
	v_mov_b32_e32 v3, s17
	s_movk_i32 s16, 0x2000
	v_add_u32_e64 v24, s16, 0
	ds_write2_b64 v24, v[2:3], v[2:3] offset0:16 offset1:81
.LBB163_315:
	s_or_b64 exec, exec, s[14:15]
	v_mov_b32_e32 v3, 0
	v_mov_b32_e32 v2, 0
	s_waitcnt lgkmcnt(0)
	s_barrier
	s_and_saveexec_b64 s[16:17], s[6:7]
	s_cbranch_execz .LBB163_319
; %bb.316:
	v_mul_u32_u24_e32 v24, 0x208, v6
	ds_read_b64 v[2:3], v4 offset:8336
	ds_read_b64 v[24:25], v24 offset:8320
	v_cmp_gt_u32_e64 s[14:15], 2, v7
	s_waitcnt lgkmcnt(0)
	v_mul_f32_e32 v26, v25, v3
	v_mul_f32_e32 v3, v24, v3
	v_fma_f32 v24, v24, v2, -v26
	v_fmac_f32_e32 v3, v25, v2
	v_add_f32_e32 v2, 0, v24
	v_add_f32_e32 v3, 0, v3
	s_and_saveexec_b64 s[20:21], s[14:15]
	s_cbranch_execz .LBB163_318
; %bb.317:
	v_lshlrev_b32_e32 v24, 3, v0
	v_mov_b32_e32 v26, 0
	ds_read_b64 v[24:25], v24 offset:8848
	ds_read_b64 v[26:27], v26 offset:8328
	s_waitcnt lgkmcnt(0)
	v_mul_f32_e32 v28, v27, v25
	v_mul_f32_e32 v25, v26, v25
	v_fma_f32 v26, v26, v24, -v28
	v_fmac_f32_e32 v25, v27, v24
	v_add_f32_e32 v2, v2, v26
	v_add_f32_e32 v3, v3, v25
.LBB163_318:
	s_or_b64 exec, exec, s[20:21]
	v_xor_b32_e32 v2, 0x80000000, v2
	v_xor_b32_e32 v3, 0x80000000, v3
.LBB163_319:
	s_or_b64 exec, exec, s[16:17]
	s_and_saveexec_b64 s[14:15], s[40:41]
; %bb.320:
	ds_write_b64 v5, v[2:3]
; %bb.321:
	s_or_b64 exec, exec, s[14:15]
	s_waitcnt lgkmcnt(0)
	s_barrier
	s_and_saveexec_b64 s[14:15], s[38:39]
	s_cbranch_execz .LBB163_323
; %bb.322:
	v_mov_b32_e32 v24, 0
	ds_read_b64 v[24:25], v24 offset:9368
	ds_read_b64 v[26:27], v5
	s_waitcnt lgkmcnt(0)
	v_mul_f32_e32 v28, v27, v25
	v_mul_f32_e32 v25, v26, v25
	v_fma_f32 v26, v26, v24, -v28
	v_fmac_f32_e32 v25, v27, v24
	v_add_f32_e32 v2, v2, v26
	v_add_f32_e32 v3, v3, v25
.LBB163_323:
	s_or_b64 exec, exec, s[14:15]
	s_barrier
	s_and_saveexec_b64 s[14:15], s[38:39]
; %bb.324:
	ds_write_b64 v5, v[2:3]
; %bb.325:
	s_or_b64 exec, exec, s[14:15]
	s_waitcnt lgkmcnt(0)
	s_barrier
	s_barrier
	s_and_saveexec_b64 s[14:15], s[6:7]
; %bb.326:
	v_xor_b32_e32 v3, 0x80000000, v3
	v_xor_b32_e32 v2, 0x80000000, v2
	ds_write_b64 v4, v[2:3] offset:8336
; %bb.327:
	s_or_b64 exec, exec, s[14:15]
	s_waitcnt lgkmcnt(0)
	s_barrier
	s_barrier
	s_and_saveexec_b64 s[14:15], vcc
	s_cbranch_execz .LBB163_329
; %bb.328:
	s_mov_b64 s[16:17], 0x3f800000
	v_mov_b32_e32 v2, s16
	v_mov_b32_e32 v3, s17
	s_movk_i32 s16, 0x2000
	v_add_u32_e64 v24, s16, 0
	ds_write2_b64 v24, v[2:3], v[2:3] offset0:146 offset1:211
.LBB163_329:
	s_or_b64 exec, exec, s[14:15]
	v_mov_b32_e32 v3, 0
	v_mov_b32_e32 v2, 0
	s_waitcnt lgkmcnt(0)
	s_barrier
	s_and_saveexec_b64 s[16:17], s[18:19]
	s_cbranch_execz .LBB163_335
; %bb.330:
	v_mul_u32_u24_e32 v24, 0x208, v13
	ds_read_b64 v[2:3], v9 offset:8352
	ds_read_b64 v[25:26], v24 offset:8320
	v_cmp_gt_u32_e64 s[14:15], 12, v7
	s_waitcnt lgkmcnt(0)
	v_mul_f32_e32 v27, v26, v3
	v_mul_f32_e32 v3, v25, v3
	v_fma_f32 v25, v25, v2, -v27
	v_fmac_f32_e32 v3, v26, v2
	v_add_f32_e32 v2, 0, v25
	v_add_f32_e32 v3, 0, v3
	s_and_saveexec_b64 s[20:21], s[14:15]
	s_cbranch_execnz .LBB163_1004
; %bb.331:
	s_or_b64 exec, exec, s[20:21]
	v_cmp_gt_u32_e64 s[14:15], 8, v7
	s_and_saveexec_b64 s[20:21], s[14:15]
	s_cbranch_execnz .LBB163_1005
.LBB163_332:
	s_or_b64 exec, exec, s[20:21]
	v_cmp_gt_u32_e64 s[14:15], 4, v7
	s_and_saveexec_b64 s[20:21], s[14:15]
	s_cbranch_execz .LBB163_334
.LBB163_333:
	v_lshlrev_b32_e32 v24, 3, v0
	v_mov_b32_e32 v26, 0
	ds_read_b64 v[24:25], v24 offset:9888
	ds_read_b64 v[26:27], v26 offset:8344
	s_waitcnt lgkmcnt(0)
	v_mul_f32_e32 v28, v27, v25
	v_mul_f32_e32 v25, v26, v25
	v_fma_f32 v26, v26, v24, -v28
	v_fmac_f32_e32 v25, v27, v24
	v_add_f32_e32 v2, v2, v26
	v_add_f32_e32 v3, v3, v25
.LBB163_334:
	s_or_b64 exec, exec, s[20:21]
	v_xor_b32_e32 v2, 0x80000000, v2
	v_xor_b32_e32 v3, 0x80000000, v3
.LBB163_335:
	s_or_b64 exec, exec, s[16:17]
	s_and_saveexec_b64 s[14:15], s[44:45]
; %bb.336:
	ds_write_b64 v11, v[2:3]
; %bb.337:
	s_or_b64 exec, exec, s[14:15]
	s_waitcnt lgkmcnt(0)
	s_barrier
	s_and_saveexec_b64 s[14:15], s[46:47]
	s_cbranch_execz .LBB163_339
; %bb.338:
	ds_read_b64 v[24:25], v10 offset:10400
	ds_read_b64 v[26:27], v11
	s_waitcnt lgkmcnt(0)
	v_mul_f32_e32 v28, v27, v25
	v_mul_f32_e32 v25, v26, v25
	v_fma_f32 v26, v26, v24, -v28
	v_fmac_f32_e32 v25, v27, v24
	v_add_f32_e32 v2, v2, v26
	v_add_f32_e32 v3, v3, v25
.LBB163_339:
	s_or_b64 exec, exec, s[14:15]
	s_barrier
	s_and_saveexec_b64 s[14:15], s[48:49]
; %bb.340:
	ds_write_b64 v11, v[2:3]
; %bb.341:
	s_or_b64 exec, exec, s[14:15]
	s_waitcnt lgkmcnt(0)
	s_barrier
	s_and_saveexec_b64 s[14:15], s[50:51]
	s_cbranch_execz .LBB163_343
; %bb.342:
	ds_read_b64 v[24:25], v10 offset:10912
	ds_read_b64 v[26:27], v11
	s_waitcnt lgkmcnt(0)
	v_mul_f32_e32 v28, v27, v25
	v_mul_f32_e32 v25, v26, v25
	v_fma_f32 v26, v26, v24, -v28
	v_fmac_f32_e32 v25, v27, v24
	v_add_f32_e32 v2, v2, v26
	v_add_f32_e32 v3, v3, v25
.LBB163_343:
	s_or_b64 exec, exec, s[14:15]
	s_barrier
	s_and_saveexec_b64 s[14:15], s[52:53]
; %bb.344:
	ds_write_b64 v11, v[2:3]
; %bb.345:
	s_or_b64 exec, exec, s[14:15]
	s_waitcnt lgkmcnt(0)
	s_barrier
	s_and_saveexec_b64 s[14:15], s[42:43]
	s_cbranch_execz .LBB163_347
; %bb.346:
	v_mov_b32_e32 v24, 0
	ds_read_b64 v[24:25], v24 offset:11448
	ds_read_b64 v[26:27], v11
	s_waitcnt lgkmcnt(0)
	v_mul_f32_e32 v28, v27, v25
	v_mul_f32_e32 v25, v26, v25
	v_fma_f32 v26, v26, v24, -v28
	v_fmac_f32_e32 v25, v27, v24
	v_add_f32_e32 v2, v2, v26
	v_add_f32_e32 v3, v3, v25
.LBB163_347:
	s_or_b64 exec, exec, s[14:15]
	s_barrier
	s_and_saveexec_b64 s[14:15], s[42:43]
; %bb.348:
	ds_write_b64 v11, v[2:3]
; %bb.349:
	s_or_b64 exec, exec, s[14:15]
	s_waitcnt lgkmcnt(0)
	s_barrier
	s_barrier
	s_and_saveexec_b64 s[14:15], s[18:19]
; %bb.350:
	v_xor_b32_e32 v2, 0x80000000, v2
	v_xor_b32_e32 v3, 0x80000000, v3
	ds_write_b64 v9, v[2:3] offset:8352
; %bb.351:
	s_or_b64 exec, exec, s[14:15]
	s_waitcnt lgkmcnt(0)
	s_barrier
	s_barrier
	s_and_saveexec_b64 s[14:15], vcc
	s_cbranch_execz .LBB163_353
; %bb.352:
	s_mov_b64 s[16:17], 0x3f800000
	v_mov_b32_e32 v2, s16
	v_mov_b32_e32 v3, s17
	s_movk_i32 s16, 0x2800
	v_add_u32_e64 v24, s16, 0
	ds_write2_b64 v24, v[2:3], v[2:3] offset0:20 offset1:85
.LBB163_353:
	s_or_b64 exec, exec, s[14:15]
	v_mov_b32_e32 v3, 0
	v_mov_b32_e32 v2, 0
	s_waitcnt lgkmcnt(0)
	s_barrier
	s_and_saveexec_b64 s[16:17], s[6:7]
	s_cbranch_execz .LBB163_357
; %bb.354:
	v_mul_u32_u24_e32 v24, 0x208, v6
	ds_read_b64 v[2:3], v4 offset:10416
	ds_read_b64 v[24:25], v24 offset:10400
	v_cmp_gt_u32_e64 s[14:15], 2, v7
	s_waitcnt lgkmcnt(0)
	v_mul_f32_e32 v26, v25, v3
	v_mul_f32_e32 v3, v24, v3
	v_fma_f32 v24, v24, v2, -v26
	v_fmac_f32_e32 v3, v25, v2
	v_add_f32_e32 v2, 0, v24
	v_add_f32_e32 v3, 0, v3
	s_and_saveexec_b64 s[20:21], s[14:15]
	s_cbranch_execz .LBB163_356
; %bb.355:
	v_lshlrev_b32_e32 v24, 3, v0
	v_mov_b32_e32 v26, 0
	ds_read_b64 v[24:25], v24 offset:10928
	ds_read_b64 v[26:27], v26 offset:10408
	s_waitcnt lgkmcnt(0)
	v_mul_f32_e32 v28, v27, v25
	v_mul_f32_e32 v25, v26, v25
	v_fma_f32 v26, v26, v24, -v28
	v_fmac_f32_e32 v25, v27, v24
	v_add_f32_e32 v2, v2, v26
	v_add_f32_e32 v3, v3, v25
.LBB163_356:
	s_or_b64 exec, exec, s[20:21]
	v_xor_b32_e32 v2, 0x80000000, v2
	v_xor_b32_e32 v3, 0x80000000, v3
.LBB163_357:
	s_or_b64 exec, exec, s[16:17]
	s_and_saveexec_b64 s[14:15], s[40:41]
; %bb.358:
	ds_write_b64 v5, v[2:3]
; %bb.359:
	s_or_b64 exec, exec, s[14:15]
	s_waitcnt lgkmcnt(0)
	s_barrier
	s_and_saveexec_b64 s[14:15], s[38:39]
	s_cbranch_execz .LBB163_361
; %bb.360:
	v_mov_b32_e32 v24, 0
	ds_read_b64 v[24:25], v24 offset:11448
	ds_read_b64 v[26:27], v5
	s_waitcnt lgkmcnt(0)
	v_mul_f32_e32 v28, v27, v25
	v_mul_f32_e32 v25, v26, v25
	v_fma_f32 v26, v26, v24, -v28
	v_fmac_f32_e32 v25, v27, v24
	v_add_f32_e32 v2, v2, v26
	v_add_f32_e32 v3, v3, v25
.LBB163_361:
	s_or_b64 exec, exec, s[14:15]
	s_barrier
	s_and_saveexec_b64 s[14:15], s[38:39]
; %bb.362:
	ds_write_b64 v5, v[2:3]
; %bb.363:
	s_or_b64 exec, exec, s[14:15]
	s_waitcnt lgkmcnt(0)
	s_barrier
	s_barrier
	s_and_saveexec_b64 s[14:15], s[6:7]
; %bb.364:
	v_xor_b32_e32 v3, 0x80000000, v3
	v_xor_b32_e32 v2, 0x80000000, v2
	ds_write_b64 v4, v[2:3] offset:10416
; %bb.365:
	s_or_b64 exec, exec, s[14:15]
	s_waitcnt lgkmcnt(0)
	s_barrier
	s_barrier
	s_and_saveexec_b64 s[14:15], vcc
	s_cbranch_execz .LBB163_367
; %bb.366:
	s_mov_b64 s[16:17], 0x3f800000
	v_mov_b32_e32 v2, s16
	v_mov_b32_e32 v3, s17
	s_movk_i32 s16, 0x2800
	v_add_u32_e64 v24, s16, 0
	ds_write2_b64 v24, v[2:3], v[2:3] offset0:150 offset1:215
.LBB163_367:
	s_or_b64 exec, exec, s[14:15]
	v_mov_b32_e32 v3, 0
	v_mov_b32_e32 v2, 0
	s_waitcnt lgkmcnt(0)
	s_barrier
	s_and_saveexec_b64 s[16:17], s[10:11]
	s_cbranch_execz .LBB163_377
; %bb.368:
	v_mul_u32_u24_e32 v24, 0x208, v18
	ds_read_b64 v[2:3], v14 offset:8384
	ds_read_b64 v[25:26], v24 offset:8320
	v_cmp_gt_u32_e64 s[14:15], 56, v7
	s_waitcnt lgkmcnt(0)
	v_mul_f32_e32 v27, v26, v3
	v_mul_f32_e32 v3, v25, v3
	v_fma_f32 v25, v25, v2, -v27
	v_fmac_f32_e32 v3, v26, v2
	v_add_f32_e32 v2, 0, v25
	v_add_f32_e32 v3, 0, v3
	s_and_saveexec_b64 s[20:21], s[14:15]
	s_cbranch_execnz .LBB163_1006
; %bb.369:
	s_or_b64 exec, exec, s[20:21]
	v_cmp_gt_u32_e64 s[14:15], 48, v7
	s_and_saveexec_b64 s[20:21], s[14:15]
	s_cbranch_execnz .LBB163_1007
.LBB163_370:
	s_or_b64 exec, exec, s[20:21]
	v_cmp_gt_u32_e64 s[14:15], 40, v7
	s_and_saveexec_b64 s[20:21], s[14:15]
	s_cbranch_execnz .LBB163_1008
.LBB163_371:
	s_or_b64 exec, exec, s[20:21]
	v_cmp_gt_u32_e64 s[14:15], 32, v7
	s_and_saveexec_b64 s[20:21], s[14:15]
	s_cbranch_execnz .LBB163_1009
.LBB163_372:
	s_or_b64 exec, exec, s[20:21]
	v_cmp_gt_u32_e64 s[14:15], 24, v7
	s_and_saveexec_b64 s[20:21], s[14:15]
	s_cbranch_execnz .LBB163_1010
.LBB163_373:
	s_or_b64 exec, exec, s[20:21]
	v_cmp_gt_u32_e64 s[14:15], 16, v7
	s_and_saveexec_b64 s[20:21], s[14:15]
	s_cbranch_execnz .LBB163_1011
.LBB163_374:
	s_or_b64 exec, exec, s[20:21]
	v_cmp_gt_u32_e64 s[14:15], 8, v7
	s_and_saveexec_b64 s[20:21], s[14:15]
	s_cbranch_execz .LBB163_376
.LBB163_375:
	v_lshlrev_b32_e32 v24, 3, v0
	v_mov_b32_e32 v26, 0
	ds_read_b64 v[24:25], v24 offset:11968
	ds_read_b64 v[26:27], v26 offset:8376
	s_waitcnt lgkmcnt(0)
	v_mul_f32_e32 v28, v27, v25
	v_mul_f32_e32 v25, v26, v25
	v_fma_f32 v26, v26, v24, -v28
	v_fmac_f32_e32 v25, v27, v24
	v_add_f32_e32 v2, v2, v26
	v_add_f32_e32 v3, v3, v25
.LBB163_376:
	s_or_b64 exec, exec, s[20:21]
	v_xor_b32_e32 v2, 0x80000000, v2
	v_xor_b32_e32 v3, 0x80000000, v3
.LBB163_377:
	s_or_b64 exec, exec, s[16:17]
	s_and_saveexec_b64 s[14:15], s[56:57]
; %bb.378:
	ds_write_b64 v16, v[2:3]
; %bb.379:
	s_or_b64 exec, exec, s[14:15]
	s_waitcnt lgkmcnt(0)
	s_barrier
	s_and_saveexec_b64 s[14:15], s[58:59]
	s_cbranch_execz .LBB163_381
; %bb.380:
	ds_read_b64 v[24:25], v15 offset:12480
	ds_read_b64 v[26:27], v16
	s_waitcnt lgkmcnt(0)
	v_mul_f32_e32 v28, v27, v25
	v_mul_f32_e32 v25, v26, v25
	v_fma_f32 v26, v26, v24, -v28
	v_fmac_f32_e32 v25, v27, v24
	v_add_f32_e32 v2, v2, v26
	v_add_f32_e32 v3, v3, v25
.LBB163_381:
	s_or_b64 exec, exec, s[14:15]
	s_barrier
	s_and_saveexec_b64 s[14:15], s[60:61]
; %bb.382:
	ds_write_b64 v16, v[2:3]
; %bb.383:
	s_or_b64 exec, exec, s[14:15]
	s_waitcnt lgkmcnt(0)
	s_barrier
	s_and_saveexec_b64 s[14:15], s[62:63]
	s_cbranch_execz .LBB163_385
; %bb.384:
	ds_read_b64 v[24:25], v15 offset:12992
	ds_read_b64 v[26:27], v16
	s_waitcnt lgkmcnt(0)
	v_mul_f32_e32 v28, v27, v25
	v_mul_f32_e32 v25, v26, v25
	v_fma_f32 v26, v26, v24, -v28
	v_fmac_f32_e32 v25, v27, v24
	v_add_f32_e32 v2, v2, v26
	v_add_f32_e32 v3, v3, v25
.LBB163_385:
	s_or_b64 exec, exec, s[14:15]
	s_barrier
	;; [unrolled: 22-line block ×6, first 2 shown]
	s_and_saveexec_b64 s[14:15], s[80:81]
; %bb.402:
	ds_write_b64 v16, v[2:3]
; %bb.403:
	s_or_b64 exec, exec, s[14:15]
	s_waitcnt lgkmcnt(0)
	s_barrier
	s_and_saveexec_b64 s[14:15], s[54:55]
	s_cbranch_execz .LBB163_405
; %bb.404:
	v_mov_b32_e32 v24, 0
	ds_read_b64 v[24:25], v24 offset:15608
	ds_read_b64 v[26:27], v16
	s_waitcnt lgkmcnt(0)
	v_mul_f32_e32 v28, v27, v25
	v_mul_f32_e32 v25, v26, v25
	v_fma_f32 v26, v26, v24, -v28
	v_fmac_f32_e32 v25, v27, v24
	v_add_f32_e32 v2, v2, v26
	v_add_f32_e32 v3, v3, v25
.LBB163_405:
	s_or_b64 exec, exec, s[14:15]
	s_barrier
	s_and_saveexec_b64 s[14:15], s[54:55]
; %bb.406:
	ds_write_b64 v16, v[2:3]
; %bb.407:
	s_or_b64 exec, exec, s[14:15]
	s_waitcnt lgkmcnt(0)
	s_barrier
	s_barrier
	s_and_saveexec_b64 s[14:15], s[10:11]
; %bb.408:
	v_xor_b32_e32 v3, 0x80000000, v3
	v_xor_b32_e32 v2, 0x80000000, v2
	ds_write_b64 v14, v[2:3] offset:8384
; %bb.409:
	s_or_b64 exec, exec, s[14:15]
	s_waitcnt lgkmcnt(0)
	s_barrier
	s_barrier
	s_and_saveexec_b64 s[14:15], vcc
	s_cbranch_execz .LBB163_411
; %bb.410:
	s_mov_b64 s[16:17], 0x3f800000
	v_mov_b32_e32 v2, s16
	v_mov_b32_e32 v3, s17
	s_movk_i32 s16, 0x3000
	v_add_u32_e64 v24, s16, 0
	ds_write2_b64 v24, v[2:3], v[2:3] offset0:24 offset1:89
.LBB163_411:
	s_or_b64 exec, exec, s[14:15]
	v_mov_b32_e32 v3, 0
	v_mov_b32_e32 v2, 0
	s_waitcnt lgkmcnt(0)
	s_barrier
	s_and_saveexec_b64 s[16:17], s[6:7]
	s_cbranch_execz .LBB163_415
; %bb.412:
	v_mul_u32_u24_e32 v24, 0x208, v6
	ds_read_b64 v[2:3], v4 offset:12496
	ds_read_b64 v[24:25], v24 offset:12480
	v_cmp_gt_u32_e64 s[14:15], 2, v7
	s_waitcnt lgkmcnt(0)
	v_mul_f32_e32 v26, v25, v3
	v_mul_f32_e32 v3, v24, v3
	v_fma_f32 v24, v24, v2, -v26
	v_fmac_f32_e32 v3, v25, v2
	v_add_f32_e32 v2, 0, v24
	v_add_f32_e32 v3, 0, v3
	s_and_saveexec_b64 s[20:21], s[14:15]
	s_cbranch_execz .LBB163_414
; %bb.413:
	v_lshlrev_b32_e32 v24, 3, v0
	v_mov_b32_e32 v26, 0
	ds_read_b64 v[24:25], v24 offset:13008
	ds_read_b64 v[26:27], v26 offset:12488
	s_waitcnt lgkmcnt(0)
	v_mul_f32_e32 v28, v27, v25
	v_mul_f32_e32 v25, v26, v25
	v_fma_f32 v26, v26, v24, -v28
	v_fmac_f32_e32 v25, v27, v24
	v_add_f32_e32 v2, v2, v26
	v_add_f32_e32 v3, v3, v25
.LBB163_414:
	s_or_b64 exec, exec, s[20:21]
	v_xor_b32_e32 v2, 0x80000000, v2
	v_xor_b32_e32 v3, 0x80000000, v3
.LBB163_415:
	s_or_b64 exec, exec, s[16:17]
	s_and_saveexec_b64 s[14:15], s[40:41]
; %bb.416:
	ds_write_b64 v5, v[2:3]
; %bb.417:
	s_or_b64 exec, exec, s[14:15]
	s_waitcnt lgkmcnt(0)
	s_barrier
	s_and_saveexec_b64 s[14:15], s[38:39]
	s_cbranch_execz .LBB163_419
; %bb.418:
	v_mov_b32_e32 v24, 0
	ds_read_b64 v[24:25], v24 offset:13528
	ds_read_b64 v[26:27], v5
	s_waitcnt lgkmcnt(0)
	v_mul_f32_e32 v28, v27, v25
	v_mul_f32_e32 v25, v26, v25
	v_fma_f32 v26, v26, v24, -v28
	v_fmac_f32_e32 v25, v27, v24
	v_add_f32_e32 v2, v2, v26
	v_add_f32_e32 v3, v3, v25
.LBB163_419:
	s_or_b64 exec, exec, s[14:15]
	s_barrier
	s_and_saveexec_b64 s[14:15], s[38:39]
; %bb.420:
	ds_write_b64 v5, v[2:3]
; %bb.421:
	s_or_b64 exec, exec, s[14:15]
	s_waitcnt lgkmcnt(0)
	s_barrier
	s_barrier
	s_and_saveexec_b64 s[14:15], s[6:7]
; %bb.422:
	v_xor_b32_e32 v3, 0x80000000, v3
	v_xor_b32_e32 v2, 0x80000000, v2
	ds_write_b64 v4, v[2:3] offset:12496
; %bb.423:
	s_or_b64 exec, exec, s[14:15]
	s_waitcnt lgkmcnt(0)
	s_barrier
	s_barrier
	s_and_saveexec_b64 s[14:15], vcc
	s_cbranch_execz .LBB163_425
; %bb.424:
	s_mov_b64 s[16:17], 0x3f800000
	v_mov_b32_e32 v2, s16
	v_mov_b32_e32 v3, s17
	s_movk_i32 s16, 0x3000
	v_add_u32_e64 v24, s16, 0
	ds_write2_b64 v24, v[2:3], v[2:3] offset0:154 offset1:219
.LBB163_425:
	s_or_b64 exec, exec, s[14:15]
	v_mov_b32_e32 v3, 0
	v_mov_b32_e32 v2, 0
	s_waitcnt lgkmcnt(0)
	s_barrier
	s_and_saveexec_b64 s[16:17], s[18:19]
	s_cbranch_execz .LBB163_431
; %bb.426:
	v_mul_u32_u24_e32 v24, 0x208, v13
	ds_read_b64 v[2:3], v9 offset:12512
	ds_read_b64 v[25:26], v24 offset:12480
	v_cmp_gt_u32_e64 s[14:15], 12, v7
	s_waitcnt lgkmcnt(0)
	v_mul_f32_e32 v27, v26, v3
	v_mul_f32_e32 v3, v25, v3
	v_fma_f32 v25, v25, v2, -v27
	v_fmac_f32_e32 v3, v26, v2
	v_add_f32_e32 v2, 0, v25
	v_add_f32_e32 v3, 0, v3
	s_and_saveexec_b64 s[20:21], s[14:15]
	s_cbranch_execnz .LBB163_1012
; %bb.427:
	s_or_b64 exec, exec, s[20:21]
	v_cmp_gt_u32_e64 s[14:15], 8, v7
	s_and_saveexec_b64 s[20:21], s[14:15]
	s_cbranch_execnz .LBB163_1013
.LBB163_428:
	s_or_b64 exec, exec, s[20:21]
	v_cmp_gt_u32_e64 s[14:15], 4, v7
	s_and_saveexec_b64 s[20:21], s[14:15]
	s_cbranch_execz .LBB163_430
.LBB163_429:
	v_lshlrev_b32_e32 v24, 3, v0
	v_mov_b32_e32 v26, 0
	ds_read_b64 v[24:25], v24 offset:14048
	ds_read_b64 v[26:27], v26 offset:12504
	s_waitcnt lgkmcnt(0)
	v_mul_f32_e32 v28, v27, v25
	v_mul_f32_e32 v25, v26, v25
	v_fma_f32 v26, v26, v24, -v28
	v_fmac_f32_e32 v25, v27, v24
	v_add_f32_e32 v2, v2, v26
	v_add_f32_e32 v3, v3, v25
.LBB163_430:
	s_or_b64 exec, exec, s[20:21]
	v_xor_b32_e32 v2, 0x80000000, v2
	v_xor_b32_e32 v3, 0x80000000, v3
.LBB163_431:
	s_or_b64 exec, exec, s[16:17]
	s_and_saveexec_b64 s[14:15], s[44:45]
; %bb.432:
	ds_write_b64 v11, v[2:3]
; %bb.433:
	s_or_b64 exec, exec, s[14:15]
	s_waitcnt lgkmcnt(0)
	s_barrier
	s_and_saveexec_b64 s[14:15], s[46:47]
	s_cbranch_execz .LBB163_435
; %bb.434:
	ds_read_b64 v[24:25], v10 offset:14560
	ds_read_b64 v[26:27], v11
	s_waitcnt lgkmcnt(0)
	v_mul_f32_e32 v28, v27, v25
	v_mul_f32_e32 v25, v26, v25
	v_fma_f32 v26, v26, v24, -v28
	v_fmac_f32_e32 v25, v27, v24
	v_add_f32_e32 v2, v2, v26
	v_add_f32_e32 v3, v3, v25
.LBB163_435:
	s_or_b64 exec, exec, s[14:15]
	s_barrier
	s_and_saveexec_b64 s[14:15], s[48:49]
; %bb.436:
	ds_write_b64 v11, v[2:3]
; %bb.437:
	s_or_b64 exec, exec, s[14:15]
	s_waitcnt lgkmcnt(0)
	s_barrier
	s_and_saveexec_b64 s[14:15], s[50:51]
	s_cbranch_execz .LBB163_439
; %bb.438:
	ds_read_b64 v[24:25], v10 offset:15072
	ds_read_b64 v[26:27], v11
	s_waitcnt lgkmcnt(0)
	v_mul_f32_e32 v28, v27, v25
	v_mul_f32_e32 v25, v26, v25
	v_fma_f32 v26, v26, v24, -v28
	v_fmac_f32_e32 v25, v27, v24
	v_add_f32_e32 v2, v2, v26
	v_add_f32_e32 v3, v3, v25
.LBB163_439:
	s_or_b64 exec, exec, s[14:15]
	s_barrier
	s_and_saveexec_b64 s[14:15], s[52:53]
; %bb.440:
	ds_write_b64 v11, v[2:3]
; %bb.441:
	s_or_b64 exec, exec, s[14:15]
	s_waitcnt lgkmcnt(0)
	s_barrier
	s_and_saveexec_b64 s[14:15], s[42:43]
	s_cbranch_execz .LBB163_443
; %bb.442:
	v_mov_b32_e32 v24, 0
	ds_read_b64 v[24:25], v24 offset:15608
	ds_read_b64 v[26:27], v11
	s_waitcnt lgkmcnt(0)
	v_mul_f32_e32 v28, v27, v25
	v_mul_f32_e32 v25, v26, v25
	v_fma_f32 v26, v26, v24, -v28
	v_fmac_f32_e32 v25, v27, v24
	v_add_f32_e32 v2, v2, v26
	v_add_f32_e32 v3, v3, v25
.LBB163_443:
	s_or_b64 exec, exec, s[14:15]
	s_barrier
	s_and_saveexec_b64 s[14:15], s[42:43]
; %bb.444:
	ds_write_b64 v11, v[2:3]
; %bb.445:
	s_or_b64 exec, exec, s[14:15]
	s_waitcnt lgkmcnt(0)
	s_barrier
	s_barrier
	s_and_saveexec_b64 s[14:15], s[18:19]
; %bb.446:
	v_xor_b32_e32 v2, 0x80000000, v2
	v_xor_b32_e32 v3, 0x80000000, v3
	ds_write_b64 v9, v[2:3] offset:12512
; %bb.447:
	s_or_b64 exec, exec, s[14:15]
	s_waitcnt lgkmcnt(0)
	s_barrier
	s_barrier
	s_and_saveexec_b64 s[14:15], vcc
	s_cbranch_execz .LBB163_449
; %bb.448:
	s_mov_b64 s[16:17], 0x3f800000
	v_mov_b32_e32 v2, s16
	v_mov_b32_e32 v3, s17
	s_movk_i32 s16, 0x3800
	v_add_u32_e64 v24, s16, 0
	ds_write2_b64 v24, v[2:3], v[2:3] offset0:28 offset1:93
.LBB163_449:
	s_or_b64 exec, exec, s[14:15]
	v_mov_b32_e32 v3, 0
	v_mov_b32_e32 v2, 0
	s_waitcnt lgkmcnt(0)
	s_barrier
	s_and_saveexec_b64 s[16:17], s[6:7]
	s_cbranch_execz .LBB163_453
; %bb.450:
	v_mul_u32_u24_e32 v24, 0x208, v6
	ds_read_b64 v[2:3], v4 offset:14576
	ds_read_b64 v[24:25], v24 offset:14560
	v_cmp_gt_u32_e64 s[14:15], 2, v7
	s_waitcnt lgkmcnt(0)
	v_mul_f32_e32 v26, v25, v3
	v_mul_f32_e32 v3, v24, v3
	v_fma_f32 v24, v24, v2, -v26
	v_fmac_f32_e32 v3, v25, v2
	v_add_f32_e32 v2, 0, v24
	v_add_f32_e32 v3, 0, v3
	s_and_saveexec_b64 s[20:21], s[14:15]
	s_cbranch_execz .LBB163_452
; %bb.451:
	v_lshlrev_b32_e32 v24, 3, v0
	v_mov_b32_e32 v26, 0
	ds_read_b64 v[24:25], v24 offset:15088
	ds_read_b64 v[26:27], v26 offset:14568
	s_waitcnt lgkmcnt(0)
	v_mul_f32_e32 v28, v27, v25
	v_mul_f32_e32 v25, v26, v25
	v_fma_f32 v26, v26, v24, -v28
	v_fmac_f32_e32 v25, v27, v24
	v_add_f32_e32 v2, v2, v26
	v_add_f32_e32 v3, v3, v25
.LBB163_452:
	s_or_b64 exec, exec, s[20:21]
	v_xor_b32_e32 v2, 0x80000000, v2
	v_xor_b32_e32 v3, 0x80000000, v3
.LBB163_453:
	s_or_b64 exec, exec, s[16:17]
	s_and_saveexec_b64 s[14:15], s[40:41]
; %bb.454:
	ds_write_b64 v5, v[2:3]
; %bb.455:
	s_or_b64 exec, exec, s[14:15]
	s_waitcnt lgkmcnt(0)
	s_barrier
	s_and_saveexec_b64 s[14:15], s[38:39]
	s_cbranch_execz .LBB163_457
; %bb.456:
	v_mov_b32_e32 v24, 0
	ds_read_b64 v[24:25], v24 offset:15608
	ds_read_b64 v[26:27], v5
	s_waitcnt lgkmcnt(0)
	v_mul_f32_e32 v28, v27, v25
	v_mul_f32_e32 v25, v26, v25
	v_fma_f32 v26, v26, v24, -v28
	v_fmac_f32_e32 v25, v27, v24
	v_add_f32_e32 v2, v2, v26
	v_add_f32_e32 v3, v3, v25
.LBB163_457:
	s_or_b64 exec, exec, s[14:15]
	s_barrier
	s_and_saveexec_b64 s[14:15], s[38:39]
; %bb.458:
	ds_write_b64 v5, v[2:3]
; %bb.459:
	s_or_b64 exec, exec, s[14:15]
	s_waitcnt lgkmcnt(0)
	s_barrier
	s_barrier
	s_and_saveexec_b64 s[14:15], s[6:7]
; %bb.460:
	v_xor_b32_e32 v3, 0x80000000, v3
	v_xor_b32_e32 v2, 0x80000000, v2
	ds_write_b64 v4, v[2:3] offset:14576
; %bb.461:
	s_or_b64 exec, exec, s[14:15]
	s_waitcnt lgkmcnt(0)
	s_barrier
	s_barrier
	s_and_saveexec_b64 s[14:15], vcc
	s_cbranch_execz .LBB163_463
; %bb.462:
	s_mov_b64 s[16:17], 0x3f800000
	v_mov_b32_e32 v2, s16
	v_mov_b32_e32 v3, s17
	s_movk_i32 s16, 0x3800
	v_add_u32_e64 v24, s16, 0
	ds_write2_b64 v24, v[2:3], v[2:3] offset0:158 offset1:223
.LBB163_463:
	s_or_b64 exec, exec, s[14:15]
	s_movk_i32 s14, 0x3ff
	v_lshrrev_b32_e32 v26, 5, v7
	v_cmp_lt_u32_e64 s[16:17], s14, v7
	s_movk_i32 s14, 0x400
	v_mov_b32_e32 v3, 0
	v_and_b32_e32 v24, 31, v0
	v_cmp_gt_u32_e64 s[14:15], s14, v7
	v_lshlrev_b32_e32 v25, 9, v26
	v_mov_b32_e32 v2, v3
	s_waitcnt lgkmcnt(0)
	s_barrier
	s_and_saveexec_b64 s[84:85], s[14:15]
	s_cbranch_execz .LBB163_525
; %bb.464:
	v_lshlrev_b32_e32 v27, 3, v24
	v_add_u32_e32 v29, v27, v25
	v_mul_u32_u24_e32 v28, 0x208, v26
	ds_read_b64 v[2:3], v29 offset:256
	ds_read_b64 v[30:31], v28
	s_movk_i32 s20, 0x3e0
	v_cmp_gt_u32_e64 s[20:21], s20, v7
	s_waitcnt lgkmcnt(0)
	v_mul_f32_e32 v32, v31, v3
	v_mul_f32_e32 v3, v30, v3
	v_fma_f32 v30, v30, v2, -v32
	v_fmac_f32_e32 v3, v31, v2
	v_add_f32_e32 v2, 0, v30
	v_add_f32_e32 v3, 0, v3
	s_and_saveexec_b64 s[86:87], s[20:21]
	s_cbranch_execz .LBB163_466
; %bb.465:
	ds_read_b64 v[30:31], v29 offset:768
	ds_read_b64 v[32:33], v28 offset:8
	s_waitcnt lgkmcnt(0)
	v_mul_f32_e32 v34, v33, v31
	v_mul_f32_e32 v31, v32, v31
	v_fma_f32 v32, v32, v30, -v34
	v_fmac_f32_e32 v31, v33, v30
	v_add_f32_e32 v2, v2, v32
	v_add_f32_e32 v3, v3, v31
.LBB163_466:
	s_or_b64 exec, exec, s[86:87]
	s_movk_i32 s20, 0x3c0
	v_cmp_gt_u32_e64 s[20:21], s20, v7
	s_and_saveexec_b64 s[86:87], s[20:21]
	s_cbranch_execz .LBB163_468
; %bb.467:
	ds_read_b64 v[30:31], v29 offset:1280
	ds_read_b64 v[32:33], v28 offset:16
	s_waitcnt lgkmcnt(0)
	v_mul_f32_e32 v34, v33, v31
	v_mul_f32_e32 v31, v32, v31
	v_fma_f32 v32, v32, v30, -v34
	v_fmac_f32_e32 v31, v33, v30
	v_add_f32_e32 v2, v2, v32
	v_add_f32_e32 v3, v3, v31
.LBB163_468:
	s_or_b64 exec, exec, s[86:87]
	s_movk_i32 s20, 0x3a0
	v_cmp_gt_u32_e64 s[20:21], s20, v7
	;; [unrolled: 16-line block ×28, first 2 shown]
	s_and_saveexec_b64 s[86:87], s[20:21]
	s_cbranch_execnz .LBB163_1014
; %bb.521:
	s_or_b64 exec, exec, s[86:87]
	v_cmp_gt_u32_e64 s[20:21], 64, v7
	s_and_saveexec_b64 s[86:87], s[20:21]
	s_cbranch_execnz .LBB163_1015
.LBB163_522:
	s_or_b64 exec, exec, s[86:87]
	v_cmp_gt_u32_e64 s[20:21], 32, v7
	s_and_saveexec_b64 s[86:87], s[20:21]
	s_cbranch_execz .LBB163_524
.LBB163_523:
	ds_read_b64 v[29:30], v27 offset:16128
	ds_read_b64 v[27:28], v28 offset:248
	s_waitcnt lgkmcnt(0)
	v_mul_f32_e32 v31, v28, v30
	v_mul_f32_e32 v30, v27, v30
	v_fma_f32 v27, v27, v29, -v31
	v_fmac_f32_e32 v30, v28, v29
	v_add_f32_e32 v2, v2, v27
	v_add_f32_e32 v3, v3, v30
.LBB163_524:
	s_or_b64 exec, exec, s[86:87]
	v_xor_b32_e32 v2, 0x80000000, v2
	v_xor_b32_e32 v3, 0x80000000, v3
.LBB163_525:
	s_or_b64 exec, exec, s[84:85]
	v_mov_b32_e32 v27, 0x8000
	v_lshl_or_b32 v26, v26, 3, v27
	v_mov_b32_e32 v27, 0x4100
	v_lshl_or_b32 v27, v24, 3, v27
	s_mov_b32 s84, 0
	s_xor_b64 s[20:21], s[16:17], -1
	v_mov_b32_e32 v28, v24
	s_branch .LBB163_527
.LBB163_526:                            ;   in Loop: Header=BB163_527 Depth=1
	s_or_b64 exec, exec, s[16:17]
	s_add_i32 s84, s84, 2
	v_add_u32_e32 v27, 0x400, v27
	s_cmp_eq_u32 s84, 32
	v_add_u32_e32 v28, -2, v28
	s_barrier
	s_cbranch_scc1 .LBB163_535
.LBB163_527:                            ; =>This Inner Loop Header: Depth=1
	v_cmp_eq_u32_e64 s[16:17], 0, v28
	s_and_b64 s[86:87], s[20:21], s[16:17]
	s_and_saveexec_b64 s[16:17], s[86:87]
; %bb.528:                              ;   in Loop: Header=BB163_527 Depth=1
	ds_write_b64 v26, v[2:3]
; %bb.529:                              ;   in Loop: Header=BB163_527 Depth=1
	s_or_b64 exec, exec, s[16:17]
	v_cmp_lt_u32_e64 s[16:17], s84, v24
	s_and_b64 s[86:87], s[20:21], s[16:17]
	s_waitcnt lgkmcnt(0)
	s_barrier
	s_and_saveexec_b64 s[16:17], s[86:87]
	s_cbranch_execz .LBB163_531
; %bb.530:                              ;   in Loop: Header=BB163_527 Depth=1
	ds_read_b64 v[29:30], v27
	ds_read_b64 v[31:32], v26
	s_waitcnt lgkmcnt(0)
	v_mul_f32_e32 v33, v32, v30
	v_mul_f32_e32 v30, v31, v30
	v_fma_f32 v31, v31, v29, -v33
	v_fmac_f32_e32 v30, v32, v29
	v_add_f32_e32 v2, v2, v31
	v_add_f32_e32 v3, v3, v30
.LBB163_531:                            ;   in Loop: Header=BB163_527 Depth=1
	s_or_b64 exec, exec, s[16:17]
	s_or_b32 s85, s84, 1
	v_cmp_eq_u32_e64 s[16:17], s85, v24
	s_and_b64 s[86:87], s[20:21], s[16:17]
	s_barrier
	s_and_saveexec_b64 s[16:17], s[86:87]
; %bb.532:                              ;   in Loop: Header=BB163_527 Depth=1
	ds_write_b64 v26, v[2:3]
; %bb.533:                              ;   in Loop: Header=BB163_527 Depth=1
	s_or_b64 exec, exec, s[16:17]
	v_cmp_lt_u32_e64 s[16:17], s85, v24
	s_and_b64 s[86:87], s[20:21], s[16:17]
	s_waitcnt lgkmcnt(0)
	s_barrier
	s_and_saveexec_b64 s[16:17], s[86:87]
	s_cbranch_execz .LBB163_526
; %bb.534:                              ;   in Loop: Header=BB163_527 Depth=1
	ds_read_b64 v[29:30], v27 offset:512
	ds_read_b64 v[31:32], v26
	s_waitcnt lgkmcnt(0)
	v_mul_f32_e32 v33, v32, v30
	v_mul_f32_e32 v30, v31, v30
	v_fma_f32 v31, v31, v29, -v33
	v_fmac_f32_e32 v30, v32, v29
	v_add_f32_e32 v2, v2, v31
	v_add_f32_e32 v3, v3, v30
	s_branch .LBB163_526
.LBB163_535:
	s_and_saveexec_b64 s[16:17], s[14:15]
; %bb.536:
	v_lshl_add_u32 v24, v24, 3, v25
	v_xor_b32_e32 v3, 0x80000000, v3
	v_xor_b32_e32 v2, 0x80000000, v2
	ds_write_b64 v24, v[2:3] offset:256
; %bb.537:
	s_or_b64 exec, exec, s[16:17]
	s_waitcnt lgkmcnt(0)
	s_barrier
	s_barrier
	s_and_saveexec_b64 s[14:15], vcc
	s_cbranch_execz .LBB163_539
; %bb.538:
	s_mov_b64 s[16:17], 0x3f800000
	v_mov_b32_e32 v2, s16
	v_mov_b32_e32 v3, s17
	s_movk_i32 s16, 0x4000
	v_add_u32_e64 v24, s16, 0
	ds_write2_b64 v24, v[2:3], v[2:3] offset0:32 offset1:97
.LBB163_539:
	s_or_b64 exec, exec, s[14:15]
	v_mov_b32_e32 v3, 0
	v_mov_b32_e32 v2, 0
	s_waitcnt lgkmcnt(0)
	s_barrier
	s_and_saveexec_b64 s[16:17], s[6:7]
	s_cbranch_execz .LBB163_543
; %bb.540:
	v_mul_u32_u24_e32 v24, 0x208, v6
	ds_read_b64 v[2:3], v4 offset:16656
	ds_read_b64 v[24:25], v24 offset:16640
	v_cmp_gt_u32_e64 s[14:15], 2, v7
	s_waitcnt lgkmcnt(0)
	v_mul_f32_e32 v26, v25, v3
	v_mul_f32_e32 v3, v24, v3
	v_fma_f32 v24, v24, v2, -v26
	v_fmac_f32_e32 v3, v25, v2
	v_add_f32_e32 v2, 0, v24
	v_add_f32_e32 v3, 0, v3
	s_and_saveexec_b64 s[20:21], s[14:15]
	s_cbranch_execz .LBB163_542
; %bb.541:
	v_lshlrev_b32_e32 v24, 3, v0
	v_mov_b32_e32 v26, 0
	ds_read_b64 v[24:25], v24 offset:17168
	ds_read_b64 v[26:27], v26 offset:16648
	s_waitcnt lgkmcnt(0)
	v_mul_f32_e32 v28, v27, v25
	v_mul_f32_e32 v25, v26, v25
	v_fma_f32 v26, v26, v24, -v28
	v_fmac_f32_e32 v25, v27, v24
	v_add_f32_e32 v2, v2, v26
	v_add_f32_e32 v3, v3, v25
.LBB163_542:
	s_or_b64 exec, exec, s[20:21]
	v_xor_b32_e32 v2, 0x80000000, v2
	v_xor_b32_e32 v3, 0x80000000, v3
.LBB163_543:
	s_or_b64 exec, exec, s[16:17]
	s_and_saveexec_b64 s[14:15], s[40:41]
; %bb.544:
	ds_write_b64 v5, v[2:3]
; %bb.545:
	s_or_b64 exec, exec, s[14:15]
	s_waitcnt lgkmcnt(0)
	s_barrier
	s_and_saveexec_b64 s[14:15], s[38:39]
	s_cbranch_execz .LBB163_547
; %bb.546:
	v_mov_b32_e32 v24, 0
	ds_read_b64 v[24:25], v24 offset:17688
	ds_read_b64 v[26:27], v5
	s_waitcnt lgkmcnt(0)
	v_mul_f32_e32 v28, v27, v25
	v_mul_f32_e32 v25, v26, v25
	v_fma_f32 v26, v26, v24, -v28
	v_fmac_f32_e32 v25, v27, v24
	v_add_f32_e32 v2, v2, v26
	v_add_f32_e32 v3, v3, v25
.LBB163_547:
	s_or_b64 exec, exec, s[14:15]
	s_barrier
	s_and_saveexec_b64 s[14:15], s[38:39]
; %bb.548:
	ds_write_b64 v5, v[2:3]
; %bb.549:
	s_or_b64 exec, exec, s[14:15]
	s_waitcnt lgkmcnt(0)
	s_barrier
	s_barrier
	s_and_saveexec_b64 s[14:15], s[6:7]
; %bb.550:
	v_xor_b32_e32 v3, 0x80000000, v3
	v_xor_b32_e32 v2, 0x80000000, v2
	ds_write_b64 v4, v[2:3] offset:16656
; %bb.551:
	s_or_b64 exec, exec, s[14:15]
	s_waitcnt lgkmcnt(0)
	s_barrier
	s_barrier
	s_and_saveexec_b64 s[14:15], vcc
	s_cbranch_execz .LBB163_553
; %bb.552:
	s_mov_b64 s[16:17], 0x3f800000
	v_mov_b32_e32 v2, s16
	v_mov_b32_e32 v3, s17
	s_movk_i32 s16, 0x4000
	v_add_u32_e64 v24, s16, 0
	ds_write2_b64 v24, v[2:3], v[2:3] offset0:162 offset1:227
.LBB163_553:
	s_or_b64 exec, exec, s[14:15]
	v_mov_b32_e32 v3, 0
	v_mov_b32_e32 v2, 0
	s_waitcnt lgkmcnt(0)
	s_barrier
	s_and_saveexec_b64 s[16:17], s[18:19]
	s_cbranch_execz .LBB163_559
; %bb.554:
	v_mul_u32_u24_e32 v24, 0x208, v13
	ds_read_b64 v[2:3], v9 offset:16672
	ds_read_b64 v[25:26], v24 offset:16640
	v_cmp_gt_u32_e64 s[14:15], 12, v7
	s_waitcnt lgkmcnt(0)
	v_mul_f32_e32 v27, v26, v3
	v_mul_f32_e32 v3, v25, v3
	v_fma_f32 v25, v25, v2, -v27
	v_fmac_f32_e32 v3, v26, v2
	v_add_f32_e32 v2, 0, v25
	v_add_f32_e32 v3, 0, v3
	s_and_saveexec_b64 s[20:21], s[14:15]
	s_cbranch_execnz .LBB163_1016
; %bb.555:
	s_or_b64 exec, exec, s[20:21]
	v_cmp_gt_u32_e64 s[14:15], 8, v7
	s_and_saveexec_b64 s[20:21], s[14:15]
	s_cbranch_execnz .LBB163_1017
.LBB163_556:
	s_or_b64 exec, exec, s[20:21]
	v_cmp_gt_u32_e64 s[14:15], 4, v7
	s_and_saveexec_b64 s[20:21], s[14:15]
	s_cbranch_execz .LBB163_558
.LBB163_557:
	v_lshlrev_b32_e32 v24, 3, v0
	v_mov_b32_e32 v26, 0
	ds_read_b64 v[24:25], v24 offset:18208
	ds_read_b64 v[26:27], v26 offset:16664
	s_waitcnt lgkmcnt(0)
	v_mul_f32_e32 v28, v27, v25
	v_mul_f32_e32 v25, v26, v25
	v_fma_f32 v26, v26, v24, -v28
	v_fmac_f32_e32 v25, v27, v24
	v_add_f32_e32 v2, v2, v26
	v_add_f32_e32 v3, v3, v25
.LBB163_558:
	s_or_b64 exec, exec, s[20:21]
	v_xor_b32_e32 v2, 0x80000000, v2
	v_xor_b32_e32 v3, 0x80000000, v3
.LBB163_559:
	s_or_b64 exec, exec, s[16:17]
	s_and_saveexec_b64 s[14:15], s[44:45]
; %bb.560:
	ds_write_b64 v11, v[2:3]
; %bb.561:
	s_or_b64 exec, exec, s[14:15]
	s_waitcnt lgkmcnt(0)
	s_barrier
	s_and_saveexec_b64 s[14:15], s[46:47]
	s_cbranch_execz .LBB163_563
; %bb.562:
	ds_read_b64 v[24:25], v10 offset:18720
	ds_read_b64 v[26:27], v11
	s_waitcnt lgkmcnt(0)
	v_mul_f32_e32 v28, v27, v25
	v_mul_f32_e32 v25, v26, v25
	v_fma_f32 v26, v26, v24, -v28
	v_fmac_f32_e32 v25, v27, v24
	v_add_f32_e32 v2, v2, v26
	v_add_f32_e32 v3, v3, v25
.LBB163_563:
	s_or_b64 exec, exec, s[14:15]
	s_barrier
	s_and_saveexec_b64 s[14:15], s[48:49]
; %bb.564:
	ds_write_b64 v11, v[2:3]
; %bb.565:
	s_or_b64 exec, exec, s[14:15]
	s_waitcnt lgkmcnt(0)
	s_barrier
	s_and_saveexec_b64 s[14:15], s[50:51]
	s_cbranch_execz .LBB163_567
; %bb.566:
	ds_read_b64 v[24:25], v10 offset:19232
	ds_read_b64 v[26:27], v11
	s_waitcnt lgkmcnt(0)
	v_mul_f32_e32 v28, v27, v25
	v_mul_f32_e32 v25, v26, v25
	v_fma_f32 v26, v26, v24, -v28
	v_fmac_f32_e32 v25, v27, v24
	v_add_f32_e32 v2, v2, v26
	v_add_f32_e32 v3, v3, v25
.LBB163_567:
	s_or_b64 exec, exec, s[14:15]
	s_barrier
	s_and_saveexec_b64 s[14:15], s[52:53]
; %bb.568:
	ds_write_b64 v11, v[2:3]
; %bb.569:
	s_or_b64 exec, exec, s[14:15]
	s_waitcnt lgkmcnt(0)
	s_barrier
	s_and_saveexec_b64 s[14:15], s[42:43]
	s_cbranch_execz .LBB163_571
; %bb.570:
	v_mov_b32_e32 v24, 0
	ds_read_b64 v[24:25], v24 offset:19768
	ds_read_b64 v[26:27], v11
	s_waitcnt lgkmcnt(0)
	v_mul_f32_e32 v28, v27, v25
	v_mul_f32_e32 v25, v26, v25
	v_fma_f32 v26, v26, v24, -v28
	v_fmac_f32_e32 v25, v27, v24
	v_add_f32_e32 v2, v2, v26
	v_add_f32_e32 v3, v3, v25
.LBB163_571:
	s_or_b64 exec, exec, s[14:15]
	s_barrier
	s_and_saveexec_b64 s[14:15], s[42:43]
; %bb.572:
	ds_write_b64 v11, v[2:3]
; %bb.573:
	s_or_b64 exec, exec, s[14:15]
	s_waitcnt lgkmcnt(0)
	s_barrier
	s_barrier
	s_and_saveexec_b64 s[14:15], s[18:19]
; %bb.574:
	v_xor_b32_e32 v2, 0x80000000, v2
	v_xor_b32_e32 v3, 0x80000000, v3
	ds_write_b64 v9, v[2:3] offset:16672
; %bb.575:
	s_or_b64 exec, exec, s[14:15]
	s_waitcnt lgkmcnt(0)
	s_barrier
	s_barrier
	s_and_saveexec_b64 s[14:15], vcc
	s_cbranch_execz .LBB163_577
; %bb.576:
	s_mov_b64 s[16:17], 0x3f800000
	v_mov_b32_e32 v2, s16
	v_mov_b32_e32 v3, s17
	s_movk_i32 s16, 0x4800
	v_add_u32_e64 v24, s16, 0
	ds_write2_b64 v24, v[2:3], v[2:3] offset0:36 offset1:101
.LBB163_577:
	s_or_b64 exec, exec, s[14:15]
	v_mov_b32_e32 v3, 0
	v_mov_b32_e32 v2, 0
	s_waitcnt lgkmcnt(0)
	s_barrier
	s_and_saveexec_b64 s[16:17], s[6:7]
	s_cbranch_execz .LBB163_581
; %bb.578:
	v_mul_u32_u24_e32 v24, 0x208, v6
	ds_read_b64 v[2:3], v4 offset:18736
	ds_read_b64 v[24:25], v24 offset:18720
	v_cmp_gt_u32_e64 s[14:15], 2, v7
	s_waitcnt lgkmcnt(0)
	v_mul_f32_e32 v26, v25, v3
	v_mul_f32_e32 v3, v24, v3
	v_fma_f32 v24, v24, v2, -v26
	v_fmac_f32_e32 v3, v25, v2
	v_add_f32_e32 v2, 0, v24
	v_add_f32_e32 v3, 0, v3
	s_and_saveexec_b64 s[20:21], s[14:15]
	s_cbranch_execz .LBB163_580
; %bb.579:
	v_lshlrev_b32_e32 v24, 3, v0
	v_mov_b32_e32 v26, 0
	ds_read_b64 v[24:25], v24 offset:19248
	ds_read_b64 v[26:27], v26 offset:18728
	s_waitcnt lgkmcnt(0)
	v_mul_f32_e32 v28, v27, v25
	v_mul_f32_e32 v25, v26, v25
	v_fma_f32 v26, v26, v24, -v28
	v_fmac_f32_e32 v25, v27, v24
	v_add_f32_e32 v2, v2, v26
	v_add_f32_e32 v3, v3, v25
.LBB163_580:
	s_or_b64 exec, exec, s[20:21]
	v_xor_b32_e32 v2, 0x80000000, v2
	v_xor_b32_e32 v3, 0x80000000, v3
.LBB163_581:
	s_or_b64 exec, exec, s[16:17]
	s_and_saveexec_b64 s[14:15], s[40:41]
; %bb.582:
	ds_write_b64 v5, v[2:3]
; %bb.583:
	s_or_b64 exec, exec, s[14:15]
	s_waitcnt lgkmcnt(0)
	s_barrier
	s_and_saveexec_b64 s[14:15], s[38:39]
	s_cbranch_execz .LBB163_585
; %bb.584:
	v_mov_b32_e32 v24, 0
	ds_read_b64 v[24:25], v24 offset:19768
	ds_read_b64 v[26:27], v5
	s_waitcnt lgkmcnt(0)
	v_mul_f32_e32 v28, v27, v25
	v_mul_f32_e32 v25, v26, v25
	v_fma_f32 v26, v26, v24, -v28
	v_fmac_f32_e32 v25, v27, v24
	v_add_f32_e32 v2, v2, v26
	v_add_f32_e32 v3, v3, v25
.LBB163_585:
	s_or_b64 exec, exec, s[14:15]
	s_barrier
	s_and_saveexec_b64 s[14:15], s[38:39]
; %bb.586:
	ds_write_b64 v5, v[2:3]
; %bb.587:
	s_or_b64 exec, exec, s[14:15]
	s_waitcnt lgkmcnt(0)
	s_barrier
	s_barrier
	s_and_saveexec_b64 s[14:15], s[6:7]
; %bb.588:
	v_xor_b32_e32 v3, 0x80000000, v3
	v_xor_b32_e32 v2, 0x80000000, v2
	ds_write_b64 v4, v[2:3] offset:18736
; %bb.589:
	s_or_b64 exec, exec, s[14:15]
	s_waitcnt lgkmcnt(0)
	s_barrier
	s_barrier
	s_and_saveexec_b64 s[14:15], vcc
	s_cbranch_execz .LBB163_591
; %bb.590:
	s_mov_b64 s[16:17], 0x3f800000
	v_mov_b32_e32 v2, s16
	v_mov_b32_e32 v3, s17
	s_movk_i32 s16, 0x4800
	v_add_u32_e64 v24, s16, 0
	ds_write2_b64 v24, v[2:3], v[2:3] offset0:166 offset1:231
.LBB163_591:
	s_or_b64 exec, exec, s[14:15]
	v_mov_b32_e32 v3, 0
	v_mov_b32_e32 v2, 0
	s_waitcnt lgkmcnt(0)
	s_barrier
	s_and_saveexec_b64 s[16:17], s[10:11]
	s_cbranch_execz .LBB163_601
; %bb.592:
	v_mul_u32_u24_e32 v24, 0x208, v18
	ds_read_b64 v[2:3], v14 offset:16704
	ds_read_b64 v[25:26], v24 offset:16640
	v_cmp_gt_u32_e64 s[14:15], 56, v7
	s_waitcnt lgkmcnt(0)
	v_mul_f32_e32 v27, v26, v3
	v_mul_f32_e32 v3, v25, v3
	v_fma_f32 v25, v25, v2, -v27
	v_fmac_f32_e32 v3, v26, v2
	v_add_f32_e32 v2, 0, v25
	v_add_f32_e32 v3, 0, v3
	s_and_saveexec_b64 s[20:21], s[14:15]
	s_cbranch_execnz .LBB163_1018
; %bb.593:
	s_or_b64 exec, exec, s[20:21]
	v_cmp_gt_u32_e64 s[14:15], 48, v7
	s_and_saveexec_b64 s[20:21], s[14:15]
	s_cbranch_execnz .LBB163_1019
.LBB163_594:
	s_or_b64 exec, exec, s[20:21]
	v_cmp_gt_u32_e64 s[14:15], 40, v7
	s_and_saveexec_b64 s[20:21], s[14:15]
	s_cbranch_execnz .LBB163_1020
.LBB163_595:
	s_or_b64 exec, exec, s[20:21]
	v_cmp_gt_u32_e64 s[14:15], 32, v7
	s_and_saveexec_b64 s[20:21], s[14:15]
	s_cbranch_execnz .LBB163_1021
.LBB163_596:
	s_or_b64 exec, exec, s[20:21]
	v_cmp_gt_u32_e64 s[14:15], 24, v7
	s_and_saveexec_b64 s[20:21], s[14:15]
	s_cbranch_execnz .LBB163_1022
.LBB163_597:
	s_or_b64 exec, exec, s[20:21]
	v_cmp_gt_u32_e64 s[14:15], 16, v7
	s_and_saveexec_b64 s[20:21], s[14:15]
	s_cbranch_execnz .LBB163_1023
.LBB163_598:
	s_or_b64 exec, exec, s[20:21]
	v_cmp_gt_u32_e64 s[14:15], 8, v7
	s_and_saveexec_b64 s[20:21], s[14:15]
	s_cbranch_execz .LBB163_600
.LBB163_599:
	v_lshlrev_b32_e32 v24, 3, v0
	v_mov_b32_e32 v26, 0
	ds_read_b64 v[24:25], v24 offset:20288
	ds_read_b64 v[26:27], v26 offset:16696
	s_waitcnt lgkmcnt(0)
	v_mul_f32_e32 v28, v27, v25
	v_mul_f32_e32 v25, v26, v25
	v_fma_f32 v26, v26, v24, -v28
	v_fmac_f32_e32 v25, v27, v24
	v_add_f32_e32 v2, v2, v26
	v_add_f32_e32 v3, v3, v25
.LBB163_600:
	s_or_b64 exec, exec, s[20:21]
	v_xor_b32_e32 v2, 0x80000000, v2
	v_xor_b32_e32 v3, 0x80000000, v3
.LBB163_601:
	s_or_b64 exec, exec, s[16:17]
	s_and_saveexec_b64 s[14:15], s[56:57]
; %bb.602:
	ds_write_b64 v16, v[2:3]
; %bb.603:
	s_or_b64 exec, exec, s[14:15]
	s_waitcnt lgkmcnt(0)
	s_barrier
	s_and_saveexec_b64 s[14:15], s[58:59]
	s_cbranch_execz .LBB163_605
; %bb.604:
	ds_read_b64 v[24:25], v15 offset:20800
	ds_read_b64 v[26:27], v16
	s_waitcnt lgkmcnt(0)
	v_mul_f32_e32 v28, v27, v25
	v_mul_f32_e32 v25, v26, v25
	v_fma_f32 v26, v26, v24, -v28
	v_fmac_f32_e32 v25, v27, v24
	v_add_f32_e32 v2, v2, v26
	v_add_f32_e32 v3, v3, v25
.LBB163_605:
	s_or_b64 exec, exec, s[14:15]
	s_barrier
	s_and_saveexec_b64 s[14:15], s[60:61]
; %bb.606:
	ds_write_b64 v16, v[2:3]
; %bb.607:
	s_or_b64 exec, exec, s[14:15]
	s_waitcnt lgkmcnt(0)
	s_barrier
	s_and_saveexec_b64 s[14:15], s[62:63]
	s_cbranch_execz .LBB163_609
; %bb.608:
	ds_read_b64 v[24:25], v15 offset:21312
	ds_read_b64 v[26:27], v16
	s_waitcnt lgkmcnt(0)
	v_mul_f32_e32 v28, v27, v25
	v_mul_f32_e32 v25, v26, v25
	v_fma_f32 v26, v26, v24, -v28
	v_fmac_f32_e32 v25, v27, v24
	v_add_f32_e32 v2, v2, v26
	v_add_f32_e32 v3, v3, v25
.LBB163_609:
	s_or_b64 exec, exec, s[14:15]
	s_barrier
	;; [unrolled: 22-line block ×6, first 2 shown]
	s_and_saveexec_b64 s[14:15], s[80:81]
; %bb.626:
	ds_write_b64 v16, v[2:3]
; %bb.627:
	s_or_b64 exec, exec, s[14:15]
	s_waitcnt lgkmcnt(0)
	s_barrier
	s_and_saveexec_b64 s[14:15], s[54:55]
	s_cbranch_execz .LBB163_629
; %bb.628:
	v_mov_b32_e32 v24, 0
	ds_read_b64 v[24:25], v24 offset:23928
	ds_read_b64 v[26:27], v16
	s_waitcnt lgkmcnt(0)
	v_mul_f32_e32 v28, v27, v25
	v_mul_f32_e32 v25, v26, v25
	v_fma_f32 v26, v26, v24, -v28
	v_fmac_f32_e32 v25, v27, v24
	v_add_f32_e32 v2, v2, v26
	v_add_f32_e32 v3, v3, v25
.LBB163_629:
	s_or_b64 exec, exec, s[14:15]
	s_barrier
	s_and_saveexec_b64 s[14:15], s[54:55]
; %bb.630:
	ds_write_b64 v16, v[2:3]
; %bb.631:
	s_or_b64 exec, exec, s[14:15]
	s_waitcnt lgkmcnt(0)
	s_barrier
	s_barrier
	s_and_saveexec_b64 s[14:15], s[10:11]
; %bb.632:
	v_xor_b32_e32 v3, 0x80000000, v3
	v_xor_b32_e32 v2, 0x80000000, v2
	ds_write_b64 v14, v[2:3] offset:16704
; %bb.633:
	s_or_b64 exec, exec, s[14:15]
	s_waitcnt lgkmcnt(0)
	s_barrier
	s_barrier
	s_and_saveexec_b64 s[14:15], vcc
	s_cbranch_execz .LBB163_635
; %bb.634:
	s_mov_b64 s[16:17], 0x3f800000
	v_mov_b32_e32 v2, s16
	v_mov_b32_e32 v3, s17
	s_movk_i32 s16, 0x5000
	v_add_u32_e64 v24, s16, 0
	ds_write2_b64 v24, v[2:3], v[2:3] offset0:40 offset1:105
.LBB163_635:
	s_or_b64 exec, exec, s[14:15]
	v_mov_b32_e32 v3, 0
	v_mov_b32_e32 v2, 0
	s_waitcnt lgkmcnt(0)
	s_barrier
	s_and_saveexec_b64 s[16:17], s[6:7]
	s_cbranch_execz .LBB163_639
; %bb.636:
	v_mul_u32_u24_e32 v24, 0x208, v6
	ds_read_b64 v[2:3], v4 offset:20816
	ds_read_b64 v[24:25], v24 offset:20800
	v_cmp_gt_u32_e64 s[14:15], 2, v7
	s_waitcnt lgkmcnt(0)
	v_mul_f32_e32 v26, v25, v3
	v_mul_f32_e32 v3, v24, v3
	v_fma_f32 v24, v24, v2, -v26
	v_fmac_f32_e32 v3, v25, v2
	v_add_f32_e32 v2, 0, v24
	v_add_f32_e32 v3, 0, v3
	s_and_saveexec_b64 s[20:21], s[14:15]
	s_cbranch_execz .LBB163_638
; %bb.637:
	v_lshlrev_b32_e32 v24, 3, v0
	v_mov_b32_e32 v26, 0
	ds_read_b64 v[24:25], v24 offset:21328
	ds_read_b64 v[26:27], v26 offset:20808
	s_waitcnt lgkmcnt(0)
	v_mul_f32_e32 v28, v27, v25
	v_mul_f32_e32 v25, v26, v25
	v_fma_f32 v26, v26, v24, -v28
	v_fmac_f32_e32 v25, v27, v24
	v_add_f32_e32 v2, v2, v26
	v_add_f32_e32 v3, v3, v25
.LBB163_638:
	s_or_b64 exec, exec, s[20:21]
	v_xor_b32_e32 v2, 0x80000000, v2
	v_xor_b32_e32 v3, 0x80000000, v3
.LBB163_639:
	s_or_b64 exec, exec, s[16:17]
	s_and_saveexec_b64 s[14:15], s[40:41]
; %bb.640:
	ds_write_b64 v5, v[2:3]
; %bb.641:
	s_or_b64 exec, exec, s[14:15]
	s_waitcnt lgkmcnt(0)
	s_barrier
	s_and_saveexec_b64 s[14:15], s[38:39]
	s_cbranch_execz .LBB163_643
; %bb.642:
	v_mov_b32_e32 v24, 0
	ds_read_b64 v[24:25], v24 offset:21848
	ds_read_b64 v[26:27], v5
	s_waitcnt lgkmcnt(0)
	v_mul_f32_e32 v28, v27, v25
	v_mul_f32_e32 v25, v26, v25
	v_fma_f32 v26, v26, v24, -v28
	v_fmac_f32_e32 v25, v27, v24
	v_add_f32_e32 v2, v2, v26
	v_add_f32_e32 v3, v3, v25
.LBB163_643:
	s_or_b64 exec, exec, s[14:15]
	s_barrier
	s_and_saveexec_b64 s[14:15], s[38:39]
; %bb.644:
	ds_write_b64 v5, v[2:3]
; %bb.645:
	s_or_b64 exec, exec, s[14:15]
	s_waitcnt lgkmcnt(0)
	s_barrier
	s_barrier
	s_and_saveexec_b64 s[14:15], s[6:7]
; %bb.646:
	v_xor_b32_e32 v3, 0x80000000, v3
	v_xor_b32_e32 v2, 0x80000000, v2
	ds_write_b64 v4, v[2:3] offset:20816
; %bb.647:
	s_or_b64 exec, exec, s[14:15]
	s_waitcnt lgkmcnt(0)
	s_barrier
	s_barrier
	s_and_saveexec_b64 s[14:15], vcc
	s_cbranch_execz .LBB163_649
; %bb.648:
	s_mov_b64 s[16:17], 0x3f800000
	v_mov_b32_e32 v2, s16
	v_mov_b32_e32 v3, s17
	s_movk_i32 s16, 0x5000
	v_add_u32_e64 v24, s16, 0
	ds_write2_b64 v24, v[2:3], v[2:3] offset0:170 offset1:235
.LBB163_649:
	s_or_b64 exec, exec, s[14:15]
	v_mov_b32_e32 v3, 0
	v_mov_b32_e32 v2, 0
	s_waitcnt lgkmcnt(0)
	s_barrier
	s_and_saveexec_b64 s[16:17], s[18:19]
	s_cbranch_execz .LBB163_655
; %bb.650:
	v_mul_u32_u24_e32 v24, 0x208, v13
	ds_read_b64 v[2:3], v9 offset:20832
	ds_read_b64 v[25:26], v24 offset:20800
	v_cmp_gt_u32_e64 s[14:15], 12, v7
	s_waitcnt lgkmcnt(0)
	v_mul_f32_e32 v27, v26, v3
	v_mul_f32_e32 v3, v25, v3
	v_fma_f32 v25, v25, v2, -v27
	v_fmac_f32_e32 v3, v26, v2
	v_add_f32_e32 v2, 0, v25
	v_add_f32_e32 v3, 0, v3
	s_and_saveexec_b64 s[20:21], s[14:15]
	s_cbranch_execnz .LBB163_1024
; %bb.651:
	s_or_b64 exec, exec, s[20:21]
	v_cmp_gt_u32_e64 s[14:15], 8, v7
	s_and_saveexec_b64 s[20:21], s[14:15]
	s_cbranch_execnz .LBB163_1025
.LBB163_652:
	s_or_b64 exec, exec, s[20:21]
	v_cmp_gt_u32_e64 s[14:15], 4, v7
	s_and_saveexec_b64 s[20:21], s[14:15]
	s_cbranch_execz .LBB163_654
.LBB163_653:
	v_lshlrev_b32_e32 v24, 3, v0
	v_mov_b32_e32 v26, 0
	ds_read_b64 v[24:25], v24 offset:22368
	ds_read_b64 v[26:27], v26 offset:20824
	s_waitcnt lgkmcnt(0)
	v_mul_f32_e32 v28, v27, v25
	v_mul_f32_e32 v25, v26, v25
	v_fma_f32 v26, v26, v24, -v28
	v_fmac_f32_e32 v25, v27, v24
	v_add_f32_e32 v2, v2, v26
	v_add_f32_e32 v3, v3, v25
.LBB163_654:
	s_or_b64 exec, exec, s[20:21]
	v_xor_b32_e32 v2, 0x80000000, v2
	v_xor_b32_e32 v3, 0x80000000, v3
.LBB163_655:
	s_or_b64 exec, exec, s[16:17]
	s_and_saveexec_b64 s[14:15], s[44:45]
; %bb.656:
	ds_write_b64 v11, v[2:3]
; %bb.657:
	s_or_b64 exec, exec, s[14:15]
	s_waitcnt lgkmcnt(0)
	s_barrier
	s_and_saveexec_b64 s[14:15], s[46:47]
	s_cbranch_execz .LBB163_659
; %bb.658:
	ds_read_b64 v[24:25], v10 offset:22880
	ds_read_b64 v[26:27], v11
	s_waitcnt lgkmcnt(0)
	v_mul_f32_e32 v28, v27, v25
	v_mul_f32_e32 v25, v26, v25
	v_fma_f32 v26, v26, v24, -v28
	v_fmac_f32_e32 v25, v27, v24
	v_add_f32_e32 v2, v2, v26
	v_add_f32_e32 v3, v3, v25
.LBB163_659:
	s_or_b64 exec, exec, s[14:15]
	s_barrier
	s_and_saveexec_b64 s[14:15], s[48:49]
; %bb.660:
	ds_write_b64 v11, v[2:3]
; %bb.661:
	s_or_b64 exec, exec, s[14:15]
	s_waitcnt lgkmcnt(0)
	s_barrier
	s_and_saveexec_b64 s[14:15], s[50:51]
	s_cbranch_execz .LBB163_663
; %bb.662:
	ds_read_b64 v[24:25], v10 offset:23392
	ds_read_b64 v[26:27], v11
	s_waitcnt lgkmcnt(0)
	v_mul_f32_e32 v28, v27, v25
	v_mul_f32_e32 v25, v26, v25
	v_fma_f32 v26, v26, v24, -v28
	v_fmac_f32_e32 v25, v27, v24
	v_add_f32_e32 v2, v2, v26
	v_add_f32_e32 v3, v3, v25
.LBB163_663:
	s_or_b64 exec, exec, s[14:15]
	s_barrier
	s_and_saveexec_b64 s[14:15], s[52:53]
; %bb.664:
	ds_write_b64 v11, v[2:3]
; %bb.665:
	s_or_b64 exec, exec, s[14:15]
	s_waitcnt lgkmcnt(0)
	s_barrier
	s_and_saveexec_b64 s[14:15], s[42:43]
	s_cbranch_execz .LBB163_667
; %bb.666:
	v_mov_b32_e32 v24, 0
	ds_read_b64 v[24:25], v24 offset:23928
	ds_read_b64 v[26:27], v11
	s_waitcnt lgkmcnt(0)
	v_mul_f32_e32 v28, v27, v25
	v_mul_f32_e32 v25, v26, v25
	v_fma_f32 v26, v26, v24, -v28
	v_fmac_f32_e32 v25, v27, v24
	v_add_f32_e32 v2, v2, v26
	v_add_f32_e32 v3, v3, v25
.LBB163_667:
	s_or_b64 exec, exec, s[14:15]
	s_barrier
	s_and_saveexec_b64 s[14:15], s[42:43]
; %bb.668:
	ds_write_b64 v11, v[2:3]
; %bb.669:
	s_or_b64 exec, exec, s[14:15]
	s_waitcnt lgkmcnt(0)
	s_barrier
	s_barrier
	s_and_saveexec_b64 s[14:15], s[18:19]
; %bb.670:
	v_xor_b32_e32 v2, 0x80000000, v2
	v_xor_b32_e32 v3, 0x80000000, v3
	ds_write_b64 v9, v[2:3] offset:20832
; %bb.671:
	s_or_b64 exec, exec, s[14:15]
	s_waitcnt lgkmcnt(0)
	s_barrier
	s_barrier
	s_and_saveexec_b64 s[14:15], vcc
	s_cbranch_execz .LBB163_673
; %bb.672:
	s_mov_b64 s[16:17], 0x3f800000
	v_mov_b32_e32 v2, s16
	v_mov_b32_e32 v3, s17
	s_movk_i32 s16, 0x5800
	v_add_u32_e64 v24, s16, 0
	ds_write2_b64 v24, v[2:3], v[2:3] offset0:44 offset1:109
.LBB163_673:
	s_or_b64 exec, exec, s[14:15]
	v_mov_b32_e32 v3, 0
	v_mov_b32_e32 v2, 0
	s_waitcnt lgkmcnt(0)
	s_barrier
	s_and_saveexec_b64 s[16:17], s[6:7]
	s_cbranch_execz .LBB163_677
; %bb.674:
	v_mul_u32_u24_e32 v24, 0x208, v6
	ds_read_b64 v[2:3], v4 offset:22896
	ds_read_b64 v[24:25], v24 offset:22880
	v_cmp_gt_u32_e64 s[14:15], 2, v7
	s_waitcnt lgkmcnt(0)
	v_mul_f32_e32 v26, v25, v3
	v_mul_f32_e32 v3, v24, v3
	v_fma_f32 v24, v24, v2, -v26
	v_fmac_f32_e32 v3, v25, v2
	v_add_f32_e32 v2, 0, v24
	v_add_f32_e32 v3, 0, v3
	s_and_saveexec_b64 s[20:21], s[14:15]
	s_cbranch_execz .LBB163_676
; %bb.675:
	v_lshlrev_b32_e32 v24, 3, v0
	v_mov_b32_e32 v26, 0
	ds_read_b64 v[24:25], v24 offset:23408
	ds_read_b64 v[26:27], v26 offset:22888
	s_waitcnt lgkmcnt(0)
	v_mul_f32_e32 v28, v27, v25
	v_mul_f32_e32 v25, v26, v25
	v_fma_f32 v26, v26, v24, -v28
	v_fmac_f32_e32 v25, v27, v24
	v_add_f32_e32 v2, v2, v26
	v_add_f32_e32 v3, v3, v25
.LBB163_676:
	s_or_b64 exec, exec, s[20:21]
	v_xor_b32_e32 v2, 0x80000000, v2
	v_xor_b32_e32 v3, 0x80000000, v3
.LBB163_677:
	s_or_b64 exec, exec, s[16:17]
	s_and_saveexec_b64 s[14:15], s[40:41]
; %bb.678:
	ds_write_b64 v5, v[2:3]
; %bb.679:
	s_or_b64 exec, exec, s[14:15]
	s_waitcnt lgkmcnt(0)
	s_barrier
	s_and_saveexec_b64 s[14:15], s[38:39]
	s_cbranch_execz .LBB163_681
; %bb.680:
	v_mov_b32_e32 v24, 0
	ds_read_b64 v[24:25], v24 offset:23928
	ds_read_b64 v[26:27], v5
	s_waitcnt lgkmcnt(0)
	v_mul_f32_e32 v28, v27, v25
	v_mul_f32_e32 v25, v26, v25
	v_fma_f32 v26, v26, v24, -v28
	v_fmac_f32_e32 v25, v27, v24
	v_add_f32_e32 v2, v2, v26
	v_add_f32_e32 v3, v3, v25
.LBB163_681:
	s_or_b64 exec, exec, s[14:15]
	s_barrier
	s_and_saveexec_b64 s[14:15], s[38:39]
; %bb.682:
	ds_write_b64 v5, v[2:3]
; %bb.683:
	s_or_b64 exec, exec, s[14:15]
	s_waitcnt lgkmcnt(0)
	s_barrier
	s_barrier
	s_and_saveexec_b64 s[14:15], s[6:7]
; %bb.684:
	v_xor_b32_e32 v3, 0x80000000, v3
	v_xor_b32_e32 v2, 0x80000000, v2
	ds_write_b64 v4, v[2:3] offset:22896
; %bb.685:
	s_or_b64 exec, exec, s[14:15]
	s_waitcnt lgkmcnt(0)
	s_barrier
	s_barrier
	s_and_saveexec_b64 s[14:15], vcc
	s_cbranch_execz .LBB163_687
; %bb.686:
	s_mov_b64 s[16:17], 0x3f800000
	v_mov_b32_e32 v2, s16
	v_mov_b32_e32 v3, s17
	s_movk_i32 s16, 0x5800
	v_add_u32_e64 v24, s16, 0
	ds_write2_b64 v24, v[2:3], v[2:3] offset0:174 offset1:239
.LBB163_687:
	s_or_b64 exec, exec, s[14:15]
	v_mov_b32_e32 v3, 0
	v_mov_b32_e32 v2, 0
	s_waitcnt lgkmcnt(0)
	s_barrier
	s_and_saveexec_b64 s[16:17], s[12:13]
	s_cbranch_execz .LBB163_715
; %bb.688:
	v_mul_u32_u24_e32 v24, 0x208, v23
	ds_read_b64 v[2:3], v19 offset:16768
	ds_read_b64 v[25:26], v24 offset:16640
	s_movk_i32 s14, 0xf0
	v_cmp_gt_u32_e64 s[14:15], s14, v7
	s_waitcnt lgkmcnt(0)
	v_mul_f32_e32 v27, v26, v3
	v_mul_f32_e32 v3, v25, v3
	v_fma_f32 v25, v25, v2, -v27
	v_fmac_f32_e32 v3, v26, v2
	v_add_f32_e32 v2, 0, v25
	v_add_f32_e32 v3, 0, v3
	s_and_saveexec_b64 s[20:21], s[14:15]
	s_cbranch_execz .LBB163_690
; %bb.689:
	v_lshlrev_b32_e32 v25, 3, v23
	v_sub_u32_e32 v25, v24, v25
	v_lshl_add_u32 v25, v20, 3, v25
	ds_read_b64 v[25:26], v25 offset:17280
	ds_read_b64 v[27:28], v24 offset:16648
	s_waitcnt lgkmcnt(0)
	v_mul_f32_e32 v29, v28, v26
	v_mul_f32_e32 v26, v27, v26
	v_fma_f32 v27, v27, v25, -v29
	v_fmac_f32_e32 v26, v28, v25
	v_add_f32_e32 v2, v2, v27
	v_add_f32_e32 v3, v3, v26
.LBB163_690:
	s_or_b64 exec, exec, s[20:21]
	s_movk_i32 s14, 0xe0
	v_cmp_gt_u32_e64 s[14:15], s14, v7
	s_and_saveexec_b64 s[20:21], s[14:15]
	s_cbranch_execz .LBB163_692
; %bb.691:
	v_lshlrev_b32_e32 v25, 3, v23
	v_sub_u32_e32 v25, v24, v25
	v_lshl_add_u32 v25, v20, 3, v25
	ds_read_b64 v[25:26], v25 offset:17792
	ds_read_b64 v[27:28], v24 offset:16656
	s_waitcnt lgkmcnt(0)
	v_mul_f32_e32 v29, v28, v26
	v_mul_f32_e32 v26, v27, v26
	v_fma_f32 v27, v27, v25, -v29
	v_fmac_f32_e32 v26, v28, v25
	v_add_f32_e32 v2, v2, v27
	v_add_f32_e32 v3, v3, v26
.LBB163_692:
	s_or_b64 exec, exec, s[20:21]
	s_movk_i32 s14, 0xd0
	v_cmp_gt_u32_e64 s[14:15], s14, v7
	;; [unrolled: 19-line block ×6, first 2 shown]
	s_and_saveexec_b64 s[20:21], s[14:15]
	s_cbranch_execz .LBB163_702
; %bb.701:
	v_lshlrev_b32_e32 v23, 3, v20
	v_lshl_add_u32 v23, v22, 3, v23
	ds_read_b64 v[25:26], v23 offset:20352
	ds_read_b64 v[27:28], v24 offset:16696
	s_waitcnt lgkmcnt(0)
	v_mul_f32_e32 v23, v28, v26
	v_mul_f32_e32 v26, v27, v26
	v_fma_f32 v23, v27, v25, -v23
	v_fmac_f32_e32 v26, v28, v25
	v_add_f32_e32 v2, v2, v23
	v_add_f32_e32 v3, v3, v26
.LBB163_702:
	s_or_b64 exec, exec, s[20:21]
	s_movk_i32 s14, 0x80
	v_cmp_gt_u32_e64 s[14:15], s14, v7
	s_and_saveexec_b64 s[20:21], s[14:15]
	s_cbranch_execz .LBB163_704
; %bb.703:
	ds_read_b64 v[25:26], v19 offset:20864
	ds_read_b64 v[27:28], v24 offset:16704
	s_waitcnt lgkmcnt(0)
	v_mul_f32_e32 v23, v28, v26
	v_mul_f32_e32 v26, v27, v26
	v_fma_f32 v23, v27, v25, -v23
	v_fmac_f32_e32 v26, v28, v25
	v_add_f32_e32 v2, v2, v23
	v_add_f32_e32 v3, v3, v26
.LBB163_704:
	s_or_b64 exec, exec, s[20:21]
	s_movk_i32 s14, 0x70
	v_cmp_gt_u32_e64 s[14:15], s14, v7
	s_and_saveexec_b64 s[20:21], s[14:15]
	s_cbranch_execz .LBB163_706
; %bb.705:
	v_lshlrev_b32_e32 v23, 3, v20
	v_lshl_add_u32 v23, v22, 3, v23
	ds_read_b64 v[25:26], v23 offset:21376
	ds_read_b64 v[27:28], v24 offset:16712
	s_waitcnt lgkmcnt(0)
	v_mul_f32_e32 v23, v28, v26
	v_mul_f32_e32 v26, v27, v26
	v_fma_f32 v23, v27, v25, -v23
	v_fmac_f32_e32 v26, v28, v25
	v_add_f32_e32 v2, v2, v23
	v_add_f32_e32 v3, v3, v26
.LBB163_706:
	s_or_b64 exec, exec, s[20:21]
	s_movk_i32 s14, 0x60
	v_cmp_gt_u32_e64 s[14:15], s14, v7
	s_and_saveexec_b64 s[20:21], s[14:15]
	s_cbranch_execz .LBB163_708
; %bb.707:
	v_lshlrev_b32_e32 v23, 3, v20
	v_lshl_add_u32 v23, v22, 3, v23
	ds_read_b64 v[25:26], v23 offset:21888
	ds_read_b64 v[27:28], v24 offset:16720
	s_waitcnt lgkmcnt(0)
	v_mul_f32_e32 v23, v28, v26
	v_mul_f32_e32 v26, v27, v26
	v_fma_f32 v23, v27, v25, -v23
	v_fmac_f32_e32 v26, v28, v25
	v_add_f32_e32 v2, v2, v23
	v_add_f32_e32 v3, v3, v26
.LBB163_708:
	s_or_b64 exec, exec, s[20:21]
	s_movk_i32 s14, 0x50
	v_cmp_gt_u32_e64 s[14:15], s14, v7
	s_and_saveexec_b64 s[20:21], s[14:15]
	s_cbranch_execnz .LBB163_1026
; %bb.709:
	s_or_b64 exec, exec, s[20:21]
	v_cmp_gt_u32_e64 s[14:15], 64, v7
	s_and_saveexec_b64 s[20:21], s[14:15]
	s_cbranch_execnz .LBB163_1027
.LBB163_710:
	s_or_b64 exec, exec, s[20:21]
	v_cmp_gt_u32_e64 s[14:15], 48, v7
	s_and_saveexec_b64 s[20:21], s[14:15]
	s_cbranch_execnz .LBB163_1028
.LBB163_711:
	s_or_b64 exec, exec, s[20:21]
	v_cmp_gt_u32_e64 s[14:15], 32, v7
	s_and_saveexec_b64 s[20:21], s[14:15]
	s_cbranch_execnz .LBB163_1029
.LBB163_712:
	s_or_b64 exec, exec, s[20:21]
	v_cmp_gt_u32_e64 s[14:15], 16, v7
	s_and_saveexec_b64 s[20:21], s[14:15]
	s_cbranch_execz .LBB163_714
.LBB163_713:
	v_lshlrev_b32_e32 v22, 3, v0
	v_mov_b32_e32 v24, 0
	ds_read_b64 v[22:23], v22 offset:24448
	ds_read_b64 v[24:25], v24 offset:16760
	s_waitcnt lgkmcnt(0)
	v_mul_f32_e32 v26, v25, v23
	v_mul_f32_e32 v23, v24, v23
	v_fma_f32 v24, v24, v22, -v26
	v_fmac_f32_e32 v23, v25, v22
	v_add_f32_e32 v2, v2, v24
	v_add_f32_e32 v3, v3, v23
.LBB163_714:
	s_or_b64 exec, exec, s[20:21]
	v_xor_b32_e32 v2, 0x80000000, v2
	v_xor_b32_e32 v3, 0x80000000, v3
.LBB163_715:
	s_or_b64 exec, exec, s[16:17]
	s_mov_b64 s[14:15], exec
	v_readlane_b32 s16, v35, 0
	v_readlane_b32 s17, v35, 1
	s_and_b64 s[16:17], s[14:15], s[16:17]
	s_mov_b64 exec, s[16:17]
; %bb.716:
	ds_write_b64 v21, v[2:3]
; %bb.717:
	s_or_b64 exec, exec, s[14:15]
	s_waitcnt lgkmcnt(0)
	s_barrier
	s_mov_b64 s[14:15], exec
	v_readlane_b32 s16, v35, 2
	v_readlane_b32 s17, v35, 3
	s_and_b64 s[16:17], s[14:15], s[16:17]
	s_mov_b64 exec, s[16:17]
	s_cbranch_execz .LBB163_719
; %bb.718:
	v_lshlrev_b32_e32 v22, 3, v20
	ds_read_b64 v[22:23], v22 offset:24960
	ds_read_b64 v[24:25], v21
	s_waitcnt lgkmcnt(0)
	v_mul_f32_e32 v26, v25, v23
	v_mul_f32_e32 v23, v24, v23
	v_fma_f32 v24, v24, v22, -v26
	v_fmac_f32_e32 v23, v25, v22
	v_add_f32_e32 v2, v2, v24
	v_add_f32_e32 v3, v3, v23
.LBB163_719:
	s_or_b64 exec, exec, s[14:15]
	s_barrier
	s_mov_b64 s[14:15], exec
	v_readlane_b32 s16, v35, 4
	v_readlane_b32 s17, v35, 5
	s_and_b64 s[16:17], s[14:15], s[16:17]
	s_mov_b64 exec, s[16:17]
; %bb.720:
	ds_write_b64 v21, v[2:3]
; %bb.721:
	s_or_b64 exec, exec, s[14:15]
	s_waitcnt lgkmcnt(0)
	s_barrier
	s_mov_b64 s[14:15], exec
	v_readlane_b32 s16, v35, 6
	v_readlane_b32 s17, v35, 7
	s_and_b64 s[16:17], s[14:15], s[16:17]
	s_mov_b64 exec, s[16:17]
	s_cbranch_execz .LBB163_723
; %bb.722:
	v_lshlrev_b32_e32 v22, 3, v20
	ds_read_b64 v[22:23], v22 offset:25472
	ds_read_b64 v[24:25], v21
	s_waitcnt lgkmcnt(0)
	v_mul_f32_e32 v26, v25, v23
	v_mul_f32_e32 v23, v24, v23
	v_fma_f32 v24, v24, v22, -v26
	v_fmac_f32_e32 v23, v25, v22
	v_add_f32_e32 v2, v2, v24
	v_add_f32_e32 v3, v3, v23
.LBB163_723:
	s_or_b64 exec, exec, s[14:15]
	s_barrier
	;; [unrolled: 31-line block ×11, first 2 shown]
	s_mov_b64 s[14:15], exec
	v_readlane_b32 s16, v35, 44
	v_readlane_b32 s17, v35, 45
	s_and_b64 s[16:17], s[14:15], s[16:17]
	s_mov_b64 exec, s[16:17]
; %bb.760:
	ds_write_b64 v21, v[2:3]
; %bb.761:
	s_or_b64 exec, exec, s[14:15]
	s_waitcnt lgkmcnt(0)
	s_barrier
	s_and_saveexec_b64 s[14:15], s[90:91]
	s_cbranch_execz .LBB163_763
; %bb.762:
	v_lshlrev_b32_e32 v22, 3, v20
	ds_read_b64 v[22:23], v22 offset:30592
	ds_read_b64 v[24:25], v21
	s_waitcnt lgkmcnt(0)
	v_mul_f32_e32 v26, v25, v23
	v_mul_f32_e32 v23, v24, v23
	v_fma_f32 v24, v24, v22, -v26
	v_fmac_f32_e32 v23, v25, v22
	v_add_f32_e32 v2, v2, v24
	v_add_f32_e32 v3, v3, v23
.LBB163_763:
	s_or_b64 exec, exec, s[14:15]
	s_barrier
	s_and_saveexec_b64 s[14:15], s[92:93]
; %bb.764:
	ds_write_b64 v21, v[2:3]
; %bb.765:
	s_or_b64 exec, exec, s[14:15]
	s_waitcnt lgkmcnt(0)
	s_barrier
	s_and_saveexec_b64 s[14:15], s[94:95]
	s_cbranch_execz .LBB163_767
; %bb.766:
	v_lshlrev_b32_e32 v22, 3, v20
	ds_read_b64 v[22:23], v22 offset:31104
	ds_read_b64 v[24:25], v21
	s_waitcnt lgkmcnt(0)
	v_mul_f32_e32 v26, v25, v23
	v_mul_f32_e32 v23, v24, v23
	v_fma_f32 v24, v24, v22, -v26
	v_fmac_f32_e32 v23, v25, v22
	v_add_f32_e32 v2, v2, v24
	v_add_f32_e32 v3, v3, v23
.LBB163_767:
	s_or_b64 exec, exec, s[14:15]
	s_barrier
	s_and_saveexec_b64 s[14:15], s[96:97]
	;; [unrolled: 23-line block ×3, first 2 shown]
; %bb.772:
	ds_write_b64 v21, v[2:3]
; %bb.773:
	s_or_b64 exec, exec, s[14:15]
	s_waitcnt lgkmcnt(0)
	s_barrier
	s_and_saveexec_b64 s[14:15], s[82:83]
	s_cbranch_execz .LBB163_775
; %bb.774:
	v_mov_b32_e32 v20, 0
	ds_read_b64 v[22:23], v20 offset:32248
	ds_read_b64 v[24:25], v21
	s_waitcnt lgkmcnt(0)
	v_mul_f32_e32 v20, v25, v23
	v_mul_f32_e32 v23, v24, v23
	v_fma_f32 v20, v24, v22, -v20
	v_fmac_f32_e32 v23, v25, v22
	v_add_f32_e32 v2, v2, v20
	v_add_f32_e32 v3, v3, v23
.LBB163_775:
	s_or_b64 exec, exec, s[14:15]
	s_barrier
	s_and_saveexec_b64 s[14:15], s[82:83]
; %bb.776:
	ds_write_b64 v21, v[2:3]
; %bb.777:
	s_or_b64 exec, exec, s[14:15]
	s_waitcnt lgkmcnt(0)
	s_barrier
	s_barrier
	s_and_saveexec_b64 s[14:15], s[12:13]
; %bb.778:
	v_xor_b32_e32 v2, 0x80000000, v2
	v_xor_b32_e32 v3, 0x80000000, v3
	ds_write_b64 v19, v[2:3] offset:16768
; %bb.779:
	s_or_b64 exec, exec, s[14:15]
	s_waitcnt lgkmcnt(0)
	s_barrier
	s_barrier
	s_and_saveexec_b64 s[12:13], vcc
	s_cbranch_execz .LBB163_781
; %bb.780:
	s_mov_b64 s[14:15], 0x3f800000
	v_mov_b32_e32 v2, s14
	v_mov_b32_e32 v3, s15
	s_movk_i32 s14, 0x6000
	v_add_u32_e64 v19, s14, 0
	ds_write2_b64 v19, v[2:3], v[2:3] offset0:48 offset1:113
.LBB163_781:
	s_or_b64 exec, exec, s[12:13]
	v_mov_b32_e32 v3, 0
	v_mov_b32_e32 v2, 0
	s_waitcnt lgkmcnt(0)
	s_barrier
	s_and_saveexec_b64 s[14:15], s[6:7]
	s_cbranch_execz .LBB163_785
; %bb.782:
	v_mul_u32_u24_e32 v19, 0x208, v6
	ds_read_b64 v[2:3], v4 offset:24976
	ds_read_b64 v[19:20], v19 offset:24960
	v_cmp_gt_u32_e64 s[12:13], 2, v7
	s_waitcnt lgkmcnt(0)
	v_mul_f32_e32 v21, v20, v3
	v_mul_f32_e32 v3, v19, v3
	v_fma_f32 v19, v19, v2, -v21
	v_fmac_f32_e32 v3, v20, v2
	v_add_f32_e32 v2, 0, v19
	v_add_f32_e32 v3, 0, v3
	s_and_saveexec_b64 s[16:17], s[12:13]
	s_cbranch_execz .LBB163_784
; %bb.783:
	v_lshlrev_b32_e32 v19, 3, v0
	v_mov_b32_e32 v21, 0
	ds_read_b64 v[19:20], v19 offset:25488
	ds_read_b64 v[21:22], v21 offset:24968
	s_waitcnt lgkmcnt(0)
	v_mul_f32_e32 v23, v22, v20
	v_mul_f32_e32 v20, v21, v20
	v_fma_f32 v21, v21, v19, -v23
	v_fmac_f32_e32 v20, v22, v19
	v_add_f32_e32 v2, v2, v21
	v_add_f32_e32 v3, v3, v20
.LBB163_784:
	s_or_b64 exec, exec, s[16:17]
	v_xor_b32_e32 v2, 0x80000000, v2
	v_xor_b32_e32 v3, 0x80000000, v3
.LBB163_785:
	s_or_b64 exec, exec, s[14:15]
	s_and_saveexec_b64 s[12:13], s[40:41]
; %bb.786:
	ds_write_b64 v5, v[2:3]
; %bb.787:
	s_or_b64 exec, exec, s[12:13]
	s_waitcnt lgkmcnt(0)
	s_barrier
	s_and_saveexec_b64 s[12:13], s[38:39]
	s_cbranch_execz .LBB163_789
; %bb.788:
	v_mov_b32_e32 v19, 0
	ds_read_b64 v[19:20], v19 offset:26008
	ds_read_b64 v[21:22], v5
	s_waitcnt lgkmcnt(0)
	v_mul_f32_e32 v23, v22, v20
	v_mul_f32_e32 v20, v21, v20
	v_fma_f32 v21, v21, v19, -v23
	v_fmac_f32_e32 v20, v22, v19
	v_add_f32_e32 v2, v2, v21
	v_add_f32_e32 v3, v3, v20
.LBB163_789:
	s_or_b64 exec, exec, s[12:13]
	s_barrier
	s_and_saveexec_b64 s[12:13], s[38:39]
; %bb.790:
	ds_write_b64 v5, v[2:3]
; %bb.791:
	s_or_b64 exec, exec, s[12:13]
	s_waitcnt lgkmcnt(0)
	s_barrier
	s_barrier
	s_and_saveexec_b64 s[12:13], s[6:7]
; %bb.792:
	v_xor_b32_e32 v3, 0x80000000, v3
	v_xor_b32_e32 v2, 0x80000000, v2
	ds_write_b64 v4, v[2:3] offset:24976
; %bb.793:
	s_or_b64 exec, exec, s[12:13]
	s_waitcnt lgkmcnt(0)
	s_barrier
	s_barrier
	s_and_saveexec_b64 s[12:13], vcc
	s_cbranch_execz .LBB163_795
; %bb.794:
	s_mov_b64 s[14:15], 0x3f800000
	v_mov_b32_e32 v2, s14
	v_mov_b32_e32 v3, s15
	s_movk_i32 s14, 0x6000
	v_add_u32_e64 v19, s14, 0
	ds_write2_b64 v19, v[2:3], v[2:3] offset0:178 offset1:243
.LBB163_795:
	s_or_b64 exec, exec, s[12:13]
	v_mov_b32_e32 v3, 0
	v_mov_b32_e32 v2, 0
	s_waitcnt lgkmcnt(0)
	s_barrier
	s_and_saveexec_b64 s[14:15], s[18:19]
	s_cbranch_execz .LBB163_801
; %bb.796:
	v_mul_u32_u24_e32 v19, 0x208, v13
	ds_read_b64 v[2:3], v9 offset:24992
	ds_read_b64 v[20:21], v19 offset:24960
	v_cmp_gt_u32_e64 s[12:13], 12, v7
	s_waitcnt lgkmcnt(0)
	v_mul_f32_e32 v22, v21, v3
	v_mul_f32_e32 v3, v20, v3
	v_fma_f32 v20, v20, v2, -v22
	v_fmac_f32_e32 v3, v21, v2
	v_add_f32_e32 v2, 0, v20
	v_add_f32_e32 v3, 0, v3
	s_and_saveexec_b64 s[16:17], s[12:13]
	s_cbranch_execnz .LBB163_1030
; %bb.797:
	s_or_b64 exec, exec, s[16:17]
	v_cmp_gt_u32_e64 s[12:13], 8, v7
	s_and_saveexec_b64 s[16:17], s[12:13]
	s_cbranch_execnz .LBB163_1031
.LBB163_798:
	s_or_b64 exec, exec, s[16:17]
	v_cmp_gt_u32_e64 s[12:13], 4, v7
	s_and_saveexec_b64 s[16:17], s[12:13]
	s_cbranch_execz .LBB163_800
.LBB163_799:
	v_lshlrev_b32_e32 v19, 3, v0
	v_mov_b32_e32 v21, 0
	ds_read_b64 v[19:20], v19 offset:26528
	ds_read_b64 v[21:22], v21 offset:24984
	s_waitcnt lgkmcnt(0)
	v_mul_f32_e32 v23, v22, v20
	v_mul_f32_e32 v20, v21, v20
	v_fma_f32 v21, v21, v19, -v23
	v_fmac_f32_e32 v20, v22, v19
	v_add_f32_e32 v2, v2, v21
	v_add_f32_e32 v3, v3, v20
.LBB163_800:
	s_or_b64 exec, exec, s[16:17]
	v_xor_b32_e32 v2, 0x80000000, v2
	v_xor_b32_e32 v3, 0x80000000, v3
.LBB163_801:
	s_or_b64 exec, exec, s[14:15]
	s_and_saveexec_b64 s[12:13], s[44:45]
; %bb.802:
	ds_write_b64 v11, v[2:3]
; %bb.803:
	s_or_b64 exec, exec, s[12:13]
	s_waitcnt lgkmcnt(0)
	s_barrier
	s_and_saveexec_b64 s[12:13], s[46:47]
	s_cbranch_execz .LBB163_805
; %bb.804:
	ds_read_b64 v[19:20], v10 offset:27040
	ds_read_b64 v[21:22], v11
	s_waitcnt lgkmcnt(0)
	v_mul_f32_e32 v23, v22, v20
	v_mul_f32_e32 v20, v21, v20
	v_fma_f32 v21, v21, v19, -v23
	v_fmac_f32_e32 v20, v22, v19
	v_add_f32_e32 v2, v2, v21
	v_add_f32_e32 v3, v3, v20
.LBB163_805:
	s_or_b64 exec, exec, s[12:13]
	s_barrier
	s_and_saveexec_b64 s[12:13], s[48:49]
; %bb.806:
	ds_write_b64 v11, v[2:3]
; %bb.807:
	s_or_b64 exec, exec, s[12:13]
	s_waitcnt lgkmcnt(0)
	s_barrier
	s_and_saveexec_b64 s[12:13], s[50:51]
	s_cbranch_execz .LBB163_809
; %bb.808:
	ds_read_b64 v[19:20], v10 offset:27552
	ds_read_b64 v[21:22], v11
	s_waitcnt lgkmcnt(0)
	v_mul_f32_e32 v23, v22, v20
	v_mul_f32_e32 v20, v21, v20
	v_fma_f32 v21, v21, v19, -v23
	v_fmac_f32_e32 v20, v22, v19
	v_add_f32_e32 v2, v2, v21
	v_add_f32_e32 v3, v3, v20
.LBB163_809:
	s_or_b64 exec, exec, s[12:13]
	s_barrier
	s_and_saveexec_b64 s[12:13], s[52:53]
; %bb.810:
	ds_write_b64 v11, v[2:3]
; %bb.811:
	s_or_b64 exec, exec, s[12:13]
	s_waitcnt lgkmcnt(0)
	s_barrier
	s_and_saveexec_b64 s[12:13], s[42:43]
	s_cbranch_execz .LBB163_813
; %bb.812:
	v_mov_b32_e32 v19, 0
	ds_read_b64 v[19:20], v19 offset:28088
	ds_read_b64 v[21:22], v11
	s_waitcnt lgkmcnt(0)
	v_mul_f32_e32 v23, v22, v20
	v_mul_f32_e32 v20, v21, v20
	v_fma_f32 v21, v21, v19, -v23
	v_fmac_f32_e32 v20, v22, v19
	v_add_f32_e32 v2, v2, v21
	v_add_f32_e32 v3, v3, v20
.LBB163_813:
	s_or_b64 exec, exec, s[12:13]
	s_barrier
	s_and_saveexec_b64 s[12:13], s[42:43]
; %bb.814:
	ds_write_b64 v11, v[2:3]
; %bb.815:
	s_or_b64 exec, exec, s[12:13]
	s_waitcnt lgkmcnt(0)
	s_barrier
	s_barrier
	s_and_saveexec_b64 s[12:13], s[18:19]
; %bb.816:
	v_xor_b32_e32 v2, 0x80000000, v2
	v_xor_b32_e32 v3, 0x80000000, v3
	ds_write_b64 v9, v[2:3] offset:24992
; %bb.817:
	s_or_b64 exec, exec, s[12:13]
	s_waitcnt lgkmcnt(0)
	s_barrier
	s_barrier
	s_and_saveexec_b64 s[12:13], vcc
	s_cbranch_execz .LBB163_819
; %bb.818:
	s_mov_b64 s[14:15], 0x3f800000
	v_mov_b32_e32 v2, s14
	v_mov_b32_e32 v3, s15
	s_movk_i32 s14, 0x6800
	v_add_u32_e64 v19, s14, 0
	ds_write2_b64 v19, v[2:3], v[2:3] offset0:52 offset1:117
.LBB163_819:
	s_or_b64 exec, exec, s[12:13]
	v_mov_b32_e32 v3, 0
	v_mov_b32_e32 v2, 0
	s_waitcnt lgkmcnt(0)
	s_barrier
	s_and_saveexec_b64 s[14:15], s[6:7]
	s_cbranch_execz .LBB163_823
; %bb.820:
	v_mul_u32_u24_e32 v19, 0x208, v6
	ds_read_b64 v[2:3], v4 offset:27056
	ds_read_b64 v[19:20], v19 offset:27040
	v_cmp_gt_u32_e64 s[12:13], 2, v7
	s_waitcnt lgkmcnt(0)
	v_mul_f32_e32 v21, v20, v3
	v_mul_f32_e32 v3, v19, v3
	v_fma_f32 v19, v19, v2, -v21
	v_fmac_f32_e32 v3, v20, v2
	v_add_f32_e32 v2, 0, v19
	v_add_f32_e32 v3, 0, v3
	s_and_saveexec_b64 s[16:17], s[12:13]
	s_cbranch_execz .LBB163_822
; %bb.821:
	v_lshlrev_b32_e32 v19, 3, v0
	v_mov_b32_e32 v21, 0
	ds_read_b64 v[19:20], v19 offset:27568
	ds_read_b64 v[21:22], v21 offset:27048
	s_waitcnt lgkmcnt(0)
	v_mul_f32_e32 v23, v22, v20
	v_mul_f32_e32 v20, v21, v20
	v_fma_f32 v21, v21, v19, -v23
	v_fmac_f32_e32 v20, v22, v19
	v_add_f32_e32 v2, v2, v21
	v_add_f32_e32 v3, v3, v20
.LBB163_822:
	s_or_b64 exec, exec, s[16:17]
	v_xor_b32_e32 v2, 0x80000000, v2
	v_xor_b32_e32 v3, 0x80000000, v3
.LBB163_823:
	s_or_b64 exec, exec, s[14:15]
	s_and_saveexec_b64 s[12:13], s[40:41]
; %bb.824:
	ds_write_b64 v5, v[2:3]
; %bb.825:
	s_or_b64 exec, exec, s[12:13]
	s_waitcnt lgkmcnt(0)
	s_barrier
	s_and_saveexec_b64 s[12:13], s[38:39]
	s_cbranch_execz .LBB163_827
; %bb.826:
	v_mov_b32_e32 v19, 0
	ds_read_b64 v[19:20], v19 offset:28088
	ds_read_b64 v[21:22], v5
	s_waitcnt lgkmcnt(0)
	v_mul_f32_e32 v23, v22, v20
	v_mul_f32_e32 v20, v21, v20
	v_fma_f32 v21, v21, v19, -v23
	v_fmac_f32_e32 v20, v22, v19
	v_add_f32_e32 v2, v2, v21
	v_add_f32_e32 v3, v3, v20
.LBB163_827:
	s_or_b64 exec, exec, s[12:13]
	s_barrier
	s_and_saveexec_b64 s[12:13], s[38:39]
; %bb.828:
	ds_write_b64 v5, v[2:3]
; %bb.829:
	s_or_b64 exec, exec, s[12:13]
	s_waitcnt lgkmcnt(0)
	s_barrier
	s_barrier
	s_and_saveexec_b64 s[12:13], s[6:7]
; %bb.830:
	v_xor_b32_e32 v3, 0x80000000, v3
	v_xor_b32_e32 v2, 0x80000000, v2
	ds_write_b64 v4, v[2:3] offset:27056
; %bb.831:
	s_or_b64 exec, exec, s[12:13]
	s_waitcnt lgkmcnt(0)
	s_barrier
	s_barrier
	s_and_saveexec_b64 s[12:13], vcc
	s_cbranch_execz .LBB163_833
; %bb.832:
	s_mov_b64 s[14:15], 0x3f800000
	v_mov_b32_e32 v2, s14
	v_mov_b32_e32 v3, s15
	s_movk_i32 s14, 0x6800
	v_add_u32_e64 v19, s14, 0
	ds_write2_b64 v19, v[2:3], v[2:3] offset0:182 offset1:247
.LBB163_833:
	s_or_b64 exec, exec, s[12:13]
	v_mov_b32_e32 v3, 0
	v_mov_b32_e32 v2, 0
	s_waitcnt lgkmcnt(0)
	s_barrier
	s_and_saveexec_b64 s[14:15], s[10:11]
	s_cbranch_execz .LBB163_843
; %bb.834:
	v_mul_u32_u24_e32 v19, 0x208, v18
	ds_read_b64 v[2:3], v14 offset:25024
	ds_read_b64 v[20:21], v19 offset:24960
	v_cmp_gt_u32_e64 s[12:13], 56, v7
	s_waitcnt lgkmcnt(0)
	v_mul_f32_e32 v22, v21, v3
	v_mul_f32_e32 v3, v20, v3
	v_fma_f32 v20, v20, v2, -v22
	v_fmac_f32_e32 v3, v21, v2
	v_add_f32_e32 v2, 0, v20
	v_add_f32_e32 v3, 0, v3
	s_and_saveexec_b64 s[16:17], s[12:13]
	s_cbranch_execnz .LBB163_1032
; %bb.835:
	s_or_b64 exec, exec, s[16:17]
	v_cmp_gt_u32_e64 s[12:13], 48, v7
	s_and_saveexec_b64 s[16:17], s[12:13]
	s_cbranch_execnz .LBB163_1033
.LBB163_836:
	s_or_b64 exec, exec, s[16:17]
	v_cmp_gt_u32_e64 s[12:13], 40, v7
	s_and_saveexec_b64 s[16:17], s[12:13]
	s_cbranch_execnz .LBB163_1034
.LBB163_837:
	s_or_b64 exec, exec, s[16:17]
	v_cmp_gt_u32_e64 s[12:13], 32, v7
	s_and_saveexec_b64 s[16:17], s[12:13]
	s_cbranch_execnz .LBB163_1035
.LBB163_838:
	s_or_b64 exec, exec, s[16:17]
	v_cmp_gt_u32_e64 s[12:13], 24, v7
	s_and_saveexec_b64 s[16:17], s[12:13]
	s_cbranch_execnz .LBB163_1036
.LBB163_839:
	s_or_b64 exec, exec, s[16:17]
	v_cmp_gt_u32_e64 s[12:13], 16, v7
	s_and_saveexec_b64 s[16:17], s[12:13]
	s_cbranch_execnz .LBB163_1037
.LBB163_840:
	s_or_b64 exec, exec, s[16:17]
	v_cmp_gt_u32_e64 s[12:13], 8, v7
	s_and_saveexec_b64 s[16:17], s[12:13]
	s_cbranch_execz .LBB163_842
.LBB163_841:
	v_lshlrev_b32_e32 v17, 3, v0
	v_mov_b32_e32 v19, 0
	ds_read_b64 v[17:18], v17 offset:28608
	ds_read_b64 v[19:20], v19 offset:25016
	s_waitcnt lgkmcnt(0)
	v_mul_f32_e32 v21, v20, v18
	v_mul_f32_e32 v18, v19, v18
	v_fma_f32 v19, v19, v17, -v21
	v_fmac_f32_e32 v18, v20, v17
	v_add_f32_e32 v2, v2, v19
	v_add_f32_e32 v3, v3, v18
.LBB163_842:
	s_or_b64 exec, exec, s[16:17]
	v_xor_b32_e32 v2, 0x80000000, v2
	v_xor_b32_e32 v3, 0x80000000, v3
.LBB163_843:
	s_or_b64 exec, exec, s[14:15]
	s_and_saveexec_b64 s[12:13], s[56:57]
; %bb.844:
	ds_write_b64 v16, v[2:3]
; %bb.845:
	s_or_b64 exec, exec, s[12:13]
	s_waitcnt lgkmcnt(0)
	s_barrier
	s_and_saveexec_b64 s[12:13], s[58:59]
	s_cbranch_execz .LBB163_847
; %bb.846:
	ds_read_b64 v[17:18], v15 offset:29120
	ds_read_b64 v[19:20], v16
	s_waitcnt lgkmcnt(0)
	v_mul_f32_e32 v21, v20, v18
	v_mul_f32_e32 v18, v19, v18
	v_fma_f32 v19, v19, v17, -v21
	v_fmac_f32_e32 v18, v20, v17
	v_add_f32_e32 v2, v2, v19
	v_add_f32_e32 v3, v3, v18
.LBB163_847:
	s_or_b64 exec, exec, s[12:13]
	s_barrier
	s_and_saveexec_b64 s[12:13], s[60:61]
; %bb.848:
	ds_write_b64 v16, v[2:3]
; %bb.849:
	s_or_b64 exec, exec, s[12:13]
	s_waitcnt lgkmcnt(0)
	s_barrier
	s_and_saveexec_b64 s[12:13], s[62:63]
	s_cbranch_execz .LBB163_851
; %bb.850:
	ds_read_b64 v[17:18], v15 offset:29632
	ds_read_b64 v[19:20], v16
	s_waitcnt lgkmcnt(0)
	v_mul_f32_e32 v21, v20, v18
	v_mul_f32_e32 v18, v19, v18
	v_fma_f32 v19, v19, v17, -v21
	v_fmac_f32_e32 v18, v20, v17
	v_add_f32_e32 v2, v2, v19
	v_add_f32_e32 v3, v3, v18
.LBB163_851:
	s_or_b64 exec, exec, s[12:13]
	s_barrier
	s_and_saveexec_b64 s[12:13], s[64:65]
; %bb.852:
	ds_write_b64 v16, v[2:3]
; %bb.853:
	s_or_b64 exec, exec, s[12:13]
	s_waitcnt lgkmcnt(0)
	s_barrier
	s_and_saveexec_b64 s[12:13], s[66:67]
	s_cbranch_execz .LBB163_855
; %bb.854:
	ds_read_b64 v[17:18], v15 offset:30144
	ds_read_b64 v[19:20], v16
	s_waitcnt lgkmcnt(0)
	v_mul_f32_e32 v21, v20, v18
	v_mul_f32_e32 v18, v19, v18
	v_fma_f32 v19, v19, v17, -v21
	v_fmac_f32_e32 v18, v20, v17
	v_add_f32_e32 v2, v2, v19
	v_add_f32_e32 v3, v3, v18
.LBB163_855:
	s_or_b64 exec, exec, s[12:13]
	s_barrier
	s_and_saveexec_b64 s[12:13], s[68:69]
; %bb.856:
	ds_write_b64 v16, v[2:3]
; %bb.857:
	s_or_b64 exec, exec, s[12:13]
	s_waitcnt lgkmcnt(0)
	s_barrier
	s_and_saveexec_b64 s[12:13], s[70:71]
	s_cbranch_execz .LBB163_859
; %bb.858:
	ds_read_b64 v[17:18], v15 offset:30656
	ds_read_b64 v[19:20], v16
	s_waitcnt lgkmcnt(0)
	v_mul_f32_e32 v21, v20, v18
	v_mul_f32_e32 v18, v19, v18
	v_fma_f32 v19, v19, v17, -v21
	v_fmac_f32_e32 v18, v20, v17
	v_add_f32_e32 v2, v2, v19
	v_add_f32_e32 v3, v3, v18
.LBB163_859:
	s_or_b64 exec, exec, s[12:13]
	s_barrier
	s_and_saveexec_b64 s[12:13], s[72:73]
; %bb.860:
	ds_write_b64 v16, v[2:3]
; %bb.861:
	s_or_b64 exec, exec, s[12:13]
	s_waitcnt lgkmcnt(0)
	s_barrier
	s_and_saveexec_b64 s[12:13], s[74:75]
	s_cbranch_execz .LBB163_863
; %bb.862:
	ds_read_b64 v[17:18], v15 offset:31168
	ds_read_b64 v[19:20], v16
	s_waitcnt lgkmcnt(0)
	v_mul_f32_e32 v21, v20, v18
	v_mul_f32_e32 v18, v19, v18
	v_fma_f32 v19, v19, v17, -v21
	v_fmac_f32_e32 v18, v20, v17
	v_add_f32_e32 v2, v2, v19
	v_add_f32_e32 v3, v3, v18
.LBB163_863:
	s_or_b64 exec, exec, s[12:13]
	s_barrier
	s_and_saveexec_b64 s[12:13], s[76:77]
; %bb.864:
	ds_write_b64 v16, v[2:3]
; %bb.865:
	s_or_b64 exec, exec, s[12:13]
	s_waitcnt lgkmcnt(0)
	s_barrier
	s_and_saveexec_b64 s[12:13], s[78:79]
	s_cbranch_execz .LBB163_867
; %bb.866:
	ds_read_b64 v[17:18], v15 offset:31680
	ds_read_b64 v[19:20], v16
	s_waitcnt lgkmcnt(0)
	v_mul_f32_e32 v15, v20, v18
	v_mul_f32_e32 v18, v19, v18
	v_fma_f32 v15, v19, v17, -v15
	v_fmac_f32_e32 v18, v20, v17
	v_add_f32_e32 v2, v2, v15
	v_add_f32_e32 v3, v3, v18
.LBB163_867:
	s_or_b64 exec, exec, s[12:13]
	s_barrier
	s_and_saveexec_b64 s[12:13], s[80:81]
; %bb.868:
	ds_write_b64 v16, v[2:3]
; %bb.869:
	s_or_b64 exec, exec, s[12:13]
	s_waitcnt lgkmcnt(0)
	s_barrier
	s_and_saveexec_b64 s[12:13], s[54:55]
	s_cbranch_execz .LBB163_871
; %bb.870:
	v_mov_b32_e32 v15, 0
	ds_read_b64 v[17:18], v15 offset:32248
	ds_read_b64 v[19:20], v16
	s_waitcnt lgkmcnt(0)
	v_mul_f32_e32 v15, v20, v18
	v_mul_f32_e32 v18, v19, v18
	v_fma_f32 v15, v19, v17, -v15
	v_fmac_f32_e32 v18, v20, v17
	v_add_f32_e32 v2, v2, v15
	v_add_f32_e32 v3, v3, v18
.LBB163_871:
	s_or_b64 exec, exec, s[12:13]
	s_barrier
	s_and_saveexec_b64 s[12:13], s[54:55]
; %bb.872:
	ds_write_b64 v16, v[2:3]
; %bb.873:
	s_or_b64 exec, exec, s[12:13]
	s_waitcnt lgkmcnt(0)
	s_barrier
	s_barrier
	s_and_saveexec_b64 s[12:13], s[10:11]
; %bb.874:
	v_xor_b32_e32 v3, 0x80000000, v3
	v_xor_b32_e32 v2, 0x80000000, v2
	ds_write_b64 v14, v[2:3] offset:25024
; %bb.875:
	s_or_b64 exec, exec, s[12:13]
	s_waitcnt lgkmcnt(0)
	s_barrier
	s_barrier
	s_and_saveexec_b64 s[10:11], vcc
	s_cbranch_execz .LBB163_877
; %bb.876:
	s_mov_b64 s[12:13], 0x3f800000
	v_mov_b32_e32 v2, s12
	v_mov_b32_e32 v3, s13
	s_movk_i32 s12, 0x7000
	v_add_u32_e64 v14, s12, 0
	ds_write2_b64 v14, v[2:3], v[2:3] offset0:56 offset1:121
.LBB163_877:
	s_or_b64 exec, exec, s[10:11]
	v_mov_b32_e32 v3, 0
	v_mov_b32_e32 v2, 0
	s_waitcnt lgkmcnt(0)
	s_barrier
	s_and_saveexec_b64 s[12:13], s[6:7]
	s_cbranch_execz .LBB163_881
; %bb.878:
	v_mul_u32_u24_e32 v14, 0x208, v6
	ds_read_b64 v[2:3], v4 offset:29136
	ds_read_b64 v[14:15], v14 offset:29120
	v_cmp_gt_u32_e64 s[10:11], 2, v7
	s_waitcnt lgkmcnt(0)
	v_mul_f32_e32 v16, v15, v3
	v_mul_f32_e32 v3, v14, v3
	v_fma_f32 v14, v14, v2, -v16
	v_fmac_f32_e32 v3, v15, v2
	v_add_f32_e32 v2, 0, v14
	v_add_f32_e32 v3, 0, v3
	s_and_saveexec_b64 s[14:15], s[10:11]
	s_cbranch_execz .LBB163_880
; %bb.879:
	v_lshlrev_b32_e32 v14, 3, v0
	v_mov_b32_e32 v16, 0
	ds_read_b64 v[14:15], v14 offset:29648
	ds_read_b64 v[16:17], v16 offset:29128
	s_waitcnt lgkmcnt(0)
	v_mul_f32_e32 v18, v17, v15
	v_mul_f32_e32 v15, v16, v15
	v_fma_f32 v16, v16, v14, -v18
	v_fmac_f32_e32 v15, v17, v14
	v_add_f32_e32 v2, v2, v16
	v_add_f32_e32 v3, v3, v15
.LBB163_880:
	s_or_b64 exec, exec, s[14:15]
	v_xor_b32_e32 v2, 0x80000000, v2
	v_xor_b32_e32 v3, 0x80000000, v3
.LBB163_881:
	s_or_b64 exec, exec, s[12:13]
	s_and_saveexec_b64 s[10:11], s[40:41]
; %bb.882:
	ds_write_b64 v5, v[2:3]
; %bb.883:
	s_or_b64 exec, exec, s[10:11]
	s_waitcnt lgkmcnt(0)
	s_barrier
	s_and_saveexec_b64 s[10:11], s[38:39]
	s_cbranch_execz .LBB163_885
; %bb.884:
	v_mov_b32_e32 v14, 0
	ds_read_b64 v[14:15], v14 offset:30168
	ds_read_b64 v[16:17], v5
	s_waitcnt lgkmcnt(0)
	v_mul_f32_e32 v18, v17, v15
	v_mul_f32_e32 v15, v16, v15
	v_fma_f32 v16, v16, v14, -v18
	v_fmac_f32_e32 v15, v17, v14
	v_add_f32_e32 v2, v2, v16
	v_add_f32_e32 v3, v3, v15
.LBB163_885:
	s_or_b64 exec, exec, s[10:11]
	s_barrier
	s_and_saveexec_b64 s[10:11], s[38:39]
; %bb.886:
	ds_write_b64 v5, v[2:3]
; %bb.887:
	s_or_b64 exec, exec, s[10:11]
	s_waitcnt lgkmcnt(0)
	s_barrier
	s_barrier
	s_and_saveexec_b64 s[10:11], s[6:7]
; %bb.888:
	v_xor_b32_e32 v3, 0x80000000, v3
	v_xor_b32_e32 v2, 0x80000000, v2
	ds_write_b64 v4, v[2:3] offset:29136
; %bb.889:
	s_or_b64 exec, exec, s[10:11]
	s_waitcnt lgkmcnt(0)
	s_barrier
	s_barrier
	s_and_saveexec_b64 s[10:11], vcc
	s_cbranch_execz .LBB163_891
; %bb.890:
	s_mov_b64 s[12:13], 0x3f800000
	v_mov_b32_e32 v2, s12
	v_mov_b32_e32 v3, s13
	s_movk_i32 s12, 0x7000
	v_add_u32_e64 v14, s12, 0
	ds_write2_b64 v14, v[2:3], v[2:3] offset0:186 offset1:251
.LBB163_891:
	s_or_b64 exec, exec, s[10:11]
	v_mov_b32_e32 v3, 0
	v_mov_b32_e32 v2, 0
	s_waitcnt lgkmcnt(0)
	s_barrier
	s_and_saveexec_b64 s[12:13], s[18:19]
	s_cbranch_execz .LBB163_897
; %bb.892:
	v_mul_u32_u24_e32 v14, 0x208, v13
	ds_read_b64 v[2:3], v9 offset:29152
	ds_read_b64 v[15:16], v14 offset:29120
	v_cmp_gt_u32_e64 s[10:11], 12, v7
	s_waitcnt lgkmcnt(0)
	v_mul_f32_e32 v17, v16, v3
	v_mul_f32_e32 v3, v15, v3
	v_fma_f32 v15, v15, v2, -v17
	v_fmac_f32_e32 v3, v16, v2
	v_add_f32_e32 v2, 0, v15
	v_add_f32_e32 v3, 0, v3
	s_and_saveexec_b64 s[14:15], s[10:11]
	s_cbranch_execnz .LBB163_1038
; %bb.893:
	s_or_b64 exec, exec, s[14:15]
	v_cmp_gt_u32_e64 s[10:11], 8, v7
	s_and_saveexec_b64 s[14:15], s[10:11]
	s_cbranch_execnz .LBB163_1039
.LBB163_894:
	s_or_b64 exec, exec, s[14:15]
	v_cmp_gt_u32_e64 s[10:11], 4, v7
	s_and_saveexec_b64 s[14:15], s[10:11]
	s_cbranch_execz .LBB163_896
.LBB163_895:
	v_lshlrev_b32_e32 v12, 3, v0
	v_mov_b32_e32 v14, 0
	ds_read_b64 v[12:13], v12 offset:30688
	ds_read_b64 v[14:15], v14 offset:29144
	s_waitcnt lgkmcnt(0)
	v_mul_f32_e32 v16, v15, v13
	v_mul_f32_e32 v13, v14, v13
	v_fma_f32 v14, v14, v12, -v16
	v_fmac_f32_e32 v13, v15, v12
	v_add_f32_e32 v2, v2, v14
	v_add_f32_e32 v3, v3, v13
.LBB163_896:
	s_or_b64 exec, exec, s[14:15]
	v_xor_b32_e32 v2, 0x80000000, v2
	v_xor_b32_e32 v3, 0x80000000, v3
.LBB163_897:
	s_or_b64 exec, exec, s[12:13]
	s_and_saveexec_b64 s[10:11], s[44:45]
; %bb.898:
	ds_write_b64 v11, v[2:3]
; %bb.899:
	s_or_b64 exec, exec, s[10:11]
	s_waitcnt lgkmcnt(0)
	s_barrier
	s_and_saveexec_b64 s[10:11], s[46:47]
	s_cbranch_execz .LBB163_901
; %bb.900:
	ds_read_b64 v[12:13], v10 offset:31200
	ds_read_b64 v[14:15], v11
	s_waitcnt lgkmcnt(0)
	v_mul_f32_e32 v16, v15, v13
	v_mul_f32_e32 v13, v14, v13
	v_fma_f32 v14, v14, v12, -v16
	v_fmac_f32_e32 v13, v15, v12
	v_add_f32_e32 v2, v2, v14
	v_add_f32_e32 v3, v3, v13
.LBB163_901:
	s_or_b64 exec, exec, s[10:11]
	s_barrier
	s_and_saveexec_b64 s[10:11], s[48:49]
; %bb.902:
	ds_write_b64 v11, v[2:3]
; %bb.903:
	s_or_b64 exec, exec, s[10:11]
	s_waitcnt lgkmcnt(0)
	s_barrier
	s_and_saveexec_b64 s[10:11], s[50:51]
	s_cbranch_execz .LBB163_905
; %bb.904:
	ds_read_b64 v[12:13], v10 offset:31712
	ds_read_b64 v[14:15], v11
	s_waitcnt lgkmcnt(0)
	v_mul_f32_e32 v10, v15, v13
	v_mul_f32_e32 v13, v14, v13
	v_fma_f32 v10, v14, v12, -v10
	v_fmac_f32_e32 v13, v15, v12
	v_add_f32_e32 v2, v2, v10
	v_add_f32_e32 v3, v3, v13
.LBB163_905:
	s_or_b64 exec, exec, s[10:11]
	s_barrier
	s_and_saveexec_b64 s[10:11], s[52:53]
; %bb.906:
	ds_write_b64 v11, v[2:3]
; %bb.907:
	s_or_b64 exec, exec, s[10:11]
	s_waitcnt lgkmcnt(0)
	s_barrier
	s_and_saveexec_b64 s[10:11], s[42:43]
	s_cbranch_execz .LBB163_909
; %bb.908:
	v_mov_b32_e32 v10, 0
	ds_read_b64 v[12:13], v10 offset:32248
	ds_read_b64 v[14:15], v11
	s_waitcnt lgkmcnt(0)
	v_mul_f32_e32 v10, v15, v13
	v_mul_f32_e32 v13, v14, v13
	v_fma_f32 v10, v14, v12, -v10
	v_fmac_f32_e32 v13, v15, v12
	v_add_f32_e32 v2, v2, v10
	v_add_f32_e32 v3, v3, v13
.LBB163_909:
	s_or_b64 exec, exec, s[10:11]
	s_barrier
	s_and_saveexec_b64 s[10:11], s[42:43]
; %bb.910:
	ds_write_b64 v11, v[2:3]
; %bb.911:
	s_or_b64 exec, exec, s[10:11]
	s_waitcnt lgkmcnt(0)
	s_barrier
	s_barrier
	s_and_saveexec_b64 s[10:11], s[18:19]
; %bb.912:
	v_xor_b32_e32 v2, 0x80000000, v2
	v_xor_b32_e32 v3, 0x80000000, v3
	ds_write_b64 v9, v[2:3] offset:29152
; %bb.913:
	s_or_b64 exec, exec, s[10:11]
	s_waitcnt lgkmcnt(0)
	s_barrier
	s_barrier
	s_and_saveexec_b64 s[10:11], vcc
	s_cbranch_execz .LBB163_915
; %bb.914:
	s_mov_b64 s[12:13], 0x3f800000
	v_mov_b32_e32 v2, s12
	v_mov_b32_e32 v3, s13
	s_movk_i32 s12, 0x7800
	v_add_u32_e64 v9, s12, 0
	ds_write2_b64 v9, v[2:3], v[2:3] offset0:60 offset1:125
.LBB163_915:
	s_or_b64 exec, exec, s[10:11]
	v_mov_b32_e32 v3, 0
	v_mov_b32_e32 v2, 0
	s_waitcnt lgkmcnt(0)
	s_barrier
	s_and_saveexec_b64 s[12:13], s[6:7]
	s_cbranch_execz .LBB163_919
; %bb.916:
	v_mul_u32_u24_e32 v6, 0x208, v6
	ds_read_b64 v[2:3], v4 offset:31216
	ds_read_b64 v[9:10], v6 offset:31200
	v_cmp_gt_u32_e64 s[10:11], 2, v7
	s_waitcnt lgkmcnt(0)
	v_mul_f32_e32 v6, v10, v3
	v_mul_f32_e32 v3, v9, v3
	v_fma_f32 v6, v9, v2, -v6
	v_fmac_f32_e32 v3, v10, v2
	v_add_f32_e32 v2, 0, v6
	v_add_f32_e32 v3, 0, v3
	s_and_saveexec_b64 s[14:15], s[10:11]
	s_cbranch_execz .LBB163_918
; %bb.917:
	v_lshlrev_b32_e32 v6, 3, v0
	v_mov_b32_e32 v11, 0
	ds_read_b64 v[9:10], v6 offset:31728
	ds_read_b64 v[11:12], v11 offset:31208
	s_waitcnt lgkmcnt(0)
	v_mul_f32_e32 v6, v12, v10
	v_mul_f32_e32 v10, v11, v10
	v_fma_f32 v6, v11, v9, -v6
	v_fmac_f32_e32 v10, v12, v9
	v_add_f32_e32 v2, v2, v6
	v_add_f32_e32 v3, v3, v10
.LBB163_918:
	s_or_b64 exec, exec, s[14:15]
	v_xor_b32_e32 v2, 0x80000000, v2
	v_xor_b32_e32 v3, 0x80000000, v3
.LBB163_919:
	s_or_b64 exec, exec, s[12:13]
	s_and_saveexec_b64 s[10:11], s[40:41]
; %bb.920:
	ds_write_b64 v5, v[2:3]
; %bb.921:
	s_or_b64 exec, exec, s[10:11]
	s_waitcnt lgkmcnt(0)
	s_barrier
	s_and_saveexec_b64 s[10:11], s[38:39]
	s_load_dword s20, s[4:5], 0x6c
	s_load_dwordx4 s[16:19], s[4:5], 0x30
	s_cbranch_execz .LBB163_923
; %bb.922:
	v_mov_b32_e32 v6, 0
	ds_read_b64 v[9:10], v6 offset:32248
	ds_read_b64 v[11:12], v5
	s_waitcnt lgkmcnt(0)
	v_mul_f32_e32 v6, v12, v10
	v_mul_f32_e32 v10, v11, v10
	v_fma_f32 v6, v11, v9, -v6
	v_fmac_f32_e32 v10, v12, v9
	v_add_f32_e32 v2, v2, v6
	v_add_f32_e32 v3, v3, v10
.LBB163_923:
	s_or_b64 exec, exec, s[10:11]
	s_waitcnt lgkmcnt(0)
	s_barrier
	s_and_saveexec_b64 s[10:11], s[38:39]
; %bb.924:
	ds_write_b64 v5, v[2:3]
; %bb.925:
	s_or_b64 exec, exec, s[10:11]
	s_waitcnt lgkmcnt(0)
	s_barrier
	s_barrier
	s_and_saveexec_b64 s[10:11], s[6:7]
; %bb.926:
	v_xor_b32_e32 v3, 0x80000000, v3
	v_xor_b32_e32 v2, 0x80000000, v2
	ds_write_b64 v4, v[2:3] offset:31216
; %bb.927:
	s_or_b64 exec, exec, s[10:11]
	s_waitcnt lgkmcnt(0)
	s_barrier
	s_barrier
	s_and_saveexec_b64 s[6:7], vcc
	s_cbranch_execz .LBB163_929
; %bb.928:
	s_mov_b64 s[10:11], 0x3f800000
	v_mov_b32_e32 v2, s10
	v_mov_b32_e32 v3, s11
	s_movk_i32 s10, 0x7800
	v_add_u32_e64 v4, s10, 0
	ds_write2_b64 v4, v[2:3], v[2:3] offset0:190 offset1:255
.LBB163_929:
	s_or_b64 exec, exec, s[6:7]
.LBB163_930:
	s_lshl_b64 s[6:7], s[18:19], 3
	s_add_u32 s42, s34, s6
	v_cmp_le_i32_e32 vcc, s9, v0
	s_addc_u32 s43, s35, s7
	s_and_b64 s[18:19], vcc, s[30:31]
	v_cmp_eq_u32_e64 s[6:7], 0, v1
	s_xor_b64 s[10:11], s[18:19], -1
	v_mov_b32_e32 v2, 0
	s_and_b64 s[12:13], s[6:7], s[10:11]
	v_lshl_add_u32 v5, s8, 6, v0
	v_mov_b32_e32 v3, v2
	s_waitcnt lgkmcnt(0)
	s_barrier
	s_and_saveexec_b64 s[10:11], s[12:13]
	s_cbranch_execz .LBB163_932
; %bb.931:
	v_ashrrev_i32_e32 v4, 31, v5
	v_mul_lo_u32 v6, s27, v5
	v_mad_u64_u32 v[2:3], s[12:13], s26, v5, 0
	v_mul_lo_u32 v4, s26, v4
	s_load_dwordx2 s[12:13], s[4:5], 0x28
	v_add3_u32 v3, v3, v4, v6
	v_lshlrev_b64 v[2:3], 3, v[2:3]
	v_mov_b32_e32 v4, s43
	v_add_co_u32_e32 v2, vcc, s42, v2
	v_addc_co_u32_e32 v3, vcc, v4, v3, vcc
	flat_load_dwordx2 v[3:4], v[2:3]
	s_waitcnt vmcnt(0) lgkmcnt(0)
	v_mul_f32_e32 v2, s12, v3
	v_mul_f32_e32 v6, s12, v4
	v_fma_f32 v2, s13, v4, -v2
	v_fma_f32 v3, v3, -s13, -v6
.LBB163_932:
	s_or_b64 exec, exec, s[10:11]
	s_load_dwordx2 s[16:17], s[4:5], 0x50
	s_and_b32 s4, 0xffff, s20
	v_mad_u32_u24 v9, v1, s4, v0
	s_cmp_lt_i32 s8, 1
	v_cmp_eq_u32_e64 s[4:5], 0, v9
	s_cbranch_scc1 .LBB163_951
; %bb.933:
	v_mov_b32_e32 v4, 0
	v_mov_b32_e32 v6, v4
	s_lshl_b64 s[10:11], s[24:25], 2
	v_lshlrev_b64 v[12:13], 3, v[5:6]
	s_waitcnt lgkmcnt(0)
	s_add_u32 s22, s16, s10
	s_mov_b64 s[20:21], src_private_base
	s_addc_u32 s23, s17, s11
	v_mov_b32_e32 v11, 0xa000
	v_cmp_gt_i32_e64 s[10:11], s33, v5
	v_mov_b32_e32 v5, s89
	v_add_co_u32_e32 v6, vcc, s88, v12
	s_mul_i32 s14, s29, 0x180
	s_mul_hi_u32 s15, s28, 0x180
	s_mov_b32 s20, 0
	v_cmp_gt_u32_e64 s[12:13], 64, v9
	v_lshl_add_u32 v10, v9, 3, v11
	v_lshl_or_b32 v11, v1, 3, v11
	s_add_i32 s44, s8, -1
	v_addc_co_u32_e32 v12, vcc, v5, v13, vcc
	s_lshl_b64 s[34:35], s[28:29], 7
	s_lshl_b64 s[38:39], s[28:29], 8
	s_add_i32 s45, s15, s14
	s_mul_i32 s46, s28, 0x180
	v_mov_b32_e32 v16, -1
	v_mov_b32_e32 v13, 0
	v_mov_b32_e32 v14, 8
	;; [unrolled: 1-line block ×4, first 2 shown]
	s_branch .LBB163_935
.LBB163_934:                            ;   in Loop: Header=BB163_935 Depth=1
	s_or_b64 exec, exec, s[40:41]
	s_add_i32 s20, s20, 1
	s_cmp_eq_u32 s20, s8
	s_cbranch_scc1 .LBB163_951
.LBB163_935:                            ; =>This Loop Header: Depth=1
                                        ;     Child Loop BB163_937 Depth 2
	v_cmp_gt_i32_e32 vcc, s20, v16
	s_and_b64 s[40:41], s[4:5], vcc
	s_and_saveexec_b64 s[14:15], s[40:41]
	s_cbranch_execz .LBB163_938
; %bb.936:                              ;   in Loop: Header=BB163_935 Depth=1
	global_load_dword v16, v4, s[22:23]
	s_waitcnt vmcnt(0)
	v_cmp_le_i32_e32 vcc, s20, v16
	s_cbranch_vccnz .LBB163_938
.LBB163_937:                            ;   Parent Loop BB163_935 Depth=1
                                        ; =>  This Inner Loop Header: Depth=2
	buffer_wbinvl1_vol
	global_load_dword v16, v4, s[22:23]
	s_waitcnt vmcnt(0)
	v_cmp_gt_i32_e32 vcc, s20, v16
	s_cbranch_vccnz .LBB163_937
.LBB163_938:                            ;   in Loop: Header=BB163_935 Depth=1
	s_or_b64 exec, exec, s[14:15]
	s_lshl_b32 s47, s20, 6
	buffer_wbinvl1_vol
	s_barrier
	s_and_saveexec_b64 s[14:15], s[12:13]
	s_cbranch_execz .LBB163_943
; %bb.939:                              ;   in Loop: Header=BB163_935 Depth=1
	v_or_b32_e32 v5, s47, v9
	v_cmp_le_i32_e32 vcc, s33, v5
	s_and_saveexec_b64 s[40:41], vcc
	s_xor_b64 s[40:41], exec, s[40:41]
; %bb.940:                              ;   in Loop: Header=BB163_935 Depth=1
	v_mov_b32_e32 v5, v4
	ds_write_b64 v10, v[4:5]
                                        ; implicit-def: $vgpr5
; %bb.941:                              ;   in Loop: Header=BB163_935 Depth=1
	s_andn2_saveexec_b64 s[40:41], s[40:41]
	s_cbranch_execz .LBB163_943
; %bb.942:                              ;   in Loop: Header=BB163_935 Depth=1
	v_mad_u64_u32 v[18:19], s[40:41], s26, v5, 0
	v_mad_u64_u32 v[19:20], s[40:41], s27, v5, v[19:20]
	v_mov_b32_e32 v5, s43
	v_lshlrev_b64 v[18:19], 3, v[18:19]
	v_add_co_u32_e32 v18, vcc, s42, v18
	v_addc_co_u32_e32 v19, vcc, v5, v19, vcc
	flat_load_dwordx2 v[18:19], v[18:19]
	s_waitcnt vmcnt(0) lgkmcnt(0)
	ds_write_b64 v10, v[18:19]
.LBB163_943:                            ;   in Loop: Header=BB163_935 Depth=1
	s_or_b64 exec, exec, s[14:15]
	v_add_u32_e32 v5, s47, v1
	v_mad_u64_u32 v[18:19], s[14:15], s28, v5, 0
	s_cmp_eq_u32 s20, s44
	s_cselect_b64 vcc, -1, 0
	v_mad_u64_u32 v[19:20], s[14:15], s29, v5, v[19:20]
	s_waitcnt lgkmcnt(0)
	s_barrier
	v_lshlrev_b64 v[18:19], 3, v[18:19]
	v_add_co_u32_e64 v18, s[14:15], v6, v18
	v_addc_co_u32_e64 v19, s[14:15], v12, v19, s[14:15]
	v_cmp_gt_i32_e64 s[14:15], s33, v5
	s_and_b64 s[40:41], s[10:11], s[14:15]
	s_and_saveexec_b64 s[14:15], s[40:41]
	s_cbranch_execz .LBB163_945
; %bb.944:                              ;   in Loop: Header=BB163_935 Depth=1
	v_mov_b32_e32 v20, s21
	v_cndmask_b32_e32 v21, v19, v20, vcc
	v_cndmask_b32_e32 v20, v18, v13, vcc
	flat_load_dwordx2 v[20:21], v[20:21]
	ds_read_b64 v[22:23], v11
	s_waitcnt vmcnt(0) lgkmcnt(0)
	v_mul_f32_e32 v24, v23, v21
	v_mul_f32_e32 v21, v22, v21
	v_fma_f32 v22, v22, v20, -v24
	v_fmac_f32_e32 v21, v23, v20
	v_add_f32_e32 v2, v2, v22
	v_add_f32_e32 v3, v3, v21
.LBB163_945:                            ;   in Loop: Header=BB163_935 Depth=1
	s_or_b64 exec, exec, s[14:15]
	v_add_u32_e32 v20, 16, v5
	v_cmp_gt_i32_e64 s[14:15], s33, v20
	s_and_b64 s[14:15], s[10:11], s[14:15]
	s_and_saveexec_b64 s[40:41], s[14:15]
	s_cbranch_execz .LBB163_947
; %bb.946:                              ;   in Loop: Header=BB163_935 Depth=1
	v_mov_b32_e32 v20, s35
	v_add_co_u32_e64 v22, s[14:15], s34, v18
	v_addc_co_u32_e64 v20, s[14:15], v19, v20, s[14:15]
	v_mov_b32_e32 v21, s21
	v_cndmask_b32_e32 v21, v20, v21, vcc
	v_cndmask_b32_e32 v20, v22, v14, vcc
	flat_load_dwordx2 v[20:21], v[20:21]
	ds_read_b64 v[22:23], v11 offset:128
	s_waitcnt vmcnt(0) lgkmcnt(0)
	v_mul_f32_e32 v24, v23, v21
	v_mul_f32_e32 v21, v22, v21
	v_fma_f32 v22, v22, v20, -v24
	v_fmac_f32_e32 v21, v23, v20
	v_add_f32_e32 v2, v2, v22
	v_add_f32_e32 v3, v3, v21
.LBB163_947:                            ;   in Loop: Header=BB163_935 Depth=1
	s_or_b64 exec, exec, s[40:41]
	v_add_u32_e32 v20, 32, v5
	v_cmp_gt_i32_e64 s[14:15], s33, v20
	s_and_b64 s[14:15], s[10:11], s[14:15]
	s_and_saveexec_b64 s[40:41], s[14:15]
	s_cbranch_execz .LBB163_949
; %bb.948:                              ;   in Loop: Header=BB163_935 Depth=1
	v_mov_b32_e32 v20, s39
	v_add_co_u32_e64 v22, s[14:15], s38, v18
	v_addc_co_u32_e64 v20, s[14:15], v19, v20, s[14:15]
	v_mov_b32_e32 v21, s21
	v_cndmask_b32_e32 v21, v20, v21, vcc
	v_cndmask_b32_e32 v20, v22, v15, vcc
	flat_load_dwordx2 v[20:21], v[20:21]
	ds_read_b64 v[22:23], v11 offset:256
	s_waitcnt vmcnt(0) lgkmcnt(0)
	v_mul_f32_e32 v24, v23, v21
	v_mul_f32_e32 v21, v22, v21
	v_fma_f32 v22, v22, v20, -v24
	v_fmac_f32_e32 v21, v23, v20
	v_add_f32_e32 v2, v2, v22
	v_add_f32_e32 v3, v3, v21
.LBB163_949:                            ;   in Loop: Header=BB163_935 Depth=1
	s_or_b64 exec, exec, s[40:41]
	v_add_u32_e32 v5, 48, v5
	v_cmp_gt_i32_e64 s[14:15], s33, v5
	s_and_b64 s[14:15], s[10:11], s[14:15]
	s_and_saveexec_b64 s[40:41], s[14:15]
	s_cbranch_execz .LBB163_934
; %bb.950:                              ;   in Loop: Header=BB163_935 Depth=1
	v_mov_b32_e32 v5, s45
	v_add_co_u32_e64 v18, s[14:15], s46, v18
	v_addc_co_u32_e64 v5, s[14:15], v19, v5, s[14:15]
	v_mov_b32_e32 v19, s21
	v_cndmask_b32_e32 v19, v5, v19, vcc
	v_cndmask_b32_e32 v18, v18, v17, vcc
	flat_load_dwordx2 v[18:19], v[18:19]
	ds_read_b64 v[20:21], v11 offset:384
	s_waitcnt vmcnt(0) lgkmcnt(0)
	v_mul_f32_e32 v5, v21, v19
	v_mul_f32_e32 v19, v20, v19
	v_fma_f32 v5, v20, v18, -v5
	v_fmac_f32_e32 v19, v21, v18
	v_add_f32_e32 v2, v2, v5
	v_add_f32_e32 v3, v3, v19
	s_branch .LBB163_934
.LBB163_951:
	s_xor_b64 s[4:5], s[30:31], -1
	s_xor_b64 s[10:11], s[36:37], -1
	v_lshlrev_b32_e32 v6, 3, v7
	ds_write_b64 v6, v[2:3] offset:32768
	s_waitcnt lgkmcnt(0)
	s_barrier
	s_and_saveexec_b64 s[12:13], s[6:7]
	s_cbranch_execz .LBB163_953
; %bb.952:
	v_lshlrev_b32_e32 v7, 3, v0
	ds_read2st64_b64 v[10:13], v7 offset0:65 offset1:66
	ds_read2st64_b64 v[14:17], v7 offset0:67 offset1:68
	ds_read_b64 v[18:19], v7 offset:40448
	s_waitcnt lgkmcnt(2)
	v_add_f32_e32 v2, v2, v10
	v_add_f32_e32 v3, v3, v11
	;; [unrolled: 1-line block ×4, first 2 shown]
	ds_read2st64_b64 v[2:5], v7 offset0:69 offset1:70
	s_waitcnt lgkmcnt(2)
	v_add_f32_e32 v10, v10, v14
	v_add_f32_e32 v11, v11, v15
	;; [unrolled: 1-line block ×4, first 2 shown]
	s_waitcnt lgkmcnt(0)
	v_add_f32_e32 v2, v10, v2
	ds_read2st64_b64 v[10:13], v7 offset0:71 offset1:72
	v_add_f32_e32 v3, v14, v3
	v_add_f32_e32 v14, v2, v4
	;; [unrolled: 1-line block ×3, first 2 shown]
	ds_read2st64_b64 v[2:5], v7 offset0:73 offset1:74
	s_waitcnt lgkmcnt(1)
	v_add_f32_e32 v10, v14, v10
	v_add_f32_e32 v11, v15, v11
	;; [unrolled: 1-line block ×4, first 2 shown]
	s_waitcnt lgkmcnt(0)
	v_add_f32_e32 v2, v10, v2
	ds_read2st64_b64 v[10:13], v7 offset0:75 offset1:76
	v_add_f32_e32 v3, v14, v3
	v_add_f32_e32 v14, v2, v4
	;; [unrolled: 1-line block ×3, first 2 shown]
	ds_read2st64_b64 v[2:5], v7 offset0:77 offset1:78
	s_waitcnt lgkmcnt(1)
	v_add_f32_e32 v7, v14, v10
	v_add_f32_e32 v10, v15, v11
	;; [unrolled: 1-line block ×4, first 2 shown]
	s_waitcnt lgkmcnt(0)
	v_add_f32_e32 v2, v7, v2
	v_add_f32_e32 v3, v10, v3
	;; [unrolled: 1-line block ×6, first 2 shown]
	v_cndmask_b32_e64 v2, -v2, 0, s[18:19]
	v_cndmask_b32_e64 v3, -v3, 0, s[18:19]
.LBB163_953:
	s_or_b64 exec, exec, s[12:13]
	s_andn2_b64 vcc, exec, s[10:11]
	s_cbranch_vccnz .LBB163_966
; %bb.954:
	v_mov_b32_e32 v4, 0xa000
	v_lshl_or_b32 v7, v1, 3, v4
	s_and_saveexec_b64 s[10:11], s[6:7]
; %bb.955:
	v_lshl_add_u32 v4, v0, 3, v7
	ds_write_b64 v4, v[2:3]
; %bb.956:
	s_or_b64 exec, exec, s[10:11]
	v_cmp_ge_u32_e32 vcc, v0, v1
	v_mov_b32_e32 v4, 0
	v_mov_b32_e32 v5, 0
	s_waitcnt lgkmcnt(0)
	s_barrier
	s_and_saveexec_b64 s[10:11], vcc
	s_cbranch_execz .LBB163_958
; %bb.957:
	ds_read_b64 v[4:5], v6
	ds_read_b64 v[10:11], v7
	s_waitcnt lgkmcnt(0)
	v_mul_f32_e32 v12, v11, v5
	v_mul_f32_e32 v5, v10, v5
	v_fma_f32 v10, v10, v4, -v12
	v_fmac_f32_e32 v5, v11, v4
	v_add_f32_e32 v4, 0, v10
	v_add_f32_e32 v5, 0, v5
.LBB163_958:
	s_or_b64 exec, exec, s[10:11]
	v_add_u32_e32 v10, 16, v1
	v_cmp_ge_u32_e32 vcc, v0, v10
	s_and_saveexec_b64 s[10:11], vcc
	s_cbranch_execz .LBB163_960
; %bb.959:
	ds_read_b64 v[10:11], v6 offset:8192
	ds_read_b64 v[12:13], v7 offset:128
	s_waitcnt lgkmcnt(0)
	v_mul_f32_e32 v14, v13, v11
	v_mul_f32_e32 v11, v12, v11
	v_fma_f32 v12, v12, v10, -v14
	v_fmac_f32_e32 v11, v13, v10
	v_add_f32_e32 v4, v4, v12
	v_add_f32_e32 v5, v5, v11
.LBB163_960:
	s_or_b64 exec, exec, s[10:11]
	v_add_u32_e32 v10, 32, v1
	v_cmp_ge_u32_e32 vcc, v0, v10
	s_and_saveexec_b64 s[10:11], vcc
	s_cbranch_execz .LBB163_962
; %bb.961:
	ds_read_b64 v[10:11], v6 offset:16384
	ds_read_b64 v[12:13], v7 offset:256
	s_waitcnt lgkmcnt(0)
	v_mul_f32_e32 v14, v13, v11
	v_mul_f32_e32 v11, v12, v11
	v_fma_f32 v12, v12, v10, -v14
	v_fmac_f32_e32 v11, v13, v10
	v_add_f32_e32 v4, v4, v12
	v_add_f32_e32 v5, v5, v11
.LBB163_962:
	s_or_b64 exec, exec, s[10:11]
	v_add_u32_e32 v1, 48, v1
	v_add_u32_e32 v10, 0x8000, v6
	v_cmp_ge_u32_e32 vcc, v0, v1
	s_and_saveexec_b64 s[10:11], vcc
	s_cbranch_execz .LBB163_964
; %bb.963:
	ds_read_b64 v[11:12], v6 offset:24576
	ds_read_b64 v[6:7], v7 offset:384
	s_waitcnt lgkmcnt(0)
	v_mul_f32_e32 v1, v7, v12
	v_mul_f32_e32 v12, v6, v12
	v_fma_f32 v1, v6, v11, -v1
	v_fmac_f32_e32 v12, v7, v11
	v_add_f32_e32 v4, v4, v1
	v_add_f32_e32 v5, v5, v12
.LBB163_964:
	s_or_b64 exec, exec, s[10:11]
	s_mov_b64 s[12:13], 0
	s_mov_b64 s[10:11], 0
	ds_write_b64 v10, v[4:5]
	s_waitcnt lgkmcnt(0)
	s_barrier
                                        ; implicit-def: $vgpr1
                                        ; implicit-def: $vgpr10
                                        ; implicit-def: $vgpr6_vgpr7
	s_and_saveexec_b64 s[14:15], s[6:7]
	s_cbranch_execz .LBB163_979
; %bb.965:
	v_lshlrev_b32_e32 v1, 3, v0
	ds_read2st64_b64 v[10:13], v1 offset0:65 offset1:66
	ds_read2st64_b64 v[14:17], v1 offset0:67 offset1:68
	ds_read_b64 v[18:19], v1 offset:40448
	s_mov_b64 s[10:11], exec
	s_waitcnt lgkmcnt(2)
	v_add_f32_e32 v4, v4, v10
	v_add_f32_e32 v5, v5, v11
	;; [unrolled: 1-line block ×4, first 2 shown]
	ds_read2st64_b64 v[4:7], v1 offset0:69 offset1:70
	s_waitcnt lgkmcnt(2)
	v_add_f32_e32 v10, v10, v14
	v_add_f32_e32 v11, v11, v15
	;; [unrolled: 1-line block ×4, first 2 shown]
	s_waitcnt lgkmcnt(0)
	v_add_f32_e32 v4, v10, v4
	ds_read2st64_b64 v[10:13], v1 offset0:71 offset1:72
	v_add_f32_e32 v5, v14, v5
	v_add_f32_e32 v14, v4, v6
	;; [unrolled: 1-line block ×3, first 2 shown]
	ds_read2st64_b64 v[4:7], v1 offset0:73 offset1:74
	s_waitcnt lgkmcnt(1)
	v_add_f32_e32 v10, v14, v10
	v_add_f32_e32 v11, v15, v11
	;; [unrolled: 1-line block ×4, first 2 shown]
	s_waitcnt lgkmcnt(0)
	v_add_f32_e32 v4, v10, v4
	ds_read2st64_b64 v[10:13], v1 offset0:75 offset1:76
	v_add_f32_e32 v5, v14, v5
	v_add_f32_e32 v4, v4, v6
	;; [unrolled: 1-line block ×3, first 2 shown]
	ds_read2st64_b64 v[14:17], v1 offset0:77 offset1:78
	s_waitcnt lgkmcnt(1)
	v_add_f32_e32 v1, v4, v10
	v_add_f32_e32 v4, v5, v11
	v_lshl_add_u32 v5, s8, 6, v9
	v_mad_u64_u32 v[6:7], s[18:19], s26, v5, 0
	v_add_f32_e32 v1, v1, v12
	s_waitcnt lgkmcnt(0)
	v_add_f32_e32 v1, v1, v14
	v_add_f32_e32 v4, v4, v13
	;; [unrolled: 1-line block ×3, first 2 shown]
	v_mov_b32_e32 v1, v7
	v_add_f32_e32 v10, v4, v15
	v_mad_u64_u32 v[4:5], s[18:19], s27, v5, v[1:2]
	v_add_f32_e32 v1, v10, v17
	v_add_f32_e32 v10, v11, v18
	;; [unrolled: 1-line block ×3, first 2 shown]
	v_mov_b32_e32 v7, v4
	s_or_b64 exec, exec, s[14:15]
	s_and_b64 vcc, exec, s[12:13]
	s_cbranch_vccnz .LBB163_967
	s_branch .LBB163_980
.LBB163_966:
	s_mov_b64 s[10:11], 0
                                        ; implicit-def: $vgpr1
                                        ; implicit-def: $vgpr10
                                        ; implicit-def: $vgpr6_vgpr7
	s_cbranch_execz .LBB163_980
.LBB163_967:
	s_mov_b32 s14, 0
	v_mov_b32_e32 v1, 0
	v_mov_b32_e32 v4, v0
	s_branch .LBB163_969
.LBB163_968:                            ;   in Loop: Header=BB163_969 Depth=1
	s_or_b64 exec, exec, s[12:13]
	s_add_i32 s14, s14, 2
	v_add_u32_e32 v8, 0x400, v8
	s_cmp_lg_u32 s14, 64
	v_add_u32_e32 v4, -2, v4
	s_barrier
	s_cbranch_scc0 .LBB163_977
.LBB163_969:                            ; =>This Inner Loop Header: Depth=1
	v_cmp_eq_u32_e32 vcc, 0, v4
	s_and_b64 s[18:19], s[6:7], vcc
	s_and_saveexec_b64 s[12:13], s[18:19]
; %bb.970:                              ;   in Loop: Header=BB163_969 Depth=1
	ds_write_b64 v1, v[2:3] offset:41472
; %bb.971:                              ;   in Loop: Header=BB163_969 Depth=1
	s_or_b64 exec, exec, s[12:13]
	v_cmp_lt_u32_e32 vcc, s14, v0
	s_and_b64 s[18:19], s[6:7], vcc
	s_waitcnt lgkmcnt(0)
	s_barrier
	s_and_saveexec_b64 s[12:13], s[18:19]
	s_cbranch_execz .LBB163_973
; %bb.972:                              ;   in Loop: Header=BB163_969 Depth=1
	ds_read_b64 v[5:6], v8
	ds_read_b64 v[10:11], v1 offset:41472
	s_waitcnt lgkmcnt(0)
	v_mul_f32_e32 v7, v11, v6
	v_mul_f32_e32 v6, v10, v6
	v_fma_f32 v7, v10, v5, -v7
	v_fmac_f32_e32 v6, v11, v5
	v_add_f32_e32 v2, v2, v7
	v_add_f32_e32 v3, v3, v6
.LBB163_973:                            ;   in Loop: Header=BB163_969 Depth=1
	s_or_b64 exec, exec, s[12:13]
	s_or_b32 s15, s14, 1
	v_cmp_eq_u32_e32 vcc, s15, v0
	s_and_b64 s[18:19], s[6:7], vcc
	s_barrier
	s_and_saveexec_b64 s[12:13], s[18:19]
; %bb.974:                              ;   in Loop: Header=BB163_969 Depth=1
	ds_write_b64 v1, v[2:3] offset:41472
; %bb.975:                              ;   in Loop: Header=BB163_969 Depth=1
	s_or_b64 exec, exec, s[12:13]
	v_cmp_lt_u32_e32 vcc, s15, v0
	s_and_b64 s[18:19], s[6:7], vcc
	s_waitcnt lgkmcnt(0)
	s_barrier
	s_and_saveexec_b64 s[12:13], s[18:19]
	s_cbranch_execz .LBB163_968
; %bb.976:                              ;   in Loop: Header=BB163_969 Depth=1
	ds_read_b64 v[5:6], v8 offset:512
	ds_read_b64 v[10:11], v1 offset:41472
	s_waitcnt lgkmcnt(0)
	v_mul_f32_e32 v7, v11, v6
	v_mul_f32_e32 v6, v10, v6
	v_fma_f32 v7, v10, v5, -v7
	v_fmac_f32_e32 v6, v11, v5
	v_add_f32_e32 v2, v2, v7
	v_add_f32_e32 v3, v3, v6
	s_branch .LBB163_968
.LBB163_977:
	s_and_b64 vcc, exec, s[4:5]
	s_cbranch_vccz .LBB163_981
; %bb.978:
	s_and_b64 s[4:5], s[6:7], exec
	s_cbranch_execz .LBB163_982
	s_branch .LBB163_983
.LBB163_979:
	s_or_b64 exec, exec, s[14:15]
	s_and_b64 vcc, exec, s[12:13]
	s_cbranch_vccnz .LBB163_967
.LBB163_980:
	v_mov_b32_e32 v3, v1
	v_mov_b32_e32 v2, v10
	s_and_saveexec_b64 s[4:5], s[10:11]
	s_cbranch_execnz .LBB163_986
	s_branch .LBB163_987
.LBB163_981:
	s_mov_b64 s[4:5], 0
.LBB163_982:
	v_cmp_gt_i32_e32 vcc, s9, v0
	s_and_b64 s[6:7], s[6:7], vcc
	s_andn2_b64 s[4:5], s[4:5], exec
	s_and_b64 s[6:7], s[6:7], exec
	s_or_b64 s[4:5], s[4:5], s[6:7]
.LBB163_983:
                                        ; implicit-def: $vgpr6_vgpr7
	s_and_saveexec_b64 s[6:7], s[4:5]
	s_cbranch_execz .LBB163_985
; %bb.984:
	s_lshl_b32 s4, s8, 6
	s_ashr_i32 s5, s4, 31
	v_mov_b32_e32 v0, s5
	v_add_co_u32_e32 v1, vcc, s4, v9
	v_addc_co_u32_e32 v0, vcc, 0, v0, vcc
	v_mul_lo_u32 v0, v0, s26
	v_mul_lo_u32 v4, v1, s27
	v_mad_u64_u32 v[6:7], s[4:5], v1, s26, 0
	s_or_b64 s[10:11], s[10:11], exec
	v_add3_u32 v7, v7, v4, v0
.LBB163_985:
	s_or_b64 exec, exec, s[6:7]
	s_and_saveexec_b64 s[4:5], s[10:11]
	s_cbranch_execz .LBB163_987
.LBB163_986:
	v_lshlrev_b64 v[0:1], 3, v[6:7]
	v_mov_b32_e32 v4, s43
	v_add_co_u32_e32 v0, vcc, s42, v0
	v_addc_co_u32_e32 v1, vcc, v4, v1, vcc
	flat_store_dwordx2 v[0:1], v[2:3]
.LBB163_987:
	s_or_b64 exec, exec, s[4:5]
	v_cmp_eq_u32_e32 vcc, 0, v9
	s_waitcnt vmcnt(0) lgkmcnt(0)
	buffer_wbinvl1_vol
	s_barrier
	s_and_saveexec_b64 s[4:5], vcc
	s_cbranch_execz .LBB163_989
; %bb.988:
	s_lshl_b64 s[6:7], s[24:25], 2
	s_add_u32 s6, s16, s6
	s_addc_u32 s7, s17, s7
	v_mov_b32_e32 v0, 0
	global_load_dword v1, v0, s[6:7]
	s_waitcnt vmcnt(0)
	v_add_u32_e32 v1, 1, v1
	global_store_dword v0, v1, s[6:7]
.LBB163_989:
	s_or_b64 exec, exec, s[4:5]
	s_waitcnt vmcnt(0)
	buffer_wbinvl1_vol
	s_endpgm
.LBB163_990:
	v_lshlrev_b32_e32 v14, 3, v13
	v_sub_u32_e32 v14, v11, v14
	v_lshl_add_u32 v14, v12, 3, v14
	ds_read_b64 v[14:15], v14 offset:544
	ds_read_b64 v[16:17], v11 offset:8
	s_waitcnt lgkmcnt(0)
	v_mul_f32_e32 v18, v17, v15
	v_mul_f32_e32 v15, v16, v15
	v_fma_f32 v16, v16, v14, -v18
	v_fmac_f32_e32 v15, v17, v14
	v_add_f32_e32 v2, v2, v16
	v_add_f32_e32 v3, v3, v15
	s_or_b64 exec, exec, s[16:17]
	v_cmp_gt_u32_e64 s[12:13], 8, v7
	s_and_saveexec_b64 s[16:17], s[12:13]
	s_cbranch_execz .LBB163_90
.LBB163_991:
	ds_read_b64 v[14:15], v9 offset:1056
	ds_read_b64 v[16:17], v11 offset:16
	s_waitcnt lgkmcnt(0)
	v_mul_f32_e32 v11, v17, v15
	v_mul_f32_e32 v15, v16, v15
	v_fma_f32 v11, v16, v14, -v11
	v_fmac_f32_e32 v15, v17, v14
	v_add_f32_e32 v2, v2, v11
	v_add_f32_e32 v3, v3, v15
	s_or_b64 exec, exec, s[16:17]
	v_cmp_gt_u32_e64 s[12:13], 4, v7
	s_and_saveexec_b64 s[16:17], s[12:13]
	s_cbranch_execnz .LBB163_91
	s_branch .LBB163_92
.LBB163_992:
	v_lshlrev_b32_e32 v19, 3, v18
	v_sub_u32_e32 v19, v16, v19
	v_lshl_add_u32 v19, v17, 3, v19
	ds_read_b64 v[19:20], v19 offset:576
	ds_read_b64 v[21:22], v16 offset:8
	s_waitcnt lgkmcnt(0)
	v_mul_f32_e32 v23, v22, v20
	v_mul_f32_e32 v20, v21, v20
	v_fma_f32 v21, v21, v19, -v23
	v_fmac_f32_e32 v20, v22, v19
	v_add_f32_e32 v2, v2, v21
	v_add_f32_e32 v3, v3, v20
	s_or_b64 exec, exec, s[20:21]
	v_cmp_gt_u32_e64 s[14:15], 48, v7
	s_and_saveexec_b64 s[20:21], s[14:15]
	s_cbranch_execz .LBB163_128
.LBB163_993:
	v_lshlrev_b32_e32 v19, 3, v18
	v_sub_u32_e32 v19, v16, v19
	v_lshl_add_u32 v19, v17, 3, v19
	ds_read_b64 v[19:20], v19 offset:1088
	ds_read_b64 v[21:22], v16 offset:16
	s_waitcnt lgkmcnt(0)
	v_mul_f32_e32 v23, v22, v20
	v_mul_f32_e32 v20, v21, v20
	v_fma_f32 v21, v21, v19, -v23
	v_fmac_f32_e32 v20, v22, v19
	v_add_f32_e32 v2, v2, v21
	v_add_f32_e32 v3, v3, v20
	s_or_b64 exec, exec, s[20:21]
	v_cmp_gt_u32_e64 s[14:15], 40, v7
	s_and_saveexec_b64 s[20:21], s[14:15]
	s_cbranch_execz .LBB163_129
.LBB163_994:
	v_lshlrev_b32_e32 v19, 3, v18
	v_sub_u32_e32 v19, v16, v19
	v_lshl_add_u32 v19, v17, 3, v19
	ds_read_b64 v[19:20], v19 offset:1600
	ds_read_b64 v[21:22], v16 offset:24
	s_waitcnt lgkmcnt(0)
	v_mul_f32_e32 v23, v22, v20
	v_mul_f32_e32 v20, v21, v20
	v_fma_f32 v21, v21, v19, -v23
	v_fmac_f32_e32 v20, v22, v19
	v_add_f32_e32 v2, v2, v21
	v_add_f32_e32 v3, v3, v20
	s_or_b64 exec, exec, s[20:21]
	v_cmp_gt_u32_e64 s[14:15], 32, v7
	s_and_saveexec_b64 s[20:21], s[14:15]
	s_cbranch_execz .LBB163_130
.LBB163_995:
	ds_read_b64 v[19:20], v14 offset:2112
	ds_read_b64 v[21:22], v16 offset:32
	s_waitcnt lgkmcnt(0)
	v_mul_f32_e32 v23, v22, v20
	v_mul_f32_e32 v20, v21, v20
	v_fma_f32 v21, v21, v19, -v23
	v_fmac_f32_e32 v20, v22, v19
	v_add_f32_e32 v2, v2, v21
	v_add_f32_e32 v3, v3, v20
	s_or_b64 exec, exec, s[20:21]
	v_cmp_gt_u32_e64 s[14:15], 24, v7
	s_and_saveexec_b64 s[20:21], s[14:15]
	s_cbranch_execz .LBB163_131
.LBB163_996:
	v_lshlrev_b32_e32 v19, 3, v18
	v_sub_u32_e32 v19, v16, v19
	v_lshl_add_u32 v19, v17, 3, v19
	ds_read_b64 v[19:20], v19 offset:2624
	ds_read_b64 v[21:22], v16 offset:40
	s_waitcnt lgkmcnt(0)
	v_mul_f32_e32 v23, v22, v20
	v_mul_f32_e32 v20, v21, v20
	v_fma_f32 v21, v21, v19, -v23
	v_fmac_f32_e32 v20, v22, v19
	v_add_f32_e32 v2, v2, v21
	v_add_f32_e32 v3, v3, v20
	s_or_b64 exec, exec, s[20:21]
	v_cmp_gt_u32_e64 s[14:15], 16, v7
	s_and_saveexec_b64 s[20:21], s[14:15]
	s_cbranch_execz .LBB163_132
.LBB163_997:
	ds_read_b64 v[19:20], v14 offset:3136
	ds_read_b64 v[21:22], v16 offset:48
	s_waitcnt lgkmcnt(0)
	v_mul_f32_e32 v16, v22, v20
	v_mul_f32_e32 v20, v21, v20
	v_fma_f32 v16, v21, v19, -v16
	v_fmac_f32_e32 v20, v22, v19
	v_add_f32_e32 v2, v2, v16
	v_add_f32_e32 v3, v3, v20
	s_or_b64 exec, exec, s[20:21]
	v_cmp_gt_u32_e64 s[14:15], 8, v7
	s_and_saveexec_b64 s[20:21], s[14:15]
	s_cbranch_execnz .LBB163_133
	s_branch .LBB163_134
.LBB163_998:
	v_lshlrev_b32_e32 v20, 3, v13
	v_sub_u32_e32 v20, v19, v20
	v_lshl_add_u32 v20, v12, 3, v20
	ds_read_b64 v[20:21], v20 offset:4704
	ds_read_b64 v[22:23], v19 offset:4168
	s_waitcnt lgkmcnt(0)
	v_mul_f32_e32 v24, v23, v21
	v_mul_f32_e32 v21, v22, v21
	v_fma_f32 v22, v22, v20, -v24
	v_fmac_f32_e32 v21, v23, v20
	v_add_f32_e32 v2, v2, v22
	v_add_f32_e32 v3, v3, v21
	s_or_b64 exec, exec, s[16:17]
	v_cmp_gt_u32_e64 s[12:13], 8, v7
	s_and_saveexec_b64 s[16:17], s[12:13]
	s_cbranch_execz .LBB163_186
.LBB163_999:
	ds_read_b64 v[20:21], v9 offset:5216
	ds_read_b64 v[22:23], v19 offset:4176
	s_waitcnt lgkmcnt(0)
	v_mul_f32_e32 v19, v23, v21
	v_mul_f32_e32 v21, v22, v21
	v_fma_f32 v19, v22, v20, -v19
	v_fmac_f32_e32 v21, v23, v20
	v_add_f32_e32 v2, v2, v19
	v_add_f32_e32 v3, v3, v21
	s_or_b64 exec, exec, s[16:17]
	v_cmp_gt_u32_e64 s[12:13], 4, v7
	s_and_saveexec_b64 s[16:17], s[12:13]
	s_cbranch_execnz .LBB163_187
	s_branch .LBB163_188
.LBB163_1000:
	v_lshlrev_b32_e32 v24, 3, v20
	v_lshl_add_u32 v24, v22, 3, v24
	ds_read_b64 v[24:25], v24 offset:5760
	ds_read_b64 v[26:27], v21 offset:88
	s_waitcnt lgkmcnt(0)
	v_mul_f32_e32 v28, v27, v25
	v_mul_f32_e32 v25, v26, v25
	v_fma_f32 v26, v26, v24, -v28
	v_fmac_f32_e32 v25, v27, v24
	v_add_f32_e32 v2, v2, v26
	v_add_f32_e32 v3, v3, v25
	s_or_b64 exec, exec, s[22:23]
	v_cmp_gt_u32_e64 s[16:17], 64, v7
	s_and_saveexec_b64 s[22:23], s[16:17]
	s_cbranch_execz .LBB163_244
.LBB163_1001:
	ds_read_b64 v[24:25], v19 offset:6272
	ds_read_b64 v[26:27], v21 offset:96
	s_waitcnt lgkmcnt(0)
	v_mul_f32_e32 v28, v27, v25
	v_mul_f32_e32 v25, v26, v25
	v_fma_f32 v26, v26, v24, -v28
	v_fmac_f32_e32 v25, v27, v24
	v_add_f32_e32 v2, v2, v26
	v_add_f32_e32 v3, v3, v25
	s_or_b64 exec, exec, s[22:23]
	v_cmp_gt_u32_e64 s[16:17], 48, v7
	s_and_saveexec_b64 s[22:23], s[16:17]
	s_cbranch_execz .LBB163_245
.LBB163_1002:
	v_lshlrev_b32_e32 v24, 3, v20
	v_lshl_add_u32 v24, v22, 3, v24
	ds_read_b64 v[24:25], v24 offset:6784
	ds_read_b64 v[26:27], v21 offset:104
	s_waitcnt lgkmcnt(0)
	v_mul_f32_e32 v28, v27, v25
	v_mul_f32_e32 v25, v26, v25
	v_fma_f32 v26, v26, v24, -v28
	v_fmac_f32_e32 v25, v27, v24
	v_add_f32_e32 v2, v2, v26
	v_add_f32_e32 v3, v3, v25
	s_or_b64 exec, exec, s[22:23]
	v_cmp_gt_u32_e64 s[16:17], 32, v7
	s_and_saveexec_b64 s[22:23], s[16:17]
	s_cbranch_execz .LBB163_246
.LBB163_1003:
	ds_read_b64 v[24:25], v19 offset:7296
	ds_read_b64 v[26:27], v21 offset:112
	s_waitcnt lgkmcnt(0)
	v_mul_f32_e32 v21, v27, v25
	v_mul_f32_e32 v25, v26, v25
	v_fma_f32 v21, v26, v24, -v21
	v_fmac_f32_e32 v25, v27, v24
	v_add_f32_e32 v2, v2, v21
	v_add_f32_e32 v3, v3, v25
	s_or_b64 exec, exec, s[22:23]
	v_cmp_gt_u32_e64 s[16:17], 16, v7
	s_and_saveexec_b64 s[22:23], s[16:17]
	s_cbranch_execnz .LBB163_247
	s_branch .LBB163_248
.LBB163_1004:
	v_lshlrev_b32_e32 v25, 3, v13
	v_sub_u32_e32 v25, v24, v25
	v_lshl_add_u32 v25, v12, 3, v25
	ds_read_b64 v[25:26], v25 offset:8864
	ds_read_b64 v[27:28], v24 offset:8328
	s_waitcnt lgkmcnt(0)
	v_mul_f32_e32 v29, v28, v26
	v_mul_f32_e32 v26, v27, v26
	v_fma_f32 v27, v27, v25, -v29
	v_fmac_f32_e32 v26, v28, v25
	v_add_f32_e32 v2, v2, v27
	v_add_f32_e32 v3, v3, v26
	s_or_b64 exec, exec, s[20:21]
	v_cmp_gt_u32_e64 s[14:15], 8, v7
	s_and_saveexec_b64 s[20:21], s[14:15]
	s_cbranch_execz .LBB163_332
.LBB163_1005:
	ds_read_b64 v[25:26], v9 offset:9376
	ds_read_b64 v[27:28], v24 offset:8336
	s_waitcnt lgkmcnt(0)
	v_mul_f32_e32 v24, v28, v26
	v_mul_f32_e32 v26, v27, v26
	v_fma_f32 v24, v27, v25, -v24
	v_fmac_f32_e32 v26, v28, v25
	v_add_f32_e32 v2, v2, v24
	v_add_f32_e32 v3, v3, v26
	s_or_b64 exec, exec, s[20:21]
	v_cmp_gt_u32_e64 s[14:15], 4, v7
	s_and_saveexec_b64 s[20:21], s[14:15]
	s_cbranch_execnz .LBB163_333
	s_branch .LBB163_334
.LBB163_1006:
	v_lshlrev_b32_e32 v25, 3, v18
	v_sub_u32_e32 v25, v24, v25
	v_lshl_add_u32 v25, v17, 3, v25
	ds_read_b64 v[25:26], v25 offset:8896
	ds_read_b64 v[27:28], v24 offset:8328
	s_waitcnt lgkmcnt(0)
	v_mul_f32_e32 v29, v28, v26
	v_mul_f32_e32 v26, v27, v26
	v_fma_f32 v27, v27, v25, -v29
	v_fmac_f32_e32 v26, v28, v25
	v_add_f32_e32 v2, v2, v27
	v_add_f32_e32 v3, v3, v26
	s_or_b64 exec, exec, s[20:21]
	v_cmp_gt_u32_e64 s[14:15], 48, v7
	s_and_saveexec_b64 s[20:21], s[14:15]
	s_cbranch_execz .LBB163_370
.LBB163_1007:
	v_lshlrev_b32_e32 v25, 3, v18
	v_sub_u32_e32 v25, v24, v25
	v_lshl_add_u32 v25, v17, 3, v25
	ds_read_b64 v[25:26], v25 offset:9408
	ds_read_b64 v[27:28], v24 offset:8336
	s_waitcnt lgkmcnt(0)
	v_mul_f32_e32 v29, v28, v26
	v_mul_f32_e32 v26, v27, v26
	v_fma_f32 v27, v27, v25, -v29
	v_fmac_f32_e32 v26, v28, v25
	v_add_f32_e32 v2, v2, v27
	v_add_f32_e32 v3, v3, v26
	s_or_b64 exec, exec, s[20:21]
	v_cmp_gt_u32_e64 s[14:15], 40, v7
	s_and_saveexec_b64 s[20:21], s[14:15]
	s_cbranch_execz .LBB163_371
.LBB163_1008:
	v_lshlrev_b32_e32 v25, 3, v18
	v_sub_u32_e32 v25, v24, v25
	v_lshl_add_u32 v25, v17, 3, v25
	ds_read_b64 v[25:26], v25 offset:9920
	ds_read_b64 v[27:28], v24 offset:8344
	s_waitcnt lgkmcnt(0)
	v_mul_f32_e32 v29, v28, v26
	v_mul_f32_e32 v26, v27, v26
	v_fma_f32 v27, v27, v25, -v29
	v_fmac_f32_e32 v26, v28, v25
	v_add_f32_e32 v2, v2, v27
	v_add_f32_e32 v3, v3, v26
	s_or_b64 exec, exec, s[20:21]
	v_cmp_gt_u32_e64 s[14:15], 32, v7
	s_and_saveexec_b64 s[20:21], s[14:15]
	s_cbranch_execz .LBB163_372
.LBB163_1009:
	ds_read_b64 v[25:26], v14 offset:10432
	ds_read_b64 v[27:28], v24 offset:8352
	s_waitcnt lgkmcnt(0)
	v_mul_f32_e32 v29, v28, v26
	v_mul_f32_e32 v26, v27, v26
	v_fma_f32 v27, v27, v25, -v29
	v_fmac_f32_e32 v26, v28, v25
	v_add_f32_e32 v2, v2, v27
	v_add_f32_e32 v3, v3, v26
	s_or_b64 exec, exec, s[20:21]
	v_cmp_gt_u32_e64 s[14:15], 24, v7
	s_and_saveexec_b64 s[20:21], s[14:15]
	s_cbranch_execz .LBB163_373
.LBB163_1010:
	v_lshlrev_b32_e32 v25, 3, v18
	v_sub_u32_e32 v25, v24, v25
	v_lshl_add_u32 v25, v17, 3, v25
	ds_read_b64 v[25:26], v25 offset:10944
	ds_read_b64 v[27:28], v24 offset:8360
	s_waitcnt lgkmcnt(0)
	v_mul_f32_e32 v29, v28, v26
	v_mul_f32_e32 v26, v27, v26
	v_fma_f32 v27, v27, v25, -v29
	v_fmac_f32_e32 v26, v28, v25
	v_add_f32_e32 v2, v2, v27
	v_add_f32_e32 v3, v3, v26
	s_or_b64 exec, exec, s[20:21]
	v_cmp_gt_u32_e64 s[14:15], 16, v7
	s_and_saveexec_b64 s[20:21], s[14:15]
	s_cbranch_execz .LBB163_374
.LBB163_1011:
	ds_read_b64 v[25:26], v14 offset:11456
	ds_read_b64 v[27:28], v24 offset:8368
	s_waitcnt lgkmcnt(0)
	v_mul_f32_e32 v24, v28, v26
	v_mul_f32_e32 v26, v27, v26
	v_fma_f32 v24, v27, v25, -v24
	v_fmac_f32_e32 v26, v28, v25
	v_add_f32_e32 v2, v2, v24
	v_add_f32_e32 v3, v3, v26
	s_or_b64 exec, exec, s[20:21]
	v_cmp_gt_u32_e64 s[14:15], 8, v7
	s_and_saveexec_b64 s[20:21], s[14:15]
	s_cbranch_execnz .LBB163_375
	s_branch .LBB163_376
.LBB163_1012:
	v_lshlrev_b32_e32 v25, 3, v13
	v_sub_u32_e32 v25, v24, v25
	v_lshl_add_u32 v25, v12, 3, v25
	ds_read_b64 v[25:26], v25 offset:13024
	ds_read_b64 v[27:28], v24 offset:12488
	s_waitcnt lgkmcnt(0)
	v_mul_f32_e32 v29, v28, v26
	v_mul_f32_e32 v26, v27, v26
	v_fma_f32 v27, v27, v25, -v29
	v_fmac_f32_e32 v26, v28, v25
	v_add_f32_e32 v2, v2, v27
	v_add_f32_e32 v3, v3, v26
	s_or_b64 exec, exec, s[20:21]
	v_cmp_gt_u32_e64 s[14:15], 8, v7
	s_and_saveexec_b64 s[20:21], s[14:15]
	s_cbranch_execz .LBB163_428
.LBB163_1013:
	ds_read_b64 v[25:26], v9 offset:13536
	ds_read_b64 v[27:28], v24 offset:12496
	s_waitcnt lgkmcnt(0)
	v_mul_f32_e32 v24, v28, v26
	v_mul_f32_e32 v26, v27, v26
	v_fma_f32 v24, v27, v25, -v24
	v_fmac_f32_e32 v26, v28, v25
	v_add_f32_e32 v2, v2, v24
	v_add_f32_e32 v3, v3, v26
	s_or_b64 exec, exec, s[20:21]
	v_cmp_gt_u32_e64 s[14:15], 4, v7
	s_and_saveexec_b64 s[20:21], s[14:15]
	s_cbranch_execnz .LBB163_429
	s_branch .LBB163_430
.LBB163_1014:
	ds_read_b64 v[30:31], v29 offset:15104
	ds_read_b64 v[32:33], v28 offset:232
	s_waitcnt lgkmcnt(0)
	v_mul_f32_e32 v34, v33, v31
	v_mul_f32_e32 v31, v32, v31
	v_fma_f32 v32, v32, v30, -v34
	v_fmac_f32_e32 v31, v33, v30
	v_add_f32_e32 v2, v2, v32
	v_add_f32_e32 v3, v3, v31
	s_or_b64 exec, exec, s[86:87]
	v_cmp_gt_u32_e64 s[20:21], 64, v7
	s_and_saveexec_b64 s[86:87], s[20:21]
	s_cbranch_execz .LBB163_522
.LBB163_1015:
	ds_read_b64 v[29:30], v29 offset:15616
	ds_read_b64 v[31:32], v28 offset:240
	s_waitcnt lgkmcnt(0)
	v_mul_f32_e32 v33, v32, v30
	v_mul_f32_e32 v30, v31, v30
	v_fma_f32 v31, v31, v29, -v33
	v_fmac_f32_e32 v30, v32, v29
	v_add_f32_e32 v2, v2, v31
	v_add_f32_e32 v3, v3, v30
	s_or_b64 exec, exec, s[86:87]
	v_cmp_gt_u32_e64 s[20:21], 32, v7
	s_and_saveexec_b64 s[86:87], s[20:21]
	s_cbranch_execnz .LBB163_523
	s_branch .LBB163_524
.LBB163_1016:
	v_lshlrev_b32_e32 v25, 3, v13
	v_sub_u32_e32 v25, v24, v25
	v_lshl_add_u32 v25, v12, 3, v25
	ds_read_b64 v[25:26], v25 offset:17184
	ds_read_b64 v[27:28], v24 offset:16648
	s_waitcnt lgkmcnt(0)
	v_mul_f32_e32 v29, v28, v26
	v_mul_f32_e32 v26, v27, v26
	v_fma_f32 v27, v27, v25, -v29
	v_fmac_f32_e32 v26, v28, v25
	v_add_f32_e32 v2, v2, v27
	v_add_f32_e32 v3, v3, v26
	s_or_b64 exec, exec, s[20:21]
	v_cmp_gt_u32_e64 s[14:15], 8, v7
	s_and_saveexec_b64 s[20:21], s[14:15]
	s_cbranch_execz .LBB163_556
.LBB163_1017:
	ds_read_b64 v[25:26], v9 offset:17696
	ds_read_b64 v[27:28], v24 offset:16656
	s_waitcnt lgkmcnt(0)
	v_mul_f32_e32 v24, v28, v26
	v_mul_f32_e32 v26, v27, v26
	v_fma_f32 v24, v27, v25, -v24
	v_fmac_f32_e32 v26, v28, v25
	v_add_f32_e32 v2, v2, v24
	v_add_f32_e32 v3, v3, v26
	s_or_b64 exec, exec, s[20:21]
	v_cmp_gt_u32_e64 s[14:15], 4, v7
	s_and_saveexec_b64 s[20:21], s[14:15]
	s_cbranch_execnz .LBB163_557
	s_branch .LBB163_558
.LBB163_1018:
	v_lshlrev_b32_e32 v25, 3, v18
	v_sub_u32_e32 v25, v24, v25
	v_lshl_add_u32 v25, v17, 3, v25
	ds_read_b64 v[25:26], v25 offset:17216
	ds_read_b64 v[27:28], v24 offset:16648
	s_waitcnt lgkmcnt(0)
	v_mul_f32_e32 v29, v28, v26
	v_mul_f32_e32 v26, v27, v26
	v_fma_f32 v27, v27, v25, -v29
	v_fmac_f32_e32 v26, v28, v25
	v_add_f32_e32 v2, v2, v27
	v_add_f32_e32 v3, v3, v26
	s_or_b64 exec, exec, s[20:21]
	v_cmp_gt_u32_e64 s[14:15], 48, v7
	s_and_saveexec_b64 s[20:21], s[14:15]
	s_cbranch_execz .LBB163_594
.LBB163_1019:
	v_lshlrev_b32_e32 v25, 3, v18
	v_sub_u32_e32 v25, v24, v25
	v_lshl_add_u32 v25, v17, 3, v25
	ds_read_b64 v[25:26], v25 offset:17728
	ds_read_b64 v[27:28], v24 offset:16656
	s_waitcnt lgkmcnt(0)
	v_mul_f32_e32 v29, v28, v26
	v_mul_f32_e32 v26, v27, v26
	v_fma_f32 v27, v27, v25, -v29
	v_fmac_f32_e32 v26, v28, v25
	v_add_f32_e32 v2, v2, v27
	v_add_f32_e32 v3, v3, v26
	s_or_b64 exec, exec, s[20:21]
	v_cmp_gt_u32_e64 s[14:15], 40, v7
	s_and_saveexec_b64 s[20:21], s[14:15]
	s_cbranch_execz .LBB163_595
.LBB163_1020:
	v_lshlrev_b32_e32 v25, 3, v18
	v_sub_u32_e32 v25, v24, v25
	v_lshl_add_u32 v25, v17, 3, v25
	ds_read_b64 v[25:26], v25 offset:18240
	ds_read_b64 v[27:28], v24 offset:16664
	s_waitcnt lgkmcnt(0)
	v_mul_f32_e32 v29, v28, v26
	v_mul_f32_e32 v26, v27, v26
	v_fma_f32 v27, v27, v25, -v29
	v_fmac_f32_e32 v26, v28, v25
	v_add_f32_e32 v2, v2, v27
	v_add_f32_e32 v3, v3, v26
	s_or_b64 exec, exec, s[20:21]
	v_cmp_gt_u32_e64 s[14:15], 32, v7
	s_and_saveexec_b64 s[20:21], s[14:15]
	s_cbranch_execz .LBB163_596
.LBB163_1021:
	ds_read_b64 v[25:26], v14 offset:18752
	ds_read_b64 v[27:28], v24 offset:16672
	s_waitcnt lgkmcnt(0)
	v_mul_f32_e32 v29, v28, v26
	v_mul_f32_e32 v26, v27, v26
	v_fma_f32 v27, v27, v25, -v29
	v_fmac_f32_e32 v26, v28, v25
	v_add_f32_e32 v2, v2, v27
	v_add_f32_e32 v3, v3, v26
	s_or_b64 exec, exec, s[20:21]
	v_cmp_gt_u32_e64 s[14:15], 24, v7
	s_and_saveexec_b64 s[20:21], s[14:15]
	s_cbranch_execz .LBB163_597
.LBB163_1022:
	v_lshlrev_b32_e32 v25, 3, v18
	v_sub_u32_e32 v25, v24, v25
	v_lshl_add_u32 v25, v17, 3, v25
	ds_read_b64 v[25:26], v25 offset:19264
	ds_read_b64 v[27:28], v24 offset:16680
	s_waitcnt lgkmcnt(0)
	v_mul_f32_e32 v29, v28, v26
	v_mul_f32_e32 v26, v27, v26
	v_fma_f32 v27, v27, v25, -v29
	v_fmac_f32_e32 v26, v28, v25
	v_add_f32_e32 v2, v2, v27
	v_add_f32_e32 v3, v3, v26
	s_or_b64 exec, exec, s[20:21]
	v_cmp_gt_u32_e64 s[14:15], 16, v7
	s_and_saveexec_b64 s[20:21], s[14:15]
	s_cbranch_execz .LBB163_598
.LBB163_1023:
	ds_read_b64 v[25:26], v14 offset:19776
	ds_read_b64 v[27:28], v24 offset:16688
	s_waitcnt lgkmcnt(0)
	v_mul_f32_e32 v24, v28, v26
	v_mul_f32_e32 v26, v27, v26
	v_fma_f32 v24, v27, v25, -v24
	v_fmac_f32_e32 v26, v28, v25
	v_add_f32_e32 v2, v2, v24
	v_add_f32_e32 v3, v3, v26
	s_or_b64 exec, exec, s[20:21]
	v_cmp_gt_u32_e64 s[14:15], 8, v7
	s_and_saveexec_b64 s[20:21], s[14:15]
	s_cbranch_execnz .LBB163_599
	s_branch .LBB163_600
.LBB163_1024:
	v_lshlrev_b32_e32 v25, 3, v13
	v_sub_u32_e32 v25, v24, v25
	v_lshl_add_u32 v25, v12, 3, v25
	ds_read_b64 v[25:26], v25 offset:21344
	ds_read_b64 v[27:28], v24 offset:20808
	s_waitcnt lgkmcnt(0)
	v_mul_f32_e32 v29, v28, v26
	v_mul_f32_e32 v26, v27, v26
	v_fma_f32 v27, v27, v25, -v29
	v_fmac_f32_e32 v26, v28, v25
	v_add_f32_e32 v2, v2, v27
	v_add_f32_e32 v3, v3, v26
	s_or_b64 exec, exec, s[20:21]
	v_cmp_gt_u32_e64 s[14:15], 8, v7
	s_and_saveexec_b64 s[20:21], s[14:15]
	s_cbranch_execz .LBB163_652
.LBB163_1025:
	ds_read_b64 v[25:26], v9 offset:21856
	ds_read_b64 v[27:28], v24 offset:20816
	s_waitcnt lgkmcnt(0)
	v_mul_f32_e32 v24, v28, v26
	v_mul_f32_e32 v26, v27, v26
	v_fma_f32 v24, v27, v25, -v24
	v_fmac_f32_e32 v26, v28, v25
	v_add_f32_e32 v2, v2, v24
	v_add_f32_e32 v3, v3, v26
	s_or_b64 exec, exec, s[20:21]
	v_cmp_gt_u32_e64 s[14:15], 4, v7
	s_and_saveexec_b64 s[20:21], s[14:15]
	s_cbranch_execnz .LBB163_653
	s_branch .LBB163_654
.LBB163_1026:
	v_lshlrev_b32_e32 v23, 3, v20
	v_lshl_add_u32 v23, v22, 3, v23
	ds_read_b64 v[25:26], v23 offset:22400
	ds_read_b64 v[27:28], v24 offset:16728
	s_waitcnt lgkmcnt(0)
	v_mul_f32_e32 v23, v28, v26
	v_mul_f32_e32 v26, v27, v26
	v_fma_f32 v23, v27, v25, -v23
	v_fmac_f32_e32 v26, v28, v25
	v_add_f32_e32 v2, v2, v23
	v_add_f32_e32 v3, v3, v26
	s_or_b64 exec, exec, s[20:21]
	v_cmp_gt_u32_e64 s[14:15], 64, v7
	s_and_saveexec_b64 s[20:21], s[14:15]
	s_cbranch_execz .LBB163_710
.LBB163_1027:
	ds_read_b64 v[25:26], v19 offset:22912
	ds_read_b64 v[27:28], v24 offset:16736
	s_waitcnt lgkmcnt(0)
	v_mul_f32_e32 v23, v28, v26
	v_mul_f32_e32 v26, v27, v26
	v_fma_f32 v23, v27, v25, -v23
	v_fmac_f32_e32 v26, v28, v25
	v_add_f32_e32 v2, v2, v23
	v_add_f32_e32 v3, v3, v26
	s_or_b64 exec, exec, s[20:21]
	v_cmp_gt_u32_e64 s[14:15], 48, v7
	s_and_saveexec_b64 s[20:21], s[14:15]
	s_cbranch_execz .LBB163_711
.LBB163_1028:
	v_lshlrev_b32_e32 v23, 3, v20
	v_lshl_add_u32 v22, v22, 3, v23
	ds_read_b64 v[22:23], v22 offset:23424
	ds_read_b64 v[25:26], v24 offset:16744
	s_waitcnt lgkmcnt(0)
	v_mul_f32_e32 v27, v26, v23
	v_mul_f32_e32 v23, v25, v23
	v_fma_f32 v25, v25, v22, -v27
	v_fmac_f32_e32 v23, v26, v22
	v_add_f32_e32 v2, v2, v25
	v_add_f32_e32 v3, v3, v23
	s_or_b64 exec, exec, s[20:21]
	v_cmp_gt_u32_e64 s[14:15], 32, v7
	s_and_saveexec_b64 s[20:21], s[14:15]
	s_cbranch_execz .LBB163_712
.LBB163_1029:
	ds_read_b64 v[22:23], v19 offset:23936
	ds_read_b64 v[24:25], v24 offset:16752
	s_waitcnt lgkmcnt(0)
	v_mul_f32_e32 v26, v25, v23
	v_mul_f32_e32 v23, v24, v23
	v_fma_f32 v24, v24, v22, -v26
	v_fmac_f32_e32 v23, v25, v22
	v_add_f32_e32 v2, v2, v24
	v_add_f32_e32 v3, v3, v23
	s_or_b64 exec, exec, s[20:21]
	v_cmp_gt_u32_e64 s[14:15], 16, v7
	s_and_saveexec_b64 s[20:21], s[14:15]
	s_cbranch_execnz .LBB163_713
	s_branch .LBB163_714
.LBB163_1030:
	v_lshlrev_b32_e32 v20, 3, v13
	v_sub_u32_e32 v20, v19, v20
	v_lshl_add_u32 v20, v12, 3, v20
	ds_read_b64 v[20:21], v20 offset:25504
	ds_read_b64 v[22:23], v19 offset:24968
	s_waitcnt lgkmcnt(0)
	v_mul_f32_e32 v24, v23, v21
	v_mul_f32_e32 v21, v22, v21
	v_fma_f32 v22, v22, v20, -v24
	v_fmac_f32_e32 v21, v23, v20
	v_add_f32_e32 v2, v2, v22
	v_add_f32_e32 v3, v3, v21
	s_or_b64 exec, exec, s[16:17]
	v_cmp_gt_u32_e64 s[12:13], 8, v7
	s_and_saveexec_b64 s[16:17], s[12:13]
	s_cbranch_execz .LBB163_798
.LBB163_1031:
	ds_read_b64 v[20:21], v9 offset:26016
	ds_read_b64 v[22:23], v19 offset:24976
	s_waitcnt lgkmcnt(0)
	v_mul_f32_e32 v19, v23, v21
	v_mul_f32_e32 v21, v22, v21
	v_fma_f32 v19, v22, v20, -v19
	v_fmac_f32_e32 v21, v23, v20
	v_add_f32_e32 v2, v2, v19
	v_add_f32_e32 v3, v3, v21
	s_or_b64 exec, exec, s[16:17]
	v_cmp_gt_u32_e64 s[12:13], 4, v7
	s_and_saveexec_b64 s[16:17], s[12:13]
	s_cbranch_execnz .LBB163_799
	s_branch .LBB163_800
.LBB163_1032:
	v_lshlrev_b32_e32 v20, 3, v18
	v_sub_u32_e32 v20, v19, v20
	v_lshl_add_u32 v20, v17, 3, v20
	ds_read_b64 v[20:21], v20 offset:25536
	ds_read_b64 v[22:23], v19 offset:24968
	s_waitcnt lgkmcnt(0)
	v_mul_f32_e32 v24, v23, v21
	v_mul_f32_e32 v21, v22, v21
	v_fma_f32 v22, v22, v20, -v24
	v_fmac_f32_e32 v21, v23, v20
	v_add_f32_e32 v2, v2, v22
	v_add_f32_e32 v3, v3, v21
	s_or_b64 exec, exec, s[16:17]
	v_cmp_gt_u32_e64 s[12:13], 48, v7
	s_and_saveexec_b64 s[16:17], s[12:13]
	s_cbranch_execz .LBB163_836
.LBB163_1033:
	v_lshlrev_b32_e32 v20, 3, v18
	v_sub_u32_e32 v20, v19, v20
	v_lshl_add_u32 v20, v17, 3, v20
	ds_read_b64 v[20:21], v20 offset:26048
	ds_read_b64 v[22:23], v19 offset:24976
	s_waitcnt lgkmcnt(0)
	v_mul_f32_e32 v24, v23, v21
	v_mul_f32_e32 v21, v22, v21
	v_fma_f32 v22, v22, v20, -v24
	v_fmac_f32_e32 v21, v23, v20
	v_add_f32_e32 v2, v2, v22
	v_add_f32_e32 v3, v3, v21
	s_or_b64 exec, exec, s[16:17]
	v_cmp_gt_u32_e64 s[12:13], 40, v7
	s_and_saveexec_b64 s[16:17], s[12:13]
	s_cbranch_execz .LBB163_837
.LBB163_1034:
	v_lshlrev_b32_e32 v20, 3, v18
	v_sub_u32_e32 v20, v19, v20
	v_lshl_add_u32 v20, v17, 3, v20
	ds_read_b64 v[20:21], v20 offset:26560
	ds_read_b64 v[22:23], v19 offset:24984
	s_waitcnt lgkmcnt(0)
	v_mul_f32_e32 v24, v23, v21
	v_mul_f32_e32 v21, v22, v21
	v_fma_f32 v22, v22, v20, -v24
	v_fmac_f32_e32 v21, v23, v20
	v_add_f32_e32 v2, v2, v22
	v_add_f32_e32 v3, v3, v21
	s_or_b64 exec, exec, s[16:17]
	v_cmp_gt_u32_e64 s[12:13], 32, v7
	s_and_saveexec_b64 s[16:17], s[12:13]
	s_cbranch_execz .LBB163_838
.LBB163_1035:
	ds_read_b64 v[20:21], v14 offset:27072
	ds_read_b64 v[22:23], v19 offset:24992
	s_waitcnt lgkmcnt(0)
	v_mul_f32_e32 v24, v23, v21
	v_mul_f32_e32 v21, v22, v21
	v_fma_f32 v22, v22, v20, -v24
	v_fmac_f32_e32 v21, v23, v20
	v_add_f32_e32 v2, v2, v22
	v_add_f32_e32 v3, v3, v21
	s_or_b64 exec, exec, s[16:17]
	v_cmp_gt_u32_e64 s[12:13], 24, v7
	s_and_saveexec_b64 s[16:17], s[12:13]
	s_cbranch_execz .LBB163_839
.LBB163_1036:
	v_lshlrev_b32_e32 v18, 3, v18
	v_sub_u32_e32 v18, v19, v18
	v_lshl_add_u32 v17, v17, 3, v18
	ds_read_b64 v[17:18], v17 offset:27584
	ds_read_b64 v[20:21], v19 offset:25000
	s_waitcnt lgkmcnt(0)
	v_mul_f32_e32 v22, v21, v18
	v_mul_f32_e32 v18, v20, v18
	v_fma_f32 v20, v20, v17, -v22
	v_fmac_f32_e32 v18, v21, v17
	v_add_f32_e32 v2, v2, v20
	v_add_f32_e32 v3, v3, v18
	s_or_b64 exec, exec, s[16:17]
	v_cmp_gt_u32_e64 s[12:13], 16, v7
	s_and_saveexec_b64 s[16:17], s[12:13]
	s_cbranch_execz .LBB163_840
.LBB163_1037:
	ds_read_b64 v[17:18], v14 offset:28096
	ds_read_b64 v[19:20], v19 offset:25008
	s_waitcnt lgkmcnt(0)
	v_mul_f32_e32 v21, v20, v18
	v_mul_f32_e32 v18, v19, v18
	v_fma_f32 v19, v19, v17, -v21
	v_fmac_f32_e32 v18, v20, v17
	v_add_f32_e32 v2, v2, v19
	v_add_f32_e32 v3, v3, v18
	s_or_b64 exec, exec, s[16:17]
	v_cmp_gt_u32_e64 s[12:13], 8, v7
	s_and_saveexec_b64 s[16:17], s[12:13]
	s_cbranch_execnz .LBB163_841
	s_branch .LBB163_842
.LBB163_1038:
	v_lshlrev_b32_e32 v13, 3, v13
	v_sub_u32_e32 v13, v14, v13
	v_lshl_add_u32 v12, v12, 3, v13
	ds_read_b64 v[12:13], v12 offset:29664
	ds_read_b64 v[15:16], v14 offset:29128
	s_waitcnt lgkmcnt(0)
	v_mul_f32_e32 v17, v16, v13
	v_mul_f32_e32 v13, v15, v13
	v_fma_f32 v15, v15, v12, -v17
	v_fmac_f32_e32 v13, v16, v12
	v_add_f32_e32 v2, v2, v15
	v_add_f32_e32 v3, v3, v13
	s_or_b64 exec, exec, s[14:15]
	v_cmp_gt_u32_e64 s[10:11], 8, v7
	s_and_saveexec_b64 s[14:15], s[10:11]
	s_cbranch_execz .LBB163_894
.LBB163_1039:
	ds_read_b64 v[12:13], v9 offset:30176
	ds_read_b64 v[14:15], v14 offset:29136
	s_waitcnt lgkmcnt(0)
	v_mul_f32_e32 v16, v15, v13
	v_mul_f32_e32 v13, v14, v13
	v_fma_f32 v14, v14, v12, -v16
	v_fmac_f32_e32 v13, v15, v12
	v_add_f32_e32 v2, v2, v14
	v_add_f32_e32 v3, v3, v13
	s_or_b64 exec, exec, s[14:15]
	v_cmp_gt_u32_e64 s[10:11], 4, v7
	s_and_saveexec_b64 s[14:15], s[10:11]
	s_cbranch_execnz .LBB163_895
	s_branch .LBB163_896
	.section	.rodata,"a",@progbits
	.p2align	6, 0x0
	.amdhsa_kernel _ZL19rocblas_trsv_deviceILi64ELi16ELb1ELb0ELb0ELb1E19rocblas_complex_numIfES1_PKPKS1_PKPS1_EviT7_lllT6_T8_lllPii
		.amdhsa_group_segment_fixed_size 41480
		.amdhsa_private_segment_fixed_size 48
		.amdhsa_kernarg_size 352
		.amdhsa_user_sgpr_count 8
		.amdhsa_user_sgpr_private_segment_buffer 1
		.amdhsa_user_sgpr_dispatch_ptr 0
		.amdhsa_user_sgpr_queue_ptr 0
		.amdhsa_user_sgpr_kernarg_segment_ptr 1
		.amdhsa_user_sgpr_dispatch_id 0
		.amdhsa_user_sgpr_flat_scratch_init 1
		.amdhsa_user_sgpr_private_segment_size 0
		.amdhsa_uses_dynamic_stack 0
		.amdhsa_system_sgpr_private_segment_wavefront_offset 1
		.amdhsa_system_sgpr_workgroup_id_x 1
		.amdhsa_system_sgpr_workgroup_id_y 0
		.amdhsa_system_sgpr_workgroup_id_z 1
		.amdhsa_system_sgpr_workgroup_info 0
		.amdhsa_system_vgpr_workitem_id 1
		.amdhsa_next_free_vgpr 49
		.amdhsa_next_free_sgpr 100
		.amdhsa_reserve_vcc 1
		.amdhsa_reserve_flat_scratch 1
		.amdhsa_float_round_mode_32 0
		.amdhsa_float_round_mode_16_64 0
		.amdhsa_float_denorm_mode_32 3
		.amdhsa_float_denorm_mode_16_64 3
		.amdhsa_dx10_clamp 1
		.amdhsa_ieee_mode 1
		.amdhsa_fp16_overflow 0
		.amdhsa_exception_fp_ieee_invalid_op 0
		.amdhsa_exception_fp_denorm_src 0
		.amdhsa_exception_fp_ieee_div_zero 0
		.amdhsa_exception_fp_ieee_overflow 0
		.amdhsa_exception_fp_ieee_underflow 0
		.amdhsa_exception_fp_ieee_inexact 0
		.amdhsa_exception_int_div_zero 0
	.end_amdhsa_kernel
	.section	.text._ZL19rocblas_trsv_deviceILi64ELi16ELb1ELb0ELb0ELb1E19rocblas_complex_numIfES1_PKPKS1_PKPS1_EviT7_lllT6_T8_lllPii,"axG",@progbits,_ZL19rocblas_trsv_deviceILi64ELi16ELb1ELb0ELb0ELb1E19rocblas_complex_numIfES1_PKPKS1_PKPS1_EviT7_lllT6_T8_lllPii,comdat
.Lfunc_end163:
	.size	_ZL19rocblas_trsv_deviceILi64ELi16ELb1ELb0ELb0ELb1E19rocblas_complex_numIfES1_PKPKS1_PKPS1_EviT7_lllT6_T8_lllPii, .Lfunc_end163-_ZL19rocblas_trsv_deviceILi64ELi16ELb1ELb0ELb0ELb1E19rocblas_complex_numIfES1_PKPKS1_PKPS1_EviT7_lllT6_T8_lllPii
                                        ; -- End function
	.set _ZL19rocblas_trsv_deviceILi64ELi16ELb1ELb0ELb0ELb1E19rocblas_complex_numIfES1_PKPKS1_PKPS1_EviT7_lllT6_T8_lllPii.num_vgpr, 36
	.set _ZL19rocblas_trsv_deviceILi64ELi16ELb1ELb0ELb0ELb1E19rocblas_complex_numIfES1_PKPKS1_PKPS1_EviT7_lllT6_T8_lllPii.num_agpr, 0
	.set _ZL19rocblas_trsv_deviceILi64ELi16ELb1ELb0ELb0ELb1E19rocblas_complex_numIfES1_PKPKS1_PKPS1_EviT7_lllT6_T8_lllPii.numbered_sgpr, 100
	.set _ZL19rocblas_trsv_deviceILi64ELi16ELb1ELb0ELb0ELb1E19rocblas_complex_numIfES1_PKPKS1_PKPS1_EviT7_lllT6_T8_lllPii.num_named_barrier, 0
	.set _ZL19rocblas_trsv_deviceILi64ELi16ELb1ELb0ELb0ELb1E19rocblas_complex_numIfES1_PKPKS1_PKPS1_EviT7_lllT6_T8_lllPii.private_seg_size, 48
	.set _ZL19rocblas_trsv_deviceILi64ELi16ELb1ELb0ELb0ELb1E19rocblas_complex_numIfES1_PKPKS1_PKPS1_EviT7_lllT6_T8_lllPii.uses_vcc, 1
	.set _ZL19rocblas_trsv_deviceILi64ELi16ELb1ELb0ELb0ELb1E19rocblas_complex_numIfES1_PKPKS1_PKPS1_EviT7_lllT6_T8_lllPii.uses_flat_scratch, 1
	.set _ZL19rocblas_trsv_deviceILi64ELi16ELb1ELb0ELb0ELb1E19rocblas_complex_numIfES1_PKPKS1_PKPS1_EviT7_lllT6_T8_lllPii.has_dyn_sized_stack, 0
	.set _ZL19rocblas_trsv_deviceILi64ELi16ELb1ELb0ELb0ELb1E19rocblas_complex_numIfES1_PKPKS1_PKPS1_EviT7_lllT6_T8_lllPii.has_recursion, 0
	.set _ZL19rocblas_trsv_deviceILi64ELi16ELb1ELb0ELb0ELb1E19rocblas_complex_numIfES1_PKPKS1_PKPS1_EviT7_lllT6_T8_lllPii.has_indirect_call, 0
	.section	.AMDGPU.csdata,"",@progbits
; Kernel info:
; codeLenInByte = 33776
; TotalNumSgprs: 106
; NumVgprs: 36
; ScratchSize: 48
; MemoryBound: 1
; FloatMode: 240
; IeeeMode: 1
; LDSByteSize: 41480 bytes/workgroup (compile time only)
; SGPRBlocks: 13
; VGPRBlocks: 12
; NumSGPRsForWavesPerEU: 106
; NumVGPRsForWavesPerEU: 49
; Occupancy: 4
; WaveLimiterHint : 1
; COMPUTE_PGM_RSRC2:SCRATCH_EN: 1
; COMPUTE_PGM_RSRC2:USER_SGPR: 8
; COMPUTE_PGM_RSRC2:TRAP_HANDLER: 0
; COMPUTE_PGM_RSRC2:TGID_X_EN: 1
; COMPUTE_PGM_RSRC2:TGID_Y_EN: 0
; COMPUTE_PGM_RSRC2:TGID_Z_EN: 1
; COMPUTE_PGM_RSRC2:TIDIG_COMP_CNT: 1
	.section	.text._ZL19rocblas_trsv_deviceILi64ELi16ELb1ELb1ELb0ELb1E19rocblas_complex_numIfES1_PKPKS1_PKPS1_EviT7_lllT6_T8_lllPii,"axG",@progbits,_ZL19rocblas_trsv_deviceILi64ELi16ELb1ELb1ELb0ELb1E19rocblas_complex_numIfES1_PKPKS1_PKPS1_EviT7_lllT6_T8_lllPii,comdat
	.globl	_ZL19rocblas_trsv_deviceILi64ELi16ELb1ELb1ELb0ELb1E19rocblas_complex_numIfES1_PKPKS1_PKPS1_EviT7_lllT6_T8_lllPii ; -- Begin function _ZL19rocblas_trsv_deviceILi64ELi16ELb1ELb1ELb0ELb1E19rocblas_complex_numIfES1_PKPKS1_PKPS1_EviT7_lllT6_T8_lllPii
	.p2align	8
	.type	_ZL19rocblas_trsv_deviceILi64ELi16ELb1ELb1ELb0ELb1E19rocblas_complex_numIfES1_PKPKS1_PKPS1_EviT7_lllT6_T8_lllPii,@function
_ZL19rocblas_trsv_deviceILi64ELi16ELb1ELb1ELb0ELb1E19rocblas_complex_numIfES1_PKPKS1_PKPS1_EviT7_lllT6_T8_lllPii: ; @_ZL19rocblas_trsv_deviceILi64ELi16ELb1ELb1ELb0ELb1E19rocblas_complex_numIfES1_PKPKS1_PKPS1_EviT7_lllT6_T8_lllPii
; %bb.0:
	s_load_dwordx4 s[12:15], s[4:5], 0x8
	s_add_u32 flat_scratch_lo, s6, s10
	s_addc_u32 flat_scratch_hi, s7, 0
	s_add_u32 s0, s0, s10
	s_mov_b32 s28, s9
	s_mov_b32 s29, 0
	s_addc_u32 s1, s1, 0
	s_lshl_b64 s[6:7], s[28:29], 3
	s_waitcnt lgkmcnt(0)
	s_add_u32 s10, s12, s6
	s_addc_u32 s11, s13, s7
	s_load_dwordx2 s[12:13], s[10:11], 0x0
	s_load_dword s34, s[4:5], 0x0
	s_load_dwordx2 s[38:39], s[4:5], 0x18
	s_load_dwordx4 s[16:19], s[4:5], 0x30
	s_lshl_b64 s[10:11], s[14:15], 3
	s_waitcnt lgkmcnt(0)
	s_add_u32 s99, s12, s10
	s_addc_u32 s92, s13, s11
	s_load_dword s9, s[4:5], 0x60
	s_add_u32 s6, s16, s6
	s_addc_u32 s7, s17, s7
	s_load_dwordx2 s[40:41], s[6:7], 0x0
	s_load_dword s93, s[4:5], 0x6c
	s_waitcnt lgkmcnt(0)
	s_add_i32 s9, s9, -1
	s_sub_i32 s33, s9, s8
	s_cmp_eq_u32 s8, 0
	s_cbranch_scc1 .LBB164_18
; %bb.1:
	s_lshl_b32 s10, s33, 6
	v_add_u32_e32 v6, s10, v0
	v_ashrrev_i32_e32 v2, 31, v6
	v_mul_lo_u32 v7, s38, v2
	v_mul_lo_u32 v8, s39, v6
	v_mad_u64_u32 v[2:3], s[6:7], s38, v6, 0
	v_add3_u32 v4, v1, s10, 64
	v_ashrrev_i32_e32 v5, 31, v4
	v_add3_u32 v3, v3, v7, v8
	v_lshlrev_b64 v[2:3], 3, v[2:3]
	v_mov_b32_e32 v7, s92
	v_add_co_u32_e64 v8, s[6:7], s99, v2
	v_addc_co_u32_e64 v7, s[6:7], v7, v3, s[6:7]
	v_lshlrev_b64 v[2:3], 3, v[4:5]
	v_max_i32_e32 v5, v4, v6
	v_add_co_u32_e64 v2, s[6:7], v8, v2
	v_addc_co_u32_e64 v3, s[6:7], v7, v3, s[6:7]
	v_cmp_gt_i32_e32 vcc, s34, v6
	v_cmp_le_i32_e64 s[6:7], s34, v5
	s_barrier
	s_and_saveexec_b64 s[10:11], s[6:7]
	s_xor_b64 s[6:7], exec, s[10:11]
	s_cbranch_execz .LBB164_3
; %bb.2:
	v_mov_b32_e32 v5, 0
	buffer_store_dword v5, off, s[0:3], 0
	buffer_store_dword v5, off, s[0:3], 0 offset:4
.LBB164_3:
	s_andn2_saveexec_b64 s[6:7], s[6:7]
	s_cbranch_execz .LBB164_5
; %bb.4:
	flat_load_dwordx2 v[5:6], v[2:3]
	s_waitcnt vmcnt(0) lgkmcnt(0)
	buffer_store_dword v6, off, s[0:3], 0 offset:4
	buffer_store_dword v5, off, s[0:3], 0
.LBB164_5:
	s_or_b64 exec, exec, s[6:7]
	v_add_u32_e32 v5, 16, v4
	v_cmp_le_i32_e64 s[6:7], s34, v5
	s_xor_b64 s[10:11], vcc, -1
	s_or_b64 s[6:7], s[6:7], s[10:11]
	s_waitcnt vmcnt(0)
	s_barrier
	s_and_saveexec_b64 s[12:13], s[6:7]
	s_xor_b64 s[6:7], exec, s[12:13]
	s_cbranch_execz .LBB164_7
; %bb.6:
	v_mov_b32_e32 v5, 0
	buffer_store_dword v5, off, s[0:3], 0 offset:8
	buffer_store_dword v5, off, s[0:3], 0 offset:12
.LBB164_7:
	s_andn2_saveexec_b64 s[6:7], s[6:7]
	s_cbranch_execz .LBB164_9
; %bb.8:
	flat_load_dwordx2 v[5:6], v[2:3] offset:128
	s_waitcnt vmcnt(0) lgkmcnt(0)
	buffer_store_dword v6, off, s[0:3], 0 offset:12
	buffer_store_dword v5, off, s[0:3], 0 offset:8
.LBB164_9:
	s_or_b64 exec, exec, s[6:7]
	v_add_u32_e32 v5, 32, v4
	v_cmp_le_i32_e32 vcc, s34, v5
	s_or_b64 s[6:7], vcc, s[10:11]
	s_waitcnt vmcnt(0)
	s_barrier
	s_and_saveexec_b64 s[12:13], s[6:7]
	s_xor_b64 s[6:7], exec, s[12:13]
	s_cbranch_execz .LBB164_11
; %bb.10:
	v_mov_b32_e32 v5, 0
	buffer_store_dword v5, off, s[0:3], 0 offset:16
	buffer_store_dword v5, off, s[0:3], 0 offset:20
.LBB164_11:
	s_andn2_saveexec_b64 s[6:7], s[6:7]
	s_cbranch_execz .LBB164_13
; %bb.12:
	flat_load_dwordx2 v[5:6], v[2:3] offset:256
	s_waitcnt vmcnt(0) lgkmcnt(0)
	buffer_store_dword v6, off, s[0:3], 0 offset:20
	buffer_store_dword v5, off, s[0:3], 0 offset:16
.LBB164_13:
	s_or_b64 exec, exec, s[6:7]
	v_add_u32_e32 v4, 48, v4
	v_cmp_le_i32_e32 vcc, s34, v4
	s_or_b64 s[6:7], vcc, s[10:11]
	s_waitcnt vmcnt(0)
	s_barrier
	s_and_saveexec_b64 s[10:11], s[6:7]
	s_xor_b64 s[6:7], exec, s[10:11]
	s_cbranch_execz .LBB164_15
; %bb.14:
	v_mov_b32_e32 v2, 0
	buffer_store_dword v2, off, s[0:3], 0 offset:24
	buffer_store_dword v2, off, s[0:3], 0 offset:28
                                        ; implicit-def: $vgpr2_vgpr3
.LBB164_15:
	s_andn2_saveexec_b64 s[6:7], s[6:7]
	s_cbranch_execz .LBB164_17
; %bb.16:
	flat_load_dwordx2 v[2:3], v[2:3] offset:384
	s_waitcnt vmcnt(0) lgkmcnt(0)
	buffer_store_dword v3, off, s[0:3], 0 offset:28
	buffer_store_dword v2, off, s[0:3], 0 offset:24
.LBB164_17:
	s_or_b64 exec, exec, s[6:7]
.LBB164_18:
	s_ashr_i32 s35, s34, 31
	s_lshr_b32 s6, s35, 26
	s_add_i32 s6, s34, s6
	s_andn2_b32 s6, s6, 63
	s_sub_i32 s98, s34, s6
	s_add_i32 s6, s34, -1
	s_ashr_i32 s7, s6, 31
	s_lshr_b32 s7, s7, 26
	s_add_i32 s6, s6, s7
	s_ashr_i32 s6, s6, 6
	s_cmp_eq_u32 s6, s33
	s_cselect_b64 s[6:7], -1, 0
	s_cmp_lg_u32 s98, 0
	s_load_dwordx2 s[30:31], s[4:5], 0x40
	s_cselect_b64 s[10:11], -1, 0
	s_and_b64 s[36:37], s[10:11], s[6:7]
	s_cmp_lt_i32 s8, 5
	s_cselect_b64 s[12:13], -1, 0
	v_lshlrev_b32_e32 v2, 6, v0
	s_mov_b64 s[16:17], -1
	s_or_b64 s[6:7], s[12:13], s[36:37]
	s_and_b64 vcc, exec, s[36:37]
	v_add_u32_e32 v3, v1, v2
	v_cmp_le_u32_e64 s[10:11], v0, v1
	v_lshl_add_u32 v7, v1, 6, v0
	s_cbranch_vccnz .LBB164_44
; %bb.19:
	s_add_u32 s14, s38, 1
	s_addc_u32 s15, s39, 0
	s_lshl_b32 s16, s33, 6
	s_ashr_i32 s17, s16, 31
	s_mul_hi_u32 s18, s14, s16
	s_mul_i32 s17, s14, s17
	s_add_i32 s17, s18, s17
	s_mul_i32 s15, s15, s16
	s_add_i32 s15, s17, s15
	s_mul_i32 s14, s14, s16
	s_lshl_b64 s[14:15], s[14:15], 3
	s_add_u32 s14, s99, s14
	s_addc_u32 s15, s92, s15
	v_lshlrev_b32_e32 v4, 3, v0
	v_mov_b32_e32 v5, s15
	v_add_co_u32_e32 v4, vcc, s14, v4
	v_addc_co_u32_e32 v5, vcc, 0, v5, vcc
	v_cndmask_b32_e64 v6, v7, v3, s[12:13]
	s_and_saveexec_b64 s[12:13], s[10:11]
	s_xor_b64 s[10:11], exec, s[12:13]
	s_cbranch_execz .LBB164_23
; %bb.20:
	v_or_b32_e32 v8, v1, v0
	v_cmp_gt_u32_e32 vcc, 64, v8
	s_and_saveexec_b64 s[12:13], vcc
; %bb.21:
	v_mov_b32_e32 v8, 0
	v_lshlrev_b32_e32 v6, 3, v6
	v_mov_b32_e32 v9, v8
	ds_write_b64 v6, v[8:9]
; %bb.22:
	s_or_b64 exec, exec, s[12:13]
                                        ; implicit-def: $vgpr6
.LBB164_23:
	s_andn2_saveexec_b64 s[10:11], s[10:11]
	s_cbranch_execz .LBB164_25
; %bb.24:
	v_mad_u64_u32 v[8:9], s[12:13], s38, v1, 0
	v_lshlrev_b32_e32 v6, 3, v6
	v_mad_u64_u32 v[9:10], s[12:13], s39, v1, v[9:10]
	v_lshlrev_b64 v[8:9], 3, v[8:9]
	v_add_co_u32_e32 v8, vcc, v4, v8
	v_addc_co_u32_e32 v9, vcc, v5, v9, vcc
	flat_load_dwordx2 v[8:9], v[8:9]
	s_waitcnt vmcnt(0) lgkmcnt(0)
	v_xor_b32_e32 v8, 0x80000000, v8
	v_xor_b32_e32 v9, 0x80000000, v9
	ds_write_b64 v6, v[8:9]
.LBB164_25:
	s_or_b64 exec, exec, s[10:11]
	v_add_u32_e32 v8, 16, v1
	v_add_u32_e32 v6, v8, v2
	v_lshl_add_u32 v9, v8, 6, v0
	v_cndmask_b32_e64 v6, v9, v6, s[6:7]
	v_cmp_le_u32_e32 vcc, v0, v8
	s_and_saveexec_b64 s[10:11], vcc
	s_xor_b64 s[10:11], exec, s[10:11]
	s_cbranch_execz .LBB164_29
; %bb.26:
	v_or_b32_e32 v8, v8, v0
	v_cmp_gt_u32_e32 vcc, 64, v8
	s_and_saveexec_b64 s[12:13], vcc
; %bb.27:
	v_mov_b32_e32 v8, 0
	v_lshlrev_b32_e32 v6, 3, v6
	v_mov_b32_e32 v9, v8
	ds_write_b64 v6, v[8:9]
; %bb.28:
	s_or_b64 exec, exec, s[12:13]
                                        ; implicit-def: $vgpr8
                                        ; implicit-def: $vgpr6
.LBB164_29:
	s_andn2_saveexec_b64 s[10:11], s[10:11]
	s_cbranch_execz .LBB164_31
; %bb.30:
	v_mad_u64_u32 v[9:10], s[12:13], s38, v8, 0
	v_lshlrev_b32_e32 v6, 3, v6
	v_mad_u64_u32 v[10:11], s[12:13], s39, v8, v[10:11]
	v_lshlrev_b64 v[8:9], 3, v[9:10]
	v_add_co_u32_e32 v8, vcc, v4, v8
	v_addc_co_u32_e32 v9, vcc, v5, v9, vcc
	flat_load_dwordx2 v[8:9], v[8:9]
	s_waitcnt vmcnt(0) lgkmcnt(0)
	v_xor_b32_e32 v8, 0x80000000, v8
	v_xor_b32_e32 v9, 0x80000000, v9
	ds_write_b64 v6, v[8:9]
.LBB164_31:
	s_or_b64 exec, exec, s[10:11]
	v_add_u32_e32 v8, 32, v1
	v_add_u32_e32 v6, v8, v2
	v_lshl_add_u32 v9, v8, 6, v0
	v_cndmask_b32_e64 v6, v9, v6, s[6:7]
	v_cmp_le_u32_e32 vcc, v0, v8
	s_and_saveexec_b64 s[10:11], vcc
	s_xor_b64 s[10:11], exec, s[10:11]
	s_cbranch_execz .LBB164_35
; %bb.32:
	v_or_b32_e32 v8, v8, v0
	v_cmp_gt_u32_e32 vcc, 64, v8
	s_and_saveexec_b64 s[12:13], vcc
; %bb.33:
	v_mov_b32_e32 v8, 0
	v_lshlrev_b32_e32 v6, 3, v6
	v_mov_b32_e32 v9, v8
	ds_write_b64 v6, v[8:9]
; %bb.34:
	s_or_b64 exec, exec, s[12:13]
                                        ; implicit-def: $vgpr8
                                        ; implicit-def: $vgpr6
.LBB164_35:
	s_andn2_saveexec_b64 s[10:11], s[10:11]
	s_cbranch_execz .LBB164_37
; %bb.36:
	v_mad_u64_u32 v[9:10], s[12:13], s38, v8, 0
	v_lshlrev_b32_e32 v6, 3, v6
	v_mad_u64_u32 v[10:11], s[12:13], s39, v8, v[10:11]
	v_lshlrev_b64 v[8:9], 3, v[9:10]
	v_add_co_u32_e32 v8, vcc, v4, v8
	v_addc_co_u32_e32 v9, vcc, v5, v9, vcc
	flat_load_dwordx2 v[8:9], v[8:9]
	s_waitcnt vmcnt(0) lgkmcnt(0)
	v_xor_b32_e32 v8, 0x80000000, v8
	v_xor_b32_e32 v9, 0x80000000, v9
	ds_write_b64 v6, v[8:9]
.LBB164_37:
	s_or_b64 exec, exec, s[10:11]
	v_add_u32_e32 v8, 48, v1
	v_add_u32_e32 v6, v8, v2
	v_lshl_add_u32 v9, v8, 6, v0
	v_cndmask_b32_e64 v6, v9, v6, s[6:7]
	v_cmp_le_u32_e32 vcc, v0, v8
	s_and_saveexec_b64 s[10:11], vcc
	s_xor_b64 s[10:11], exec, s[10:11]
	s_cbranch_execz .LBB164_41
; %bb.38:
	v_or_b32_e32 v4, v8, v0
	v_cmp_gt_u32_e32 vcc, 64, v4
	s_and_saveexec_b64 s[12:13], vcc
; %bb.39:
	v_mov_b32_e32 v4, 0
	v_lshlrev_b32_e32 v6, 3, v6
	v_mov_b32_e32 v5, v4
	ds_write_b64 v6, v[4:5]
; %bb.40:
	s_or_b64 exec, exec, s[12:13]
                                        ; implicit-def: $vgpr8
                                        ; implicit-def: $vgpr4
                                        ; implicit-def: $vgpr5
                                        ; implicit-def: $vgpr6
.LBB164_41:
	s_andn2_saveexec_b64 s[10:11], s[10:11]
	s_cbranch_execz .LBB164_43
; %bb.42:
	v_mad_u64_u32 v[9:10], s[12:13], s38, v8, 0
	v_lshlrev_b32_e32 v6, 3, v6
	v_mad_u64_u32 v[10:11], s[12:13], s39, v8, v[10:11]
	v_lshlrev_b64 v[8:9], 3, v[9:10]
	v_add_co_u32_e32 v4, vcc, v4, v8
	v_addc_co_u32_e32 v5, vcc, v5, v9, vcc
	flat_load_dwordx2 v[4:5], v[4:5]
	s_waitcnt vmcnt(0) lgkmcnt(0)
	v_xor_b32_e32 v4, 0x80000000, v4
	v_xor_b32_e32 v5, 0x80000000, v5
	ds_write_b64 v6, v[4:5]
.LBB164_43:
	s_or_b64 exec, exec, s[10:11]
	s_mov_b64 s[16:17], 0
.LBB164_44:
	s_xor_b64 s[14:15], s[6:7], -1
	s_and_b64 vcc, exec, s[16:17]
	s_cbranch_vccz .LBB164_70
; %bb.45:
	s_add_u32 s10, s38, 1
	s_addc_u32 s11, s39, 0
	s_lshl_b32 s12, s33, 6
	s_ashr_i32 s13, s12, 31
	s_mul_hi_u32 s16, s10, s12
	s_mul_i32 s13, s10, s13
	s_add_i32 s13, s16, s13
	s_mul_i32 s11, s11, s12
	s_add_i32 s11, s13, s11
	s_mul_i32 s10, s10, s12
	s_lshl_b64 s[10:11], s[10:11], 3
	s_add_u32 s10, s99, s10
	s_addc_u32 s11, s92, s11
	v_lshlrev_b32_e32 v4, 3, v0
	v_mov_b32_e32 v5, s11
	v_add_co_u32_e64 v4, s[10:11], s10, v4
	v_addc_co_u32_e64 v5, s[10:11], 0, v5, s[10:11]
	v_max_i32_e32 v6, v1, v0
	v_cmp_le_u32_e64 s[10:11], v0, v1
	v_cmp_le_i32_e64 s[12:13], s98, v6
	v_cmp_gt_i32_e32 vcc, s98, v0
	s_or_b64 s[10:11], s[12:13], s[10:11]
	s_and_saveexec_b64 s[12:13], s[10:11]
	s_xor_b64 s[12:13], exec, s[12:13]
	s_cbranch_execz .LBB164_49
; %bb.46:
	v_or_b32_e32 v6, v1, v0
	v_cmp_gt_u32_e64 s[10:11], 64, v6
	s_and_saveexec_b64 s[16:17], s[10:11]
; %bb.47:
	v_mov_b32_e32 v8, 0
	v_lshlrev_b32_e32 v3, 3, v3
	v_mov_b32_e32 v9, v8
	ds_write_b64 v3, v[8:9]
; %bb.48:
	s_or_b64 exec, exec, s[16:17]
                                        ; implicit-def: $vgpr3
.LBB164_49:
	s_andn2_saveexec_b64 s[12:13], s[12:13]
	s_cbranch_execz .LBB164_51
; %bb.50:
	v_mad_u64_u32 v[8:9], s[10:11], s38, v1, 0
	v_lshlrev_b32_e32 v3, 3, v3
	v_mov_b32_e32 v6, v9
	v_mad_u64_u32 v[9:10], s[10:11], s39, v1, v[6:7]
	v_lshlrev_b64 v[8:9], 3, v[8:9]
	v_add_co_u32_e64 v8, s[10:11], v4, v8
	v_addc_co_u32_e64 v9, s[10:11], v5, v9, s[10:11]
	flat_load_dwordx2 v[8:9], v[8:9]
	s_waitcnt vmcnt(0) lgkmcnt(0)
	v_xor_b32_e32 v8, 0x80000000, v8
	v_xor_b32_e32 v9, 0x80000000, v9
	ds_write_b64 v3, v[8:9]
.LBB164_51:
	s_or_b64 exec, exec, s[12:13]
	v_add_u32_e32 v6, 16, v1
	v_cmp_gt_u32_e64 s[10:11], v0, v6
	v_cmp_gt_i32_e64 s[12:13], s98, v6
	s_and_b64 s[10:11], s[10:11], s[12:13]
	v_add_u32_e32 v3, v6, v2
	v_lshl_add_u32 v8, v6, 6, v0
	s_and_b64 s[10:11], s[10:11], vcc
	v_cndmask_b32_e64 v3, v8, v3, s[6:7]
	s_xor_b64 s[10:11], s[10:11], -1
	s_and_saveexec_b64 s[12:13], s[10:11]
	s_xor_b64 s[12:13], exec, s[12:13]
	s_cbranch_execz .LBB164_55
; %bb.52:
	v_or_b32_e32 v6, v6, v0
	v_cmp_gt_u32_e64 s[10:11], 64, v6
	s_and_saveexec_b64 s[16:17], s[10:11]
; %bb.53:
	v_mov_b32_e32 v8, 0
	v_lshlrev_b32_e32 v3, 3, v3
	v_mov_b32_e32 v9, v8
	ds_write_b64 v3, v[8:9]
; %bb.54:
	s_or_b64 exec, exec, s[16:17]
                                        ; implicit-def: $vgpr6
                                        ; implicit-def: $vgpr3
.LBB164_55:
	s_andn2_saveexec_b64 s[12:13], s[12:13]
	s_cbranch_execz .LBB164_57
; %bb.56:
	v_mad_u64_u32 v[8:9], s[10:11], s38, v6, 0
	v_lshlrev_b32_e32 v3, 3, v3
	v_mad_u64_u32 v[9:10], s[10:11], s39, v6, v[9:10]
	v_lshlrev_b64 v[8:9], 3, v[8:9]
	v_add_co_u32_e64 v8, s[10:11], v4, v8
	v_addc_co_u32_e64 v9, s[10:11], v5, v9, s[10:11]
	flat_load_dwordx2 v[8:9], v[8:9]
	s_waitcnt vmcnt(0) lgkmcnt(0)
	v_xor_b32_e32 v8, 0x80000000, v8
	v_xor_b32_e32 v9, 0x80000000, v9
	ds_write_b64 v3, v[8:9]
.LBB164_57:
	s_or_b64 exec, exec, s[12:13]
	v_add_u32_e32 v6, 32, v1
	v_cmp_gt_u32_e64 s[10:11], v0, v6
	v_cmp_gt_i32_e64 s[12:13], s98, v6
	s_and_b64 s[10:11], s[10:11], s[12:13]
	v_add_u32_e32 v3, v6, v2
	v_lshl_add_u32 v8, v6, 6, v0
	s_and_b64 s[10:11], s[10:11], vcc
	v_cndmask_b32_e64 v3, v8, v3, s[6:7]
	s_xor_b64 s[10:11], s[10:11], -1
	s_and_saveexec_b64 s[12:13], s[10:11]
	s_xor_b64 s[12:13], exec, s[12:13]
	s_cbranch_execz .LBB164_61
; %bb.58:
	v_or_b32_e32 v6, v6, v0
	v_cmp_gt_u32_e64 s[10:11], 64, v6
	s_and_saveexec_b64 s[16:17], s[10:11]
; %bb.59:
	v_mov_b32_e32 v8, 0
	v_lshlrev_b32_e32 v3, 3, v3
	v_mov_b32_e32 v9, v8
	ds_write_b64 v3, v[8:9]
; %bb.60:
	s_or_b64 exec, exec, s[16:17]
                                        ; implicit-def: $vgpr6
                                        ; implicit-def: $vgpr3
.LBB164_61:
	s_andn2_saveexec_b64 s[12:13], s[12:13]
	s_cbranch_execz .LBB164_63
; %bb.62:
	v_mad_u64_u32 v[8:9], s[10:11], s38, v6, 0
	v_lshlrev_b32_e32 v3, 3, v3
	v_mad_u64_u32 v[9:10], s[10:11], s39, v6, v[9:10]
	v_lshlrev_b64 v[8:9], 3, v[8:9]
	v_add_co_u32_e64 v8, s[10:11], v4, v8
	v_addc_co_u32_e64 v9, s[10:11], v5, v9, s[10:11]
	flat_load_dwordx2 v[8:9], v[8:9]
	s_waitcnt vmcnt(0) lgkmcnt(0)
	v_xor_b32_e32 v8, 0x80000000, v8
	v_xor_b32_e32 v9, 0x80000000, v9
	ds_write_b64 v3, v[8:9]
.LBB164_63:
	s_or_b64 exec, exec, s[12:13]
	v_add_u32_e32 v3, 48, v1
	v_add_u32_e32 v2, v3, v2
	v_lshl_add_u32 v6, v3, 6, v0
	v_cndmask_b32_e64 v2, v6, v2, s[6:7]
	v_cmp_gt_u32_e64 s[6:7], v0, v3
	v_cmp_gt_i32_e64 s[10:11], s98, v3
	s_and_b64 s[6:7], s[6:7], s[10:11]
	s_and_b64 s[6:7], s[6:7], vcc
	s_xor_b64 s[6:7], s[6:7], -1
	s_and_saveexec_b64 s[10:11], s[6:7]
	s_xor_b64 s[6:7], exec, s[10:11]
	s_cbranch_execz .LBB164_67
; %bb.64:
	v_or_b32_e32 v3, v3, v0
	v_cmp_gt_u32_e32 vcc, 64, v3
	s_and_saveexec_b64 s[10:11], vcc
; %bb.65:
	v_lshlrev_b32_e32 v4, 3, v2
	v_mov_b32_e32 v2, 0
	v_mov_b32_e32 v3, v2
	ds_write_b64 v4, v[2:3]
; %bb.66:
	s_or_b64 exec, exec, s[10:11]
                                        ; implicit-def: $vgpr3
                                        ; implicit-def: $vgpr4
                                        ; implicit-def: $vgpr5
                                        ; implicit-def: $vgpr2
.LBB164_67:
	s_andn2_saveexec_b64 s[6:7], s[6:7]
	s_cbranch_execz .LBB164_69
; %bb.68:
	v_mad_u64_u32 v[8:9], s[10:11], s38, v3, 0
	v_lshlrev_b32_e32 v2, 3, v2
	v_mov_b32_e32 v6, v9
	v_mad_u64_u32 v[9:10], s[10:11], s39, v3, v[6:7]
	v_lshlrev_b64 v[8:9], 3, v[8:9]
	v_add_co_u32_e32 v3, vcc, v4, v8
	v_addc_co_u32_e32 v4, vcc, v5, v9, vcc
	flat_load_dwordx2 v[3:4], v[3:4]
	s_waitcnt vmcnt(0) lgkmcnt(0)
	v_xor_b32_e32 v3, 0x80000000, v3
	v_xor_b32_e32 v4, 0x80000000, v4
	ds_write_b64 v2, v[3:4]
.LBB164_69:
	s_or_b64 exec, exec, s[6:7]
.LBB164_70:
	v_cndmask_b32_e64 v2, 0, 1, s[14:15]
	v_cmp_ne_u32_e64 s[44:45], 1, v2
	s_andn2_b64 vcc, exec, s[14:15]
	s_waitcnt vmcnt(0) lgkmcnt(0)
	s_barrier
	s_cbranch_vccnz .LBB164_992
; %bb.71:
	v_or_b32_e32 v2, v0, v1
	s_mov_b32 s11, 0
	v_cmp_eq_u32_e32 vcc, 0, v2
	s_and_saveexec_b64 s[6:7], vcc
	s_cbranch_execz .LBB164_73
; %bb.72:
	v_mov_b32_e32 v6, 0
	ds_read_b64 v[2:3], v6 offset:8
	s_mov_b32 s10, 1.0
	v_mov_b32_e32 v4, s10
	v_mov_b32_e32 v5, s11
	ds_write_b64 v6, v[4:5] offset:520
	s_waitcnt lgkmcnt(1)
	ds_write2st64_b64 v6, v[4:5], v[2:3] offset1:1
.LBB164_73:
	s_or_b64 exec, exec, s[6:7]
	v_and_b32_e32 v8, 1, v0
	v_lshrrev_b32_e32 v6, 1, v7
	v_lshlrev_b32_e32 v2, 3, v8
	v_cmp_lt_u32_e64 s[10:11], 3, v7
	v_cmp_gt_u32_e64 s[22:23], 4, v7
	v_lshl_or_b32 v4, v6, 9, v2
	v_mov_b32_e32 v3, 0
	v_mov_b32_e32 v2, 0
	s_waitcnt lgkmcnt(0)
	s_barrier
	s_and_saveexec_b64 s[6:7], s[22:23]
	s_cbranch_execz .LBB164_77
; %bb.74:
	v_mul_u32_u24_e32 v5, 0x208, v6
	ds_read_b64 v[2:3], v4 offset:16
	ds_read_b64 v[9:10], v5
	v_cmp_gt_u32_e64 s[12:13], 2, v7
	s_waitcnt lgkmcnt(0)
	v_mul_f32_e32 v5, v10, v3
	v_mul_f32_e32 v3, v9, v3
	v_fma_f32 v5, v9, v2, -v5
	v_fmac_f32_e32 v3, v10, v2
	v_add_f32_e32 v2, 0, v5
	v_add_f32_e32 v3, 0, v3
	s_and_saveexec_b64 s[14:15], s[12:13]
	s_cbranch_execz .LBB164_76
; %bb.75:
	v_lshlrev_b32_e32 v5, 3, v0
	v_mov_b32_e32 v11, 0
	ds_read_b64 v[9:10], v5 offset:528
	ds_read_b64 v[11:12], v11 offset:8
	s_waitcnt lgkmcnt(0)
	v_mul_f32_e32 v5, v12, v10
	v_mul_f32_e32 v10, v11, v10
	v_fma_f32 v5, v11, v9, -v5
	v_fmac_f32_e32 v10, v12, v9
	v_add_f32_e32 v2, v2, v5
	v_add_f32_e32 v3, v3, v10
.LBB164_76:
	s_or_b64 exec, exec, s[14:15]
	v_xor_b32_e32 v2, 0x80000000, v2
	v_xor_b32_e32 v3, 0x80000000, v3
.LBB164_77:
                                        ; implicit-def: $vgpr34 : SGPR spill to VGPR lane
	v_writelane_b32 v34, s44, 0
	v_writelane_b32 v34, s45, 1
	s_or_b64 exec, exec, s[6:7]
	v_mov_b32_e32 v5, 0x8000
	v_cmp_eq_u32_e64 s[12:13], 0, v8
	s_xor_b64 s[6:7], s[10:11], -1
	v_lshl_add_u32 v5, v6, 3, v5
	s_and_b64 s[44:45], s[12:13], s[6:7]
	s_and_saveexec_b64 s[10:11], s[44:45]
; %bb.78:
	ds_write_b64 v5, v[2:3]
; %bb.79:
	s_or_b64 exec, exec, s[10:11]
	v_cmp_ne_u32_e64 s[10:11], 0, v8
	s_and_b64 s[42:43], s[10:11], s[6:7]
	s_waitcnt lgkmcnt(0)
	s_barrier
	s_and_saveexec_b64 s[6:7], s[42:43]
	s_cbranch_execz .LBB164_81
; %bb.80:
	v_mov_b32_e32 v8, 0
	ds_read_b64 v[8:9], v8 offset:1048
	ds_read_b64 v[10:11], v5
	s_waitcnt lgkmcnt(0)
	v_mul_f32_e32 v12, v11, v9
	v_mul_f32_e32 v9, v10, v9
	v_fma_f32 v10, v10, v8, -v12
	v_fmac_f32_e32 v9, v11, v8
	v_add_f32_e32 v2, v2, v10
	v_add_f32_e32 v3, v3, v9
.LBB164_81:
	s_or_b64 exec, exec, s[6:7]
	s_barrier
	s_and_saveexec_b64 s[6:7], s[42:43]
; %bb.82:
	ds_write_b64 v5, v[2:3]
; %bb.83:
	s_or_b64 exec, exec, s[6:7]
	s_waitcnt lgkmcnt(0)
	s_barrier
	s_barrier
	s_and_saveexec_b64 s[6:7], s[22:23]
; %bb.84:
	v_xor_b32_e32 v3, 0x80000000, v3
	v_xor_b32_e32 v2, 0x80000000, v2
	ds_write_b64 v4, v[2:3] offset:16
; %bb.85:
	s_or_b64 exec, exec, s[6:7]
	v_cmp_eq_u32_e64 s[16:17], 0, v1
	v_cmp_gt_u32_e64 s[10:11], 2, v0
	s_and_b64 s[46:47], s[16:17], s[10:11]
	s_waitcnt lgkmcnt(0)
	s_barrier
	s_barrier
	s_and_saveexec_b64 s[6:7], s[46:47]
	s_cbranch_execz .LBB164_87
; %bb.86:
	v_lshlrev_b32_e32 v8, 3, v0
	s_movk_i32 s10, 0x1f8
	v_mad_u32_u24 v9, v0, s10, v8
	ds_read_b64 v[2:3], v9 offset:16
	s_waitcnt lgkmcnt(0)
	ds_write_b64 v8, v[2:3] offset:1024
	ds_read_b64 v[2:3], v9 offset:24
	s_waitcnt lgkmcnt(0)
	ds_write_b64 v8, v[2:3] offset:1536
.LBB164_87:
	s_or_b64 exec, exec, s[6:7]
	s_waitcnt lgkmcnt(0)
	s_barrier
	s_and_saveexec_b64 s[6:7], vcc
	s_cbranch_execz .LBB164_89
; %bb.88:
	v_mov_b32_e32 v10, 0
	ds_read_b64 v[2:3], v10 offset:1048
	s_mov_b64 s[10:11], 0x3f800000
	v_mov_b32_e32 v8, s10
	v_mov_b32_e32 v9, s11
	ds_write_b64 v10, v[8:9] offset:1560
	s_waitcnt lgkmcnt(1)
	ds_write2_b64 v10, v[8:9], v[2:3] offset0:130 offset1:194
.LBB164_89:
	s_or_b64 exec, exec, s[6:7]
	v_and_b32_e32 v11, 3, v0
	v_lshrrev_b32_e32 v12, 2, v7
	v_lshlrev_b32_e32 v9, 3, v11
	v_cmp_lt_u32_e64 s[12:13], 15, v7
	v_cmp_gt_u32_e64 s[10:11], 16, v7
	v_lshl_or_b32 v8, v12, 9, v9
	v_mov_b32_e32 v3, 0
	v_mov_b32_e32 v2, 0
	s_waitcnt lgkmcnt(0)
	s_barrier
	s_and_saveexec_b64 s[6:7], s[10:11]
	s_cbranch_execz .LBB164_95
; %bb.90:
	v_mul_u32_u24_e32 v10, 0x208, v12
	ds_read_b64 v[2:3], v8 offset:32
	ds_read_b64 v[13:14], v10
	v_cmp_gt_u32_e64 s[14:15], 12, v7
	s_waitcnt lgkmcnt(0)
	v_mul_f32_e32 v15, v14, v3
	v_mul_f32_e32 v3, v13, v3
	v_fma_f32 v13, v13, v2, -v15
	v_fmac_f32_e32 v3, v14, v2
	v_add_f32_e32 v2, 0, v13
	v_add_f32_e32 v3, 0, v3
	s_and_saveexec_b64 s[18:19], s[14:15]
	s_cbranch_execnz .LBB164_1050
; %bb.91:
	s_or_b64 exec, exec, s[18:19]
	v_cmp_gt_u32_e64 s[14:15], 8, v7
	s_and_saveexec_b64 s[18:19], s[14:15]
	s_cbranch_execnz .LBB164_1051
.LBB164_92:
	s_or_b64 exec, exec, s[18:19]
	v_cmp_gt_u32_e64 s[14:15], 4, v7
	s_and_saveexec_b64 s[18:19], s[14:15]
	s_cbranch_execz .LBB164_94
.LBB164_93:
	v_lshlrev_b32_e32 v10, 3, v0
	v_mov_b32_e32 v15, 0
	ds_read_b64 v[13:14], v10 offset:1568
	ds_read_b64 v[15:16], v15 offset:24
	s_waitcnt lgkmcnt(0)
	v_mul_f32_e32 v10, v16, v14
	v_mul_f32_e32 v14, v15, v14
	v_fma_f32 v10, v15, v13, -v10
	v_fmac_f32_e32 v14, v16, v13
	v_add_f32_e32 v2, v2, v10
	v_add_f32_e32 v3, v3, v14
.LBB164_94:
	s_or_b64 exec, exec, s[18:19]
	v_xor_b32_e32 v2, 0x80000000, v2
	v_xor_b32_e32 v3, 0x80000000, v3
.LBB164_95:
	s_or_b64 exec, exec, s[6:7]
	v_mov_b32_e32 v10, 0x8000
	v_cmp_eq_u32_e64 s[14:15], 0, v11
	s_xor_b64 s[6:7], s[12:13], -1
	v_lshl_add_u32 v10, v12, 3, v10
	s_and_b64 s[50:51], s[14:15], s[6:7]
	s_and_saveexec_b64 s[12:13], s[50:51]
; %bb.96:
	ds_write_b64 v10, v[2:3]
; %bb.97:
	s_or_b64 exec, exec, s[12:13]
	v_cmp_ne_u32_e64 s[12:13], 0, v11
	s_and_b64 s[52:53], s[12:13], s[6:7]
	s_waitcnt lgkmcnt(0)
	s_barrier
	s_and_saveexec_b64 s[12:13], s[52:53]
	s_cbranch_execz .LBB164_99
; %bb.98:
	ds_read_b64 v[13:14], v9 offset:2080
	ds_read_b64 v[15:16], v10
	s_waitcnt lgkmcnt(0)
	v_mul_f32_e32 v17, v16, v14
	v_mul_f32_e32 v14, v15, v14
	v_fma_f32 v15, v15, v13, -v17
	v_fmac_f32_e32 v14, v16, v13
	v_add_f32_e32 v2, v2, v15
	v_add_f32_e32 v3, v3, v14
.LBB164_99:
	s_or_b64 exec, exec, s[12:13]
	v_cmp_eq_u32_e64 s[12:13], 1, v11
	s_and_b64 s[54:55], s[12:13], s[6:7]
	s_barrier
	s_and_saveexec_b64 s[12:13], s[54:55]
; %bb.100:
	ds_write_b64 v10, v[2:3]
; %bb.101:
	s_or_b64 exec, exec, s[12:13]
	v_cmp_lt_u32_e64 s[12:13], 1, v11
	s_and_b64 s[56:57], s[12:13], s[6:7]
	s_waitcnt lgkmcnt(0)
	s_barrier
	s_and_saveexec_b64 s[12:13], s[56:57]
	s_cbranch_execz .LBB164_103
; %bb.102:
	ds_read_b64 v[13:14], v9 offset:2592
	ds_read_b64 v[15:16], v10
	s_waitcnt lgkmcnt(0)
	v_mul_f32_e32 v17, v16, v14
	v_mul_f32_e32 v14, v15, v14
	v_fma_f32 v15, v15, v13, -v17
	v_fmac_f32_e32 v14, v16, v13
	v_add_f32_e32 v2, v2, v15
	v_add_f32_e32 v3, v3, v14
.LBB164_103:
	s_or_b64 exec, exec, s[12:13]
	v_cmp_eq_u32_e64 s[12:13], 2, v11
	s_and_b64 s[58:59], s[12:13], s[6:7]
	s_barrier
	s_and_saveexec_b64 s[12:13], s[58:59]
; %bb.104:
	ds_write_b64 v10, v[2:3]
; %bb.105:
	s_or_b64 exec, exec, s[12:13]
	v_cmp_eq_u32_e64 s[12:13], 3, v11
	s_and_b64 s[48:49], s[12:13], s[6:7]
	s_waitcnt lgkmcnt(0)
	s_barrier
	s_and_saveexec_b64 s[6:7], s[48:49]
	s_cbranch_execz .LBB164_107
; %bb.106:
	v_mov_b32_e32 v13, 0
	ds_read_b64 v[13:14], v13 offset:3128
	ds_read_b64 v[15:16], v10
	s_waitcnt lgkmcnt(0)
	v_mul_f32_e32 v17, v16, v14
	v_mul_f32_e32 v14, v15, v14
	v_fma_f32 v15, v15, v13, -v17
	v_fmac_f32_e32 v14, v16, v13
	v_add_f32_e32 v2, v2, v15
	v_add_f32_e32 v3, v3, v14
.LBB164_107:
	s_or_b64 exec, exec, s[6:7]
	s_barrier
	s_and_saveexec_b64 s[6:7], s[48:49]
; %bb.108:
	ds_write_b64 v10, v[2:3]
; %bb.109:
	s_or_b64 exec, exec, s[6:7]
	s_waitcnt lgkmcnt(0)
	s_barrier
	s_barrier
	s_and_saveexec_b64 s[6:7], s[10:11]
; %bb.110:
	v_xor_b32_e32 v2, 0x80000000, v2
	v_xor_b32_e32 v3, 0x80000000, v3
	ds_write_b64 v8, v[2:3] offset:32
; %bb.111:
	s_or_b64 exec, exec, s[6:7]
	v_cmp_gt_u32_e64 s[12:13], 4, v0
	s_and_b64 s[60:61], s[16:17], s[12:13]
	s_waitcnt lgkmcnt(0)
	s_barrier
	s_barrier
	s_and_saveexec_b64 s[6:7], s[60:61]
	s_cbranch_execz .LBB164_113
; %bb.112:
	v_lshlrev_b32_e32 v13, 9, v0
	ds_read_b64 v[2:3], v13 offset:32
	s_movk_i32 s12, 0xfe08
	v_mad_i32_i24 v14, v0, s12, v13
	s_waitcnt lgkmcnt(0)
	ds_write_b64 v14, v[2:3] offset:2048
	ds_read_b64 v[2:3], v13 offset:40
	s_waitcnt lgkmcnt(0)
	ds_write_b64 v14, v[2:3] offset:2560
	ds_read_b64 v[2:3], v13 offset:48
	;; [unrolled: 3-line block ×3, first 2 shown]
	s_waitcnt lgkmcnt(0)
	ds_write_b64 v14, v[2:3] offset:3584
.LBB164_113:
	s_or_b64 exec, exec, s[6:7]
	s_waitcnt lgkmcnt(0)
	s_barrier
	s_and_saveexec_b64 s[6:7], vcc
	s_cbranch_execz .LBB164_115
; %bb.114:
	v_mov_b32_e32 v15, 0
	ds_read_b64 v[2:3], v15 offset:2088
	s_mov_b64 s[12:13], 0x3f800000
	v_mov_b32_e32 v14, s13
	v_mov_b32_e32 v13, s12
	ds_write_b64 v15, v[13:14] offset:2600
	v_add_u32_e64 v15, 32, 0
	s_waitcnt lgkmcnt(1)
	ds_write2st64_b64 v15, v[13:14], v[2:3] offset0:4 offset1:5
.LBB164_115:
	s_or_b64 exec, exec, s[6:7]
	v_mov_b32_e32 v3, 0
	v_mov_b32_e32 v2, 0
	s_waitcnt lgkmcnt(0)
	s_barrier
	s_and_saveexec_b64 s[6:7], s[22:23]
	s_cbranch_execz .LBB164_119
; %bb.116:
	v_mul_u32_u24_e32 v13, 0x208, v6
	ds_read_b64 v[2:3], v4 offset:2096
	ds_read_b64 v[13:14], v13 offset:2080
	v_cmp_gt_u32_e64 s[12:13], 2, v7
	s_waitcnt lgkmcnt(0)
	v_mul_f32_e32 v15, v14, v3
	v_mul_f32_e32 v3, v13, v3
	v_fma_f32 v13, v13, v2, -v15
	v_fmac_f32_e32 v3, v14, v2
	v_add_f32_e32 v2, 0, v13
	v_add_f32_e32 v3, 0, v3
	s_and_saveexec_b64 s[14:15], s[12:13]
	s_cbranch_execz .LBB164_118
; %bb.117:
	v_lshlrev_b32_e32 v13, 3, v0
	v_mov_b32_e32 v15, 0
	ds_read_b64 v[13:14], v13 offset:2608
	ds_read_b64 v[15:16], v15 offset:2088
	s_waitcnt lgkmcnt(0)
	v_mul_f32_e32 v17, v16, v14
	v_mul_f32_e32 v14, v15, v14
	v_fma_f32 v15, v15, v13, -v17
	v_fmac_f32_e32 v14, v16, v13
	v_add_f32_e32 v2, v2, v15
	v_add_f32_e32 v3, v3, v14
.LBB164_118:
	s_or_b64 exec, exec, s[14:15]
	v_xor_b32_e32 v2, 0x80000000, v2
	v_xor_b32_e32 v3, 0x80000000, v3
.LBB164_119:
	s_or_b64 exec, exec, s[6:7]
	s_and_saveexec_b64 s[6:7], s[44:45]
; %bb.120:
	ds_write_b64 v5, v[2:3]
; %bb.121:
	s_or_b64 exec, exec, s[6:7]
	s_waitcnt lgkmcnt(0)
	s_barrier
	s_and_saveexec_b64 s[6:7], s[42:43]
	s_cbranch_execz .LBB164_123
; %bb.122:
	v_mov_b32_e32 v13, 0
	ds_read_b64 v[13:14], v13 offset:3128
	ds_read_b64 v[15:16], v5
	s_waitcnt lgkmcnt(0)
	v_mul_f32_e32 v17, v16, v14
	v_mul_f32_e32 v14, v15, v14
	v_fma_f32 v15, v15, v13, -v17
	v_fmac_f32_e32 v14, v16, v13
	v_add_f32_e32 v2, v2, v15
	v_add_f32_e32 v3, v3, v14
.LBB164_123:
	s_or_b64 exec, exec, s[6:7]
	s_barrier
	s_and_saveexec_b64 s[6:7], s[42:43]
; %bb.124:
	ds_write_b64 v5, v[2:3]
; %bb.125:
	s_or_b64 exec, exec, s[6:7]
	s_waitcnt lgkmcnt(0)
	s_barrier
	s_barrier
	s_and_saveexec_b64 s[6:7], s[22:23]
; %bb.126:
	v_xor_b32_e32 v3, 0x80000000, v3
	v_xor_b32_e32 v2, 0x80000000, v2
	ds_write_b64 v4, v[2:3] offset:2096
; %bb.127:
	s_or_b64 exec, exec, s[6:7]
	s_waitcnt lgkmcnt(0)
	s_barrier
	s_barrier
	s_and_saveexec_b64 s[6:7], s[46:47]
	s_cbranch_execz .LBB164_129
; %bb.128:
	v_lshlrev_b32_e32 v13, 3, v0
	s_movk_i32 s12, 0x1f8
	v_mad_u32_u24 v14, v0, s12, v13
	ds_read_b64 v[2:3], v14 offset:2096
	s_waitcnt lgkmcnt(0)
	ds_write_b64 v13, v[2:3] offset:3104
	ds_read_b64 v[2:3], v14 offset:2104
	s_waitcnt lgkmcnt(0)
	ds_write_b64 v13, v[2:3] offset:3616
.LBB164_129:
	s_or_b64 exec, exec, s[6:7]
	s_waitcnt lgkmcnt(0)
	s_barrier
	s_and_saveexec_b64 s[6:7], vcc
	s_cbranch_execz .LBB164_131
; %bb.130:
	v_mov_b32_e32 v15, 0
	ds_read_b64 v[2:3], v15 offset:3128
	s_mov_b64 s[12:13], 0x3f800000
	v_mov_b32_e32 v14, s13
	v_mov_b32_e32 v13, s12
	ds_write_b64 v15, v[13:14] offset:3640
	v_add_u32_e64 v15, 48, 0
	s_waitcnt lgkmcnt(1)
	ds_write2st64_b64 v15, v[13:14], v[2:3] offset0:6 offset1:7
.LBB164_131:
	s_or_b64 exec, exec, s[6:7]
	v_and_b32_e32 v16, 7, v0
	v_lshrrev_b32_e32 v17, 3, v7
	v_lshlrev_b32_e32 v14, 3, v16
	v_cmp_lt_u32_e64 s[14:15], 63, v7
	v_cmp_gt_u32_e64 s[12:13], 64, v7
	v_lshl_or_b32 v13, v17, 9, v14
	v_mov_b32_e32 v3, 0
	v_mov_b32_e32 v2, 0
	s_waitcnt lgkmcnt(0)
	s_barrier
	s_and_saveexec_b64 s[6:7], s[12:13]
	s_cbranch_execz .LBB164_141
; %bb.132:
	v_mul_u32_u24_e32 v15, 0x208, v17
	ds_read_b64 v[2:3], v13 offset:64
	ds_read_b64 v[18:19], v15
	v_cmp_gt_u32_e64 s[18:19], 56, v7
	s_waitcnt lgkmcnt(0)
	v_mul_f32_e32 v20, v19, v3
	v_mul_f32_e32 v3, v18, v3
	v_fma_f32 v18, v18, v2, -v20
	v_fmac_f32_e32 v3, v19, v2
	v_add_f32_e32 v2, 0, v18
	v_add_f32_e32 v3, 0, v3
	s_and_saveexec_b64 s[20:21], s[18:19]
	s_cbranch_execnz .LBB164_1052
; %bb.133:
	s_or_b64 exec, exec, s[20:21]
	v_cmp_gt_u32_e64 s[18:19], 48, v7
	s_and_saveexec_b64 s[20:21], s[18:19]
	s_cbranch_execnz .LBB164_1053
.LBB164_134:
	s_or_b64 exec, exec, s[20:21]
	v_cmp_gt_u32_e64 s[18:19], 40, v7
	s_and_saveexec_b64 s[20:21], s[18:19]
	s_cbranch_execnz .LBB164_1054
.LBB164_135:
	s_or_b64 exec, exec, s[20:21]
	v_cmp_gt_u32_e64 s[18:19], 32, v7
	s_and_saveexec_b64 s[20:21], s[18:19]
	s_cbranch_execnz .LBB164_1055
.LBB164_136:
	s_or_b64 exec, exec, s[20:21]
	v_cmp_gt_u32_e64 s[18:19], 24, v7
	s_and_saveexec_b64 s[20:21], s[18:19]
	s_cbranch_execnz .LBB164_1056
.LBB164_137:
	s_or_b64 exec, exec, s[20:21]
	v_cmp_gt_u32_e64 s[18:19], 16, v7
	s_and_saveexec_b64 s[20:21], s[18:19]
	s_cbranch_execnz .LBB164_1057
.LBB164_138:
	s_or_b64 exec, exec, s[20:21]
	v_cmp_gt_u32_e64 s[18:19], 8, v7
	s_and_saveexec_b64 s[20:21], s[18:19]
	s_cbranch_execz .LBB164_140
.LBB164_139:
	v_lshlrev_b32_e32 v15, 3, v0
	v_mov_b32_e32 v20, 0
	ds_read_b64 v[18:19], v15 offset:3648
	ds_read_b64 v[20:21], v20 offset:56
	s_waitcnt lgkmcnt(0)
	v_mul_f32_e32 v15, v21, v19
	v_mul_f32_e32 v19, v20, v19
	v_fma_f32 v15, v20, v18, -v15
	v_fmac_f32_e32 v19, v21, v18
	v_add_f32_e32 v2, v2, v15
	v_add_f32_e32 v3, v3, v19
.LBB164_140:
	s_or_b64 exec, exec, s[20:21]
	v_xor_b32_e32 v2, 0x80000000, v2
	v_xor_b32_e32 v3, 0x80000000, v3
.LBB164_141:
	s_or_b64 exec, exec, s[6:7]
	v_mov_b32_e32 v15, 0x8000
	v_cmp_eq_u32_e64 s[18:19], 0, v16
	s_xor_b64 s[6:7], s[14:15], -1
	v_lshl_add_u32 v15, v17, 3, v15
	s_and_b64 s[64:65], s[18:19], s[6:7]
	s_and_saveexec_b64 s[14:15], s[64:65]
; %bb.142:
	ds_write_b64 v15, v[2:3]
; %bb.143:
	s_or_b64 exec, exec, s[14:15]
	v_cmp_ne_u32_e64 s[14:15], 0, v16
	s_and_b64 s[66:67], s[14:15], s[6:7]
	s_waitcnt lgkmcnt(0)
	s_barrier
	s_and_saveexec_b64 s[14:15], s[66:67]
	s_cbranch_execz .LBB164_145
; %bb.144:
	ds_read_b64 v[18:19], v14 offset:4160
	ds_read_b64 v[20:21], v15
	s_waitcnt lgkmcnt(0)
	v_mul_f32_e32 v22, v21, v19
	v_mul_f32_e32 v19, v20, v19
	v_fma_f32 v20, v20, v18, -v22
	v_fmac_f32_e32 v19, v21, v18
	v_add_f32_e32 v2, v2, v20
	v_add_f32_e32 v3, v3, v19
.LBB164_145:
	s_or_b64 exec, exec, s[14:15]
	v_cmp_eq_u32_e64 s[14:15], 1, v16
	s_and_b64 s[68:69], s[14:15], s[6:7]
	s_barrier
	s_and_saveexec_b64 s[14:15], s[68:69]
; %bb.146:
	ds_write_b64 v15, v[2:3]
; %bb.147:
	s_or_b64 exec, exec, s[14:15]
	v_cmp_lt_u32_e64 s[14:15], 1, v16
	s_and_b64 s[70:71], s[14:15], s[6:7]
	s_waitcnt lgkmcnt(0)
	s_barrier
	s_and_saveexec_b64 s[14:15], s[70:71]
	s_cbranch_execz .LBB164_149
; %bb.148:
	ds_read_b64 v[18:19], v14 offset:4672
	ds_read_b64 v[20:21], v15
	s_waitcnt lgkmcnt(0)
	v_mul_f32_e32 v22, v21, v19
	v_mul_f32_e32 v19, v20, v19
	v_fma_f32 v20, v20, v18, -v22
	v_fmac_f32_e32 v19, v21, v18
	v_add_f32_e32 v2, v2, v20
	v_add_f32_e32 v3, v3, v19
.LBB164_149:
	s_or_b64 exec, exec, s[14:15]
	v_cmp_eq_u32_e64 s[14:15], 2, v16
	s_and_b64 s[72:73], s[14:15], s[6:7]
	s_barrier
	s_and_saveexec_b64 s[14:15], s[72:73]
; %bb.150:
	ds_write_b64 v15, v[2:3]
; %bb.151:
	s_or_b64 exec, exec, s[14:15]
	v_cmp_lt_u32_e64 s[14:15], 2, v16
	;; [unrolled: 26-line block ×5, first 2 shown]
	s_and_b64 s[86:87], s[14:15], s[6:7]
	s_waitcnt lgkmcnt(0)
	s_barrier
	s_and_saveexec_b64 s[14:15], s[86:87]
	s_cbranch_execz .LBB164_165
; %bb.164:
	ds_read_b64 v[18:19], v14 offset:6720
	ds_read_b64 v[20:21], v15
	s_waitcnt lgkmcnt(0)
	v_mul_f32_e32 v22, v21, v19
	v_mul_f32_e32 v19, v20, v19
	v_fma_f32 v20, v20, v18, -v22
	v_fmac_f32_e32 v19, v21, v18
	v_add_f32_e32 v2, v2, v20
	v_add_f32_e32 v3, v3, v19
.LBB164_165:
	s_or_b64 exec, exec, s[14:15]
	v_cmp_eq_u32_e64 s[14:15], 6, v16
	s_and_b64 s[88:89], s[14:15], s[6:7]
	s_barrier
	s_and_saveexec_b64 s[14:15], s[88:89]
; %bb.166:
	ds_write_b64 v15, v[2:3]
; %bb.167:
	s_or_b64 exec, exec, s[14:15]
	v_cmp_eq_u32_e64 s[14:15], 7, v16
	s_and_b64 s[62:63], s[14:15], s[6:7]
	s_waitcnt lgkmcnt(0)
	s_barrier
	s_and_saveexec_b64 s[6:7], s[62:63]
	s_cbranch_execz .LBB164_169
; %bb.168:
	v_mov_b32_e32 v18, 0
	ds_read_b64 v[18:19], v18 offset:7288
	ds_read_b64 v[20:21], v15
	s_waitcnt lgkmcnt(0)
	v_mul_f32_e32 v22, v21, v19
	v_mul_f32_e32 v19, v20, v19
	v_fma_f32 v20, v20, v18, -v22
	v_fmac_f32_e32 v19, v21, v18
	v_add_f32_e32 v2, v2, v20
	v_add_f32_e32 v3, v3, v19
.LBB164_169:
	s_or_b64 exec, exec, s[6:7]
	s_barrier
	s_and_saveexec_b64 s[6:7], s[62:63]
; %bb.170:
	ds_write_b64 v15, v[2:3]
; %bb.171:
	s_or_b64 exec, exec, s[6:7]
	s_waitcnt lgkmcnt(0)
	s_barrier
	s_barrier
	s_and_saveexec_b64 s[6:7], s[12:13]
; %bb.172:
	v_xor_b32_e32 v3, 0x80000000, v3
	v_xor_b32_e32 v2, 0x80000000, v2
	ds_write_b64 v13, v[2:3] offset:64
; %bb.173:
	s_or_b64 exec, exec, s[6:7]
	v_cmp_gt_u32_e64 s[14:15], 8, v0
	s_and_b64 s[90:91], s[16:17], s[14:15]
	s_waitcnt lgkmcnt(0)
	s_barrier
	s_barrier
	s_and_saveexec_b64 s[6:7], s[90:91]
	s_cbranch_execz .LBB164_175
; %bb.174:
	v_lshlrev_b32_e32 v18, 9, v0
	ds_read_b64 v[2:3], v18 offset:64
	s_movk_i32 s14, 0xfe08
	v_mad_i32_i24 v19, v0, s14, v18
	s_waitcnt lgkmcnt(0)
	ds_write_b64 v19, v[2:3] offset:4096
	ds_read_b64 v[2:3], v18 offset:72
	s_waitcnt lgkmcnt(0)
	ds_write_b64 v19, v[2:3] offset:4608
	ds_read_b64 v[2:3], v18 offset:80
	s_waitcnt lgkmcnt(0)
	ds_write_b64 v19, v[2:3] offset:5120
	ds_read_b64 v[2:3], v18 offset:88
	s_waitcnt lgkmcnt(0)
	ds_write_b64 v19, v[2:3] offset:5632
	ds_read_b64 v[2:3], v18 offset:96
	s_waitcnt lgkmcnt(0)
	ds_write_b64 v19, v[2:3] offset:6144
	ds_read_b64 v[2:3], v18 offset:104
	s_waitcnt lgkmcnt(0)
	ds_write_b64 v19, v[2:3] offset:6656
	ds_read_b64 v[2:3], v18 offset:112
	s_waitcnt lgkmcnt(0)
	ds_write_b64 v19, v[2:3] offset:7168
	ds_read_b64 v[2:3], v18 offset:120
	s_waitcnt lgkmcnt(0)
	ds_write_b64 v19, v[2:3] offset:7680
.LBB164_175:
	s_or_b64 exec, exec, s[6:7]
	s_waitcnt lgkmcnt(0)
	s_barrier
	s_and_saveexec_b64 s[6:7], vcc
	s_cbranch_execz .LBB164_177
; %bb.176:
	v_mov_b32_e32 v20, 0
	ds_read_b64 v[2:3], v20 offset:4168
	s_mov_b64 s[14:15], 0x3f800000
	v_mov_b32_e32 v19, s15
	v_mov_b32_e32 v18, s14
	ds_write_b64 v20, v[18:19] offset:4680
	v_add_u32_e64 v20, 64, 0
	s_waitcnt lgkmcnt(1)
	ds_write2st64_b64 v20, v[18:19], v[2:3] offset0:8 offset1:9
.LBB164_177:
	s_or_b64 exec, exec, s[6:7]
	v_mov_b32_e32 v3, 0
	v_mov_b32_e32 v2, 0
	s_waitcnt lgkmcnt(0)
	s_barrier
	s_and_saveexec_b64 s[6:7], s[22:23]
	s_cbranch_execz .LBB164_181
; %bb.178:
	v_mul_u32_u24_e32 v18, 0x208, v6
	ds_read_b64 v[2:3], v4 offset:4176
	ds_read_b64 v[18:19], v18 offset:4160
	v_cmp_gt_u32_e64 s[14:15], 2, v7
	s_waitcnt lgkmcnt(0)
	v_mul_f32_e32 v20, v19, v3
	v_mul_f32_e32 v3, v18, v3
	v_fma_f32 v18, v18, v2, -v20
	v_fmac_f32_e32 v3, v19, v2
	v_add_f32_e32 v2, 0, v18
	v_add_f32_e32 v3, 0, v3
	s_and_saveexec_b64 s[18:19], s[14:15]
	s_cbranch_execz .LBB164_180
; %bb.179:
	v_lshlrev_b32_e32 v18, 3, v0
	v_mov_b32_e32 v20, 0
	ds_read_b64 v[18:19], v18 offset:4688
	ds_read_b64 v[20:21], v20 offset:4168
	s_waitcnt lgkmcnt(0)
	v_mul_f32_e32 v22, v21, v19
	v_mul_f32_e32 v19, v20, v19
	v_fma_f32 v20, v20, v18, -v22
	v_fmac_f32_e32 v19, v21, v18
	v_add_f32_e32 v2, v2, v20
	v_add_f32_e32 v3, v3, v19
.LBB164_180:
	s_or_b64 exec, exec, s[18:19]
	v_xor_b32_e32 v2, 0x80000000, v2
	v_xor_b32_e32 v3, 0x80000000, v3
.LBB164_181:
	s_or_b64 exec, exec, s[6:7]
	s_and_saveexec_b64 s[6:7], s[44:45]
; %bb.182:
	ds_write_b64 v5, v[2:3]
; %bb.183:
	s_or_b64 exec, exec, s[6:7]
	s_waitcnt lgkmcnt(0)
	s_barrier
	s_and_saveexec_b64 s[6:7], s[42:43]
	s_cbranch_execz .LBB164_185
; %bb.184:
	v_mov_b32_e32 v18, 0
	ds_read_b64 v[18:19], v18 offset:5208
	ds_read_b64 v[20:21], v5
	s_waitcnt lgkmcnt(0)
	v_mul_f32_e32 v22, v21, v19
	v_mul_f32_e32 v19, v20, v19
	v_fma_f32 v20, v20, v18, -v22
	v_fmac_f32_e32 v19, v21, v18
	v_add_f32_e32 v2, v2, v20
	v_add_f32_e32 v3, v3, v19
.LBB164_185:
	s_or_b64 exec, exec, s[6:7]
	s_barrier
	s_and_saveexec_b64 s[6:7], s[42:43]
; %bb.186:
	ds_write_b64 v5, v[2:3]
; %bb.187:
	s_or_b64 exec, exec, s[6:7]
	s_waitcnt lgkmcnt(0)
	s_barrier
	s_barrier
	s_and_saveexec_b64 s[6:7], s[22:23]
; %bb.188:
	v_xor_b32_e32 v3, 0x80000000, v3
	v_xor_b32_e32 v2, 0x80000000, v2
	ds_write_b64 v4, v[2:3] offset:4176
; %bb.189:
	s_or_b64 exec, exec, s[6:7]
	s_waitcnt lgkmcnt(0)
	s_barrier
	s_barrier
	s_and_saveexec_b64 s[6:7], s[46:47]
	s_cbranch_execz .LBB164_191
; %bb.190:
	v_lshlrev_b32_e32 v18, 3, v0
	s_movk_i32 s14, 0x1f8
	v_mad_u32_u24 v19, v0, s14, v18
	ds_read_b64 v[2:3], v19 offset:4176
	s_waitcnt lgkmcnt(0)
	ds_write_b64 v18, v[2:3] offset:5184
	ds_read_b64 v[2:3], v19 offset:4184
	s_waitcnt lgkmcnt(0)
	ds_write_b64 v18, v[2:3] offset:5696
.LBB164_191:
	s_or_b64 exec, exec, s[6:7]
	s_waitcnt lgkmcnt(0)
	s_barrier
	s_and_saveexec_b64 s[6:7], vcc
	s_cbranch_execz .LBB164_193
; %bb.192:
	v_mov_b32_e32 v20, 0
	ds_read_b64 v[2:3], v20 offset:5208
	s_mov_b64 s[14:15], 0x3f800000
	v_mov_b32_e32 v19, s15
	v_mov_b32_e32 v18, s14
	s_movk_i32 s14, 0x50
	ds_write_b64 v20, v[18:19] offset:5720
	v_add_u32_e64 v20, s14, 0
	s_waitcnt lgkmcnt(1)
	ds_write2st64_b64 v20, v[18:19], v[2:3] offset0:10 offset1:11
.LBB164_193:
	s_or_b64 exec, exec, s[6:7]
	v_mov_b32_e32 v3, 0
	v_mov_b32_e32 v2, 0
	s_waitcnt lgkmcnt(0)
	s_barrier
	s_and_saveexec_b64 s[6:7], s[10:11]
	s_cbranch_execz .LBB164_199
; %bb.194:
	v_mul_u32_u24_e32 v18, 0x208, v12
	ds_read_b64 v[2:3], v8 offset:4192
	ds_read_b64 v[19:20], v18 offset:4160
	v_cmp_gt_u32_e64 s[14:15], 12, v7
	s_waitcnt lgkmcnt(0)
	v_mul_f32_e32 v21, v20, v3
	v_mul_f32_e32 v3, v19, v3
	v_fma_f32 v19, v19, v2, -v21
	v_fmac_f32_e32 v3, v20, v2
	v_add_f32_e32 v2, 0, v19
	v_add_f32_e32 v3, 0, v3
	s_and_saveexec_b64 s[18:19], s[14:15]
	s_cbranch_execnz .LBB164_1058
; %bb.195:
	s_or_b64 exec, exec, s[18:19]
	v_cmp_gt_u32_e64 s[14:15], 8, v7
	s_and_saveexec_b64 s[18:19], s[14:15]
	s_cbranch_execnz .LBB164_1059
.LBB164_196:
	s_or_b64 exec, exec, s[18:19]
	v_cmp_gt_u32_e64 s[14:15], 4, v7
	s_and_saveexec_b64 s[18:19], s[14:15]
	s_cbranch_execz .LBB164_198
.LBB164_197:
	v_lshlrev_b32_e32 v18, 3, v0
	v_mov_b32_e32 v20, 0
	ds_read_b64 v[18:19], v18 offset:5728
	ds_read_b64 v[20:21], v20 offset:4184
	s_waitcnt lgkmcnt(0)
	v_mul_f32_e32 v22, v21, v19
	v_mul_f32_e32 v19, v20, v19
	v_fma_f32 v20, v20, v18, -v22
	v_fmac_f32_e32 v19, v21, v18
	v_add_f32_e32 v2, v2, v20
	v_add_f32_e32 v3, v3, v19
.LBB164_198:
	s_or_b64 exec, exec, s[18:19]
	v_xor_b32_e32 v2, 0x80000000, v2
	v_xor_b32_e32 v3, 0x80000000, v3
.LBB164_199:
	s_or_b64 exec, exec, s[6:7]
	s_and_saveexec_b64 s[6:7], s[50:51]
; %bb.200:
	ds_write_b64 v10, v[2:3]
; %bb.201:
	s_or_b64 exec, exec, s[6:7]
	s_waitcnt lgkmcnt(0)
	s_barrier
	s_and_saveexec_b64 s[6:7], s[52:53]
	s_cbranch_execz .LBB164_203
; %bb.202:
	ds_read_b64 v[18:19], v9 offset:6240
	ds_read_b64 v[20:21], v10
	s_waitcnt lgkmcnt(0)
	v_mul_f32_e32 v22, v21, v19
	v_mul_f32_e32 v19, v20, v19
	v_fma_f32 v20, v20, v18, -v22
	v_fmac_f32_e32 v19, v21, v18
	v_add_f32_e32 v2, v2, v20
	v_add_f32_e32 v3, v3, v19
.LBB164_203:
	s_or_b64 exec, exec, s[6:7]
	s_barrier
	s_and_saveexec_b64 s[6:7], s[54:55]
; %bb.204:
	ds_write_b64 v10, v[2:3]
; %bb.205:
	s_or_b64 exec, exec, s[6:7]
	s_waitcnt lgkmcnt(0)
	s_barrier
	s_and_saveexec_b64 s[6:7], s[56:57]
	s_cbranch_execz .LBB164_207
; %bb.206:
	ds_read_b64 v[18:19], v9 offset:6752
	ds_read_b64 v[20:21], v10
	s_waitcnt lgkmcnt(0)
	v_mul_f32_e32 v22, v21, v19
	v_mul_f32_e32 v19, v20, v19
	v_fma_f32 v20, v20, v18, -v22
	v_fmac_f32_e32 v19, v21, v18
	v_add_f32_e32 v2, v2, v20
	v_add_f32_e32 v3, v3, v19
.LBB164_207:
	s_or_b64 exec, exec, s[6:7]
	s_barrier
	s_and_saveexec_b64 s[6:7], s[58:59]
; %bb.208:
	ds_write_b64 v10, v[2:3]
; %bb.209:
	s_or_b64 exec, exec, s[6:7]
	s_waitcnt lgkmcnt(0)
	s_barrier
	s_and_saveexec_b64 s[6:7], s[48:49]
	s_cbranch_execz .LBB164_211
; %bb.210:
	v_mov_b32_e32 v18, 0
	ds_read_b64 v[18:19], v18 offset:7288
	ds_read_b64 v[20:21], v10
	s_waitcnt lgkmcnt(0)
	v_mul_f32_e32 v22, v21, v19
	v_mul_f32_e32 v19, v20, v19
	v_fma_f32 v20, v20, v18, -v22
	v_fmac_f32_e32 v19, v21, v18
	v_add_f32_e32 v2, v2, v20
	v_add_f32_e32 v3, v3, v19
.LBB164_211:
	s_or_b64 exec, exec, s[6:7]
	s_barrier
	s_and_saveexec_b64 s[6:7], s[48:49]
; %bb.212:
	ds_write_b64 v10, v[2:3]
; %bb.213:
	s_or_b64 exec, exec, s[6:7]
	s_waitcnt lgkmcnt(0)
	s_barrier
	s_barrier
	s_and_saveexec_b64 s[6:7], s[10:11]
; %bb.214:
	v_xor_b32_e32 v2, 0x80000000, v2
	v_xor_b32_e32 v3, 0x80000000, v3
	ds_write_b64 v8, v[2:3] offset:4192
; %bb.215:
	s_or_b64 exec, exec, s[6:7]
	s_waitcnt lgkmcnt(0)
	s_barrier
	s_barrier
	s_and_saveexec_b64 s[6:7], s[60:61]
	s_cbranch_execz .LBB164_217
; %bb.216:
	v_lshlrev_b32_e32 v18, 9, v0
	ds_read_b64 v[2:3], v18 offset:4192
	s_movk_i32 s14, 0xfe08
	v_mad_i32_i24 v19, v0, s14, v18
	s_waitcnt lgkmcnt(0)
	ds_write_b64 v19, v[2:3] offset:6208
	ds_read_b64 v[2:3], v18 offset:4200
	s_waitcnt lgkmcnt(0)
	ds_write_b64 v19, v[2:3] offset:6720
	ds_read_b64 v[2:3], v18 offset:4208
	;; [unrolled: 3-line block ×3, first 2 shown]
	s_waitcnt lgkmcnt(0)
	ds_write_b64 v19, v[2:3] offset:7744
.LBB164_217:
	s_or_b64 exec, exec, s[6:7]
	s_waitcnt lgkmcnt(0)
	s_barrier
	s_and_saveexec_b64 s[6:7], vcc
	s_cbranch_execz .LBB164_219
; %bb.218:
	v_mov_b32_e32 v20, 0
	ds_read_b64 v[2:3], v20 offset:6248
	s_mov_b64 s[14:15], 0x3f800000
	v_mov_b32_e32 v19, s15
	v_mov_b32_e32 v18, s14
	s_movk_i32 s14, 0x60
	ds_write_b64 v20, v[18:19] offset:6760
	v_add_u32_e64 v20, s14, 0
	s_waitcnt lgkmcnt(1)
	ds_write2st64_b64 v20, v[18:19], v[2:3] offset0:12 offset1:13
.LBB164_219:
	s_or_b64 exec, exec, s[6:7]
	v_mov_b32_e32 v3, 0
	v_mov_b32_e32 v2, 0
	s_waitcnt lgkmcnt(0)
	s_barrier
	s_and_saveexec_b64 s[6:7], s[22:23]
	s_cbranch_execz .LBB164_223
; %bb.220:
	v_mul_u32_u24_e32 v18, 0x208, v6
	ds_read_b64 v[2:3], v4 offset:6256
	ds_read_b64 v[18:19], v18 offset:6240
	v_cmp_gt_u32_e64 s[14:15], 2, v7
	s_waitcnt lgkmcnt(0)
	v_mul_f32_e32 v20, v19, v3
	v_mul_f32_e32 v3, v18, v3
	v_fma_f32 v18, v18, v2, -v20
	v_fmac_f32_e32 v3, v19, v2
	v_add_f32_e32 v2, 0, v18
	v_add_f32_e32 v3, 0, v3
	s_and_saveexec_b64 s[18:19], s[14:15]
	s_cbranch_execz .LBB164_222
; %bb.221:
	v_lshlrev_b32_e32 v18, 3, v0
	v_mov_b32_e32 v20, 0
	ds_read_b64 v[18:19], v18 offset:6768
	ds_read_b64 v[20:21], v20 offset:6248
	s_waitcnt lgkmcnt(0)
	v_mul_f32_e32 v22, v21, v19
	v_mul_f32_e32 v19, v20, v19
	v_fma_f32 v20, v20, v18, -v22
	v_fmac_f32_e32 v19, v21, v18
	v_add_f32_e32 v2, v2, v20
	v_add_f32_e32 v3, v3, v19
.LBB164_222:
	s_or_b64 exec, exec, s[18:19]
	v_xor_b32_e32 v2, 0x80000000, v2
	v_xor_b32_e32 v3, 0x80000000, v3
.LBB164_223:
	s_or_b64 exec, exec, s[6:7]
	s_and_saveexec_b64 s[6:7], s[44:45]
; %bb.224:
	ds_write_b64 v5, v[2:3]
; %bb.225:
	s_or_b64 exec, exec, s[6:7]
	s_waitcnt lgkmcnt(0)
	s_barrier
	s_and_saveexec_b64 s[6:7], s[42:43]
	s_cbranch_execz .LBB164_227
; %bb.226:
	v_mov_b32_e32 v18, 0
	ds_read_b64 v[18:19], v18 offset:7288
	ds_read_b64 v[20:21], v5
	s_waitcnt lgkmcnt(0)
	v_mul_f32_e32 v22, v21, v19
	v_mul_f32_e32 v19, v20, v19
	v_fma_f32 v20, v20, v18, -v22
	v_fmac_f32_e32 v19, v21, v18
	v_add_f32_e32 v2, v2, v20
	v_add_f32_e32 v3, v3, v19
.LBB164_227:
	s_or_b64 exec, exec, s[6:7]
	s_barrier
	s_and_saveexec_b64 s[6:7], s[42:43]
; %bb.228:
	ds_write_b64 v5, v[2:3]
; %bb.229:
	s_or_b64 exec, exec, s[6:7]
	s_waitcnt lgkmcnt(0)
	s_barrier
	s_barrier
	s_and_saveexec_b64 s[6:7], s[22:23]
; %bb.230:
	v_xor_b32_e32 v3, 0x80000000, v3
	v_xor_b32_e32 v2, 0x80000000, v2
	ds_write_b64 v4, v[2:3] offset:6256
; %bb.231:
	s_or_b64 exec, exec, s[6:7]
	s_waitcnt lgkmcnt(0)
	s_barrier
	s_barrier
	s_and_saveexec_b64 s[6:7], s[46:47]
	s_cbranch_execz .LBB164_233
; %bb.232:
	v_lshlrev_b32_e32 v18, 3, v0
	s_movk_i32 s14, 0x1f8
	v_mad_u32_u24 v19, v0, s14, v18
	ds_read_b64 v[2:3], v19 offset:6256
	s_waitcnt lgkmcnt(0)
	ds_write_b64 v18, v[2:3] offset:7264
	ds_read_b64 v[2:3], v19 offset:6264
	s_waitcnt lgkmcnt(0)
	ds_write_b64 v18, v[2:3] offset:7776
.LBB164_233:
	s_or_b64 exec, exec, s[6:7]
	s_waitcnt lgkmcnt(0)
	s_barrier
	s_and_saveexec_b64 s[6:7], vcc
	s_cbranch_execz .LBB164_235
; %bb.234:
	v_mov_b32_e32 v20, 0
	ds_read_b64 v[2:3], v20 offset:7288
	s_mov_b64 s[14:15], 0x3f800000
	v_mov_b32_e32 v19, s15
	v_mov_b32_e32 v18, s14
	s_movk_i32 s14, 0x70
	ds_write_b64 v20, v[18:19] offset:7800
	v_add_u32_e64 v20, s14, 0
	s_waitcnt lgkmcnt(1)
	ds_write2st64_b64 v20, v[18:19], v[2:3] offset0:14 offset1:15
.LBB164_235:
	s_or_b64 exec, exec, s[6:7]
	v_lshrrev_b32_e32 v22, 4, v7
	v_and_b32_e32 v19, 15, v0
	s_movk_i32 s6, 0xff
	v_lshlrev_b32_e32 v21, 6, v22
	v_cmp_lt_u32_e64 s[18:19], s6, v7
	s_movk_i32 s6, 0x100
	v_or_b32_e32 v2, v21, v19
	v_cmp_gt_u32_e64 s[14:15], s6, v7
	v_lshlrev_b32_e32 v18, 3, v2
	v_mov_b32_e32 v3, 0
	v_mov_b32_e32 v2, 0
	s_waitcnt lgkmcnt(0)
	s_barrier
	s_and_saveexec_b64 s[6:7], s[14:15]
	s_cbranch_execz .LBB164_263
; %bb.236:
	v_mul_u32_u24_e32 v20, 0x208, v22
	ds_read_b64 v[2:3], v18 offset:128
	ds_read_b64 v[23:24], v20
	s_movk_i32 s20, 0xf0
	v_cmp_gt_u32_e64 s[20:21], s20, v7
	s_waitcnt lgkmcnt(0)
	v_mul_f32_e32 v25, v24, v3
	v_mul_f32_e32 v3, v23, v3
	v_fma_f32 v23, v23, v2, -v25
	v_fmac_f32_e32 v3, v24, v2
	v_add_f32_e32 v2, 0, v23
	v_add_f32_e32 v3, 0, v3
	s_and_saveexec_b64 s[24:25], s[20:21]
	s_cbranch_execz .LBB164_238
; %bb.237:
	v_lshlrev_b32_e32 v23, 3, v22
	v_sub_u32_e32 v23, v20, v23
	v_lshl_add_u32 v23, v19, 3, v23
	ds_read_b64 v[23:24], v23 offset:640
	ds_read_b64 v[25:26], v20 offset:8
	s_waitcnt lgkmcnt(0)
	v_mul_f32_e32 v27, v26, v24
	v_mul_f32_e32 v24, v25, v24
	v_fma_f32 v25, v25, v23, -v27
	v_fmac_f32_e32 v24, v26, v23
	v_add_f32_e32 v2, v2, v25
	v_add_f32_e32 v3, v3, v24
.LBB164_238:
	s_or_b64 exec, exec, s[24:25]
	s_movk_i32 s20, 0xe0
	v_cmp_gt_u32_e64 s[20:21], s20, v7
	s_and_saveexec_b64 s[24:25], s[20:21]
	s_cbranch_execz .LBB164_240
; %bb.239:
	v_lshlrev_b32_e32 v23, 3, v22
	v_sub_u32_e32 v23, v20, v23
	v_lshl_add_u32 v23, v19, 3, v23
	ds_read_b64 v[23:24], v23 offset:1152
	ds_read_b64 v[25:26], v20 offset:16
	s_waitcnt lgkmcnt(0)
	v_mul_f32_e32 v27, v26, v24
	v_mul_f32_e32 v24, v25, v24
	v_fma_f32 v25, v25, v23, -v27
	v_fmac_f32_e32 v24, v26, v23
	v_add_f32_e32 v2, v2, v25
	v_add_f32_e32 v3, v3, v24
.LBB164_240:
	s_or_b64 exec, exec, s[24:25]
	s_movk_i32 s20, 0xd0
	v_cmp_gt_u32_e64 s[20:21], s20, v7
	;; [unrolled: 19-line block ×7, first 2 shown]
	s_and_saveexec_b64 s[24:25], s[20:21]
	s_cbranch_execz .LBB164_252
; %bb.251:
	ds_read_b64 v[23:24], v18 offset:4224
	ds_read_b64 v[25:26], v20 offset:64
	s_waitcnt lgkmcnt(0)
	v_mul_f32_e32 v27, v26, v24
	v_mul_f32_e32 v24, v25, v24
	v_fma_f32 v25, v25, v23, -v27
	v_fmac_f32_e32 v24, v26, v23
	v_add_f32_e32 v2, v2, v25
	v_add_f32_e32 v3, v3, v24
.LBB164_252:
	s_or_b64 exec, exec, s[24:25]
	s_movk_i32 s20, 0x70
	v_cmp_gt_u32_e64 s[20:21], s20, v7
	s_and_saveexec_b64 s[24:25], s[20:21]
	s_cbranch_execz .LBB164_254
; %bb.253:
	v_lshlrev_b32_e32 v23, 3, v19
	v_lshl_add_u32 v23, v21, 3, v23
	ds_read_b64 v[23:24], v23 offset:4736
	ds_read_b64 v[25:26], v20 offset:72
	s_waitcnt lgkmcnt(0)
	v_mul_f32_e32 v27, v26, v24
	v_mul_f32_e32 v24, v25, v24
	v_fma_f32 v25, v25, v23, -v27
	v_fmac_f32_e32 v24, v26, v23
	v_add_f32_e32 v2, v2, v25
	v_add_f32_e32 v3, v3, v24
.LBB164_254:
	s_or_b64 exec, exec, s[24:25]
	s_movk_i32 s20, 0x60
	v_cmp_gt_u32_e64 s[20:21], s20, v7
	s_and_saveexec_b64 s[24:25], s[20:21]
	s_cbranch_execz .LBB164_256
; %bb.255:
	v_lshlrev_b32_e32 v23, 3, v19
	v_lshl_add_u32 v23, v21, 3, v23
	ds_read_b64 v[23:24], v23 offset:5248
	ds_read_b64 v[25:26], v20 offset:80
	s_waitcnt lgkmcnt(0)
	v_mul_f32_e32 v27, v26, v24
	v_mul_f32_e32 v24, v25, v24
	v_fma_f32 v25, v25, v23, -v27
	v_fmac_f32_e32 v24, v26, v23
	v_add_f32_e32 v2, v2, v25
	v_add_f32_e32 v3, v3, v24
.LBB164_256:
	s_or_b64 exec, exec, s[24:25]
	s_movk_i32 s20, 0x50
	v_cmp_gt_u32_e64 s[20:21], s20, v7
	s_and_saveexec_b64 s[24:25], s[20:21]
	s_cbranch_execnz .LBB164_1060
; %bb.257:
	s_or_b64 exec, exec, s[24:25]
	v_cmp_gt_u32_e64 s[20:21], 64, v7
	s_and_saveexec_b64 s[24:25], s[20:21]
	s_cbranch_execnz .LBB164_1061
.LBB164_258:
	s_or_b64 exec, exec, s[24:25]
	v_cmp_gt_u32_e64 s[20:21], 48, v7
	s_and_saveexec_b64 s[24:25], s[20:21]
	s_cbranch_execnz .LBB164_1062
.LBB164_259:
	s_or_b64 exec, exec, s[24:25]
	v_cmp_gt_u32_e64 s[20:21], 32, v7
	s_and_saveexec_b64 s[24:25], s[20:21]
	s_cbranch_execnz .LBB164_1063
.LBB164_260:
	s_or_b64 exec, exec, s[24:25]
	v_cmp_gt_u32_e64 s[20:21], 16, v7
	s_and_saveexec_b64 s[24:25], s[20:21]
	s_cbranch_execz .LBB164_262
.LBB164_261:
	v_lshlrev_b32_e32 v20, 3, v0
	v_mov_b32_e32 v25, 0
	ds_read_b64 v[23:24], v20 offset:7808
	ds_read_b64 v[25:26], v25 offset:120
	s_waitcnt lgkmcnt(0)
	v_mul_f32_e32 v20, v26, v24
	v_mul_f32_e32 v24, v25, v24
	v_fma_f32 v20, v25, v23, -v20
	v_fmac_f32_e32 v24, v26, v23
	v_add_f32_e32 v2, v2, v20
	v_add_f32_e32 v3, v3, v24
.LBB164_262:
	s_or_b64 exec, exec, s[24:25]
	v_xor_b32_e32 v2, 0x80000000, v2
	v_xor_b32_e32 v3, 0x80000000, v3
.LBB164_263:
	s_or_b64 exec, exec, s[6:7]
	v_mov_b32_e32 v20, 0x8000
	v_lshl_add_u32 v20, v22, 3, v20
	v_cmp_eq_u32_e64 s[20:21], 0, v19
	s_xor_b64 s[6:7], s[18:19], -1
	s_and_b64 s[20:21], s[20:21], s[6:7]
	s_mov_b64 s[18:19], exec
	v_writelane_b32 v34, s20, 2
	v_writelane_b32 v34, s21, 3
	s_and_b64 s[20:21], s[18:19], s[20:21]
	s_mov_b64 exec, s[20:21]
; %bb.264:
	ds_write_b64 v20, v[2:3]
; %bb.265:
	s_or_b64 exec, exec, s[18:19]
	v_cmp_ne_u32_e64 s[18:19], 0, v19
	s_waitcnt lgkmcnt(0)
	s_barrier
	s_and_b64 s[20:21], s[18:19], s[6:7]
	s_mov_b64 s[18:19], exec
	v_writelane_b32 v34, s20, 4
	v_writelane_b32 v34, s21, 5
	s_and_b64 s[20:21], s[18:19], s[20:21]
	s_mov_b64 exec, s[20:21]
	s_cbranch_execz .LBB164_267
; %bb.266:
	v_lshlrev_b32_e32 v23, 3, v19
	ds_read_b64 v[23:24], v23 offset:8320
	ds_read_b64 v[25:26], v20
	s_waitcnt lgkmcnt(0)
	v_mul_f32_e32 v27, v26, v24
	v_mul_f32_e32 v24, v25, v24
	v_fma_f32 v25, v25, v23, -v27
	v_fmac_f32_e32 v24, v26, v23
	v_add_f32_e32 v2, v2, v25
	v_add_f32_e32 v3, v3, v24
.LBB164_267:
	s_or_b64 exec, exec, s[18:19]
	v_cmp_eq_u32_e64 s[18:19], 1, v19
	s_barrier
	s_and_b64 s[20:21], s[18:19], s[6:7]
	s_mov_b64 s[18:19], exec
	v_writelane_b32 v34, s20, 6
	v_writelane_b32 v34, s21, 7
	s_and_b64 s[20:21], s[18:19], s[20:21]
	s_mov_b64 exec, s[20:21]
; %bb.268:
	ds_write_b64 v20, v[2:3]
; %bb.269:
	s_or_b64 exec, exec, s[18:19]
	v_cmp_lt_u32_e64 s[18:19], 1, v19
	s_waitcnt lgkmcnt(0)
	s_barrier
	s_and_b64 s[20:21], s[18:19], s[6:7]
	s_mov_b64 s[18:19], exec
	v_writelane_b32 v34, s20, 8
	v_writelane_b32 v34, s21, 9
	s_and_b64 s[20:21], s[18:19], s[20:21]
	s_mov_b64 exec, s[20:21]
	s_cbranch_execz .LBB164_271
; %bb.270:
	v_lshlrev_b32_e32 v23, 3, v19
	ds_read_b64 v[23:24], v23 offset:8832
	ds_read_b64 v[25:26], v20
	s_waitcnt lgkmcnt(0)
	v_mul_f32_e32 v27, v26, v24
	v_mul_f32_e32 v24, v25, v24
	v_fma_f32 v25, v25, v23, -v27
	v_fmac_f32_e32 v24, v26, v23
	v_add_f32_e32 v2, v2, v25
	v_add_f32_e32 v3, v3, v24
.LBB164_271:
	s_or_b64 exec, exec, s[18:19]
	v_cmp_eq_u32_e64 s[18:19], 2, v19
	s_barrier
	s_and_b64 s[20:21], s[18:19], s[6:7]
	s_mov_b64 s[18:19], exec
	v_writelane_b32 v34, s20, 10
	v_writelane_b32 v34, s21, 11
	s_and_b64 s[20:21], s[18:19], s[20:21]
	s_mov_b64 exec, s[20:21]
; %bb.272:
	ds_write_b64 v20, v[2:3]
; %bb.273:
	s_or_b64 exec, exec, s[18:19]
	v_cmp_lt_u32_e64 s[18:19], 2, v19
	;; [unrolled: 35-line block ×13, first 2 shown]
	s_waitcnt lgkmcnt(0)
	s_barrier
	s_and_b64 s[20:21], s[18:19], s[6:7]
	s_mov_b64 s[18:19], exec
	v_writelane_b32 v34, s20, 56
	v_writelane_b32 v34, s21, 57
	s_and_b64 s[20:21], s[18:19], s[20:21]
	s_mov_b64 exec, s[20:21]
	s_cbranch_execz .LBB164_319
; %bb.318:
	v_lshlrev_b32_e32 v23, 3, v19
	ds_read_b64 v[23:24], v23 offset:14976
	ds_read_b64 v[25:26], v20
	s_waitcnt lgkmcnt(0)
	v_mul_f32_e32 v27, v26, v24
	v_mul_f32_e32 v24, v25, v24
	v_fma_f32 v25, v25, v23, -v27
	v_fmac_f32_e32 v24, v26, v23
	v_add_f32_e32 v2, v2, v25
	v_add_f32_e32 v3, v3, v24
.LBB164_319:
	s_or_b64 exec, exec, s[18:19]
	v_cmp_eq_u32_e64 s[18:19], 14, v19
	s_barrier
	s_and_b64 s[20:21], s[18:19], s[6:7]
	s_mov_b64 s[18:19], exec
	v_writelane_b32 v34, s20, 58
	v_writelane_b32 v34, s21, 59
	s_and_b64 s[20:21], s[18:19], s[20:21]
	s_mov_b64 exec, s[20:21]
; %bb.320:
	ds_write_b64 v20, v[2:3]
; %bb.321:
	s_or_b64 exec, exec, s[18:19]
	v_cmp_eq_u32_e64 s[18:19], 15, v19
	s_and_b64 s[96:97], s[18:19], s[6:7]
	s_waitcnt lgkmcnt(0)
	s_barrier
	s_and_saveexec_b64 s[6:7], s[96:97]
	s_cbranch_execz .LBB164_323
; %bb.322:
	v_mov_b32_e32 v23, 0
	ds_read_b64 v[23:24], v23 offset:15608
	ds_read_b64 v[25:26], v20
	s_waitcnt lgkmcnt(0)
	v_mul_f32_e32 v27, v26, v24
	v_mul_f32_e32 v24, v25, v24
	v_fma_f32 v25, v25, v23, -v27
	v_fmac_f32_e32 v24, v26, v23
	v_add_f32_e32 v2, v2, v25
	v_add_f32_e32 v3, v3, v24
.LBB164_323:
	s_or_b64 exec, exec, s[6:7]
	s_barrier
	s_and_saveexec_b64 s[6:7], s[96:97]
; %bb.324:
	ds_write_b64 v20, v[2:3]
; %bb.325:
	s_or_b64 exec, exec, s[6:7]
	s_waitcnt lgkmcnt(0)
	s_barrier
	s_barrier
	s_and_saveexec_b64 s[6:7], s[14:15]
; %bb.326:
	v_xor_b32_e32 v2, 0x80000000, v2
	v_xor_b32_e32 v3, 0x80000000, v3
	ds_write_b64 v18, v[2:3] offset:128
; %bb.327:
	s_or_b64 exec, exec, s[6:7]
	v_cmp_gt_u32_e64 s[18:19], 16, v0
	s_and_b64 s[6:7], s[16:17], s[18:19]
	s_waitcnt lgkmcnt(0)
	s_barrier
	s_barrier
	s_and_saveexec_b64 s[18:19], s[6:7]
	s_cbranch_execz .LBB164_329
; %bb.328:
	v_lshlrev_b32_e32 v23, 9, v0
	ds_read_b64 v[2:3], v23 offset:128
	s_movk_i32 s20, 0xfe08
	v_mad_i32_i24 v24, v0, s20, v23
	s_waitcnt lgkmcnt(0)
	ds_write_b64 v24, v[2:3] offset:8192
	ds_read_b64 v[2:3], v23 offset:136
	s_waitcnt lgkmcnt(0)
	ds_write_b64 v24, v[2:3] offset:8704
	ds_read_b64 v[2:3], v23 offset:144
	;; [unrolled: 3-line block ×15, first 2 shown]
	s_waitcnt lgkmcnt(0)
	ds_write_b64 v24, v[2:3] offset:15872
.LBB164_329:
	s_or_b64 exec, exec, s[18:19]
	s_waitcnt lgkmcnt(0)
	s_barrier
	s_and_saveexec_b64 s[18:19], vcc
	s_cbranch_execz .LBB164_331
; %bb.330:
	v_mov_b32_e32 v25, 0
	ds_read_b64 v[2:3], v25 offset:8328
	s_mov_b64 s[20:21], 0x3f800000
	v_mov_b32_e32 v24, s21
	v_mov_b32_e32 v23, s20
	s_movk_i32 s20, 0x80
	ds_write_b64 v25, v[23:24] offset:8840
	v_add_u32_e64 v25, s20, 0
	s_waitcnt lgkmcnt(1)
	ds_write2st64_b64 v25, v[23:24], v[2:3] offset0:16 offset1:17
.LBB164_331:
	s_or_b64 exec, exec, s[18:19]
	v_mov_b32_e32 v3, 0
	v_mov_b32_e32 v2, 0
	s_waitcnt lgkmcnt(0)
	s_barrier
	s_and_saveexec_b64 s[20:21], s[22:23]
	s_cbranch_execz .LBB164_335
; %bb.332:
	v_mul_u32_u24_e32 v23, 0x208, v6
	ds_read_b64 v[2:3], v4 offset:8336
	ds_read_b64 v[23:24], v23 offset:8320
	v_cmp_gt_u32_e64 s[18:19], 2, v7
	s_waitcnt lgkmcnt(0)
	v_mul_f32_e32 v25, v24, v3
	v_mul_f32_e32 v3, v23, v3
	v_fma_f32 v23, v23, v2, -v25
	v_fmac_f32_e32 v3, v24, v2
	v_add_f32_e32 v2, 0, v23
	v_add_f32_e32 v3, 0, v3
	s_and_saveexec_b64 s[24:25], s[18:19]
	s_cbranch_execz .LBB164_334
; %bb.333:
	v_lshlrev_b32_e32 v23, 3, v0
	v_mov_b32_e32 v25, 0
	ds_read_b64 v[23:24], v23 offset:8848
	ds_read_b64 v[25:26], v25 offset:8328
	s_waitcnt lgkmcnt(0)
	v_mul_f32_e32 v27, v26, v24
	v_mul_f32_e32 v24, v25, v24
	v_fma_f32 v25, v25, v23, -v27
	v_fmac_f32_e32 v24, v26, v23
	v_add_f32_e32 v2, v2, v25
	v_add_f32_e32 v3, v3, v24
.LBB164_334:
	s_or_b64 exec, exec, s[24:25]
	v_xor_b32_e32 v2, 0x80000000, v2
	v_xor_b32_e32 v3, 0x80000000, v3
.LBB164_335:
	s_or_b64 exec, exec, s[20:21]
	s_and_saveexec_b64 s[18:19], s[44:45]
; %bb.336:
	ds_write_b64 v5, v[2:3]
; %bb.337:
	s_or_b64 exec, exec, s[18:19]
	s_waitcnt lgkmcnt(0)
	s_barrier
	s_and_saveexec_b64 s[18:19], s[42:43]
	s_cbranch_execz .LBB164_339
; %bb.338:
	v_mov_b32_e32 v23, 0
	ds_read_b64 v[23:24], v23 offset:9368
	ds_read_b64 v[25:26], v5
	s_waitcnt lgkmcnt(0)
	v_mul_f32_e32 v27, v26, v24
	v_mul_f32_e32 v24, v25, v24
	v_fma_f32 v25, v25, v23, -v27
	v_fmac_f32_e32 v24, v26, v23
	v_add_f32_e32 v2, v2, v25
	v_add_f32_e32 v3, v3, v24
.LBB164_339:
	s_or_b64 exec, exec, s[18:19]
	s_barrier
	s_and_saveexec_b64 s[18:19], s[42:43]
; %bb.340:
	ds_write_b64 v5, v[2:3]
; %bb.341:
	s_or_b64 exec, exec, s[18:19]
	s_waitcnt lgkmcnt(0)
	s_barrier
	s_barrier
	s_and_saveexec_b64 s[18:19], s[22:23]
; %bb.342:
	v_xor_b32_e32 v3, 0x80000000, v3
	v_xor_b32_e32 v2, 0x80000000, v2
	ds_write_b64 v4, v[2:3] offset:8336
; %bb.343:
	s_or_b64 exec, exec, s[18:19]
	s_waitcnt lgkmcnt(0)
	s_barrier
	s_barrier
	s_and_saveexec_b64 s[18:19], s[46:47]
	s_cbranch_execz .LBB164_345
; %bb.344:
	v_lshlrev_b32_e32 v23, 3, v0
	s_movk_i32 s20, 0x1f8
	v_mad_u32_u24 v24, v0, s20, v23
	ds_read_b64 v[2:3], v24 offset:8336
	s_waitcnt lgkmcnt(0)
	ds_write_b64 v23, v[2:3] offset:9344
	ds_read_b64 v[2:3], v24 offset:8344
	s_waitcnt lgkmcnt(0)
	ds_write_b64 v23, v[2:3] offset:9856
.LBB164_345:
	s_or_b64 exec, exec, s[18:19]
	s_waitcnt lgkmcnt(0)
	s_barrier
	s_and_saveexec_b64 s[18:19], vcc
	s_cbranch_execz .LBB164_347
; %bb.346:
	v_mov_b32_e32 v25, 0
	ds_read_b64 v[2:3], v25 offset:9368
	s_mov_b64 s[20:21], 0x3f800000
	v_mov_b32_e32 v24, s21
	v_mov_b32_e32 v23, s20
	s_movk_i32 s20, 0x90
	ds_write_b64 v25, v[23:24] offset:9880
	v_add_u32_e64 v25, s20, 0
	s_waitcnt lgkmcnt(1)
	ds_write2st64_b64 v25, v[23:24], v[2:3] offset0:18 offset1:19
.LBB164_347:
	s_or_b64 exec, exec, s[18:19]
	v_mov_b32_e32 v3, 0
	v_mov_b32_e32 v2, 0
	s_waitcnt lgkmcnt(0)
	s_barrier
	s_and_saveexec_b64 s[20:21], s[10:11]
	s_cbranch_execz .LBB164_353
; %bb.348:
	v_mul_u32_u24_e32 v23, 0x208, v12
	ds_read_b64 v[2:3], v8 offset:8352
	ds_read_b64 v[24:25], v23 offset:8320
	v_cmp_gt_u32_e64 s[18:19], 12, v7
	s_waitcnt lgkmcnt(0)
	v_mul_f32_e32 v26, v25, v3
	v_mul_f32_e32 v3, v24, v3
	v_fma_f32 v24, v24, v2, -v26
	v_fmac_f32_e32 v3, v25, v2
	v_add_f32_e32 v2, 0, v24
	v_add_f32_e32 v3, 0, v3
	s_and_saveexec_b64 s[24:25], s[18:19]
	s_cbranch_execnz .LBB164_1064
; %bb.349:
	s_or_b64 exec, exec, s[24:25]
	v_cmp_gt_u32_e64 s[18:19], 8, v7
	s_and_saveexec_b64 s[24:25], s[18:19]
	s_cbranch_execnz .LBB164_1065
.LBB164_350:
	s_or_b64 exec, exec, s[24:25]
	v_cmp_gt_u32_e64 s[18:19], 4, v7
	s_and_saveexec_b64 s[24:25], s[18:19]
	s_cbranch_execz .LBB164_352
.LBB164_351:
	v_lshlrev_b32_e32 v23, 3, v0
	v_mov_b32_e32 v25, 0
	ds_read_b64 v[23:24], v23 offset:9888
	ds_read_b64 v[25:26], v25 offset:8344
	s_waitcnt lgkmcnt(0)
	v_mul_f32_e32 v27, v26, v24
	v_mul_f32_e32 v24, v25, v24
	v_fma_f32 v25, v25, v23, -v27
	v_fmac_f32_e32 v24, v26, v23
	v_add_f32_e32 v2, v2, v25
	v_add_f32_e32 v3, v3, v24
.LBB164_352:
	s_or_b64 exec, exec, s[24:25]
	v_xor_b32_e32 v2, 0x80000000, v2
	v_xor_b32_e32 v3, 0x80000000, v3
.LBB164_353:
	s_or_b64 exec, exec, s[20:21]
	s_and_saveexec_b64 s[18:19], s[50:51]
; %bb.354:
	ds_write_b64 v10, v[2:3]
; %bb.355:
	s_or_b64 exec, exec, s[18:19]
	s_waitcnt lgkmcnt(0)
	s_barrier
	s_and_saveexec_b64 s[18:19], s[52:53]
	s_cbranch_execz .LBB164_357
; %bb.356:
	ds_read_b64 v[23:24], v9 offset:10400
	ds_read_b64 v[25:26], v10
	s_waitcnt lgkmcnt(0)
	v_mul_f32_e32 v27, v26, v24
	v_mul_f32_e32 v24, v25, v24
	v_fma_f32 v25, v25, v23, -v27
	v_fmac_f32_e32 v24, v26, v23
	v_add_f32_e32 v2, v2, v25
	v_add_f32_e32 v3, v3, v24
.LBB164_357:
	s_or_b64 exec, exec, s[18:19]
	s_barrier
	s_and_saveexec_b64 s[18:19], s[54:55]
; %bb.358:
	ds_write_b64 v10, v[2:3]
; %bb.359:
	s_or_b64 exec, exec, s[18:19]
	s_waitcnt lgkmcnt(0)
	s_barrier
	s_and_saveexec_b64 s[18:19], s[56:57]
	s_cbranch_execz .LBB164_361
; %bb.360:
	ds_read_b64 v[23:24], v9 offset:10912
	ds_read_b64 v[25:26], v10
	s_waitcnt lgkmcnt(0)
	v_mul_f32_e32 v27, v26, v24
	v_mul_f32_e32 v24, v25, v24
	v_fma_f32 v25, v25, v23, -v27
	v_fmac_f32_e32 v24, v26, v23
	v_add_f32_e32 v2, v2, v25
	v_add_f32_e32 v3, v3, v24
.LBB164_361:
	s_or_b64 exec, exec, s[18:19]
	s_barrier
	s_and_saveexec_b64 s[18:19], s[58:59]
; %bb.362:
	ds_write_b64 v10, v[2:3]
; %bb.363:
	s_or_b64 exec, exec, s[18:19]
	s_waitcnt lgkmcnt(0)
	s_barrier
	s_and_saveexec_b64 s[18:19], s[48:49]
	s_cbranch_execz .LBB164_365
; %bb.364:
	v_mov_b32_e32 v23, 0
	ds_read_b64 v[23:24], v23 offset:11448
	ds_read_b64 v[25:26], v10
	s_waitcnt lgkmcnt(0)
	v_mul_f32_e32 v27, v26, v24
	v_mul_f32_e32 v24, v25, v24
	v_fma_f32 v25, v25, v23, -v27
	v_fmac_f32_e32 v24, v26, v23
	v_add_f32_e32 v2, v2, v25
	v_add_f32_e32 v3, v3, v24
.LBB164_365:
	s_or_b64 exec, exec, s[18:19]
	s_barrier
	s_and_saveexec_b64 s[18:19], s[48:49]
; %bb.366:
	ds_write_b64 v10, v[2:3]
; %bb.367:
	s_or_b64 exec, exec, s[18:19]
	s_waitcnt lgkmcnt(0)
	s_barrier
	s_barrier
	s_and_saveexec_b64 s[18:19], s[10:11]
; %bb.368:
	v_xor_b32_e32 v2, 0x80000000, v2
	v_xor_b32_e32 v3, 0x80000000, v3
	ds_write_b64 v8, v[2:3] offset:8352
; %bb.369:
	s_or_b64 exec, exec, s[18:19]
	s_waitcnt lgkmcnt(0)
	s_barrier
	s_barrier
	s_and_saveexec_b64 s[18:19], s[60:61]
	s_cbranch_execz .LBB164_371
; %bb.370:
	v_lshlrev_b32_e32 v23, 9, v0
	ds_read_b64 v[2:3], v23 offset:8352
	s_movk_i32 s20, 0xfe08
	v_mad_i32_i24 v24, v0, s20, v23
	s_waitcnt lgkmcnt(0)
	ds_write_b64 v24, v[2:3] offset:10368
	ds_read_b64 v[2:3], v23 offset:8360
	s_waitcnt lgkmcnt(0)
	ds_write_b64 v24, v[2:3] offset:10880
	ds_read_b64 v[2:3], v23 offset:8368
	;; [unrolled: 3-line block ×3, first 2 shown]
	s_waitcnt lgkmcnt(0)
	ds_write_b64 v24, v[2:3] offset:11904
.LBB164_371:
	s_or_b64 exec, exec, s[18:19]
	s_waitcnt lgkmcnt(0)
	s_barrier
	s_and_saveexec_b64 s[18:19], vcc
	s_cbranch_execz .LBB164_373
; %bb.372:
	v_mov_b32_e32 v25, 0
	ds_read_b64 v[2:3], v25 offset:10408
	s_mov_b64 s[20:21], 0x3f800000
	v_mov_b32_e32 v24, s21
	v_mov_b32_e32 v23, s20
	s_movk_i32 s20, 0xa0
	ds_write_b64 v25, v[23:24] offset:10920
	v_add_u32_e64 v25, s20, 0
	s_waitcnt lgkmcnt(1)
	ds_write2st64_b64 v25, v[23:24], v[2:3] offset0:20 offset1:21
.LBB164_373:
	s_or_b64 exec, exec, s[18:19]
	v_mov_b32_e32 v3, 0
	v_mov_b32_e32 v2, 0
	s_waitcnt lgkmcnt(0)
	s_barrier
	s_and_saveexec_b64 s[20:21], s[22:23]
	s_cbranch_execz .LBB164_377
; %bb.374:
	v_mul_u32_u24_e32 v23, 0x208, v6
	ds_read_b64 v[2:3], v4 offset:10416
	ds_read_b64 v[23:24], v23 offset:10400
	v_cmp_gt_u32_e64 s[18:19], 2, v7
	s_waitcnt lgkmcnt(0)
	v_mul_f32_e32 v25, v24, v3
	v_mul_f32_e32 v3, v23, v3
	v_fma_f32 v23, v23, v2, -v25
	v_fmac_f32_e32 v3, v24, v2
	v_add_f32_e32 v2, 0, v23
	v_add_f32_e32 v3, 0, v3
	s_and_saveexec_b64 s[24:25], s[18:19]
	s_cbranch_execz .LBB164_376
; %bb.375:
	v_lshlrev_b32_e32 v23, 3, v0
	v_mov_b32_e32 v25, 0
	ds_read_b64 v[23:24], v23 offset:10928
	ds_read_b64 v[25:26], v25 offset:10408
	s_waitcnt lgkmcnt(0)
	v_mul_f32_e32 v27, v26, v24
	v_mul_f32_e32 v24, v25, v24
	v_fma_f32 v25, v25, v23, -v27
	v_fmac_f32_e32 v24, v26, v23
	v_add_f32_e32 v2, v2, v25
	v_add_f32_e32 v3, v3, v24
.LBB164_376:
	s_or_b64 exec, exec, s[24:25]
	v_xor_b32_e32 v2, 0x80000000, v2
	v_xor_b32_e32 v3, 0x80000000, v3
.LBB164_377:
	s_or_b64 exec, exec, s[20:21]
	s_and_saveexec_b64 s[18:19], s[44:45]
; %bb.378:
	ds_write_b64 v5, v[2:3]
; %bb.379:
	s_or_b64 exec, exec, s[18:19]
	s_waitcnt lgkmcnt(0)
	s_barrier
	s_and_saveexec_b64 s[18:19], s[42:43]
	s_cbranch_execz .LBB164_381
; %bb.380:
	v_mov_b32_e32 v23, 0
	ds_read_b64 v[23:24], v23 offset:11448
	ds_read_b64 v[25:26], v5
	s_waitcnt lgkmcnt(0)
	v_mul_f32_e32 v27, v26, v24
	v_mul_f32_e32 v24, v25, v24
	v_fma_f32 v25, v25, v23, -v27
	v_fmac_f32_e32 v24, v26, v23
	v_add_f32_e32 v2, v2, v25
	v_add_f32_e32 v3, v3, v24
.LBB164_381:
	s_or_b64 exec, exec, s[18:19]
	s_barrier
	s_and_saveexec_b64 s[18:19], s[42:43]
; %bb.382:
	ds_write_b64 v5, v[2:3]
; %bb.383:
	s_or_b64 exec, exec, s[18:19]
	s_waitcnt lgkmcnt(0)
	s_barrier
	s_barrier
	s_and_saveexec_b64 s[18:19], s[22:23]
; %bb.384:
	v_xor_b32_e32 v3, 0x80000000, v3
	v_xor_b32_e32 v2, 0x80000000, v2
	ds_write_b64 v4, v[2:3] offset:10416
; %bb.385:
	s_or_b64 exec, exec, s[18:19]
	s_waitcnt lgkmcnt(0)
	s_barrier
	s_barrier
	s_and_saveexec_b64 s[18:19], s[46:47]
	s_cbranch_execz .LBB164_387
; %bb.386:
	v_lshlrev_b32_e32 v23, 3, v0
	s_movk_i32 s20, 0x1f8
	v_mad_u32_u24 v24, v0, s20, v23
	ds_read_b64 v[2:3], v24 offset:10416
	s_waitcnt lgkmcnt(0)
	ds_write_b64 v23, v[2:3] offset:11424
	ds_read_b64 v[2:3], v24 offset:10424
	s_waitcnt lgkmcnt(0)
	ds_write_b64 v23, v[2:3] offset:11936
.LBB164_387:
	s_or_b64 exec, exec, s[18:19]
	s_waitcnt lgkmcnt(0)
	s_barrier
	s_and_saveexec_b64 s[18:19], vcc
	s_cbranch_execz .LBB164_389
; %bb.388:
	v_mov_b32_e32 v25, 0
	ds_read_b64 v[2:3], v25 offset:11448
	s_mov_b64 s[20:21], 0x3f800000
	v_mov_b32_e32 v24, s21
	v_mov_b32_e32 v23, s20
	s_movk_i32 s20, 0xb0
	ds_write_b64 v25, v[23:24] offset:11960
	v_add_u32_e64 v25, s20, 0
	s_waitcnt lgkmcnt(1)
	ds_write2st64_b64 v25, v[23:24], v[2:3] offset0:22 offset1:23
.LBB164_389:
	s_or_b64 exec, exec, s[18:19]
	v_mov_b32_e32 v3, 0
	v_mov_b32_e32 v2, 0
	s_waitcnt lgkmcnt(0)
	s_barrier
	s_and_saveexec_b64 s[20:21], s[12:13]
	s_cbranch_execz .LBB164_399
; %bb.390:
	v_mul_u32_u24_e32 v23, 0x208, v17
	ds_read_b64 v[2:3], v13 offset:8384
	ds_read_b64 v[24:25], v23 offset:8320
	v_cmp_gt_u32_e64 s[18:19], 56, v7
	s_waitcnt lgkmcnt(0)
	v_mul_f32_e32 v26, v25, v3
	v_mul_f32_e32 v3, v24, v3
	v_fma_f32 v24, v24, v2, -v26
	v_fmac_f32_e32 v3, v25, v2
	v_add_f32_e32 v2, 0, v24
	v_add_f32_e32 v3, 0, v3
	s_and_saveexec_b64 s[24:25], s[18:19]
	s_cbranch_execnz .LBB164_1066
; %bb.391:
	s_or_b64 exec, exec, s[24:25]
	v_cmp_gt_u32_e64 s[18:19], 48, v7
	s_and_saveexec_b64 s[24:25], s[18:19]
	s_cbranch_execnz .LBB164_1067
.LBB164_392:
	s_or_b64 exec, exec, s[24:25]
	v_cmp_gt_u32_e64 s[18:19], 40, v7
	s_and_saveexec_b64 s[24:25], s[18:19]
	s_cbranch_execnz .LBB164_1068
.LBB164_393:
	s_or_b64 exec, exec, s[24:25]
	v_cmp_gt_u32_e64 s[18:19], 32, v7
	s_and_saveexec_b64 s[24:25], s[18:19]
	s_cbranch_execnz .LBB164_1069
.LBB164_394:
	s_or_b64 exec, exec, s[24:25]
	v_cmp_gt_u32_e64 s[18:19], 24, v7
	s_and_saveexec_b64 s[24:25], s[18:19]
	s_cbranch_execnz .LBB164_1070
.LBB164_395:
	s_or_b64 exec, exec, s[24:25]
	v_cmp_gt_u32_e64 s[18:19], 16, v7
	s_and_saveexec_b64 s[24:25], s[18:19]
	s_cbranch_execnz .LBB164_1071
.LBB164_396:
	s_or_b64 exec, exec, s[24:25]
	v_cmp_gt_u32_e64 s[18:19], 8, v7
	s_and_saveexec_b64 s[24:25], s[18:19]
	s_cbranch_execz .LBB164_398
.LBB164_397:
	v_lshlrev_b32_e32 v23, 3, v0
	v_mov_b32_e32 v25, 0
	ds_read_b64 v[23:24], v23 offset:11968
	ds_read_b64 v[25:26], v25 offset:8376
	s_waitcnt lgkmcnt(0)
	v_mul_f32_e32 v27, v26, v24
	v_mul_f32_e32 v24, v25, v24
	v_fma_f32 v25, v25, v23, -v27
	v_fmac_f32_e32 v24, v26, v23
	v_add_f32_e32 v2, v2, v25
	v_add_f32_e32 v3, v3, v24
.LBB164_398:
	s_or_b64 exec, exec, s[24:25]
	v_xor_b32_e32 v2, 0x80000000, v2
	v_xor_b32_e32 v3, 0x80000000, v3
.LBB164_399:
	s_or_b64 exec, exec, s[20:21]
	s_and_saveexec_b64 s[18:19], s[64:65]
; %bb.400:
	ds_write_b64 v15, v[2:3]
; %bb.401:
	s_or_b64 exec, exec, s[18:19]
	s_waitcnt lgkmcnt(0)
	s_barrier
	s_and_saveexec_b64 s[18:19], s[66:67]
	s_cbranch_execz .LBB164_403
; %bb.402:
	ds_read_b64 v[23:24], v14 offset:12480
	ds_read_b64 v[25:26], v15
	s_waitcnt lgkmcnt(0)
	v_mul_f32_e32 v27, v26, v24
	v_mul_f32_e32 v24, v25, v24
	v_fma_f32 v25, v25, v23, -v27
	v_fmac_f32_e32 v24, v26, v23
	v_add_f32_e32 v2, v2, v25
	v_add_f32_e32 v3, v3, v24
.LBB164_403:
	s_or_b64 exec, exec, s[18:19]
	s_barrier
	s_and_saveexec_b64 s[18:19], s[68:69]
; %bb.404:
	ds_write_b64 v15, v[2:3]
; %bb.405:
	s_or_b64 exec, exec, s[18:19]
	s_waitcnt lgkmcnt(0)
	s_barrier
	s_and_saveexec_b64 s[18:19], s[70:71]
	s_cbranch_execz .LBB164_407
; %bb.406:
	ds_read_b64 v[23:24], v14 offset:12992
	ds_read_b64 v[25:26], v15
	s_waitcnt lgkmcnt(0)
	v_mul_f32_e32 v27, v26, v24
	v_mul_f32_e32 v24, v25, v24
	v_fma_f32 v25, v25, v23, -v27
	v_fmac_f32_e32 v24, v26, v23
	v_add_f32_e32 v2, v2, v25
	v_add_f32_e32 v3, v3, v24
.LBB164_407:
	s_or_b64 exec, exec, s[18:19]
	s_barrier
	;; [unrolled: 22-line block ×6, first 2 shown]
	s_and_saveexec_b64 s[18:19], s[88:89]
; %bb.424:
	ds_write_b64 v15, v[2:3]
; %bb.425:
	s_or_b64 exec, exec, s[18:19]
	s_waitcnt lgkmcnt(0)
	s_barrier
	s_and_saveexec_b64 s[18:19], s[62:63]
	s_cbranch_execz .LBB164_427
; %bb.426:
	v_mov_b32_e32 v23, 0
	ds_read_b64 v[23:24], v23 offset:15608
	ds_read_b64 v[25:26], v15
	s_waitcnt lgkmcnt(0)
	v_mul_f32_e32 v27, v26, v24
	v_mul_f32_e32 v24, v25, v24
	v_fma_f32 v25, v25, v23, -v27
	v_fmac_f32_e32 v24, v26, v23
	v_add_f32_e32 v2, v2, v25
	v_add_f32_e32 v3, v3, v24
.LBB164_427:
	s_or_b64 exec, exec, s[18:19]
	s_barrier
	s_and_saveexec_b64 s[18:19], s[62:63]
; %bb.428:
	ds_write_b64 v15, v[2:3]
; %bb.429:
	s_or_b64 exec, exec, s[18:19]
	s_waitcnt lgkmcnt(0)
	s_barrier
	s_barrier
	s_and_saveexec_b64 s[18:19], s[12:13]
; %bb.430:
	v_xor_b32_e32 v3, 0x80000000, v3
	v_xor_b32_e32 v2, 0x80000000, v2
	ds_write_b64 v13, v[2:3] offset:8384
; %bb.431:
	s_or_b64 exec, exec, s[18:19]
	s_waitcnt lgkmcnt(0)
	s_barrier
	s_barrier
	s_and_saveexec_b64 s[18:19], s[90:91]
	s_cbranch_execz .LBB164_433
; %bb.432:
	v_lshlrev_b32_e32 v23, 9, v0
	ds_read_b64 v[2:3], v23 offset:8384
	s_movk_i32 s20, 0xfe08
	v_mad_i32_i24 v24, v0, s20, v23
	s_waitcnt lgkmcnt(0)
	ds_write_b64 v24, v[2:3] offset:12416
	ds_read_b64 v[2:3], v23 offset:8392
	s_waitcnt lgkmcnt(0)
	ds_write_b64 v24, v[2:3] offset:12928
	ds_read_b64 v[2:3], v23 offset:8400
	;; [unrolled: 3-line block ×7, first 2 shown]
	s_waitcnt lgkmcnt(0)
	ds_write_b64 v24, v[2:3] offset:16000
.LBB164_433:
	s_or_b64 exec, exec, s[18:19]
	s_waitcnt lgkmcnt(0)
	s_barrier
	s_and_saveexec_b64 s[18:19], vcc
	s_cbranch_execz .LBB164_435
; %bb.434:
	v_mov_b32_e32 v25, 0
	ds_read_b64 v[2:3], v25 offset:12488
	s_mov_b64 s[20:21], 0x3f800000
	v_mov_b32_e32 v24, s21
	v_mov_b32_e32 v23, s20
	s_movk_i32 s20, 0xc0
	ds_write_b64 v25, v[23:24] offset:13000
	v_add_u32_e64 v25, s20, 0
	s_waitcnt lgkmcnt(1)
	ds_write2st64_b64 v25, v[23:24], v[2:3] offset0:24 offset1:25
.LBB164_435:
	s_or_b64 exec, exec, s[18:19]
	v_mov_b32_e32 v3, 0
	v_mov_b32_e32 v2, 0
	s_waitcnt lgkmcnt(0)
	s_barrier
	s_and_saveexec_b64 s[20:21], s[22:23]
	s_cbranch_execz .LBB164_439
; %bb.436:
	v_mul_u32_u24_e32 v23, 0x208, v6
	ds_read_b64 v[2:3], v4 offset:12496
	ds_read_b64 v[23:24], v23 offset:12480
	v_cmp_gt_u32_e64 s[18:19], 2, v7
	s_waitcnt lgkmcnt(0)
	v_mul_f32_e32 v25, v24, v3
	v_mul_f32_e32 v3, v23, v3
	v_fma_f32 v23, v23, v2, -v25
	v_fmac_f32_e32 v3, v24, v2
	v_add_f32_e32 v2, 0, v23
	v_add_f32_e32 v3, 0, v3
	s_and_saveexec_b64 s[24:25], s[18:19]
	s_cbranch_execz .LBB164_438
; %bb.437:
	v_lshlrev_b32_e32 v23, 3, v0
	v_mov_b32_e32 v25, 0
	ds_read_b64 v[23:24], v23 offset:13008
	ds_read_b64 v[25:26], v25 offset:12488
	s_waitcnt lgkmcnt(0)
	v_mul_f32_e32 v27, v26, v24
	v_mul_f32_e32 v24, v25, v24
	v_fma_f32 v25, v25, v23, -v27
	v_fmac_f32_e32 v24, v26, v23
	v_add_f32_e32 v2, v2, v25
	v_add_f32_e32 v3, v3, v24
.LBB164_438:
	s_or_b64 exec, exec, s[24:25]
	v_xor_b32_e32 v2, 0x80000000, v2
	v_xor_b32_e32 v3, 0x80000000, v3
.LBB164_439:
	s_or_b64 exec, exec, s[20:21]
	s_and_saveexec_b64 s[18:19], s[44:45]
; %bb.440:
	ds_write_b64 v5, v[2:3]
; %bb.441:
	s_or_b64 exec, exec, s[18:19]
	s_waitcnt lgkmcnt(0)
	s_barrier
	s_and_saveexec_b64 s[18:19], s[42:43]
	s_cbranch_execz .LBB164_443
; %bb.442:
	v_mov_b32_e32 v23, 0
	ds_read_b64 v[23:24], v23 offset:13528
	ds_read_b64 v[25:26], v5
	s_waitcnt lgkmcnt(0)
	v_mul_f32_e32 v27, v26, v24
	v_mul_f32_e32 v24, v25, v24
	v_fma_f32 v25, v25, v23, -v27
	v_fmac_f32_e32 v24, v26, v23
	v_add_f32_e32 v2, v2, v25
	v_add_f32_e32 v3, v3, v24
.LBB164_443:
	s_or_b64 exec, exec, s[18:19]
	s_barrier
	s_and_saveexec_b64 s[18:19], s[42:43]
; %bb.444:
	ds_write_b64 v5, v[2:3]
; %bb.445:
	s_or_b64 exec, exec, s[18:19]
	s_waitcnt lgkmcnt(0)
	s_barrier
	s_barrier
	s_and_saveexec_b64 s[18:19], s[22:23]
; %bb.446:
	v_xor_b32_e32 v3, 0x80000000, v3
	v_xor_b32_e32 v2, 0x80000000, v2
	ds_write_b64 v4, v[2:3] offset:12496
; %bb.447:
	s_or_b64 exec, exec, s[18:19]
	s_waitcnt lgkmcnt(0)
	s_barrier
	s_barrier
	s_and_saveexec_b64 s[18:19], s[46:47]
	s_cbranch_execz .LBB164_449
; %bb.448:
	v_lshlrev_b32_e32 v23, 3, v0
	s_movk_i32 s20, 0x1f8
	v_mad_u32_u24 v24, v0, s20, v23
	ds_read_b64 v[2:3], v24 offset:12496
	s_waitcnt lgkmcnt(0)
	ds_write_b64 v23, v[2:3] offset:13504
	ds_read_b64 v[2:3], v24 offset:12504
	s_waitcnt lgkmcnt(0)
	ds_write_b64 v23, v[2:3] offset:14016
.LBB164_449:
	s_or_b64 exec, exec, s[18:19]
	s_waitcnt lgkmcnt(0)
	s_barrier
	s_and_saveexec_b64 s[18:19], vcc
	s_cbranch_execz .LBB164_451
; %bb.450:
	v_mov_b32_e32 v25, 0
	ds_read_b64 v[2:3], v25 offset:13528
	s_mov_b64 s[20:21], 0x3f800000
	v_mov_b32_e32 v24, s21
	v_mov_b32_e32 v23, s20
	s_movk_i32 s20, 0xd0
	ds_write_b64 v25, v[23:24] offset:14040
	v_add_u32_e64 v25, s20, 0
	s_waitcnt lgkmcnt(1)
	ds_write2st64_b64 v25, v[23:24], v[2:3] offset0:26 offset1:27
.LBB164_451:
	s_or_b64 exec, exec, s[18:19]
	v_mov_b32_e32 v3, 0
	v_mov_b32_e32 v2, 0
	s_waitcnt lgkmcnt(0)
	s_barrier
	s_and_saveexec_b64 s[20:21], s[10:11]
	s_cbranch_execz .LBB164_457
; %bb.452:
	v_mul_u32_u24_e32 v23, 0x208, v12
	ds_read_b64 v[2:3], v8 offset:12512
	ds_read_b64 v[24:25], v23 offset:12480
	v_cmp_gt_u32_e64 s[18:19], 12, v7
	s_waitcnt lgkmcnt(0)
	v_mul_f32_e32 v26, v25, v3
	v_mul_f32_e32 v3, v24, v3
	v_fma_f32 v24, v24, v2, -v26
	v_fmac_f32_e32 v3, v25, v2
	v_add_f32_e32 v2, 0, v24
	v_add_f32_e32 v3, 0, v3
	s_and_saveexec_b64 s[24:25], s[18:19]
	s_cbranch_execnz .LBB164_1072
; %bb.453:
	s_or_b64 exec, exec, s[24:25]
	v_cmp_gt_u32_e64 s[18:19], 8, v7
	s_and_saveexec_b64 s[24:25], s[18:19]
	s_cbranch_execnz .LBB164_1073
.LBB164_454:
	s_or_b64 exec, exec, s[24:25]
	v_cmp_gt_u32_e64 s[18:19], 4, v7
	s_and_saveexec_b64 s[24:25], s[18:19]
	s_cbranch_execz .LBB164_456
.LBB164_455:
	v_lshlrev_b32_e32 v23, 3, v0
	v_mov_b32_e32 v25, 0
	ds_read_b64 v[23:24], v23 offset:14048
	ds_read_b64 v[25:26], v25 offset:12504
	s_waitcnt lgkmcnt(0)
	v_mul_f32_e32 v27, v26, v24
	v_mul_f32_e32 v24, v25, v24
	v_fma_f32 v25, v25, v23, -v27
	v_fmac_f32_e32 v24, v26, v23
	v_add_f32_e32 v2, v2, v25
	v_add_f32_e32 v3, v3, v24
.LBB164_456:
	s_or_b64 exec, exec, s[24:25]
	v_xor_b32_e32 v2, 0x80000000, v2
	v_xor_b32_e32 v3, 0x80000000, v3
.LBB164_457:
	s_or_b64 exec, exec, s[20:21]
	s_and_saveexec_b64 s[18:19], s[50:51]
; %bb.458:
	ds_write_b64 v10, v[2:3]
; %bb.459:
	s_or_b64 exec, exec, s[18:19]
	s_waitcnt lgkmcnt(0)
	s_barrier
	s_and_saveexec_b64 s[18:19], s[52:53]
	s_cbranch_execz .LBB164_461
; %bb.460:
	ds_read_b64 v[23:24], v9 offset:14560
	ds_read_b64 v[25:26], v10
	s_waitcnt lgkmcnt(0)
	v_mul_f32_e32 v27, v26, v24
	v_mul_f32_e32 v24, v25, v24
	v_fma_f32 v25, v25, v23, -v27
	v_fmac_f32_e32 v24, v26, v23
	v_add_f32_e32 v2, v2, v25
	v_add_f32_e32 v3, v3, v24
.LBB164_461:
	s_or_b64 exec, exec, s[18:19]
	s_barrier
	s_and_saveexec_b64 s[18:19], s[54:55]
; %bb.462:
	ds_write_b64 v10, v[2:3]
; %bb.463:
	s_or_b64 exec, exec, s[18:19]
	s_waitcnt lgkmcnt(0)
	s_barrier
	s_and_saveexec_b64 s[18:19], s[56:57]
	s_cbranch_execz .LBB164_465
; %bb.464:
	ds_read_b64 v[23:24], v9 offset:15072
	ds_read_b64 v[25:26], v10
	s_waitcnt lgkmcnt(0)
	v_mul_f32_e32 v27, v26, v24
	v_mul_f32_e32 v24, v25, v24
	v_fma_f32 v25, v25, v23, -v27
	v_fmac_f32_e32 v24, v26, v23
	v_add_f32_e32 v2, v2, v25
	v_add_f32_e32 v3, v3, v24
.LBB164_465:
	s_or_b64 exec, exec, s[18:19]
	s_barrier
	s_and_saveexec_b64 s[18:19], s[58:59]
; %bb.466:
	ds_write_b64 v10, v[2:3]
; %bb.467:
	s_or_b64 exec, exec, s[18:19]
	s_waitcnt lgkmcnt(0)
	s_barrier
	s_and_saveexec_b64 s[18:19], s[48:49]
	s_cbranch_execz .LBB164_469
; %bb.468:
	v_mov_b32_e32 v23, 0
	ds_read_b64 v[23:24], v23 offset:15608
	ds_read_b64 v[25:26], v10
	s_waitcnt lgkmcnt(0)
	v_mul_f32_e32 v27, v26, v24
	v_mul_f32_e32 v24, v25, v24
	v_fma_f32 v25, v25, v23, -v27
	v_fmac_f32_e32 v24, v26, v23
	v_add_f32_e32 v2, v2, v25
	v_add_f32_e32 v3, v3, v24
.LBB164_469:
	s_or_b64 exec, exec, s[18:19]
	s_barrier
	s_and_saveexec_b64 s[18:19], s[48:49]
; %bb.470:
	ds_write_b64 v10, v[2:3]
; %bb.471:
	s_or_b64 exec, exec, s[18:19]
	s_waitcnt lgkmcnt(0)
	s_barrier
	s_barrier
	s_and_saveexec_b64 s[18:19], s[10:11]
; %bb.472:
	v_xor_b32_e32 v2, 0x80000000, v2
	v_xor_b32_e32 v3, 0x80000000, v3
	ds_write_b64 v8, v[2:3] offset:12512
; %bb.473:
	s_or_b64 exec, exec, s[18:19]
	s_waitcnt lgkmcnt(0)
	s_barrier
	s_barrier
	s_and_saveexec_b64 s[18:19], s[60:61]
	s_cbranch_execz .LBB164_475
; %bb.474:
	v_lshlrev_b32_e32 v23, 9, v0
	ds_read_b64 v[2:3], v23 offset:12512
	s_movk_i32 s20, 0xfe08
	v_mad_i32_i24 v24, v0, s20, v23
	s_waitcnt lgkmcnt(0)
	ds_write_b64 v24, v[2:3] offset:14528
	ds_read_b64 v[2:3], v23 offset:12520
	s_waitcnt lgkmcnt(0)
	ds_write_b64 v24, v[2:3] offset:15040
	ds_read_b64 v[2:3], v23 offset:12528
	;; [unrolled: 3-line block ×3, first 2 shown]
	s_waitcnt lgkmcnt(0)
	ds_write_b64 v24, v[2:3] offset:16064
.LBB164_475:
	s_or_b64 exec, exec, s[18:19]
	s_waitcnt lgkmcnt(0)
	s_barrier
	s_and_saveexec_b64 s[18:19], vcc
	s_cbranch_execz .LBB164_477
; %bb.476:
	v_mov_b32_e32 v25, 0
	ds_read_b64 v[2:3], v25 offset:14568
	s_mov_b64 s[20:21], 0x3f800000
	v_mov_b32_e32 v24, s21
	v_mov_b32_e32 v23, s20
	s_movk_i32 s20, 0xe0
	ds_write_b64 v25, v[23:24] offset:15080
	v_add_u32_e64 v25, s20, 0
	s_waitcnt lgkmcnt(1)
	ds_write2st64_b64 v25, v[23:24], v[2:3] offset0:28 offset1:29
.LBB164_477:
	s_or_b64 exec, exec, s[18:19]
	v_mov_b32_e32 v3, 0
	v_mov_b32_e32 v2, 0
	s_waitcnt lgkmcnt(0)
	s_barrier
	s_and_saveexec_b64 s[20:21], s[22:23]
	s_cbranch_execz .LBB164_481
; %bb.478:
	v_mul_u32_u24_e32 v23, 0x208, v6
	ds_read_b64 v[2:3], v4 offset:14576
	ds_read_b64 v[23:24], v23 offset:14560
	v_cmp_gt_u32_e64 s[18:19], 2, v7
	s_waitcnt lgkmcnt(0)
	v_mul_f32_e32 v25, v24, v3
	v_mul_f32_e32 v3, v23, v3
	v_fma_f32 v23, v23, v2, -v25
	v_fmac_f32_e32 v3, v24, v2
	v_add_f32_e32 v2, 0, v23
	v_add_f32_e32 v3, 0, v3
	s_and_saveexec_b64 s[24:25], s[18:19]
	s_cbranch_execz .LBB164_480
; %bb.479:
	v_lshlrev_b32_e32 v23, 3, v0
	v_mov_b32_e32 v25, 0
	ds_read_b64 v[23:24], v23 offset:15088
	ds_read_b64 v[25:26], v25 offset:14568
	s_waitcnt lgkmcnt(0)
	v_mul_f32_e32 v27, v26, v24
	v_mul_f32_e32 v24, v25, v24
	v_fma_f32 v25, v25, v23, -v27
	v_fmac_f32_e32 v24, v26, v23
	v_add_f32_e32 v2, v2, v25
	v_add_f32_e32 v3, v3, v24
.LBB164_480:
	s_or_b64 exec, exec, s[24:25]
	v_xor_b32_e32 v2, 0x80000000, v2
	v_xor_b32_e32 v3, 0x80000000, v3
.LBB164_481:
	s_or_b64 exec, exec, s[20:21]
	s_and_saveexec_b64 s[18:19], s[44:45]
; %bb.482:
	ds_write_b64 v5, v[2:3]
; %bb.483:
	s_or_b64 exec, exec, s[18:19]
	s_waitcnt lgkmcnt(0)
	s_barrier
	s_and_saveexec_b64 s[18:19], s[42:43]
	s_cbranch_execz .LBB164_485
; %bb.484:
	v_mov_b32_e32 v23, 0
	ds_read_b64 v[23:24], v23 offset:15608
	ds_read_b64 v[25:26], v5
	s_waitcnt lgkmcnt(0)
	v_mul_f32_e32 v27, v26, v24
	v_mul_f32_e32 v24, v25, v24
	v_fma_f32 v25, v25, v23, -v27
	v_fmac_f32_e32 v24, v26, v23
	v_add_f32_e32 v2, v2, v25
	v_add_f32_e32 v3, v3, v24
.LBB164_485:
	s_or_b64 exec, exec, s[18:19]
	s_barrier
	s_and_saveexec_b64 s[18:19], s[42:43]
; %bb.486:
	ds_write_b64 v5, v[2:3]
; %bb.487:
	s_or_b64 exec, exec, s[18:19]
	s_waitcnt lgkmcnt(0)
	s_barrier
	s_barrier
	s_and_saveexec_b64 s[18:19], s[22:23]
; %bb.488:
	v_xor_b32_e32 v3, 0x80000000, v3
	v_xor_b32_e32 v2, 0x80000000, v2
	ds_write_b64 v4, v[2:3] offset:14576
; %bb.489:
	s_or_b64 exec, exec, s[18:19]
	s_waitcnt lgkmcnt(0)
	s_barrier
	s_barrier
	s_and_saveexec_b64 s[18:19], s[46:47]
	s_cbranch_execz .LBB164_491
; %bb.490:
	v_lshlrev_b32_e32 v23, 3, v0
	s_movk_i32 s20, 0x1f8
	v_mad_u32_u24 v24, v0, s20, v23
	ds_read_b64 v[2:3], v24 offset:14576
	s_waitcnt lgkmcnt(0)
	ds_write_b64 v23, v[2:3] offset:15584
	ds_read_b64 v[2:3], v24 offset:14584
	s_waitcnt lgkmcnt(0)
	ds_write_b64 v23, v[2:3] offset:16096
.LBB164_491:
	s_or_b64 exec, exec, s[18:19]
	s_waitcnt lgkmcnt(0)
	s_barrier
	s_and_saveexec_b64 s[18:19], vcc
	s_cbranch_execz .LBB164_493
; %bb.492:
	v_mov_b32_e32 v25, 0
	ds_read_b64 v[2:3], v25 offset:15608
	s_mov_b64 s[20:21], 0x3f800000
	v_mov_b32_e32 v24, s21
	v_mov_b32_e32 v23, s20
	s_movk_i32 s20, 0xf0
	ds_write_b64 v25, v[23:24] offset:16120
	v_add_u32_e64 v25, s20, 0
	s_waitcnt lgkmcnt(1)
	ds_write2st64_b64 v25, v[23:24], v[2:3] offset0:30 offset1:31
.LBB164_493:
	s_or_b64 exec, exec, s[18:19]
	s_movk_i32 s18, 0x3ff
	v_lshrrev_b32_e32 v25, 5, v7
	v_cmp_lt_u32_e64 s[20:21], s18, v7
	s_movk_i32 s18, 0x400
	v_mov_b32_e32 v3, 0
	v_and_b32_e32 v23, 31, v0
	v_cmp_gt_u32_e64 s[18:19], s18, v7
	v_lshlrev_b32_e32 v24, 9, v25
	v_mov_b32_e32 v2, v3
	s_waitcnt lgkmcnt(0)
	s_barrier
	s_and_saveexec_b64 s[94:95], s[18:19]
	s_cbranch_execz .LBB164_555
; %bb.494:
	v_lshlrev_b32_e32 v26, 3, v23
	v_add_u32_e32 v28, v26, v24
	v_mul_u32_u24_e32 v27, 0x208, v25
	ds_read_b64 v[2:3], v28 offset:256
	ds_read_b64 v[29:30], v27
	s_movk_i32 s24, 0x3e0
	v_cmp_gt_u32_e64 s[24:25], s24, v7
	s_waitcnt lgkmcnt(0)
	v_mul_f32_e32 v31, v30, v3
	v_mul_f32_e32 v3, v29, v3
	v_fma_f32 v29, v29, v2, -v31
	v_fmac_f32_e32 v3, v30, v2
	v_add_f32_e32 v2, 0, v29
	v_add_f32_e32 v3, 0, v3
	s_and_saveexec_b64 s[26:27], s[24:25]
	s_cbranch_execz .LBB164_496
; %bb.495:
	ds_read_b64 v[29:30], v28 offset:768
	ds_read_b64 v[31:32], v27 offset:8
	s_waitcnt lgkmcnt(0)
	v_mul_f32_e32 v33, v32, v30
	v_mul_f32_e32 v30, v31, v30
	v_fma_f32 v31, v31, v29, -v33
	v_fmac_f32_e32 v30, v32, v29
	v_add_f32_e32 v2, v2, v31
	v_add_f32_e32 v3, v3, v30
.LBB164_496:
	s_or_b64 exec, exec, s[26:27]
	s_movk_i32 s24, 0x3c0
	v_cmp_gt_u32_e64 s[24:25], s24, v7
	s_and_saveexec_b64 s[26:27], s[24:25]
	s_cbranch_execz .LBB164_498
; %bb.497:
	ds_read_b64 v[29:30], v28 offset:1280
	ds_read_b64 v[31:32], v27 offset:16
	s_waitcnt lgkmcnt(0)
	v_mul_f32_e32 v33, v32, v30
	v_mul_f32_e32 v30, v31, v30
	v_fma_f32 v31, v31, v29, -v33
	v_fmac_f32_e32 v30, v32, v29
	v_add_f32_e32 v2, v2, v31
	v_add_f32_e32 v3, v3, v30
.LBB164_498:
	s_or_b64 exec, exec, s[26:27]
	s_movk_i32 s24, 0x3a0
	v_cmp_gt_u32_e64 s[24:25], s24, v7
	;; [unrolled: 16-line block ×28, first 2 shown]
	s_and_saveexec_b64 s[26:27], s[24:25]
	s_cbranch_execnz .LBB164_1074
; %bb.551:
	s_or_b64 exec, exec, s[26:27]
	v_cmp_gt_u32_e64 s[24:25], 64, v7
	s_and_saveexec_b64 s[26:27], s[24:25]
	s_cbranch_execnz .LBB164_1075
.LBB164_552:
	s_or_b64 exec, exec, s[26:27]
	v_cmp_gt_u32_e64 s[24:25], 32, v7
	s_and_saveexec_b64 s[26:27], s[24:25]
	s_cbranch_execz .LBB164_554
.LBB164_553:
	ds_read_b64 v[28:29], v26 offset:16128
	ds_read_b64 v[26:27], v27 offset:248
	s_waitcnt lgkmcnt(0)
	v_mul_f32_e32 v30, v27, v29
	v_mul_f32_e32 v29, v26, v29
	v_fma_f32 v26, v26, v28, -v30
	v_fmac_f32_e32 v29, v27, v28
	v_add_f32_e32 v2, v2, v26
	v_add_f32_e32 v3, v3, v29
.LBB164_554:
	s_or_b64 exec, exec, s[26:27]
	v_xor_b32_e32 v2, 0x80000000, v2
	v_xor_b32_e32 v3, 0x80000000, v3
.LBB164_555:
	s_or_b64 exec, exec, s[94:95]
	v_mov_b32_e32 v26, 0x8000
	v_lshl_or_b32 v25, v25, 3, v26
	v_mov_b32_e32 v26, 0x4100
	v_lshl_or_b32 v26, v23, 3, v26
	s_mov_b32 s26, 0
	s_xor_b64 s[24:25], s[20:21], -1
	v_mov_b32_e32 v27, v23
	s_branch .LBB164_557
.LBB164_556:                            ;   in Loop: Header=BB164_557 Depth=1
	s_or_b64 exec, exec, s[20:21]
	s_add_i32 s26, s26, 2
	v_add_u32_e32 v26, 0x400, v26
	s_cmp_eq_u32 s26, 32
	v_add_u32_e32 v27, -2, v27
	s_barrier
	s_cbranch_scc1 .LBB164_565
.LBB164_557:                            ; =>This Inner Loop Header: Depth=1
	v_cmp_eq_u32_e64 s[20:21], 0, v27
	s_and_b64 s[94:95], s[24:25], s[20:21]
	s_and_saveexec_b64 s[20:21], s[94:95]
; %bb.558:                              ;   in Loop: Header=BB164_557 Depth=1
	ds_write_b64 v25, v[2:3]
; %bb.559:                              ;   in Loop: Header=BB164_557 Depth=1
	s_or_b64 exec, exec, s[20:21]
	v_cmp_lt_u32_e64 s[20:21], s26, v23
	s_and_b64 s[94:95], s[24:25], s[20:21]
	s_waitcnt lgkmcnt(0)
	s_barrier
	s_and_saveexec_b64 s[20:21], s[94:95]
	s_cbranch_execz .LBB164_561
; %bb.560:                              ;   in Loop: Header=BB164_557 Depth=1
	ds_read_b64 v[28:29], v26
	ds_read_b64 v[30:31], v25
	s_waitcnt lgkmcnt(0)
	v_mul_f32_e32 v32, v31, v29
	v_mul_f32_e32 v29, v30, v29
	v_fma_f32 v30, v30, v28, -v32
	v_fmac_f32_e32 v29, v31, v28
	v_add_f32_e32 v2, v2, v30
	v_add_f32_e32 v3, v3, v29
.LBB164_561:                            ;   in Loop: Header=BB164_557 Depth=1
	s_or_b64 exec, exec, s[20:21]
	s_or_b32 s27, s26, 1
	v_cmp_eq_u32_e64 s[20:21], s27, v23
	s_and_b64 s[94:95], s[24:25], s[20:21]
	s_barrier
	s_and_saveexec_b64 s[20:21], s[94:95]
; %bb.562:                              ;   in Loop: Header=BB164_557 Depth=1
	ds_write_b64 v25, v[2:3]
; %bb.563:                              ;   in Loop: Header=BB164_557 Depth=1
	s_or_b64 exec, exec, s[20:21]
	v_cmp_lt_u32_e64 s[20:21], s27, v23
	s_and_b64 s[94:95], s[24:25], s[20:21]
	s_waitcnt lgkmcnt(0)
	s_barrier
	s_and_saveexec_b64 s[20:21], s[94:95]
	s_cbranch_execz .LBB164_556
; %bb.564:                              ;   in Loop: Header=BB164_557 Depth=1
	ds_read_b64 v[28:29], v26 offset:512
	ds_read_b64 v[30:31], v25
	s_waitcnt lgkmcnt(0)
	v_mul_f32_e32 v32, v31, v29
	v_mul_f32_e32 v29, v30, v29
	v_fma_f32 v30, v30, v28, -v32
	v_fmac_f32_e32 v29, v31, v28
	v_add_f32_e32 v2, v2, v30
	v_add_f32_e32 v3, v3, v29
	s_branch .LBB164_556
.LBB164_565:
	s_and_saveexec_b64 s[20:21], s[18:19]
; %bb.566:
	v_lshl_add_u32 v23, v23, 3, v24
	v_xor_b32_e32 v3, 0x80000000, v3
	v_xor_b32_e32 v2, 0x80000000, v2
	ds_write_b64 v23, v[2:3] offset:256
; %bb.567:
	s_or_b64 exec, exec, s[20:21]
	v_cmp_gt_u32_e64 s[18:19], 32, v0
	s_and_b64 s[18:19], s[16:17], s[18:19]
	s_waitcnt lgkmcnt(0)
	s_barrier
	s_barrier
	s_and_saveexec_b64 s[16:17], s[18:19]
	s_cbranch_execz .LBB164_569
; %bb.568:
	v_lshlrev_b32_e32 v23, 9, v0
	ds_read_b64 v[2:3], v23 offset:256
	s_movk_i32 s18, 0xfe08
	v_mad_i32_i24 v24, v0, s18, v23
	s_waitcnt lgkmcnt(0)
	ds_write_b64 v24, v[2:3] offset:16384
	ds_read_b64 v[2:3], v23 offset:264
	s_waitcnt lgkmcnt(0)
	ds_write_b64 v24, v[2:3] offset:16896
	ds_read_b64 v[2:3], v23 offset:272
	;; [unrolled: 3-line block ×31, first 2 shown]
	s_waitcnt lgkmcnt(0)
	ds_write_b64 v24, v[2:3] offset:32256
.LBB164_569:
	s_or_b64 exec, exec, s[16:17]
	s_waitcnt lgkmcnt(0)
	s_barrier
	s_and_saveexec_b64 s[16:17], vcc
	s_cbranch_execz .LBB164_571
; %bb.570:
	v_mov_b32_e32 v25, 0
	ds_read_b64 v[2:3], v25 offset:16648
	s_mov_b64 s[18:19], 0x3f800000
	v_mov_b32_e32 v24, s19
	v_mov_b32_e32 v23, s18
	s_movk_i32 s18, 0x100
	ds_write_b64 v25, v[23:24] offset:17160
	v_add_u32_e64 v25, s18, 0
	s_waitcnt lgkmcnt(1)
	ds_write2st64_b64 v25, v[23:24], v[2:3] offset0:32 offset1:33
.LBB164_571:
	s_or_b64 exec, exec, s[16:17]
	v_mov_b32_e32 v3, 0
	v_mov_b32_e32 v2, 0
	s_waitcnt lgkmcnt(0)
	s_barrier
	s_and_saveexec_b64 s[18:19], s[22:23]
	s_cbranch_execz .LBB164_575
; %bb.572:
	v_mul_u32_u24_e32 v23, 0x208, v6
	ds_read_b64 v[2:3], v4 offset:16656
	ds_read_b64 v[23:24], v23 offset:16640
	v_cmp_gt_u32_e64 s[16:17], 2, v7
	s_waitcnt lgkmcnt(0)
	v_mul_f32_e32 v25, v24, v3
	v_mul_f32_e32 v3, v23, v3
	v_fma_f32 v23, v23, v2, -v25
	v_fmac_f32_e32 v3, v24, v2
	v_add_f32_e32 v2, 0, v23
	v_add_f32_e32 v3, 0, v3
	s_and_saveexec_b64 s[20:21], s[16:17]
	s_cbranch_execz .LBB164_574
; %bb.573:
	v_lshlrev_b32_e32 v23, 3, v0
	v_mov_b32_e32 v25, 0
	ds_read_b64 v[23:24], v23 offset:17168
	ds_read_b64 v[25:26], v25 offset:16648
	s_waitcnt lgkmcnt(0)
	v_mul_f32_e32 v27, v26, v24
	v_mul_f32_e32 v24, v25, v24
	v_fma_f32 v25, v25, v23, -v27
	v_fmac_f32_e32 v24, v26, v23
	v_add_f32_e32 v2, v2, v25
	v_add_f32_e32 v3, v3, v24
.LBB164_574:
	s_or_b64 exec, exec, s[20:21]
	v_xor_b32_e32 v2, 0x80000000, v2
	v_xor_b32_e32 v3, 0x80000000, v3
.LBB164_575:
	s_or_b64 exec, exec, s[18:19]
	s_and_saveexec_b64 s[16:17], s[44:45]
; %bb.576:
	ds_write_b64 v5, v[2:3]
; %bb.577:
	s_or_b64 exec, exec, s[16:17]
	s_waitcnt lgkmcnt(0)
	s_barrier
	s_and_saveexec_b64 s[16:17], s[42:43]
	s_cbranch_execz .LBB164_579
; %bb.578:
	v_mov_b32_e32 v23, 0
	ds_read_b64 v[23:24], v23 offset:17688
	ds_read_b64 v[25:26], v5
	s_waitcnt lgkmcnt(0)
	v_mul_f32_e32 v27, v26, v24
	v_mul_f32_e32 v24, v25, v24
	v_fma_f32 v25, v25, v23, -v27
	v_fmac_f32_e32 v24, v26, v23
	v_add_f32_e32 v2, v2, v25
	v_add_f32_e32 v3, v3, v24
.LBB164_579:
	s_or_b64 exec, exec, s[16:17]
	s_barrier
	s_and_saveexec_b64 s[16:17], s[42:43]
; %bb.580:
	ds_write_b64 v5, v[2:3]
; %bb.581:
	s_or_b64 exec, exec, s[16:17]
	s_waitcnt lgkmcnt(0)
	s_barrier
	s_barrier
	s_and_saveexec_b64 s[16:17], s[22:23]
; %bb.582:
	v_xor_b32_e32 v3, 0x80000000, v3
	v_xor_b32_e32 v2, 0x80000000, v2
	ds_write_b64 v4, v[2:3] offset:16656
; %bb.583:
	s_or_b64 exec, exec, s[16:17]
	s_waitcnt lgkmcnt(0)
	s_barrier
	s_barrier
	s_and_saveexec_b64 s[16:17], s[46:47]
	s_cbranch_execz .LBB164_585
; %bb.584:
	v_lshlrev_b32_e32 v23, 3, v0
	s_movk_i32 s18, 0x1f8
	v_mad_u32_u24 v24, v0, s18, v23
	ds_read_b64 v[2:3], v24 offset:16656
	s_waitcnt lgkmcnt(0)
	ds_write_b64 v23, v[2:3] offset:17664
	ds_read_b64 v[2:3], v24 offset:16664
	s_waitcnt lgkmcnt(0)
	ds_write_b64 v23, v[2:3] offset:18176
.LBB164_585:
	s_or_b64 exec, exec, s[16:17]
	s_waitcnt lgkmcnt(0)
	s_barrier
	s_and_saveexec_b64 s[16:17], vcc
	s_cbranch_execz .LBB164_587
; %bb.586:
	v_mov_b32_e32 v25, 0
	ds_read_b64 v[2:3], v25 offset:17688
	s_mov_b64 s[18:19], 0x3f800000
	v_mov_b32_e32 v24, s19
	v_mov_b32_e32 v23, s18
	s_movk_i32 s18, 0x110
	ds_write_b64 v25, v[23:24] offset:18200
	v_add_u32_e64 v25, s18, 0
	s_waitcnt lgkmcnt(1)
	ds_write2st64_b64 v25, v[23:24], v[2:3] offset0:34 offset1:35
.LBB164_587:
	s_or_b64 exec, exec, s[16:17]
	v_mov_b32_e32 v3, 0
	v_mov_b32_e32 v2, 0
	s_waitcnt lgkmcnt(0)
	s_barrier
	s_and_saveexec_b64 s[18:19], s[10:11]
	s_cbranch_execz .LBB164_593
; %bb.588:
	v_mul_u32_u24_e32 v23, 0x208, v12
	ds_read_b64 v[2:3], v8 offset:16672
	ds_read_b64 v[24:25], v23 offset:16640
	v_cmp_gt_u32_e64 s[16:17], 12, v7
	s_waitcnt lgkmcnt(0)
	v_mul_f32_e32 v26, v25, v3
	v_mul_f32_e32 v3, v24, v3
	v_fma_f32 v24, v24, v2, -v26
	v_fmac_f32_e32 v3, v25, v2
	v_add_f32_e32 v2, 0, v24
	v_add_f32_e32 v3, 0, v3
	s_and_saveexec_b64 s[20:21], s[16:17]
	s_cbranch_execnz .LBB164_1076
; %bb.589:
	s_or_b64 exec, exec, s[20:21]
	v_cmp_gt_u32_e64 s[16:17], 8, v7
	s_and_saveexec_b64 s[20:21], s[16:17]
	s_cbranch_execnz .LBB164_1077
.LBB164_590:
	s_or_b64 exec, exec, s[20:21]
	v_cmp_gt_u32_e64 s[16:17], 4, v7
	s_and_saveexec_b64 s[20:21], s[16:17]
	s_cbranch_execz .LBB164_592
.LBB164_591:
	v_lshlrev_b32_e32 v23, 3, v0
	v_mov_b32_e32 v25, 0
	ds_read_b64 v[23:24], v23 offset:18208
	ds_read_b64 v[25:26], v25 offset:16664
	s_waitcnt lgkmcnt(0)
	v_mul_f32_e32 v27, v26, v24
	v_mul_f32_e32 v24, v25, v24
	v_fma_f32 v25, v25, v23, -v27
	v_fmac_f32_e32 v24, v26, v23
	v_add_f32_e32 v2, v2, v25
	v_add_f32_e32 v3, v3, v24
.LBB164_592:
	s_or_b64 exec, exec, s[20:21]
	v_xor_b32_e32 v2, 0x80000000, v2
	v_xor_b32_e32 v3, 0x80000000, v3
.LBB164_593:
	s_or_b64 exec, exec, s[18:19]
	s_and_saveexec_b64 s[16:17], s[50:51]
; %bb.594:
	ds_write_b64 v10, v[2:3]
; %bb.595:
	s_or_b64 exec, exec, s[16:17]
	s_waitcnt lgkmcnt(0)
	s_barrier
	s_and_saveexec_b64 s[16:17], s[52:53]
	s_cbranch_execz .LBB164_597
; %bb.596:
	ds_read_b64 v[23:24], v9 offset:18720
	ds_read_b64 v[25:26], v10
	s_waitcnt lgkmcnt(0)
	v_mul_f32_e32 v27, v26, v24
	v_mul_f32_e32 v24, v25, v24
	v_fma_f32 v25, v25, v23, -v27
	v_fmac_f32_e32 v24, v26, v23
	v_add_f32_e32 v2, v2, v25
	v_add_f32_e32 v3, v3, v24
.LBB164_597:
	s_or_b64 exec, exec, s[16:17]
	s_barrier
	s_and_saveexec_b64 s[16:17], s[54:55]
; %bb.598:
	ds_write_b64 v10, v[2:3]
; %bb.599:
	s_or_b64 exec, exec, s[16:17]
	s_waitcnt lgkmcnt(0)
	s_barrier
	s_and_saveexec_b64 s[16:17], s[56:57]
	s_cbranch_execz .LBB164_601
; %bb.600:
	ds_read_b64 v[23:24], v9 offset:19232
	ds_read_b64 v[25:26], v10
	s_waitcnt lgkmcnt(0)
	v_mul_f32_e32 v27, v26, v24
	v_mul_f32_e32 v24, v25, v24
	v_fma_f32 v25, v25, v23, -v27
	v_fmac_f32_e32 v24, v26, v23
	v_add_f32_e32 v2, v2, v25
	v_add_f32_e32 v3, v3, v24
.LBB164_601:
	s_or_b64 exec, exec, s[16:17]
	s_barrier
	s_and_saveexec_b64 s[16:17], s[58:59]
; %bb.602:
	ds_write_b64 v10, v[2:3]
; %bb.603:
	s_or_b64 exec, exec, s[16:17]
	s_waitcnt lgkmcnt(0)
	s_barrier
	s_and_saveexec_b64 s[16:17], s[48:49]
	s_cbranch_execz .LBB164_605
; %bb.604:
	v_mov_b32_e32 v23, 0
	ds_read_b64 v[23:24], v23 offset:19768
	ds_read_b64 v[25:26], v10
	s_waitcnt lgkmcnt(0)
	v_mul_f32_e32 v27, v26, v24
	v_mul_f32_e32 v24, v25, v24
	v_fma_f32 v25, v25, v23, -v27
	v_fmac_f32_e32 v24, v26, v23
	v_add_f32_e32 v2, v2, v25
	v_add_f32_e32 v3, v3, v24
.LBB164_605:
	s_or_b64 exec, exec, s[16:17]
	s_barrier
	s_and_saveexec_b64 s[16:17], s[48:49]
; %bb.606:
	ds_write_b64 v10, v[2:3]
; %bb.607:
	s_or_b64 exec, exec, s[16:17]
	s_waitcnt lgkmcnt(0)
	s_barrier
	s_barrier
	s_and_saveexec_b64 s[16:17], s[10:11]
; %bb.608:
	v_xor_b32_e32 v2, 0x80000000, v2
	v_xor_b32_e32 v3, 0x80000000, v3
	ds_write_b64 v8, v[2:3] offset:16672
; %bb.609:
	s_or_b64 exec, exec, s[16:17]
	s_waitcnt lgkmcnt(0)
	s_barrier
	s_barrier
	s_and_saveexec_b64 s[16:17], s[60:61]
	s_cbranch_execz .LBB164_611
; %bb.610:
	v_lshlrev_b32_e32 v23, 9, v0
	ds_read_b64 v[2:3], v23 offset:16672
	s_movk_i32 s18, 0xfe08
	v_mad_i32_i24 v24, v0, s18, v23
	s_waitcnt lgkmcnt(0)
	ds_write_b64 v24, v[2:3] offset:18688
	ds_read_b64 v[2:3], v23 offset:16680
	s_waitcnt lgkmcnt(0)
	ds_write_b64 v24, v[2:3] offset:19200
	ds_read_b64 v[2:3], v23 offset:16688
	;; [unrolled: 3-line block ×3, first 2 shown]
	s_waitcnt lgkmcnt(0)
	ds_write_b64 v24, v[2:3] offset:20224
.LBB164_611:
	s_or_b64 exec, exec, s[16:17]
	s_waitcnt lgkmcnt(0)
	s_barrier
	s_and_saveexec_b64 s[16:17], vcc
	s_cbranch_execz .LBB164_613
; %bb.612:
	v_mov_b32_e32 v25, 0
	ds_read_b64 v[2:3], v25 offset:18728
	s_mov_b64 s[18:19], 0x3f800000
	v_mov_b32_e32 v24, s19
	v_mov_b32_e32 v23, s18
	s_movk_i32 s18, 0x120
	ds_write_b64 v25, v[23:24] offset:19240
	v_add_u32_e64 v25, s18, 0
	s_waitcnt lgkmcnt(1)
	ds_write2st64_b64 v25, v[23:24], v[2:3] offset0:36 offset1:37
.LBB164_613:
	s_or_b64 exec, exec, s[16:17]
	v_mov_b32_e32 v3, 0
	v_mov_b32_e32 v2, 0
	s_waitcnt lgkmcnt(0)
	s_barrier
	s_and_saveexec_b64 s[18:19], s[22:23]
	s_cbranch_execz .LBB164_617
; %bb.614:
	v_mul_u32_u24_e32 v23, 0x208, v6
	ds_read_b64 v[2:3], v4 offset:18736
	ds_read_b64 v[23:24], v23 offset:18720
	v_cmp_gt_u32_e64 s[16:17], 2, v7
	s_waitcnt lgkmcnt(0)
	v_mul_f32_e32 v25, v24, v3
	v_mul_f32_e32 v3, v23, v3
	v_fma_f32 v23, v23, v2, -v25
	v_fmac_f32_e32 v3, v24, v2
	v_add_f32_e32 v2, 0, v23
	v_add_f32_e32 v3, 0, v3
	s_and_saveexec_b64 s[20:21], s[16:17]
	s_cbranch_execz .LBB164_616
; %bb.615:
	v_lshlrev_b32_e32 v23, 3, v0
	v_mov_b32_e32 v25, 0
	ds_read_b64 v[23:24], v23 offset:19248
	ds_read_b64 v[25:26], v25 offset:18728
	s_waitcnt lgkmcnt(0)
	v_mul_f32_e32 v27, v26, v24
	v_mul_f32_e32 v24, v25, v24
	v_fma_f32 v25, v25, v23, -v27
	v_fmac_f32_e32 v24, v26, v23
	v_add_f32_e32 v2, v2, v25
	v_add_f32_e32 v3, v3, v24
.LBB164_616:
	s_or_b64 exec, exec, s[20:21]
	v_xor_b32_e32 v2, 0x80000000, v2
	v_xor_b32_e32 v3, 0x80000000, v3
.LBB164_617:
	s_or_b64 exec, exec, s[18:19]
	s_and_saveexec_b64 s[16:17], s[44:45]
; %bb.618:
	ds_write_b64 v5, v[2:3]
; %bb.619:
	s_or_b64 exec, exec, s[16:17]
	s_waitcnt lgkmcnt(0)
	s_barrier
	s_and_saveexec_b64 s[16:17], s[42:43]
	s_cbranch_execz .LBB164_621
; %bb.620:
	v_mov_b32_e32 v23, 0
	ds_read_b64 v[23:24], v23 offset:19768
	ds_read_b64 v[25:26], v5
	s_waitcnt lgkmcnt(0)
	v_mul_f32_e32 v27, v26, v24
	v_mul_f32_e32 v24, v25, v24
	v_fma_f32 v25, v25, v23, -v27
	v_fmac_f32_e32 v24, v26, v23
	v_add_f32_e32 v2, v2, v25
	v_add_f32_e32 v3, v3, v24
.LBB164_621:
	s_or_b64 exec, exec, s[16:17]
	s_barrier
	s_and_saveexec_b64 s[16:17], s[42:43]
; %bb.622:
	ds_write_b64 v5, v[2:3]
; %bb.623:
	s_or_b64 exec, exec, s[16:17]
	s_waitcnt lgkmcnt(0)
	s_barrier
	s_barrier
	s_and_saveexec_b64 s[16:17], s[22:23]
; %bb.624:
	v_xor_b32_e32 v3, 0x80000000, v3
	v_xor_b32_e32 v2, 0x80000000, v2
	ds_write_b64 v4, v[2:3] offset:18736
; %bb.625:
	s_or_b64 exec, exec, s[16:17]
	s_waitcnt lgkmcnt(0)
	s_barrier
	s_barrier
	s_and_saveexec_b64 s[16:17], s[46:47]
	s_cbranch_execz .LBB164_627
; %bb.626:
	v_lshlrev_b32_e32 v23, 3, v0
	s_movk_i32 s18, 0x1f8
	v_mad_u32_u24 v24, v0, s18, v23
	ds_read_b64 v[2:3], v24 offset:18736
	s_waitcnt lgkmcnt(0)
	ds_write_b64 v23, v[2:3] offset:19744
	ds_read_b64 v[2:3], v24 offset:18744
	s_waitcnt lgkmcnt(0)
	ds_write_b64 v23, v[2:3] offset:20256
.LBB164_627:
	s_or_b64 exec, exec, s[16:17]
	s_waitcnt lgkmcnt(0)
	s_barrier
	s_and_saveexec_b64 s[16:17], vcc
	s_cbranch_execz .LBB164_629
; %bb.628:
	v_mov_b32_e32 v25, 0
	ds_read_b64 v[2:3], v25 offset:19768
	s_mov_b64 s[18:19], 0x3f800000
	v_mov_b32_e32 v24, s19
	v_mov_b32_e32 v23, s18
	s_movk_i32 s18, 0x130
	ds_write_b64 v25, v[23:24] offset:20280
	v_add_u32_e64 v25, s18, 0
	s_waitcnt lgkmcnt(1)
	ds_write2st64_b64 v25, v[23:24], v[2:3] offset0:38 offset1:39
.LBB164_629:
	s_or_b64 exec, exec, s[16:17]
	v_mov_b32_e32 v3, 0
	v_mov_b32_e32 v2, 0
	s_waitcnt lgkmcnt(0)
	s_barrier
	s_and_saveexec_b64 s[18:19], s[12:13]
	s_cbranch_execz .LBB164_639
; %bb.630:
	v_mul_u32_u24_e32 v23, 0x208, v17
	ds_read_b64 v[2:3], v13 offset:16704
	ds_read_b64 v[24:25], v23 offset:16640
	v_cmp_gt_u32_e64 s[16:17], 56, v7
	s_waitcnt lgkmcnt(0)
	v_mul_f32_e32 v26, v25, v3
	v_mul_f32_e32 v3, v24, v3
	v_fma_f32 v24, v24, v2, -v26
	v_fmac_f32_e32 v3, v25, v2
	v_add_f32_e32 v2, 0, v24
	v_add_f32_e32 v3, 0, v3
	s_and_saveexec_b64 s[20:21], s[16:17]
	s_cbranch_execnz .LBB164_1078
; %bb.631:
	s_or_b64 exec, exec, s[20:21]
	v_cmp_gt_u32_e64 s[16:17], 48, v7
	s_and_saveexec_b64 s[20:21], s[16:17]
	s_cbranch_execnz .LBB164_1079
.LBB164_632:
	s_or_b64 exec, exec, s[20:21]
	v_cmp_gt_u32_e64 s[16:17], 40, v7
	s_and_saveexec_b64 s[20:21], s[16:17]
	s_cbranch_execnz .LBB164_1080
.LBB164_633:
	s_or_b64 exec, exec, s[20:21]
	v_cmp_gt_u32_e64 s[16:17], 32, v7
	s_and_saveexec_b64 s[20:21], s[16:17]
	s_cbranch_execnz .LBB164_1081
.LBB164_634:
	s_or_b64 exec, exec, s[20:21]
	v_cmp_gt_u32_e64 s[16:17], 24, v7
	s_and_saveexec_b64 s[20:21], s[16:17]
	s_cbranch_execnz .LBB164_1082
.LBB164_635:
	s_or_b64 exec, exec, s[20:21]
	v_cmp_gt_u32_e64 s[16:17], 16, v7
	s_and_saveexec_b64 s[20:21], s[16:17]
	s_cbranch_execnz .LBB164_1083
.LBB164_636:
	s_or_b64 exec, exec, s[20:21]
	v_cmp_gt_u32_e64 s[16:17], 8, v7
	s_and_saveexec_b64 s[20:21], s[16:17]
	s_cbranch_execz .LBB164_638
.LBB164_637:
	v_lshlrev_b32_e32 v23, 3, v0
	v_mov_b32_e32 v25, 0
	ds_read_b64 v[23:24], v23 offset:20288
	ds_read_b64 v[25:26], v25 offset:16696
	s_waitcnt lgkmcnt(0)
	v_mul_f32_e32 v27, v26, v24
	v_mul_f32_e32 v24, v25, v24
	v_fma_f32 v25, v25, v23, -v27
	v_fmac_f32_e32 v24, v26, v23
	v_add_f32_e32 v2, v2, v25
	v_add_f32_e32 v3, v3, v24
.LBB164_638:
	s_or_b64 exec, exec, s[20:21]
	v_xor_b32_e32 v2, 0x80000000, v2
	v_xor_b32_e32 v3, 0x80000000, v3
.LBB164_639:
	s_or_b64 exec, exec, s[18:19]
	s_and_saveexec_b64 s[16:17], s[64:65]
; %bb.640:
	ds_write_b64 v15, v[2:3]
; %bb.641:
	s_or_b64 exec, exec, s[16:17]
	s_waitcnt lgkmcnt(0)
	s_barrier
	s_and_saveexec_b64 s[16:17], s[66:67]
	s_cbranch_execz .LBB164_643
; %bb.642:
	ds_read_b64 v[23:24], v14 offset:20800
	ds_read_b64 v[25:26], v15
	s_waitcnt lgkmcnt(0)
	v_mul_f32_e32 v27, v26, v24
	v_mul_f32_e32 v24, v25, v24
	v_fma_f32 v25, v25, v23, -v27
	v_fmac_f32_e32 v24, v26, v23
	v_add_f32_e32 v2, v2, v25
	v_add_f32_e32 v3, v3, v24
.LBB164_643:
	s_or_b64 exec, exec, s[16:17]
	s_barrier
	s_and_saveexec_b64 s[16:17], s[68:69]
; %bb.644:
	ds_write_b64 v15, v[2:3]
; %bb.645:
	s_or_b64 exec, exec, s[16:17]
	s_waitcnt lgkmcnt(0)
	s_barrier
	s_and_saveexec_b64 s[16:17], s[70:71]
	s_cbranch_execz .LBB164_647
; %bb.646:
	ds_read_b64 v[23:24], v14 offset:21312
	ds_read_b64 v[25:26], v15
	s_waitcnt lgkmcnt(0)
	v_mul_f32_e32 v27, v26, v24
	v_mul_f32_e32 v24, v25, v24
	v_fma_f32 v25, v25, v23, -v27
	v_fmac_f32_e32 v24, v26, v23
	v_add_f32_e32 v2, v2, v25
	v_add_f32_e32 v3, v3, v24
.LBB164_647:
	s_or_b64 exec, exec, s[16:17]
	s_barrier
	;; [unrolled: 22-line block ×6, first 2 shown]
	s_and_saveexec_b64 s[16:17], s[88:89]
; %bb.664:
	ds_write_b64 v15, v[2:3]
; %bb.665:
	s_or_b64 exec, exec, s[16:17]
	s_waitcnt lgkmcnt(0)
	s_barrier
	s_and_saveexec_b64 s[16:17], s[62:63]
	s_cbranch_execz .LBB164_667
; %bb.666:
	v_mov_b32_e32 v23, 0
	ds_read_b64 v[23:24], v23 offset:23928
	ds_read_b64 v[25:26], v15
	s_waitcnt lgkmcnt(0)
	v_mul_f32_e32 v27, v26, v24
	v_mul_f32_e32 v24, v25, v24
	v_fma_f32 v25, v25, v23, -v27
	v_fmac_f32_e32 v24, v26, v23
	v_add_f32_e32 v2, v2, v25
	v_add_f32_e32 v3, v3, v24
.LBB164_667:
	s_or_b64 exec, exec, s[16:17]
	s_barrier
	s_and_saveexec_b64 s[16:17], s[62:63]
; %bb.668:
	ds_write_b64 v15, v[2:3]
; %bb.669:
	s_or_b64 exec, exec, s[16:17]
	s_waitcnt lgkmcnt(0)
	s_barrier
	s_barrier
	s_and_saveexec_b64 s[16:17], s[12:13]
; %bb.670:
	v_xor_b32_e32 v3, 0x80000000, v3
	v_xor_b32_e32 v2, 0x80000000, v2
	ds_write_b64 v13, v[2:3] offset:16704
; %bb.671:
	s_or_b64 exec, exec, s[16:17]
	s_waitcnt lgkmcnt(0)
	s_barrier
	s_barrier
	s_and_saveexec_b64 s[16:17], s[90:91]
	s_cbranch_execz .LBB164_673
; %bb.672:
	v_lshlrev_b32_e32 v23, 9, v0
	ds_read_b64 v[2:3], v23 offset:16704
	s_movk_i32 s18, 0xfe08
	v_mad_i32_i24 v24, v0, s18, v23
	s_waitcnt lgkmcnt(0)
	ds_write_b64 v24, v[2:3] offset:20736
	ds_read_b64 v[2:3], v23 offset:16712
	s_waitcnt lgkmcnt(0)
	ds_write_b64 v24, v[2:3] offset:21248
	ds_read_b64 v[2:3], v23 offset:16720
	;; [unrolled: 3-line block ×7, first 2 shown]
	s_waitcnt lgkmcnt(0)
	ds_write_b64 v24, v[2:3] offset:24320
.LBB164_673:
	s_or_b64 exec, exec, s[16:17]
	s_waitcnt lgkmcnt(0)
	s_barrier
	s_and_saveexec_b64 s[16:17], vcc
	s_cbranch_execz .LBB164_675
; %bb.674:
	v_mov_b32_e32 v25, 0
	ds_read_b64 v[2:3], v25 offset:20808
	s_mov_b64 s[18:19], 0x3f800000
	v_mov_b32_e32 v24, s19
	v_mov_b32_e32 v23, s18
	s_movk_i32 s18, 0x140
	ds_write_b64 v25, v[23:24] offset:21320
	v_add_u32_e64 v25, s18, 0
	s_waitcnt lgkmcnt(1)
	ds_write2st64_b64 v25, v[23:24], v[2:3] offset0:40 offset1:41
.LBB164_675:
	s_or_b64 exec, exec, s[16:17]
	v_mov_b32_e32 v3, 0
	v_mov_b32_e32 v2, 0
	s_waitcnt lgkmcnt(0)
	s_barrier
	s_and_saveexec_b64 s[18:19], s[22:23]
	s_cbranch_execz .LBB164_679
; %bb.676:
	v_mul_u32_u24_e32 v23, 0x208, v6
	ds_read_b64 v[2:3], v4 offset:20816
	ds_read_b64 v[23:24], v23 offset:20800
	v_cmp_gt_u32_e64 s[16:17], 2, v7
	s_waitcnt lgkmcnt(0)
	v_mul_f32_e32 v25, v24, v3
	v_mul_f32_e32 v3, v23, v3
	v_fma_f32 v23, v23, v2, -v25
	v_fmac_f32_e32 v3, v24, v2
	v_add_f32_e32 v2, 0, v23
	v_add_f32_e32 v3, 0, v3
	s_and_saveexec_b64 s[20:21], s[16:17]
	s_cbranch_execz .LBB164_678
; %bb.677:
	v_lshlrev_b32_e32 v23, 3, v0
	v_mov_b32_e32 v25, 0
	ds_read_b64 v[23:24], v23 offset:21328
	ds_read_b64 v[25:26], v25 offset:20808
	s_waitcnt lgkmcnt(0)
	v_mul_f32_e32 v27, v26, v24
	v_mul_f32_e32 v24, v25, v24
	v_fma_f32 v25, v25, v23, -v27
	v_fmac_f32_e32 v24, v26, v23
	v_add_f32_e32 v2, v2, v25
	v_add_f32_e32 v3, v3, v24
.LBB164_678:
	s_or_b64 exec, exec, s[20:21]
	v_xor_b32_e32 v2, 0x80000000, v2
	v_xor_b32_e32 v3, 0x80000000, v3
.LBB164_679:
	s_or_b64 exec, exec, s[18:19]
	s_and_saveexec_b64 s[16:17], s[44:45]
; %bb.680:
	ds_write_b64 v5, v[2:3]
; %bb.681:
	s_or_b64 exec, exec, s[16:17]
	s_waitcnt lgkmcnt(0)
	s_barrier
	s_and_saveexec_b64 s[16:17], s[42:43]
	s_cbranch_execz .LBB164_683
; %bb.682:
	v_mov_b32_e32 v23, 0
	ds_read_b64 v[23:24], v23 offset:21848
	ds_read_b64 v[25:26], v5
	s_waitcnt lgkmcnt(0)
	v_mul_f32_e32 v27, v26, v24
	v_mul_f32_e32 v24, v25, v24
	v_fma_f32 v25, v25, v23, -v27
	v_fmac_f32_e32 v24, v26, v23
	v_add_f32_e32 v2, v2, v25
	v_add_f32_e32 v3, v3, v24
.LBB164_683:
	s_or_b64 exec, exec, s[16:17]
	s_barrier
	s_and_saveexec_b64 s[16:17], s[42:43]
; %bb.684:
	ds_write_b64 v5, v[2:3]
; %bb.685:
	s_or_b64 exec, exec, s[16:17]
	s_waitcnt lgkmcnt(0)
	s_barrier
	s_barrier
	s_and_saveexec_b64 s[16:17], s[22:23]
; %bb.686:
	v_xor_b32_e32 v3, 0x80000000, v3
	v_xor_b32_e32 v2, 0x80000000, v2
	ds_write_b64 v4, v[2:3] offset:20816
; %bb.687:
	s_or_b64 exec, exec, s[16:17]
	s_waitcnt lgkmcnt(0)
	s_barrier
	s_barrier
	s_and_saveexec_b64 s[16:17], s[46:47]
	s_cbranch_execz .LBB164_689
; %bb.688:
	v_lshlrev_b32_e32 v23, 3, v0
	s_movk_i32 s18, 0x1f8
	v_mad_u32_u24 v24, v0, s18, v23
	ds_read_b64 v[2:3], v24 offset:20816
	s_waitcnt lgkmcnt(0)
	ds_write_b64 v23, v[2:3] offset:21824
	ds_read_b64 v[2:3], v24 offset:20824
	s_waitcnt lgkmcnt(0)
	ds_write_b64 v23, v[2:3] offset:22336
.LBB164_689:
	s_or_b64 exec, exec, s[16:17]
	s_waitcnt lgkmcnt(0)
	s_barrier
	s_and_saveexec_b64 s[16:17], vcc
	s_cbranch_execz .LBB164_691
; %bb.690:
	v_mov_b32_e32 v25, 0
	ds_read_b64 v[2:3], v25 offset:21848
	s_mov_b64 s[18:19], 0x3f800000
	v_mov_b32_e32 v24, s19
	v_mov_b32_e32 v23, s18
	s_movk_i32 s18, 0x150
	ds_write_b64 v25, v[23:24] offset:22360
	v_add_u32_e64 v25, s18, 0
	s_waitcnt lgkmcnt(1)
	ds_write2st64_b64 v25, v[23:24], v[2:3] offset0:42 offset1:43
.LBB164_691:
	s_or_b64 exec, exec, s[16:17]
	v_mov_b32_e32 v3, 0
	v_mov_b32_e32 v2, 0
	s_waitcnt lgkmcnt(0)
	s_barrier
	s_and_saveexec_b64 s[18:19], s[10:11]
	s_cbranch_execz .LBB164_697
; %bb.692:
	v_mul_u32_u24_e32 v23, 0x208, v12
	ds_read_b64 v[2:3], v8 offset:20832
	ds_read_b64 v[24:25], v23 offset:20800
	v_cmp_gt_u32_e64 s[16:17], 12, v7
	s_waitcnt lgkmcnt(0)
	v_mul_f32_e32 v26, v25, v3
	v_mul_f32_e32 v3, v24, v3
	v_fma_f32 v24, v24, v2, -v26
	v_fmac_f32_e32 v3, v25, v2
	v_add_f32_e32 v2, 0, v24
	v_add_f32_e32 v3, 0, v3
	s_and_saveexec_b64 s[20:21], s[16:17]
	s_cbranch_execnz .LBB164_1084
; %bb.693:
	s_or_b64 exec, exec, s[20:21]
	v_cmp_gt_u32_e64 s[16:17], 8, v7
	s_and_saveexec_b64 s[20:21], s[16:17]
	s_cbranch_execnz .LBB164_1085
.LBB164_694:
	s_or_b64 exec, exec, s[20:21]
	v_cmp_gt_u32_e64 s[16:17], 4, v7
	s_and_saveexec_b64 s[20:21], s[16:17]
	s_cbranch_execz .LBB164_696
.LBB164_695:
	v_lshlrev_b32_e32 v23, 3, v0
	v_mov_b32_e32 v25, 0
	ds_read_b64 v[23:24], v23 offset:22368
	ds_read_b64 v[25:26], v25 offset:20824
	s_waitcnt lgkmcnt(0)
	v_mul_f32_e32 v27, v26, v24
	v_mul_f32_e32 v24, v25, v24
	v_fma_f32 v25, v25, v23, -v27
	v_fmac_f32_e32 v24, v26, v23
	v_add_f32_e32 v2, v2, v25
	v_add_f32_e32 v3, v3, v24
.LBB164_696:
	s_or_b64 exec, exec, s[20:21]
	v_xor_b32_e32 v2, 0x80000000, v2
	v_xor_b32_e32 v3, 0x80000000, v3
.LBB164_697:
	s_or_b64 exec, exec, s[18:19]
	s_and_saveexec_b64 s[16:17], s[50:51]
; %bb.698:
	ds_write_b64 v10, v[2:3]
; %bb.699:
	s_or_b64 exec, exec, s[16:17]
	s_waitcnt lgkmcnt(0)
	s_barrier
	s_and_saveexec_b64 s[16:17], s[52:53]
	s_cbranch_execz .LBB164_701
; %bb.700:
	ds_read_b64 v[23:24], v9 offset:22880
	ds_read_b64 v[25:26], v10
	s_waitcnt lgkmcnt(0)
	v_mul_f32_e32 v27, v26, v24
	v_mul_f32_e32 v24, v25, v24
	v_fma_f32 v25, v25, v23, -v27
	v_fmac_f32_e32 v24, v26, v23
	v_add_f32_e32 v2, v2, v25
	v_add_f32_e32 v3, v3, v24
.LBB164_701:
	s_or_b64 exec, exec, s[16:17]
	s_barrier
	s_and_saveexec_b64 s[16:17], s[54:55]
; %bb.702:
	ds_write_b64 v10, v[2:3]
; %bb.703:
	s_or_b64 exec, exec, s[16:17]
	s_waitcnt lgkmcnt(0)
	s_barrier
	s_and_saveexec_b64 s[16:17], s[56:57]
	s_cbranch_execz .LBB164_705
; %bb.704:
	ds_read_b64 v[23:24], v9 offset:23392
	ds_read_b64 v[25:26], v10
	s_waitcnt lgkmcnt(0)
	v_mul_f32_e32 v27, v26, v24
	v_mul_f32_e32 v24, v25, v24
	v_fma_f32 v25, v25, v23, -v27
	v_fmac_f32_e32 v24, v26, v23
	v_add_f32_e32 v2, v2, v25
	v_add_f32_e32 v3, v3, v24
.LBB164_705:
	s_or_b64 exec, exec, s[16:17]
	s_barrier
	s_and_saveexec_b64 s[16:17], s[58:59]
; %bb.706:
	ds_write_b64 v10, v[2:3]
; %bb.707:
	s_or_b64 exec, exec, s[16:17]
	s_waitcnt lgkmcnt(0)
	s_barrier
	s_and_saveexec_b64 s[16:17], s[48:49]
	s_cbranch_execz .LBB164_709
; %bb.708:
	v_mov_b32_e32 v23, 0
	ds_read_b64 v[23:24], v23 offset:23928
	ds_read_b64 v[25:26], v10
	s_waitcnt lgkmcnt(0)
	v_mul_f32_e32 v27, v26, v24
	v_mul_f32_e32 v24, v25, v24
	v_fma_f32 v25, v25, v23, -v27
	v_fmac_f32_e32 v24, v26, v23
	v_add_f32_e32 v2, v2, v25
	v_add_f32_e32 v3, v3, v24
.LBB164_709:
	s_or_b64 exec, exec, s[16:17]
	s_barrier
	s_and_saveexec_b64 s[16:17], s[48:49]
; %bb.710:
	ds_write_b64 v10, v[2:3]
; %bb.711:
	s_or_b64 exec, exec, s[16:17]
	s_waitcnt lgkmcnt(0)
	s_barrier
	s_barrier
	s_and_saveexec_b64 s[16:17], s[10:11]
; %bb.712:
	v_xor_b32_e32 v2, 0x80000000, v2
	v_xor_b32_e32 v3, 0x80000000, v3
	ds_write_b64 v8, v[2:3] offset:20832
; %bb.713:
	s_or_b64 exec, exec, s[16:17]
	s_waitcnt lgkmcnt(0)
	s_barrier
	s_barrier
	s_and_saveexec_b64 s[16:17], s[60:61]
	s_cbranch_execz .LBB164_715
; %bb.714:
	v_lshlrev_b32_e32 v23, 9, v0
	ds_read_b64 v[2:3], v23 offset:20832
	s_movk_i32 s18, 0xfe08
	v_mad_i32_i24 v24, v0, s18, v23
	s_waitcnt lgkmcnt(0)
	ds_write_b64 v24, v[2:3] offset:22848
	ds_read_b64 v[2:3], v23 offset:20840
	s_waitcnt lgkmcnt(0)
	ds_write_b64 v24, v[2:3] offset:23360
	ds_read_b64 v[2:3], v23 offset:20848
	;; [unrolled: 3-line block ×3, first 2 shown]
	s_waitcnt lgkmcnt(0)
	ds_write_b64 v24, v[2:3] offset:24384
.LBB164_715:
	s_or_b64 exec, exec, s[16:17]
	s_waitcnt lgkmcnt(0)
	s_barrier
	s_and_saveexec_b64 s[16:17], vcc
	s_cbranch_execz .LBB164_717
; %bb.716:
	v_mov_b32_e32 v25, 0
	ds_read_b64 v[2:3], v25 offset:22888
	s_mov_b64 s[18:19], 0x3f800000
	v_mov_b32_e32 v24, s19
	v_mov_b32_e32 v23, s18
	s_movk_i32 s18, 0x160
	ds_write_b64 v25, v[23:24] offset:23400
	v_add_u32_e64 v25, s18, 0
	s_waitcnt lgkmcnt(1)
	ds_write2st64_b64 v25, v[23:24], v[2:3] offset0:44 offset1:45
.LBB164_717:
	s_or_b64 exec, exec, s[16:17]
	v_mov_b32_e32 v3, 0
	v_mov_b32_e32 v2, 0
	s_waitcnt lgkmcnt(0)
	s_barrier
	s_and_saveexec_b64 s[18:19], s[22:23]
	s_cbranch_execz .LBB164_721
; %bb.718:
	v_mul_u32_u24_e32 v23, 0x208, v6
	ds_read_b64 v[2:3], v4 offset:22896
	ds_read_b64 v[23:24], v23 offset:22880
	v_cmp_gt_u32_e64 s[16:17], 2, v7
	s_waitcnt lgkmcnt(0)
	v_mul_f32_e32 v25, v24, v3
	v_mul_f32_e32 v3, v23, v3
	v_fma_f32 v23, v23, v2, -v25
	v_fmac_f32_e32 v3, v24, v2
	v_add_f32_e32 v2, 0, v23
	v_add_f32_e32 v3, 0, v3
	s_and_saveexec_b64 s[20:21], s[16:17]
	s_cbranch_execz .LBB164_720
; %bb.719:
	v_lshlrev_b32_e32 v23, 3, v0
	v_mov_b32_e32 v25, 0
	ds_read_b64 v[23:24], v23 offset:23408
	ds_read_b64 v[25:26], v25 offset:22888
	s_waitcnt lgkmcnt(0)
	v_mul_f32_e32 v27, v26, v24
	v_mul_f32_e32 v24, v25, v24
	v_fma_f32 v25, v25, v23, -v27
	v_fmac_f32_e32 v24, v26, v23
	v_add_f32_e32 v2, v2, v25
	v_add_f32_e32 v3, v3, v24
.LBB164_720:
	s_or_b64 exec, exec, s[20:21]
	v_xor_b32_e32 v2, 0x80000000, v2
	v_xor_b32_e32 v3, 0x80000000, v3
.LBB164_721:
	s_or_b64 exec, exec, s[18:19]
	s_and_saveexec_b64 s[16:17], s[44:45]
; %bb.722:
	ds_write_b64 v5, v[2:3]
; %bb.723:
	s_or_b64 exec, exec, s[16:17]
	s_waitcnt lgkmcnt(0)
	s_barrier
	s_and_saveexec_b64 s[16:17], s[42:43]
	s_cbranch_execz .LBB164_725
; %bb.724:
	v_mov_b32_e32 v23, 0
	ds_read_b64 v[23:24], v23 offset:23928
	ds_read_b64 v[25:26], v5
	s_waitcnt lgkmcnt(0)
	v_mul_f32_e32 v27, v26, v24
	v_mul_f32_e32 v24, v25, v24
	v_fma_f32 v25, v25, v23, -v27
	v_fmac_f32_e32 v24, v26, v23
	v_add_f32_e32 v2, v2, v25
	v_add_f32_e32 v3, v3, v24
.LBB164_725:
	s_or_b64 exec, exec, s[16:17]
	s_barrier
	s_and_saveexec_b64 s[16:17], s[42:43]
; %bb.726:
	ds_write_b64 v5, v[2:3]
; %bb.727:
	s_or_b64 exec, exec, s[16:17]
	s_waitcnt lgkmcnt(0)
	s_barrier
	s_barrier
	s_and_saveexec_b64 s[16:17], s[22:23]
; %bb.728:
	v_xor_b32_e32 v3, 0x80000000, v3
	v_xor_b32_e32 v2, 0x80000000, v2
	ds_write_b64 v4, v[2:3] offset:22896
; %bb.729:
	s_or_b64 exec, exec, s[16:17]
	s_waitcnt lgkmcnt(0)
	s_barrier
	s_barrier
	s_and_saveexec_b64 s[16:17], s[46:47]
	s_cbranch_execz .LBB164_731
; %bb.730:
	v_lshlrev_b32_e32 v23, 3, v0
	s_movk_i32 s18, 0x1f8
	v_mad_u32_u24 v24, v0, s18, v23
	ds_read_b64 v[2:3], v24 offset:22896
	s_waitcnt lgkmcnt(0)
	ds_write_b64 v23, v[2:3] offset:23904
	ds_read_b64 v[2:3], v24 offset:22904
	s_waitcnt lgkmcnt(0)
	ds_write_b64 v23, v[2:3] offset:24416
.LBB164_731:
	s_or_b64 exec, exec, s[16:17]
	s_waitcnt lgkmcnt(0)
	s_barrier
	s_and_saveexec_b64 s[16:17], vcc
	s_cbranch_execz .LBB164_733
; %bb.732:
	v_mov_b32_e32 v25, 0
	ds_read_b64 v[2:3], v25 offset:23928
	s_mov_b64 s[18:19], 0x3f800000
	v_mov_b32_e32 v24, s19
	v_mov_b32_e32 v23, s18
	s_movk_i32 s18, 0x170
	ds_write_b64 v25, v[23:24] offset:24440
	v_add_u32_e64 v25, s18, 0
	s_waitcnt lgkmcnt(1)
	ds_write2st64_b64 v25, v[23:24], v[2:3] offset0:46 offset1:47
.LBB164_733:
	s_or_b64 exec, exec, s[16:17]
	v_mov_b32_e32 v3, 0
	v_mov_b32_e32 v2, 0
	s_waitcnt lgkmcnt(0)
	s_barrier
	s_and_saveexec_b64 s[18:19], s[14:15]
	s_cbranch_execz .LBB164_761
; %bb.734:
	v_mul_u32_u24_e32 v23, 0x208, v22
	ds_read_b64 v[2:3], v18 offset:16768
	ds_read_b64 v[24:25], v23 offset:16640
	s_movk_i32 s16, 0xf0
	v_cmp_gt_u32_e64 s[16:17], s16, v7
	s_waitcnt lgkmcnt(0)
	v_mul_f32_e32 v26, v25, v3
	v_mul_f32_e32 v3, v24, v3
	v_fma_f32 v24, v24, v2, -v26
	v_fmac_f32_e32 v3, v25, v2
	v_add_f32_e32 v2, 0, v24
	v_add_f32_e32 v3, 0, v3
	s_and_saveexec_b64 s[20:21], s[16:17]
	s_cbranch_execz .LBB164_736
; %bb.735:
	v_lshlrev_b32_e32 v24, 3, v22
	v_sub_u32_e32 v24, v23, v24
	v_lshl_add_u32 v24, v19, 3, v24
	ds_read_b64 v[24:25], v24 offset:17280
	ds_read_b64 v[26:27], v23 offset:16648
	s_waitcnt lgkmcnt(0)
	v_mul_f32_e32 v28, v27, v25
	v_mul_f32_e32 v25, v26, v25
	v_fma_f32 v26, v26, v24, -v28
	v_fmac_f32_e32 v25, v27, v24
	v_add_f32_e32 v2, v2, v26
	v_add_f32_e32 v3, v3, v25
.LBB164_736:
	s_or_b64 exec, exec, s[20:21]
	s_movk_i32 s16, 0xe0
	v_cmp_gt_u32_e64 s[16:17], s16, v7
	s_and_saveexec_b64 s[20:21], s[16:17]
	s_cbranch_execz .LBB164_738
; %bb.737:
	v_lshlrev_b32_e32 v24, 3, v22
	v_sub_u32_e32 v24, v23, v24
	v_lshl_add_u32 v24, v19, 3, v24
	ds_read_b64 v[24:25], v24 offset:17792
	ds_read_b64 v[26:27], v23 offset:16656
	s_waitcnt lgkmcnt(0)
	v_mul_f32_e32 v28, v27, v25
	v_mul_f32_e32 v25, v26, v25
	v_fma_f32 v26, v26, v24, -v28
	v_fmac_f32_e32 v25, v27, v24
	v_add_f32_e32 v2, v2, v26
	v_add_f32_e32 v3, v3, v25
.LBB164_738:
	s_or_b64 exec, exec, s[20:21]
	s_movk_i32 s16, 0xd0
	v_cmp_gt_u32_e64 s[16:17], s16, v7
	;; [unrolled: 19-line block ×6, first 2 shown]
	s_and_saveexec_b64 s[20:21], s[16:17]
	s_cbranch_execz .LBB164_748
; %bb.747:
	v_lshlrev_b32_e32 v22, 3, v19
	v_lshl_add_u32 v22, v21, 3, v22
	ds_read_b64 v[24:25], v22 offset:20352
	ds_read_b64 v[26:27], v23 offset:16696
	s_waitcnt lgkmcnt(0)
	v_mul_f32_e32 v22, v27, v25
	v_mul_f32_e32 v25, v26, v25
	v_fma_f32 v22, v26, v24, -v22
	v_fmac_f32_e32 v25, v27, v24
	v_add_f32_e32 v2, v2, v22
	v_add_f32_e32 v3, v3, v25
.LBB164_748:
	s_or_b64 exec, exec, s[20:21]
	s_movk_i32 s16, 0x80
	v_cmp_gt_u32_e64 s[16:17], s16, v7
	s_and_saveexec_b64 s[20:21], s[16:17]
	s_cbranch_execz .LBB164_750
; %bb.749:
	ds_read_b64 v[24:25], v18 offset:20864
	ds_read_b64 v[26:27], v23 offset:16704
	s_waitcnt lgkmcnt(0)
	v_mul_f32_e32 v22, v27, v25
	v_mul_f32_e32 v25, v26, v25
	v_fma_f32 v22, v26, v24, -v22
	v_fmac_f32_e32 v25, v27, v24
	v_add_f32_e32 v2, v2, v22
	v_add_f32_e32 v3, v3, v25
.LBB164_750:
	s_or_b64 exec, exec, s[20:21]
	s_movk_i32 s16, 0x70
	v_cmp_gt_u32_e64 s[16:17], s16, v7
	s_and_saveexec_b64 s[20:21], s[16:17]
	s_cbranch_execz .LBB164_752
; %bb.751:
	v_lshlrev_b32_e32 v22, 3, v19
	v_lshl_add_u32 v22, v21, 3, v22
	ds_read_b64 v[24:25], v22 offset:21376
	ds_read_b64 v[26:27], v23 offset:16712
	s_waitcnt lgkmcnt(0)
	v_mul_f32_e32 v22, v27, v25
	v_mul_f32_e32 v25, v26, v25
	v_fma_f32 v22, v26, v24, -v22
	v_fmac_f32_e32 v25, v27, v24
	v_add_f32_e32 v2, v2, v22
	v_add_f32_e32 v3, v3, v25
.LBB164_752:
	s_or_b64 exec, exec, s[20:21]
	s_movk_i32 s16, 0x60
	v_cmp_gt_u32_e64 s[16:17], s16, v7
	s_and_saveexec_b64 s[20:21], s[16:17]
	s_cbranch_execz .LBB164_754
; %bb.753:
	v_lshlrev_b32_e32 v22, 3, v19
	v_lshl_add_u32 v22, v21, 3, v22
	ds_read_b64 v[24:25], v22 offset:21888
	ds_read_b64 v[26:27], v23 offset:16720
	s_waitcnt lgkmcnt(0)
	v_mul_f32_e32 v22, v27, v25
	v_mul_f32_e32 v25, v26, v25
	v_fma_f32 v22, v26, v24, -v22
	v_fmac_f32_e32 v25, v27, v24
	v_add_f32_e32 v2, v2, v22
	v_add_f32_e32 v3, v3, v25
.LBB164_754:
	s_or_b64 exec, exec, s[20:21]
	s_movk_i32 s16, 0x50
	v_cmp_gt_u32_e64 s[16:17], s16, v7
	s_and_saveexec_b64 s[20:21], s[16:17]
	s_cbranch_execnz .LBB164_1086
; %bb.755:
	s_or_b64 exec, exec, s[20:21]
	v_cmp_gt_u32_e64 s[16:17], 64, v7
	s_and_saveexec_b64 s[20:21], s[16:17]
	s_cbranch_execnz .LBB164_1087
.LBB164_756:
	s_or_b64 exec, exec, s[20:21]
	v_cmp_gt_u32_e64 s[16:17], 48, v7
	s_and_saveexec_b64 s[20:21], s[16:17]
	s_cbranch_execnz .LBB164_1088
.LBB164_757:
	s_or_b64 exec, exec, s[20:21]
	v_cmp_gt_u32_e64 s[16:17], 32, v7
	s_and_saveexec_b64 s[20:21], s[16:17]
	s_cbranch_execnz .LBB164_1089
.LBB164_758:
	s_or_b64 exec, exec, s[20:21]
	v_cmp_gt_u32_e64 s[16:17], 16, v7
	s_and_saveexec_b64 s[20:21], s[16:17]
	s_cbranch_execz .LBB164_760
.LBB164_759:
	v_lshlrev_b32_e32 v21, 3, v0
	v_mov_b32_e32 v23, 0
	ds_read_b64 v[21:22], v21 offset:24448
	ds_read_b64 v[23:24], v23 offset:16760
	s_waitcnt lgkmcnt(0)
	v_mul_f32_e32 v25, v24, v22
	v_mul_f32_e32 v22, v23, v22
	v_fma_f32 v23, v23, v21, -v25
	v_fmac_f32_e32 v22, v24, v21
	v_add_f32_e32 v2, v2, v23
	v_add_f32_e32 v3, v3, v22
.LBB164_760:
	s_or_b64 exec, exec, s[20:21]
	v_xor_b32_e32 v2, 0x80000000, v2
	v_xor_b32_e32 v3, 0x80000000, v3
.LBB164_761:
	s_or_b64 exec, exec, s[18:19]
	s_mov_b64 s[16:17], exec
	v_readlane_b32 s18, v34, 2
	v_readlane_b32 s19, v34, 3
	s_and_b64 s[18:19], s[16:17], s[18:19]
	s_mov_b64 exec, s[18:19]
; %bb.762:
	ds_write_b64 v20, v[2:3]
; %bb.763:
	s_or_b64 exec, exec, s[16:17]
	s_waitcnt lgkmcnt(0)
	s_barrier
	s_mov_b64 s[16:17], exec
	v_readlane_b32 s18, v34, 4
	v_readlane_b32 s19, v34, 5
	s_and_b64 s[18:19], s[16:17], s[18:19]
	s_mov_b64 exec, s[18:19]
	s_cbranch_execz .LBB164_765
; %bb.764:
	v_lshlrev_b32_e32 v21, 3, v19
	ds_read_b64 v[21:22], v21 offset:24960
	ds_read_b64 v[23:24], v20
	s_waitcnt lgkmcnt(0)
	v_mul_f32_e32 v25, v24, v22
	v_mul_f32_e32 v22, v23, v22
	v_fma_f32 v23, v23, v21, -v25
	v_fmac_f32_e32 v22, v24, v21
	v_add_f32_e32 v2, v2, v23
	v_add_f32_e32 v3, v3, v22
.LBB164_765:
	s_or_b64 exec, exec, s[16:17]
	s_barrier
	s_mov_b64 s[16:17], exec
	v_readlane_b32 s18, v34, 6
	v_readlane_b32 s19, v34, 7
	s_and_b64 s[18:19], s[16:17], s[18:19]
	s_mov_b64 exec, s[18:19]
; %bb.766:
	ds_write_b64 v20, v[2:3]
; %bb.767:
	s_or_b64 exec, exec, s[16:17]
	s_waitcnt lgkmcnt(0)
	s_barrier
	s_mov_b64 s[16:17], exec
	v_readlane_b32 s18, v34, 8
	v_readlane_b32 s19, v34, 9
	s_and_b64 s[18:19], s[16:17], s[18:19]
	s_mov_b64 exec, s[18:19]
	s_cbranch_execz .LBB164_769
; %bb.768:
	v_lshlrev_b32_e32 v21, 3, v19
	ds_read_b64 v[21:22], v21 offset:25472
	ds_read_b64 v[23:24], v20
	s_waitcnt lgkmcnt(0)
	v_mul_f32_e32 v25, v24, v22
	v_mul_f32_e32 v22, v23, v22
	v_fma_f32 v23, v23, v21, -v25
	v_fmac_f32_e32 v22, v24, v21
	v_add_f32_e32 v2, v2, v23
	v_add_f32_e32 v3, v3, v22
.LBB164_769:
	s_or_b64 exec, exec, s[16:17]
	s_barrier
	;; [unrolled: 31-line block ×14, first 2 shown]
	s_mov_b64 s[16:17], exec
	v_readlane_b32 s18, v34, 58
	v_readlane_b32 s19, v34, 59
	s_and_b64 s[18:19], s[16:17], s[18:19]
	s_mov_b64 exec, s[18:19]
; %bb.818:
	ds_write_b64 v20, v[2:3]
; %bb.819:
	s_or_b64 exec, exec, s[16:17]
	s_waitcnt lgkmcnt(0)
	s_barrier
	s_and_saveexec_b64 s[16:17], s[96:97]
	s_cbranch_execz .LBB164_821
; %bb.820:
	v_mov_b32_e32 v19, 0
	ds_read_b64 v[21:22], v19 offset:32248
	ds_read_b64 v[23:24], v20
	s_waitcnt lgkmcnt(0)
	v_mul_f32_e32 v19, v24, v22
	v_mul_f32_e32 v22, v23, v22
	v_fma_f32 v19, v23, v21, -v19
	v_fmac_f32_e32 v22, v24, v21
	v_add_f32_e32 v2, v2, v19
	v_add_f32_e32 v3, v3, v22
.LBB164_821:
	s_or_b64 exec, exec, s[16:17]
	s_barrier
	s_and_saveexec_b64 s[16:17], s[96:97]
; %bb.822:
	ds_write_b64 v20, v[2:3]
; %bb.823:
	s_or_b64 exec, exec, s[16:17]
	s_waitcnt lgkmcnt(0)
	s_barrier
	s_barrier
	s_and_saveexec_b64 s[16:17], s[14:15]
; %bb.824:
	v_xor_b32_e32 v2, 0x80000000, v2
	v_xor_b32_e32 v3, 0x80000000, v3
	ds_write_b64 v18, v[2:3] offset:16768
; %bb.825:
	s_or_b64 exec, exec, s[16:17]
	s_waitcnt lgkmcnt(0)
	s_barrier
	s_barrier
	s_and_saveexec_b64 s[14:15], s[6:7]
	s_cbranch_execz .LBB164_827
; %bb.826:
	v_lshlrev_b32_e32 v18, 9, v0
	ds_read_b64 v[2:3], v18 offset:16768
	s_movk_i32 s6, 0xfe08
	v_mad_i32_i24 v19, v0, s6, v18
	s_waitcnt lgkmcnt(0)
	ds_write_b64 v19, v[2:3] offset:24832
	ds_read_b64 v[2:3], v18 offset:16776
	s_waitcnt lgkmcnt(0)
	ds_write_b64 v19, v[2:3] offset:25344
	ds_read_b64 v[2:3], v18 offset:16784
	;; [unrolled: 3-line block ×15, first 2 shown]
	s_waitcnt lgkmcnt(0)
	ds_write_b64 v19, v[2:3] offset:32512
.LBB164_827:
	s_or_b64 exec, exec, s[14:15]
	s_waitcnt lgkmcnt(0)
	s_barrier
	s_and_saveexec_b64 s[6:7], vcc
	s_cbranch_execz .LBB164_829
; %bb.828:
	v_mov_b32_e32 v20, 0
	ds_read_b64 v[2:3], v20 offset:24968
	s_mov_b64 s[14:15], 0x3f800000
	v_mov_b32_e32 v19, s15
	v_mov_b32_e32 v18, s14
	s_movk_i32 s14, 0x180
	ds_write_b64 v20, v[18:19] offset:25480
	v_add_u32_e64 v20, s14, 0
	s_waitcnt lgkmcnt(1)
	ds_write2st64_b64 v20, v[18:19], v[2:3] offset0:48 offset1:49
.LBB164_829:
	s_or_b64 exec, exec, s[6:7]
	v_mov_b32_e32 v3, 0
	v_mov_b32_e32 v2, 0
	s_waitcnt lgkmcnt(0)
	s_barrier
	s_and_saveexec_b64 s[6:7], s[22:23]
	s_cbranch_execz .LBB164_833
; %bb.830:
	v_mul_u32_u24_e32 v18, 0x208, v6
	ds_read_b64 v[2:3], v4 offset:24976
	ds_read_b64 v[18:19], v18 offset:24960
	v_cmp_gt_u32_e64 s[14:15], 2, v7
	s_waitcnt lgkmcnt(0)
	v_mul_f32_e32 v20, v19, v3
	v_mul_f32_e32 v3, v18, v3
	v_fma_f32 v18, v18, v2, -v20
	v_fmac_f32_e32 v3, v19, v2
	v_add_f32_e32 v2, 0, v18
	v_add_f32_e32 v3, 0, v3
	s_and_saveexec_b64 s[16:17], s[14:15]
	s_cbranch_execz .LBB164_832
; %bb.831:
	v_lshlrev_b32_e32 v18, 3, v0
	v_mov_b32_e32 v20, 0
	ds_read_b64 v[18:19], v18 offset:25488
	ds_read_b64 v[20:21], v20 offset:24968
	s_waitcnt lgkmcnt(0)
	v_mul_f32_e32 v22, v21, v19
	v_mul_f32_e32 v19, v20, v19
	v_fma_f32 v20, v20, v18, -v22
	v_fmac_f32_e32 v19, v21, v18
	v_add_f32_e32 v2, v2, v20
	v_add_f32_e32 v3, v3, v19
.LBB164_832:
	s_or_b64 exec, exec, s[16:17]
	v_xor_b32_e32 v2, 0x80000000, v2
	v_xor_b32_e32 v3, 0x80000000, v3
.LBB164_833:
	s_or_b64 exec, exec, s[6:7]
	s_and_saveexec_b64 s[6:7], s[44:45]
; %bb.834:
	ds_write_b64 v5, v[2:3]
; %bb.835:
	s_or_b64 exec, exec, s[6:7]
	s_waitcnt lgkmcnt(0)
	s_barrier
	s_and_saveexec_b64 s[6:7], s[42:43]
	s_cbranch_execz .LBB164_837
; %bb.836:
	v_mov_b32_e32 v18, 0
	ds_read_b64 v[18:19], v18 offset:26008
	ds_read_b64 v[20:21], v5
	s_waitcnt lgkmcnt(0)
	v_mul_f32_e32 v22, v21, v19
	v_mul_f32_e32 v19, v20, v19
	v_fma_f32 v20, v20, v18, -v22
	v_fmac_f32_e32 v19, v21, v18
	v_add_f32_e32 v2, v2, v20
	v_add_f32_e32 v3, v3, v19
.LBB164_837:
	s_or_b64 exec, exec, s[6:7]
	s_barrier
	s_and_saveexec_b64 s[6:7], s[42:43]
; %bb.838:
	ds_write_b64 v5, v[2:3]
; %bb.839:
	s_or_b64 exec, exec, s[6:7]
	s_waitcnt lgkmcnt(0)
	s_barrier
	s_barrier
	s_and_saveexec_b64 s[6:7], s[22:23]
; %bb.840:
	v_xor_b32_e32 v3, 0x80000000, v3
	v_xor_b32_e32 v2, 0x80000000, v2
	ds_write_b64 v4, v[2:3] offset:24976
; %bb.841:
	s_or_b64 exec, exec, s[6:7]
	s_waitcnt lgkmcnt(0)
	s_barrier
	s_barrier
	s_and_saveexec_b64 s[6:7], s[46:47]
	s_cbranch_execz .LBB164_843
; %bb.842:
	v_lshlrev_b32_e32 v18, 3, v0
	s_movk_i32 s14, 0x1f8
	v_mad_u32_u24 v19, v0, s14, v18
	ds_read_b64 v[2:3], v19 offset:24976
	s_waitcnt lgkmcnt(0)
	ds_write_b64 v18, v[2:3] offset:25984
	ds_read_b64 v[2:3], v19 offset:24984
	s_waitcnt lgkmcnt(0)
	ds_write_b64 v18, v[2:3] offset:26496
.LBB164_843:
	s_or_b64 exec, exec, s[6:7]
	s_waitcnt lgkmcnt(0)
	s_barrier
	s_and_saveexec_b64 s[6:7], vcc
	s_cbranch_execz .LBB164_845
; %bb.844:
	v_mov_b32_e32 v20, 0
	ds_read_b64 v[2:3], v20 offset:26008
	s_mov_b64 s[14:15], 0x3f800000
	v_mov_b32_e32 v19, s15
	v_mov_b32_e32 v18, s14
	s_movk_i32 s14, 0x190
	ds_write_b64 v20, v[18:19] offset:26520
	v_add_u32_e64 v20, s14, 0
	s_waitcnt lgkmcnt(1)
	ds_write2st64_b64 v20, v[18:19], v[2:3] offset0:50 offset1:51
.LBB164_845:
	s_or_b64 exec, exec, s[6:7]
	v_mov_b32_e32 v3, 0
	v_mov_b32_e32 v2, 0
	s_waitcnt lgkmcnt(0)
	s_barrier
	s_and_saveexec_b64 s[6:7], s[10:11]
	s_cbranch_execz .LBB164_851
; %bb.846:
	v_mul_u32_u24_e32 v18, 0x208, v12
	ds_read_b64 v[2:3], v8 offset:24992
	ds_read_b64 v[19:20], v18 offset:24960
	v_cmp_gt_u32_e64 s[14:15], 12, v7
	s_waitcnt lgkmcnt(0)
	v_mul_f32_e32 v21, v20, v3
	v_mul_f32_e32 v3, v19, v3
	v_fma_f32 v19, v19, v2, -v21
	v_fmac_f32_e32 v3, v20, v2
	v_add_f32_e32 v2, 0, v19
	v_add_f32_e32 v3, 0, v3
	s_and_saveexec_b64 s[16:17], s[14:15]
	s_cbranch_execnz .LBB164_1090
; %bb.847:
	s_or_b64 exec, exec, s[16:17]
	v_cmp_gt_u32_e64 s[14:15], 8, v7
	s_and_saveexec_b64 s[16:17], s[14:15]
	s_cbranch_execnz .LBB164_1091
.LBB164_848:
	s_or_b64 exec, exec, s[16:17]
	v_cmp_gt_u32_e64 s[14:15], 4, v7
	s_and_saveexec_b64 s[16:17], s[14:15]
	s_cbranch_execz .LBB164_850
.LBB164_849:
	v_lshlrev_b32_e32 v18, 3, v0
	v_mov_b32_e32 v20, 0
	ds_read_b64 v[18:19], v18 offset:26528
	ds_read_b64 v[20:21], v20 offset:24984
	s_waitcnt lgkmcnt(0)
	v_mul_f32_e32 v22, v21, v19
	v_mul_f32_e32 v19, v20, v19
	v_fma_f32 v20, v20, v18, -v22
	v_fmac_f32_e32 v19, v21, v18
	v_add_f32_e32 v2, v2, v20
	v_add_f32_e32 v3, v3, v19
.LBB164_850:
	s_or_b64 exec, exec, s[16:17]
	v_xor_b32_e32 v2, 0x80000000, v2
	v_xor_b32_e32 v3, 0x80000000, v3
.LBB164_851:
	s_or_b64 exec, exec, s[6:7]
	s_and_saveexec_b64 s[6:7], s[50:51]
; %bb.852:
	ds_write_b64 v10, v[2:3]
; %bb.853:
	s_or_b64 exec, exec, s[6:7]
	s_waitcnt lgkmcnt(0)
	s_barrier
	s_and_saveexec_b64 s[6:7], s[52:53]
	s_cbranch_execz .LBB164_855
; %bb.854:
	ds_read_b64 v[18:19], v9 offset:27040
	ds_read_b64 v[20:21], v10
	s_waitcnt lgkmcnt(0)
	v_mul_f32_e32 v22, v21, v19
	v_mul_f32_e32 v19, v20, v19
	v_fma_f32 v20, v20, v18, -v22
	v_fmac_f32_e32 v19, v21, v18
	v_add_f32_e32 v2, v2, v20
	v_add_f32_e32 v3, v3, v19
.LBB164_855:
	s_or_b64 exec, exec, s[6:7]
	s_barrier
	s_and_saveexec_b64 s[6:7], s[54:55]
; %bb.856:
	ds_write_b64 v10, v[2:3]
; %bb.857:
	s_or_b64 exec, exec, s[6:7]
	s_waitcnt lgkmcnt(0)
	s_barrier
	s_and_saveexec_b64 s[6:7], s[56:57]
	s_cbranch_execz .LBB164_859
; %bb.858:
	ds_read_b64 v[18:19], v9 offset:27552
	ds_read_b64 v[20:21], v10
	s_waitcnt lgkmcnt(0)
	v_mul_f32_e32 v22, v21, v19
	v_mul_f32_e32 v19, v20, v19
	v_fma_f32 v20, v20, v18, -v22
	v_fmac_f32_e32 v19, v21, v18
	v_add_f32_e32 v2, v2, v20
	v_add_f32_e32 v3, v3, v19
.LBB164_859:
	s_or_b64 exec, exec, s[6:7]
	s_barrier
	s_and_saveexec_b64 s[6:7], s[58:59]
; %bb.860:
	ds_write_b64 v10, v[2:3]
; %bb.861:
	s_or_b64 exec, exec, s[6:7]
	s_waitcnt lgkmcnt(0)
	s_barrier
	s_and_saveexec_b64 s[6:7], s[48:49]
	s_cbranch_execz .LBB164_863
; %bb.862:
	v_mov_b32_e32 v18, 0
	ds_read_b64 v[18:19], v18 offset:28088
	ds_read_b64 v[20:21], v10
	s_waitcnt lgkmcnt(0)
	v_mul_f32_e32 v22, v21, v19
	v_mul_f32_e32 v19, v20, v19
	v_fma_f32 v20, v20, v18, -v22
	v_fmac_f32_e32 v19, v21, v18
	v_add_f32_e32 v2, v2, v20
	v_add_f32_e32 v3, v3, v19
.LBB164_863:
	s_or_b64 exec, exec, s[6:7]
	s_barrier
	s_and_saveexec_b64 s[6:7], s[48:49]
; %bb.864:
	ds_write_b64 v10, v[2:3]
; %bb.865:
	s_or_b64 exec, exec, s[6:7]
	s_waitcnt lgkmcnt(0)
	s_barrier
	s_barrier
	s_and_saveexec_b64 s[6:7], s[10:11]
; %bb.866:
	v_xor_b32_e32 v2, 0x80000000, v2
	v_xor_b32_e32 v3, 0x80000000, v3
	ds_write_b64 v8, v[2:3] offset:24992
; %bb.867:
	s_or_b64 exec, exec, s[6:7]
	s_waitcnt lgkmcnt(0)
	s_barrier
	s_barrier
	s_and_saveexec_b64 s[6:7], s[60:61]
	s_cbranch_execz .LBB164_869
; %bb.868:
	v_lshlrev_b32_e32 v18, 9, v0
	ds_read_b64 v[2:3], v18 offset:24992
	s_movk_i32 s14, 0xfe08
	v_mad_i32_i24 v19, v0, s14, v18
	s_waitcnt lgkmcnt(0)
	ds_write_b64 v19, v[2:3] offset:27008
	ds_read_b64 v[2:3], v18 offset:25000
	s_waitcnt lgkmcnt(0)
	ds_write_b64 v19, v[2:3] offset:27520
	ds_read_b64 v[2:3], v18 offset:25008
	;; [unrolled: 3-line block ×3, first 2 shown]
	s_waitcnt lgkmcnt(0)
	ds_write_b64 v19, v[2:3] offset:28544
.LBB164_869:
	s_or_b64 exec, exec, s[6:7]
	s_waitcnt lgkmcnt(0)
	s_barrier
	s_and_saveexec_b64 s[6:7], vcc
	s_cbranch_execz .LBB164_871
; %bb.870:
	v_mov_b32_e32 v20, 0
	ds_read_b64 v[2:3], v20 offset:27048
	s_mov_b64 s[14:15], 0x3f800000
	v_mov_b32_e32 v19, s15
	v_mov_b32_e32 v18, s14
	s_movk_i32 s14, 0x1a0
	ds_write_b64 v20, v[18:19] offset:27560
	v_add_u32_e64 v20, s14, 0
	s_waitcnt lgkmcnt(1)
	ds_write2st64_b64 v20, v[18:19], v[2:3] offset0:52 offset1:53
.LBB164_871:
	s_or_b64 exec, exec, s[6:7]
	v_mov_b32_e32 v3, 0
	v_mov_b32_e32 v2, 0
	s_waitcnt lgkmcnt(0)
	s_barrier
	s_and_saveexec_b64 s[6:7], s[22:23]
	s_cbranch_execz .LBB164_875
; %bb.872:
	v_mul_u32_u24_e32 v18, 0x208, v6
	ds_read_b64 v[2:3], v4 offset:27056
	ds_read_b64 v[18:19], v18 offset:27040
	v_cmp_gt_u32_e64 s[14:15], 2, v7
	s_waitcnt lgkmcnt(0)
	v_mul_f32_e32 v20, v19, v3
	v_mul_f32_e32 v3, v18, v3
	v_fma_f32 v18, v18, v2, -v20
	v_fmac_f32_e32 v3, v19, v2
	v_add_f32_e32 v2, 0, v18
	v_add_f32_e32 v3, 0, v3
	s_and_saveexec_b64 s[16:17], s[14:15]
	s_cbranch_execz .LBB164_874
; %bb.873:
	v_lshlrev_b32_e32 v18, 3, v0
	v_mov_b32_e32 v20, 0
	ds_read_b64 v[18:19], v18 offset:27568
	ds_read_b64 v[20:21], v20 offset:27048
	s_waitcnt lgkmcnt(0)
	v_mul_f32_e32 v22, v21, v19
	v_mul_f32_e32 v19, v20, v19
	v_fma_f32 v20, v20, v18, -v22
	v_fmac_f32_e32 v19, v21, v18
	v_add_f32_e32 v2, v2, v20
	v_add_f32_e32 v3, v3, v19
.LBB164_874:
	s_or_b64 exec, exec, s[16:17]
	v_xor_b32_e32 v2, 0x80000000, v2
	v_xor_b32_e32 v3, 0x80000000, v3
.LBB164_875:
	s_or_b64 exec, exec, s[6:7]
	s_and_saveexec_b64 s[6:7], s[44:45]
; %bb.876:
	ds_write_b64 v5, v[2:3]
; %bb.877:
	s_or_b64 exec, exec, s[6:7]
	s_waitcnt lgkmcnt(0)
	s_barrier
	s_and_saveexec_b64 s[6:7], s[42:43]
	s_cbranch_execz .LBB164_879
; %bb.878:
	v_mov_b32_e32 v18, 0
	ds_read_b64 v[18:19], v18 offset:28088
	ds_read_b64 v[20:21], v5
	s_waitcnt lgkmcnt(0)
	v_mul_f32_e32 v22, v21, v19
	v_mul_f32_e32 v19, v20, v19
	v_fma_f32 v20, v20, v18, -v22
	v_fmac_f32_e32 v19, v21, v18
	v_add_f32_e32 v2, v2, v20
	v_add_f32_e32 v3, v3, v19
.LBB164_879:
	s_or_b64 exec, exec, s[6:7]
	s_barrier
	s_and_saveexec_b64 s[6:7], s[42:43]
; %bb.880:
	ds_write_b64 v5, v[2:3]
; %bb.881:
	s_or_b64 exec, exec, s[6:7]
	s_waitcnt lgkmcnt(0)
	s_barrier
	s_barrier
	s_and_saveexec_b64 s[6:7], s[22:23]
; %bb.882:
	v_xor_b32_e32 v3, 0x80000000, v3
	v_xor_b32_e32 v2, 0x80000000, v2
	ds_write_b64 v4, v[2:3] offset:27056
; %bb.883:
	s_or_b64 exec, exec, s[6:7]
	s_waitcnt lgkmcnt(0)
	s_barrier
	s_barrier
	s_and_saveexec_b64 s[6:7], s[46:47]
	s_cbranch_execz .LBB164_885
; %bb.884:
	v_lshlrev_b32_e32 v18, 3, v0
	s_movk_i32 s14, 0x1f8
	v_mad_u32_u24 v19, v0, s14, v18
	ds_read_b64 v[2:3], v19 offset:27056
	s_waitcnt lgkmcnt(0)
	ds_write_b64 v18, v[2:3] offset:28064
	ds_read_b64 v[2:3], v19 offset:27064
	s_waitcnt lgkmcnt(0)
	ds_write_b64 v18, v[2:3] offset:28576
.LBB164_885:
	s_or_b64 exec, exec, s[6:7]
	s_waitcnt lgkmcnt(0)
	s_barrier
	s_and_saveexec_b64 s[6:7], vcc
	s_cbranch_execz .LBB164_887
; %bb.886:
	v_mov_b32_e32 v20, 0
	ds_read_b64 v[2:3], v20 offset:28088
	s_mov_b64 s[14:15], 0x3f800000
	v_mov_b32_e32 v19, s15
	v_mov_b32_e32 v18, s14
	s_movk_i32 s14, 0x1b0
	ds_write_b64 v20, v[18:19] offset:28600
	v_add_u32_e64 v20, s14, 0
	s_waitcnt lgkmcnt(1)
	ds_write2st64_b64 v20, v[18:19], v[2:3] offset0:54 offset1:55
.LBB164_887:
	s_or_b64 exec, exec, s[6:7]
	v_mov_b32_e32 v3, 0
	v_mov_b32_e32 v2, 0
	s_waitcnt lgkmcnt(0)
	s_barrier
	s_and_saveexec_b64 s[6:7], s[12:13]
	s_cbranch_execz .LBB164_897
; %bb.888:
	v_mul_u32_u24_e32 v18, 0x208, v17
	ds_read_b64 v[2:3], v13 offset:25024
	ds_read_b64 v[19:20], v18 offset:24960
	v_cmp_gt_u32_e64 s[14:15], 56, v7
	s_waitcnt lgkmcnt(0)
	v_mul_f32_e32 v21, v20, v3
	v_mul_f32_e32 v3, v19, v3
	v_fma_f32 v19, v19, v2, -v21
	v_fmac_f32_e32 v3, v20, v2
	v_add_f32_e32 v2, 0, v19
	v_add_f32_e32 v3, 0, v3
	s_and_saveexec_b64 s[16:17], s[14:15]
	s_cbranch_execnz .LBB164_1092
; %bb.889:
	s_or_b64 exec, exec, s[16:17]
	v_cmp_gt_u32_e64 s[14:15], 48, v7
	s_and_saveexec_b64 s[16:17], s[14:15]
	s_cbranch_execnz .LBB164_1093
.LBB164_890:
	s_or_b64 exec, exec, s[16:17]
	v_cmp_gt_u32_e64 s[14:15], 40, v7
	s_and_saveexec_b64 s[16:17], s[14:15]
	s_cbranch_execnz .LBB164_1094
.LBB164_891:
	s_or_b64 exec, exec, s[16:17]
	v_cmp_gt_u32_e64 s[14:15], 32, v7
	s_and_saveexec_b64 s[16:17], s[14:15]
	s_cbranch_execnz .LBB164_1095
.LBB164_892:
	s_or_b64 exec, exec, s[16:17]
	v_cmp_gt_u32_e64 s[14:15], 24, v7
	s_and_saveexec_b64 s[16:17], s[14:15]
	s_cbranch_execnz .LBB164_1096
.LBB164_893:
	s_or_b64 exec, exec, s[16:17]
	v_cmp_gt_u32_e64 s[14:15], 16, v7
	s_and_saveexec_b64 s[16:17], s[14:15]
	s_cbranch_execnz .LBB164_1097
.LBB164_894:
	s_or_b64 exec, exec, s[16:17]
	v_cmp_gt_u32_e64 s[14:15], 8, v7
	s_and_saveexec_b64 s[16:17], s[14:15]
	s_cbranch_execz .LBB164_896
.LBB164_895:
	v_lshlrev_b32_e32 v16, 3, v0
	v_mov_b32_e32 v18, 0
	ds_read_b64 v[16:17], v16 offset:28608
	ds_read_b64 v[18:19], v18 offset:25016
	s_waitcnt lgkmcnt(0)
	v_mul_f32_e32 v20, v19, v17
	v_mul_f32_e32 v17, v18, v17
	v_fma_f32 v18, v18, v16, -v20
	v_fmac_f32_e32 v17, v19, v16
	v_add_f32_e32 v2, v2, v18
	v_add_f32_e32 v3, v3, v17
.LBB164_896:
	s_or_b64 exec, exec, s[16:17]
	v_xor_b32_e32 v2, 0x80000000, v2
	v_xor_b32_e32 v3, 0x80000000, v3
.LBB164_897:
	s_or_b64 exec, exec, s[6:7]
	s_and_saveexec_b64 s[6:7], s[64:65]
; %bb.898:
	ds_write_b64 v15, v[2:3]
; %bb.899:
	s_or_b64 exec, exec, s[6:7]
	s_waitcnt lgkmcnt(0)
	s_barrier
	s_and_saveexec_b64 s[6:7], s[66:67]
	s_cbranch_execz .LBB164_901
; %bb.900:
	ds_read_b64 v[16:17], v14 offset:29120
	ds_read_b64 v[18:19], v15
	s_waitcnt lgkmcnt(0)
	v_mul_f32_e32 v20, v19, v17
	v_mul_f32_e32 v17, v18, v17
	v_fma_f32 v18, v18, v16, -v20
	v_fmac_f32_e32 v17, v19, v16
	v_add_f32_e32 v2, v2, v18
	v_add_f32_e32 v3, v3, v17
.LBB164_901:
	s_or_b64 exec, exec, s[6:7]
	s_barrier
	s_and_saveexec_b64 s[6:7], s[68:69]
; %bb.902:
	ds_write_b64 v15, v[2:3]
; %bb.903:
	s_or_b64 exec, exec, s[6:7]
	s_waitcnt lgkmcnt(0)
	s_barrier
	s_and_saveexec_b64 s[6:7], s[70:71]
	s_cbranch_execz .LBB164_905
; %bb.904:
	ds_read_b64 v[16:17], v14 offset:29632
	ds_read_b64 v[18:19], v15
	s_waitcnt lgkmcnt(0)
	v_mul_f32_e32 v20, v19, v17
	v_mul_f32_e32 v17, v18, v17
	v_fma_f32 v18, v18, v16, -v20
	v_fmac_f32_e32 v17, v19, v16
	v_add_f32_e32 v2, v2, v18
	v_add_f32_e32 v3, v3, v17
.LBB164_905:
	s_or_b64 exec, exec, s[6:7]
	s_barrier
	;; [unrolled: 22-line block ×6, first 2 shown]
	s_and_saveexec_b64 s[6:7], s[88:89]
; %bb.922:
	ds_write_b64 v15, v[2:3]
; %bb.923:
	s_or_b64 exec, exec, s[6:7]
	s_waitcnt lgkmcnt(0)
	s_barrier
	s_and_saveexec_b64 s[6:7], s[62:63]
	s_cbranch_execz .LBB164_925
; %bb.924:
	v_mov_b32_e32 v14, 0
	ds_read_b64 v[16:17], v14 offset:32248
	ds_read_b64 v[18:19], v15
	s_waitcnt lgkmcnt(0)
	v_mul_f32_e32 v14, v19, v17
	v_mul_f32_e32 v17, v18, v17
	v_fma_f32 v14, v18, v16, -v14
	v_fmac_f32_e32 v17, v19, v16
	v_add_f32_e32 v2, v2, v14
	v_add_f32_e32 v3, v3, v17
.LBB164_925:
	s_or_b64 exec, exec, s[6:7]
	s_barrier
	s_and_saveexec_b64 s[6:7], s[62:63]
; %bb.926:
	ds_write_b64 v15, v[2:3]
; %bb.927:
	s_or_b64 exec, exec, s[6:7]
	s_waitcnt lgkmcnt(0)
	s_barrier
	s_barrier
	s_and_saveexec_b64 s[6:7], s[12:13]
; %bb.928:
	v_xor_b32_e32 v3, 0x80000000, v3
	v_xor_b32_e32 v2, 0x80000000, v2
	ds_write_b64 v13, v[2:3] offset:25024
; %bb.929:
	s_or_b64 exec, exec, s[6:7]
	s_waitcnt lgkmcnt(0)
	s_barrier
	s_barrier
	s_and_saveexec_b64 s[6:7], s[90:91]
	s_cbranch_execz .LBB164_931
; %bb.930:
	v_lshlrev_b32_e32 v13, 9, v0
	ds_read_b64 v[2:3], v13 offset:25024
	s_movk_i32 s12, 0xfe08
	v_mad_i32_i24 v14, v0, s12, v13
	s_waitcnt lgkmcnt(0)
	ds_write_b64 v14, v[2:3] offset:29056
	ds_read_b64 v[2:3], v13 offset:25032
	s_waitcnt lgkmcnt(0)
	ds_write_b64 v14, v[2:3] offset:29568
	ds_read_b64 v[2:3], v13 offset:25040
	;; [unrolled: 3-line block ×7, first 2 shown]
	s_waitcnt lgkmcnt(0)
	ds_write_b64 v14, v[2:3] offset:32640
.LBB164_931:
	s_or_b64 exec, exec, s[6:7]
	s_waitcnt lgkmcnt(0)
	s_barrier
	s_and_saveexec_b64 s[6:7], vcc
	s_cbranch_execz .LBB164_933
; %bb.932:
	v_mov_b32_e32 v15, 0
	ds_read_b64 v[2:3], v15 offset:29128
	s_mov_b64 s[12:13], 0x3f800000
	v_mov_b32_e32 v14, s13
	v_mov_b32_e32 v13, s12
	s_movk_i32 s12, 0x1c0
	ds_write_b64 v15, v[13:14] offset:29640
	v_add_u32_e64 v15, s12, 0
	s_waitcnt lgkmcnt(1)
	ds_write2st64_b64 v15, v[13:14], v[2:3] offset0:56 offset1:57
.LBB164_933:
	s_or_b64 exec, exec, s[6:7]
	v_mov_b32_e32 v3, 0
	v_mov_b32_e32 v2, 0
	s_waitcnt lgkmcnt(0)
	s_barrier
	s_and_saveexec_b64 s[6:7], s[22:23]
	s_cbranch_execz .LBB164_937
; %bb.934:
	v_mul_u32_u24_e32 v13, 0x208, v6
	ds_read_b64 v[2:3], v4 offset:29136
	ds_read_b64 v[13:14], v13 offset:29120
	v_cmp_gt_u32_e64 s[12:13], 2, v7
	s_waitcnt lgkmcnt(0)
	v_mul_f32_e32 v15, v14, v3
	v_mul_f32_e32 v3, v13, v3
	v_fma_f32 v13, v13, v2, -v15
	v_fmac_f32_e32 v3, v14, v2
	v_add_f32_e32 v2, 0, v13
	v_add_f32_e32 v3, 0, v3
	s_and_saveexec_b64 s[14:15], s[12:13]
	s_cbranch_execz .LBB164_936
; %bb.935:
	v_lshlrev_b32_e32 v13, 3, v0
	v_mov_b32_e32 v15, 0
	ds_read_b64 v[13:14], v13 offset:29648
	ds_read_b64 v[15:16], v15 offset:29128
	s_waitcnt lgkmcnt(0)
	v_mul_f32_e32 v17, v16, v14
	v_mul_f32_e32 v14, v15, v14
	v_fma_f32 v15, v15, v13, -v17
	v_fmac_f32_e32 v14, v16, v13
	v_add_f32_e32 v2, v2, v15
	v_add_f32_e32 v3, v3, v14
.LBB164_936:
	s_or_b64 exec, exec, s[14:15]
	v_xor_b32_e32 v2, 0x80000000, v2
	v_xor_b32_e32 v3, 0x80000000, v3
.LBB164_937:
	s_or_b64 exec, exec, s[6:7]
	s_and_saveexec_b64 s[6:7], s[44:45]
; %bb.938:
	ds_write_b64 v5, v[2:3]
; %bb.939:
	s_or_b64 exec, exec, s[6:7]
	s_waitcnt lgkmcnt(0)
	s_barrier
	s_and_saveexec_b64 s[6:7], s[42:43]
	s_cbranch_execz .LBB164_941
; %bb.940:
	v_mov_b32_e32 v13, 0
	ds_read_b64 v[13:14], v13 offset:30168
	ds_read_b64 v[15:16], v5
	s_waitcnt lgkmcnt(0)
	v_mul_f32_e32 v17, v16, v14
	v_mul_f32_e32 v14, v15, v14
	v_fma_f32 v15, v15, v13, -v17
	v_fmac_f32_e32 v14, v16, v13
	v_add_f32_e32 v2, v2, v15
	v_add_f32_e32 v3, v3, v14
.LBB164_941:
	s_or_b64 exec, exec, s[6:7]
	s_barrier
	s_and_saveexec_b64 s[6:7], s[42:43]
; %bb.942:
	ds_write_b64 v5, v[2:3]
; %bb.943:
	s_or_b64 exec, exec, s[6:7]
	s_waitcnt lgkmcnt(0)
	s_barrier
	s_barrier
	s_and_saveexec_b64 s[6:7], s[22:23]
; %bb.944:
	v_xor_b32_e32 v3, 0x80000000, v3
	v_xor_b32_e32 v2, 0x80000000, v2
	ds_write_b64 v4, v[2:3] offset:29136
; %bb.945:
	s_or_b64 exec, exec, s[6:7]
	s_waitcnt lgkmcnt(0)
	s_barrier
	s_barrier
	s_and_saveexec_b64 s[6:7], s[46:47]
	s_cbranch_execz .LBB164_947
; %bb.946:
	v_lshlrev_b32_e32 v13, 3, v0
	s_movk_i32 s12, 0x1f8
	v_mad_u32_u24 v14, v0, s12, v13
	ds_read_b64 v[2:3], v14 offset:29136
	s_waitcnt lgkmcnt(0)
	ds_write_b64 v13, v[2:3] offset:30144
	ds_read_b64 v[2:3], v14 offset:29144
	s_waitcnt lgkmcnt(0)
	ds_write_b64 v13, v[2:3] offset:30656
.LBB164_947:
	s_or_b64 exec, exec, s[6:7]
	s_waitcnt lgkmcnt(0)
	s_barrier
	s_and_saveexec_b64 s[6:7], vcc
	s_cbranch_execz .LBB164_949
; %bb.948:
	v_mov_b32_e32 v15, 0
	ds_read_b64 v[2:3], v15 offset:30168
	s_mov_b64 s[12:13], 0x3f800000
	v_mov_b32_e32 v14, s13
	v_mov_b32_e32 v13, s12
	s_movk_i32 s12, 0x1d0
	ds_write_b64 v15, v[13:14] offset:30680
	v_add_u32_e64 v15, s12, 0
	s_waitcnt lgkmcnt(1)
	ds_write2st64_b64 v15, v[13:14], v[2:3] offset0:58 offset1:59
.LBB164_949:
	s_or_b64 exec, exec, s[6:7]
	v_mov_b32_e32 v3, 0
	v_mov_b32_e32 v2, 0
	s_waitcnt lgkmcnt(0)
	s_barrier
	s_and_saveexec_b64 s[6:7], s[10:11]
	s_cbranch_execz .LBB164_955
; %bb.950:
	v_mul_u32_u24_e32 v13, 0x208, v12
	ds_read_b64 v[2:3], v8 offset:29152
	ds_read_b64 v[14:15], v13 offset:29120
	v_cmp_gt_u32_e64 s[12:13], 12, v7
	s_waitcnt lgkmcnt(0)
	v_mul_f32_e32 v16, v15, v3
	v_mul_f32_e32 v3, v14, v3
	v_fma_f32 v14, v14, v2, -v16
	v_fmac_f32_e32 v3, v15, v2
	v_add_f32_e32 v2, 0, v14
	v_add_f32_e32 v3, 0, v3
	s_and_saveexec_b64 s[14:15], s[12:13]
	s_cbranch_execnz .LBB164_1098
; %bb.951:
	s_or_b64 exec, exec, s[14:15]
	v_cmp_gt_u32_e64 s[12:13], 8, v7
	s_and_saveexec_b64 s[14:15], s[12:13]
	s_cbranch_execnz .LBB164_1099
.LBB164_952:
	s_or_b64 exec, exec, s[14:15]
	v_cmp_gt_u32_e64 s[12:13], 4, v7
	s_and_saveexec_b64 s[14:15], s[12:13]
	s_cbranch_execz .LBB164_954
.LBB164_953:
	v_lshlrev_b32_e32 v11, 3, v0
	v_mov_b32_e32 v13, 0
	ds_read_b64 v[11:12], v11 offset:30688
	ds_read_b64 v[13:14], v13 offset:29144
	s_waitcnt lgkmcnt(0)
	v_mul_f32_e32 v15, v14, v12
	v_mul_f32_e32 v12, v13, v12
	v_fma_f32 v13, v13, v11, -v15
	v_fmac_f32_e32 v12, v14, v11
	v_add_f32_e32 v2, v2, v13
	v_add_f32_e32 v3, v3, v12
.LBB164_954:
	s_or_b64 exec, exec, s[14:15]
	v_xor_b32_e32 v2, 0x80000000, v2
	v_xor_b32_e32 v3, 0x80000000, v3
.LBB164_955:
	s_or_b64 exec, exec, s[6:7]
	s_and_saveexec_b64 s[6:7], s[50:51]
; %bb.956:
	ds_write_b64 v10, v[2:3]
; %bb.957:
	s_or_b64 exec, exec, s[6:7]
	s_waitcnt lgkmcnt(0)
	s_barrier
	s_and_saveexec_b64 s[6:7], s[52:53]
	s_cbranch_execz .LBB164_959
; %bb.958:
	ds_read_b64 v[11:12], v9 offset:31200
	ds_read_b64 v[13:14], v10
	s_waitcnt lgkmcnt(0)
	v_mul_f32_e32 v15, v14, v12
	v_mul_f32_e32 v12, v13, v12
	v_fma_f32 v13, v13, v11, -v15
	v_fmac_f32_e32 v12, v14, v11
	v_add_f32_e32 v2, v2, v13
	v_add_f32_e32 v3, v3, v12
.LBB164_959:
	s_or_b64 exec, exec, s[6:7]
	s_barrier
	s_and_saveexec_b64 s[6:7], s[54:55]
; %bb.960:
	ds_write_b64 v10, v[2:3]
; %bb.961:
	s_or_b64 exec, exec, s[6:7]
	s_waitcnt lgkmcnt(0)
	s_barrier
	s_and_saveexec_b64 s[6:7], s[56:57]
	s_cbranch_execz .LBB164_963
; %bb.962:
	ds_read_b64 v[11:12], v9 offset:31712
	ds_read_b64 v[13:14], v10
	s_waitcnt lgkmcnt(0)
	v_mul_f32_e32 v9, v14, v12
	v_mul_f32_e32 v12, v13, v12
	v_fma_f32 v9, v13, v11, -v9
	v_fmac_f32_e32 v12, v14, v11
	v_add_f32_e32 v2, v2, v9
	v_add_f32_e32 v3, v3, v12
.LBB164_963:
	s_or_b64 exec, exec, s[6:7]
	s_barrier
	s_and_saveexec_b64 s[6:7], s[58:59]
; %bb.964:
	ds_write_b64 v10, v[2:3]
; %bb.965:
	s_or_b64 exec, exec, s[6:7]
	s_waitcnt lgkmcnt(0)
	s_barrier
	s_and_saveexec_b64 s[6:7], s[48:49]
	s_cbranch_execz .LBB164_967
; %bb.966:
	v_mov_b32_e32 v9, 0
	ds_read_b64 v[11:12], v9 offset:32248
	ds_read_b64 v[13:14], v10
	s_waitcnt lgkmcnt(0)
	v_mul_f32_e32 v9, v14, v12
	v_mul_f32_e32 v12, v13, v12
	v_fma_f32 v9, v13, v11, -v9
	v_fmac_f32_e32 v12, v14, v11
	v_add_f32_e32 v2, v2, v9
	v_add_f32_e32 v3, v3, v12
.LBB164_967:
	s_or_b64 exec, exec, s[6:7]
	s_barrier
	s_and_saveexec_b64 s[6:7], s[48:49]
; %bb.968:
	ds_write_b64 v10, v[2:3]
; %bb.969:
	s_or_b64 exec, exec, s[6:7]
	s_waitcnt lgkmcnt(0)
	s_barrier
	s_barrier
	s_and_saveexec_b64 s[6:7], s[10:11]
; %bb.970:
	v_xor_b32_e32 v2, 0x80000000, v2
	v_xor_b32_e32 v3, 0x80000000, v3
	ds_write_b64 v8, v[2:3] offset:29152
; %bb.971:
	s_or_b64 exec, exec, s[6:7]
	s_waitcnt lgkmcnt(0)
	s_barrier
	s_barrier
	s_and_saveexec_b64 s[6:7], s[60:61]
	s_cbranch_execz .LBB164_973
; %bb.972:
	v_lshlrev_b32_e32 v8, 9, v0
	ds_read_b64 v[2:3], v8 offset:29152
	s_movk_i32 s10, 0xfe08
	v_mad_i32_i24 v9, v0, s10, v8
	s_waitcnt lgkmcnt(0)
	ds_write_b64 v9, v[2:3] offset:31168
	ds_read_b64 v[2:3], v8 offset:29160
	s_waitcnt lgkmcnt(0)
	ds_write_b64 v9, v[2:3] offset:31680
	ds_read_b64 v[2:3], v8 offset:29168
	;; [unrolled: 3-line block ×3, first 2 shown]
	s_waitcnt lgkmcnt(0)
	ds_write_b64 v9, v[2:3] offset:32704
.LBB164_973:
	s_or_b64 exec, exec, s[6:7]
	s_waitcnt lgkmcnt(0)
	s_barrier
	s_and_saveexec_b64 s[6:7], vcc
	s_cbranch_execz .LBB164_975
; %bb.974:
	v_mov_b32_e32 v10, 0
	ds_read_b64 v[2:3], v10 offset:31208
	s_mov_b64 s[10:11], 0x3f800000
	v_mov_b32_e32 v8, s10
	v_mov_b32_e32 v9, s11
	s_movk_i32 s10, 0x1e0
	ds_write_b64 v10, v[8:9] offset:31720
	v_add_u32_e64 v10, s10, 0
	s_waitcnt lgkmcnt(1)
	ds_write2st64_b64 v10, v[8:9], v[2:3] offset0:60 offset1:61
.LBB164_975:
	s_or_b64 exec, exec, s[6:7]
	v_mov_b32_e32 v3, 0
	v_mov_b32_e32 v2, 0
	s_waitcnt lgkmcnt(0)
	s_barrier
	s_and_saveexec_b64 s[6:7], s[22:23]
	s_cbranch_execz .LBB164_979
; %bb.976:
	v_mul_u32_u24_e32 v6, 0x208, v6
	ds_read_b64 v[2:3], v4 offset:31216
	ds_read_b64 v[8:9], v6 offset:31200
	v_cmp_gt_u32_e64 s[10:11], 2, v7
	s_waitcnt lgkmcnt(0)
	v_mul_f32_e32 v6, v9, v3
	v_mul_f32_e32 v3, v8, v3
	v_fma_f32 v6, v8, v2, -v6
	v_fmac_f32_e32 v3, v9, v2
	v_add_f32_e32 v2, 0, v6
	v_add_f32_e32 v3, 0, v3
	s_and_saveexec_b64 s[12:13], s[10:11]
	s_cbranch_execz .LBB164_978
; %bb.977:
	v_lshlrev_b32_e32 v6, 3, v0
	v_mov_b32_e32 v10, 0
	ds_read_b64 v[8:9], v6 offset:31728
	ds_read_b64 v[10:11], v10 offset:31208
	s_waitcnt lgkmcnt(0)
	v_mul_f32_e32 v6, v11, v9
	v_mul_f32_e32 v9, v10, v9
	v_fma_f32 v6, v10, v8, -v6
	v_fmac_f32_e32 v9, v11, v8
	v_add_f32_e32 v2, v2, v6
	v_add_f32_e32 v3, v3, v9
.LBB164_978:
	s_or_b64 exec, exec, s[12:13]
	v_xor_b32_e32 v2, 0x80000000, v2
	v_xor_b32_e32 v3, 0x80000000, v3
.LBB164_979:
	s_or_b64 exec, exec, s[6:7]
	s_and_saveexec_b64 s[6:7], s[44:45]
; %bb.980:
	ds_write_b64 v5, v[2:3]
; %bb.981:
	s_or_b64 exec, exec, s[6:7]
	s_waitcnt lgkmcnt(0)
	s_barrier
	s_and_saveexec_b64 s[6:7], s[42:43]
	v_readlane_b32 s44, v34, 0
	v_readlane_b32 s45, v34, 1
	s_cbranch_execz .LBB164_983
; %bb.982:
	v_mov_b32_e32 v6, 0
	ds_read_b64 v[8:9], v6 offset:32248
	ds_read_b64 v[10:11], v5
	s_waitcnt lgkmcnt(0)
	v_mul_f32_e32 v6, v11, v9
	v_mul_f32_e32 v9, v10, v9
	v_fma_f32 v6, v10, v8, -v6
	v_fmac_f32_e32 v9, v11, v8
	v_add_f32_e32 v2, v2, v6
	v_add_f32_e32 v3, v3, v9
.LBB164_983:
	s_or_b64 exec, exec, s[6:7]
	s_barrier
	s_and_saveexec_b64 s[6:7], s[42:43]
; %bb.984:
	ds_write_b64 v5, v[2:3]
; %bb.985:
	s_or_b64 exec, exec, s[6:7]
	s_waitcnt lgkmcnt(0)
	s_barrier
	s_barrier
	s_and_saveexec_b64 s[6:7], s[22:23]
; %bb.986:
	v_xor_b32_e32 v3, 0x80000000, v3
	v_xor_b32_e32 v2, 0x80000000, v2
	ds_write_b64 v4, v[2:3] offset:31216
; %bb.987:
	s_or_b64 exec, exec, s[6:7]
	s_waitcnt lgkmcnt(0)
	s_barrier
	s_barrier
	s_and_saveexec_b64 s[6:7], s[46:47]
	s_cbranch_execz .LBB164_989
; %bb.988:
	v_lshlrev_b32_e32 v4, 3, v0
	s_movk_i32 s10, 0x1f8
	v_mad_u32_u24 v5, v0, s10, v4
	ds_read_b64 v[2:3], v5 offset:31216
	s_waitcnt lgkmcnt(0)
	ds_write_b64 v4, v[2:3] offset:32224
	ds_read_b64 v[2:3], v5 offset:31224
	s_waitcnt lgkmcnt(0)
	ds_write_b64 v4, v[2:3] offset:32736
.LBB164_989:
	s_or_b64 exec, exec, s[6:7]
	s_waitcnt lgkmcnt(0)
	s_barrier
	s_and_saveexec_b64 s[6:7], vcc
	s_cbranch_execz .LBB164_991
; %bb.990:
	v_mov_b32_e32 v6, 0
	ds_read_b64 v[2:3], v6 offset:32248
	s_mov_b64 s[10:11], 0x3f800000
	v_mov_b32_e32 v4, s10
	v_mov_b32_e32 v5, s11
	s_movk_i32 s10, 0x1f0
	ds_write_b64 v6, v[4:5] offset:32760
	v_add_u32_e64 v6, s10, 0
	s_waitcnt lgkmcnt(1)
	ds_write2st64_b64 v6, v[4:5], v[2:3] offset0:62 offset1:63
.LBB164_991:
	s_or_b64 exec, exec, s[6:7]
.LBB164_992:
	s_load_dwordx4 s[12:15], s[4:5], 0x30
	v_cmp_le_i32_e32 vcc, s98, v0
	v_cmp_eq_u32_e64 s[16:17], 0, v1
	v_mov_b32_e32 v2, 0
	v_lshl_add_u32 v4, s33, 6, v0
	s_waitcnt lgkmcnt(0)
	s_lshl_b64 s[6:7], s[14:15], 3
	s_add_u32 s26, s40, s6
	s_addc_u32 s27, s41, s7
	s_and_b64 s[18:19], vcc, s[36:37]
	s_xor_b64 s[6:7], s[18:19], -1
	s_and_b64 s[10:11], s[16:17], s[6:7]
	v_mov_b32_e32 v3, v2
	s_barrier
	s_and_saveexec_b64 s[6:7], s[10:11]
	s_cbranch_execz .LBB164_994
; %bb.993:
	v_ashrrev_i32_e32 v5, 31, v4
	v_mul_lo_u32 v6, s31, v4
	v_mad_u64_u32 v[2:3], s[10:11], s30, v4, 0
	v_mul_lo_u32 v5, s30, v5
	s_load_dwordx2 s[10:11], s[4:5], 0x28
	v_add3_u32 v3, v3, v5, v6
	v_lshlrev_b64 v[2:3], 3, v[2:3]
	v_mov_b32_e32 v5, s27
	v_add_co_u32_e32 v2, vcc, s26, v2
	v_addc_co_u32_e32 v3, vcc, v5, v3, vcc
	flat_load_dwordx2 v[5:6], v[2:3]
	s_waitcnt vmcnt(0) lgkmcnt(0)
	v_mul_f32_e32 v2, s10, v5
	v_mul_f32_e32 v3, s10, v6
	v_fma_f32 v2, s11, v6, -v2
	v_fma_f32 v3, v5, -s11, -v3
.LBB164_994:
	s_or_b64 exec, exec, s[6:7]
	s_load_dwordx2 s[6:7], s[4:5], 0x50
	s_and_b32 s4, 0xffff, s93
	v_mad_u32_u24 v8, v1, s4, v0
	s_cmp_lt_i32 s8, 1
	v_cmp_eq_u32_e64 s[4:5], 0, v8
	s_cbranch_scc1 .LBB164_1013
; %bb.995:
	v_ashrrev_i32_e32 v5, 31, v4
	v_mul_lo_u32 v9, s38, v5
	v_mul_lo_u32 v10, s39, v4
	v_mad_u64_u32 v[5:6], s[10:11], s38, v4, 0
	v_cmp_gt_i32_e64 s[12:13], s34, v4
	s_lshl_b64 s[10:11], s[28:29], 2
	v_add3_u32 v6, v6, v9, v10
	v_lshlrev_b64 v[4:5], 3, v[5:6]
	s_mov_b64 s[20:21], src_private_base
	s_waitcnt lgkmcnt(0)
	s_add_u32 s22, s6, s10
	v_mov_b32_e32 v10, 0xa000
	v_mov_b32_e32 v6, s92
	v_add_co_u32_e32 v11, vcc, s99, v4
	s_mov_b32 s20, 0
	s_addc_u32 s23, s7, s11
	v_cmp_gt_u32_e64 s[10:11], 64, v8
	v_lshl_add_u32 v9, v8, 3, v10
	v_lshl_or_b32 v10, v1, 3, v10
	s_add_i32 s38, s33, 1
	v_addc_co_u32_e32 v12, vcc, v6, v5, vcc
	v_mov_b32_e32 v15, -1
	v_mov_b32_e32 v4, 0
	v_mov_b32_e32 v13, 0
	;; [unrolled: 1-line block ×5, first 2 shown]
	s_branch .LBB164_997
.LBB164_996:                            ;   in Loop: Header=BB164_997 Depth=1
	s_or_b64 exec, exec, s[24:25]
	s_add_i32 s20, s20, 1
	s_cmp_eq_u32 s20, s8
	s_cbranch_scc1 .LBB164_1013
.LBB164_997:                            ; =>This Loop Header: Depth=1
                                        ;     Child Loop BB164_999 Depth 2
	v_cmp_gt_i32_e32 vcc, s20, v15
	s_and_b64 s[24:25], s[4:5], vcc
	s_and_saveexec_b64 s[14:15], s[24:25]
	s_cbranch_execz .LBB164_1000
; %bb.998:                              ;   in Loop: Header=BB164_997 Depth=1
	global_load_dword v15, v4, s[22:23]
	s_waitcnt vmcnt(0)
	v_cmp_le_i32_e32 vcc, s20, v15
	s_cbranch_vccnz .LBB164_1000
.LBB164_999:                            ;   Parent Loop BB164_997 Depth=1
                                        ; =>  This Inner Loop Header: Depth=2
	buffer_wbinvl1_vol
	global_load_dword v15, v4, s[22:23]
	s_waitcnt vmcnt(0)
	v_cmp_gt_i32_e32 vcc, s20, v15
	s_cbranch_vccnz .LBB164_999
.LBB164_1000:                           ;   in Loop: Header=BB164_997 Depth=1
	s_or_b64 exec, exec, s[14:15]
	s_sub_i32 s39, s9, s20
	s_lshl_b32 s40, s39, 6
	buffer_wbinvl1_vol
	s_barrier
	s_and_saveexec_b64 s[14:15], s[10:11]
	s_cbranch_execz .LBB164_1005
; %bb.1001:                             ;   in Loop: Header=BB164_997 Depth=1
	s_ashr_i32 s24, s40, 31
	v_mov_b32_e32 v6, s24
	v_or_b32_e32 v5, s40, v8
	v_cmp_le_i64_e32 vcc, s[34:35], v[5:6]
	s_and_saveexec_b64 s[24:25], vcc
	s_xor_b64 s[24:25], exec, s[24:25]
; %bb.1002:                             ;   in Loop: Header=BB164_997 Depth=1
	v_mov_b32_e32 v5, v4
	ds_write_b64 v9, v[4:5]
                                        ; implicit-def: $vgpr5_vgpr6
; %bb.1003:                             ;   in Loop: Header=BB164_997 Depth=1
	s_andn2_saveexec_b64 s[24:25], s[24:25]
	s_cbranch_execz .LBB164_1005
; %bb.1004:                             ;   in Loop: Header=BB164_997 Depth=1
	v_mul_lo_u32 v18, v6, s30
	v_mul_lo_u32 v19, v5, s31
	v_mad_u64_u32 v[5:6], s[24:25], v5, s30, 0
	v_add3_u32 v6, v6, v19, v18
	v_lshlrev_b64 v[5:6], 3, v[5:6]
	v_mov_b32_e32 v18, s27
	v_add_co_u32_e32 v5, vcc, s26, v5
	v_addc_co_u32_e32 v6, vcc, v18, v6, vcc
	flat_load_dwordx2 v[5:6], v[5:6]
	s_waitcnt vmcnt(0) lgkmcnt(0)
	ds_write_b64 v9, v[5:6]
.LBB164_1005:                           ;   in Loop: Header=BB164_997 Depth=1
	s_or_b64 exec, exec, s[14:15]
	v_add_u32_e32 v5, s40, v1
	v_ashrrev_i32_e32 v6, 31, v5
	v_lshlrev_b64 v[18:19], 3, v[5:6]
	s_cmp_eq_u32 s39, s38
	v_add_co_u32_e32 v18, vcc, v11, v18
	v_addc_co_u32_e32 v6, vcc, v12, v19, vcc
	v_cmp_gt_i32_e32 vcc, s34, v5
	s_cselect_b64 s[14:15], -1, 0
	s_and_b64 s[40:41], vcc, s[12:13]
	s_waitcnt lgkmcnt(0)
	s_barrier
	s_and_saveexec_b64 s[24:25], s[40:41]
	s_cbranch_execz .LBB164_1007
; %bb.1006:                             ;   in Loop: Header=BB164_997 Depth=1
	v_mov_b32_e32 v19, s21
	v_cndmask_b32_e64 v20, v6, v19, s[14:15]
	v_cndmask_b32_e64 v19, v18, v13, s[14:15]
	flat_load_dwordx2 v[19:20], v[19:20]
	ds_read_b64 v[21:22], v10
	s_waitcnt vmcnt(0) lgkmcnt(0)
	v_mul_f32_e32 v23, v22, v20
	v_mul_f32_e32 v20, v21, v20
	v_fma_f32 v21, v21, v19, -v23
	v_fmac_f32_e32 v20, v22, v19
	v_add_f32_e32 v2, v2, v21
	v_add_f32_e32 v3, v3, v20
.LBB164_1007:                           ;   in Loop: Header=BB164_997 Depth=1
	s_or_b64 exec, exec, s[24:25]
	v_add_u32_e32 v19, 16, v5
	v_cmp_gt_i32_e32 vcc, s34, v19
	s_and_b64 s[40:41], vcc, s[12:13]
	s_and_saveexec_b64 s[24:25], s[40:41]
	s_cbranch_execz .LBB164_1009
; %bb.1008:                             ;   in Loop: Header=BB164_997 Depth=1
	v_add_co_u32_e32 v19, vcc, 0x80, v18
	v_addc_co_u32_e32 v20, vcc, 0, v6, vcc
	v_mov_b32_e32 v21, s21
	v_cndmask_b32_e64 v20, v20, v21, s[14:15]
	v_cndmask_b32_e64 v19, v19, v14, s[14:15]
	flat_load_dwordx2 v[19:20], v[19:20]
	ds_read_b64 v[21:22], v10 offset:128
	s_waitcnt vmcnt(0) lgkmcnt(0)
	v_mul_f32_e32 v23, v22, v20
	v_mul_f32_e32 v20, v21, v20
	v_fma_f32 v21, v21, v19, -v23
	v_fmac_f32_e32 v20, v22, v19
	v_add_f32_e32 v2, v2, v21
	v_add_f32_e32 v3, v3, v20
.LBB164_1009:                           ;   in Loop: Header=BB164_997 Depth=1
	s_or_b64 exec, exec, s[24:25]
	v_add_u32_e32 v19, 32, v5
	v_cmp_gt_i32_e32 vcc, s34, v19
	s_and_b64 s[40:41], vcc, s[12:13]
	s_and_saveexec_b64 s[24:25], s[40:41]
	s_cbranch_execz .LBB164_1011
; %bb.1010:                             ;   in Loop: Header=BB164_997 Depth=1
	v_add_co_u32_e32 v19, vcc, 0x100, v18
	v_addc_co_u32_e32 v20, vcc, 0, v6, vcc
	v_mov_b32_e32 v21, s21
	v_cndmask_b32_e64 v20, v20, v21, s[14:15]
	v_cndmask_b32_e64 v19, v19, v16, s[14:15]
	flat_load_dwordx2 v[19:20], v[19:20]
	ds_read_b64 v[21:22], v10 offset:256
	s_waitcnt vmcnt(0) lgkmcnt(0)
	v_mul_f32_e32 v23, v22, v20
	v_mul_f32_e32 v20, v21, v20
	v_fma_f32 v21, v21, v19, -v23
	v_fmac_f32_e32 v20, v22, v19
	v_add_f32_e32 v2, v2, v21
	v_add_f32_e32 v3, v3, v20
.LBB164_1011:                           ;   in Loop: Header=BB164_997 Depth=1
	s_or_b64 exec, exec, s[24:25]
	v_add_u32_e32 v5, 48, v5
	v_cmp_gt_i32_e32 vcc, s34, v5
	s_and_b64 s[40:41], vcc, s[12:13]
	s_and_saveexec_b64 s[24:25], s[40:41]
	s_cbranch_execz .LBB164_996
; %bb.1012:                             ;   in Loop: Header=BB164_997 Depth=1
	v_add_co_u32_e32 v5, vcc, 0x180, v18
	v_addc_co_u32_e32 v6, vcc, 0, v6, vcc
	v_mov_b32_e32 v18, s21
	v_cndmask_b32_e64 v6, v6, v18, s[14:15]
	v_cndmask_b32_e64 v5, v5, v17, s[14:15]
	flat_load_dwordx2 v[5:6], v[5:6]
	ds_read_b64 v[18:19], v10 offset:384
	s_waitcnt vmcnt(0) lgkmcnt(0)
	v_mul_f32_e32 v20, v19, v6
	v_mul_f32_e32 v6, v18, v6
	v_fma_f32 v18, v18, v5, -v20
	v_fmac_f32_e32 v6, v19, v5
	v_add_f32_e32 v2, v2, v18
	v_add_f32_e32 v3, v3, v6
	s_branch .LBB164_996
.LBB164_1013:
	s_xor_b64 s[4:5], s[36:37], -1
	v_lshlrev_b32_e32 v6, 3, v7
	ds_write_b64 v6, v[2:3] offset:32768
	s_waitcnt lgkmcnt(0)
	s_barrier
	s_and_saveexec_b64 s[8:9], s[16:17]
	s_cbranch_execz .LBB164_1015
; %bb.1014:
	v_lshlrev_b32_e32 v7, 3, v0
	ds_read2st64_b64 v[9:12], v7 offset0:65 offset1:66
	ds_read2st64_b64 v[13:16], v7 offset0:67 offset1:68
	ds_read_b64 v[17:18], v7 offset:40448
	s_waitcnt lgkmcnt(2)
	v_add_f32_e32 v2, v2, v9
	v_add_f32_e32 v3, v3, v10
	;; [unrolled: 1-line block ×4, first 2 shown]
	ds_read2st64_b64 v[2:5], v7 offset0:69 offset1:70
	s_waitcnt lgkmcnt(2)
	v_add_f32_e32 v9, v9, v13
	v_add_f32_e32 v10, v10, v14
	;; [unrolled: 1-line block ×4, first 2 shown]
	s_waitcnt lgkmcnt(0)
	v_add_f32_e32 v2, v9, v2
	ds_read2st64_b64 v[9:12], v7 offset0:71 offset1:72
	v_add_f32_e32 v3, v13, v3
	v_add_f32_e32 v13, v2, v4
	;; [unrolled: 1-line block ×3, first 2 shown]
	ds_read2st64_b64 v[2:5], v7 offset0:73 offset1:74
	s_waitcnt lgkmcnt(1)
	v_add_f32_e32 v9, v13, v9
	v_add_f32_e32 v10, v14, v10
	;; [unrolled: 1-line block ×4, first 2 shown]
	s_waitcnt lgkmcnt(0)
	v_add_f32_e32 v2, v9, v2
	ds_read2st64_b64 v[9:12], v7 offset0:75 offset1:76
	v_add_f32_e32 v3, v13, v3
	v_add_f32_e32 v13, v2, v4
	;; [unrolled: 1-line block ×3, first 2 shown]
	ds_read2st64_b64 v[2:5], v7 offset0:77 offset1:78
	s_waitcnt lgkmcnt(1)
	v_add_f32_e32 v7, v13, v9
	v_add_f32_e32 v9, v14, v10
	;; [unrolled: 1-line block ×4, first 2 shown]
	s_waitcnt lgkmcnt(0)
	v_add_f32_e32 v2, v7, v2
	v_add_f32_e32 v3, v9, v3
	;; [unrolled: 1-line block ×6, first 2 shown]
	v_cndmask_b32_e64 v2, -v2, 0, s[18:19]
	v_cndmask_b32_e64 v3, -v3, 0, s[18:19]
.LBB164_1015:
	s_or_b64 exec, exec, s[8:9]
	s_and_b64 vcc, exec, s[44:45]
	s_cbranch_vccnz .LBB164_1028
; %bb.1016:
	v_mov_b32_e32 v4, 0xa000
	v_lshl_or_b32 v7, v1, 3, v4
	s_and_saveexec_b64 s[8:9], s[16:17]
; %bb.1017:
	v_lshl_add_u32 v4, v0, 3, v7
	ds_write_b64 v4, v[2:3]
; %bb.1018:
	s_or_b64 exec, exec, s[8:9]
	v_cmp_le_u32_e32 vcc, v0, v1
	v_mov_b32_e32 v4, 0
	v_mov_b32_e32 v5, 0
	s_waitcnt lgkmcnt(0)
	s_barrier
	s_and_saveexec_b64 s[8:9], vcc
	s_cbranch_execz .LBB164_1020
; %bb.1019:
	ds_read_b64 v[4:5], v6
	ds_read_b64 v[9:10], v7
	s_waitcnt lgkmcnt(0)
	v_mul_f32_e32 v11, v10, v5
	v_mul_f32_e32 v5, v9, v5
	v_fma_f32 v9, v9, v4, -v11
	v_fmac_f32_e32 v5, v10, v4
	v_add_f32_e32 v4, 0, v9
	v_add_f32_e32 v5, 0, v5
.LBB164_1020:
	s_or_b64 exec, exec, s[8:9]
	v_add_u32_e32 v9, 16, v1
	v_cmp_le_u32_e32 vcc, v0, v9
	s_and_saveexec_b64 s[8:9], vcc
	s_cbranch_execz .LBB164_1022
; %bb.1021:
	ds_read_b64 v[9:10], v6 offset:8192
	ds_read_b64 v[11:12], v7 offset:128
	s_waitcnt lgkmcnt(0)
	v_mul_f32_e32 v13, v12, v10
	v_mul_f32_e32 v10, v11, v10
	v_fma_f32 v11, v11, v9, -v13
	v_fmac_f32_e32 v10, v12, v9
	v_add_f32_e32 v4, v4, v11
	v_add_f32_e32 v5, v5, v10
.LBB164_1022:
	s_or_b64 exec, exec, s[8:9]
	v_add_u32_e32 v9, 32, v1
	v_cmp_le_u32_e32 vcc, v0, v9
	s_and_saveexec_b64 s[8:9], vcc
	s_cbranch_execz .LBB164_1024
; %bb.1023:
	ds_read_b64 v[9:10], v6 offset:16384
	ds_read_b64 v[11:12], v7 offset:256
	s_waitcnt lgkmcnt(0)
	v_mul_f32_e32 v13, v12, v10
	v_mul_f32_e32 v10, v11, v10
	v_fma_f32 v11, v11, v9, -v13
	v_fmac_f32_e32 v10, v12, v9
	v_add_f32_e32 v4, v4, v11
	v_add_f32_e32 v5, v5, v10
.LBB164_1024:
	s_or_b64 exec, exec, s[8:9]
	v_add_u32_e32 v1, 48, v1
	v_add_u32_e32 v9, 0x8000, v6
	v_cmp_le_u32_e32 vcc, v0, v1
	s_and_saveexec_b64 s[8:9], vcc
	s_cbranch_execz .LBB164_1026
; %bb.1025:
	ds_read_b64 v[10:11], v6 offset:24576
	ds_read_b64 v[6:7], v7 offset:384
	s_waitcnt lgkmcnt(0)
	v_mul_f32_e32 v1, v7, v11
	v_mul_f32_e32 v11, v6, v11
	v_fma_f32 v1, v6, v10, -v1
	v_fmac_f32_e32 v11, v7, v10
	v_add_f32_e32 v4, v4, v1
	v_add_f32_e32 v5, v5, v11
.LBB164_1026:
	s_or_b64 exec, exec, s[8:9]
	s_mov_b64 s[10:11], 0
	s_mov_b64 s[8:9], 0
	ds_write_b64 v9, v[4:5]
	s_waitcnt lgkmcnt(0)
	s_barrier
                                        ; implicit-def: $vgpr1
                                        ; implicit-def: $vgpr6
	s_and_saveexec_b64 s[12:13], s[16:17]
	s_cbranch_execz .LBB164_1046
; %bb.1027:
	v_lshlrev_b32_e32 v1, 3, v0
	ds_read2st64_b64 v[9:12], v1 offset0:65 offset1:66
	ds_read2st64_b64 v[13:16], v1 offset0:67 offset1:68
	ds_read_b64 v[17:18], v1 offset:40448
	s_mov_b64 s[8:9], exec
	s_waitcnt lgkmcnt(2)
	v_add_f32_e32 v4, v4, v9
	v_add_f32_e32 v5, v5, v10
	;; [unrolled: 1-line block ×4, first 2 shown]
	ds_read2st64_b64 v[4:7], v1 offset0:69 offset1:70
	s_waitcnt lgkmcnt(2)
	v_add_f32_e32 v9, v9, v13
	v_add_f32_e32 v10, v10, v14
	;; [unrolled: 1-line block ×4, first 2 shown]
	s_waitcnt lgkmcnt(0)
	v_add_f32_e32 v4, v9, v4
	ds_read2st64_b64 v[9:12], v1 offset0:71 offset1:72
	v_add_f32_e32 v5, v13, v5
	v_add_f32_e32 v13, v4, v6
	;; [unrolled: 1-line block ×3, first 2 shown]
	ds_read2st64_b64 v[4:7], v1 offset0:73 offset1:74
	s_waitcnt lgkmcnt(1)
	v_add_f32_e32 v9, v13, v9
	v_add_f32_e32 v10, v14, v10
	;; [unrolled: 1-line block ×4, first 2 shown]
	s_waitcnt lgkmcnt(0)
	v_add_f32_e32 v4, v9, v4
	ds_read2st64_b64 v[9:12], v1 offset0:75 offset1:76
	v_add_f32_e32 v5, v13, v5
	v_add_f32_e32 v13, v4, v6
	;; [unrolled: 1-line block ×3, first 2 shown]
	ds_read2st64_b64 v[4:7], v1 offset0:77 offset1:78
	s_waitcnt lgkmcnt(1)
	v_add_f32_e32 v1, v13, v9
	v_add_f32_e32 v9, v14, v10
	;; [unrolled: 1-line block ×4, first 2 shown]
	s_waitcnt lgkmcnt(0)
	v_add_f32_e32 v1, v1, v4
	v_add_f32_e32 v4, v9, v5
	;; [unrolled: 1-line block ×6, first 2 shown]
	s_or_b64 exec, exec, s[12:13]
	s_and_b64 vcc, exec, s[10:11]
	s_cbranch_vccnz .LBB164_1029
	s_branch .LBB164_1047
.LBB164_1028:
	s_mov_b64 s[8:9], 0
                                        ; implicit-def: $vgpr1
                                        ; implicit-def: $vgpr6
	s_cbranch_execz .LBB164_1047
.LBB164_1029:
	v_mov_b32_e32 v1, 0x7c00
	v_lshl_add_u32 v1, v0, 3, v1
	v_mov_b32_e32 v5, 63
	v_mov_b32_e32 v4, 0
	s_branch .LBB164_1031
.LBB164_1030:                           ;   in Loop: Header=BB164_1031 Depth=1
	s_or_b64 exec, exec, s[10:11]
	v_subrev_co_u32_e32 v5, vcc, 1, v5
	s_andn2_b64 vcc, exec, vcc
	v_add_u32_e32 v1, 0xfffffc00, v1
	s_barrier
	s_cbranch_vccz .LBB164_1039
.LBB164_1031:                           ; =>This Inner Loop Header: Depth=1
	v_cmp_eq_u32_e32 vcc, v0, v5
	s_and_b64 s[12:13], s[16:17], vcc
	s_and_saveexec_b64 s[10:11], s[12:13]
; %bb.1032:                             ;   in Loop: Header=BB164_1031 Depth=1
	ds_write_b64 v4, v[2:3] offset:41472
; %bb.1033:                             ;   in Loop: Header=BB164_1031 Depth=1
	s_or_b64 exec, exec, s[10:11]
	v_cmp_lt_u32_e32 vcc, v0, v5
	s_and_b64 s[12:13], s[16:17], vcc
	s_waitcnt lgkmcnt(0)
	s_barrier
	s_and_saveexec_b64 s[10:11], s[12:13]
	s_cbranch_execz .LBB164_1035
; %bb.1034:                             ;   in Loop: Header=BB164_1031 Depth=1
	ds_read_b64 v[6:7], v1 offset:512
	ds_read_b64 v[9:10], v4 offset:41472
	s_waitcnt lgkmcnt(0)
	v_mul_f32_e32 v11, v10, v7
	v_mul_f32_e32 v7, v9, v7
	v_fma_f32 v9, v9, v6, -v11
	v_fmac_f32_e32 v7, v10, v6
	v_add_f32_e32 v2, v2, v9
	v_add_f32_e32 v3, v3, v7
.LBB164_1035:                           ;   in Loop: Header=BB164_1031 Depth=1
	s_or_b64 exec, exec, s[10:11]
	v_add_u32_e32 v5, -1, v5
	v_cmp_eq_u32_e32 vcc, v0, v5
	s_and_b64 s[12:13], s[16:17], vcc
	s_barrier
	s_and_saveexec_b64 s[10:11], s[12:13]
; %bb.1036:                             ;   in Loop: Header=BB164_1031 Depth=1
	ds_write_b64 v4, v[2:3] offset:41472
; %bb.1037:                             ;   in Loop: Header=BB164_1031 Depth=1
	s_or_b64 exec, exec, s[10:11]
	v_cmp_lt_u32_e32 vcc, v0, v5
	s_and_b64 s[12:13], s[16:17], vcc
	s_waitcnt lgkmcnt(0)
	s_barrier
	s_and_saveexec_b64 s[10:11], s[12:13]
	s_cbranch_execz .LBB164_1030
; %bb.1038:                             ;   in Loop: Header=BB164_1031 Depth=1
	ds_read_b64 v[6:7], v1
	ds_read_b64 v[9:10], v4 offset:41472
	s_waitcnt lgkmcnt(0)
	v_mul_f32_e32 v11, v10, v7
	v_mul_f32_e32 v7, v9, v7
	v_fma_f32 v9, v9, v6, -v11
	v_fmac_f32_e32 v7, v10, v6
	v_add_f32_e32 v2, v2, v9
	v_add_f32_e32 v3, v3, v7
	s_branch .LBB164_1030
.LBB164_1039:
	s_mov_b64 s[10:11], -1
	s_and_b64 vcc, exec, s[4:5]
	s_cbranch_vccnz .LBB164_1048
; %bb.1040:
	s_andn2_b64 vcc, exec, s[10:11]
	s_cbranch_vccz .LBB164_1049
.LBB164_1041:
	s_and_saveexec_b64 s[4:5], s[8:9]
	s_cbranch_execz .LBB164_1043
.LBB164_1042:
	s_lshl_b32 s8, s33, 6
	s_ashr_i32 s9, s8, 31
	v_mov_b32_e32 v0, s9
	v_add_co_u32_e32 v1, vcc, s8, v8
	v_addc_co_u32_e32 v0, vcc, 0, v0, vcc
	v_mul_lo_u32 v4, v0, s30
	v_mul_lo_u32 v5, v1, s31
	v_mad_u64_u32 v[0:1], s[8:9], v1, s30, 0
	v_add3_u32 v1, v1, v5, v4
	v_lshlrev_b64 v[0:1], 3, v[0:1]
	v_mov_b32_e32 v4, s27
	v_add_co_u32_e32 v0, vcc, s26, v0
	v_addc_co_u32_e32 v1, vcc, v4, v1, vcc
	flat_store_dwordx2 v[0:1], v[2:3]
.LBB164_1043:
	s_or_b64 exec, exec, s[4:5]
	v_cmp_eq_u32_e32 vcc, 0, v8
	s_waitcnt vmcnt(0) lgkmcnt(0)
	buffer_wbinvl1_vol
	s_barrier
	s_and_saveexec_b64 s[4:5], vcc
	s_cbranch_execz .LBB164_1045
; %bb.1044:
	s_lshl_b64 s[8:9], s[28:29], 2
	s_add_u32 s6, s6, s8
	s_addc_u32 s7, s7, s9
	v_mov_b32_e32 v0, 0
	global_load_dword v1, v0, s[6:7]
	s_waitcnt vmcnt(0)
	v_add_u32_e32 v1, 1, v1
	global_store_dword v0, v1, s[6:7]
.LBB164_1045:
	s_or_b64 exec, exec, s[4:5]
	s_waitcnt vmcnt(0)
	buffer_wbinvl1_vol
	s_endpgm
.LBB164_1046:
	s_or_b64 exec, exec, s[12:13]
	s_and_b64 vcc, exec, s[10:11]
	s_cbranch_vccnz .LBB164_1029
.LBB164_1047:
	v_mov_b32_e32 v3, v1
	v_mov_b32_e32 v2, v6
	s_and_saveexec_b64 s[4:5], s[8:9]
	s_cbranch_execnz .LBB164_1042
	s_branch .LBB164_1043
.LBB164_1048:
	s_andn2_b64 s[4:5], s[8:9], exec
	s_and_b64 s[8:9], s[16:17], exec
	s_or_b64 s[8:9], s[4:5], s[8:9]
	s_cbranch_execnz .LBB164_1041
.LBB164_1049:
	v_cmp_gt_i32_e32 vcc, s98, v0
	s_and_b64 s[4:5], s[16:17], vcc
	s_andn2_b64 s[8:9], s[8:9], exec
	s_and_b64 s[4:5], s[4:5], exec
	s_or_b64 s[8:9], s[8:9], s[4:5]
	s_and_saveexec_b64 s[4:5], s[8:9]
	s_cbranch_execnz .LBB164_1042
	s_branch .LBB164_1043
.LBB164_1050:
	v_lshlrev_b32_e32 v13, 3, v12
	v_sub_u32_e32 v13, v10, v13
	v_lshl_add_u32 v13, v11, 3, v13
	ds_read_b64 v[13:14], v13 offset:544
	ds_read_b64 v[15:16], v10 offset:8
	s_waitcnt lgkmcnt(0)
	v_mul_f32_e32 v17, v16, v14
	v_mul_f32_e32 v14, v15, v14
	v_fma_f32 v15, v15, v13, -v17
	v_fmac_f32_e32 v14, v16, v13
	v_add_f32_e32 v2, v2, v15
	v_add_f32_e32 v3, v3, v14
	s_or_b64 exec, exec, s[18:19]
	v_cmp_gt_u32_e64 s[14:15], 8, v7
	s_and_saveexec_b64 s[18:19], s[14:15]
	s_cbranch_execz .LBB164_92
.LBB164_1051:
	ds_read_b64 v[13:14], v8 offset:1056
	ds_read_b64 v[15:16], v10 offset:16
	s_waitcnt lgkmcnt(0)
	v_mul_f32_e32 v10, v16, v14
	v_mul_f32_e32 v14, v15, v14
	v_fma_f32 v10, v15, v13, -v10
	v_fmac_f32_e32 v14, v16, v13
	v_add_f32_e32 v2, v2, v10
	v_add_f32_e32 v3, v3, v14
	s_or_b64 exec, exec, s[18:19]
	v_cmp_gt_u32_e64 s[14:15], 4, v7
	s_and_saveexec_b64 s[18:19], s[14:15]
	s_cbranch_execnz .LBB164_93
	s_branch .LBB164_94
.LBB164_1052:
	v_lshlrev_b32_e32 v18, 3, v17
	v_sub_u32_e32 v18, v15, v18
	v_lshl_add_u32 v18, v16, 3, v18
	ds_read_b64 v[18:19], v18 offset:576
	ds_read_b64 v[20:21], v15 offset:8
	s_waitcnt lgkmcnt(0)
	v_mul_f32_e32 v22, v21, v19
	v_mul_f32_e32 v19, v20, v19
	v_fma_f32 v20, v20, v18, -v22
	v_fmac_f32_e32 v19, v21, v18
	v_add_f32_e32 v2, v2, v20
	v_add_f32_e32 v3, v3, v19
	s_or_b64 exec, exec, s[20:21]
	v_cmp_gt_u32_e64 s[18:19], 48, v7
	s_and_saveexec_b64 s[20:21], s[18:19]
	s_cbranch_execz .LBB164_134
.LBB164_1053:
	v_lshlrev_b32_e32 v18, 3, v17
	v_sub_u32_e32 v18, v15, v18
	v_lshl_add_u32 v18, v16, 3, v18
	ds_read_b64 v[18:19], v18 offset:1088
	ds_read_b64 v[20:21], v15 offset:16
	s_waitcnt lgkmcnt(0)
	v_mul_f32_e32 v22, v21, v19
	v_mul_f32_e32 v19, v20, v19
	v_fma_f32 v20, v20, v18, -v22
	v_fmac_f32_e32 v19, v21, v18
	v_add_f32_e32 v2, v2, v20
	v_add_f32_e32 v3, v3, v19
	s_or_b64 exec, exec, s[20:21]
	v_cmp_gt_u32_e64 s[18:19], 40, v7
	s_and_saveexec_b64 s[20:21], s[18:19]
	s_cbranch_execz .LBB164_135
.LBB164_1054:
	v_lshlrev_b32_e32 v18, 3, v17
	v_sub_u32_e32 v18, v15, v18
	v_lshl_add_u32 v18, v16, 3, v18
	ds_read_b64 v[18:19], v18 offset:1600
	ds_read_b64 v[20:21], v15 offset:24
	s_waitcnt lgkmcnt(0)
	v_mul_f32_e32 v22, v21, v19
	v_mul_f32_e32 v19, v20, v19
	v_fma_f32 v20, v20, v18, -v22
	v_fmac_f32_e32 v19, v21, v18
	v_add_f32_e32 v2, v2, v20
	v_add_f32_e32 v3, v3, v19
	s_or_b64 exec, exec, s[20:21]
	v_cmp_gt_u32_e64 s[18:19], 32, v7
	s_and_saveexec_b64 s[20:21], s[18:19]
	s_cbranch_execz .LBB164_136
.LBB164_1055:
	ds_read_b64 v[18:19], v13 offset:2112
	ds_read_b64 v[20:21], v15 offset:32
	s_waitcnt lgkmcnt(0)
	v_mul_f32_e32 v22, v21, v19
	v_mul_f32_e32 v19, v20, v19
	v_fma_f32 v20, v20, v18, -v22
	v_fmac_f32_e32 v19, v21, v18
	v_add_f32_e32 v2, v2, v20
	v_add_f32_e32 v3, v3, v19
	s_or_b64 exec, exec, s[20:21]
	v_cmp_gt_u32_e64 s[18:19], 24, v7
	s_and_saveexec_b64 s[20:21], s[18:19]
	s_cbranch_execz .LBB164_137
.LBB164_1056:
	v_lshlrev_b32_e32 v18, 3, v17
	v_sub_u32_e32 v18, v15, v18
	v_lshl_add_u32 v18, v16, 3, v18
	ds_read_b64 v[18:19], v18 offset:2624
	ds_read_b64 v[20:21], v15 offset:40
	s_waitcnt lgkmcnt(0)
	v_mul_f32_e32 v22, v21, v19
	v_mul_f32_e32 v19, v20, v19
	v_fma_f32 v20, v20, v18, -v22
	v_fmac_f32_e32 v19, v21, v18
	v_add_f32_e32 v2, v2, v20
	v_add_f32_e32 v3, v3, v19
	s_or_b64 exec, exec, s[20:21]
	v_cmp_gt_u32_e64 s[18:19], 16, v7
	s_and_saveexec_b64 s[20:21], s[18:19]
	s_cbranch_execz .LBB164_138
.LBB164_1057:
	ds_read_b64 v[18:19], v13 offset:3136
	ds_read_b64 v[20:21], v15 offset:48
	s_waitcnt lgkmcnt(0)
	v_mul_f32_e32 v15, v21, v19
	v_mul_f32_e32 v19, v20, v19
	v_fma_f32 v15, v20, v18, -v15
	v_fmac_f32_e32 v19, v21, v18
	v_add_f32_e32 v2, v2, v15
	v_add_f32_e32 v3, v3, v19
	s_or_b64 exec, exec, s[20:21]
	v_cmp_gt_u32_e64 s[18:19], 8, v7
	s_and_saveexec_b64 s[20:21], s[18:19]
	s_cbranch_execnz .LBB164_139
	s_branch .LBB164_140
.LBB164_1058:
	v_lshlrev_b32_e32 v19, 3, v12
	v_sub_u32_e32 v19, v18, v19
	v_lshl_add_u32 v19, v11, 3, v19
	ds_read_b64 v[19:20], v19 offset:4704
	ds_read_b64 v[21:22], v18 offset:4168
	s_waitcnt lgkmcnt(0)
	v_mul_f32_e32 v23, v22, v20
	v_mul_f32_e32 v20, v21, v20
	v_fma_f32 v21, v21, v19, -v23
	v_fmac_f32_e32 v20, v22, v19
	v_add_f32_e32 v2, v2, v21
	v_add_f32_e32 v3, v3, v20
	s_or_b64 exec, exec, s[18:19]
	v_cmp_gt_u32_e64 s[14:15], 8, v7
	s_and_saveexec_b64 s[18:19], s[14:15]
	s_cbranch_execz .LBB164_196
.LBB164_1059:
	ds_read_b64 v[19:20], v8 offset:5216
	ds_read_b64 v[21:22], v18 offset:4176
	s_waitcnt lgkmcnt(0)
	v_mul_f32_e32 v18, v22, v20
	v_mul_f32_e32 v20, v21, v20
	v_fma_f32 v18, v21, v19, -v18
	v_fmac_f32_e32 v20, v22, v19
	v_add_f32_e32 v2, v2, v18
	v_add_f32_e32 v3, v3, v20
	s_or_b64 exec, exec, s[18:19]
	v_cmp_gt_u32_e64 s[14:15], 4, v7
	s_and_saveexec_b64 s[18:19], s[14:15]
	s_cbranch_execnz .LBB164_197
	s_branch .LBB164_198
.LBB164_1060:
	v_lshlrev_b32_e32 v23, 3, v19
	v_lshl_add_u32 v23, v21, 3, v23
	ds_read_b64 v[23:24], v23 offset:5760
	ds_read_b64 v[25:26], v20 offset:88
	s_waitcnt lgkmcnt(0)
	v_mul_f32_e32 v27, v26, v24
	v_mul_f32_e32 v24, v25, v24
	v_fma_f32 v25, v25, v23, -v27
	v_fmac_f32_e32 v24, v26, v23
	v_add_f32_e32 v2, v2, v25
	v_add_f32_e32 v3, v3, v24
	s_or_b64 exec, exec, s[24:25]
	v_cmp_gt_u32_e64 s[20:21], 64, v7
	s_and_saveexec_b64 s[24:25], s[20:21]
	s_cbranch_execz .LBB164_258
.LBB164_1061:
	ds_read_b64 v[23:24], v18 offset:6272
	ds_read_b64 v[25:26], v20 offset:96
	s_waitcnt lgkmcnt(0)
	v_mul_f32_e32 v27, v26, v24
	v_mul_f32_e32 v24, v25, v24
	v_fma_f32 v25, v25, v23, -v27
	v_fmac_f32_e32 v24, v26, v23
	v_add_f32_e32 v2, v2, v25
	v_add_f32_e32 v3, v3, v24
	s_or_b64 exec, exec, s[24:25]
	v_cmp_gt_u32_e64 s[20:21], 48, v7
	s_and_saveexec_b64 s[24:25], s[20:21]
	s_cbranch_execz .LBB164_259
.LBB164_1062:
	v_lshlrev_b32_e32 v23, 3, v19
	v_lshl_add_u32 v23, v21, 3, v23
	ds_read_b64 v[23:24], v23 offset:6784
	ds_read_b64 v[25:26], v20 offset:104
	s_waitcnt lgkmcnt(0)
	v_mul_f32_e32 v27, v26, v24
	v_mul_f32_e32 v24, v25, v24
	v_fma_f32 v25, v25, v23, -v27
	v_fmac_f32_e32 v24, v26, v23
	v_add_f32_e32 v2, v2, v25
	v_add_f32_e32 v3, v3, v24
	s_or_b64 exec, exec, s[24:25]
	v_cmp_gt_u32_e64 s[20:21], 32, v7
	s_and_saveexec_b64 s[24:25], s[20:21]
	s_cbranch_execz .LBB164_260
.LBB164_1063:
	ds_read_b64 v[23:24], v18 offset:7296
	ds_read_b64 v[25:26], v20 offset:112
	s_waitcnt lgkmcnt(0)
	v_mul_f32_e32 v20, v26, v24
	v_mul_f32_e32 v24, v25, v24
	v_fma_f32 v20, v25, v23, -v20
	v_fmac_f32_e32 v24, v26, v23
	v_add_f32_e32 v2, v2, v20
	v_add_f32_e32 v3, v3, v24
	s_or_b64 exec, exec, s[24:25]
	v_cmp_gt_u32_e64 s[20:21], 16, v7
	s_and_saveexec_b64 s[24:25], s[20:21]
	s_cbranch_execnz .LBB164_261
	s_branch .LBB164_262
.LBB164_1064:
	v_lshlrev_b32_e32 v24, 3, v12
	v_sub_u32_e32 v24, v23, v24
	v_lshl_add_u32 v24, v11, 3, v24
	ds_read_b64 v[24:25], v24 offset:8864
	ds_read_b64 v[26:27], v23 offset:8328
	s_waitcnt lgkmcnt(0)
	v_mul_f32_e32 v28, v27, v25
	v_mul_f32_e32 v25, v26, v25
	v_fma_f32 v26, v26, v24, -v28
	v_fmac_f32_e32 v25, v27, v24
	v_add_f32_e32 v2, v2, v26
	v_add_f32_e32 v3, v3, v25
	s_or_b64 exec, exec, s[24:25]
	v_cmp_gt_u32_e64 s[18:19], 8, v7
	s_and_saveexec_b64 s[24:25], s[18:19]
	s_cbranch_execz .LBB164_350
.LBB164_1065:
	ds_read_b64 v[24:25], v8 offset:9376
	ds_read_b64 v[26:27], v23 offset:8336
	s_waitcnt lgkmcnt(0)
	v_mul_f32_e32 v23, v27, v25
	v_mul_f32_e32 v25, v26, v25
	v_fma_f32 v23, v26, v24, -v23
	v_fmac_f32_e32 v25, v27, v24
	v_add_f32_e32 v2, v2, v23
	v_add_f32_e32 v3, v3, v25
	s_or_b64 exec, exec, s[24:25]
	v_cmp_gt_u32_e64 s[18:19], 4, v7
	s_and_saveexec_b64 s[24:25], s[18:19]
	s_cbranch_execnz .LBB164_351
	s_branch .LBB164_352
.LBB164_1066:
	v_lshlrev_b32_e32 v24, 3, v17
	v_sub_u32_e32 v24, v23, v24
	v_lshl_add_u32 v24, v16, 3, v24
	ds_read_b64 v[24:25], v24 offset:8896
	ds_read_b64 v[26:27], v23 offset:8328
	s_waitcnt lgkmcnt(0)
	v_mul_f32_e32 v28, v27, v25
	v_mul_f32_e32 v25, v26, v25
	v_fma_f32 v26, v26, v24, -v28
	v_fmac_f32_e32 v25, v27, v24
	v_add_f32_e32 v2, v2, v26
	v_add_f32_e32 v3, v3, v25
	s_or_b64 exec, exec, s[24:25]
	v_cmp_gt_u32_e64 s[18:19], 48, v7
	s_and_saveexec_b64 s[24:25], s[18:19]
	s_cbranch_execz .LBB164_392
.LBB164_1067:
	v_lshlrev_b32_e32 v24, 3, v17
	v_sub_u32_e32 v24, v23, v24
	v_lshl_add_u32 v24, v16, 3, v24
	ds_read_b64 v[24:25], v24 offset:9408
	ds_read_b64 v[26:27], v23 offset:8336
	s_waitcnt lgkmcnt(0)
	v_mul_f32_e32 v28, v27, v25
	v_mul_f32_e32 v25, v26, v25
	v_fma_f32 v26, v26, v24, -v28
	v_fmac_f32_e32 v25, v27, v24
	v_add_f32_e32 v2, v2, v26
	v_add_f32_e32 v3, v3, v25
	s_or_b64 exec, exec, s[24:25]
	v_cmp_gt_u32_e64 s[18:19], 40, v7
	s_and_saveexec_b64 s[24:25], s[18:19]
	s_cbranch_execz .LBB164_393
.LBB164_1068:
	v_lshlrev_b32_e32 v24, 3, v17
	v_sub_u32_e32 v24, v23, v24
	v_lshl_add_u32 v24, v16, 3, v24
	ds_read_b64 v[24:25], v24 offset:9920
	ds_read_b64 v[26:27], v23 offset:8344
	s_waitcnt lgkmcnt(0)
	v_mul_f32_e32 v28, v27, v25
	v_mul_f32_e32 v25, v26, v25
	v_fma_f32 v26, v26, v24, -v28
	v_fmac_f32_e32 v25, v27, v24
	v_add_f32_e32 v2, v2, v26
	v_add_f32_e32 v3, v3, v25
	s_or_b64 exec, exec, s[24:25]
	v_cmp_gt_u32_e64 s[18:19], 32, v7
	s_and_saveexec_b64 s[24:25], s[18:19]
	s_cbranch_execz .LBB164_394
.LBB164_1069:
	ds_read_b64 v[24:25], v13 offset:10432
	ds_read_b64 v[26:27], v23 offset:8352
	s_waitcnt lgkmcnt(0)
	v_mul_f32_e32 v28, v27, v25
	v_mul_f32_e32 v25, v26, v25
	v_fma_f32 v26, v26, v24, -v28
	v_fmac_f32_e32 v25, v27, v24
	v_add_f32_e32 v2, v2, v26
	v_add_f32_e32 v3, v3, v25
	s_or_b64 exec, exec, s[24:25]
	v_cmp_gt_u32_e64 s[18:19], 24, v7
	s_and_saveexec_b64 s[24:25], s[18:19]
	s_cbranch_execz .LBB164_395
.LBB164_1070:
	v_lshlrev_b32_e32 v24, 3, v17
	v_sub_u32_e32 v24, v23, v24
	v_lshl_add_u32 v24, v16, 3, v24
	ds_read_b64 v[24:25], v24 offset:10944
	ds_read_b64 v[26:27], v23 offset:8360
	s_waitcnt lgkmcnt(0)
	v_mul_f32_e32 v28, v27, v25
	v_mul_f32_e32 v25, v26, v25
	v_fma_f32 v26, v26, v24, -v28
	v_fmac_f32_e32 v25, v27, v24
	v_add_f32_e32 v2, v2, v26
	v_add_f32_e32 v3, v3, v25
	s_or_b64 exec, exec, s[24:25]
	v_cmp_gt_u32_e64 s[18:19], 16, v7
	s_and_saveexec_b64 s[24:25], s[18:19]
	s_cbranch_execz .LBB164_396
.LBB164_1071:
	ds_read_b64 v[24:25], v13 offset:11456
	ds_read_b64 v[26:27], v23 offset:8368
	s_waitcnt lgkmcnt(0)
	v_mul_f32_e32 v23, v27, v25
	v_mul_f32_e32 v25, v26, v25
	v_fma_f32 v23, v26, v24, -v23
	v_fmac_f32_e32 v25, v27, v24
	v_add_f32_e32 v2, v2, v23
	v_add_f32_e32 v3, v3, v25
	s_or_b64 exec, exec, s[24:25]
	v_cmp_gt_u32_e64 s[18:19], 8, v7
	s_and_saveexec_b64 s[24:25], s[18:19]
	s_cbranch_execnz .LBB164_397
	s_branch .LBB164_398
.LBB164_1072:
	v_lshlrev_b32_e32 v24, 3, v12
	v_sub_u32_e32 v24, v23, v24
	v_lshl_add_u32 v24, v11, 3, v24
	ds_read_b64 v[24:25], v24 offset:13024
	ds_read_b64 v[26:27], v23 offset:12488
	s_waitcnt lgkmcnt(0)
	v_mul_f32_e32 v28, v27, v25
	v_mul_f32_e32 v25, v26, v25
	v_fma_f32 v26, v26, v24, -v28
	v_fmac_f32_e32 v25, v27, v24
	v_add_f32_e32 v2, v2, v26
	v_add_f32_e32 v3, v3, v25
	s_or_b64 exec, exec, s[24:25]
	v_cmp_gt_u32_e64 s[18:19], 8, v7
	s_and_saveexec_b64 s[24:25], s[18:19]
	s_cbranch_execz .LBB164_454
.LBB164_1073:
	ds_read_b64 v[24:25], v8 offset:13536
	ds_read_b64 v[26:27], v23 offset:12496
	s_waitcnt lgkmcnt(0)
	v_mul_f32_e32 v23, v27, v25
	v_mul_f32_e32 v25, v26, v25
	v_fma_f32 v23, v26, v24, -v23
	v_fmac_f32_e32 v25, v27, v24
	v_add_f32_e32 v2, v2, v23
	v_add_f32_e32 v3, v3, v25
	s_or_b64 exec, exec, s[24:25]
	v_cmp_gt_u32_e64 s[18:19], 4, v7
	s_and_saveexec_b64 s[24:25], s[18:19]
	s_cbranch_execnz .LBB164_455
	s_branch .LBB164_456
.LBB164_1074:
	ds_read_b64 v[29:30], v28 offset:15104
	ds_read_b64 v[31:32], v27 offset:232
	s_waitcnt lgkmcnt(0)
	v_mul_f32_e32 v33, v32, v30
	v_mul_f32_e32 v30, v31, v30
	v_fma_f32 v31, v31, v29, -v33
	v_fmac_f32_e32 v30, v32, v29
	v_add_f32_e32 v2, v2, v31
	v_add_f32_e32 v3, v3, v30
	s_or_b64 exec, exec, s[26:27]
	v_cmp_gt_u32_e64 s[24:25], 64, v7
	s_and_saveexec_b64 s[26:27], s[24:25]
	s_cbranch_execz .LBB164_552
.LBB164_1075:
	ds_read_b64 v[28:29], v28 offset:15616
	ds_read_b64 v[30:31], v27 offset:240
	s_waitcnt lgkmcnt(0)
	v_mul_f32_e32 v32, v31, v29
	v_mul_f32_e32 v29, v30, v29
	v_fma_f32 v30, v30, v28, -v32
	v_fmac_f32_e32 v29, v31, v28
	v_add_f32_e32 v2, v2, v30
	v_add_f32_e32 v3, v3, v29
	s_or_b64 exec, exec, s[26:27]
	v_cmp_gt_u32_e64 s[24:25], 32, v7
	s_and_saveexec_b64 s[26:27], s[24:25]
	s_cbranch_execnz .LBB164_553
	s_branch .LBB164_554
.LBB164_1076:
	v_lshlrev_b32_e32 v24, 3, v12
	v_sub_u32_e32 v24, v23, v24
	v_lshl_add_u32 v24, v11, 3, v24
	ds_read_b64 v[24:25], v24 offset:17184
	ds_read_b64 v[26:27], v23 offset:16648
	s_waitcnt lgkmcnt(0)
	v_mul_f32_e32 v28, v27, v25
	v_mul_f32_e32 v25, v26, v25
	v_fma_f32 v26, v26, v24, -v28
	v_fmac_f32_e32 v25, v27, v24
	v_add_f32_e32 v2, v2, v26
	v_add_f32_e32 v3, v3, v25
	s_or_b64 exec, exec, s[20:21]
	v_cmp_gt_u32_e64 s[16:17], 8, v7
	s_and_saveexec_b64 s[20:21], s[16:17]
	s_cbranch_execz .LBB164_590
.LBB164_1077:
	ds_read_b64 v[24:25], v8 offset:17696
	ds_read_b64 v[26:27], v23 offset:16656
	s_waitcnt lgkmcnt(0)
	v_mul_f32_e32 v23, v27, v25
	v_mul_f32_e32 v25, v26, v25
	v_fma_f32 v23, v26, v24, -v23
	v_fmac_f32_e32 v25, v27, v24
	v_add_f32_e32 v2, v2, v23
	v_add_f32_e32 v3, v3, v25
	s_or_b64 exec, exec, s[20:21]
	v_cmp_gt_u32_e64 s[16:17], 4, v7
	s_and_saveexec_b64 s[20:21], s[16:17]
	s_cbranch_execnz .LBB164_591
	s_branch .LBB164_592
.LBB164_1078:
	v_lshlrev_b32_e32 v24, 3, v17
	v_sub_u32_e32 v24, v23, v24
	v_lshl_add_u32 v24, v16, 3, v24
	ds_read_b64 v[24:25], v24 offset:17216
	ds_read_b64 v[26:27], v23 offset:16648
	s_waitcnt lgkmcnt(0)
	v_mul_f32_e32 v28, v27, v25
	v_mul_f32_e32 v25, v26, v25
	v_fma_f32 v26, v26, v24, -v28
	v_fmac_f32_e32 v25, v27, v24
	v_add_f32_e32 v2, v2, v26
	v_add_f32_e32 v3, v3, v25
	s_or_b64 exec, exec, s[20:21]
	v_cmp_gt_u32_e64 s[16:17], 48, v7
	s_and_saveexec_b64 s[20:21], s[16:17]
	s_cbranch_execz .LBB164_632
.LBB164_1079:
	v_lshlrev_b32_e32 v24, 3, v17
	v_sub_u32_e32 v24, v23, v24
	v_lshl_add_u32 v24, v16, 3, v24
	ds_read_b64 v[24:25], v24 offset:17728
	ds_read_b64 v[26:27], v23 offset:16656
	s_waitcnt lgkmcnt(0)
	v_mul_f32_e32 v28, v27, v25
	v_mul_f32_e32 v25, v26, v25
	v_fma_f32 v26, v26, v24, -v28
	v_fmac_f32_e32 v25, v27, v24
	v_add_f32_e32 v2, v2, v26
	v_add_f32_e32 v3, v3, v25
	s_or_b64 exec, exec, s[20:21]
	v_cmp_gt_u32_e64 s[16:17], 40, v7
	s_and_saveexec_b64 s[20:21], s[16:17]
	s_cbranch_execz .LBB164_633
.LBB164_1080:
	v_lshlrev_b32_e32 v24, 3, v17
	v_sub_u32_e32 v24, v23, v24
	v_lshl_add_u32 v24, v16, 3, v24
	ds_read_b64 v[24:25], v24 offset:18240
	ds_read_b64 v[26:27], v23 offset:16664
	s_waitcnt lgkmcnt(0)
	v_mul_f32_e32 v28, v27, v25
	v_mul_f32_e32 v25, v26, v25
	v_fma_f32 v26, v26, v24, -v28
	v_fmac_f32_e32 v25, v27, v24
	v_add_f32_e32 v2, v2, v26
	v_add_f32_e32 v3, v3, v25
	s_or_b64 exec, exec, s[20:21]
	v_cmp_gt_u32_e64 s[16:17], 32, v7
	s_and_saveexec_b64 s[20:21], s[16:17]
	s_cbranch_execz .LBB164_634
.LBB164_1081:
	ds_read_b64 v[24:25], v13 offset:18752
	ds_read_b64 v[26:27], v23 offset:16672
	s_waitcnt lgkmcnt(0)
	v_mul_f32_e32 v28, v27, v25
	v_mul_f32_e32 v25, v26, v25
	v_fma_f32 v26, v26, v24, -v28
	v_fmac_f32_e32 v25, v27, v24
	v_add_f32_e32 v2, v2, v26
	v_add_f32_e32 v3, v3, v25
	s_or_b64 exec, exec, s[20:21]
	v_cmp_gt_u32_e64 s[16:17], 24, v7
	s_and_saveexec_b64 s[20:21], s[16:17]
	s_cbranch_execz .LBB164_635
.LBB164_1082:
	v_lshlrev_b32_e32 v24, 3, v17
	v_sub_u32_e32 v24, v23, v24
	v_lshl_add_u32 v24, v16, 3, v24
	ds_read_b64 v[24:25], v24 offset:19264
	ds_read_b64 v[26:27], v23 offset:16680
	s_waitcnt lgkmcnt(0)
	v_mul_f32_e32 v28, v27, v25
	v_mul_f32_e32 v25, v26, v25
	v_fma_f32 v26, v26, v24, -v28
	v_fmac_f32_e32 v25, v27, v24
	v_add_f32_e32 v2, v2, v26
	v_add_f32_e32 v3, v3, v25
	s_or_b64 exec, exec, s[20:21]
	v_cmp_gt_u32_e64 s[16:17], 16, v7
	s_and_saveexec_b64 s[20:21], s[16:17]
	s_cbranch_execz .LBB164_636
.LBB164_1083:
	ds_read_b64 v[24:25], v13 offset:19776
	ds_read_b64 v[26:27], v23 offset:16688
	s_waitcnt lgkmcnt(0)
	v_mul_f32_e32 v23, v27, v25
	v_mul_f32_e32 v25, v26, v25
	v_fma_f32 v23, v26, v24, -v23
	v_fmac_f32_e32 v25, v27, v24
	v_add_f32_e32 v2, v2, v23
	v_add_f32_e32 v3, v3, v25
	s_or_b64 exec, exec, s[20:21]
	v_cmp_gt_u32_e64 s[16:17], 8, v7
	s_and_saveexec_b64 s[20:21], s[16:17]
	s_cbranch_execnz .LBB164_637
	s_branch .LBB164_638
.LBB164_1084:
	v_lshlrev_b32_e32 v24, 3, v12
	v_sub_u32_e32 v24, v23, v24
	v_lshl_add_u32 v24, v11, 3, v24
	ds_read_b64 v[24:25], v24 offset:21344
	ds_read_b64 v[26:27], v23 offset:20808
	s_waitcnt lgkmcnt(0)
	v_mul_f32_e32 v28, v27, v25
	v_mul_f32_e32 v25, v26, v25
	v_fma_f32 v26, v26, v24, -v28
	v_fmac_f32_e32 v25, v27, v24
	v_add_f32_e32 v2, v2, v26
	v_add_f32_e32 v3, v3, v25
	s_or_b64 exec, exec, s[20:21]
	v_cmp_gt_u32_e64 s[16:17], 8, v7
	s_and_saveexec_b64 s[20:21], s[16:17]
	s_cbranch_execz .LBB164_694
.LBB164_1085:
	ds_read_b64 v[24:25], v8 offset:21856
	ds_read_b64 v[26:27], v23 offset:20816
	s_waitcnt lgkmcnt(0)
	v_mul_f32_e32 v23, v27, v25
	v_mul_f32_e32 v25, v26, v25
	v_fma_f32 v23, v26, v24, -v23
	v_fmac_f32_e32 v25, v27, v24
	v_add_f32_e32 v2, v2, v23
	v_add_f32_e32 v3, v3, v25
	s_or_b64 exec, exec, s[20:21]
	v_cmp_gt_u32_e64 s[16:17], 4, v7
	s_and_saveexec_b64 s[20:21], s[16:17]
	s_cbranch_execnz .LBB164_695
	s_branch .LBB164_696
.LBB164_1086:
	v_lshlrev_b32_e32 v22, 3, v19
	v_lshl_add_u32 v22, v21, 3, v22
	ds_read_b64 v[24:25], v22 offset:22400
	ds_read_b64 v[26:27], v23 offset:16728
	s_waitcnt lgkmcnt(0)
	v_mul_f32_e32 v22, v27, v25
	v_mul_f32_e32 v25, v26, v25
	v_fma_f32 v22, v26, v24, -v22
	v_fmac_f32_e32 v25, v27, v24
	v_add_f32_e32 v2, v2, v22
	v_add_f32_e32 v3, v3, v25
	s_or_b64 exec, exec, s[20:21]
	v_cmp_gt_u32_e64 s[16:17], 64, v7
	s_and_saveexec_b64 s[20:21], s[16:17]
	s_cbranch_execz .LBB164_756
.LBB164_1087:
	ds_read_b64 v[24:25], v18 offset:22912
	ds_read_b64 v[26:27], v23 offset:16736
	s_waitcnt lgkmcnt(0)
	v_mul_f32_e32 v22, v27, v25
	v_mul_f32_e32 v25, v26, v25
	v_fma_f32 v22, v26, v24, -v22
	v_fmac_f32_e32 v25, v27, v24
	v_add_f32_e32 v2, v2, v22
	v_add_f32_e32 v3, v3, v25
	s_or_b64 exec, exec, s[20:21]
	v_cmp_gt_u32_e64 s[16:17], 48, v7
	s_and_saveexec_b64 s[20:21], s[16:17]
	s_cbranch_execz .LBB164_757
.LBB164_1088:
	v_lshlrev_b32_e32 v22, 3, v19
	v_lshl_add_u32 v21, v21, 3, v22
	ds_read_b64 v[21:22], v21 offset:23424
	ds_read_b64 v[24:25], v23 offset:16744
	s_waitcnt lgkmcnt(0)
	v_mul_f32_e32 v26, v25, v22
	v_mul_f32_e32 v22, v24, v22
	v_fma_f32 v24, v24, v21, -v26
	v_fmac_f32_e32 v22, v25, v21
	v_add_f32_e32 v2, v2, v24
	v_add_f32_e32 v3, v3, v22
	s_or_b64 exec, exec, s[20:21]
	v_cmp_gt_u32_e64 s[16:17], 32, v7
	s_and_saveexec_b64 s[20:21], s[16:17]
	s_cbranch_execz .LBB164_758
.LBB164_1089:
	ds_read_b64 v[21:22], v18 offset:23936
	ds_read_b64 v[23:24], v23 offset:16752
	s_waitcnt lgkmcnt(0)
	v_mul_f32_e32 v25, v24, v22
	v_mul_f32_e32 v22, v23, v22
	v_fma_f32 v23, v23, v21, -v25
	v_fmac_f32_e32 v22, v24, v21
	v_add_f32_e32 v2, v2, v23
	v_add_f32_e32 v3, v3, v22
	s_or_b64 exec, exec, s[20:21]
	v_cmp_gt_u32_e64 s[16:17], 16, v7
	s_and_saveexec_b64 s[20:21], s[16:17]
	s_cbranch_execnz .LBB164_759
	s_branch .LBB164_760
.LBB164_1090:
	v_lshlrev_b32_e32 v19, 3, v12
	v_sub_u32_e32 v19, v18, v19
	v_lshl_add_u32 v19, v11, 3, v19
	ds_read_b64 v[19:20], v19 offset:25504
	ds_read_b64 v[21:22], v18 offset:24968
	s_waitcnt lgkmcnt(0)
	v_mul_f32_e32 v23, v22, v20
	v_mul_f32_e32 v20, v21, v20
	v_fma_f32 v21, v21, v19, -v23
	v_fmac_f32_e32 v20, v22, v19
	v_add_f32_e32 v2, v2, v21
	v_add_f32_e32 v3, v3, v20
	s_or_b64 exec, exec, s[16:17]
	v_cmp_gt_u32_e64 s[14:15], 8, v7
	s_and_saveexec_b64 s[16:17], s[14:15]
	s_cbranch_execz .LBB164_848
.LBB164_1091:
	ds_read_b64 v[19:20], v8 offset:26016
	ds_read_b64 v[21:22], v18 offset:24976
	s_waitcnt lgkmcnt(0)
	v_mul_f32_e32 v18, v22, v20
	v_mul_f32_e32 v20, v21, v20
	v_fma_f32 v18, v21, v19, -v18
	v_fmac_f32_e32 v20, v22, v19
	v_add_f32_e32 v2, v2, v18
	v_add_f32_e32 v3, v3, v20
	s_or_b64 exec, exec, s[16:17]
	v_cmp_gt_u32_e64 s[14:15], 4, v7
	s_and_saveexec_b64 s[16:17], s[14:15]
	s_cbranch_execnz .LBB164_849
	s_branch .LBB164_850
.LBB164_1092:
	v_lshlrev_b32_e32 v19, 3, v17
	v_sub_u32_e32 v19, v18, v19
	v_lshl_add_u32 v19, v16, 3, v19
	ds_read_b64 v[19:20], v19 offset:25536
	ds_read_b64 v[21:22], v18 offset:24968
	s_waitcnt lgkmcnt(0)
	v_mul_f32_e32 v23, v22, v20
	v_mul_f32_e32 v20, v21, v20
	v_fma_f32 v21, v21, v19, -v23
	v_fmac_f32_e32 v20, v22, v19
	v_add_f32_e32 v2, v2, v21
	v_add_f32_e32 v3, v3, v20
	s_or_b64 exec, exec, s[16:17]
	v_cmp_gt_u32_e64 s[14:15], 48, v7
	s_and_saveexec_b64 s[16:17], s[14:15]
	s_cbranch_execz .LBB164_890
.LBB164_1093:
	v_lshlrev_b32_e32 v19, 3, v17
	v_sub_u32_e32 v19, v18, v19
	v_lshl_add_u32 v19, v16, 3, v19
	ds_read_b64 v[19:20], v19 offset:26048
	ds_read_b64 v[21:22], v18 offset:24976
	s_waitcnt lgkmcnt(0)
	v_mul_f32_e32 v23, v22, v20
	v_mul_f32_e32 v20, v21, v20
	v_fma_f32 v21, v21, v19, -v23
	v_fmac_f32_e32 v20, v22, v19
	v_add_f32_e32 v2, v2, v21
	v_add_f32_e32 v3, v3, v20
	s_or_b64 exec, exec, s[16:17]
	v_cmp_gt_u32_e64 s[14:15], 40, v7
	s_and_saveexec_b64 s[16:17], s[14:15]
	s_cbranch_execz .LBB164_891
.LBB164_1094:
	v_lshlrev_b32_e32 v19, 3, v17
	v_sub_u32_e32 v19, v18, v19
	v_lshl_add_u32 v19, v16, 3, v19
	ds_read_b64 v[19:20], v19 offset:26560
	ds_read_b64 v[21:22], v18 offset:24984
	s_waitcnt lgkmcnt(0)
	v_mul_f32_e32 v23, v22, v20
	v_mul_f32_e32 v20, v21, v20
	v_fma_f32 v21, v21, v19, -v23
	v_fmac_f32_e32 v20, v22, v19
	v_add_f32_e32 v2, v2, v21
	v_add_f32_e32 v3, v3, v20
	s_or_b64 exec, exec, s[16:17]
	v_cmp_gt_u32_e64 s[14:15], 32, v7
	s_and_saveexec_b64 s[16:17], s[14:15]
	s_cbranch_execz .LBB164_892
.LBB164_1095:
	ds_read_b64 v[19:20], v13 offset:27072
	ds_read_b64 v[21:22], v18 offset:24992
	s_waitcnt lgkmcnt(0)
	v_mul_f32_e32 v23, v22, v20
	v_mul_f32_e32 v20, v21, v20
	v_fma_f32 v21, v21, v19, -v23
	v_fmac_f32_e32 v20, v22, v19
	v_add_f32_e32 v2, v2, v21
	v_add_f32_e32 v3, v3, v20
	s_or_b64 exec, exec, s[16:17]
	v_cmp_gt_u32_e64 s[14:15], 24, v7
	s_and_saveexec_b64 s[16:17], s[14:15]
	s_cbranch_execz .LBB164_893
.LBB164_1096:
	v_lshlrev_b32_e32 v17, 3, v17
	v_sub_u32_e32 v17, v18, v17
	v_lshl_add_u32 v16, v16, 3, v17
	ds_read_b64 v[16:17], v16 offset:27584
	ds_read_b64 v[19:20], v18 offset:25000
	s_waitcnt lgkmcnt(0)
	v_mul_f32_e32 v21, v20, v17
	v_mul_f32_e32 v17, v19, v17
	v_fma_f32 v19, v19, v16, -v21
	v_fmac_f32_e32 v17, v20, v16
	v_add_f32_e32 v2, v2, v19
	v_add_f32_e32 v3, v3, v17
	s_or_b64 exec, exec, s[16:17]
	v_cmp_gt_u32_e64 s[14:15], 16, v7
	s_and_saveexec_b64 s[16:17], s[14:15]
	s_cbranch_execz .LBB164_894
.LBB164_1097:
	ds_read_b64 v[16:17], v13 offset:28096
	ds_read_b64 v[18:19], v18 offset:25008
	s_waitcnt lgkmcnt(0)
	v_mul_f32_e32 v20, v19, v17
	v_mul_f32_e32 v17, v18, v17
	v_fma_f32 v18, v18, v16, -v20
	v_fmac_f32_e32 v17, v19, v16
	v_add_f32_e32 v2, v2, v18
	v_add_f32_e32 v3, v3, v17
	s_or_b64 exec, exec, s[16:17]
	v_cmp_gt_u32_e64 s[14:15], 8, v7
	s_and_saveexec_b64 s[16:17], s[14:15]
	s_cbranch_execnz .LBB164_895
	s_branch .LBB164_896
.LBB164_1098:
	v_lshlrev_b32_e32 v12, 3, v12
	v_sub_u32_e32 v12, v13, v12
	v_lshl_add_u32 v11, v11, 3, v12
	ds_read_b64 v[11:12], v11 offset:29664
	ds_read_b64 v[14:15], v13 offset:29128
	s_waitcnt lgkmcnt(0)
	v_mul_f32_e32 v16, v15, v12
	v_mul_f32_e32 v12, v14, v12
	v_fma_f32 v14, v14, v11, -v16
	v_fmac_f32_e32 v12, v15, v11
	v_add_f32_e32 v2, v2, v14
	v_add_f32_e32 v3, v3, v12
	s_or_b64 exec, exec, s[14:15]
	v_cmp_gt_u32_e64 s[12:13], 8, v7
	s_and_saveexec_b64 s[14:15], s[12:13]
	s_cbranch_execz .LBB164_952
.LBB164_1099:
	ds_read_b64 v[11:12], v8 offset:30176
	ds_read_b64 v[13:14], v13 offset:29136
	s_waitcnt lgkmcnt(0)
	v_mul_f32_e32 v15, v14, v12
	v_mul_f32_e32 v12, v13, v12
	v_fma_f32 v13, v13, v11, -v15
	v_fmac_f32_e32 v12, v14, v11
	v_add_f32_e32 v2, v2, v13
	v_add_f32_e32 v3, v3, v12
	s_or_b64 exec, exec, s[14:15]
	v_cmp_gt_u32_e64 s[12:13], 4, v7
	s_and_saveexec_b64 s[14:15], s[12:13]
	s_cbranch_execnz .LBB164_953
	s_branch .LBB164_954
	.section	.rodata,"a",@progbits
	.p2align	6, 0x0
	.amdhsa_kernel _ZL19rocblas_trsv_deviceILi64ELi16ELb1ELb1ELb0ELb1E19rocblas_complex_numIfES1_PKPKS1_PKPS1_EviT7_lllT6_T8_lllPii
		.amdhsa_group_segment_fixed_size 41480
		.amdhsa_private_segment_fixed_size 48
		.amdhsa_kernarg_size 352
		.amdhsa_user_sgpr_count 8
		.amdhsa_user_sgpr_private_segment_buffer 1
		.amdhsa_user_sgpr_dispatch_ptr 0
		.amdhsa_user_sgpr_queue_ptr 0
		.amdhsa_user_sgpr_kernarg_segment_ptr 1
		.amdhsa_user_sgpr_dispatch_id 0
		.amdhsa_user_sgpr_flat_scratch_init 1
		.amdhsa_user_sgpr_private_segment_size 0
		.amdhsa_uses_dynamic_stack 0
		.amdhsa_system_sgpr_private_segment_wavefront_offset 1
		.amdhsa_system_sgpr_workgroup_id_x 1
		.amdhsa_system_sgpr_workgroup_id_y 0
		.amdhsa_system_sgpr_workgroup_id_z 1
		.amdhsa_system_sgpr_workgroup_info 0
		.amdhsa_system_vgpr_workitem_id 1
		.amdhsa_next_free_vgpr 49
		.amdhsa_next_free_sgpr 100
		.amdhsa_reserve_vcc 1
		.amdhsa_reserve_flat_scratch 1
		.amdhsa_float_round_mode_32 0
		.amdhsa_float_round_mode_16_64 0
		.amdhsa_float_denorm_mode_32 3
		.amdhsa_float_denorm_mode_16_64 3
		.amdhsa_dx10_clamp 1
		.amdhsa_ieee_mode 1
		.amdhsa_fp16_overflow 0
		.amdhsa_exception_fp_ieee_invalid_op 0
		.amdhsa_exception_fp_denorm_src 0
		.amdhsa_exception_fp_ieee_div_zero 0
		.amdhsa_exception_fp_ieee_overflow 0
		.amdhsa_exception_fp_ieee_underflow 0
		.amdhsa_exception_fp_ieee_inexact 0
		.amdhsa_exception_int_div_zero 0
	.end_amdhsa_kernel
	.section	.text._ZL19rocblas_trsv_deviceILi64ELi16ELb1ELb1ELb0ELb1E19rocblas_complex_numIfES1_PKPKS1_PKPS1_EviT7_lllT6_T8_lllPii,"axG",@progbits,_ZL19rocblas_trsv_deviceILi64ELi16ELb1ELb1ELb0ELb1E19rocblas_complex_numIfES1_PKPKS1_PKPS1_EviT7_lllT6_T8_lllPii,comdat
.Lfunc_end164:
	.size	_ZL19rocblas_trsv_deviceILi64ELi16ELb1ELb1ELb0ELb1E19rocblas_complex_numIfES1_PKPKS1_PKPS1_EviT7_lllT6_T8_lllPii, .Lfunc_end164-_ZL19rocblas_trsv_deviceILi64ELi16ELb1ELb1ELb0ELb1E19rocblas_complex_numIfES1_PKPKS1_PKPS1_EviT7_lllT6_T8_lllPii
                                        ; -- End function
	.set _ZL19rocblas_trsv_deviceILi64ELi16ELb1ELb1ELb0ELb1E19rocblas_complex_numIfES1_PKPKS1_PKPS1_EviT7_lllT6_T8_lllPii.num_vgpr, 35
	.set _ZL19rocblas_trsv_deviceILi64ELi16ELb1ELb1ELb0ELb1E19rocblas_complex_numIfES1_PKPKS1_PKPS1_EviT7_lllT6_T8_lllPii.num_agpr, 0
	.set _ZL19rocblas_trsv_deviceILi64ELi16ELb1ELb1ELb0ELb1E19rocblas_complex_numIfES1_PKPKS1_PKPS1_EviT7_lllT6_T8_lllPii.numbered_sgpr, 100
	.set _ZL19rocblas_trsv_deviceILi64ELi16ELb1ELb1ELb0ELb1E19rocblas_complex_numIfES1_PKPKS1_PKPS1_EviT7_lllT6_T8_lllPii.num_named_barrier, 0
	.set _ZL19rocblas_trsv_deviceILi64ELi16ELb1ELb1ELb0ELb1E19rocblas_complex_numIfES1_PKPKS1_PKPS1_EviT7_lllT6_T8_lllPii.private_seg_size, 48
	.set _ZL19rocblas_trsv_deviceILi64ELi16ELb1ELb1ELb0ELb1E19rocblas_complex_numIfES1_PKPKS1_PKPS1_EviT7_lllT6_T8_lllPii.uses_vcc, 1
	.set _ZL19rocblas_trsv_deviceILi64ELi16ELb1ELb1ELb0ELb1E19rocblas_complex_numIfES1_PKPKS1_PKPS1_EviT7_lllT6_T8_lllPii.uses_flat_scratch, 1
	.set _ZL19rocblas_trsv_deviceILi64ELi16ELb1ELb1ELb0ELb1E19rocblas_complex_numIfES1_PKPKS1_PKPS1_EviT7_lllT6_T8_lllPii.has_dyn_sized_stack, 0
	.set _ZL19rocblas_trsv_deviceILi64ELi16ELb1ELb1ELb0ELb1E19rocblas_complex_numIfES1_PKPKS1_PKPS1_EviT7_lllT6_T8_lllPii.has_recursion, 0
	.set _ZL19rocblas_trsv_deviceILi64ELi16ELb1ELb1ELb0ELb1E19rocblas_complex_numIfES1_PKPKS1_PKPS1_EviT7_lllT6_T8_lllPii.has_indirect_call, 0
	.section	.AMDGPU.csdata,"",@progbits
; Kernel info:
; codeLenInByte = 39220
; TotalNumSgprs: 106
; NumVgprs: 35
; ScratchSize: 48
; MemoryBound: 1
; FloatMode: 240
; IeeeMode: 1
; LDSByteSize: 41480 bytes/workgroup (compile time only)
; SGPRBlocks: 13
; VGPRBlocks: 12
; NumSGPRsForWavesPerEU: 106
; NumVGPRsForWavesPerEU: 49
; Occupancy: 4
; WaveLimiterHint : 1
; COMPUTE_PGM_RSRC2:SCRATCH_EN: 1
; COMPUTE_PGM_RSRC2:USER_SGPR: 8
; COMPUTE_PGM_RSRC2:TRAP_HANDLER: 0
; COMPUTE_PGM_RSRC2:TGID_X_EN: 1
; COMPUTE_PGM_RSRC2:TGID_Y_EN: 0
; COMPUTE_PGM_RSRC2:TGID_Z_EN: 1
; COMPUTE_PGM_RSRC2:TIDIG_COMP_CNT: 1
	.section	.text._ZL19rocblas_trsv_deviceILi64ELi16ELb1ELb1ELb1ELb1E19rocblas_complex_numIfES1_PKPKS1_PKPS1_EviT7_lllT6_T8_lllPii,"axG",@progbits,_ZL19rocblas_trsv_deviceILi64ELi16ELb1ELb1ELb1ELb1E19rocblas_complex_numIfES1_PKPKS1_PKPS1_EviT7_lllT6_T8_lllPii,comdat
	.globl	_ZL19rocblas_trsv_deviceILi64ELi16ELb1ELb1ELb1ELb1E19rocblas_complex_numIfES1_PKPKS1_PKPS1_EviT7_lllT6_T8_lllPii ; -- Begin function _ZL19rocblas_trsv_deviceILi64ELi16ELb1ELb1ELb1ELb1E19rocblas_complex_numIfES1_PKPKS1_PKPS1_EviT7_lllT6_T8_lllPii
	.p2align	8
	.type	_ZL19rocblas_trsv_deviceILi64ELi16ELb1ELb1ELb1ELb1E19rocblas_complex_numIfES1_PKPKS1_PKPS1_EviT7_lllT6_T8_lllPii,@function
_ZL19rocblas_trsv_deviceILi64ELi16ELb1ELb1ELb1ELb1E19rocblas_complex_numIfES1_PKPKS1_PKPS1_EviT7_lllT6_T8_lllPii: ; @_ZL19rocblas_trsv_deviceILi64ELi16ELb1ELb1ELb1ELb1E19rocblas_complex_numIfES1_PKPKS1_PKPS1_EviT7_lllT6_T8_lllPii
; %bb.0:
	s_load_dwordx4 s[0:3], s[4:5], 0x8
	s_load_dword s28, s[4:5], 0x0
	s_mov_b32 s24, s7
	s_mov_b32 s25, 0
	s_lshl_b64 s[8:9], s[24:25], 3
	s_waitcnt lgkmcnt(0)
	s_add_u32 s0, s0, s8
	s_addc_u32 s1, s1, s9
	s_load_dwordx2 s[10:11], s[0:1], 0x0
	s_load_dwordx2 s[34:35], s[4:5], 0x18
	;; [unrolled: 1-line block ×3, first 2 shown]
	s_load_dwordx4 s[12:15], s[4:5], 0x30
	s_load_dwordx2 s[26:27], s[4:5], 0x40
	s_lshl_b64 s[0:1], s[2:3], 3
	s_waitcnt lgkmcnt(0)
	s_add_u32 s95, s10, s0
	s_addc_u32 s36, s11, s1
	s_load_dword s7, s[4:5], 0x60
	s_add_u32 s0, s12, s8
	s_addc_u32 s1, s13, s9
	s_load_dwordx2 s[38:39], s[0:1], 0x0
	s_load_dword s37, s[4:5], 0x6c
	s_waitcnt lgkmcnt(0)
	s_add_i32 s7, s7, -1
	s_sub_i32 s33, s7, s6
	s_cmp_eq_u32 s6, 0
	s_cbranch_scc1 .LBB165_10
; %bb.1:
	s_lshl_b32 s2, s33, 6
	v_add_u32_e32 v4, s2, v0
	v_ashrrev_i32_e32 v2, 31, v4
	v_mul_lo_u32 v5, s34, v2
	v_mul_lo_u32 v8, s35, v4
	v_mad_u64_u32 v[2:3], s[0:1], s34, v4, 0
	v_add3_u32 v6, v1, s2, 64
	v_ashrrev_i32_e32 v7, 31, v6
	v_add3_u32 v3, v3, v5, v8
	v_lshlrev_b64 v[2:3], 3, v[2:3]
	v_cmp_gt_i32_e32 vcc, s28, v4
	v_mov_b32_e32 v4, s36
	v_add_co_u32_e64 v5, s[0:1], s95, v2
	v_addc_co_u32_e64 v4, s[0:1], v4, v3, s[0:1]
	v_lshlrev_b64 v[2:3], 3, v[6:7]
	v_add_co_u32_e64 v10, s[0:1], v5, v2
	v_addc_co_u32_e64 v11, s[0:1], v4, v3, s[0:1]
	v_cmp_gt_i32_e64 s[0:1], s28, v6
	s_and_b64 s[2:3], s[0:1], vcc
	v_mov_b32_e32 v2, 0
	v_mov_b32_e32 v4, 0
	v_mov_b32_e32 v5, 0
	s_barrier
	s_and_saveexec_b64 s[0:1], s[2:3]
	s_cbranch_execz .LBB165_3
; %bb.2:
	flat_load_dwordx2 v[4:5], v[10:11]
.LBB165_3:
	s_or_b64 exec, exec, s[0:1]
	v_add_u32_e32 v3, 16, v6
	v_cmp_gt_i32_e64 s[0:1], s28, v3
	s_and_b64 s[2:3], s[0:1], vcc
	v_mov_b32_e32 v3, 0
	s_waitcnt vmcnt(0) lgkmcnt(0)
	s_barrier
	s_and_saveexec_b64 s[0:1], s[2:3]
	s_cbranch_execz .LBB165_5
; %bb.4:
	flat_load_dwordx2 v[2:3], v[10:11] offset:128
.LBB165_5:
	s_or_b64 exec, exec, s[0:1]
	v_add_u32_e32 v7, 32, v6
	v_cmp_gt_i32_e64 s[0:1], s28, v7
	s_and_b64 s[2:3], s[0:1], vcc
	v_mov_b32_e32 v7, 0
	v_mov_b32_e32 v8, 0
	;; [unrolled: 1-line block ×3, first 2 shown]
	s_waitcnt vmcnt(0) lgkmcnt(0)
	s_barrier
	s_and_saveexec_b64 s[0:1], s[2:3]
	s_cbranch_execz .LBB165_7
; %bb.6:
	flat_load_dwordx2 v[8:9], v[10:11] offset:256
.LBB165_7:
	s_or_b64 exec, exec, s[0:1]
	v_add_u32_e32 v6, 48, v6
	v_cmp_gt_i32_e64 s[0:1], s28, v6
	s_and_b64 s[2:3], s[0:1], vcc
	v_mov_b32_e32 v6, 0
	s_waitcnt vmcnt(0) lgkmcnt(0)
	s_barrier
	s_and_saveexec_b64 s[0:1], s[2:3]
	s_cbranch_execz .LBB165_9
; %bb.8:
	flat_load_dwordx2 v[6:7], v[10:11] offset:384
.LBB165_9:
	s_or_b64 exec, exec, s[0:1]
	s_branch .LBB165_11
.LBB165_10:
                                        ; implicit-def: $vgpr7
                                        ; implicit-def: $vgpr9
                                        ; implicit-def: $vgpr3
                                        ; implicit-def: $vgpr5
.LBB165_11:
	s_ashr_i32 s29, s28, 31
	s_lshr_b32 s0, s29, 26
	s_add_i32 s0, s28, s0
	s_andn2_b32 s0, s0, 63
	s_sub_i32 s94, s28, s0
	s_add_i32 s0, s28, -1
	s_ashr_i32 s1, s0, 31
	s_lshr_b32 s1, s1, 26
	s_add_i32 s0, s0, s1
	s_ashr_i32 s0, s0, 6
	s_cmp_eq_u32 s0, s33
	s_cselect_b64 s[0:1], -1, 0
	s_cmp_lg_u32 s94, 0
	s_cselect_b64 s[2:3], -1, 0
	s_and_b64 s[30:31], s[2:3], s[0:1]
	s_cmp_lt_i32 s6, 5
	s_cselect_b64 s[2:3], -1, 0
	v_lshlrev_b32_e32 v10, 6, v0
	s_mov_b64 s[12:13], -1
	s_or_b64 s[0:1], s[2:3], s[30:31]
	s_and_b64 vcc, exec, s[30:31]
	v_add_u32_e32 v11, v1, v10
	v_cmp_le_u32_e64 s[8:9], v0, v1
	v_lshl_add_u32 v17, v1, 6, v0
	s_cbranch_vccnz .LBB165_37
; %bb.12:
	s_add_u32 s10, s34, 1
	s_addc_u32 s11, s35, 0
	s_lshl_b32 s12, s33, 6
	s_ashr_i32 s13, s12, 31
	s_mul_hi_u32 s14, s10, s12
	s_mul_i32 s13, s10, s13
	s_add_i32 s13, s14, s13
	s_mul_i32 s11, s11, s12
	s_add_i32 s11, s13, s11
	s_mul_i32 s10, s10, s12
	s_lshl_b64 s[10:11], s[10:11], 3
	s_add_u32 s10, s95, s10
	s_addc_u32 s11, s36, s11
	v_lshlrev_b32_e32 v12, 3, v0
	v_mov_b32_e32 v13, s11
	v_add_co_u32_e32 v12, vcc, s10, v12
	v_addc_co_u32_e32 v13, vcc, 0, v13, vcc
	v_cndmask_b32_e64 v14, v17, v11, s[2:3]
	s_and_saveexec_b64 s[2:3], s[8:9]
	s_xor_b64 s[2:3], exec, s[2:3]
	s_cbranch_execz .LBB165_16
; %bb.13:
	v_or_b32_e32 v15, v1, v0
	v_cmp_gt_u32_e32 vcc, 64, v15
	s_and_saveexec_b64 s[8:9], vcc
; %bb.14:
	v_lshlrev_b32_e32 v16, 3, v14
	v_mov_b32_e32 v14, 0
	v_mov_b32_e32 v15, v14
	ds_write_b64 v16, v[14:15]
; %bb.15:
	s_or_b64 exec, exec, s[8:9]
                                        ; implicit-def: $vgpr14
.LBB165_16:
	s_andn2_saveexec_b64 s[2:3], s[2:3]
	s_cbranch_execz .LBB165_18
; %bb.17:
	v_mad_u64_u32 v[15:16], s[8:9], s34, v1, 0
	v_lshlrev_b32_e32 v14, 3, v14
	v_mad_u64_u32 v[18:19], s[8:9], s35, v1, v[16:17]
	v_mov_b32_e32 v16, v18
	v_lshlrev_b64 v[15:16], 3, v[15:16]
	v_add_co_u32_e32 v15, vcc, v12, v15
	v_addc_co_u32_e32 v16, vcc, v13, v16, vcc
	flat_load_dwordx2 v[15:16], v[15:16]
	s_waitcnt vmcnt(0) lgkmcnt(0)
	v_xor_b32_e32 v15, 0x80000000, v15
	ds_write_b64 v14, v[15:16]
.LBB165_18:
	s_or_b64 exec, exec, s[2:3]
	v_add_u32_e32 v15, 16, v1
	v_add_u32_e32 v14, v15, v10
	v_lshl_add_u32 v16, v15, 6, v0
	v_cndmask_b32_e64 v14, v16, v14, s[0:1]
	v_cmp_le_u32_e32 vcc, v0, v15
	s_and_saveexec_b64 s[2:3], vcc
	s_xor_b64 s[2:3], exec, s[2:3]
	s_cbranch_execz .LBB165_22
; %bb.19:
	v_or_b32_e32 v15, v15, v0
	v_cmp_gt_u32_e32 vcc, 64, v15
	s_and_saveexec_b64 s[8:9], vcc
; %bb.20:
	v_lshlrev_b32_e32 v16, 3, v14
	v_mov_b32_e32 v14, 0
	v_mov_b32_e32 v15, v14
	ds_write_b64 v16, v[14:15]
; %bb.21:
	s_or_b64 exec, exec, s[8:9]
                                        ; implicit-def: $vgpr15
                                        ; implicit-def: $vgpr14
.LBB165_22:
	s_andn2_saveexec_b64 s[2:3], s[2:3]
	s_cbranch_execz .LBB165_24
; %bb.23:
	v_mad_u64_u32 v[18:19], s[8:9], s34, v15, 0
	v_lshlrev_b32_e32 v14, 3, v14
	v_mov_b32_e32 v16, v19
	v_mad_u64_u32 v[15:16], s[8:9], s35, v15, v[16:17]
	v_mov_b32_e32 v19, v15
	v_lshlrev_b64 v[15:16], 3, v[18:19]
	v_add_co_u32_e32 v15, vcc, v12, v15
	v_addc_co_u32_e32 v16, vcc, v13, v16, vcc
	flat_load_dwordx2 v[15:16], v[15:16]
	s_waitcnt vmcnt(0) lgkmcnt(0)
	v_xor_b32_e32 v15, 0x80000000, v15
	ds_write_b64 v14, v[15:16]
.LBB165_24:
	s_or_b64 exec, exec, s[2:3]
	v_add_u32_e32 v15, 32, v1
	v_add_u32_e32 v14, v15, v10
	v_lshl_add_u32 v16, v15, 6, v0
	v_cndmask_b32_e64 v14, v16, v14, s[0:1]
	v_cmp_le_u32_e32 vcc, v0, v15
	s_and_saveexec_b64 s[2:3], vcc
	s_xor_b64 s[2:3], exec, s[2:3]
	s_cbranch_execz .LBB165_28
; %bb.25:
	v_or_b32_e32 v15, v15, v0
	v_cmp_gt_u32_e32 vcc, 64, v15
	s_and_saveexec_b64 s[8:9], vcc
; %bb.26:
	v_lshlrev_b32_e32 v16, 3, v14
	v_mov_b32_e32 v14, 0
	v_mov_b32_e32 v15, v14
	ds_write_b64 v16, v[14:15]
; %bb.27:
	s_or_b64 exec, exec, s[8:9]
                                        ; implicit-def: $vgpr15
                                        ; implicit-def: $vgpr14
.LBB165_28:
	s_andn2_saveexec_b64 s[2:3], s[2:3]
	s_cbranch_execz .LBB165_30
; %bb.29:
	v_mad_u64_u32 v[18:19], s[8:9], s34, v15, 0
	v_lshlrev_b32_e32 v14, 3, v14
	v_mov_b32_e32 v16, v19
	v_mad_u64_u32 v[15:16], s[8:9], s35, v15, v[16:17]
	v_mov_b32_e32 v19, v15
	v_lshlrev_b64 v[15:16], 3, v[18:19]
	v_add_co_u32_e32 v15, vcc, v12, v15
	v_addc_co_u32_e32 v16, vcc, v13, v16, vcc
	flat_load_dwordx2 v[15:16], v[15:16]
	s_waitcnt vmcnt(0) lgkmcnt(0)
	v_xor_b32_e32 v15, 0x80000000, v15
	ds_write_b64 v14, v[15:16]
.LBB165_30:
	s_or_b64 exec, exec, s[2:3]
	v_add_u32_e32 v15, 48, v1
	v_add_u32_e32 v14, v15, v10
	v_lshl_add_u32 v16, v15, 6, v0
	v_cndmask_b32_e64 v14, v16, v14, s[0:1]
	v_cmp_le_u32_e32 vcc, v0, v15
	s_and_saveexec_b64 s[2:3], vcc
	s_xor_b64 s[2:3], exec, s[2:3]
	s_cbranch_execz .LBB165_34
; %bb.31:
	v_or_b32_e32 v12, v15, v0
	v_cmp_gt_u32_e32 vcc, 64, v12
	s_and_saveexec_b64 s[8:9], vcc
; %bb.32:
	v_mov_b32_e32 v12, 0
	v_lshlrev_b32_e32 v14, 3, v14
	v_mov_b32_e32 v13, v12
	ds_write_b64 v14, v[12:13]
; %bb.33:
	s_or_b64 exec, exec, s[8:9]
                                        ; implicit-def: $vgpr15
                                        ; implicit-def: $vgpr12
                                        ; implicit-def: $vgpr13
                                        ; implicit-def: $vgpr14
.LBB165_34:
	s_andn2_saveexec_b64 s[2:3], s[2:3]
	s_cbranch_execz .LBB165_36
; %bb.35:
	v_mad_u64_u32 v[18:19], s[8:9], s34, v15, 0
	v_lshlrev_b32_e32 v14, 3, v14
	v_mov_b32_e32 v16, v19
	v_mad_u64_u32 v[15:16], s[8:9], s35, v15, v[16:17]
	v_mov_b32_e32 v19, v15
	v_lshlrev_b64 v[15:16], 3, v[18:19]
	v_add_co_u32_e32 v12, vcc, v12, v15
	v_addc_co_u32_e32 v13, vcc, v13, v16, vcc
	flat_load_dwordx2 v[12:13], v[12:13]
	s_waitcnt vmcnt(0) lgkmcnt(0)
	v_xor_b32_e32 v12, 0x80000000, v12
	ds_write_b64 v14, v[12:13]
.LBB165_36:
	s_or_b64 exec, exec, s[2:3]
	s_mov_b64 s[12:13], 0
.LBB165_37:
	s_xor_b64 s[10:11], s[0:1], -1
	s_and_b64 vcc, exec, s[12:13]
	s_cbranch_vccz .LBB165_63
; %bb.38:
	s_add_u32 s2, s34, 1
	s_addc_u32 s3, s35, 0
	s_lshl_b32 s8, s33, 6
	s_ashr_i32 s9, s8, 31
	s_mul_hi_u32 s12, s2, s8
	s_mul_i32 s9, s2, s9
	s_add_i32 s9, s12, s9
	s_mul_i32 s3, s3, s8
	s_add_i32 s3, s9, s3
	s_mul_i32 s2, s2, s8
	s_lshl_b64 s[2:3], s[2:3], 3
	s_add_u32 s2, s95, s2
	s_addc_u32 s3, s36, s3
	v_lshlrev_b32_e32 v12, 3, v0
	v_mov_b32_e32 v13, s3
	v_add_co_u32_e64 v12, s[2:3], s2, v12
	v_addc_co_u32_e64 v13, s[2:3], 0, v13, s[2:3]
	v_max_i32_e32 v14, v1, v0
	v_cmp_le_u32_e64 s[2:3], v0, v1
	v_cmp_le_i32_e64 s[8:9], s94, v14
	v_cmp_gt_i32_e32 vcc, s94, v0
	s_or_b64 s[2:3], s[8:9], s[2:3]
	s_and_saveexec_b64 s[8:9], s[2:3]
	s_xor_b64 s[8:9], exec, s[8:9]
	s_cbranch_execz .LBB165_42
; %bb.39:
	v_or_b32_e32 v14, v1, v0
	v_cmp_gt_u32_e64 s[2:3], 64, v14
	s_and_saveexec_b64 s[12:13], s[2:3]
; %bb.40:
	v_mov_b32_e32 v14, 0
	v_lshlrev_b32_e32 v11, 3, v11
	v_mov_b32_e32 v15, v14
	ds_write_b64 v11, v[14:15]
; %bb.41:
	s_or_b64 exec, exec, s[12:13]
                                        ; implicit-def: $vgpr11
.LBB165_42:
	s_andn2_saveexec_b64 s[8:9], s[8:9]
	s_cbranch_execz .LBB165_44
; %bb.43:
	v_mad_u64_u32 v[14:15], s[2:3], s34, v1, 0
	v_lshlrev_b32_e32 v11, 3, v11
	v_mad_u64_u32 v[15:16], s[2:3], s35, v1, v[15:16]
	v_lshlrev_b64 v[14:15], 3, v[14:15]
	v_add_co_u32_e64 v14, s[2:3], v12, v14
	v_addc_co_u32_e64 v15, s[2:3], v13, v15, s[2:3]
	flat_load_dwordx2 v[14:15], v[14:15]
	s_waitcnt vmcnt(0) lgkmcnt(0)
	v_xor_b32_e32 v14, 0x80000000, v14
	ds_write_b64 v11, v[14:15]
.LBB165_44:
	s_or_b64 exec, exec, s[8:9]
	v_add_u32_e32 v14, 16, v1
	v_cmp_gt_u32_e64 s[2:3], v0, v14
	v_cmp_gt_i32_e64 s[8:9], s94, v14
	s_and_b64 s[2:3], s[2:3], s[8:9]
	v_add_u32_e32 v11, v14, v10
	v_lshl_add_u32 v15, v14, 6, v0
	s_and_b64 s[2:3], s[2:3], vcc
	v_cndmask_b32_e64 v11, v15, v11, s[0:1]
	s_xor_b64 s[2:3], s[2:3], -1
	s_and_saveexec_b64 s[8:9], s[2:3]
	s_xor_b64 s[8:9], exec, s[8:9]
	s_cbranch_execz .LBB165_48
; %bb.45:
	v_or_b32_e32 v14, v14, v0
	v_cmp_gt_u32_e64 s[2:3], 64, v14
	s_and_saveexec_b64 s[12:13], s[2:3]
; %bb.46:
	v_mov_b32_e32 v14, 0
	v_lshlrev_b32_e32 v11, 3, v11
	v_mov_b32_e32 v15, v14
	ds_write_b64 v11, v[14:15]
; %bb.47:
	s_or_b64 exec, exec, s[12:13]
                                        ; implicit-def: $vgpr14
                                        ; implicit-def: $vgpr11
.LBB165_48:
	s_andn2_saveexec_b64 s[8:9], s[8:9]
	s_cbranch_execz .LBB165_50
; %bb.49:
	v_mad_u64_u32 v[15:16], s[2:3], s34, v14, 0
	v_lshlrev_b32_e32 v11, 3, v11
	v_mad_u64_u32 v[18:19], s[2:3], s35, v14, v[16:17]
	v_mov_b32_e32 v16, v18
	v_lshlrev_b64 v[14:15], 3, v[15:16]
	v_add_co_u32_e64 v14, s[2:3], v12, v14
	v_addc_co_u32_e64 v15, s[2:3], v13, v15, s[2:3]
	flat_load_dwordx2 v[14:15], v[14:15]
	s_waitcnt vmcnt(0) lgkmcnt(0)
	v_xor_b32_e32 v14, 0x80000000, v14
	ds_write_b64 v11, v[14:15]
.LBB165_50:
	s_or_b64 exec, exec, s[8:9]
	v_add_u32_e32 v14, 32, v1
	v_cmp_gt_u32_e64 s[2:3], v0, v14
	v_cmp_gt_i32_e64 s[8:9], s94, v14
	s_and_b64 s[2:3], s[2:3], s[8:9]
	v_add_u32_e32 v11, v14, v10
	v_lshl_add_u32 v15, v14, 6, v0
	s_and_b64 s[2:3], s[2:3], vcc
	v_cndmask_b32_e64 v11, v15, v11, s[0:1]
	s_xor_b64 s[2:3], s[2:3], -1
	s_and_saveexec_b64 s[8:9], s[2:3]
	s_xor_b64 s[8:9], exec, s[8:9]
	s_cbranch_execz .LBB165_54
; %bb.51:
	v_or_b32_e32 v14, v14, v0
	v_cmp_gt_u32_e64 s[2:3], 64, v14
	s_and_saveexec_b64 s[12:13], s[2:3]
; %bb.52:
	v_mov_b32_e32 v14, 0
	v_lshlrev_b32_e32 v11, 3, v11
	v_mov_b32_e32 v15, v14
	ds_write_b64 v11, v[14:15]
; %bb.53:
	s_or_b64 exec, exec, s[12:13]
                                        ; implicit-def: $vgpr14
                                        ; implicit-def: $vgpr11
.LBB165_54:
	s_andn2_saveexec_b64 s[8:9], s[8:9]
	s_cbranch_execz .LBB165_56
; %bb.55:
	v_mad_u64_u32 v[15:16], s[2:3], s34, v14, 0
	v_lshlrev_b32_e32 v11, 3, v11
	v_mad_u64_u32 v[18:19], s[2:3], s35, v14, v[16:17]
	v_mov_b32_e32 v16, v18
	v_lshlrev_b64 v[14:15], 3, v[15:16]
	v_add_co_u32_e64 v14, s[2:3], v12, v14
	v_addc_co_u32_e64 v15, s[2:3], v13, v15, s[2:3]
	flat_load_dwordx2 v[14:15], v[14:15]
	s_waitcnt vmcnt(0) lgkmcnt(0)
	v_xor_b32_e32 v14, 0x80000000, v14
	ds_write_b64 v11, v[14:15]
.LBB165_56:
	s_or_b64 exec, exec, s[8:9]
	v_add_u32_e32 v11, 48, v1
	v_add_u32_e32 v10, v11, v10
	v_lshl_add_u32 v14, v11, 6, v0
	v_cndmask_b32_e64 v10, v14, v10, s[0:1]
	v_cmp_gt_u32_e64 s[0:1], v0, v11
	v_cmp_gt_i32_e64 s[2:3], s94, v11
	s_and_b64 s[0:1], s[0:1], s[2:3]
	s_and_b64 s[0:1], s[0:1], vcc
	s_xor_b64 s[0:1], s[0:1], -1
	s_and_saveexec_b64 s[2:3], s[0:1]
	s_xor_b64 s[0:1], exec, s[2:3]
	s_cbranch_execz .LBB165_60
; %bb.57:
	v_or_b32_e32 v11, v11, v0
	v_cmp_gt_u32_e32 vcc, 64, v11
	s_and_saveexec_b64 s[2:3], vcc
; %bb.58:
	v_lshlrev_b32_e32 v12, 3, v10
	v_mov_b32_e32 v10, 0
	v_mov_b32_e32 v11, v10
	ds_write_b64 v12, v[10:11]
; %bb.59:
	s_or_b64 exec, exec, s[2:3]
                                        ; implicit-def: $vgpr11
                                        ; implicit-def: $vgpr12
                                        ; implicit-def: $vgpr13
                                        ; implicit-def: $vgpr10
.LBB165_60:
	s_andn2_saveexec_b64 s[0:1], s[0:1]
	s_cbranch_execz .LBB165_62
; %bb.61:
	v_mad_u64_u32 v[14:15], s[2:3], s34, v11, 0
	v_lshlrev_b32_e32 v10, 3, v10
	v_mad_u64_u32 v[15:16], s[2:3], s35, v11, v[15:16]
	v_lshlrev_b64 v[14:15], 3, v[14:15]
	v_add_co_u32_e32 v11, vcc, v12, v14
	v_addc_co_u32_e32 v12, vcc, v13, v15, vcc
	flat_load_dwordx2 v[11:12], v[11:12]
	s_waitcnt vmcnt(0) lgkmcnt(0)
	v_xor_b32_e32 v11, 0x80000000, v11
	ds_write_b64 v10, v[11:12]
.LBB165_62:
	s_or_b64 exec, exec, s[0:1]
.LBB165_63:
	v_cndmask_b32_e64 v10, 0, 1, s[10:11]
	v_cmp_ne_u32_e64 s[42:43], 1, v10
	s_andn2_b64 vcc, exec, s[10:11]
	s_waitcnt vmcnt(0) lgkmcnt(0)
	s_barrier
	s_cbranch_vccnz .LBB165_985
; %bb.64:
	v_or_b32_e32 v10, v0, v1
	s_mov_b32 s3, 0
	v_cmp_eq_u32_e32 vcc, 0, v10
	s_and_saveexec_b64 s[0:1], vcc
	s_cbranch_execz .LBB165_66
; %bb.65:
	v_mov_b32_e32 v14, 0
	ds_read_b64 v[10:11], v14 offset:8
	s_mov_b32 s2, 1.0
	v_mov_b32_e32 v13, s3
	v_mov_b32_e32 v12, s2
	ds_write_b64 v14, v[12:13] offset:520
	s_waitcnt lgkmcnt(1)
	ds_write2st64_b64 v14, v[12:13], v[10:11] offset1:1
.LBB165_66:
	s_or_b64 exec, exec, s[0:1]
	v_and_b32_e32 v15, 1, v0
	v_lshrrev_b32_e32 v14, 1, v17
	v_lshlrev_b32_e32 v10, 3, v15
	v_cmp_lt_u32_e64 s[8:9], 3, v17
	v_cmp_gt_u32_e64 s[2:3], 4, v17
	v_lshl_or_b32 v12, v14, 9, v10
	v_mov_b32_e32 v11, 0
	v_mov_b32_e32 v10, 0
	s_waitcnt lgkmcnt(0)
	s_barrier
	s_and_saveexec_b64 s[0:1], s[2:3]
	s_cbranch_execz .LBB165_70
; %bb.67:
	v_mul_u32_u24_e32 v13, 0x208, v14
	ds_read_b64 v[10:11], v12 offset:16
	ds_read_b64 v[18:19], v13
	v_cmp_gt_u32_e64 s[10:11], 2, v17
	s_waitcnt lgkmcnt(0)
	v_mul_f32_e32 v13, v19, v11
	v_mul_f32_e32 v11, v18, v11
	v_fma_f32 v13, v18, v10, -v13
	v_fmac_f32_e32 v11, v19, v10
	v_add_f32_e32 v10, 0, v13
	v_add_f32_e32 v11, 0, v11
	s_and_saveexec_b64 s[12:13], s[10:11]
	s_cbranch_execz .LBB165_69
; %bb.68:
	v_lshlrev_b32_e32 v13, 3, v0
	v_mov_b32_e32 v16, 0
	ds_read_b64 v[18:19], v13 offset:528
	ds_read_b64 v[20:21], v16 offset:8
	s_waitcnt lgkmcnt(0)
	v_mul_f32_e32 v13, v21, v19
	v_mul_f32_e32 v16, v20, v19
	v_fma_f32 v13, v20, v18, -v13
	v_fmac_f32_e32 v16, v21, v18
	v_add_f32_e32 v10, v10, v13
	v_add_f32_e32 v11, v11, v16
.LBB165_69:
	s_or_b64 exec, exec, s[12:13]
	v_xor_b32_e32 v10, 0x80000000, v10
	v_xor_b32_e32 v11, 0x80000000, v11
.LBB165_70:
                                        ; implicit-def: $vgpr42 : SGPR spill to VGPR lane
	v_writelane_b32 v42, s42, 0
	v_writelane_b32 v42, s43, 1
	s_or_b64 exec, exec, s[0:1]
	v_mov_b32_e32 v13, 0x8000
	v_cmp_eq_u32_e64 s[10:11], 0, v15
	s_xor_b64 s[0:1], s[8:9], -1
	v_lshl_add_u32 v13, v14, 3, v13
	s_and_b64 s[42:43], s[10:11], s[0:1]
	s_and_saveexec_b64 s[8:9], s[42:43]
; %bb.71:
	ds_write_b64 v13, v[10:11]
; %bb.72:
	s_or_b64 exec, exec, s[8:9]
	v_cmp_ne_u32_e64 s[8:9], 0, v15
	s_and_b64 s[40:41], s[8:9], s[0:1]
	s_waitcnt lgkmcnt(0)
	s_barrier
	s_and_saveexec_b64 s[0:1], s[40:41]
	s_cbranch_execz .LBB165_74
; %bb.73:
	v_mov_b32_e32 v15, 0
	ds_read_b64 v[15:16], v15 offset:1048
	ds_read_b64 v[18:19], v13
	s_waitcnt lgkmcnt(0)
	v_mul_f32_e32 v20, v19, v16
	v_mul_f32_e32 v16, v18, v16
	v_fma_f32 v18, v18, v15, -v20
	v_fmac_f32_e32 v16, v19, v15
	v_add_f32_e32 v10, v10, v18
	v_add_f32_e32 v11, v11, v16
.LBB165_74:
	s_or_b64 exec, exec, s[0:1]
	s_barrier
	s_and_saveexec_b64 s[0:1], s[40:41]
; %bb.75:
	ds_write_b64 v13, v[10:11]
; %bb.76:
	s_or_b64 exec, exec, s[0:1]
	s_waitcnt lgkmcnt(0)
	s_barrier
	s_barrier
	s_and_saveexec_b64 s[0:1], s[2:3]
; %bb.77:
	v_xor_b32_e32 v11, 0x80000000, v11
	v_xor_b32_e32 v10, 0x80000000, v10
	ds_write_b64 v12, v[10:11] offset:16
; %bb.78:
	s_or_b64 exec, exec, s[0:1]
	v_cmp_eq_u32_e64 s[12:13], 0, v1
	v_cmp_gt_u32_e64 s[8:9], 2, v0
	s_and_b64 s[44:45], s[12:13], s[8:9]
	s_waitcnt lgkmcnt(0)
	s_barrier
	s_barrier
	s_and_saveexec_b64 s[0:1], s[44:45]
	s_cbranch_execz .LBB165_80
; %bb.79:
	v_lshlrev_b32_e32 v15, 3, v0
	s_movk_i32 s8, 0x1f8
	v_mad_u32_u24 v16, v0, s8, v15
	ds_read_b64 v[10:11], v16 offset:16
	s_waitcnt lgkmcnt(0)
	ds_write_b64 v15, v[10:11] offset:1024
	ds_read_b64 v[10:11], v16 offset:24
	s_waitcnt lgkmcnt(0)
	ds_write_b64 v15, v[10:11] offset:1536
.LBB165_80:
	s_or_b64 exec, exec, s[0:1]
	s_waitcnt lgkmcnt(0)
	s_barrier
	s_and_saveexec_b64 s[0:1], vcc
	s_cbranch_execz .LBB165_82
; %bb.81:
	v_mov_b32_e32 v18, 0
	ds_read_b64 v[10:11], v18 offset:1048
	s_mov_b64 s[8:9], 0x3f800000
	v_mov_b32_e32 v16, s9
	v_mov_b32_e32 v15, s8
	ds_write_b64 v18, v[15:16] offset:1560
	s_waitcnt lgkmcnt(1)
	ds_write2_b64 v18, v[15:16], v[10:11] offset0:130 offset1:194
.LBB165_82:
	s_or_b64 exec, exec, s[0:1]
	v_and_b32_e32 v19, 3, v0
	v_lshrrev_b32_e32 v20, 2, v17
	v_lshlrev_b32_e32 v16, 3, v19
	v_cmp_lt_u32_e64 s[8:9], 15, v17
	v_cmp_gt_u32_e64 s[18:19], 16, v17
	v_lshl_or_b32 v15, v20, 9, v16
	v_mov_b32_e32 v11, 0
	v_mov_b32_e32 v10, 0
	s_waitcnt lgkmcnt(0)
	s_barrier
	s_and_saveexec_b64 s[0:1], s[18:19]
	s_cbranch_execz .LBB165_88
; %bb.83:
	v_mul_u32_u24_e32 v18, 0x208, v20
	ds_read_b64 v[10:11], v15 offset:32
	ds_read_b64 v[21:22], v18
	v_cmp_gt_u32_e64 s[10:11], 12, v17
	s_waitcnt lgkmcnt(0)
	v_mul_f32_e32 v23, v22, v11
	v_mul_f32_e32 v11, v21, v11
	v_fma_f32 v21, v21, v10, -v23
	v_fmac_f32_e32 v11, v22, v10
	v_add_f32_e32 v10, 0, v21
	v_add_f32_e32 v11, 0, v11
	s_and_saveexec_b64 s[14:15], s[10:11]
	s_cbranch_execnz .LBB165_1059
; %bb.84:
	s_or_b64 exec, exec, s[14:15]
	v_cmp_gt_u32_e64 s[10:11], 8, v17
	s_and_saveexec_b64 s[14:15], s[10:11]
	s_cbranch_execnz .LBB165_1060
.LBB165_85:
	s_or_b64 exec, exec, s[14:15]
	v_cmp_gt_u32_e64 s[10:11], 4, v17
	s_and_saveexec_b64 s[14:15], s[10:11]
	s_cbranch_execz .LBB165_87
.LBB165_86:
	v_lshlrev_b32_e32 v18, 3, v0
	v_mov_b32_e32 v23, 0
	ds_read_b64 v[21:22], v18 offset:1568
	ds_read_b64 v[23:24], v23 offset:24
	s_waitcnt lgkmcnt(0)
	v_mul_f32_e32 v18, v24, v22
	v_mul_f32_e32 v22, v23, v22
	v_fma_f32 v18, v23, v21, -v18
	v_fmac_f32_e32 v22, v24, v21
	v_add_f32_e32 v10, v10, v18
	v_add_f32_e32 v11, v11, v22
.LBB165_87:
	s_or_b64 exec, exec, s[14:15]
	v_xor_b32_e32 v10, 0x80000000, v10
	v_xor_b32_e32 v11, 0x80000000, v11
.LBB165_88:
	s_or_b64 exec, exec, s[0:1]
	v_mov_b32_e32 v18, 0x8000
	v_cmp_eq_u32_e64 s[10:11], 0, v19
	s_xor_b64 s[0:1], s[8:9], -1
	v_lshl_add_u32 v18, v20, 3, v18
	s_and_b64 s[48:49], s[10:11], s[0:1]
	s_and_saveexec_b64 s[8:9], s[48:49]
; %bb.89:
	ds_write_b64 v18, v[10:11]
; %bb.90:
	s_or_b64 exec, exec, s[8:9]
	v_cmp_ne_u32_e64 s[8:9], 0, v19
	s_and_b64 s[50:51], s[8:9], s[0:1]
	s_waitcnt lgkmcnt(0)
	s_barrier
	s_and_saveexec_b64 s[8:9], s[50:51]
	s_cbranch_execz .LBB165_92
; %bb.91:
	ds_read_b64 v[21:22], v16 offset:2080
	ds_read_b64 v[23:24], v18
	s_waitcnt lgkmcnt(0)
	v_mul_f32_e32 v25, v24, v22
	v_mul_f32_e32 v22, v23, v22
	v_fma_f32 v23, v23, v21, -v25
	v_fmac_f32_e32 v22, v24, v21
	v_add_f32_e32 v10, v10, v23
	v_add_f32_e32 v11, v11, v22
.LBB165_92:
	s_or_b64 exec, exec, s[8:9]
	v_cmp_eq_u32_e64 s[8:9], 1, v19
	s_and_b64 s[52:53], s[8:9], s[0:1]
	s_barrier
	s_and_saveexec_b64 s[8:9], s[52:53]
; %bb.93:
	ds_write_b64 v18, v[10:11]
; %bb.94:
	s_or_b64 exec, exec, s[8:9]
	v_cmp_lt_u32_e64 s[8:9], 1, v19
	s_and_b64 s[54:55], s[8:9], s[0:1]
	s_waitcnt lgkmcnt(0)
	s_barrier
	s_and_saveexec_b64 s[8:9], s[54:55]
	s_cbranch_execz .LBB165_96
; %bb.95:
	ds_read_b64 v[21:22], v16 offset:2592
	ds_read_b64 v[23:24], v18
	s_waitcnt lgkmcnt(0)
	v_mul_f32_e32 v25, v24, v22
	v_mul_f32_e32 v22, v23, v22
	v_fma_f32 v23, v23, v21, -v25
	v_fmac_f32_e32 v22, v24, v21
	v_add_f32_e32 v10, v10, v23
	v_add_f32_e32 v11, v11, v22
.LBB165_96:
	s_or_b64 exec, exec, s[8:9]
	v_cmp_eq_u32_e64 s[8:9], 2, v19
	s_and_b64 s[56:57], s[8:9], s[0:1]
	s_barrier
	s_and_saveexec_b64 s[8:9], s[56:57]
; %bb.97:
	ds_write_b64 v18, v[10:11]
; %bb.98:
	s_or_b64 exec, exec, s[8:9]
	v_cmp_eq_u32_e64 s[8:9], 3, v19
	s_and_b64 s[46:47], s[8:9], s[0:1]
	s_waitcnt lgkmcnt(0)
	s_barrier
	s_and_saveexec_b64 s[0:1], s[46:47]
	s_cbranch_execz .LBB165_100
; %bb.99:
	v_mov_b32_e32 v21, 0
	ds_read_b64 v[21:22], v21 offset:3128
	ds_read_b64 v[23:24], v18
	s_waitcnt lgkmcnt(0)
	v_mul_f32_e32 v25, v24, v22
	v_mul_f32_e32 v22, v23, v22
	v_fma_f32 v23, v23, v21, -v25
	v_fmac_f32_e32 v22, v24, v21
	v_add_f32_e32 v10, v10, v23
	v_add_f32_e32 v11, v11, v22
.LBB165_100:
	s_or_b64 exec, exec, s[0:1]
	s_barrier
	s_and_saveexec_b64 s[0:1], s[46:47]
; %bb.101:
	ds_write_b64 v18, v[10:11]
; %bb.102:
	s_or_b64 exec, exec, s[0:1]
	s_waitcnt lgkmcnt(0)
	s_barrier
	s_barrier
	s_and_saveexec_b64 s[0:1], s[18:19]
; %bb.103:
	v_xor_b32_e32 v10, 0x80000000, v10
	v_xor_b32_e32 v11, 0x80000000, v11
	ds_write_b64 v15, v[10:11] offset:32
; %bb.104:
	s_or_b64 exec, exec, s[0:1]
	v_cmp_gt_u32_e64 s[8:9], 4, v0
	s_and_b64 s[58:59], s[12:13], s[8:9]
	s_waitcnt lgkmcnt(0)
	s_barrier
	s_barrier
	s_and_saveexec_b64 s[0:1], s[58:59]
	s_cbranch_execz .LBB165_106
; %bb.105:
	v_lshlrev_b32_e32 v21, 9, v0
	ds_read_b64 v[10:11], v21 offset:32
	s_movk_i32 s8, 0xfe08
	v_mad_i32_i24 v22, v0, s8, v21
	s_waitcnt lgkmcnt(0)
	ds_write_b64 v22, v[10:11] offset:2048
	ds_read_b64 v[10:11], v21 offset:40
	s_waitcnt lgkmcnt(0)
	ds_write_b64 v22, v[10:11] offset:2560
	ds_read_b64 v[10:11], v21 offset:48
	;; [unrolled: 3-line block ×3, first 2 shown]
	s_waitcnt lgkmcnt(0)
	ds_write_b64 v22, v[10:11] offset:3584
.LBB165_106:
	s_or_b64 exec, exec, s[0:1]
	s_waitcnt lgkmcnt(0)
	s_barrier
	s_and_saveexec_b64 s[0:1], vcc
	s_cbranch_execz .LBB165_108
; %bb.107:
	v_mov_b32_e32 v23, 0
	ds_read_b64 v[10:11], v23 offset:2088
	s_mov_b64 s[8:9], 0x3f800000
	v_mov_b32_e32 v22, s9
	v_mov_b32_e32 v21, s8
	ds_write_b64 v23, v[21:22] offset:2600
	v_add_u32_e64 v23, 32, 0
	s_waitcnt lgkmcnt(1)
	ds_write2st64_b64 v23, v[21:22], v[10:11] offset0:4 offset1:5
.LBB165_108:
	s_or_b64 exec, exec, s[0:1]
	v_mov_b32_e32 v11, 0
	v_mov_b32_e32 v10, 0
	s_waitcnt lgkmcnt(0)
	s_barrier
	s_and_saveexec_b64 s[0:1], s[2:3]
	s_cbranch_execz .LBB165_112
; %bb.109:
	v_mul_u32_u24_e32 v21, 0x208, v14
	ds_read_b64 v[10:11], v12 offset:2096
	ds_read_b64 v[21:22], v21 offset:2080
	v_cmp_gt_u32_e64 s[8:9], 2, v17
	s_waitcnt lgkmcnt(0)
	v_mul_f32_e32 v23, v22, v11
	v_mul_f32_e32 v11, v21, v11
	v_fma_f32 v21, v21, v10, -v23
	v_fmac_f32_e32 v11, v22, v10
	v_add_f32_e32 v10, 0, v21
	v_add_f32_e32 v11, 0, v11
	s_and_saveexec_b64 s[10:11], s[8:9]
	s_cbranch_execz .LBB165_111
; %bb.110:
	v_lshlrev_b32_e32 v21, 3, v0
	v_mov_b32_e32 v23, 0
	ds_read_b64 v[21:22], v21 offset:2608
	ds_read_b64 v[23:24], v23 offset:2088
	s_waitcnt lgkmcnt(0)
	v_mul_f32_e32 v25, v24, v22
	v_mul_f32_e32 v22, v23, v22
	v_fma_f32 v23, v23, v21, -v25
	v_fmac_f32_e32 v22, v24, v21
	v_add_f32_e32 v10, v10, v23
	v_add_f32_e32 v11, v11, v22
.LBB165_111:
	s_or_b64 exec, exec, s[10:11]
	v_xor_b32_e32 v10, 0x80000000, v10
	v_xor_b32_e32 v11, 0x80000000, v11
.LBB165_112:
	s_or_b64 exec, exec, s[0:1]
	s_and_saveexec_b64 s[0:1], s[42:43]
; %bb.113:
	ds_write_b64 v13, v[10:11]
; %bb.114:
	s_or_b64 exec, exec, s[0:1]
	s_waitcnt lgkmcnt(0)
	s_barrier
	s_and_saveexec_b64 s[0:1], s[40:41]
	s_cbranch_execz .LBB165_116
; %bb.115:
	v_mov_b32_e32 v21, 0
	ds_read_b64 v[21:22], v21 offset:3128
	ds_read_b64 v[23:24], v13
	s_waitcnt lgkmcnt(0)
	v_mul_f32_e32 v25, v24, v22
	v_mul_f32_e32 v22, v23, v22
	v_fma_f32 v23, v23, v21, -v25
	v_fmac_f32_e32 v22, v24, v21
	v_add_f32_e32 v10, v10, v23
	v_add_f32_e32 v11, v11, v22
.LBB165_116:
	s_or_b64 exec, exec, s[0:1]
	s_barrier
	s_and_saveexec_b64 s[0:1], s[40:41]
; %bb.117:
	ds_write_b64 v13, v[10:11]
; %bb.118:
	s_or_b64 exec, exec, s[0:1]
	s_waitcnt lgkmcnt(0)
	s_barrier
	s_barrier
	s_and_saveexec_b64 s[0:1], s[2:3]
; %bb.119:
	v_xor_b32_e32 v11, 0x80000000, v11
	v_xor_b32_e32 v10, 0x80000000, v10
	ds_write_b64 v12, v[10:11] offset:2096
; %bb.120:
	s_or_b64 exec, exec, s[0:1]
	s_waitcnt lgkmcnt(0)
	s_barrier
	s_barrier
	s_and_saveexec_b64 s[0:1], s[44:45]
	s_cbranch_execz .LBB165_122
; %bb.121:
	v_lshlrev_b32_e32 v21, 3, v0
	s_movk_i32 s8, 0x1f8
	v_mad_u32_u24 v22, v0, s8, v21
	ds_read_b64 v[10:11], v22 offset:2096
	s_waitcnt lgkmcnt(0)
	ds_write_b64 v21, v[10:11] offset:3104
	ds_read_b64 v[10:11], v22 offset:2104
	s_waitcnt lgkmcnt(0)
	ds_write_b64 v21, v[10:11] offset:3616
.LBB165_122:
	s_or_b64 exec, exec, s[0:1]
	s_waitcnt lgkmcnt(0)
	s_barrier
	s_and_saveexec_b64 s[0:1], vcc
	s_cbranch_execz .LBB165_124
; %bb.123:
	v_mov_b32_e32 v23, 0
	ds_read_b64 v[10:11], v23 offset:3128
	s_mov_b64 s[8:9], 0x3f800000
	v_mov_b32_e32 v22, s9
	v_mov_b32_e32 v21, s8
	ds_write_b64 v23, v[21:22] offset:3640
	v_add_u32_e64 v23, 48, 0
	s_waitcnt lgkmcnt(1)
	ds_write2st64_b64 v23, v[21:22], v[10:11] offset0:6 offset1:7
.LBB165_124:
	s_or_b64 exec, exec, s[0:1]
	v_and_b32_e32 v24, 7, v0
	v_lshrrev_b32_e32 v25, 3, v17
	v_lshlrev_b32_e32 v22, 3, v24
	v_cmp_lt_u32_e64 s[10:11], 63, v17
	v_cmp_gt_u32_e64 s[8:9], 64, v17
	v_lshl_or_b32 v21, v25, 9, v22
	v_mov_b32_e32 v11, 0
	v_mov_b32_e32 v10, 0
	s_waitcnt lgkmcnt(0)
	s_barrier
	s_and_saveexec_b64 s[0:1], s[8:9]
	s_cbranch_execz .LBB165_134
; %bb.125:
	v_mul_u32_u24_e32 v23, 0x208, v25
	ds_read_b64 v[10:11], v21 offset:64
	ds_read_b64 v[26:27], v23
	v_cmp_gt_u32_e64 s[14:15], 56, v17
	s_waitcnt lgkmcnt(0)
	v_mul_f32_e32 v28, v27, v11
	v_mul_f32_e32 v11, v26, v11
	v_fma_f32 v26, v26, v10, -v28
	v_fmac_f32_e32 v11, v27, v10
	v_add_f32_e32 v10, 0, v26
	v_add_f32_e32 v11, 0, v11
	s_and_saveexec_b64 s[16:17], s[14:15]
	s_cbranch_execnz .LBB165_1061
; %bb.126:
	s_or_b64 exec, exec, s[16:17]
	v_cmp_gt_u32_e64 s[14:15], 48, v17
	s_and_saveexec_b64 s[16:17], s[14:15]
	s_cbranch_execnz .LBB165_1062
.LBB165_127:
	s_or_b64 exec, exec, s[16:17]
	v_cmp_gt_u32_e64 s[14:15], 40, v17
	s_and_saveexec_b64 s[16:17], s[14:15]
	s_cbranch_execnz .LBB165_1063
.LBB165_128:
	s_or_b64 exec, exec, s[16:17]
	v_cmp_gt_u32_e64 s[14:15], 32, v17
	s_and_saveexec_b64 s[16:17], s[14:15]
	s_cbranch_execnz .LBB165_1064
.LBB165_129:
	s_or_b64 exec, exec, s[16:17]
	v_cmp_gt_u32_e64 s[14:15], 24, v17
	s_and_saveexec_b64 s[16:17], s[14:15]
	s_cbranch_execnz .LBB165_1065
.LBB165_130:
	s_or_b64 exec, exec, s[16:17]
	v_cmp_gt_u32_e64 s[14:15], 16, v17
	s_and_saveexec_b64 s[16:17], s[14:15]
	s_cbranch_execnz .LBB165_1066
.LBB165_131:
	s_or_b64 exec, exec, s[16:17]
	v_cmp_gt_u32_e64 s[14:15], 8, v17
	s_and_saveexec_b64 s[16:17], s[14:15]
	s_cbranch_execz .LBB165_133
.LBB165_132:
	v_lshlrev_b32_e32 v23, 3, v0
	v_mov_b32_e32 v28, 0
	ds_read_b64 v[26:27], v23 offset:3648
	ds_read_b64 v[28:29], v28 offset:56
	s_waitcnt lgkmcnt(0)
	v_mul_f32_e32 v23, v29, v27
	v_mul_f32_e32 v27, v28, v27
	v_fma_f32 v23, v28, v26, -v23
	v_fmac_f32_e32 v27, v29, v26
	v_add_f32_e32 v10, v10, v23
	v_add_f32_e32 v11, v11, v27
.LBB165_133:
	s_or_b64 exec, exec, s[16:17]
	v_xor_b32_e32 v10, 0x80000000, v10
	v_xor_b32_e32 v11, 0x80000000, v11
.LBB165_134:
	s_or_b64 exec, exec, s[0:1]
	v_mov_b32_e32 v23, 0x8000
	v_cmp_eq_u32_e64 s[14:15], 0, v24
	s_xor_b64 s[0:1], s[10:11], -1
	v_lshl_add_u32 v23, v25, 3, v23
	s_and_b64 s[62:63], s[14:15], s[0:1]
	s_and_saveexec_b64 s[10:11], s[62:63]
; %bb.135:
	ds_write_b64 v23, v[10:11]
; %bb.136:
	s_or_b64 exec, exec, s[10:11]
	v_cmp_ne_u32_e64 s[10:11], 0, v24
	s_and_b64 s[64:65], s[10:11], s[0:1]
	s_waitcnt lgkmcnt(0)
	s_barrier
	s_and_saveexec_b64 s[10:11], s[64:65]
	s_cbranch_execz .LBB165_138
; %bb.137:
	ds_read_b64 v[26:27], v22 offset:4160
	ds_read_b64 v[28:29], v23
	s_waitcnt lgkmcnt(0)
	v_mul_f32_e32 v30, v29, v27
	v_mul_f32_e32 v27, v28, v27
	v_fma_f32 v28, v28, v26, -v30
	v_fmac_f32_e32 v27, v29, v26
	v_add_f32_e32 v10, v10, v28
	v_add_f32_e32 v11, v11, v27
.LBB165_138:
	s_or_b64 exec, exec, s[10:11]
	v_cmp_eq_u32_e64 s[10:11], 1, v24
	s_and_b64 s[66:67], s[10:11], s[0:1]
	s_barrier
	s_and_saveexec_b64 s[10:11], s[66:67]
; %bb.139:
	ds_write_b64 v23, v[10:11]
; %bb.140:
	s_or_b64 exec, exec, s[10:11]
	v_cmp_lt_u32_e64 s[10:11], 1, v24
	s_and_b64 s[68:69], s[10:11], s[0:1]
	s_waitcnt lgkmcnt(0)
	s_barrier
	s_and_saveexec_b64 s[10:11], s[68:69]
	s_cbranch_execz .LBB165_142
; %bb.141:
	ds_read_b64 v[26:27], v22 offset:4672
	ds_read_b64 v[28:29], v23
	s_waitcnt lgkmcnt(0)
	v_mul_f32_e32 v30, v29, v27
	v_mul_f32_e32 v27, v28, v27
	v_fma_f32 v28, v28, v26, -v30
	v_fmac_f32_e32 v27, v29, v26
	v_add_f32_e32 v10, v10, v28
	v_add_f32_e32 v11, v11, v27
.LBB165_142:
	s_or_b64 exec, exec, s[10:11]
	v_cmp_eq_u32_e64 s[10:11], 2, v24
	s_and_b64 s[70:71], s[10:11], s[0:1]
	s_barrier
	s_and_saveexec_b64 s[10:11], s[70:71]
; %bb.143:
	ds_write_b64 v23, v[10:11]
; %bb.144:
	s_or_b64 exec, exec, s[10:11]
	v_cmp_lt_u32_e64 s[10:11], 2, v24
	;; [unrolled: 26-line block ×5, first 2 shown]
	s_and_b64 s[84:85], s[10:11], s[0:1]
	s_waitcnt lgkmcnt(0)
	s_barrier
	s_and_saveexec_b64 s[10:11], s[84:85]
	s_cbranch_execz .LBB165_158
; %bb.157:
	ds_read_b64 v[26:27], v22 offset:6720
	ds_read_b64 v[28:29], v23
	s_waitcnt lgkmcnt(0)
	v_mul_f32_e32 v30, v29, v27
	v_mul_f32_e32 v27, v28, v27
	v_fma_f32 v28, v28, v26, -v30
	v_fmac_f32_e32 v27, v29, v26
	v_add_f32_e32 v10, v10, v28
	v_add_f32_e32 v11, v11, v27
.LBB165_158:
	s_or_b64 exec, exec, s[10:11]
	v_cmp_eq_u32_e64 s[10:11], 6, v24
	s_and_b64 s[86:87], s[10:11], s[0:1]
	s_barrier
	s_and_saveexec_b64 s[10:11], s[86:87]
; %bb.159:
	ds_write_b64 v23, v[10:11]
; %bb.160:
	s_or_b64 exec, exec, s[10:11]
	v_cmp_eq_u32_e64 s[10:11], 7, v24
	s_and_b64 s[60:61], s[10:11], s[0:1]
	s_waitcnt lgkmcnt(0)
	s_barrier
	s_and_saveexec_b64 s[0:1], s[60:61]
	s_cbranch_execz .LBB165_162
; %bb.161:
	v_mov_b32_e32 v26, 0
	ds_read_b64 v[26:27], v26 offset:7288
	ds_read_b64 v[28:29], v23
	s_waitcnt lgkmcnt(0)
	v_mul_f32_e32 v30, v29, v27
	v_mul_f32_e32 v27, v28, v27
	v_fma_f32 v28, v28, v26, -v30
	v_fmac_f32_e32 v27, v29, v26
	v_add_f32_e32 v10, v10, v28
	v_add_f32_e32 v11, v11, v27
.LBB165_162:
	s_or_b64 exec, exec, s[0:1]
	s_barrier
	s_and_saveexec_b64 s[0:1], s[60:61]
; %bb.163:
	ds_write_b64 v23, v[10:11]
; %bb.164:
	s_or_b64 exec, exec, s[0:1]
	s_waitcnt lgkmcnt(0)
	s_barrier
	s_barrier
	s_and_saveexec_b64 s[0:1], s[8:9]
; %bb.165:
	v_xor_b32_e32 v11, 0x80000000, v11
	v_xor_b32_e32 v10, 0x80000000, v10
	ds_write_b64 v21, v[10:11] offset:64
; %bb.166:
	s_or_b64 exec, exec, s[0:1]
	v_cmp_gt_u32_e64 s[10:11], 8, v0
	s_and_b64 s[88:89], s[12:13], s[10:11]
	s_waitcnt lgkmcnt(0)
	s_barrier
	s_barrier
	s_and_saveexec_b64 s[0:1], s[88:89]
	s_cbranch_execz .LBB165_168
; %bb.167:
	v_lshlrev_b32_e32 v26, 9, v0
	ds_read_b64 v[10:11], v26 offset:64
	s_movk_i32 s10, 0xfe08
	v_mad_i32_i24 v27, v0, s10, v26
	s_waitcnt lgkmcnt(0)
	ds_write_b64 v27, v[10:11] offset:4096
	ds_read_b64 v[10:11], v26 offset:72
	s_waitcnt lgkmcnt(0)
	ds_write_b64 v27, v[10:11] offset:4608
	ds_read_b64 v[10:11], v26 offset:80
	;; [unrolled: 3-line block ×7, first 2 shown]
	s_waitcnt lgkmcnt(0)
	ds_write_b64 v27, v[10:11] offset:7680
.LBB165_168:
	s_or_b64 exec, exec, s[0:1]
	s_waitcnt lgkmcnt(0)
	s_barrier
	s_and_saveexec_b64 s[0:1], vcc
	s_cbranch_execz .LBB165_170
; %bb.169:
	v_mov_b32_e32 v28, 0
	ds_read_b64 v[10:11], v28 offset:4168
	s_mov_b64 s[10:11], 0x3f800000
	v_mov_b32_e32 v27, s11
	v_mov_b32_e32 v26, s10
	ds_write_b64 v28, v[26:27] offset:4680
	v_add_u32_e64 v28, 64, 0
	s_waitcnt lgkmcnt(1)
	ds_write2st64_b64 v28, v[26:27], v[10:11] offset0:8 offset1:9
.LBB165_170:
	s_or_b64 exec, exec, s[0:1]
	v_mov_b32_e32 v11, 0
	v_mov_b32_e32 v10, 0
	s_waitcnt lgkmcnt(0)
	s_barrier
	s_and_saveexec_b64 s[0:1], s[2:3]
	s_cbranch_execz .LBB165_174
; %bb.171:
	v_mul_u32_u24_e32 v26, 0x208, v14
	ds_read_b64 v[10:11], v12 offset:4176
	ds_read_b64 v[26:27], v26 offset:4160
	v_cmp_gt_u32_e64 s[10:11], 2, v17
	s_waitcnt lgkmcnt(0)
	v_mul_f32_e32 v28, v27, v11
	v_mul_f32_e32 v11, v26, v11
	v_fma_f32 v26, v26, v10, -v28
	v_fmac_f32_e32 v11, v27, v10
	v_add_f32_e32 v10, 0, v26
	v_add_f32_e32 v11, 0, v11
	s_and_saveexec_b64 s[14:15], s[10:11]
	s_cbranch_execz .LBB165_173
; %bb.172:
	v_lshlrev_b32_e32 v26, 3, v0
	v_mov_b32_e32 v28, 0
	ds_read_b64 v[26:27], v26 offset:4688
	ds_read_b64 v[28:29], v28 offset:4168
	s_waitcnt lgkmcnt(0)
	v_mul_f32_e32 v30, v29, v27
	v_mul_f32_e32 v27, v28, v27
	v_fma_f32 v28, v28, v26, -v30
	v_fmac_f32_e32 v27, v29, v26
	v_add_f32_e32 v10, v10, v28
	v_add_f32_e32 v11, v11, v27
.LBB165_173:
	s_or_b64 exec, exec, s[14:15]
	v_xor_b32_e32 v10, 0x80000000, v10
	v_xor_b32_e32 v11, 0x80000000, v11
.LBB165_174:
	s_or_b64 exec, exec, s[0:1]
	s_and_saveexec_b64 s[0:1], s[42:43]
; %bb.175:
	ds_write_b64 v13, v[10:11]
; %bb.176:
	s_or_b64 exec, exec, s[0:1]
	s_waitcnt lgkmcnt(0)
	s_barrier
	s_and_saveexec_b64 s[0:1], s[40:41]
	s_cbranch_execz .LBB165_178
; %bb.177:
	v_mov_b32_e32 v26, 0
	ds_read_b64 v[26:27], v26 offset:5208
	ds_read_b64 v[28:29], v13
	s_waitcnt lgkmcnt(0)
	v_mul_f32_e32 v30, v29, v27
	v_mul_f32_e32 v27, v28, v27
	v_fma_f32 v28, v28, v26, -v30
	v_fmac_f32_e32 v27, v29, v26
	v_add_f32_e32 v10, v10, v28
	v_add_f32_e32 v11, v11, v27
.LBB165_178:
	s_or_b64 exec, exec, s[0:1]
	s_barrier
	s_and_saveexec_b64 s[0:1], s[40:41]
; %bb.179:
	ds_write_b64 v13, v[10:11]
; %bb.180:
	s_or_b64 exec, exec, s[0:1]
	s_waitcnt lgkmcnt(0)
	s_barrier
	s_barrier
	s_and_saveexec_b64 s[0:1], s[2:3]
; %bb.181:
	v_xor_b32_e32 v11, 0x80000000, v11
	v_xor_b32_e32 v10, 0x80000000, v10
	ds_write_b64 v12, v[10:11] offset:4176
; %bb.182:
	s_or_b64 exec, exec, s[0:1]
	s_waitcnt lgkmcnt(0)
	s_barrier
	s_barrier
	s_and_saveexec_b64 s[0:1], s[44:45]
	s_cbranch_execz .LBB165_184
; %bb.183:
	v_lshlrev_b32_e32 v26, 3, v0
	s_movk_i32 s10, 0x1f8
	v_mad_u32_u24 v27, v0, s10, v26
	ds_read_b64 v[10:11], v27 offset:4176
	s_waitcnt lgkmcnt(0)
	ds_write_b64 v26, v[10:11] offset:5184
	ds_read_b64 v[10:11], v27 offset:4184
	s_waitcnt lgkmcnt(0)
	ds_write_b64 v26, v[10:11] offset:5696
.LBB165_184:
	s_or_b64 exec, exec, s[0:1]
	s_waitcnt lgkmcnt(0)
	s_barrier
	s_and_saveexec_b64 s[0:1], vcc
	s_cbranch_execz .LBB165_186
; %bb.185:
	v_mov_b32_e32 v28, 0
	ds_read_b64 v[10:11], v28 offset:5208
	s_mov_b64 s[10:11], 0x3f800000
	v_mov_b32_e32 v27, s11
	v_mov_b32_e32 v26, s10
	s_movk_i32 s10, 0x50
	ds_write_b64 v28, v[26:27] offset:5720
	v_add_u32_e64 v28, s10, 0
	s_waitcnt lgkmcnt(1)
	ds_write2st64_b64 v28, v[26:27], v[10:11] offset0:10 offset1:11
.LBB165_186:
	s_or_b64 exec, exec, s[0:1]
	v_mov_b32_e32 v11, 0
	v_mov_b32_e32 v10, 0
	s_waitcnt lgkmcnt(0)
	s_barrier
	s_and_saveexec_b64 s[0:1], s[18:19]
	s_cbranch_execz .LBB165_192
; %bb.187:
	v_mul_u32_u24_e32 v26, 0x208, v20
	ds_read_b64 v[10:11], v15 offset:4192
	ds_read_b64 v[27:28], v26 offset:4160
	v_cmp_gt_u32_e64 s[10:11], 12, v17
	s_waitcnt lgkmcnt(0)
	v_mul_f32_e32 v29, v28, v11
	v_mul_f32_e32 v11, v27, v11
	v_fma_f32 v27, v27, v10, -v29
	v_fmac_f32_e32 v11, v28, v10
	v_add_f32_e32 v10, 0, v27
	v_add_f32_e32 v11, 0, v11
	s_and_saveexec_b64 s[14:15], s[10:11]
	s_cbranch_execnz .LBB165_1067
; %bb.188:
	s_or_b64 exec, exec, s[14:15]
	v_cmp_gt_u32_e64 s[10:11], 8, v17
	s_and_saveexec_b64 s[14:15], s[10:11]
	s_cbranch_execnz .LBB165_1068
.LBB165_189:
	s_or_b64 exec, exec, s[14:15]
	v_cmp_gt_u32_e64 s[10:11], 4, v17
	s_and_saveexec_b64 s[14:15], s[10:11]
	s_cbranch_execz .LBB165_191
.LBB165_190:
	v_lshlrev_b32_e32 v26, 3, v0
	v_mov_b32_e32 v28, 0
	ds_read_b64 v[26:27], v26 offset:5728
	ds_read_b64 v[28:29], v28 offset:4184
	s_waitcnt lgkmcnt(0)
	v_mul_f32_e32 v30, v29, v27
	v_mul_f32_e32 v27, v28, v27
	v_fma_f32 v28, v28, v26, -v30
	v_fmac_f32_e32 v27, v29, v26
	v_add_f32_e32 v10, v10, v28
	v_add_f32_e32 v11, v11, v27
.LBB165_191:
	s_or_b64 exec, exec, s[14:15]
	v_xor_b32_e32 v10, 0x80000000, v10
	v_xor_b32_e32 v11, 0x80000000, v11
.LBB165_192:
	s_or_b64 exec, exec, s[0:1]
	s_and_saveexec_b64 s[0:1], s[48:49]
; %bb.193:
	ds_write_b64 v18, v[10:11]
; %bb.194:
	s_or_b64 exec, exec, s[0:1]
	s_waitcnt lgkmcnt(0)
	s_barrier
	s_and_saveexec_b64 s[0:1], s[50:51]
	s_cbranch_execz .LBB165_196
; %bb.195:
	ds_read_b64 v[26:27], v16 offset:6240
	ds_read_b64 v[28:29], v18
	s_waitcnt lgkmcnt(0)
	v_mul_f32_e32 v30, v29, v27
	v_mul_f32_e32 v27, v28, v27
	v_fma_f32 v28, v28, v26, -v30
	v_fmac_f32_e32 v27, v29, v26
	v_add_f32_e32 v10, v10, v28
	v_add_f32_e32 v11, v11, v27
.LBB165_196:
	s_or_b64 exec, exec, s[0:1]
	s_barrier
	s_and_saveexec_b64 s[0:1], s[52:53]
; %bb.197:
	ds_write_b64 v18, v[10:11]
; %bb.198:
	s_or_b64 exec, exec, s[0:1]
	s_waitcnt lgkmcnt(0)
	s_barrier
	s_and_saveexec_b64 s[0:1], s[54:55]
	s_cbranch_execz .LBB165_200
; %bb.199:
	ds_read_b64 v[26:27], v16 offset:6752
	ds_read_b64 v[28:29], v18
	s_waitcnt lgkmcnt(0)
	v_mul_f32_e32 v30, v29, v27
	v_mul_f32_e32 v27, v28, v27
	v_fma_f32 v28, v28, v26, -v30
	v_fmac_f32_e32 v27, v29, v26
	v_add_f32_e32 v10, v10, v28
	v_add_f32_e32 v11, v11, v27
.LBB165_200:
	s_or_b64 exec, exec, s[0:1]
	s_barrier
	s_and_saveexec_b64 s[0:1], s[56:57]
; %bb.201:
	ds_write_b64 v18, v[10:11]
; %bb.202:
	s_or_b64 exec, exec, s[0:1]
	s_waitcnt lgkmcnt(0)
	s_barrier
	s_and_saveexec_b64 s[0:1], s[46:47]
	s_cbranch_execz .LBB165_204
; %bb.203:
	v_mov_b32_e32 v26, 0
	ds_read_b64 v[26:27], v26 offset:7288
	ds_read_b64 v[28:29], v18
	s_waitcnt lgkmcnt(0)
	v_mul_f32_e32 v30, v29, v27
	v_mul_f32_e32 v27, v28, v27
	v_fma_f32 v28, v28, v26, -v30
	v_fmac_f32_e32 v27, v29, v26
	v_add_f32_e32 v10, v10, v28
	v_add_f32_e32 v11, v11, v27
.LBB165_204:
	s_or_b64 exec, exec, s[0:1]
	s_barrier
	s_and_saveexec_b64 s[0:1], s[46:47]
; %bb.205:
	ds_write_b64 v18, v[10:11]
; %bb.206:
	s_or_b64 exec, exec, s[0:1]
	s_waitcnt lgkmcnt(0)
	s_barrier
	s_barrier
	s_and_saveexec_b64 s[0:1], s[18:19]
; %bb.207:
	v_xor_b32_e32 v10, 0x80000000, v10
	v_xor_b32_e32 v11, 0x80000000, v11
	ds_write_b64 v15, v[10:11] offset:4192
; %bb.208:
	s_or_b64 exec, exec, s[0:1]
	s_waitcnt lgkmcnt(0)
	s_barrier
	s_barrier
	s_and_saveexec_b64 s[0:1], s[58:59]
	s_cbranch_execz .LBB165_210
; %bb.209:
	v_lshlrev_b32_e32 v26, 9, v0
	ds_read_b64 v[10:11], v26 offset:4192
	s_movk_i32 s10, 0xfe08
	v_mad_i32_i24 v27, v0, s10, v26
	s_waitcnt lgkmcnt(0)
	ds_write_b64 v27, v[10:11] offset:6208
	ds_read_b64 v[10:11], v26 offset:4200
	s_waitcnt lgkmcnt(0)
	ds_write_b64 v27, v[10:11] offset:6720
	ds_read_b64 v[10:11], v26 offset:4208
	;; [unrolled: 3-line block ×3, first 2 shown]
	s_waitcnt lgkmcnt(0)
	ds_write_b64 v27, v[10:11] offset:7744
.LBB165_210:
	s_or_b64 exec, exec, s[0:1]
	s_waitcnt lgkmcnt(0)
	s_barrier
	s_and_saveexec_b64 s[0:1], vcc
	s_cbranch_execz .LBB165_212
; %bb.211:
	v_mov_b32_e32 v28, 0
	ds_read_b64 v[10:11], v28 offset:6248
	s_mov_b64 s[10:11], 0x3f800000
	v_mov_b32_e32 v27, s11
	v_mov_b32_e32 v26, s10
	s_movk_i32 s10, 0x60
	ds_write_b64 v28, v[26:27] offset:6760
	v_add_u32_e64 v28, s10, 0
	s_waitcnt lgkmcnt(1)
	ds_write2st64_b64 v28, v[26:27], v[10:11] offset0:12 offset1:13
.LBB165_212:
	s_or_b64 exec, exec, s[0:1]
	v_mov_b32_e32 v11, 0
	v_mov_b32_e32 v10, 0
	s_waitcnt lgkmcnt(0)
	s_barrier
	s_and_saveexec_b64 s[0:1], s[2:3]
	s_cbranch_execz .LBB165_216
; %bb.213:
	v_mul_u32_u24_e32 v26, 0x208, v14
	ds_read_b64 v[10:11], v12 offset:6256
	ds_read_b64 v[26:27], v26 offset:6240
	v_cmp_gt_u32_e64 s[10:11], 2, v17
	s_waitcnt lgkmcnt(0)
	v_mul_f32_e32 v28, v27, v11
	v_mul_f32_e32 v11, v26, v11
	v_fma_f32 v26, v26, v10, -v28
	v_fmac_f32_e32 v11, v27, v10
	v_add_f32_e32 v10, 0, v26
	v_add_f32_e32 v11, 0, v11
	s_and_saveexec_b64 s[14:15], s[10:11]
	s_cbranch_execz .LBB165_215
; %bb.214:
	v_lshlrev_b32_e32 v26, 3, v0
	v_mov_b32_e32 v28, 0
	ds_read_b64 v[26:27], v26 offset:6768
	ds_read_b64 v[28:29], v28 offset:6248
	s_waitcnt lgkmcnt(0)
	v_mul_f32_e32 v30, v29, v27
	v_mul_f32_e32 v27, v28, v27
	v_fma_f32 v28, v28, v26, -v30
	v_fmac_f32_e32 v27, v29, v26
	v_add_f32_e32 v10, v10, v28
	v_add_f32_e32 v11, v11, v27
.LBB165_215:
	s_or_b64 exec, exec, s[14:15]
	v_xor_b32_e32 v10, 0x80000000, v10
	v_xor_b32_e32 v11, 0x80000000, v11
.LBB165_216:
	s_or_b64 exec, exec, s[0:1]
	s_and_saveexec_b64 s[0:1], s[42:43]
; %bb.217:
	ds_write_b64 v13, v[10:11]
; %bb.218:
	s_or_b64 exec, exec, s[0:1]
	s_waitcnt lgkmcnt(0)
	s_barrier
	s_and_saveexec_b64 s[0:1], s[40:41]
	s_cbranch_execz .LBB165_220
; %bb.219:
	v_mov_b32_e32 v26, 0
	ds_read_b64 v[26:27], v26 offset:7288
	ds_read_b64 v[28:29], v13
	s_waitcnt lgkmcnt(0)
	v_mul_f32_e32 v30, v29, v27
	v_mul_f32_e32 v27, v28, v27
	v_fma_f32 v28, v28, v26, -v30
	v_fmac_f32_e32 v27, v29, v26
	v_add_f32_e32 v10, v10, v28
	v_add_f32_e32 v11, v11, v27
.LBB165_220:
	s_or_b64 exec, exec, s[0:1]
	s_barrier
	s_and_saveexec_b64 s[0:1], s[40:41]
; %bb.221:
	ds_write_b64 v13, v[10:11]
; %bb.222:
	s_or_b64 exec, exec, s[0:1]
	s_waitcnt lgkmcnt(0)
	s_barrier
	s_barrier
	s_and_saveexec_b64 s[0:1], s[2:3]
; %bb.223:
	v_xor_b32_e32 v11, 0x80000000, v11
	v_xor_b32_e32 v10, 0x80000000, v10
	ds_write_b64 v12, v[10:11] offset:6256
; %bb.224:
	s_or_b64 exec, exec, s[0:1]
	s_waitcnt lgkmcnt(0)
	s_barrier
	s_barrier
	s_and_saveexec_b64 s[0:1], s[44:45]
	s_cbranch_execz .LBB165_226
; %bb.225:
	v_lshlrev_b32_e32 v26, 3, v0
	s_movk_i32 s10, 0x1f8
	v_mad_u32_u24 v27, v0, s10, v26
	ds_read_b64 v[10:11], v27 offset:6256
	s_waitcnt lgkmcnt(0)
	ds_write_b64 v26, v[10:11] offset:7264
	ds_read_b64 v[10:11], v27 offset:6264
	s_waitcnt lgkmcnt(0)
	ds_write_b64 v26, v[10:11] offset:7776
.LBB165_226:
	s_or_b64 exec, exec, s[0:1]
	s_waitcnt lgkmcnt(0)
	s_barrier
	s_and_saveexec_b64 s[0:1], vcc
	s_cbranch_execz .LBB165_228
; %bb.227:
	v_mov_b32_e32 v28, 0
	ds_read_b64 v[10:11], v28 offset:7288
	s_mov_b64 s[10:11], 0x3f800000
	v_mov_b32_e32 v27, s11
	v_mov_b32_e32 v26, s10
	s_movk_i32 s10, 0x70
	ds_write_b64 v28, v[26:27] offset:7800
	v_add_u32_e64 v28, s10, 0
	s_waitcnt lgkmcnt(1)
	ds_write2st64_b64 v28, v[26:27], v[10:11] offset0:14 offset1:15
.LBB165_228:
	s_or_b64 exec, exec, s[0:1]
	v_lshrrev_b32_e32 v30, 4, v17
	v_and_b32_e32 v27, 15, v0
	s_movk_i32 s0, 0xff
	v_lshlrev_b32_e32 v29, 6, v30
	v_cmp_lt_u32_e64 s[14:15], s0, v17
	s_movk_i32 s0, 0x100
	v_or_b32_e32 v10, v29, v27
	v_cmp_gt_u32_e64 s[10:11], s0, v17
	v_lshlrev_b32_e32 v26, 3, v10
	v_mov_b32_e32 v11, 0
	v_mov_b32_e32 v10, 0
	s_waitcnt lgkmcnt(0)
	s_barrier
	s_and_saveexec_b64 s[0:1], s[10:11]
	s_cbranch_execz .LBB165_256
; %bb.229:
	v_mul_u32_u24_e32 v28, 0x208, v30
	ds_read_b64 v[10:11], v26 offset:128
	ds_read_b64 v[31:32], v28
	s_movk_i32 s16, 0xf0
	v_cmp_gt_u32_e64 s[16:17], s16, v17
	s_waitcnt lgkmcnt(0)
	v_mul_f32_e32 v33, v32, v11
	v_mul_f32_e32 v11, v31, v11
	v_fma_f32 v31, v31, v10, -v33
	v_fmac_f32_e32 v11, v32, v10
	v_add_f32_e32 v10, 0, v31
	v_add_f32_e32 v11, 0, v11
	s_and_saveexec_b64 s[20:21], s[16:17]
	s_cbranch_execz .LBB165_231
; %bb.230:
	v_lshlrev_b32_e32 v31, 3, v30
	v_sub_u32_e32 v31, v28, v31
	v_lshl_add_u32 v31, v27, 3, v31
	ds_read_b64 v[31:32], v31 offset:640
	ds_read_b64 v[33:34], v28 offset:8
	s_waitcnt lgkmcnt(0)
	v_mul_f32_e32 v35, v34, v32
	v_mul_f32_e32 v32, v33, v32
	v_fma_f32 v33, v33, v31, -v35
	v_fmac_f32_e32 v32, v34, v31
	v_add_f32_e32 v10, v10, v33
	v_add_f32_e32 v11, v11, v32
.LBB165_231:
	s_or_b64 exec, exec, s[20:21]
	s_movk_i32 s16, 0xe0
	v_cmp_gt_u32_e64 s[16:17], s16, v17
	s_and_saveexec_b64 s[20:21], s[16:17]
	s_cbranch_execz .LBB165_233
; %bb.232:
	v_lshlrev_b32_e32 v31, 3, v30
	v_sub_u32_e32 v31, v28, v31
	v_lshl_add_u32 v31, v27, 3, v31
	ds_read_b64 v[31:32], v31 offset:1152
	ds_read_b64 v[33:34], v28 offset:16
	s_waitcnt lgkmcnt(0)
	v_mul_f32_e32 v35, v34, v32
	v_mul_f32_e32 v32, v33, v32
	v_fma_f32 v33, v33, v31, -v35
	v_fmac_f32_e32 v32, v34, v31
	v_add_f32_e32 v10, v10, v33
	v_add_f32_e32 v11, v11, v32
.LBB165_233:
	s_or_b64 exec, exec, s[20:21]
	s_movk_i32 s16, 0xd0
	v_cmp_gt_u32_e64 s[16:17], s16, v17
	;; [unrolled: 19-line block ×7, first 2 shown]
	s_and_saveexec_b64 s[20:21], s[16:17]
	s_cbranch_execz .LBB165_245
; %bb.244:
	ds_read_b64 v[31:32], v26 offset:4224
	ds_read_b64 v[33:34], v28 offset:64
	s_waitcnt lgkmcnt(0)
	v_mul_f32_e32 v35, v34, v32
	v_mul_f32_e32 v32, v33, v32
	v_fma_f32 v33, v33, v31, -v35
	v_fmac_f32_e32 v32, v34, v31
	v_add_f32_e32 v10, v10, v33
	v_add_f32_e32 v11, v11, v32
.LBB165_245:
	s_or_b64 exec, exec, s[20:21]
	s_movk_i32 s16, 0x70
	v_cmp_gt_u32_e64 s[16:17], s16, v17
	s_and_saveexec_b64 s[20:21], s[16:17]
	s_cbranch_execz .LBB165_247
; %bb.246:
	v_lshlrev_b32_e32 v31, 3, v27
	v_lshl_add_u32 v31, v29, 3, v31
	ds_read_b64 v[31:32], v31 offset:4736
	ds_read_b64 v[33:34], v28 offset:72
	s_waitcnt lgkmcnt(0)
	v_mul_f32_e32 v35, v34, v32
	v_mul_f32_e32 v32, v33, v32
	v_fma_f32 v33, v33, v31, -v35
	v_fmac_f32_e32 v32, v34, v31
	v_add_f32_e32 v10, v10, v33
	v_add_f32_e32 v11, v11, v32
.LBB165_247:
	s_or_b64 exec, exec, s[20:21]
	s_movk_i32 s16, 0x60
	v_cmp_gt_u32_e64 s[16:17], s16, v17
	s_and_saveexec_b64 s[20:21], s[16:17]
	s_cbranch_execz .LBB165_249
; %bb.248:
	v_lshlrev_b32_e32 v31, 3, v27
	v_lshl_add_u32 v31, v29, 3, v31
	ds_read_b64 v[31:32], v31 offset:5248
	ds_read_b64 v[33:34], v28 offset:80
	s_waitcnt lgkmcnt(0)
	v_mul_f32_e32 v35, v34, v32
	v_mul_f32_e32 v32, v33, v32
	v_fma_f32 v33, v33, v31, -v35
	v_fmac_f32_e32 v32, v34, v31
	v_add_f32_e32 v10, v10, v33
	v_add_f32_e32 v11, v11, v32
.LBB165_249:
	s_or_b64 exec, exec, s[20:21]
	s_movk_i32 s16, 0x50
	v_cmp_gt_u32_e64 s[16:17], s16, v17
	s_and_saveexec_b64 s[20:21], s[16:17]
	s_cbranch_execnz .LBB165_1069
; %bb.250:
	s_or_b64 exec, exec, s[20:21]
	v_cmp_gt_u32_e64 s[16:17], 64, v17
	s_and_saveexec_b64 s[20:21], s[16:17]
	s_cbranch_execnz .LBB165_1070
.LBB165_251:
	s_or_b64 exec, exec, s[20:21]
	v_cmp_gt_u32_e64 s[16:17], 48, v17
	s_and_saveexec_b64 s[20:21], s[16:17]
	s_cbranch_execnz .LBB165_1071
.LBB165_252:
	s_or_b64 exec, exec, s[20:21]
	v_cmp_gt_u32_e64 s[16:17], 32, v17
	s_and_saveexec_b64 s[20:21], s[16:17]
	s_cbranch_execnz .LBB165_1072
.LBB165_253:
	s_or_b64 exec, exec, s[20:21]
	v_cmp_gt_u32_e64 s[16:17], 16, v17
	s_and_saveexec_b64 s[20:21], s[16:17]
	s_cbranch_execz .LBB165_255
.LBB165_254:
	v_lshlrev_b32_e32 v28, 3, v0
	v_mov_b32_e32 v33, 0
	ds_read_b64 v[31:32], v28 offset:7808
	ds_read_b64 v[33:34], v33 offset:120
	s_waitcnt lgkmcnt(0)
	v_mul_f32_e32 v28, v34, v32
	v_mul_f32_e32 v32, v33, v32
	v_fma_f32 v28, v33, v31, -v28
	v_fmac_f32_e32 v32, v34, v31
	v_add_f32_e32 v10, v10, v28
	v_add_f32_e32 v11, v11, v32
.LBB165_255:
	s_or_b64 exec, exec, s[20:21]
	v_xor_b32_e32 v10, 0x80000000, v10
	v_xor_b32_e32 v11, 0x80000000, v11
.LBB165_256:
	s_or_b64 exec, exec, s[0:1]
	v_mov_b32_e32 v28, 0x8000
	v_lshl_add_u32 v28, v30, 3, v28
	v_cmp_eq_u32_e64 s[16:17], 0, v27
	s_xor_b64 s[0:1], s[14:15], -1
	s_and_b64 s[16:17], s[16:17], s[0:1]
	s_mov_b64 s[14:15], exec
	v_writelane_b32 v42, s16, 2
	v_writelane_b32 v42, s17, 3
	s_and_b64 s[16:17], s[14:15], s[16:17]
	s_mov_b64 exec, s[16:17]
; %bb.257:
	ds_write_b64 v28, v[10:11]
; %bb.258:
	s_or_b64 exec, exec, s[14:15]
	v_cmp_ne_u32_e64 s[14:15], 0, v27
	s_waitcnt lgkmcnt(0)
	s_barrier
	s_and_b64 s[16:17], s[14:15], s[0:1]
	s_mov_b64 s[14:15], exec
	v_writelane_b32 v42, s16, 4
	v_writelane_b32 v42, s17, 5
	s_and_b64 s[16:17], s[14:15], s[16:17]
	s_mov_b64 exec, s[16:17]
	s_cbranch_execz .LBB165_260
; %bb.259:
	v_lshlrev_b32_e32 v31, 3, v27
	ds_read_b64 v[31:32], v31 offset:8320
	ds_read_b64 v[33:34], v28
	s_waitcnt lgkmcnt(0)
	v_mul_f32_e32 v35, v34, v32
	v_mul_f32_e32 v32, v33, v32
	v_fma_f32 v33, v33, v31, -v35
	v_fmac_f32_e32 v32, v34, v31
	v_add_f32_e32 v10, v10, v33
	v_add_f32_e32 v11, v11, v32
.LBB165_260:
	s_or_b64 exec, exec, s[14:15]
	v_cmp_eq_u32_e64 s[14:15], 1, v27
	s_barrier
	s_and_b64 s[16:17], s[14:15], s[0:1]
	s_mov_b64 s[14:15], exec
	v_writelane_b32 v42, s16, 6
	v_writelane_b32 v42, s17, 7
	s_and_b64 s[16:17], s[14:15], s[16:17]
	s_mov_b64 exec, s[16:17]
; %bb.261:
	ds_write_b64 v28, v[10:11]
; %bb.262:
	s_or_b64 exec, exec, s[14:15]
	v_cmp_lt_u32_e64 s[14:15], 1, v27
	s_waitcnt lgkmcnt(0)
	s_barrier
	s_and_b64 s[16:17], s[14:15], s[0:1]
	s_mov_b64 s[14:15], exec
	v_writelane_b32 v42, s16, 8
	v_writelane_b32 v42, s17, 9
	s_and_b64 s[16:17], s[14:15], s[16:17]
	s_mov_b64 exec, s[16:17]
	s_cbranch_execz .LBB165_264
; %bb.263:
	v_lshlrev_b32_e32 v31, 3, v27
	ds_read_b64 v[31:32], v31 offset:8832
	ds_read_b64 v[33:34], v28
	s_waitcnt lgkmcnt(0)
	v_mul_f32_e32 v35, v34, v32
	v_mul_f32_e32 v32, v33, v32
	v_fma_f32 v33, v33, v31, -v35
	v_fmac_f32_e32 v32, v34, v31
	v_add_f32_e32 v10, v10, v33
	v_add_f32_e32 v11, v11, v32
.LBB165_264:
	s_or_b64 exec, exec, s[14:15]
	v_cmp_eq_u32_e64 s[14:15], 2, v27
	s_barrier
	s_and_b64 s[16:17], s[14:15], s[0:1]
	s_mov_b64 s[14:15], exec
	v_writelane_b32 v42, s16, 10
	v_writelane_b32 v42, s17, 11
	s_and_b64 s[16:17], s[14:15], s[16:17]
	s_mov_b64 exec, s[16:17]
; %bb.265:
	ds_write_b64 v28, v[10:11]
; %bb.266:
	s_or_b64 exec, exec, s[14:15]
	v_cmp_lt_u32_e64 s[14:15], 2, v27
	;; [unrolled: 35-line block ×13, first 2 shown]
	s_waitcnt lgkmcnt(0)
	s_barrier
	s_and_b64 s[16:17], s[14:15], s[0:1]
	s_mov_b64 s[14:15], exec
	v_writelane_b32 v42, s16, 56
	v_writelane_b32 v42, s17, 57
	s_and_b64 s[16:17], s[14:15], s[16:17]
	s_mov_b64 exec, s[16:17]
	s_cbranch_execz .LBB165_312
; %bb.311:
	v_lshlrev_b32_e32 v31, 3, v27
	ds_read_b64 v[31:32], v31 offset:14976
	ds_read_b64 v[33:34], v28
	s_waitcnt lgkmcnt(0)
	v_mul_f32_e32 v35, v34, v32
	v_mul_f32_e32 v32, v33, v32
	v_fma_f32 v33, v33, v31, -v35
	v_fmac_f32_e32 v32, v34, v31
	v_add_f32_e32 v10, v10, v33
	v_add_f32_e32 v11, v11, v32
.LBB165_312:
	s_or_b64 exec, exec, s[14:15]
	v_cmp_eq_u32_e64 s[14:15], 14, v27
	s_barrier
	s_and_b64 s[16:17], s[14:15], s[0:1]
	s_mov_b64 s[14:15], exec
	v_writelane_b32 v42, s16, 58
	v_writelane_b32 v42, s17, 59
	s_and_b64 s[16:17], s[14:15], s[16:17]
	s_mov_b64 exec, s[16:17]
; %bb.313:
	ds_write_b64 v28, v[10:11]
; %bb.314:
	s_or_b64 exec, exec, s[14:15]
	v_cmp_eq_u32_e64 s[14:15], 15, v27
	s_and_b64 s[90:91], s[14:15], s[0:1]
	s_waitcnt lgkmcnt(0)
	s_barrier
	s_and_saveexec_b64 s[0:1], s[90:91]
	s_cbranch_execz .LBB165_316
; %bb.315:
	v_mov_b32_e32 v31, 0
	ds_read_b64 v[31:32], v31 offset:15608
	ds_read_b64 v[33:34], v28
	s_waitcnt lgkmcnt(0)
	v_mul_f32_e32 v35, v34, v32
	v_mul_f32_e32 v32, v33, v32
	v_fma_f32 v33, v33, v31, -v35
	v_fmac_f32_e32 v32, v34, v31
	v_add_f32_e32 v10, v10, v33
	v_add_f32_e32 v11, v11, v32
.LBB165_316:
	s_or_b64 exec, exec, s[0:1]
	s_barrier
	s_and_saveexec_b64 s[0:1], s[90:91]
; %bb.317:
	ds_write_b64 v28, v[10:11]
; %bb.318:
	s_or_b64 exec, exec, s[0:1]
	s_waitcnt lgkmcnt(0)
	s_barrier
	s_barrier
	s_and_saveexec_b64 s[0:1], s[10:11]
; %bb.319:
	v_xor_b32_e32 v10, 0x80000000, v10
	v_xor_b32_e32 v11, 0x80000000, v11
	ds_write_b64 v26, v[10:11] offset:128
; %bb.320:
	s_or_b64 exec, exec, s[0:1]
	v_cmp_gt_u32_e64 s[14:15], 16, v0
	s_and_b64 s[0:1], s[12:13], s[14:15]
	s_waitcnt lgkmcnt(0)
	s_barrier
	s_barrier
	s_and_saveexec_b64 s[14:15], s[0:1]
	s_cbranch_execz .LBB165_322
; %bb.321:
	v_lshlrev_b32_e32 v31, 9, v0
	ds_read_b64 v[10:11], v31 offset:128
	s_movk_i32 s16, 0xfe08
	v_mad_i32_i24 v32, v0, s16, v31
	s_waitcnt lgkmcnt(0)
	ds_write_b64 v32, v[10:11] offset:8192
	ds_read_b64 v[10:11], v31 offset:136
	s_waitcnt lgkmcnt(0)
	ds_write_b64 v32, v[10:11] offset:8704
	ds_read_b64 v[10:11], v31 offset:144
	;; [unrolled: 3-line block ×15, first 2 shown]
	s_waitcnt lgkmcnt(0)
	ds_write_b64 v32, v[10:11] offset:15872
.LBB165_322:
	s_or_b64 exec, exec, s[14:15]
	s_waitcnt lgkmcnt(0)
	s_barrier
	s_and_saveexec_b64 s[14:15], vcc
	s_cbranch_execz .LBB165_324
; %bb.323:
	v_mov_b32_e32 v33, 0
	ds_read_b64 v[10:11], v33 offset:8328
	s_mov_b64 s[16:17], 0x3f800000
	v_mov_b32_e32 v32, s17
	v_mov_b32_e32 v31, s16
	s_movk_i32 s16, 0x80
	ds_write_b64 v33, v[31:32] offset:8840
	v_add_u32_e64 v33, s16, 0
	s_waitcnt lgkmcnt(1)
	ds_write2st64_b64 v33, v[31:32], v[10:11] offset0:16 offset1:17
.LBB165_324:
	s_or_b64 exec, exec, s[14:15]
	v_mov_b32_e32 v11, 0
	v_mov_b32_e32 v10, 0
	s_waitcnt lgkmcnt(0)
	s_barrier
	s_and_saveexec_b64 s[16:17], s[2:3]
	s_cbranch_execz .LBB165_328
; %bb.325:
	v_mul_u32_u24_e32 v31, 0x208, v14
	ds_read_b64 v[10:11], v12 offset:8336
	ds_read_b64 v[31:32], v31 offset:8320
	v_cmp_gt_u32_e64 s[14:15], 2, v17
	s_waitcnt lgkmcnt(0)
	v_mul_f32_e32 v33, v32, v11
	v_mul_f32_e32 v11, v31, v11
	v_fma_f32 v31, v31, v10, -v33
	v_fmac_f32_e32 v11, v32, v10
	v_add_f32_e32 v10, 0, v31
	v_add_f32_e32 v11, 0, v11
	s_and_saveexec_b64 s[20:21], s[14:15]
	s_cbranch_execz .LBB165_327
; %bb.326:
	v_lshlrev_b32_e32 v31, 3, v0
	v_mov_b32_e32 v33, 0
	ds_read_b64 v[31:32], v31 offset:8848
	ds_read_b64 v[33:34], v33 offset:8328
	s_waitcnt lgkmcnt(0)
	v_mul_f32_e32 v35, v34, v32
	v_mul_f32_e32 v32, v33, v32
	v_fma_f32 v33, v33, v31, -v35
	v_fmac_f32_e32 v32, v34, v31
	v_add_f32_e32 v10, v10, v33
	v_add_f32_e32 v11, v11, v32
.LBB165_327:
	s_or_b64 exec, exec, s[20:21]
	v_xor_b32_e32 v10, 0x80000000, v10
	v_xor_b32_e32 v11, 0x80000000, v11
.LBB165_328:
	s_or_b64 exec, exec, s[16:17]
	s_and_saveexec_b64 s[14:15], s[42:43]
; %bb.329:
	ds_write_b64 v13, v[10:11]
; %bb.330:
	s_or_b64 exec, exec, s[14:15]
	s_waitcnt lgkmcnt(0)
	s_barrier
	s_and_saveexec_b64 s[14:15], s[40:41]
	s_cbranch_execz .LBB165_332
; %bb.331:
	v_mov_b32_e32 v31, 0
	ds_read_b64 v[31:32], v31 offset:9368
	ds_read_b64 v[33:34], v13
	s_waitcnt lgkmcnt(0)
	v_mul_f32_e32 v35, v34, v32
	v_mul_f32_e32 v32, v33, v32
	v_fma_f32 v33, v33, v31, -v35
	v_fmac_f32_e32 v32, v34, v31
	v_add_f32_e32 v10, v10, v33
	v_add_f32_e32 v11, v11, v32
.LBB165_332:
	s_or_b64 exec, exec, s[14:15]
	s_barrier
	s_and_saveexec_b64 s[14:15], s[40:41]
; %bb.333:
	ds_write_b64 v13, v[10:11]
; %bb.334:
	s_or_b64 exec, exec, s[14:15]
	s_waitcnt lgkmcnt(0)
	s_barrier
	s_barrier
	s_and_saveexec_b64 s[14:15], s[2:3]
; %bb.335:
	v_xor_b32_e32 v11, 0x80000000, v11
	v_xor_b32_e32 v10, 0x80000000, v10
	ds_write_b64 v12, v[10:11] offset:8336
; %bb.336:
	s_or_b64 exec, exec, s[14:15]
	s_waitcnt lgkmcnt(0)
	s_barrier
	s_barrier
	s_and_saveexec_b64 s[14:15], s[44:45]
	s_cbranch_execz .LBB165_338
; %bb.337:
	v_lshlrev_b32_e32 v31, 3, v0
	s_movk_i32 s16, 0x1f8
	v_mad_u32_u24 v32, v0, s16, v31
	ds_read_b64 v[10:11], v32 offset:8336
	s_waitcnt lgkmcnt(0)
	ds_write_b64 v31, v[10:11] offset:9344
	ds_read_b64 v[10:11], v32 offset:8344
	s_waitcnt lgkmcnt(0)
	ds_write_b64 v31, v[10:11] offset:9856
.LBB165_338:
	s_or_b64 exec, exec, s[14:15]
	s_waitcnt lgkmcnt(0)
	s_barrier
	s_and_saveexec_b64 s[14:15], vcc
	s_cbranch_execz .LBB165_340
; %bb.339:
	v_mov_b32_e32 v33, 0
	ds_read_b64 v[10:11], v33 offset:9368
	s_mov_b64 s[16:17], 0x3f800000
	v_mov_b32_e32 v32, s17
	v_mov_b32_e32 v31, s16
	s_movk_i32 s16, 0x90
	ds_write_b64 v33, v[31:32] offset:9880
	v_add_u32_e64 v33, s16, 0
	s_waitcnt lgkmcnt(1)
	ds_write2st64_b64 v33, v[31:32], v[10:11] offset0:18 offset1:19
.LBB165_340:
	s_or_b64 exec, exec, s[14:15]
	v_mov_b32_e32 v11, 0
	v_mov_b32_e32 v10, 0
	s_waitcnt lgkmcnt(0)
	s_barrier
	s_and_saveexec_b64 s[16:17], s[18:19]
	s_cbranch_execz .LBB165_346
; %bb.341:
	v_mul_u32_u24_e32 v31, 0x208, v20
	ds_read_b64 v[10:11], v15 offset:8352
	ds_read_b64 v[32:33], v31 offset:8320
	v_cmp_gt_u32_e64 s[14:15], 12, v17
	s_waitcnt lgkmcnt(0)
	v_mul_f32_e32 v34, v33, v11
	v_mul_f32_e32 v11, v32, v11
	v_fma_f32 v32, v32, v10, -v34
	v_fmac_f32_e32 v11, v33, v10
	v_add_f32_e32 v10, 0, v32
	v_add_f32_e32 v11, 0, v11
	s_and_saveexec_b64 s[20:21], s[14:15]
	s_cbranch_execnz .LBB165_1073
; %bb.342:
	s_or_b64 exec, exec, s[20:21]
	v_cmp_gt_u32_e64 s[14:15], 8, v17
	s_and_saveexec_b64 s[20:21], s[14:15]
	s_cbranch_execnz .LBB165_1074
.LBB165_343:
	s_or_b64 exec, exec, s[20:21]
	v_cmp_gt_u32_e64 s[14:15], 4, v17
	s_and_saveexec_b64 s[20:21], s[14:15]
	s_cbranch_execz .LBB165_345
.LBB165_344:
	v_lshlrev_b32_e32 v31, 3, v0
	v_mov_b32_e32 v33, 0
	ds_read_b64 v[31:32], v31 offset:9888
	ds_read_b64 v[33:34], v33 offset:8344
	s_waitcnt lgkmcnt(0)
	v_mul_f32_e32 v35, v34, v32
	v_mul_f32_e32 v32, v33, v32
	v_fma_f32 v33, v33, v31, -v35
	v_fmac_f32_e32 v32, v34, v31
	v_add_f32_e32 v10, v10, v33
	v_add_f32_e32 v11, v11, v32
.LBB165_345:
	s_or_b64 exec, exec, s[20:21]
	v_xor_b32_e32 v10, 0x80000000, v10
	v_xor_b32_e32 v11, 0x80000000, v11
.LBB165_346:
	s_or_b64 exec, exec, s[16:17]
	s_and_saveexec_b64 s[14:15], s[48:49]
; %bb.347:
	ds_write_b64 v18, v[10:11]
; %bb.348:
	s_or_b64 exec, exec, s[14:15]
	s_waitcnt lgkmcnt(0)
	s_barrier
	s_and_saveexec_b64 s[14:15], s[50:51]
	s_cbranch_execz .LBB165_350
; %bb.349:
	ds_read_b64 v[31:32], v16 offset:10400
	ds_read_b64 v[33:34], v18
	s_waitcnt lgkmcnt(0)
	v_mul_f32_e32 v35, v34, v32
	v_mul_f32_e32 v32, v33, v32
	v_fma_f32 v33, v33, v31, -v35
	v_fmac_f32_e32 v32, v34, v31
	v_add_f32_e32 v10, v10, v33
	v_add_f32_e32 v11, v11, v32
.LBB165_350:
	s_or_b64 exec, exec, s[14:15]
	s_barrier
	s_and_saveexec_b64 s[14:15], s[52:53]
; %bb.351:
	ds_write_b64 v18, v[10:11]
; %bb.352:
	s_or_b64 exec, exec, s[14:15]
	s_waitcnt lgkmcnt(0)
	s_barrier
	s_and_saveexec_b64 s[14:15], s[54:55]
	s_cbranch_execz .LBB165_354
; %bb.353:
	ds_read_b64 v[31:32], v16 offset:10912
	ds_read_b64 v[33:34], v18
	s_waitcnt lgkmcnt(0)
	v_mul_f32_e32 v35, v34, v32
	v_mul_f32_e32 v32, v33, v32
	v_fma_f32 v33, v33, v31, -v35
	v_fmac_f32_e32 v32, v34, v31
	v_add_f32_e32 v10, v10, v33
	v_add_f32_e32 v11, v11, v32
.LBB165_354:
	s_or_b64 exec, exec, s[14:15]
	s_barrier
	s_and_saveexec_b64 s[14:15], s[56:57]
; %bb.355:
	ds_write_b64 v18, v[10:11]
; %bb.356:
	s_or_b64 exec, exec, s[14:15]
	s_waitcnt lgkmcnt(0)
	s_barrier
	s_and_saveexec_b64 s[14:15], s[46:47]
	s_cbranch_execz .LBB165_358
; %bb.357:
	v_mov_b32_e32 v31, 0
	ds_read_b64 v[31:32], v31 offset:11448
	ds_read_b64 v[33:34], v18
	s_waitcnt lgkmcnt(0)
	v_mul_f32_e32 v35, v34, v32
	v_mul_f32_e32 v32, v33, v32
	v_fma_f32 v33, v33, v31, -v35
	v_fmac_f32_e32 v32, v34, v31
	v_add_f32_e32 v10, v10, v33
	v_add_f32_e32 v11, v11, v32
.LBB165_358:
	s_or_b64 exec, exec, s[14:15]
	s_barrier
	s_and_saveexec_b64 s[14:15], s[46:47]
; %bb.359:
	ds_write_b64 v18, v[10:11]
; %bb.360:
	s_or_b64 exec, exec, s[14:15]
	s_waitcnt lgkmcnt(0)
	s_barrier
	s_barrier
	s_and_saveexec_b64 s[14:15], s[18:19]
; %bb.361:
	v_xor_b32_e32 v10, 0x80000000, v10
	v_xor_b32_e32 v11, 0x80000000, v11
	ds_write_b64 v15, v[10:11] offset:8352
; %bb.362:
	s_or_b64 exec, exec, s[14:15]
	s_waitcnt lgkmcnt(0)
	s_barrier
	s_barrier
	s_and_saveexec_b64 s[14:15], s[58:59]
	s_cbranch_execz .LBB165_364
; %bb.363:
	v_lshlrev_b32_e32 v31, 9, v0
	ds_read_b64 v[10:11], v31 offset:8352
	s_movk_i32 s16, 0xfe08
	v_mad_i32_i24 v32, v0, s16, v31
	s_waitcnt lgkmcnt(0)
	ds_write_b64 v32, v[10:11] offset:10368
	ds_read_b64 v[10:11], v31 offset:8360
	s_waitcnt lgkmcnt(0)
	ds_write_b64 v32, v[10:11] offset:10880
	ds_read_b64 v[10:11], v31 offset:8368
	;; [unrolled: 3-line block ×3, first 2 shown]
	s_waitcnt lgkmcnt(0)
	ds_write_b64 v32, v[10:11] offset:11904
.LBB165_364:
	s_or_b64 exec, exec, s[14:15]
	s_waitcnt lgkmcnt(0)
	s_barrier
	s_and_saveexec_b64 s[14:15], vcc
	s_cbranch_execz .LBB165_366
; %bb.365:
	v_mov_b32_e32 v33, 0
	ds_read_b64 v[10:11], v33 offset:10408
	s_mov_b64 s[16:17], 0x3f800000
	v_mov_b32_e32 v32, s17
	v_mov_b32_e32 v31, s16
	s_movk_i32 s16, 0xa0
	ds_write_b64 v33, v[31:32] offset:10920
	v_add_u32_e64 v33, s16, 0
	s_waitcnt lgkmcnt(1)
	ds_write2st64_b64 v33, v[31:32], v[10:11] offset0:20 offset1:21
.LBB165_366:
	s_or_b64 exec, exec, s[14:15]
	v_mov_b32_e32 v11, 0
	v_mov_b32_e32 v10, 0
	s_waitcnt lgkmcnt(0)
	s_barrier
	s_and_saveexec_b64 s[16:17], s[2:3]
	s_cbranch_execz .LBB165_370
; %bb.367:
	v_mul_u32_u24_e32 v31, 0x208, v14
	ds_read_b64 v[10:11], v12 offset:10416
	ds_read_b64 v[31:32], v31 offset:10400
	v_cmp_gt_u32_e64 s[14:15], 2, v17
	s_waitcnt lgkmcnt(0)
	v_mul_f32_e32 v33, v32, v11
	v_mul_f32_e32 v11, v31, v11
	v_fma_f32 v31, v31, v10, -v33
	v_fmac_f32_e32 v11, v32, v10
	v_add_f32_e32 v10, 0, v31
	v_add_f32_e32 v11, 0, v11
	s_and_saveexec_b64 s[20:21], s[14:15]
	s_cbranch_execz .LBB165_369
; %bb.368:
	v_lshlrev_b32_e32 v31, 3, v0
	v_mov_b32_e32 v33, 0
	ds_read_b64 v[31:32], v31 offset:10928
	ds_read_b64 v[33:34], v33 offset:10408
	s_waitcnt lgkmcnt(0)
	v_mul_f32_e32 v35, v34, v32
	v_mul_f32_e32 v32, v33, v32
	v_fma_f32 v33, v33, v31, -v35
	v_fmac_f32_e32 v32, v34, v31
	v_add_f32_e32 v10, v10, v33
	v_add_f32_e32 v11, v11, v32
.LBB165_369:
	s_or_b64 exec, exec, s[20:21]
	v_xor_b32_e32 v10, 0x80000000, v10
	v_xor_b32_e32 v11, 0x80000000, v11
.LBB165_370:
	s_or_b64 exec, exec, s[16:17]
	s_and_saveexec_b64 s[14:15], s[42:43]
; %bb.371:
	ds_write_b64 v13, v[10:11]
; %bb.372:
	s_or_b64 exec, exec, s[14:15]
	s_waitcnt lgkmcnt(0)
	s_barrier
	s_and_saveexec_b64 s[14:15], s[40:41]
	s_cbranch_execz .LBB165_374
; %bb.373:
	v_mov_b32_e32 v31, 0
	ds_read_b64 v[31:32], v31 offset:11448
	ds_read_b64 v[33:34], v13
	s_waitcnt lgkmcnt(0)
	v_mul_f32_e32 v35, v34, v32
	v_mul_f32_e32 v32, v33, v32
	v_fma_f32 v33, v33, v31, -v35
	v_fmac_f32_e32 v32, v34, v31
	v_add_f32_e32 v10, v10, v33
	v_add_f32_e32 v11, v11, v32
.LBB165_374:
	s_or_b64 exec, exec, s[14:15]
	s_barrier
	s_and_saveexec_b64 s[14:15], s[40:41]
; %bb.375:
	ds_write_b64 v13, v[10:11]
; %bb.376:
	s_or_b64 exec, exec, s[14:15]
	s_waitcnt lgkmcnt(0)
	s_barrier
	s_barrier
	s_and_saveexec_b64 s[14:15], s[2:3]
; %bb.377:
	v_xor_b32_e32 v11, 0x80000000, v11
	v_xor_b32_e32 v10, 0x80000000, v10
	ds_write_b64 v12, v[10:11] offset:10416
; %bb.378:
	s_or_b64 exec, exec, s[14:15]
	s_waitcnt lgkmcnt(0)
	s_barrier
	s_barrier
	s_and_saveexec_b64 s[14:15], s[44:45]
	s_cbranch_execz .LBB165_380
; %bb.379:
	v_lshlrev_b32_e32 v31, 3, v0
	s_movk_i32 s16, 0x1f8
	v_mad_u32_u24 v32, v0, s16, v31
	ds_read_b64 v[10:11], v32 offset:10416
	s_waitcnt lgkmcnt(0)
	ds_write_b64 v31, v[10:11] offset:11424
	ds_read_b64 v[10:11], v32 offset:10424
	s_waitcnt lgkmcnt(0)
	ds_write_b64 v31, v[10:11] offset:11936
.LBB165_380:
	s_or_b64 exec, exec, s[14:15]
	s_waitcnt lgkmcnt(0)
	s_barrier
	s_and_saveexec_b64 s[14:15], vcc
	s_cbranch_execz .LBB165_382
; %bb.381:
	v_mov_b32_e32 v33, 0
	ds_read_b64 v[10:11], v33 offset:11448
	s_mov_b64 s[16:17], 0x3f800000
	v_mov_b32_e32 v32, s17
	v_mov_b32_e32 v31, s16
	s_movk_i32 s16, 0xb0
	ds_write_b64 v33, v[31:32] offset:11960
	v_add_u32_e64 v33, s16, 0
	s_waitcnt lgkmcnt(1)
	ds_write2st64_b64 v33, v[31:32], v[10:11] offset0:22 offset1:23
.LBB165_382:
	s_or_b64 exec, exec, s[14:15]
	v_mov_b32_e32 v11, 0
	v_mov_b32_e32 v10, 0
	s_waitcnt lgkmcnt(0)
	s_barrier
	s_and_saveexec_b64 s[16:17], s[8:9]
	s_cbranch_execz .LBB165_392
; %bb.383:
	v_mul_u32_u24_e32 v31, 0x208, v25
	ds_read_b64 v[10:11], v21 offset:8384
	ds_read_b64 v[32:33], v31 offset:8320
	v_cmp_gt_u32_e64 s[14:15], 56, v17
	s_waitcnt lgkmcnt(0)
	v_mul_f32_e32 v34, v33, v11
	v_mul_f32_e32 v11, v32, v11
	v_fma_f32 v32, v32, v10, -v34
	v_fmac_f32_e32 v11, v33, v10
	v_add_f32_e32 v10, 0, v32
	v_add_f32_e32 v11, 0, v11
	s_and_saveexec_b64 s[20:21], s[14:15]
	s_cbranch_execnz .LBB165_1075
; %bb.384:
	s_or_b64 exec, exec, s[20:21]
	v_cmp_gt_u32_e64 s[14:15], 48, v17
	s_and_saveexec_b64 s[20:21], s[14:15]
	s_cbranch_execnz .LBB165_1076
.LBB165_385:
	s_or_b64 exec, exec, s[20:21]
	v_cmp_gt_u32_e64 s[14:15], 40, v17
	s_and_saveexec_b64 s[20:21], s[14:15]
	s_cbranch_execnz .LBB165_1077
.LBB165_386:
	s_or_b64 exec, exec, s[20:21]
	v_cmp_gt_u32_e64 s[14:15], 32, v17
	s_and_saveexec_b64 s[20:21], s[14:15]
	s_cbranch_execnz .LBB165_1078
.LBB165_387:
	s_or_b64 exec, exec, s[20:21]
	v_cmp_gt_u32_e64 s[14:15], 24, v17
	s_and_saveexec_b64 s[20:21], s[14:15]
	s_cbranch_execnz .LBB165_1079
.LBB165_388:
	s_or_b64 exec, exec, s[20:21]
	v_cmp_gt_u32_e64 s[14:15], 16, v17
	s_and_saveexec_b64 s[20:21], s[14:15]
	s_cbranch_execnz .LBB165_1080
.LBB165_389:
	s_or_b64 exec, exec, s[20:21]
	v_cmp_gt_u32_e64 s[14:15], 8, v17
	s_and_saveexec_b64 s[20:21], s[14:15]
	s_cbranch_execz .LBB165_391
.LBB165_390:
	v_lshlrev_b32_e32 v31, 3, v0
	v_mov_b32_e32 v33, 0
	ds_read_b64 v[31:32], v31 offset:11968
	ds_read_b64 v[33:34], v33 offset:8376
	s_waitcnt lgkmcnt(0)
	v_mul_f32_e32 v35, v34, v32
	v_mul_f32_e32 v32, v33, v32
	v_fma_f32 v33, v33, v31, -v35
	v_fmac_f32_e32 v32, v34, v31
	v_add_f32_e32 v10, v10, v33
	v_add_f32_e32 v11, v11, v32
.LBB165_391:
	s_or_b64 exec, exec, s[20:21]
	v_xor_b32_e32 v10, 0x80000000, v10
	v_xor_b32_e32 v11, 0x80000000, v11
.LBB165_392:
	s_or_b64 exec, exec, s[16:17]
	s_and_saveexec_b64 s[14:15], s[62:63]
; %bb.393:
	ds_write_b64 v23, v[10:11]
; %bb.394:
	s_or_b64 exec, exec, s[14:15]
	s_waitcnt lgkmcnt(0)
	s_barrier
	s_and_saveexec_b64 s[14:15], s[64:65]
	s_cbranch_execz .LBB165_396
; %bb.395:
	ds_read_b64 v[31:32], v22 offset:12480
	ds_read_b64 v[33:34], v23
	s_waitcnt lgkmcnt(0)
	v_mul_f32_e32 v35, v34, v32
	v_mul_f32_e32 v32, v33, v32
	v_fma_f32 v33, v33, v31, -v35
	v_fmac_f32_e32 v32, v34, v31
	v_add_f32_e32 v10, v10, v33
	v_add_f32_e32 v11, v11, v32
.LBB165_396:
	s_or_b64 exec, exec, s[14:15]
	s_barrier
	s_and_saveexec_b64 s[14:15], s[66:67]
; %bb.397:
	ds_write_b64 v23, v[10:11]
; %bb.398:
	s_or_b64 exec, exec, s[14:15]
	s_waitcnt lgkmcnt(0)
	s_barrier
	s_and_saveexec_b64 s[14:15], s[68:69]
	s_cbranch_execz .LBB165_400
; %bb.399:
	ds_read_b64 v[31:32], v22 offset:12992
	ds_read_b64 v[33:34], v23
	s_waitcnt lgkmcnt(0)
	v_mul_f32_e32 v35, v34, v32
	v_mul_f32_e32 v32, v33, v32
	v_fma_f32 v33, v33, v31, -v35
	v_fmac_f32_e32 v32, v34, v31
	v_add_f32_e32 v10, v10, v33
	v_add_f32_e32 v11, v11, v32
.LBB165_400:
	s_or_b64 exec, exec, s[14:15]
	s_barrier
	s_and_saveexec_b64 s[14:15], s[70:71]
; %bb.401:
	ds_write_b64 v23, v[10:11]
; %bb.402:
	s_or_b64 exec, exec, s[14:15]
	s_waitcnt lgkmcnt(0)
	s_barrier
	s_and_saveexec_b64 s[14:15], s[72:73]
	s_cbranch_execz .LBB165_404
; %bb.403:
	ds_read_b64 v[31:32], v22 offset:13504
	ds_read_b64 v[33:34], v23
	s_waitcnt lgkmcnt(0)
	v_mul_f32_e32 v35, v34, v32
	v_mul_f32_e32 v32, v33, v32
	v_fma_f32 v33, v33, v31, -v35
	v_fmac_f32_e32 v32, v34, v31
	v_add_f32_e32 v10, v10, v33
	v_add_f32_e32 v11, v11, v32
.LBB165_404:
	s_or_b64 exec, exec, s[14:15]
	s_barrier
	s_and_saveexec_b64 s[14:15], s[74:75]
; %bb.405:
	ds_write_b64 v23, v[10:11]
; %bb.406:
	s_or_b64 exec, exec, s[14:15]
	s_waitcnt lgkmcnt(0)
	s_barrier
	s_and_saveexec_b64 s[14:15], s[76:77]
	s_cbranch_execz .LBB165_408
; %bb.407:
	ds_read_b64 v[31:32], v22 offset:14016
	ds_read_b64 v[33:34], v23
	s_waitcnt lgkmcnt(0)
	v_mul_f32_e32 v35, v34, v32
	v_mul_f32_e32 v32, v33, v32
	v_fma_f32 v33, v33, v31, -v35
	v_fmac_f32_e32 v32, v34, v31
	v_add_f32_e32 v10, v10, v33
	v_add_f32_e32 v11, v11, v32
.LBB165_408:
	s_or_b64 exec, exec, s[14:15]
	s_barrier
	s_and_saveexec_b64 s[14:15], s[78:79]
; %bb.409:
	ds_write_b64 v23, v[10:11]
; %bb.410:
	s_or_b64 exec, exec, s[14:15]
	s_waitcnt lgkmcnt(0)
	s_barrier
	s_and_saveexec_b64 s[14:15], s[80:81]
	s_cbranch_execz .LBB165_412
; %bb.411:
	ds_read_b64 v[31:32], v22 offset:14528
	ds_read_b64 v[33:34], v23
	s_waitcnt lgkmcnt(0)
	v_mul_f32_e32 v35, v34, v32
	v_mul_f32_e32 v32, v33, v32
	v_fma_f32 v33, v33, v31, -v35
	v_fmac_f32_e32 v32, v34, v31
	v_add_f32_e32 v10, v10, v33
	v_add_f32_e32 v11, v11, v32
.LBB165_412:
	s_or_b64 exec, exec, s[14:15]
	s_barrier
	s_and_saveexec_b64 s[14:15], s[82:83]
; %bb.413:
	ds_write_b64 v23, v[10:11]
; %bb.414:
	s_or_b64 exec, exec, s[14:15]
	s_waitcnt lgkmcnt(0)
	s_barrier
	s_and_saveexec_b64 s[14:15], s[84:85]
	s_cbranch_execz .LBB165_416
; %bb.415:
	ds_read_b64 v[31:32], v22 offset:15040
	ds_read_b64 v[33:34], v23
	s_waitcnt lgkmcnt(0)
	v_mul_f32_e32 v35, v34, v32
	v_mul_f32_e32 v32, v33, v32
	v_fma_f32 v33, v33, v31, -v35
	v_fmac_f32_e32 v32, v34, v31
	v_add_f32_e32 v10, v10, v33
	v_add_f32_e32 v11, v11, v32
.LBB165_416:
	s_or_b64 exec, exec, s[14:15]
	s_barrier
	s_and_saveexec_b64 s[14:15], s[86:87]
; %bb.417:
	ds_write_b64 v23, v[10:11]
; %bb.418:
	s_or_b64 exec, exec, s[14:15]
	s_waitcnt lgkmcnt(0)
	s_barrier
	s_and_saveexec_b64 s[14:15], s[60:61]
	s_cbranch_execz .LBB165_420
; %bb.419:
	v_mov_b32_e32 v31, 0
	ds_read_b64 v[31:32], v31 offset:15608
	ds_read_b64 v[33:34], v23
	s_waitcnt lgkmcnt(0)
	v_mul_f32_e32 v35, v34, v32
	v_mul_f32_e32 v32, v33, v32
	v_fma_f32 v33, v33, v31, -v35
	v_fmac_f32_e32 v32, v34, v31
	v_add_f32_e32 v10, v10, v33
	v_add_f32_e32 v11, v11, v32
.LBB165_420:
	s_or_b64 exec, exec, s[14:15]
	s_barrier
	s_and_saveexec_b64 s[14:15], s[60:61]
; %bb.421:
	ds_write_b64 v23, v[10:11]
; %bb.422:
	s_or_b64 exec, exec, s[14:15]
	s_waitcnt lgkmcnt(0)
	s_barrier
	s_barrier
	s_and_saveexec_b64 s[14:15], s[8:9]
; %bb.423:
	v_xor_b32_e32 v11, 0x80000000, v11
	v_xor_b32_e32 v10, 0x80000000, v10
	ds_write_b64 v21, v[10:11] offset:8384
; %bb.424:
	s_or_b64 exec, exec, s[14:15]
	s_waitcnt lgkmcnt(0)
	s_barrier
	s_barrier
	s_and_saveexec_b64 s[14:15], s[88:89]
	s_cbranch_execz .LBB165_426
; %bb.425:
	v_lshlrev_b32_e32 v31, 9, v0
	ds_read_b64 v[10:11], v31 offset:8384
	s_movk_i32 s16, 0xfe08
	v_mad_i32_i24 v32, v0, s16, v31
	s_waitcnt lgkmcnt(0)
	ds_write_b64 v32, v[10:11] offset:12416
	ds_read_b64 v[10:11], v31 offset:8392
	s_waitcnt lgkmcnt(0)
	ds_write_b64 v32, v[10:11] offset:12928
	ds_read_b64 v[10:11], v31 offset:8400
	;; [unrolled: 3-line block ×7, first 2 shown]
	s_waitcnt lgkmcnt(0)
	ds_write_b64 v32, v[10:11] offset:16000
.LBB165_426:
	s_or_b64 exec, exec, s[14:15]
	s_waitcnt lgkmcnt(0)
	s_barrier
	s_and_saveexec_b64 s[14:15], vcc
	s_cbranch_execz .LBB165_428
; %bb.427:
	v_mov_b32_e32 v33, 0
	ds_read_b64 v[10:11], v33 offset:12488
	s_mov_b64 s[16:17], 0x3f800000
	v_mov_b32_e32 v32, s17
	v_mov_b32_e32 v31, s16
	s_movk_i32 s16, 0xc0
	ds_write_b64 v33, v[31:32] offset:13000
	v_add_u32_e64 v33, s16, 0
	s_waitcnt lgkmcnt(1)
	ds_write2st64_b64 v33, v[31:32], v[10:11] offset0:24 offset1:25
.LBB165_428:
	s_or_b64 exec, exec, s[14:15]
	v_mov_b32_e32 v11, 0
	v_mov_b32_e32 v10, 0
	s_waitcnt lgkmcnt(0)
	s_barrier
	s_and_saveexec_b64 s[16:17], s[2:3]
	s_cbranch_execz .LBB165_432
; %bb.429:
	v_mul_u32_u24_e32 v31, 0x208, v14
	ds_read_b64 v[10:11], v12 offset:12496
	ds_read_b64 v[31:32], v31 offset:12480
	v_cmp_gt_u32_e64 s[14:15], 2, v17
	s_waitcnt lgkmcnt(0)
	v_mul_f32_e32 v33, v32, v11
	v_mul_f32_e32 v11, v31, v11
	v_fma_f32 v31, v31, v10, -v33
	v_fmac_f32_e32 v11, v32, v10
	v_add_f32_e32 v10, 0, v31
	v_add_f32_e32 v11, 0, v11
	s_and_saveexec_b64 s[20:21], s[14:15]
	s_cbranch_execz .LBB165_431
; %bb.430:
	v_lshlrev_b32_e32 v31, 3, v0
	v_mov_b32_e32 v33, 0
	ds_read_b64 v[31:32], v31 offset:13008
	ds_read_b64 v[33:34], v33 offset:12488
	s_waitcnt lgkmcnt(0)
	v_mul_f32_e32 v35, v34, v32
	v_mul_f32_e32 v32, v33, v32
	v_fma_f32 v33, v33, v31, -v35
	v_fmac_f32_e32 v32, v34, v31
	v_add_f32_e32 v10, v10, v33
	v_add_f32_e32 v11, v11, v32
.LBB165_431:
	s_or_b64 exec, exec, s[20:21]
	v_xor_b32_e32 v10, 0x80000000, v10
	v_xor_b32_e32 v11, 0x80000000, v11
.LBB165_432:
	s_or_b64 exec, exec, s[16:17]
	s_and_saveexec_b64 s[14:15], s[42:43]
; %bb.433:
	ds_write_b64 v13, v[10:11]
; %bb.434:
	s_or_b64 exec, exec, s[14:15]
	s_waitcnt lgkmcnt(0)
	s_barrier
	s_and_saveexec_b64 s[14:15], s[40:41]
	s_cbranch_execz .LBB165_436
; %bb.435:
	v_mov_b32_e32 v31, 0
	ds_read_b64 v[31:32], v31 offset:13528
	ds_read_b64 v[33:34], v13
	s_waitcnt lgkmcnt(0)
	v_mul_f32_e32 v35, v34, v32
	v_mul_f32_e32 v32, v33, v32
	v_fma_f32 v33, v33, v31, -v35
	v_fmac_f32_e32 v32, v34, v31
	v_add_f32_e32 v10, v10, v33
	v_add_f32_e32 v11, v11, v32
.LBB165_436:
	s_or_b64 exec, exec, s[14:15]
	s_barrier
	s_and_saveexec_b64 s[14:15], s[40:41]
; %bb.437:
	ds_write_b64 v13, v[10:11]
; %bb.438:
	s_or_b64 exec, exec, s[14:15]
	s_waitcnt lgkmcnt(0)
	s_barrier
	s_barrier
	s_and_saveexec_b64 s[14:15], s[2:3]
; %bb.439:
	v_xor_b32_e32 v11, 0x80000000, v11
	v_xor_b32_e32 v10, 0x80000000, v10
	ds_write_b64 v12, v[10:11] offset:12496
; %bb.440:
	s_or_b64 exec, exec, s[14:15]
	s_waitcnt lgkmcnt(0)
	s_barrier
	s_barrier
	s_and_saveexec_b64 s[14:15], s[44:45]
	s_cbranch_execz .LBB165_442
; %bb.441:
	v_lshlrev_b32_e32 v31, 3, v0
	s_movk_i32 s16, 0x1f8
	v_mad_u32_u24 v32, v0, s16, v31
	ds_read_b64 v[10:11], v32 offset:12496
	s_waitcnt lgkmcnt(0)
	ds_write_b64 v31, v[10:11] offset:13504
	ds_read_b64 v[10:11], v32 offset:12504
	s_waitcnt lgkmcnt(0)
	ds_write_b64 v31, v[10:11] offset:14016
.LBB165_442:
	s_or_b64 exec, exec, s[14:15]
	s_waitcnt lgkmcnt(0)
	s_barrier
	s_and_saveexec_b64 s[14:15], vcc
	s_cbranch_execz .LBB165_444
; %bb.443:
	v_mov_b32_e32 v33, 0
	ds_read_b64 v[10:11], v33 offset:13528
	s_mov_b64 s[16:17], 0x3f800000
	v_mov_b32_e32 v32, s17
	v_mov_b32_e32 v31, s16
	s_movk_i32 s16, 0xd0
	ds_write_b64 v33, v[31:32] offset:14040
	v_add_u32_e64 v33, s16, 0
	s_waitcnt lgkmcnt(1)
	ds_write2st64_b64 v33, v[31:32], v[10:11] offset0:26 offset1:27
.LBB165_444:
	s_or_b64 exec, exec, s[14:15]
	v_mov_b32_e32 v11, 0
	v_mov_b32_e32 v10, 0
	s_waitcnt lgkmcnt(0)
	s_barrier
	s_and_saveexec_b64 s[16:17], s[18:19]
	s_cbranch_execz .LBB165_450
; %bb.445:
	v_mul_u32_u24_e32 v31, 0x208, v20
	ds_read_b64 v[10:11], v15 offset:12512
	ds_read_b64 v[32:33], v31 offset:12480
	v_cmp_gt_u32_e64 s[14:15], 12, v17
	s_waitcnt lgkmcnt(0)
	v_mul_f32_e32 v34, v33, v11
	v_mul_f32_e32 v11, v32, v11
	v_fma_f32 v32, v32, v10, -v34
	v_fmac_f32_e32 v11, v33, v10
	v_add_f32_e32 v10, 0, v32
	v_add_f32_e32 v11, 0, v11
	s_and_saveexec_b64 s[20:21], s[14:15]
	s_cbranch_execnz .LBB165_1081
; %bb.446:
	s_or_b64 exec, exec, s[20:21]
	v_cmp_gt_u32_e64 s[14:15], 8, v17
	s_and_saveexec_b64 s[20:21], s[14:15]
	s_cbranch_execnz .LBB165_1082
.LBB165_447:
	s_or_b64 exec, exec, s[20:21]
	v_cmp_gt_u32_e64 s[14:15], 4, v17
	s_and_saveexec_b64 s[20:21], s[14:15]
	s_cbranch_execz .LBB165_449
.LBB165_448:
	v_lshlrev_b32_e32 v31, 3, v0
	v_mov_b32_e32 v33, 0
	ds_read_b64 v[31:32], v31 offset:14048
	ds_read_b64 v[33:34], v33 offset:12504
	s_waitcnt lgkmcnt(0)
	v_mul_f32_e32 v35, v34, v32
	v_mul_f32_e32 v32, v33, v32
	v_fma_f32 v33, v33, v31, -v35
	v_fmac_f32_e32 v32, v34, v31
	v_add_f32_e32 v10, v10, v33
	v_add_f32_e32 v11, v11, v32
.LBB165_449:
	s_or_b64 exec, exec, s[20:21]
	v_xor_b32_e32 v10, 0x80000000, v10
	v_xor_b32_e32 v11, 0x80000000, v11
.LBB165_450:
	s_or_b64 exec, exec, s[16:17]
	s_and_saveexec_b64 s[14:15], s[48:49]
; %bb.451:
	ds_write_b64 v18, v[10:11]
; %bb.452:
	s_or_b64 exec, exec, s[14:15]
	s_waitcnt lgkmcnt(0)
	s_barrier
	s_and_saveexec_b64 s[14:15], s[50:51]
	s_cbranch_execz .LBB165_454
; %bb.453:
	ds_read_b64 v[31:32], v16 offset:14560
	ds_read_b64 v[33:34], v18
	s_waitcnt lgkmcnt(0)
	v_mul_f32_e32 v35, v34, v32
	v_mul_f32_e32 v32, v33, v32
	v_fma_f32 v33, v33, v31, -v35
	v_fmac_f32_e32 v32, v34, v31
	v_add_f32_e32 v10, v10, v33
	v_add_f32_e32 v11, v11, v32
.LBB165_454:
	s_or_b64 exec, exec, s[14:15]
	s_barrier
	s_and_saveexec_b64 s[14:15], s[52:53]
; %bb.455:
	ds_write_b64 v18, v[10:11]
; %bb.456:
	s_or_b64 exec, exec, s[14:15]
	s_waitcnt lgkmcnt(0)
	s_barrier
	s_and_saveexec_b64 s[14:15], s[54:55]
	s_cbranch_execz .LBB165_458
; %bb.457:
	ds_read_b64 v[31:32], v16 offset:15072
	ds_read_b64 v[33:34], v18
	s_waitcnt lgkmcnt(0)
	v_mul_f32_e32 v35, v34, v32
	v_mul_f32_e32 v32, v33, v32
	v_fma_f32 v33, v33, v31, -v35
	v_fmac_f32_e32 v32, v34, v31
	v_add_f32_e32 v10, v10, v33
	v_add_f32_e32 v11, v11, v32
.LBB165_458:
	s_or_b64 exec, exec, s[14:15]
	s_barrier
	s_and_saveexec_b64 s[14:15], s[56:57]
; %bb.459:
	ds_write_b64 v18, v[10:11]
; %bb.460:
	s_or_b64 exec, exec, s[14:15]
	s_waitcnt lgkmcnt(0)
	s_barrier
	s_and_saveexec_b64 s[14:15], s[46:47]
	s_cbranch_execz .LBB165_462
; %bb.461:
	v_mov_b32_e32 v31, 0
	ds_read_b64 v[31:32], v31 offset:15608
	ds_read_b64 v[33:34], v18
	s_waitcnt lgkmcnt(0)
	v_mul_f32_e32 v35, v34, v32
	v_mul_f32_e32 v32, v33, v32
	v_fma_f32 v33, v33, v31, -v35
	v_fmac_f32_e32 v32, v34, v31
	v_add_f32_e32 v10, v10, v33
	v_add_f32_e32 v11, v11, v32
.LBB165_462:
	s_or_b64 exec, exec, s[14:15]
	s_barrier
	s_and_saveexec_b64 s[14:15], s[46:47]
; %bb.463:
	ds_write_b64 v18, v[10:11]
; %bb.464:
	s_or_b64 exec, exec, s[14:15]
	s_waitcnt lgkmcnt(0)
	s_barrier
	s_barrier
	s_and_saveexec_b64 s[14:15], s[18:19]
; %bb.465:
	v_xor_b32_e32 v10, 0x80000000, v10
	v_xor_b32_e32 v11, 0x80000000, v11
	ds_write_b64 v15, v[10:11] offset:12512
; %bb.466:
	s_or_b64 exec, exec, s[14:15]
	s_waitcnt lgkmcnt(0)
	s_barrier
	s_barrier
	s_and_saveexec_b64 s[14:15], s[58:59]
	s_cbranch_execz .LBB165_468
; %bb.467:
	v_lshlrev_b32_e32 v31, 9, v0
	ds_read_b64 v[10:11], v31 offset:12512
	s_movk_i32 s16, 0xfe08
	v_mad_i32_i24 v32, v0, s16, v31
	s_waitcnt lgkmcnt(0)
	ds_write_b64 v32, v[10:11] offset:14528
	ds_read_b64 v[10:11], v31 offset:12520
	s_waitcnt lgkmcnt(0)
	ds_write_b64 v32, v[10:11] offset:15040
	ds_read_b64 v[10:11], v31 offset:12528
	;; [unrolled: 3-line block ×3, first 2 shown]
	s_waitcnt lgkmcnt(0)
	ds_write_b64 v32, v[10:11] offset:16064
.LBB165_468:
	s_or_b64 exec, exec, s[14:15]
	s_waitcnt lgkmcnt(0)
	s_barrier
	s_and_saveexec_b64 s[14:15], vcc
	s_cbranch_execz .LBB165_470
; %bb.469:
	v_mov_b32_e32 v33, 0
	ds_read_b64 v[10:11], v33 offset:14568
	s_mov_b64 s[16:17], 0x3f800000
	v_mov_b32_e32 v32, s17
	v_mov_b32_e32 v31, s16
	s_movk_i32 s16, 0xe0
	ds_write_b64 v33, v[31:32] offset:15080
	v_add_u32_e64 v33, s16, 0
	s_waitcnt lgkmcnt(1)
	ds_write2st64_b64 v33, v[31:32], v[10:11] offset0:28 offset1:29
.LBB165_470:
	s_or_b64 exec, exec, s[14:15]
	v_mov_b32_e32 v11, 0
	v_mov_b32_e32 v10, 0
	s_waitcnt lgkmcnt(0)
	s_barrier
	s_and_saveexec_b64 s[16:17], s[2:3]
	s_cbranch_execz .LBB165_474
; %bb.471:
	v_mul_u32_u24_e32 v31, 0x208, v14
	ds_read_b64 v[10:11], v12 offset:14576
	ds_read_b64 v[31:32], v31 offset:14560
	v_cmp_gt_u32_e64 s[14:15], 2, v17
	s_waitcnt lgkmcnt(0)
	v_mul_f32_e32 v33, v32, v11
	v_mul_f32_e32 v11, v31, v11
	v_fma_f32 v31, v31, v10, -v33
	v_fmac_f32_e32 v11, v32, v10
	v_add_f32_e32 v10, 0, v31
	v_add_f32_e32 v11, 0, v11
	s_and_saveexec_b64 s[20:21], s[14:15]
	s_cbranch_execz .LBB165_473
; %bb.472:
	v_lshlrev_b32_e32 v31, 3, v0
	v_mov_b32_e32 v33, 0
	ds_read_b64 v[31:32], v31 offset:15088
	ds_read_b64 v[33:34], v33 offset:14568
	s_waitcnt lgkmcnt(0)
	v_mul_f32_e32 v35, v34, v32
	v_mul_f32_e32 v32, v33, v32
	v_fma_f32 v33, v33, v31, -v35
	v_fmac_f32_e32 v32, v34, v31
	v_add_f32_e32 v10, v10, v33
	v_add_f32_e32 v11, v11, v32
.LBB165_473:
	s_or_b64 exec, exec, s[20:21]
	v_xor_b32_e32 v10, 0x80000000, v10
	v_xor_b32_e32 v11, 0x80000000, v11
.LBB165_474:
	s_or_b64 exec, exec, s[16:17]
	s_and_saveexec_b64 s[14:15], s[42:43]
; %bb.475:
	ds_write_b64 v13, v[10:11]
; %bb.476:
	s_or_b64 exec, exec, s[14:15]
	s_waitcnt lgkmcnt(0)
	s_barrier
	s_and_saveexec_b64 s[14:15], s[40:41]
	s_cbranch_execz .LBB165_478
; %bb.477:
	v_mov_b32_e32 v31, 0
	ds_read_b64 v[31:32], v31 offset:15608
	ds_read_b64 v[33:34], v13
	s_waitcnt lgkmcnt(0)
	v_mul_f32_e32 v35, v34, v32
	v_mul_f32_e32 v32, v33, v32
	v_fma_f32 v33, v33, v31, -v35
	v_fmac_f32_e32 v32, v34, v31
	v_add_f32_e32 v10, v10, v33
	v_add_f32_e32 v11, v11, v32
.LBB165_478:
	s_or_b64 exec, exec, s[14:15]
	s_barrier
	s_and_saveexec_b64 s[14:15], s[40:41]
; %bb.479:
	ds_write_b64 v13, v[10:11]
; %bb.480:
	s_or_b64 exec, exec, s[14:15]
	s_waitcnt lgkmcnt(0)
	s_barrier
	s_barrier
	s_and_saveexec_b64 s[14:15], s[2:3]
; %bb.481:
	v_xor_b32_e32 v11, 0x80000000, v11
	v_xor_b32_e32 v10, 0x80000000, v10
	ds_write_b64 v12, v[10:11] offset:14576
; %bb.482:
	s_or_b64 exec, exec, s[14:15]
	s_waitcnt lgkmcnt(0)
	s_barrier
	s_barrier
	s_and_saveexec_b64 s[14:15], s[44:45]
	s_cbranch_execz .LBB165_484
; %bb.483:
	v_lshlrev_b32_e32 v31, 3, v0
	s_movk_i32 s16, 0x1f8
	v_mad_u32_u24 v32, v0, s16, v31
	ds_read_b64 v[10:11], v32 offset:14576
	s_waitcnt lgkmcnt(0)
	ds_write_b64 v31, v[10:11] offset:15584
	ds_read_b64 v[10:11], v32 offset:14584
	s_waitcnt lgkmcnt(0)
	ds_write_b64 v31, v[10:11] offset:16096
.LBB165_484:
	s_or_b64 exec, exec, s[14:15]
	s_waitcnt lgkmcnt(0)
	s_barrier
	s_and_saveexec_b64 s[14:15], vcc
	s_cbranch_execz .LBB165_486
; %bb.485:
	v_mov_b32_e32 v33, 0
	ds_read_b64 v[10:11], v33 offset:15608
	s_mov_b64 s[16:17], 0x3f800000
	v_mov_b32_e32 v32, s17
	v_mov_b32_e32 v31, s16
	s_movk_i32 s16, 0xf0
	ds_write_b64 v33, v[31:32] offset:16120
	v_add_u32_e64 v33, s16, 0
	s_waitcnt lgkmcnt(1)
	ds_write2st64_b64 v33, v[31:32], v[10:11] offset0:30 offset1:31
.LBB165_486:
	s_or_b64 exec, exec, s[14:15]
	s_movk_i32 s14, 0x3ff
	v_lshrrev_b32_e32 v33, 5, v17
	v_cmp_lt_u32_e64 s[16:17], s14, v17
	s_movk_i32 s14, 0x400
	v_mov_b32_e32 v11, 0
	v_and_b32_e32 v31, 31, v0
	v_cmp_gt_u32_e64 s[14:15], s14, v17
	v_lshlrev_b32_e32 v32, 9, v33
	v_mov_b32_e32 v10, v11
	s_waitcnt lgkmcnt(0)
	s_barrier
	s_and_saveexec_b64 s[92:93], s[14:15]
	s_cbranch_execz .LBB165_548
; %bb.487:
	v_lshlrev_b32_e32 v34, 3, v31
	v_add_u32_e32 v36, v34, v32
	v_mul_u32_u24_e32 v35, 0x208, v33
	ds_read_b64 v[10:11], v36 offset:256
	ds_read_b64 v[37:38], v35
	s_movk_i32 s20, 0x3e0
	v_cmp_gt_u32_e64 s[20:21], s20, v17
	s_waitcnt lgkmcnt(0)
	v_mul_f32_e32 v39, v38, v11
	v_mul_f32_e32 v11, v37, v11
	v_fma_f32 v37, v37, v10, -v39
	v_fmac_f32_e32 v11, v38, v10
	v_add_f32_e32 v10, 0, v37
	v_add_f32_e32 v11, 0, v11
	s_and_saveexec_b64 s[22:23], s[20:21]
	s_cbranch_execz .LBB165_489
; %bb.488:
	ds_read_b64 v[37:38], v36 offset:768
	ds_read_b64 v[39:40], v35 offset:8
	s_waitcnt lgkmcnt(0)
	v_mul_f32_e32 v41, v40, v38
	v_mul_f32_e32 v38, v39, v38
	v_fma_f32 v39, v39, v37, -v41
	v_fmac_f32_e32 v38, v40, v37
	v_add_f32_e32 v10, v10, v39
	v_add_f32_e32 v11, v11, v38
.LBB165_489:
	s_or_b64 exec, exec, s[22:23]
	s_movk_i32 s20, 0x3c0
	v_cmp_gt_u32_e64 s[20:21], s20, v17
	s_and_saveexec_b64 s[22:23], s[20:21]
	s_cbranch_execz .LBB165_491
; %bb.490:
	ds_read_b64 v[37:38], v36 offset:1280
	ds_read_b64 v[39:40], v35 offset:16
	s_waitcnt lgkmcnt(0)
	v_mul_f32_e32 v41, v40, v38
	v_mul_f32_e32 v38, v39, v38
	v_fma_f32 v39, v39, v37, -v41
	v_fmac_f32_e32 v38, v40, v37
	v_add_f32_e32 v10, v10, v39
	v_add_f32_e32 v11, v11, v38
.LBB165_491:
	s_or_b64 exec, exec, s[22:23]
	s_movk_i32 s20, 0x3a0
	v_cmp_gt_u32_e64 s[20:21], s20, v17
	;; [unrolled: 16-line block ×28, first 2 shown]
	s_and_saveexec_b64 s[22:23], s[20:21]
	s_cbranch_execnz .LBB165_1083
; %bb.544:
	s_or_b64 exec, exec, s[22:23]
	v_cmp_gt_u32_e64 s[20:21], 64, v17
	s_and_saveexec_b64 s[22:23], s[20:21]
	s_cbranch_execnz .LBB165_1084
.LBB165_545:
	s_or_b64 exec, exec, s[22:23]
	v_cmp_gt_u32_e64 s[20:21], 32, v17
	s_and_saveexec_b64 s[22:23], s[20:21]
	s_cbranch_execz .LBB165_547
.LBB165_546:
	ds_read_b64 v[36:37], v34 offset:16128
	ds_read_b64 v[34:35], v35 offset:248
	s_waitcnt lgkmcnt(0)
	v_mul_f32_e32 v38, v35, v37
	v_mul_f32_e32 v37, v34, v37
	v_fma_f32 v34, v34, v36, -v38
	v_fmac_f32_e32 v37, v35, v36
	v_add_f32_e32 v10, v10, v34
	v_add_f32_e32 v11, v11, v37
.LBB165_547:
	s_or_b64 exec, exec, s[22:23]
	v_xor_b32_e32 v10, 0x80000000, v10
	v_xor_b32_e32 v11, 0x80000000, v11
.LBB165_548:
	s_or_b64 exec, exec, s[92:93]
	v_mov_b32_e32 v34, 0x8000
	v_lshl_or_b32 v33, v33, 3, v34
	v_mov_b32_e32 v34, 0x4100
	v_lshl_or_b32 v34, v31, 3, v34
	s_mov_b32 s22, 0
	s_xor_b64 s[20:21], s[16:17], -1
	v_mov_b32_e32 v35, v31
	s_branch .LBB165_550
.LBB165_549:                            ;   in Loop: Header=BB165_550 Depth=1
	s_or_b64 exec, exec, s[16:17]
	s_add_i32 s22, s22, 2
	v_add_u32_e32 v34, 0x400, v34
	s_cmp_eq_u32 s22, 32
	v_add_u32_e32 v35, -2, v35
	s_barrier
	s_cbranch_scc1 .LBB165_558
.LBB165_550:                            ; =>This Inner Loop Header: Depth=1
	v_cmp_eq_u32_e64 s[16:17], 0, v35
	s_and_b64 s[92:93], s[20:21], s[16:17]
	s_and_saveexec_b64 s[16:17], s[92:93]
; %bb.551:                              ;   in Loop: Header=BB165_550 Depth=1
	ds_write_b64 v33, v[10:11]
; %bb.552:                              ;   in Loop: Header=BB165_550 Depth=1
	s_or_b64 exec, exec, s[16:17]
	v_cmp_lt_u32_e64 s[16:17], s22, v31
	s_and_b64 s[92:93], s[20:21], s[16:17]
	s_waitcnt lgkmcnt(0)
	s_barrier
	s_and_saveexec_b64 s[16:17], s[92:93]
	s_cbranch_execz .LBB165_554
; %bb.553:                              ;   in Loop: Header=BB165_550 Depth=1
	ds_read_b64 v[36:37], v34
	ds_read_b64 v[38:39], v33
	s_waitcnt lgkmcnt(0)
	v_mul_f32_e32 v40, v39, v37
	v_mul_f32_e32 v37, v38, v37
	v_fma_f32 v38, v38, v36, -v40
	v_fmac_f32_e32 v37, v39, v36
	v_add_f32_e32 v10, v10, v38
	v_add_f32_e32 v11, v11, v37
.LBB165_554:                            ;   in Loop: Header=BB165_550 Depth=1
	s_or_b64 exec, exec, s[16:17]
	s_or_b32 s23, s22, 1
	v_cmp_eq_u32_e64 s[16:17], s23, v31
	s_and_b64 s[92:93], s[20:21], s[16:17]
	s_barrier
	s_and_saveexec_b64 s[16:17], s[92:93]
; %bb.555:                              ;   in Loop: Header=BB165_550 Depth=1
	ds_write_b64 v33, v[10:11]
; %bb.556:                              ;   in Loop: Header=BB165_550 Depth=1
	s_or_b64 exec, exec, s[16:17]
	v_cmp_lt_u32_e64 s[16:17], s23, v31
	s_and_b64 s[92:93], s[20:21], s[16:17]
	s_waitcnt lgkmcnt(0)
	s_barrier
	s_and_saveexec_b64 s[16:17], s[92:93]
	s_cbranch_execz .LBB165_549
; %bb.557:                              ;   in Loop: Header=BB165_550 Depth=1
	ds_read_b64 v[36:37], v34 offset:512
	ds_read_b64 v[38:39], v33
	s_waitcnt lgkmcnt(0)
	v_mul_f32_e32 v40, v39, v37
	v_mul_f32_e32 v37, v38, v37
	v_fma_f32 v38, v38, v36, -v40
	v_fmac_f32_e32 v37, v39, v36
	v_add_f32_e32 v10, v10, v38
	v_add_f32_e32 v11, v11, v37
	s_branch .LBB165_549
.LBB165_558:
	s_and_saveexec_b64 s[16:17], s[14:15]
; %bb.559:
	v_lshl_add_u32 v31, v31, 3, v32
	v_xor_b32_e32 v11, 0x80000000, v11
	v_xor_b32_e32 v10, 0x80000000, v10
	ds_write_b64 v31, v[10:11] offset:256
; %bb.560:
	s_or_b64 exec, exec, s[16:17]
	v_cmp_gt_u32_e64 s[14:15], 32, v0
	s_and_b64 s[14:15], s[12:13], s[14:15]
	s_waitcnt lgkmcnt(0)
	s_barrier
	s_barrier
	s_and_saveexec_b64 s[12:13], s[14:15]
	s_cbranch_execz .LBB165_562
; %bb.561:
	v_lshlrev_b32_e32 v31, 9, v0
	ds_read_b64 v[10:11], v31 offset:256
	s_movk_i32 s14, 0xfe08
	v_mad_i32_i24 v32, v0, s14, v31
	s_waitcnt lgkmcnt(0)
	ds_write_b64 v32, v[10:11] offset:16384
	ds_read_b64 v[10:11], v31 offset:264
	s_waitcnt lgkmcnt(0)
	ds_write_b64 v32, v[10:11] offset:16896
	ds_read_b64 v[10:11], v31 offset:272
	;; [unrolled: 3-line block ×31, first 2 shown]
	s_waitcnt lgkmcnt(0)
	ds_write_b64 v32, v[10:11] offset:32256
.LBB165_562:
	s_or_b64 exec, exec, s[12:13]
	s_waitcnt lgkmcnt(0)
	s_barrier
	s_and_saveexec_b64 s[12:13], vcc
	s_cbranch_execz .LBB165_564
; %bb.563:
	v_mov_b32_e32 v33, 0
	ds_read_b64 v[10:11], v33 offset:16648
	s_mov_b64 s[14:15], 0x3f800000
	v_mov_b32_e32 v32, s15
	v_mov_b32_e32 v31, s14
	s_movk_i32 s14, 0x100
	ds_write_b64 v33, v[31:32] offset:17160
	v_add_u32_e64 v33, s14, 0
	s_waitcnt lgkmcnt(1)
	ds_write2st64_b64 v33, v[31:32], v[10:11] offset0:32 offset1:33
.LBB165_564:
	s_or_b64 exec, exec, s[12:13]
	v_mov_b32_e32 v11, 0
	v_mov_b32_e32 v10, 0
	s_waitcnt lgkmcnt(0)
	s_barrier
	s_and_saveexec_b64 s[14:15], s[2:3]
	s_cbranch_execz .LBB165_568
; %bb.565:
	v_mul_u32_u24_e32 v31, 0x208, v14
	ds_read_b64 v[10:11], v12 offset:16656
	ds_read_b64 v[31:32], v31 offset:16640
	v_cmp_gt_u32_e64 s[12:13], 2, v17
	s_waitcnt lgkmcnt(0)
	v_mul_f32_e32 v33, v32, v11
	v_mul_f32_e32 v11, v31, v11
	v_fma_f32 v31, v31, v10, -v33
	v_fmac_f32_e32 v11, v32, v10
	v_add_f32_e32 v10, 0, v31
	v_add_f32_e32 v11, 0, v11
	s_and_saveexec_b64 s[16:17], s[12:13]
	s_cbranch_execz .LBB165_567
; %bb.566:
	v_lshlrev_b32_e32 v31, 3, v0
	v_mov_b32_e32 v33, 0
	ds_read_b64 v[31:32], v31 offset:17168
	ds_read_b64 v[33:34], v33 offset:16648
	s_waitcnt lgkmcnt(0)
	v_mul_f32_e32 v35, v34, v32
	v_mul_f32_e32 v32, v33, v32
	v_fma_f32 v33, v33, v31, -v35
	v_fmac_f32_e32 v32, v34, v31
	v_add_f32_e32 v10, v10, v33
	v_add_f32_e32 v11, v11, v32
.LBB165_567:
	s_or_b64 exec, exec, s[16:17]
	v_xor_b32_e32 v10, 0x80000000, v10
	v_xor_b32_e32 v11, 0x80000000, v11
.LBB165_568:
	s_or_b64 exec, exec, s[14:15]
	s_and_saveexec_b64 s[12:13], s[42:43]
; %bb.569:
	ds_write_b64 v13, v[10:11]
; %bb.570:
	s_or_b64 exec, exec, s[12:13]
	s_waitcnt lgkmcnt(0)
	s_barrier
	s_and_saveexec_b64 s[12:13], s[40:41]
	s_cbranch_execz .LBB165_572
; %bb.571:
	v_mov_b32_e32 v31, 0
	ds_read_b64 v[31:32], v31 offset:17688
	ds_read_b64 v[33:34], v13
	s_waitcnt lgkmcnt(0)
	v_mul_f32_e32 v35, v34, v32
	v_mul_f32_e32 v32, v33, v32
	v_fma_f32 v33, v33, v31, -v35
	v_fmac_f32_e32 v32, v34, v31
	v_add_f32_e32 v10, v10, v33
	v_add_f32_e32 v11, v11, v32
.LBB165_572:
	s_or_b64 exec, exec, s[12:13]
	s_barrier
	s_and_saveexec_b64 s[12:13], s[40:41]
; %bb.573:
	ds_write_b64 v13, v[10:11]
; %bb.574:
	s_or_b64 exec, exec, s[12:13]
	s_waitcnt lgkmcnt(0)
	s_barrier
	s_barrier
	s_and_saveexec_b64 s[12:13], s[2:3]
; %bb.575:
	v_xor_b32_e32 v11, 0x80000000, v11
	v_xor_b32_e32 v10, 0x80000000, v10
	ds_write_b64 v12, v[10:11] offset:16656
; %bb.576:
	s_or_b64 exec, exec, s[12:13]
	s_waitcnt lgkmcnt(0)
	s_barrier
	s_barrier
	s_and_saveexec_b64 s[12:13], s[44:45]
	s_cbranch_execz .LBB165_578
; %bb.577:
	v_lshlrev_b32_e32 v31, 3, v0
	s_movk_i32 s14, 0x1f8
	v_mad_u32_u24 v32, v0, s14, v31
	ds_read_b64 v[10:11], v32 offset:16656
	s_waitcnt lgkmcnt(0)
	ds_write_b64 v31, v[10:11] offset:17664
	ds_read_b64 v[10:11], v32 offset:16664
	s_waitcnt lgkmcnt(0)
	ds_write_b64 v31, v[10:11] offset:18176
.LBB165_578:
	s_or_b64 exec, exec, s[12:13]
	s_waitcnt lgkmcnt(0)
	s_barrier
	s_and_saveexec_b64 s[12:13], vcc
	s_cbranch_execz .LBB165_580
; %bb.579:
	v_mov_b32_e32 v33, 0
	ds_read_b64 v[10:11], v33 offset:17688
	s_mov_b64 s[14:15], 0x3f800000
	v_mov_b32_e32 v32, s15
	v_mov_b32_e32 v31, s14
	s_movk_i32 s14, 0x110
	ds_write_b64 v33, v[31:32] offset:18200
	v_add_u32_e64 v33, s14, 0
	s_waitcnt lgkmcnt(1)
	ds_write2st64_b64 v33, v[31:32], v[10:11] offset0:34 offset1:35
.LBB165_580:
	s_or_b64 exec, exec, s[12:13]
	v_mov_b32_e32 v11, 0
	v_mov_b32_e32 v10, 0
	s_waitcnt lgkmcnt(0)
	s_barrier
	s_and_saveexec_b64 s[14:15], s[18:19]
	s_cbranch_execz .LBB165_586
; %bb.581:
	v_mul_u32_u24_e32 v31, 0x208, v20
	ds_read_b64 v[10:11], v15 offset:16672
	ds_read_b64 v[32:33], v31 offset:16640
	v_cmp_gt_u32_e64 s[12:13], 12, v17
	s_waitcnt lgkmcnt(0)
	v_mul_f32_e32 v34, v33, v11
	v_mul_f32_e32 v11, v32, v11
	v_fma_f32 v32, v32, v10, -v34
	v_fmac_f32_e32 v11, v33, v10
	v_add_f32_e32 v10, 0, v32
	v_add_f32_e32 v11, 0, v11
	s_and_saveexec_b64 s[16:17], s[12:13]
	s_cbranch_execnz .LBB165_1085
; %bb.582:
	s_or_b64 exec, exec, s[16:17]
	v_cmp_gt_u32_e64 s[12:13], 8, v17
	s_and_saveexec_b64 s[16:17], s[12:13]
	s_cbranch_execnz .LBB165_1086
.LBB165_583:
	s_or_b64 exec, exec, s[16:17]
	v_cmp_gt_u32_e64 s[12:13], 4, v17
	s_and_saveexec_b64 s[16:17], s[12:13]
	s_cbranch_execz .LBB165_585
.LBB165_584:
	v_lshlrev_b32_e32 v31, 3, v0
	v_mov_b32_e32 v33, 0
	ds_read_b64 v[31:32], v31 offset:18208
	ds_read_b64 v[33:34], v33 offset:16664
	s_waitcnt lgkmcnt(0)
	v_mul_f32_e32 v35, v34, v32
	v_mul_f32_e32 v32, v33, v32
	v_fma_f32 v33, v33, v31, -v35
	v_fmac_f32_e32 v32, v34, v31
	v_add_f32_e32 v10, v10, v33
	v_add_f32_e32 v11, v11, v32
.LBB165_585:
	s_or_b64 exec, exec, s[16:17]
	v_xor_b32_e32 v10, 0x80000000, v10
	v_xor_b32_e32 v11, 0x80000000, v11
.LBB165_586:
	s_or_b64 exec, exec, s[14:15]
	s_and_saveexec_b64 s[12:13], s[48:49]
; %bb.587:
	ds_write_b64 v18, v[10:11]
; %bb.588:
	s_or_b64 exec, exec, s[12:13]
	s_waitcnt lgkmcnt(0)
	s_barrier
	s_and_saveexec_b64 s[12:13], s[50:51]
	s_cbranch_execz .LBB165_590
; %bb.589:
	ds_read_b64 v[31:32], v16 offset:18720
	ds_read_b64 v[33:34], v18
	s_waitcnt lgkmcnt(0)
	v_mul_f32_e32 v35, v34, v32
	v_mul_f32_e32 v32, v33, v32
	v_fma_f32 v33, v33, v31, -v35
	v_fmac_f32_e32 v32, v34, v31
	v_add_f32_e32 v10, v10, v33
	v_add_f32_e32 v11, v11, v32
.LBB165_590:
	s_or_b64 exec, exec, s[12:13]
	s_barrier
	s_and_saveexec_b64 s[12:13], s[52:53]
; %bb.591:
	ds_write_b64 v18, v[10:11]
; %bb.592:
	s_or_b64 exec, exec, s[12:13]
	s_waitcnt lgkmcnt(0)
	s_barrier
	s_and_saveexec_b64 s[12:13], s[54:55]
	s_cbranch_execz .LBB165_594
; %bb.593:
	ds_read_b64 v[31:32], v16 offset:19232
	ds_read_b64 v[33:34], v18
	s_waitcnt lgkmcnt(0)
	v_mul_f32_e32 v35, v34, v32
	v_mul_f32_e32 v32, v33, v32
	v_fma_f32 v33, v33, v31, -v35
	v_fmac_f32_e32 v32, v34, v31
	v_add_f32_e32 v10, v10, v33
	v_add_f32_e32 v11, v11, v32
.LBB165_594:
	s_or_b64 exec, exec, s[12:13]
	s_barrier
	s_and_saveexec_b64 s[12:13], s[56:57]
; %bb.595:
	ds_write_b64 v18, v[10:11]
; %bb.596:
	s_or_b64 exec, exec, s[12:13]
	s_waitcnt lgkmcnt(0)
	s_barrier
	s_and_saveexec_b64 s[12:13], s[46:47]
	s_cbranch_execz .LBB165_598
; %bb.597:
	v_mov_b32_e32 v31, 0
	ds_read_b64 v[31:32], v31 offset:19768
	ds_read_b64 v[33:34], v18
	s_waitcnt lgkmcnt(0)
	v_mul_f32_e32 v35, v34, v32
	v_mul_f32_e32 v32, v33, v32
	v_fma_f32 v33, v33, v31, -v35
	v_fmac_f32_e32 v32, v34, v31
	v_add_f32_e32 v10, v10, v33
	v_add_f32_e32 v11, v11, v32
.LBB165_598:
	s_or_b64 exec, exec, s[12:13]
	s_barrier
	s_and_saveexec_b64 s[12:13], s[46:47]
; %bb.599:
	ds_write_b64 v18, v[10:11]
; %bb.600:
	s_or_b64 exec, exec, s[12:13]
	s_waitcnt lgkmcnt(0)
	s_barrier
	s_barrier
	s_and_saveexec_b64 s[12:13], s[18:19]
; %bb.601:
	v_xor_b32_e32 v10, 0x80000000, v10
	v_xor_b32_e32 v11, 0x80000000, v11
	ds_write_b64 v15, v[10:11] offset:16672
; %bb.602:
	s_or_b64 exec, exec, s[12:13]
	s_waitcnt lgkmcnt(0)
	s_barrier
	s_barrier
	s_and_saveexec_b64 s[12:13], s[58:59]
	s_cbranch_execz .LBB165_604
; %bb.603:
	v_lshlrev_b32_e32 v31, 9, v0
	ds_read_b64 v[10:11], v31 offset:16672
	s_movk_i32 s14, 0xfe08
	v_mad_i32_i24 v32, v0, s14, v31
	s_waitcnt lgkmcnt(0)
	ds_write_b64 v32, v[10:11] offset:18688
	ds_read_b64 v[10:11], v31 offset:16680
	s_waitcnt lgkmcnt(0)
	ds_write_b64 v32, v[10:11] offset:19200
	ds_read_b64 v[10:11], v31 offset:16688
	;; [unrolled: 3-line block ×3, first 2 shown]
	s_waitcnt lgkmcnt(0)
	ds_write_b64 v32, v[10:11] offset:20224
.LBB165_604:
	s_or_b64 exec, exec, s[12:13]
	s_waitcnt lgkmcnt(0)
	s_barrier
	s_and_saveexec_b64 s[12:13], vcc
	s_cbranch_execz .LBB165_606
; %bb.605:
	v_mov_b32_e32 v33, 0
	ds_read_b64 v[10:11], v33 offset:18728
	s_mov_b64 s[14:15], 0x3f800000
	v_mov_b32_e32 v32, s15
	v_mov_b32_e32 v31, s14
	s_movk_i32 s14, 0x120
	ds_write_b64 v33, v[31:32] offset:19240
	v_add_u32_e64 v33, s14, 0
	s_waitcnt lgkmcnt(1)
	ds_write2st64_b64 v33, v[31:32], v[10:11] offset0:36 offset1:37
.LBB165_606:
	s_or_b64 exec, exec, s[12:13]
	v_mov_b32_e32 v11, 0
	v_mov_b32_e32 v10, 0
	s_waitcnt lgkmcnt(0)
	s_barrier
	s_and_saveexec_b64 s[14:15], s[2:3]
	s_cbranch_execz .LBB165_610
; %bb.607:
	v_mul_u32_u24_e32 v31, 0x208, v14
	ds_read_b64 v[10:11], v12 offset:18736
	ds_read_b64 v[31:32], v31 offset:18720
	v_cmp_gt_u32_e64 s[12:13], 2, v17
	s_waitcnt lgkmcnt(0)
	v_mul_f32_e32 v33, v32, v11
	v_mul_f32_e32 v11, v31, v11
	v_fma_f32 v31, v31, v10, -v33
	v_fmac_f32_e32 v11, v32, v10
	v_add_f32_e32 v10, 0, v31
	v_add_f32_e32 v11, 0, v11
	s_and_saveexec_b64 s[16:17], s[12:13]
	s_cbranch_execz .LBB165_609
; %bb.608:
	v_lshlrev_b32_e32 v31, 3, v0
	v_mov_b32_e32 v33, 0
	ds_read_b64 v[31:32], v31 offset:19248
	ds_read_b64 v[33:34], v33 offset:18728
	s_waitcnt lgkmcnt(0)
	v_mul_f32_e32 v35, v34, v32
	v_mul_f32_e32 v32, v33, v32
	v_fma_f32 v33, v33, v31, -v35
	v_fmac_f32_e32 v32, v34, v31
	v_add_f32_e32 v10, v10, v33
	v_add_f32_e32 v11, v11, v32
.LBB165_609:
	s_or_b64 exec, exec, s[16:17]
	v_xor_b32_e32 v10, 0x80000000, v10
	v_xor_b32_e32 v11, 0x80000000, v11
.LBB165_610:
	s_or_b64 exec, exec, s[14:15]
	s_and_saveexec_b64 s[12:13], s[42:43]
; %bb.611:
	ds_write_b64 v13, v[10:11]
; %bb.612:
	s_or_b64 exec, exec, s[12:13]
	s_waitcnt lgkmcnt(0)
	s_barrier
	s_and_saveexec_b64 s[12:13], s[40:41]
	s_cbranch_execz .LBB165_614
; %bb.613:
	v_mov_b32_e32 v31, 0
	ds_read_b64 v[31:32], v31 offset:19768
	ds_read_b64 v[33:34], v13
	s_waitcnt lgkmcnt(0)
	v_mul_f32_e32 v35, v34, v32
	v_mul_f32_e32 v32, v33, v32
	v_fma_f32 v33, v33, v31, -v35
	v_fmac_f32_e32 v32, v34, v31
	v_add_f32_e32 v10, v10, v33
	v_add_f32_e32 v11, v11, v32
.LBB165_614:
	s_or_b64 exec, exec, s[12:13]
	s_barrier
	s_and_saveexec_b64 s[12:13], s[40:41]
; %bb.615:
	ds_write_b64 v13, v[10:11]
; %bb.616:
	s_or_b64 exec, exec, s[12:13]
	s_waitcnt lgkmcnt(0)
	s_barrier
	s_barrier
	s_and_saveexec_b64 s[12:13], s[2:3]
; %bb.617:
	v_xor_b32_e32 v11, 0x80000000, v11
	v_xor_b32_e32 v10, 0x80000000, v10
	ds_write_b64 v12, v[10:11] offset:18736
; %bb.618:
	s_or_b64 exec, exec, s[12:13]
	s_waitcnt lgkmcnt(0)
	s_barrier
	s_barrier
	s_and_saveexec_b64 s[12:13], s[44:45]
	s_cbranch_execz .LBB165_620
; %bb.619:
	v_lshlrev_b32_e32 v31, 3, v0
	s_movk_i32 s14, 0x1f8
	v_mad_u32_u24 v32, v0, s14, v31
	ds_read_b64 v[10:11], v32 offset:18736
	s_waitcnt lgkmcnt(0)
	ds_write_b64 v31, v[10:11] offset:19744
	ds_read_b64 v[10:11], v32 offset:18744
	s_waitcnt lgkmcnt(0)
	ds_write_b64 v31, v[10:11] offset:20256
.LBB165_620:
	s_or_b64 exec, exec, s[12:13]
	s_waitcnt lgkmcnt(0)
	s_barrier
	s_and_saveexec_b64 s[12:13], vcc
	s_cbranch_execz .LBB165_622
; %bb.621:
	v_mov_b32_e32 v33, 0
	ds_read_b64 v[10:11], v33 offset:19768
	s_mov_b64 s[14:15], 0x3f800000
	v_mov_b32_e32 v32, s15
	v_mov_b32_e32 v31, s14
	s_movk_i32 s14, 0x130
	ds_write_b64 v33, v[31:32] offset:20280
	v_add_u32_e64 v33, s14, 0
	s_waitcnt lgkmcnt(1)
	ds_write2st64_b64 v33, v[31:32], v[10:11] offset0:38 offset1:39
.LBB165_622:
	s_or_b64 exec, exec, s[12:13]
	v_mov_b32_e32 v11, 0
	v_mov_b32_e32 v10, 0
	s_waitcnt lgkmcnt(0)
	s_barrier
	s_and_saveexec_b64 s[14:15], s[8:9]
	s_cbranch_execz .LBB165_632
; %bb.623:
	v_mul_u32_u24_e32 v31, 0x208, v25
	ds_read_b64 v[10:11], v21 offset:16704
	ds_read_b64 v[32:33], v31 offset:16640
	v_cmp_gt_u32_e64 s[12:13], 56, v17
	s_waitcnt lgkmcnt(0)
	v_mul_f32_e32 v34, v33, v11
	v_mul_f32_e32 v11, v32, v11
	v_fma_f32 v32, v32, v10, -v34
	v_fmac_f32_e32 v11, v33, v10
	v_add_f32_e32 v10, 0, v32
	v_add_f32_e32 v11, 0, v11
	s_and_saveexec_b64 s[16:17], s[12:13]
	s_cbranch_execnz .LBB165_1087
; %bb.624:
	s_or_b64 exec, exec, s[16:17]
	v_cmp_gt_u32_e64 s[12:13], 48, v17
	s_and_saveexec_b64 s[16:17], s[12:13]
	s_cbranch_execnz .LBB165_1088
.LBB165_625:
	s_or_b64 exec, exec, s[16:17]
	v_cmp_gt_u32_e64 s[12:13], 40, v17
	s_and_saveexec_b64 s[16:17], s[12:13]
	s_cbranch_execnz .LBB165_1089
.LBB165_626:
	s_or_b64 exec, exec, s[16:17]
	v_cmp_gt_u32_e64 s[12:13], 32, v17
	s_and_saveexec_b64 s[16:17], s[12:13]
	s_cbranch_execnz .LBB165_1090
.LBB165_627:
	s_or_b64 exec, exec, s[16:17]
	v_cmp_gt_u32_e64 s[12:13], 24, v17
	s_and_saveexec_b64 s[16:17], s[12:13]
	s_cbranch_execnz .LBB165_1091
.LBB165_628:
	s_or_b64 exec, exec, s[16:17]
	v_cmp_gt_u32_e64 s[12:13], 16, v17
	s_and_saveexec_b64 s[16:17], s[12:13]
	s_cbranch_execnz .LBB165_1092
.LBB165_629:
	s_or_b64 exec, exec, s[16:17]
	v_cmp_gt_u32_e64 s[12:13], 8, v17
	s_and_saveexec_b64 s[16:17], s[12:13]
	s_cbranch_execz .LBB165_631
.LBB165_630:
	v_lshlrev_b32_e32 v31, 3, v0
	v_mov_b32_e32 v33, 0
	ds_read_b64 v[31:32], v31 offset:20288
	ds_read_b64 v[33:34], v33 offset:16696
	s_waitcnt lgkmcnt(0)
	v_mul_f32_e32 v35, v34, v32
	v_mul_f32_e32 v32, v33, v32
	v_fma_f32 v33, v33, v31, -v35
	v_fmac_f32_e32 v32, v34, v31
	v_add_f32_e32 v10, v10, v33
	v_add_f32_e32 v11, v11, v32
.LBB165_631:
	s_or_b64 exec, exec, s[16:17]
	v_xor_b32_e32 v10, 0x80000000, v10
	v_xor_b32_e32 v11, 0x80000000, v11
.LBB165_632:
	s_or_b64 exec, exec, s[14:15]
	s_and_saveexec_b64 s[12:13], s[62:63]
; %bb.633:
	ds_write_b64 v23, v[10:11]
; %bb.634:
	s_or_b64 exec, exec, s[12:13]
	s_waitcnt lgkmcnt(0)
	s_barrier
	s_and_saveexec_b64 s[12:13], s[64:65]
	s_cbranch_execz .LBB165_636
; %bb.635:
	ds_read_b64 v[31:32], v22 offset:20800
	ds_read_b64 v[33:34], v23
	s_waitcnt lgkmcnt(0)
	v_mul_f32_e32 v35, v34, v32
	v_mul_f32_e32 v32, v33, v32
	v_fma_f32 v33, v33, v31, -v35
	v_fmac_f32_e32 v32, v34, v31
	v_add_f32_e32 v10, v10, v33
	v_add_f32_e32 v11, v11, v32
.LBB165_636:
	s_or_b64 exec, exec, s[12:13]
	s_barrier
	s_and_saveexec_b64 s[12:13], s[66:67]
; %bb.637:
	ds_write_b64 v23, v[10:11]
; %bb.638:
	s_or_b64 exec, exec, s[12:13]
	s_waitcnt lgkmcnt(0)
	s_barrier
	s_and_saveexec_b64 s[12:13], s[68:69]
	s_cbranch_execz .LBB165_640
; %bb.639:
	ds_read_b64 v[31:32], v22 offset:21312
	ds_read_b64 v[33:34], v23
	s_waitcnt lgkmcnt(0)
	v_mul_f32_e32 v35, v34, v32
	v_mul_f32_e32 v32, v33, v32
	v_fma_f32 v33, v33, v31, -v35
	v_fmac_f32_e32 v32, v34, v31
	v_add_f32_e32 v10, v10, v33
	v_add_f32_e32 v11, v11, v32
.LBB165_640:
	s_or_b64 exec, exec, s[12:13]
	s_barrier
	;; [unrolled: 22-line block ×6, first 2 shown]
	s_and_saveexec_b64 s[12:13], s[86:87]
; %bb.657:
	ds_write_b64 v23, v[10:11]
; %bb.658:
	s_or_b64 exec, exec, s[12:13]
	s_waitcnt lgkmcnt(0)
	s_barrier
	s_and_saveexec_b64 s[12:13], s[60:61]
	s_cbranch_execz .LBB165_660
; %bb.659:
	v_mov_b32_e32 v31, 0
	ds_read_b64 v[31:32], v31 offset:23928
	ds_read_b64 v[33:34], v23
	s_waitcnt lgkmcnt(0)
	v_mul_f32_e32 v35, v34, v32
	v_mul_f32_e32 v32, v33, v32
	v_fma_f32 v33, v33, v31, -v35
	v_fmac_f32_e32 v32, v34, v31
	v_add_f32_e32 v10, v10, v33
	v_add_f32_e32 v11, v11, v32
.LBB165_660:
	s_or_b64 exec, exec, s[12:13]
	s_barrier
	s_and_saveexec_b64 s[12:13], s[60:61]
; %bb.661:
	ds_write_b64 v23, v[10:11]
; %bb.662:
	s_or_b64 exec, exec, s[12:13]
	s_waitcnt lgkmcnt(0)
	s_barrier
	s_barrier
	s_and_saveexec_b64 s[12:13], s[8:9]
; %bb.663:
	v_xor_b32_e32 v11, 0x80000000, v11
	v_xor_b32_e32 v10, 0x80000000, v10
	ds_write_b64 v21, v[10:11] offset:16704
; %bb.664:
	s_or_b64 exec, exec, s[12:13]
	s_waitcnt lgkmcnt(0)
	s_barrier
	s_barrier
	s_and_saveexec_b64 s[12:13], s[88:89]
	s_cbranch_execz .LBB165_666
; %bb.665:
	v_lshlrev_b32_e32 v31, 9, v0
	ds_read_b64 v[10:11], v31 offset:16704
	s_movk_i32 s14, 0xfe08
	v_mad_i32_i24 v32, v0, s14, v31
	s_waitcnt lgkmcnt(0)
	ds_write_b64 v32, v[10:11] offset:20736
	ds_read_b64 v[10:11], v31 offset:16712
	s_waitcnt lgkmcnt(0)
	ds_write_b64 v32, v[10:11] offset:21248
	ds_read_b64 v[10:11], v31 offset:16720
	;; [unrolled: 3-line block ×7, first 2 shown]
	s_waitcnt lgkmcnt(0)
	ds_write_b64 v32, v[10:11] offset:24320
.LBB165_666:
	s_or_b64 exec, exec, s[12:13]
	s_waitcnt lgkmcnt(0)
	s_barrier
	s_and_saveexec_b64 s[12:13], vcc
	s_cbranch_execz .LBB165_668
; %bb.667:
	v_mov_b32_e32 v33, 0
	ds_read_b64 v[10:11], v33 offset:20808
	s_mov_b64 s[14:15], 0x3f800000
	v_mov_b32_e32 v32, s15
	v_mov_b32_e32 v31, s14
	s_movk_i32 s14, 0x140
	ds_write_b64 v33, v[31:32] offset:21320
	v_add_u32_e64 v33, s14, 0
	s_waitcnt lgkmcnt(1)
	ds_write2st64_b64 v33, v[31:32], v[10:11] offset0:40 offset1:41
.LBB165_668:
	s_or_b64 exec, exec, s[12:13]
	v_mov_b32_e32 v11, 0
	v_mov_b32_e32 v10, 0
	s_waitcnt lgkmcnt(0)
	s_barrier
	s_and_saveexec_b64 s[14:15], s[2:3]
	s_cbranch_execz .LBB165_672
; %bb.669:
	v_mul_u32_u24_e32 v31, 0x208, v14
	ds_read_b64 v[10:11], v12 offset:20816
	ds_read_b64 v[31:32], v31 offset:20800
	v_cmp_gt_u32_e64 s[12:13], 2, v17
	s_waitcnt lgkmcnt(0)
	v_mul_f32_e32 v33, v32, v11
	v_mul_f32_e32 v11, v31, v11
	v_fma_f32 v31, v31, v10, -v33
	v_fmac_f32_e32 v11, v32, v10
	v_add_f32_e32 v10, 0, v31
	v_add_f32_e32 v11, 0, v11
	s_and_saveexec_b64 s[16:17], s[12:13]
	s_cbranch_execz .LBB165_671
; %bb.670:
	v_lshlrev_b32_e32 v31, 3, v0
	v_mov_b32_e32 v33, 0
	ds_read_b64 v[31:32], v31 offset:21328
	ds_read_b64 v[33:34], v33 offset:20808
	s_waitcnt lgkmcnt(0)
	v_mul_f32_e32 v35, v34, v32
	v_mul_f32_e32 v32, v33, v32
	v_fma_f32 v33, v33, v31, -v35
	v_fmac_f32_e32 v32, v34, v31
	v_add_f32_e32 v10, v10, v33
	v_add_f32_e32 v11, v11, v32
.LBB165_671:
	s_or_b64 exec, exec, s[16:17]
	v_xor_b32_e32 v10, 0x80000000, v10
	v_xor_b32_e32 v11, 0x80000000, v11
.LBB165_672:
	s_or_b64 exec, exec, s[14:15]
	s_and_saveexec_b64 s[12:13], s[42:43]
; %bb.673:
	ds_write_b64 v13, v[10:11]
; %bb.674:
	s_or_b64 exec, exec, s[12:13]
	s_waitcnt lgkmcnt(0)
	s_barrier
	s_and_saveexec_b64 s[12:13], s[40:41]
	s_cbranch_execz .LBB165_676
; %bb.675:
	v_mov_b32_e32 v31, 0
	ds_read_b64 v[31:32], v31 offset:21848
	ds_read_b64 v[33:34], v13
	s_waitcnt lgkmcnt(0)
	v_mul_f32_e32 v35, v34, v32
	v_mul_f32_e32 v32, v33, v32
	v_fma_f32 v33, v33, v31, -v35
	v_fmac_f32_e32 v32, v34, v31
	v_add_f32_e32 v10, v10, v33
	v_add_f32_e32 v11, v11, v32
.LBB165_676:
	s_or_b64 exec, exec, s[12:13]
	s_barrier
	s_and_saveexec_b64 s[12:13], s[40:41]
; %bb.677:
	ds_write_b64 v13, v[10:11]
; %bb.678:
	s_or_b64 exec, exec, s[12:13]
	s_waitcnt lgkmcnt(0)
	s_barrier
	s_barrier
	s_and_saveexec_b64 s[12:13], s[2:3]
; %bb.679:
	v_xor_b32_e32 v11, 0x80000000, v11
	v_xor_b32_e32 v10, 0x80000000, v10
	ds_write_b64 v12, v[10:11] offset:20816
; %bb.680:
	s_or_b64 exec, exec, s[12:13]
	s_waitcnt lgkmcnt(0)
	s_barrier
	s_barrier
	s_and_saveexec_b64 s[12:13], s[44:45]
	s_cbranch_execz .LBB165_682
; %bb.681:
	v_lshlrev_b32_e32 v31, 3, v0
	s_movk_i32 s14, 0x1f8
	v_mad_u32_u24 v32, v0, s14, v31
	ds_read_b64 v[10:11], v32 offset:20816
	s_waitcnt lgkmcnt(0)
	ds_write_b64 v31, v[10:11] offset:21824
	ds_read_b64 v[10:11], v32 offset:20824
	s_waitcnt lgkmcnt(0)
	ds_write_b64 v31, v[10:11] offset:22336
.LBB165_682:
	s_or_b64 exec, exec, s[12:13]
	s_waitcnt lgkmcnt(0)
	s_barrier
	s_and_saveexec_b64 s[12:13], vcc
	s_cbranch_execz .LBB165_684
; %bb.683:
	v_mov_b32_e32 v33, 0
	ds_read_b64 v[10:11], v33 offset:21848
	s_mov_b64 s[14:15], 0x3f800000
	v_mov_b32_e32 v32, s15
	v_mov_b32_e32 v31, s14
	s_movk_i32 s14, 0x150
	ds_write_b64 v33, v[31:32] offset:22360
	v_add_u32_e64 v33, s14, 0
	s_waitcnt lgkmcnt(1)
	ds_write2st64_b64 v33, v[31:32], v[10:11] offset0:42 offset1:43
.LBB165_684:
	s_or_b64 exec, exec, s[12:13]
	v_mov_b32_e32 v11, 0
	v_mov_b32_e32 v10, 0
	s_waitcnt lgkmcnt(0)
	s_barrier
	s_and_saveexec_b64 s[14:15], s[18:19]
	s_cbranch_execz .LBB165_690
; %bb.685:
	v_mul_u32_u24_e32 v31, 0x208, v20
	ds_read_b64 v[10:11], v15 offset:20832
	ds_read_b64 v[32:33], v31 offset:20800
	v_cmp_gt_u32_e64 s[12:13], 12, v17
	s_waitcnt lgkmcnt(0)
	v_mul_f32_e32 v34, v33, v11
	v_mul_f32_e32 v11, v32, v11
	v_fma_f32 v32, v32, v10, -v34
	v_fmac_f32_e32 v11, v33, v10
	v_add_f32_e32 v10, 0, v32
	v_add_f32_e32 v11, 0, v11
	s_and_saveexec_b64 s[16:17], s[12:13]
	s_cbranch_execnz .LBB165_1093
; %bb.686:
	s_or_b64 exec, exec, s[16:17]
	v_cmp_gt_u32_e64 s[12:13], 8, v17
	s_and_saveexec_b64 s[16:17], s[12:13]
	s_cbranch_execnz .LBB165_1094
.LBB165_687:
	s_or_b64 exec, exec, s[16:17]
	v_cmp_gt_u32_e64 s[12:13], 4, v17
	s_and_saveexec_b64 s[16:17], s[12:13]
	s_cbranch_execz .LBB165_689
.LBB165_688:
	v_lshlrev_b32_e32 v31, 3, v0
	v_mov_b32_e32 v33, 0
	ds_read_b64 v[31:32], v31 offset:22368
	ds_read_b64 v[33:34], v33 offset:20824
	s_waitcnt lgkmcnt(0)
	v_mul_f32_e32 v35, v34, v32
	v_mul_f32_e32 v32, v33, v32
	v_fma_f32 v33, v33, v31, -v35
	v_fmac_f32_e32 v32, v34, v31
	v_add_f32_e32 v10, v10, v33
	v_add_f32_e32 v11, v11, v32
.LBB165_689:
	s_or_b64 exec, exec, s[16:17]
	v_xor_b32_e32 v10, 0x80000000, v10
	v_xor_b32_e32 v11, 0x80000000, v11
.LBB165_690:
	s_or_b64 exec, exec, s[14:15]
	s_and_saveexec_b64 s[12:13], s[48:49]
; %bb.691:
	ds_write_b64 v18, v[10:11]
; %bb.692:
	s_or_b64 exec, exec, s[12:13]
	s_waitcnt lgkmcnt(0)
	s_barrier
	s_and_saveexec_b64 s[12:13], s[50:51]
	s_cbranch_execz .LBB165_694
; %bb.693:
	ds_read_b64 v[31:32], v16 offset:22880
	ds_read_b64 v[33:34], v18
	s_waitcnt lgkmcnt(0)
	v_mul_f32_e32 v35, v34, v32
	v_mul_f32_e32 v32, v33, v32
	v_fma_f32 v33, v33, v31, -v35
	v_fmac_f32_e32 v32, v34, v31
	v_add_f32_e32 v10, v10, v33
	v_add_f32_e32 v11, v11, v32
.LBB165_694:
	s_or_b64 exec, exec, s[12:13]
	s_barrier
	s_and_saveexec_b64 s[12:13], s[52:53]
; %bb.695:
	ds_write_b64 v18, v[10:11]
; %bb.696:
	s_or_b64 exec, exec, s[12:13]
	s_waitcnt lgkmcnt(0)
	s_barrier
	s_and_saveexec_b64 s[12:13], s[54:55]
	s_cbranch_execz .LBB165_698
; %bb.697:
	ds_read_b64 v[31:32], v16 offset:23392
	ds_read_b64 v[33:34], v18
	s_waitcnt lgkmcnt(0)
	v_mul_f32_e32 v35, v34, v32
	v_mul_f32_e32 v32, v33, v32
	v_fma_f32 v33, v33, v31, -v35
	v_fmac_f32_e32 v32, v34, v31
	v_add_f32_e32 v10, v10, v33
	v_add_f32_e32 v11, v11, v32
.LBB165_698:
	s_or_b64 exec, exec, s[12:13]
	s_barrier
	s_and_saveexec_b64 s[12:13], s[56:57]
; %bb.699:
	ds_write_b64 v18, v[10:11]
; %bb.700:
	s_or_b64 exec, exec, s[12:13]
	s_waitcnt lgkmcnt(0)
	s_barrier
	s_and_saveexec_b64 s[12:13], s[46:47]
	s_cbranch_execz .LBB165_702
; %bb.701:
	v_mov_b32_e32 v31, 0
	ds_read_b64 v[31:32], v31 offset:23928
	ds_read_b64 v[33:34], v18
	s_waitcnt lgkmcnt(0)
	v_mul_f32_e32 v35, v34, v32
	v_mul_f32_e32 v32, v33, v32
	v_fma_f32 v33, v33, v31, -v35
	v_fmac_f32_e32 v32, v34, v31
	v_add_f32_e32 v10, v10, v33
	v_add_f32_e32 v11, v11, v32
.LBB165_702:
	s_or_b64 exec, exec, s[12:13]
	s_barrier
	s_and_saveexec_b64 s[12:13], s[46:47]
; %bb.703:
	ds_write_b64 v18, v[10:11]
; %bb.704:
	s_or_b64 exec, exec, s[12:13]
	s_waitcnt lgkmcnt(0)
	s_barrier
	s_barrier
	s_and_saveexec_b64 s[12:13], s[18:19]
; %bb.705:
	v_xor_b32_e32 v10, 0x80000000, v10
	v_xor_b32_e32 v11, 0x80000000, v11
	ds_write_b64 v15, v[10:11] offset:20832
; %bb.706:
	s_or_b64 exec, exec, s[12:13]
	s_waitcnt lgkmcnt(0)
	s_barrier
	s_barrier
	s_and_saveexec_b64 s[12:13], s[58:59]
	s_cbranch_execz .LBB165_708
; %bb.707:
	v_lshlrev_b32_e32 v31, 9, v0
	ds_read_b64 v[10:11], v31 offset:20832
	s_movk_i32 s14, 0xfe08
	v_mad_i32_i24 v32, v0, s14, v31
	s_waitcnt lgkmcnt(0)
	ds_write_b64 v32, v[10:11] offset:22848
	ds_read_b64 v[10:11], v31 offset:20840
	s_waitcnt lgkmcnt(0)
	ds_write_b64 v32, v[10:11] offset:23360
	ds_read_b64 v[10:11], v31 offset:20848
	;; [unrolled: 3-line block ×3, first 2 shown]
	s_waitcnt lgkmcnt(0)
	ds_write_b64 v32, v[10:11] offset:24384
.LBB165_708:
	s_or_b64 exec, exec, s[12:13]
	s_waitcnt lgkmcnt(0)
	s_barrier
	s_and_saveexec_b64 s[12:13], vcc
	s_cbranch_execz .LBB165_710
; %bb.709:
	v_mov_b32_e32 v33, 0
	ds_read_b64 v[10:11], v33 offset:22888
	s_mov_b64 s[14:15], 0x3f800000
	v_mov_b32_e32 v32, s15
	v_mov_b32_e32 v31, s14
	s_movk_i32 s14, 0x160
	ds_write_b64 v33, v[31:32] offset:23400
	v_add_u32_e64 v33, s14, 0
	s_waitcnt lgkmcnt(1)
	ds_write2st64_b64 v33, v[31:32], v[10:11] offset0:44 offset1:45
.LBB165_710:
	s_or_b64 exec, exec, s[12:13]
	v_mov_b32_e32 v11, 0
	v_mov_b32_e32 v10, 0
	s_waitcnt lgkmcnt(0)
	s_barrier
	s_and_saveexec_b64 s[14:15], s[2:3]
	s_cbranch_execz .LBB165_714
; %bb.711:
	v_mul_u32_u24_e32 v31, 0x208, v14
	ds_read_b64 v[10:11], v12 offset:22896
	ds_read_b64 v[31:32], v31 offset:22880
	v_cmp_gt_u32_e64 s[12:13], 2, v17
	s_waitcnt lgkmcnt(0)
	v_mul_f32_e32 v33, v32, v11
	v_mul_f32_e32 v11, v31, v11
	v_fma_f32 v31, v31, v10, -v33
	v_fmac_f32_e32 v11, v32, v10
	v_add_f32_e32 v10, 0, v31
	v_add_f32_e32 v11, 0, v11
	s_and_saveexec_b64 s[16:17], s[12:13]
	s_cbranch_execz .LBB165_713
; %bb.712:
	v_lshlrev_b32_e32 v31, 3, v0
	v_mov_b32_e32 v33, 0
	ds_read_b64 v[31:32], v31 offset:23408
	ds_read_b64 v[33:34], v33 offset:22888
	s_waitcnt lgkmcnt(0)
	v_mul_f32_e32 v35, v34, v32
	v_mul_f32_e32 v32, v33, v32
	v_fma_f32 v33, v33, v31, -v35
	v_fmac_f32_e32 v32, v34, v31
	v_add_f32_e32 v10, v10, v33
	v_add_f32_e32 v11, v11, v32
.LBB165_713:
	s_or_b64 exec, exec, s[16:17]
	v_xor_b32_e32 v10, 0x80000000, v10
	v_xor_b32_e32 v11, 0x80000000, v11
.LBB165_714:
	s_or_b64 exec, exec, s[14:15]
	s_and_saveexec_b64 s[12:13], s[42:43]
; %bb.715:
	ds_write_b64 v13, v[10:11]
; %bb.716:
	s_or_b64 exec, exec, s[12:13]
	s_waitcnt lgkmcnt(0)
	s_barrier
	s_and_saveexec_b64 s[12:13], s[40:41]
	s_cbranch_execz .LBB165_718
; %bb.717:
	v_mov_b32_e32 v31, 0
	ds_read_b64 v[31:32], v31 offset:23928
	ds_read_b64 v[33:34], v13
	s_waitcnt lgkmcnt(0)
	v_mul_f32_e32 v35, v34, v32
	v_mul_f32_e32 v32, v33, v32
	v_fma_f32 v33, v33, v31, -v35
	v_fmac_f32_e32 v32, v34, v31
	v_add_f32_e32 v10, v10, v33
	v_add_f32_e32 v11, v11, v32
.LBB165_718:
	s_or_b64 exec, exec, s[12:13]
	s_barrier
	s_and_saveexec_b64 s[12:13], s[40:41]
; %bb.719:
	ds_write_b64 v13, v[10:11]
; %bb.720:
	s_or_b64 exec, exec, s[12:13]
	s_waitcnt lgkmcnt(0)
	s_barrier
	s_barrier
	s_and_saveexec_b64 s[12:13], s[2:3]
; %bb.721:
	v_xor_b32_e32 v11, 0x80000000, v11
	v_xor_b32_e32 v10, 0x80000000, v10
	ds_write_b64 v12, v[10:11] offset:22896
; %bb.722:
	s_or_b64 exec, exec, s[12:13]
	s_waitcnt lgkmcnt(0)
	s_barrier
	s_barrier
	s_and_saveexec_b64 s[12:13], s[44:45]
	s_cbranch_execz .LBB165_724
; %bb.723:
	v_lshlrev_b32_e32 v31, 3, v0
	s_movk_i32 s14, 0x1f8
	v_mad_u32_u24 v32, v0, s14, v31
	ds_read_b64 v[10:11], v32 offset:22896
	s_waitcnt lgkmcnt(0)
	ds_write_b64 v31, v[10:11] offset:23904
	ds_read_b64 v[10:11], v32 offset:22904
	s_waitcnt lgkmcnt(0)
	ds_write_b64 v31, v[10:11] offset:24416
.LBB165_724:
	s_or_b64 exec, exec, s[12:13]
	s_waitcnt lgkmcnt(0)
	s_barrier
	s_and_saveexec_b64 s[12:13], vcc
	s_cbranch_execz .LBB165_726
; %bb.725:
	v_mov_b32_e32 v33, 0
	ds_read_b64 v[10:11], v33 offset:23928
	s_mov_b64 s[14:15], 0x3f800000
	v_mov_b32_e32 v32, s15
	v_mov_b32_e32 v31, s14
	s_movk_i32 s14, 0x170
	ds_write_b64 v33, v[31:32] offset:24440
	v_add_u32_e64 v33, s14, 0
	s_waitcnt lgkmcnt(1)
	ds_write2st64_b64 v33, v[31:32], v[10:11] offset0:46 offset1:47
.LBB165_726:
	s_or_b64 exec, exec, s[12:13]
	v_mov_b32_e32 v11, 0
	v_mov_b32_e32 v10, 0
	s_waitcnt lgkmcnt(0)
	s_barrier
	s_and_saveexec_b64 s[14:15], s[10:11]
	s_cbranch_execz .LBB165_754
; %bb.727:
	v_mul_u32_u24_e32 v31, 0x208, v30
	ds_read_b64 v[10:11], v26 offset:16768
	ds_read_b64 v[32:33], v31 offset:16640
	s_movk_i32 s12, 0xf0
	v_cmp_gt_u32_e64 s[12:13], s12, v17
	s_waitcnt lgkmcnt(0)
	v_mul_f32_e32 v34, v33, v11
	v_mul_f32_e32 v11, v32, v11
	v_fma_f32 v32, v32, v10, -v34
	v_fmac_f32_e32 v11, v33, v10
	v_add_f32_e32 v10, 0, v32
	v_add_f32_e32 v11, 0, v11
	s_and_saveexec_b64 s[16:17], s[12:13]
	s_cbranch_execz .LBB165_729
; %bb.728:
	v_lshlrev_b32_e32 v32, 3, v30
	v_sub_u32_e32 v32, v31, v32
	v_lshl_add_u32 v32, v27, 3, v32
	ds_read_b64 v[32:33], v32 offset:17280
	ds_read_b64 v[34:35], v31 offset:16648
	s_waitcnt lgkmcnt(0)
	v_mul_f32_e32 v36, v35, v33
	v_mul_f32_e32 v33, v34, v33
	v_fma_f32 v34, v34, v32, -v36
	v_fmac_f32_e32 v33, v35, v32
	v_add_f32_e32 v10, v10, v34
	v_add_f32_e32 v11, v11, v33
.LBB165_729:
	s_or_b64 exec, exec, s[16:17]
	s_movk_i32 s12, 0xe0
	v_cmp_gt_u32_e64 s[12:13], s12, v17
	s_and_saveexec_b64 s[16:17], s[12:13]
	s_cbranch_execz .LBB165_731
; %bb.730:
	v_lshlrev_b32_e32 v32, 3, v30
	v_sub_u32_e32 v32, v31, v32
	v_lshl_add_u32 v32, v27, 3, v32
	ds_read_b64 v[32:33], v32 offset:17792
	ds_read_b64 v[34:35], v31 offset:16656
	s_waitcnt lgkmcnt(0)
	v_mul_f32_e32 v36, v35, v33
	v_mul_f32_e32 v33, v34, v33
	v_fma_f32 v34, v34, v32, -v36
	v_fmac_f32_e32 v33, v35, v32
	v_add_f32_e32 v10, v10, v34
	v_add_f32_e32 v11, v11, v33
.LBB165_731:
	s_or_b64 exec, exec, s[16:17]
	s_movk_i32 s12, 0xd0
	v_cmp_gt_u32_e64 s[12:13], s12, v17
	;; [unrolled: 19-line block ×6, first 2 shown]
	s_and_saveexec_b64 s[16:17], s[12:13]
	s_cbranch_execz .LBB165_741
; %bb.740:
	v_lshlrev_b32_e32 v30, 3, v27
	v_lshl_add_u32 v30, v29, 3, v30
	ds_read_b64 v[32:33], v30 offset:20352
	ds_read_b64 v[34:35], v31 offset:16696
	s_waitcnt lgkmcnt(0)
	v_mul_f32_e32 v30, v35, v33
	v_mul_f32_e32 v33, v34, v33
	v_fma_f32 v30, v34, v32, -v30
	v_fmac_f32_e32 v33, v35, v32
	v_add_f32_e32 v10, v10, v30
	v_add_f32_e32 v11, v11, v33
.LBB165_741:
	s_or_b64 exec, exec, s[16:17]
	s_movk_i32 s12, 0x80
	v_cmp_gt_u32_e64 s[12:13], s12, v17
	s_and_saveexec_b64 s[16:17], s[12:13]
	s_cbranch_execz .LBB165_743
; %bb.742:
	ds_read_b64 v[32:33], v26 offset:20864
	ds_read_b64 v[34:35], v31 offset:16704
	s_waitcnt lgkmcnt(0)
	v_mul_f32_e32 v30, v35, v33
	v_mul_f32_e32 v33, v34, v33
	v_fma_f32 v30, v34, v32, -v30
	v_fmac_f32_e32 v33, v35, v32
	v_add_f32_e32 v10, v10, v30
	v_add_f32_e32 v11, v11, v33
.LBB165_743:
	s_or_b64 exec, exec, s[16:17]
	s_movk_i32 s12, 0x70
	v_cmp_gt_u32_e64 s[12:13], s12, v17
	s_and_saveexec_b64 s[16:17], s[12:13]
	s_cbranch_execz .LBB165_745
; %bb.744:
	v_lshlrev_b32_e32 v30, 3, v27
	v_lshl_add_u32 v30, v29, 3, v30
	ds_read_b64 v[32:33], v30 offset:21376
	ds_read_b64 v[34:35], v31 offset:16712
	s_waitcnt lgkmcnt(0)
	v_mul_f32_e32 v30, v35, v33
	v_mul_f32_e32 v33, v34, v33
	v_fma_f32 v30, v34, v32, -v30
	v_fmac_f32_e32 v33, v35, v32
	v_add_f32_e32 v10, v10, v30
	v_add_f32_e32 v11, v11, v33
.LBB165_745:
	s_or_b64 exec, exec, s[16:17]
	s_movk_i32 s12, 0x60
	v_cmp_gt_u32_e64 s[12:13], s12, v17
	s_and_saveexec_b64 s[16:17], s[12:13]
	s_cbranch_execz .LBB165_747
; %bb.746:
	v_lshlrev_b32_e32 v30, 3, v27
	v_lshl_add_u32 v30, v29, 3, v30
	ds_read_b64 v[32:33], v30 offset:21888
	ds_read_b64 v[34:35], v31 offset:16720
	s_waitcnt lgkmcnt(0)
	v_mul_f32_e32 v30, v35, v33
	v_mul_f32_e32 v33, v34, v33
	v_fma_f32 v30, v34, v32, -v30
	v_fmac_f32_e32 v33, v35, v32
	v_add_f32_e32 v10, v10, v30
	v_add_f32_e32 v11, v11, v33
.LBB165_747:
	s_or_b64 exec, exec, s[16:17]
	s_movk_i32 s12, 0x50
	v_cmp_gt_u32_e64 s[12:13], s12, v17
	s_and_saveexec_b64 s[16:17], s[12:13]
	s_cbranch_execnz .LBB165_1095
; %bb.748:
	s_or_b64 exec, exec, s[16:17]
	v_cmp_gt_u32_e64 s[12:13], 64, v17
	s_and_saveexec_b64 s[16:17], s[12:13]
	s_cbranch_execnz .LBB165_1096
.LBB165_749:
	s_or_b64 exec, exec, s[16:17]
	v_cmp_gt_u32_e64 s[12:13], 48, v17
	s_and_saveexec_b64 s[16:17], s[12:13]
	s_cbranch_execnz .LBB165_1097
.LBB165_750:
	s_or_b64 exec, exec, s[16:17]
	v_cmp_gt_u32_e64 s[12:13], 32, v17
	s_and_saveexec_b64 s[16:17], s[12:13]
	s_cbranch_execnz .LBB165_1098
.LBB165_751:
	s_or_b64 exec, exec, s[16:17]
	v_cmp_gt_u32_e64 s[12:13], 16, v17
	s_and_saveexec_b64 s[16:17], s[12:13]
	s_cbranch_execz .LBB165_753
.LBB165_752:
	v_lshlrev_b32_e32 v29, 3, v0
	v_mov_b32_e32 v31, 0
	ds_read_b64 v[29:30], v29 offset:24448
	ds_read_b64 v[31:32], v31 offset:16760
	s_waitcnt lgkmcnt(0)
	v_mul_f32_e32 v33, v32, v30
	v_mul_f32_e32 v30, v31, v30
	v_fma_f32 v31, v31, v29, -v33
	v_fmac_f32_e32 v30, v32, v29
	v_add_f32_e32 v10, v10, v31
	v_add_f32_e32 v11, v11, v30
.LBB165_753:
	s_or_b64 exec, exec, s[16:17]
	v_xor_b32_e32 v10, 0x80000000, v10
	v_xor_b32_e32 v11, 0x80000000, v11
.LBB165_754:
	s_or_b64 exec, exec, s[14:15]
	s_mov_b64 s[12:13], exec
	v_readlane_b32 s14, v42, 2
	v_readlane_b32 s15, v42, 3
	s_and_b64 s[14:15], s[12:13], s[14:15]
	s_mov_b64 exec, s[14:15]
; %bb.755:
	ds_write_b64 v28, v[10:11]
; %bb.756:
	s_or_b64 exec, exec, s[12:13]
	s_waitcnt lgkmcnt(0)
	s_barrier
	s_mov_b64 s[12:13], exec
	v_readlane_b32 s14, v42, 4
	v_readlane_b32 s15, v42, 5
	s_and_b64 s[14:15], s[12:13], s[14:15]
	s_mov_b64 exec, s[14:15]
	s_cbranch_execz .LBB165_758
; %bb.757:
	v_lshlrev_b32_e32 v29, 3, v27
	ds_read_b64 v[29:30], v29 offset:24960
	ds_read_b64 v[31:32], v28
	s_waitcnt lgkmcnt(0)
	v_mul_f32_e32 v33, v32, v30
	v_mul_f32_e32 v30, v31, v30
	v_fma_f32 v31, v31, v29, -v33
	v_fmac_f32_e32 v30, v32, v29
	v_add_f32_e32 v10, v10, v31
	v_add_f32_e32 v11, v11, v30
.LBB165_758:
	s_or_b64 exec, exec, s[12:13]
	s_barrier
	s_mov_b64 s[12:13], exec
	v_readlane_b32 s14, v42, 6
	v_readlane_b32 s15, v42, 7
	s_and_b64 s[14:15], s[12:13], s[14:15]
	s_mov_b64 exec, s[14:15]
; %bb.759:
	ds_write_b64 v28, v[10:11]
; %bb.760:
	s_or_b64 exec, exec, s[12:13]
	s_waitcnt lgkmcnt(0)
	s_barrier
	s_mov_b64 s[12:13], exec
	v_readlane_b32 s14, v42, 8
	v_readlane_b32 s15, v42, 9
	s_and_b64 s[14:15], s[12:13], s[14:15]
	s_mov_b64 exec, s[14:15]
	s_cbranch_execz .LBB165_762
; %bb.761:
	v_lshlrev_b32_e32 v29, 3, v27
	ds_read_b64 v[29:30], v29 offset:25472
	ds_read_b64 v[31:32], v28
	s_waitcnt lgkmcnt(0)
	v_mul_f32_e32 v33, v32, v30
	v_mul_f32_e32 v30, v31, v30
	v_fma_f32 v31, v31, v29, -v33
	v_fmac_f32_e32 v30, v32, v29
	v_add_f32_e32 v10, v10, v31
	v_add_f32_e32 v11, v11, v30
.LBB165_762:
	s_or_b64 exec, exec, s[12:13]
	s_barrier
	;; [unrolled: 31-line block ×14, first 2 shown]
	s_mov_b64 s[12:13], exec
	v_readlane_b32 s14, v42, 58
	v_readlane_b32 s15, v42, 59
	s_and_b64 s[14:15], s[12:13], s[14:15]
	s_mov_b64 exec, s[14:15]
; %bb.811:
	ds_write_b64 v28, v[10:11]
; %bb.812:
	s_or_b64 exec, exec, s[12:13]
	s_waitcnt lgkmcnt(0)
	s_barrier
	s_and_saveexec_b64 s[12:13], s[90:91]
	s_cbranch_execz .LBB165_814
; %bb.813:
	v_mov_b32_e32 v27, 0
	ds_read_b64 v[29:30], v27 offset:32248
	ds_read_b64 v[31:32], v28
	s_waitcnt lgkmcnt(0)
	v_mul_f32_e32 v27, v32, v30
	v_mul_f32_e32 v30, v31, v30
	v_fma_f32 v27, v31, v29, -v27
	v_fmac_f32_e32 v30, v32, v29
	v_add_f32_e32 v10, v10, v27
	v_add_f32_e32 v11, v11, v30
.LBB165_814:
	s_or_b64 exec, exec, s[12:13]
	s_barrier
	s_and_saveexec_b64 s[12:13], s[90:91]
; %bb.815:
	ds_write_b64 v28, v[10:11]
; %bb.816:
	s_or_b64 exec, exec, s[12:13]
	s_waitcnt lgkmcnt(0)
	s_barrier
	s_barrier
	s_and_saveexec_b64 s[12:13], s[10:11]
; %bb.817:
	v_xor_b32_e32 v10, 0x80000000, v10
	v_xor_b32_e32 v11, 0x80000000, v11
	ds_write_b64 v26, v[10:11] offset:16768
; %bb.818:
	s_or_b64 exec, exec, s[12:13]
	s_waitcnt lgkmcnt(0)
	s_barrier
	s_barrier
	s_and_saveexec_b64 s[10:11], s[0:1]
	s_cbranch_execz .LBB165_820
; %bb.819:
	v_lshlrev_b32_e32 v26, 9, v0
	ds_read_b64 v[10:11], v26 offset:16768
	s_movk_i32 s0, 0xfe08
	v_mad_i32_i24 v27, v0, s0, v26
	s_waitcnt lgkmcnt(0)
	ds_write_b64 v27, v[10:11] offset:24832
	ds_read_b64 v[10:11], v26 offset:16776
	s_waitcnt lgkmcnt(0)
	ds_write_b64 v27, v[10:11] offset:25344
	ds_read_b64 v[10:11], v26 offset:16784
	;; [unrolled: 3-line block ×15, first 2 shown]
	s_waitcnt lgkmcnt(0)
	ds_write_b64 v27, v[10:11] offset:32512
.LBB165_820:
	s_or_b64 exec, exec, s[10:11]
	s_waitcnt lgkmcnt(0)
	s_barrier
	s_and_saveexec_b64 s[0:1], vcc
	s_cbranch_execz .LBB165_822
; %bb.821:
	v_mov_b32_e32 v28, 0
	ds_read_b64 v[10:11], v28 offset:24968
	s_mov_b64 s[10:11], 0x3f800000
	v_mov_b32_e32 v27, s11
	v_mov_b32_e32 v26, s10
	s_movk_i32 s10, 0x180
	ds_write_b64 v28, v[26:27] offset:25480
	v_add_u32_e64 v28, s10, 0
	s_waitcnt lgkmcnt(1)
	ds_write2st64_b64 v28, v[26:27], v[10:11] offset0:48 offset1:49
.LBB165_822:
	s_or_b64 exec, exec, s[0:1]
	v_mov_b32_e32 v11, 0
	v_mov_b32_e32 v10, 0
	s_waitcnt lgkmcnt(0)
	s_barrier
	s_and_saveexec_b64 s[0:1], s[2:3]
	s_cbranch_execz .LBB165_826
; %bb.823:
	v_mul_u32_u24_e32 v26, 0x208, v14
	ds_read_b64 v[10:11], v12 offset:24976
	ds_read_b64 v[26:27], v26 offset:24960
	v_cmp_gt_u32_e64 s[10:11], 2, v17
	s_waitcnt lgkmcnt(0)
	v_mul_f32_e32 v28, v27, v11
	v_mul_f32_e32 v11, v26, v11
	v_fma_f32 v26, v26, v10, -v28
	v_fmac_f32_e32 v11, v27, v10
	v_add_f32_e32 v10, 0, v26
	v_add_f32_e32 v11, 0, v11
	s_and_saveexec_b64 s[12:13], s[10:11]
	s_cbranch_execz .LBB165_825
; %bb.824:
	v_lshlrev_b32_e32 v26, 3, v0
	v_mov_b32_e32 v28, 0
	ds_read_b64 v[26:27], v26 offset:25488
	ds_read_b64 v[28:29], v28 offset:24968
	s_waitcnt lgkmcnt(0)
	v_mul_f32_e32 v30, v29, v27
	v_mul_f32_e32 v27, v28, v27
	v_fma_f32 v28, v28, v26, -v30
	v_fmac_f32_e32 v27, v29, v26
	v_add_f32_e32 v10, v10, v28
	v_add_f32_e32 v11, v11, v27
.LBB165_825:
	s_or_b64 exec, exec, s[12:13]
	v_xor_b32_e32 v10, 0x80000000, v10
	v_xor_b32_e32 v11, 0x80000000, v11
.LBB165_826:
	s_or_b64 exec, exec, s[0:1]
	s_and_saveexec_b64 s[0:1], s[42:43]
; %bb.827:
	ds_write_b64 v13, v[10:11]
; %bb.828:
	s_or_b64 exec, exec, s[0:1]
	s_waitcnt lgkmcnt(0)
	s_barrier
	s_and_saveexec_b64 s[0:1], s[40:41]
	s_cbranch_execz .LBB165_830
; %bb.829:
	v_mov_b32_e32 v26, 0
	ds_read_b64 v[26:27], v26 offset:26008
	ds_read_b64 v[28:29], v13
	s_waitcnt lgkmcnt(0)
	v_mul_f32_e32 v30, v29, v27
	v_mul_f32_e32 v27, v28, v27
	v_fma_f32 v28, v28, v26, -v30
	v_fmac_f32_e32 v27, v29, v26
	v_add_f32_e32 v10, v10, v28
	v_add_f32_e32 v11, v11, v27
.LBB165_830:
	s_or_b64 exec, exec, s[0:1]
	s_barrier
	s_and_saveexec_b64 s[0:1], s[40:41]
; %bb.831:
	ds_write_b64 v13, v[10:11]
; %bb.832:
	s_or_b64 exec, exec, s[0:1]
	s_waitcnt lgkmcnt(0)
	s_barrier
	s_barrier
	s_and_saveexec_b64 s[0:1], s[2:3]
; %bb.833:
	v_xor_b32_e32 v11, 0x80000000, v11
	v_xor_b32_e32 v10, 0x80000000, v10
	ds_write_b64 v12, v[10:11] offset:24976
; %bb.834:
	s_or_b64 exec, exec, s[0:1]
	s_waitcnt lgkmcnt(0)
	s_barrier
	s_barrier
	s_and_saveexec_b64 s[0:1], s[44:45]
	s_cbranch_execz .LBB165_836
; %bb.835:
	v_lshlrev_b32_e32 v26, 3, v0
	s_movk_i32 s10, 0x1f8
	v_mad_u32_u24 v27, v0, s10, v26
	ds_read_b64 v[10:11], v27 offset:24976
	s_waitcnt lgkmcnt(0)
	ds_write_b64 v26, v[10:11] offset:25984
	ds_read_b64 v[10:11], v27 offset:24984
	s_waitcnt lgkmcnt(0)
	ds_write_b64 v26, v[10:11] offset:26496
.LBB165_836:
	s_or_b64 exec, exec, s[0:1]
	s_waitcnt lgkmcnt(0)
	s_barrier
	s_and_saveexec_b64 s[0:1], vcc
	s_cbranch_execz .LBB165_838
; %bb.837:
	v_mov_b32_e32 v28, 0
	ds_read_b64 v[10:11], v28 offset:26008
	s_mov_b64 s[10:11], 0x3f800000
	v_mov_b32_e32 v27, s11
	v_mov_b32_e32 v26, s10
	s_movk_i32 s10, 0x190
	ds_write_b64 v28, v[26:27] offset:26520
	v_add_u32_e64 v28, s10, 0
	s_waitcnt lgkmcnt(1)
	ds_write2st64_b64 v28, v[26:27], v[10:11] offset0:50 offset1:51
.LBB165_838:
	s_or_b64 exec, exec, s[0:1]
	v_mov_b32_e32 v11, 0
	v_mov_b32_e32 v10, 0
	s_waitcnt lgkmcnt(0)
	s_barrier
	s_and_saveexec_b64 s[0:1], s[18:19]
	s_cbranch_execz .LBB165_844
; %bb.839:
	v_mul_u32_u24_e32 v26, 0x208, v20
	ds_read_b64 v[10:11], v15 offset:24992
	ds_read_b64 v[27:28], v26 offset:24960
	v_cmp_gt_u32_e64 s[10:11], 12, v17
	s_waitcnt lgkmcnt(0)
	v_mul_f32_e32 v29, v28, v11
	v_mul_f32_e32 v11, v27, v11
	v_fma_f32 v27, v27, v10, -v29
	v_fmac_f32_e32 v11, v28, v10
	v_add_f32_e32 v10, 0, v27
	v_add_f32_e32 v11, 0, v11
	s_and_saveexec_b64 s[12:13], s[10:11]
	s_cbranch_execnz .LBB165_1099
; %bb.840:
	s_or_b64 exec, exec, s[12:13]
	v_cmp_gt_u32_e64 s[10:11], 8, v17
	s_and_saveexec_b64 s[12:13], s[10:11]
	s_cbranch_execnz .LBB165_1100
.LBB165_841:
	s_or_b64 exec, exec, s[12:13]
	v_cmp_gt_u32_e64 s[10:11], 4, v17
	s_and_saveexec_b64 s[12:13], s[10:11]
	s_cbranch_execz .LBB165_843
.LBB165_842:
	v_lshlrev_b32_e32 v26, 3, v0
	v_mov_b32_e32 v28, 0
	ds_read_b64 v[26:27], v26 offset:26528
	ds_read_b64 v[28:29], v28 offset:24984
	s_waitcnt lgkmcnt(0)
	v_mul_f32_e32 v30, v29, v27
	v_mul_f32_e32 v27, v28, v27
	v_fma_f32 v28, v28, v26, -v30
	v_fmac_f32_e32 v27, v29, v26
	v_add_f32_e32 v10, v10, v28
	v_add_f32_e32 v11, v11, v27
.LBB165_843:
	s_or_b64 exec, exec, s[12:13]
	v_xor_b32_e32 v10, 0x80000000, v10
	v_xor_b32_e32 v11, 0x80000000, v11
.LBB165_844:
	s_or_b64 exec, exec, s[0:1]
	s_and_saveexec_b64 s[0:1], s[48:49]
; %bb.845:
	ds_write_b64 v18, v[10:11]
; %bb.846:
	s_or_b64 exec, exec, s[0:1]
	s_waitcnt lgkmcnt(0)
	s_barrier
	s_and_saveexec_b64 s[0:1], s[50:51]
	s_cbranch_execz .LBB165_848
; %bb.847:
	ds_read_b64 v[26:27], v16 offset:27040
	ds_read_b64 v[28:29], v18
	s_waitcnt lgkmcnt(0)
	v_mul_f32_e32 v30, v29, v27
	v_mul_f32_e32 v27, v28, v27
	v_fma_f32 v28, v28, v26, -v30
	v_fmac_f32_e32 v27, v29, v26
	v_add_f32_e32 v10, v10, v28
	v_add_f32_e32 v11, v11, v27
.LBB165_848:
	s_or_b64 exec, exec, s[0:1]
	s_barrier
	s_and_saveexec_b64 s[0:1], s[52:53]
; %bb.849:
	ds_write_b64 v18, v[10:11]
; %bb.850:
	s_or_b64 exec, exec, s[0:1]
	s_waitcnt lgkmcnt(0)
	s_barrier
	s_and_saveexec_b64 s[0:1], s[54:55]
	s_cbranch_execz .LBB165_852
; %bb.851:
	ds_read_b64 v[26:27], v16 offset:27552
	ds_read_b64 v[28:29], v18
	s_waitcnt lgkmcnt(0)
	v_mul_f32_e32 v30, v29, v27
	v_mul_f32_e32 v27, v28, v27
	v_fma_f32 v28, v28, v26, -v30
	v_fmac_f32_e32 v27, v29, v26
	v_add_f32_e32 v10, v10, v28
	v_add_f32_e32 v11, v11, v27
.LBB165_852:
	s_or_b64 exec, exec, s[0:1]
	s_barrier
	s_and_saveexec_b64 s[0:1], s[56:57]
; %bb.853:
	ds_write_b64 v18, v[10:11]
; %bb.854:
	s_or_b64 exec, exec, s[0:1]
	s_waitcnt lgkmcnt(0)
	s_barrier
	s_and_saveexec_b64 s[0:1], s[46:47]
	s_cbranch_execz .LBB165_856
; %bb.855:
	v_mov_b32_e32 v26, 0
	ds_read_b64 v[26:27], v26 offset:28088
	ds_read_b64 v[28:29], v18
	s_waitcnt lgkmcnt(0)
	v_mul_f32_e32 v30, v29, v27
	v_mul_f32_e32 v27, v28, v27
	v_fma_f32 v28, v28, v26, -v30
	v_fmac_f32_e32 v27, v29, v26
	v_add_f32_e32 v10, v10, v28
	v_add_f32_e32 v11, v11, v27
.LBB165_856:
	s_or_b64 exec, exec, s[0:1]
	s_barrier
	s_and_saveexec_b64 s[0:1], s[46:47]
; %bb.857:
	ds_write_b64 v18, v[10:11]
; %bb.858:
	s_or_b64 exec, exec, s[0:1]
	s_waitcnt lgkmcnt(0)
	s_barrier
	s_barrier
	s_and_saveexec_b64 s[0:1], s[18:19]
; %bb.859:
	v_xor_b32_e32 v10, 0x80000000, v10
	v_xor_b32_e32 v11, 0x80000000, v11
	ds_write_b64 v15, v[10:11] offset:24992
; %bb.860:
	s_or_b64 exec, exec, s[0:1]
	s_waitcnt lgkmcnt(0)
	s_barrier
	s_barrier
	s_and_saveexec_b64 s[0:1], s[58:59]
	s_cbranch_execz .LBB165_862
; %bb.861:
	v_lshlrev_b32_e32 v26, 9, v0
	ds_read_b64 v[10:11], v26 offset:24992
	s_movk_i32 s10, 0xfe08
	v_mad_i32_i24 v27, v0, s10, v26
	s_waitcnt lgkmcnt(0)
	ds_write_b64 v27, v[10:11] offset:27008
	ds_read_b64 v[10:11], v26 offset:25000
	s_waitcnt lgkmcnt(0)
	ds_write_b64 v27, v[10:11] offset:27520
	ds_read_b64 v[10:11], v26 offset:25008
	;; [unrolled: 3-line block ×3, first 2 shown]
	s_waitcnt lgkmcnt(0)
	ds_write_b64 v27, v[10:11] offset:28544
.LBB165_862:
	s_or_b64 exec, exec, s[0:1]
	s_waitcnt lgkmcnt(0)
	s_barrier
	s_and_saveexec_b64 s[0:1], vcc
	s_cbranch_execz .LBB165_864
; %bb.863:
	v_mov_b32_e32 v28, 0
	ds_read_b64 v[10:11], v28 offset:27048
	s_mov_b64 s[10:11], 0x3f800000
	v_mov_b32_e32 v27, s11
	v_mov_b32_e32 v26, s10
	s_movk_i32 s10, 0x1a0
	ds_write_b64 v28, v[26:27] offset:27560
	v_add_u32_e64 v28, s10, 0
	s_waitcnt lgkmcnt(1)
	ds_write2st64_b64 v28, v[26:27], v[10:11] offset0:52 offset1:53
.LBB165_864:
	s_or_b64 exec, exec, s[0:1]
	v_mov_b32_e32 v11, 0
	v_mov_b32_e32 v10, 0
	s_waitcnt lgkmcnt(0)
	s_barrier
	s_and_saveexec_b64 s[0:1], s[2:3]
	s_cbranch_execz .LBB165_868
; %bb.865:
	v_mul_u32_u24_e32 v26, 0x208, v14
	ds_read_b64 v[10:11], v12 offset:27056
	ds_read_b64 v[26:27], v26 offset:27040
	v_cmp_gt_u32_e64 s[10:11], 2, v17
	s_waitcnt lgkmcnt(0)
	v_mul_f32_e32 v28, v27, v11
	v_mul_f32_e32 v11, v26, v11
	v_fma_f32 v26, v26, v10, -v28
	v_fmac_f32_e32 v11, v27, v10
	v_add_f32_e32 v10, 0, v26
	v_add_f32_e32 v11, 0, v11
	s_and_saveexec_b64 s[12:13], s[10:11]
	s_cbranch_execz .LBB165_867
; %bb.866:
	v_lshlrev_b32_e32 v26, 3, v0
	v_mov_b32_e32 v28, 0
	ds_read_b64 v[26:27], v26 offset:27568
	ds_read_b64 v[28:29], v28 offset:27048
	s_waitcnt lgkmcnt(0)
	v_mul_f32_e32 v30, v29, v27
	v_mul_f32_e32 v27, v28, v27
	v_fma_f32 v28, v28, v26, -v30
	v_fmac_f32_e32 v27, v29, v26
	v_add_f32_e32 v10, v10, v28
	v_add_f32_e32 v11, v11, v27
.LBB165_867:
	s_or_b64 exec, exec, s[12:13]
	v_xor_b32_e32 v10, 0x80000000, v10
	v_xor_b32_e32 v11, 0x80000000, v11
.LBB165_868:
	s_or_b64 exec, exec, s[0:1]
	s_and_saveexec_b64 s[0:1], s[42:43]
; %bb.869:
	ds_write_b64 v13, v[10:11]
; %bb.870:
	s_or_b64 exec, exec, s[0:1]
	s_waitcnt lgkmcnt(0)
	s_barrier
	s_and_saveexec_b64 s[0:1], s[40:41]
	s_cbranch_execz .LBB165_872
; %bb.871:
	v_mov_b32_e32 v26, 0
	ds_read_b64 v[26:27], v26 offset:28088
	ds_read_b64 v[28:29], v13
	s_waitcnt lgkmcnt(0)
	v_mul_f32_e32 v30, v29, v27
	v_mul_f32_e32 v27, v28, v27
	v_fma_f32 v28, v28, v26, -v30
	v_fmac_f32_e32 v27, v29, v26
	v_add_f32_e32 v10, v10, v28
	v_add_f32_e32 v11, v11, v27
.LBB165_872:
	s_or_b64 exec, exec, s[0:1]
	s_barrier
	s_and_saveexec_b64 s[0:1], s[40:41]
; %bb.873:
	ds_write_b64 v13, v[10:11]
; %bb.874:
	s_or_b64 exec, exec, s[0:1]
	s_waitcnt lgkmcnt(0)
	s_barrier
	s_barrier
	s_and_saveexec_b64 s[0:1], s[2:3]
; %bb.875:
	v_xor_b32_e32 v11, 0x80000000, v11
	v_xor_b32_e32 v10, 0x80000000, v10
	ds_write_b64 v12, v[10:11] offset:27056
; %bb.876:
	s_or_b64 exec, exec, s[0:1]
	s_waitcnt lgkmcnt(0)
	s_barrier
	s_barrier
	s_and_saveexec_b64 s[0:1], s[44:45]
	s_cbranch_execz .LBB165_878
; %bb.877:
	v_lshlrev_b32_e32 v26, 3, v0
	s_movk_i32 s10, 0x1f8
	v_mad_u32_u24 v27, v0, s10, v26
	ds_read_b64 v[10:11], v27 offset:27056
	s_waitcnt lgkmcnt(0)
	ds_write_b64 v26, v[10:11] offset:28064
	ds_read_b64 v[10:11], v27 offset:27064
	s_waitcnt lgkmcnt(0)
	ds_write_b64 v26, v[10:11] offset:28576
.LBB165_878:
	s_or_b64 exec, exec, s[0:1]
	s_waitcnt lgkmcnt(0)
	s_barrier
	s_and_saveexec_b64 s[0:1], vcc
	s_cbranch_execz .LBB165_880
; %bb.879:
	v_mov_b32_e32 v28, 0
	ds_read_b64 v[10:11], v28 offset:28088
	s_mov_b64 s[10:11], 0x3f800000
	v_mov_b32_e32 v27, s11
	v_mov_b32_e32 v26, s10
	s_movk_i32 s10, 0x1b0
	ds_write_b64 v28, v[26:27] offset:28600
	v_add_u32_e64 v28, s10, 0
	s_waitcnt lgkmcnt(1)
	ds_write2st64_b64 v28, v[26:27], v[10:11] offset0:54 offset1:55
.LBB165_880:
	s_or_b64 exec, exec, s[0:1]
	v_mov_b32_e32 v11, 0
	v_mov_b32_e32 v10, 0
	s_waitcnt lgkmcnt(0)
	s_barrier
	s_and_saveexec_b64 s[0:1], s[8:9]
	s_cbranch_execz .LBB165_890
; %bb.881:
	v_mul_u32_u24_e32 v26, 0x208, v25
	ds_read_b64 v[10:11], v21 offset:25024
	ds_read_b64 v[27:28], v26 offset:24960
	v_cmp_gt_u32_e64 s[10:11], 56, v17
	s_waitcnt lgkmcnt(0)
	v_mul_f32_e32 v29, v28, v11
	v_mul_f32_e32 v11, v27, v11
	v_fma_f32 v27, v27, v10, -v29
	v_fmac_f32_e32 v11, v28, v10
	v_add_f32_e32 v10, 0, v27
	v_add_f32_e32 v11, 0, v11
	s_and_saveexec_b64 s[12:13], s[10:11]
	s_cbranch_execnz .LBB165_1101
; %bb.882:
	s_or_b64 exec, exec, s[12:13]
	v_cmp_gt_u32_e64 s[10:11], 48, v17
	s_and_saveexec_b64 s[12:13], s[10:11]
	s_cbranch_execnz .LBB165_1102
.LBB165_883:
	s_or_b64 exec, exec, s[12:13]
	v_cmp_gt_u32_e64 s[10:11], 40, v17
	s_and_saveexec_b64 s[12:13], s[10:11]
	s_cbranch_execnz .LBB165_1103
.LBB165_884:
	s_or_b64 exec, exec, s[12:13]
	v_cmp_gt_u32_e64 s[10:11], 32, v17
	s_and_saveexec_b64 s[12:13], s[10:11]
	s_cbranch_execnz .LBB165_1104
.LBB165_885:
	s_or_b64 exec, exec, s[12:13]
	v_cmp_gt_u32_e64 s[10:11], 24, v17
	s_and_saveexec_b64 s[12:13], s[10:11]
	s_cbranch_execnz .LBB165_1105
.LBB165_886:
	s_or_b64 exec, exec, s[12:13]
	v_cmp_gt_u32_e64 s[10:11], 16, v17
	s_and_saveexec_b64 s[12:13], s[10:11]
	s_cbranch_execnz .LBB165_1106
.LBB165_887:
	s_or_b64 exec, exec, s[12:13]
	v_cmp_gt_u32_e64 s[10:11], 8, v17
	s_and_saveexec_b64 s[12:13], s[10:11]
	s_cbranch_execz .LBB165_889
.LBB165_888:
	v_lshlrev_b32_e32 v24, 3, v0
	v_mov_b32_e32 v26, 0
	ds_read_b64 v[24:25], v24 offset:28608
	ds_read_b64 v[26:27], v26 offset:25016
	s_waitcnt lgkmcnt(0)
	v_mul_f32_e32 v28, v27, v25
	v_mul_f32_e32 v25, v26, v25
	v_fma_f32 v26, v26, v24, -v28
	v_fmac_f32_e32 v25, v27, v24
	v_add_f32_e32 v10, v10, v26
	v_add_f32_e32 v11, v11, v25
.LBB165_889:
	s_or_b64 exec, exec, s[12:13]
	v_xor_b32_e32 v10, 0x80000000, v10
	v_xor_b32_e32 v11, 0x80000000, v11
.LBB165_890:
	s_or_b64 exec, exec, s[0:1]
	s_and_saveexec_b64 s[0:1], s[62:63]
; %bb.891:
	ds_write_b64 v23, v[10:11]
; %bb.892:
	s_or_b64 exec, exec, s[0:1]
	s_waitcnt lgkmcnt(0)
	s_barrier
	s_and_saveexec_b64 s[0:1], s[64:65]
	s_cbranch_execz .LBB165_894
; %bb.893:
	ds_read_b64 v[24:25], v22 offset:29120
	ds_read_b64 v[26:27], v23
	s_waitcnt lgkmcnt(0)
	v_mul_f32_e32 v28, v27, v25
	v_mul_f32_e32 v25, v26, v25
	v_fma_f32 v26, v26, v24, -v28
	v_fmac_f32_e32 v25, v27, v24
	v_add_f32_e32 v10, v10, v26
	v_add_f32_e32 v11, v11, v25
.LBB165_894:
	s_or_b64 exec, exec, s[0:1]
	s_barrier
	s_and_saveexec_b64 s[0:1], s[66:67]
; %bb.895:
	ds_write_b64 v23, v[10:11]
; %bb.896:
	s_or_b64 exec, exec, s[0:1]
	s_waitcnt lgkmcnt(0)
	s_barrier
	s_and_saveexec_b64 s[0:1], s[68:69]
	s_cbranch_execz .LBB165_898
; %bb.897:
	ds_read_b64 v[24:25], v22 offset:29632
	ds_read_b64 v[26:27], v23
	s_waitcnt lgkmcnt(0)
	v_mul_f32_e32 v28, v27, v25
	v_mul_f32_e32 v25, v26, v25
	v_fma_f32 v26, v26, v24, -v28
	v_fmac_f32_e32 v25, v27, v24
	v_add_f32_e32 v10, v10, v26
	v_add_f32_e32 v11, v11, v25
.LBB165_898:
	s_or_b64 exec, exec, s[0:1]
	s_barrier
	;; [unrolled: 22-line block ×6, first 2 shown]
	s_and_saveexec_b64 s[0:1], s[86:87]
; %bb.915:
	ds_write_b64 v23, v[10:11]
; %bb.916:
	s_or_b64 exec, exec, s[0:1]
	s_waitcnt lgkmcnt(0)
	s_barrier
	s_and_saveexec_b64 s[0:1], s[60:61]
	s_cbranch_execz .LBB165_918
; %bb.917:
	v_mov_b32_e32 v22, 0
	ds_read_b64 v[24:25], v22 offset:32248
	ds_read_b64 v[26:27], v23
	s_waitcnt lgkmcnt(0)
	v_mul_f32_e32 v22, v27, v25
	v_mul_f32_e32 v25, v26, v25
	v_fma_f32 v22, v26, v24, -v22
	v_fmac_f32_e32 v25, v27, v24
	v_add_f32_e32 v10, v10, v22
	v_add_f32_e32 v11, v11, v25
.LBB165_918:
	s_or_b64 exec, exec, s[0:1]
	s_barrier
	s_and_saveexec_b64 s[0:1], s[60:61]
; %bb.919:
	ds_write_b64 v23, v[10:11]
; %bb.920:
	s_or_b64 exec, exec, s[0:1]
	s_waitcnt lgkmcnt(0)
	s_barrier
	s_barrier
	s_and_saveexec_b64 s[0:1], s[8:9]
; %bb.921:
	v_xor_b32_e32 v11, 0x80000000, v11
	v_xor_b32_e32 v10, 0x80000000, v10
	ds_write_b64 v21, v[10:11] offset:25024
; %bb.922:
	s_or_b64 exec, exec, s[0:1]
	s_waitcnt lgkmcnt(0)
	s_barrier
	s_barrier
	s_and_saveexec_b64 s[0:1], s[88:89]
	s_cbranch_execz .LBB165_924
; %bb.923:
	v_lshlrev_b32_e32 v21, 9, v0
	ds_read_b64 v[10:11], v21 offset:25024
	s_movk_i32 s8, 0xfe08
	v_mad_i32_i24 v22, v0, s8, v21
	s_waitcnt lgkmcnt(0)
	ds_write_b64 v22, v[10:11] offset:29056
	ds_read_b64 v[10:11], v21 offset:25032
	s_waitcnt lgkmcnt(0)
	ds_write_b64 v22, v[10:11] offset:29568
	ds_read_b64 v[10:11], v21 offset:25040
	;; [unrolled: 3-line block ×7, first 2 shown]
	s_waitcnt lgkmcnt(0)
	ds_write_b64 v22, v[10:11] offset:32640
.LBB165_924:
	s_or_b64 exec, exec, s[0:1]
	s_waitcnt lgkmcnt(0)
	s_barrier
	s_and_saveexec_b64 s[0:1], vcc
	s_cbranch_execz .LBB165_926
; %bb.925:
	v_mov_b32_e32 v23, 0
	ds_read_b64 v[10:11], v23 offset:29128
	s_mov_b64 s[8:9], 0x3f800000
	v_mov_b32_e32 v22, s9
	v_mov_b32_e32 v21, s8
	s_movk_i32 s8, 0x1c0
	ds_write_b64 v23, v[21:22] offset:29640
	v_add_u32_e64 v23, s8, 0
	s_waitcnt lgkmcnt(1)
	ds_write2st64_b64 v23, v[21:22], v[10:11] offset0:56 offset1:57
.LBB165_926:
	s_or_b64 exec, exec, s[0:1]
	v_mov_b32_e32 v11, 0
	v_mov_b32_e32 v10, 0
	s_waitcnt lgkmcnt(0)
	s_barrier
	s_and_saveexec_b64 s[0:1], s[2:3]
	s_cbranch_execz .LBB165_930
; %bb.927:
	v_mul_u32_u24_e32 v21, 0x208, v14
	ds_read_b64 v[10:11], v12 offset:29136
	ds_read_b64 v[21:22], v21 offset:29120
	v_cmp_gt_u32_e64 s[8:9], 2, v17
	s_waitcnt lgkmcnt(0)
	v_mul_f32_e32 v23, v22, v11
	v_mul_f32_e32 v11, v21, v11
	v_fma_f32 v21, v21, v10, -v23
	v_fmac_f32_e32 v11, v22, v10
	v_add_f32_e32 v10, 0, v21
	v_add_f32_e32 v11, 0, v11
	s_and_saveexec_b64 s[10:11], s[8:9]
	s_cbranch_execz .LBB165_929
; %bb.928:
	v_lshlrev_b32_e32 v21, 3, v0
	v_mov_b32_e32 v23, 0
	ds_read_b64 v[21:22], v21 offset:29648
	ds_read_b64 v[23:24], v23 offset:29128
	s_waitcnt lgkmcnt(0)
	v_mul_f32_e32 v25, v24, v22
	v_mul_f32_e32 v22, v23, v22
	v_fma_f32 v23, v23, v21, -v25
	v_fmac_f32_e32 v22, v24, v21
	v_add_f32_e32 v10, v10, v23
	v_add_f32_e32 v11, v11, v22
.LBB165_929:
	s_or_b64 exec, exec, s[10:11]
	v_xor_b32_e32 v10, 0x80000000, v10
	v_xor_b32_e32 v11, 0x80000000, v11
.LBB165_930:
	s_or_b64 exec, exec, s[0:1]
	s_and_saveexec_b64 s[0:1], s[42:43]
; %bb.931:
	ds_write_b64 v13, v[10:11]
; %bb.932:
	s_or_b64 exec, exec, s[0:1]
	s_waitcnt lgkmcnt(0)
	s_barrier
	s_and_saveexec_b64 s[0:1], s[40:41]
	s_cbranch_execz .LBB165_934
; %bb.933:
	v_mov_b32_e32 v21, 0
	ds_read_b64 v[21:22], v21 offset:30168
	ds_read_b64 v[23:24], v13
	s_waitcnt lgkmcnt(0)
	v_mul_f32_e32 v25, v24, v22
	v_mul_f32_e32 v22, v23, v22
	v_fma_f32 v23, v23, v21, -v25
	v_fmac_f32_e32 v22, v24, v21
	v_add_f32_e32 v10, v10, v23
	v_add_f32_e32 v11, v11, v22
.LBB165_934:
	s_or_b64 exec, exec, s[0:1]
	s_barrier
	s_and_saveexec_b64 s[0:1], s[40:41]
; %bb.935:
	ds_write_b64 v13, v[10:11]
; %bb.936:
	s_or_b64 exec, exec, s[0:1]
	s_waitcnt lgkmcnt(0)
	s_barrier
	s_barrier
	s_and_saveexec_b64 s[0:1], s[2:3]
; %bb.937:
	v_xor_b32_e32 v11, 0x80000000, v11
	v_xor_b32_e32 v10, 0x80000000, v10
	ds_write_b64 v12, v[10:11] offset:29136
; %bb.938:
	s_or_b64 exec, exec, s[0:1]
	s_waitcnt lgkmcnt(0)
	s_barrier
	s_barrier
	s_and_saveexec_b64 s[0:1], s[44:45]
	s_cbranch_execz .LBB165_940
; %bb.939:
	v_lshlrev_b32_e32 v21, 3, v0
	s_movk_i32 s8, 0x1f8
	v_mad_u32_u24 v22, v0, s8, v21
	ds_read_b64 v[10:11], v22 offset:29136
	s_waitcnt lgkmcnt(0)
	ds_write_b64 v21, v[10:11] offset:30144
	ds_read_b64 v[10:11], v22 offset:29144
	s_waitcnt lgkmcnt(0)
	ds_write_b64 v21, v[10:11] offset:30656
.LBB165_940:
	s_or_b64 exec, exec, s[0:1]
	s_waitcnt lgkmcnt(0)
	s_barrier
	s_and_saveexec_b64 s[0:1], vcc
	s_cbranch_execz .LBB165_942
; %bb.941:
	v_mov_b32_e32 v23, 0
	ds_read_b64 v[10:11], v23 offset:30168
	s_mov_b64 s[8:9], 0x3f800000
	v_mov_b32_e32 v22, s9
	v_mov_b32_e32 v21, s8
	s_movk_i32 s8, 0x1d0
	ds_write_b64 v23, v[21:22] offset:30680
	v_add_u32_e64 v23, s8, 0
	s_waitcnt lgkmcnt(1)
	ds_write2st64_b64 v23, v[21:22], v[10:11] offset0:58 offset1:59
.LBB165_942:
	s_or_b64 exec, exec, s[0:1]
	v_mov_b32_e32 v11, 0
	v_mov_b32_e32 v10, 0
	s_waitcnt lgkmcnt(0)
	s_barrier
	s_and_saveexec_b64 s[0:1], s[18:19]
	s_cbranch_execz .LBB165_948
; %bb.943:
	v_mul_u32_u24_e32 v21, 0x208, v20
	ds_read_b64 v[10:11], v15 offset:29152
	ds_read_b64 v[22:23], v21 offset:29120
	v_cmp_gt_u32_e64 s[8:9], 12, v17
	s_waitcnt lgkmcnt(0)
	v_mul_f32_e32 v24, v23, v11
	v_mul_f32_e32 v11, v22, v11
	v_fma_f32 v22, v22, v10, -v24
	v_fmac_f32_e32 v11, v23, v10
	v_add_f32_e32 v10, 0, v22
	v_add_f32_e32 v11, 0, v11
	s_and_saveexec_b64 s[10:11], s[8:9]
	s_cbranch_execnz .LBB165_1107
; %bb.944:
	s_or_b64 exec, exec, s[10:11]
	v_cmp_gt_u32_e64 s[8:9], 8, v17
	s_and_saveexec_b64 s[10:11], s[8:9]
	s_cbranch_execnz .LBB165_1108
.LBB165_945:
	s_or_b64 exec, exec, s[10:11]
	v_cmp_gt_u32_e64 s[8:9], 4, v17
	s_and_saveexec_b64 s[10:11], s[8:9]
	s_cbranch_execz .LBB165_947
.LBB165_946:
	v_lshlrev_b32_e32 v19, 3, v0
	v_mov_b32_e32 v21, 0
	ds_read_b64 v[19:20], v19 offset:30688
	ds_read_b64 v[21:22], v21 offset:29144
	s_waitcnt lgkmcnt(0)
	v_mul_f32_e32 v23, v22, v20
	v_mul_f32_e32 v20, v21, v20
	v_fma_f32 v21, v21, v19, -v23
	v_fmac_f32_e32 v20, v22, v19
	v_add_f32_e32 v10, v10, v21
	v_add_f32_e32 v11, v11, v20
.LBB165_947:
	s_or_b64 exec, exec, s[10:11]
	v_xor_b32_e32 v10, 0x80000000, v10
	v_xor_b32_e32 v11, 0x80000000, v11
.LBB165_948:
	s_or_b64 exec, exec, s[0:1]
	s_and_saveexec_b64 s[0:1], s[48:49]
; %bb.949:
	ds_write_b64 v18, v[10:11]
; %bb.950:
	s_or_b64 exec, exec, s[0:1]
	s_waitcnt lgkmcnt(0)
	s_barrier
	s_and_saveexec_b64 s[0:1], s[50:51]
	s_cbranch_execz .LBB165_952
; %bb.951:
	ds_read_b64 v[19:20], v16 offset:31200
	ds_read_b64 v[21:22], v18
	s_waitcnt lgkmcnt(0)
	v_mul_f32_e32 v23, v22, v20
	v_mul_f32_e32 v20, v21, v20
	v_fma_f32 v21, v21, v19, -v23
	v_fmac_f32_e32 v20, v22, v19
	v_add_f32_e32 v10, v10, v21
	v_add_f32_e32 v11, v11, v20
.LBB165_952:
	s_or_b64 exec, exec, s[0:1]
	s_barrier
	s_and_saveexec_b64 s[0:1], s[52:53]
; %bb.953:
	ds_write_b64 v18, v[10:11]
; %bb.954:
	s_or_b64 exec, exec, s[0:1]
	s_waitcnt lgkmcnt(0)
	s_barrier
	s_and_saveexec_b64 s[0:1], s[54:55]
	s_cbranch_execz .LBB165_956
; %bb.955:
	ds_read_b64 v[19:20], v16 offset:31712
	ds_read_b64 v[21:22], v18
	s_waitcnt lgkmcnt(0)
	v_mul_f32_e32 v16, v22, v20
	v_mul_f32_e32 v20, v21, v20
	v_fma_f32 v16, v21, v19, -v16
	v_fmac_f32_e32 v20, v22, v19
	v_add_f32_e32 v10, v10, v16
	v_add_f32_e32 v11, v11, v20
.LBB165_956:
	s_or_b64 exec, exec, s[0:1]
	s_barrier
	s_and_saveexec_b64 s[0:1], s[56:57]
; %bb.957:
	ds_write_b64 v18, v[10:11]
; %bb.958:
	s_or_b64 exec, exec, s[0:1]
	s_waitcnt lgkmcnt(0)
	s_barrier
	s_and_saveexec_b64 s[0:1], s[46:47]
	s_cbranch_execz .LBB165_960
; %bb.959:
	v_mov_b32_e32 v16, 0
	ds_read_b64 v[19:20], v16 offset:32248
	ds_read_b64 v[21:22], v18
	s_waitcnt lgkmcnt(0)
	v_mul_f32_e32 v16, v22, v20
	v_mul_f32_e32 v20, v21, v20
	v_fma_f32 v16, v21, v19, -v16
	v_fmac_f32_e32 v20, v22, v19
	v_add_f32_e32 v10, v10, v16
	v_add_f32_e32 v11, v11, v20
.LBB165_960:
	s_or_b64 exec, exec, s[0:1]
	s_barrier
	s_and_saveexec_b64 s[0:1], s[46:47]
; %bb.961:
	ds_write_b64 v18, v[10:11]
; %bb.962:
	s_or_b64 exec, exec, s[0:1]
	s_waitcnt lgkmcnt(0)
	s_barrier
	s_barrier
	s_and_saveexec_b64 s[0:1], s[18:19]
; %bb.963:
	v_xor_b32_e32 v10, 0x80000000, v10
	v_xor_b32_e32 v11, 0x80000000, v11
	ds_write_b64 v15, v[10:11] offset:29152
; %bb.964:
	s_or_b64 exec, exec, s[0:1]
	s_waitcnt lgkmcnt(0)
	s_barrier
	s_barrier
	s_and_saveexec_b64 s[0:1], s[58:59]
	s_cbranch_execz .LBB165_966
; %bb.965:
	v_lshlrev_b32_e32 v15, 9, v0
	ds_read_b64 v[10:11], v15 offset:29152
	s_movk_i32 s8, 0xfe08
	v_mad_i32_i24 v16, v0, s8, v15
	s_waitcnt lgkmcnt(0)
	ds_write_b64 v16, v[10:11] offset:31168
	ds_read_b64 v[10:11], v15 offset:29160
	s_waitcnt lgkmcnt(0)
	ds_write_b64 v16, v[10:11] offset:31680
	ds_read_b64 v[10:11], v15 offset:29168
	;; [unrolled: 3-line block ×3, first 2 shown]
	s_waitcnt lgkmcnt(0)
	ds_write_b64 v16, v[10:11] offset:32704
.LBB165_966:
	s_or_b64 exec, exec, s[0:1]
	s_waitcnt lgkmcnt(0)
	s_barrier
	s_and_saveexec_b64 s[0:1], vcc
	s_cbranch_execz .LBB165_968
; %bb.967:
	v_mov_b32_e32 v18, 0
	ds_read_b64 v[10:11], v18 offset:31208
	s_mov_b64 s[8:9], 0x3f800000
	v_mov_b32_e32 v16, s9
	v_mov_b32_e32 v15, s8
	s_movk_i32 s8, 0x1e0
	ds_write_b64 v18, v[15:16] offset:31720
	v_add_u32_e64 v18, s8, 0
	s_waitcnt lgkmcnt(1)
	ds_write2st64_b64 v18, v[15:16], v[10:11] offset0:60 offset1:61
.LBB165_968:
	s_or_b64 exec, exec, s[0:1]
	v_mov_b32_e32 v11, 0
	v_mov_b32_e32 v10, 0
	s_waitcnt lgkmcnt(0)
	s_barrier
	s_and_saveexec_b64 s[0:1], s[2:3]
	s_cbranch_execz .LBB165_972
; %bb.969:
	v_mul_u32_u24_e32 v14, 0x208, v14
	ds_read_b64 v[10:11], v12 offset:31216
	ds_read_b64 v[14:15], v14 offset:31200
	v_cmp_gt_u32_e64 s[8:9], 2, v17
	s_waitcnt lgkmcnt(0)
	v_mul_f32_e32 v16, v15, v11
	v_mul_f32_e32 v11, v14, v11
	v_fma_f32 v14, v14, v10, -v16
	v_fmac_f32_e32 v11, v15, v10
	v_add_f32_e32 v10, 0, v14
	v_add_f32_e32 v11, 0, v11
	s_and_saveexec_b64 s[10:11], s[8:9]
	s_cbranch_execz .LBB165_971
; %bb.970:
	v_lshlrev_b32_e32 v14, 3, v0
	v_mov_b32_e32 v16, 0
	ds_read_b64 v[14:15], v14 offset:31728
	ds_read_b64 v[18:19], v16 offset:31208
	s_waitcnt lgkmcnt(0)
	v_mul_f32_e32 v16, v19, v15
	v_mul_f32_e32 v15, v18, v15
	v_fma_f32 v16, v18, v14, -v16
	v_fmac_f32_e32 v15, v19, v14
	v_add_f32_e32 v10, v10, v16
	v_add_f32_e32 v11, v11, v15
.LBB165_971:
	s_or_b64 exec, exec, s[10:11]
	v_xor_b32_e32 v10, 0x80000000, v10
	v_xor_b32_e32 v11, 0x80000000, v11
.LBB165_972:
	s_or_b64 exec, exec, s[0:1]
	s_and_saveexec_b64 s[0:1], s[42:43]
; %bb.973:
	ds_write_b64 v13, v[10:11]
; %bb.974:
	s_or_b64 exec, exec, s[0:1]
	s_waitcnt lgkmcnt(0)
	s_barrier
	s_and_saveexec_b64 s[0:1], s[40:41]
	s_load_dwordx2 s[16:17], s[4:5], 0x28
	v_readlane_b32 s42, v42, 0
	v_readlane_b32 s43, v42, 1
	s_cbranch_execz .LBB165_976
; %bb.975:
	v_mov_b32_e32 v14, 0
	ds_read_b64 v[14:15], v14 offset:32248
	ds_read_b64 v[18:19], v13
	s_waitcnt lgkmcnt(0)
	v_mul_f32_e32 v16, v19, v15
	v_mul_f32_e32 v15, v18, v15
	v_fma_f32 v16, v18, v14, -v16
	v_fmac_f32_e32 v15, v19, v14
	v_add_f32_e32 v10, v10, v16
	v_add_f32_e32 v11, v11, v15
.LBB165_976:
	s_or_b64 exec, exec, s[0:1]
	s_waitcnt lgkmcnt(0)
	s_barrier
	s_and_saveexec_b64 s[0:1], s[40:41]
; %bb.977:
	ds_write_b64 v13, v[10:11]
; %bb.978:
	s_or_b64 exec, exec, s[0:1]
	s_waitcnt lgkmcnt(0)
	s_barrier
	s_barrier
	s_and_saveexec_b64 s[0:1], s[2:3]
; %bb.979:
	v_xor_b32_e32 v11, 0x80000000, v11
	v_xor_b32_e32 v10, 0x80000000, v10
	ds_write_b64 v12, v[10:11] offset:31216
; %bb.980:
	s_or_b64 exec, exec, s[0:1]
	s_waitcnt lgkmcnt(0)
	s_barrier
	s_barrier
	s_and_saveexec_b64 s[0:1], s[44:45]
	s_cbranch_execz .LBB165_982
; %bb.981:
	v_lshlrev_b32_e32 v12, 3, v0
	s_movk_i32 s2, 0x1f8
	v_mad_u32_u24 v13, v0, s2, v12
	ds_read_b64 v[10:11], v13 offset:31216
	s_waitcnt lgkmcnt(0)
	ds_write_b64 v12, v[10:11] offset:32224
	ds_read_b64 v[10:11], v13 offset:31224
	s_waitcnt lgkmcnt(0)
	ds_write_b64 v12, v[10:11] offset:32736
.LBB165_982:
	s_or_b64 exec, exec, s[0:1]
	s_waitcnt lgkmcnt(0)
	s_barrier
	s_and_saveexec_b64 s[0:1], vcc
	s_cbranch_execz .LBB165_984
; %bb.983:
	v_mov_b32_e32 v14, 0
	ds_read_b64 v[10:11], v14 offset:32248
	s_mov_b64 s[2:3], 0x3f800000
	v_mov_b32_e32 v13, s3
	v_mov_b32_e32 v12, s2
	s_movk_i32 s2, 0x1f0
	ds_write_b64 v14, v[12:13] offset:32760
	v_add_u32_e64 v14, s2, 0
	s_waitcnt lgkmcnt(1)
	ds_write2st64_b64 v14, v[12:13], v[10:11] offset0:62 offset1:63
.LBB165_984:
	s_or_b64 exec, exec, s[0:1]
.LBB165_985:
	s_load_dwordx4 s[0:3], s[4:5], 0x30
	v_cmp_le_i32_e32 vcc, s94, v0
	v_mov_b32_e32 v10, 0
	v_lshl_add_u32 v12, s33, 6, v0
	v_mov_b32_e32 v11, v10
	s_waitcnt lgkmcnt(0)
	s_lshl_b64 s[0:1], s[2:3], 3
	s_add_u32 s20, s38, s0
	s_addc_u32 s21, s39, s1
	s_and_b64 s[14:15], vcc, s[30:31]
	v_cmp_eq_u32_e64 s[2:3], 0, v1
	s_xor_b64 s[0:1], s[14:15], -1
	s_and_b64 s[8:9], s[2:3], s[0:1]
	s_barrier
	s_and_saveexec_b64 s[0:1], s[8:9]
	s_cbranch_execz .LBB165_987
; %bb.986:
	v_ashrrev_i32_e32 v13, 31, v12
	v_mul_lo_u32 v14, s27, v12
	v_mad_u64_u32 v[10:11], s[8:9], s26, v12, 0
	v_mul_lo_u32 v13, s26, v13
	v_add3_u32 v11, v11, v13, v14
	v_lshlrev_b64 v[10:11], 3, v[10:11]
	v_mov_b32_e32 v13, s21
	v_add_co_u32_e32 v10, vcc, s20, v10
	v_addc_co_u32_e32 v11, vcc, v13, v11, vcc
	flat_load_dwordx2 v[13:14], v[10:11]
	s_waitcnt vmcnt(0) lgkmcnt(0)
	v_mul_f32_e32 v10, s16, v13
	v_mul_f32_e32 v11, s16, v14
	v_fma_f32 v10, s17, v14, -v10
	v_fma_f32 v11, v13, -s17, -v11
.LBB165_987:
	s_or_b64 exec, exec, s[0:1]
	s_load_dwordx2 s[0:1], s[4:5], 0x50
	s_and_b32 s4, 0xffff, s37
	v_mad_u32_u24 v18, v1, s4, v0
	s_cmp_lt_i32 s6, 1
	v_cmp_eq_u32_e64 s[4:5], 0, v18
	s_cbranch_scc1 .LBB165_1022
; %bb.988:
	v_ashrrev_i32_e32 v15, 31, v12
	v_mul_lo_u32 v16, s35, v12
	v_mad_u64_u32 v[13:14], s[8:9], s34, v12, 0
	v_mul_lo_u32 v15, s34, v15
	s_lshl_b64 s[8:9], s[24:25], 2
	s_waitcnt lgkmcnt(0)
	s_add_u32 s16, s0, s8
	s_addc_u32 s17, s1, s9
	v_add3_u32 v14, v14, v15, v16
	v_cmp_gt_i32_e64 s[8:9], s28, v12
	v_lshlrev_b64 v[12:13], 3, v[13:14]
	v_mov_b32_e32 v15, 0xa000
	v_mov_b32_e32 v14, s36
	v_add_co_u32_e32 v21, vcc, s95, v12
	s_mov_b32 s22, 0
	v_cmp_gt_u32_e64 s[12:13], 64, v18
	v_lshl_add_u32 v19, v18, 3, v15
	v_lshl_or_b32 v20, v1, 3, v15
	s_add_i32 s23, s33, 1
	v_addc_co_u32_e32 v22, vcc, v14, v13, vcc
	v_mov_b32_e32 v23, -1
	v_mov_b32_e32 v12, 0
	s_branch .LBB165_991
.LBB165_989:                            ;   in Loop: Header=BB165_991 Depth=1
	ds_read_b64 v[13:14], v20 offset:384
	s_waitcnt vmcnt(0) lgkmcnt(0)
	v_mul_f32_e32 v24, v16, v14
	v_mul_f32_e32 v16, v16, v13
	v_fmac_f32_e32 v24, v15, v13
	v_fma_f32 v13, v15, v14, -v16
	v_add_f32_e32 v10, v10, v24
	v_add_f32_e32 v11, v11, v13
.LBB165_990:                            ;   in Loop: Header=BB165_991 Depth=1
	s_or_b64 exec, exec, s[18:19]
	s_add_i32 s22, s22, 1
	s_cmp_eq_u32 s22, s6
	s_cbranch_scc1 .LBB165_1022
.LBB165_991:                            ; =>This Loop Header: Depth=1
                                        ;     Child Loop BB165_993 Depth 2
	v_cmp_gt_i32_e32 vcc, s22, v23
	s_and_b64 s[18:19], s[4:5], vcc
	s_and_saveexec_b64 s[10:11], s[18:19]
	s_cbranch_execz .LBB165_994
; %bb.992:                              ;   in Loop: Header=BB165_991 Depth=1
	global_load_dword v23, v12, s[16:17]
	s_waitcnt vmcnt(0)
	v_cmp_le_i32_e32 vcc, s22, v23
	s_cbranch_vccnz .LBB165_994
.LBB165_993:                            ;   Parent Loop BB165_991 Depth=1
                                        ; =>  This Inner Loop Header: Depth=2
	buffer_wbinvl1_vol
	global_load_dword v23, v12, s[16:17]
	s_waitcnt vmcnt(0)
	v_cmp_gt_i32_e32 vcc, s22, v23
	s_cbranch_vccnz .LBB165_993
.LBB165_994:                            ;   in Loop: Header=BB165_991 Depth=1
	s_or_b64 exec, exec, s[10:11]
	s_sub_i32 s34, s7, s22
	s_lshl_b32 s35, s34, 6
	buffer_wbinvl1_vol
	s_barrier
	s_and_saveexec_b64 s[10:11], s[12:13]
	s_cbranch_execz .LBB165_999
; %bb.995:                              ;   in Loop: Header=BB165_991 Depth=1
	s_ashr_i32 s18, s35, 31
	v_mov_b32_e32 v14, s18
	v_or_b32_e32 v13, s35, v18
	v_cmp_le_i64_e32 vcc, s[28:29], v[13:14]
	s_and_saveexec_b64 s[18:19], vcc
	s_xor_b64 s[18:19], exec, s[18:19]
; %bb.996:                              ;   in Loop: Header=BB165_991 Depth=1
	v_mov_b32_e32 v13, v12
	ds_write_b64 v19, v[12:13]
                                        ; implicit-def: $vgpr13_vgpr14
; %bb.997:                              ;   in Loop: Header=BB165_991 Depth=1
	s_andn2_saveexec_b64 s[18:19], s[18:19]
	s_cbranch_execz .LBB165_999
; %bb.998:                              ;   in Loop: Header=BB165_991 Depth=1
	v_mul_lo_u32 v15, v14, s26
	v_mul_lo_u32 v16, v13, s27
	v_mad_u64_u32 v[13:14], s[18:19], v13, s26, 0
	v_add3_u32 v14, v14, v16, v15
	v_lshlrev_b64 v[13:14], 3, v[13:14]
	v_mov_b32_e32 v15, s21
	v_add_co_u32_e32 v13, vcc, s20, v13
	v_addc_co_u32_e32 v14, vcc, v15, v14, vcc
	flat_load_dwordx2 v[13:14], v[13:14]
	s_waitcnt vmcnt(0) lgkmcnt(0)
	ds_write_b64 v19, v[13:14]
.LBB165_999:                            ;   in Loop: Header=BB165_991 Depth=1
	s_or_b64 exec, exec, s[10:11]
	v_add_u32_e32 v15, s35, v1
	v_ashrrev_i32_e32 v16, 31, v15
	v_lshlrev_b64 v[13:14], 3, v[15:16]
	s_cmp_lg_u32 s34, s23
	v_add_co_u32_e32 v13, vcc, v21, v13
	s_cselect_b64 s[10:11], -1, 0
	v_addc_co_u32_e32 v14, vcc, v22, v14, vcc
	v_cmp_gt_i32_e32 vcc, s28, v15
	v_cndmask_b32_e64 v16, 0, 1, s[10:11]
	s_and_b64 s[34:35], vcc, s[8:9]
	v_cmp_ne_u32_e64 s[10:11], 1, v16
	s_waitcnt lgkmcnt(0)
	s_barrier
	s_and_saveexec_b64 s[18:19], s[34:35]
	s_cbranch_execz .LBB165_1005
; %bb.1000:                             ;   in Loop: Header=BB165_991 Depth=1
	s_and_b64 vcc, exec, s[10:11]
	v_mov_b32_e32 v16, v4
	s_cbranch_vccnz .LBB165_1002
; %bb.1001:                             ;   in Loop: Header=BB165_991 Depth=1
	flat_load_dword v16, v[13:14]
.LBB165_1002:                           ;   in Loop: Header=BB165_991 Depth=1
	s_and_b64 vcc, exec, s[10:11]
	v_mov_b32_e32 v24, v5
	s_cbranch_vccnz .LBB165_1004
; %bb.1003:                             ;   in Loop: Header=BB165_991 Depth=1
	flat_load_dword v24, v[13:14] offset:4
.LBB165_1004:                           ;   in Loop: Header=BB165_991 Depth=1
	ds_read_b64 v[25:26], v20
	s_waitcnt vmcnt(0) lgkmcnt(0)
	v_mul_f32_e32 v27, v24, v26
	v_mul_f32_e32 v24, v24, v25
	v_fmac_f32_e32 v27, v16, v25
	v_fma_f32 v16, v16, v26, -v24
	v_add_f32_e32 v10, v10, v27
	v_add_f32_e32 v11, v11, v16
.LBB165_1005:                           ;   in Loop: Header=BB165_991 Depth=1
	s_or_b64 exec, exec, s[18:19]
	v_add_u32_e32 v16, 16, v15
	v_cmp_gt_i32_e32 vcc, s28, v16
	s_and_b64 s[34:35], vcc, s[8:9]
	s_and_saveexec_b64 s[18:19], s[34:35]
	s_cbranch_execz .LBB165_1011
; %bb.1006:                             ;   in Loop: Header=BB165_991 Depth=1
	s_and_b64 vcc, exec, s[10:11]
	v_mov_b32_e32 v16, v2
	s_cbranch_vccnz .LBB165_1008
; %bb.1007:                             ;   in Loop: Header=BB165_991 Depth=1
	flat_load_dword v16, v[13:14] offset:128
.LBB165_1008:                           ;   in Loop: Header=BB165_991 Depth=1
	s_and_b64 vcc, exec, s[10:11]
	v_mov_b32_e32 v24, v3
	s_cbranch_vccnz .LBB165_1010
; %bb.1009:                             ;   in Loop: Header=BB165_991 Depth=1
	flat_load_dword v24, v[13:14] offset:132
.LBB165_1010:                           ;   in Loop: Header=BB165_991 Depth=1
	ds_read_b64 v[25:26], v20 offset:128
	s_waitcnt vmcnt(0) lgkmcnt(0)
	v_mul_f32_e32 v27, v24, v26
	v_mul_f32_e32 v24, v24, v25
	v_fmac_f32_e32 v27, v16, v25
	v_fma_f32 v16, v16, v26, -v24
	v_add_f32_e32 v10, v10, v27
	v_add_f32_e32 v11, v11, v16
.LBB165_1011:                           ;   in Loop: Header=BB165_991 Depth=1
	s_or_b64 exec, exec, s[18:19]
	v_add_u32_e32 v16, 32, v15
	v_cmp_gt_i32_e32 vcc, s28, v16
	s_and_b64 s[34:35], vcc, s[8:9]
	s_and_saveexec_b64 s[18:19], s[34:35]
	s_cbranch_execz .LBB165_1017
; %bb.1012:                             ;   in Loop: Header=BB165_991 Depth=1
	s_and_b64 vcc, exec, s[10:11]
	v_mov_b32_e32 v16, v8
	s_cbranch_vccnz .LBB165_1014
; %bb.1013:                             ;   in Loop: Header=BB165_991 Depth=1
	flat_load_dword v16, v[13:14] offset:256
.LBB165_1014:                           ;   in Loop: Header=BB165_991 Depth=1
	s_and_b64 vcc, exec, s[10:11]
	v_mov_b32_e32 v24, v9
	s_cbranch_vccnz .LBB165_1016
; %bb.1015:                             ;   in Loop: Header=BB165_991 Depth=1
	flat_load_dword v24, v[13:14] offset:260
.LBB165_1016:                           ;   in Loop: Header=BB165_991 Depth=1
	ds_read_b64 v[25:26], v20 offset:256
	s_waitcnt vmcnt(0) lgkmcnt(0)
	v_mul_f32_e32 v27, v24, v26
	v_mul_f32_e32 v24, v24, v25
	v_fmac_f32_e32 v27, v16, v25
	v_fma_f32 v16, v16, v26, -v24
	v_add_f32_e32 v10, v10, v27
	v_add_f32_e32 v11, v11, v16
.LBB165_1017:                           ;   in Loop: Header=BB165_991 Depth=1
	s_or_b64 exec, exec, s[18:19]
	v_add_u32_e32 v15, 48, v15
	v_cmp_gt_i32_e32 vcc, s28, v15
	s_and_b64 s[34:35], vcc, s[8:9]
	s_and_saveexec_b64 s[18:19], s[34:35]
	s_cbranch_execz .LBB165_990
; %bb.1018:                             ;   in Loop: Header=BB165_991 Depth=1
	s_and_b64 vcc, exec, s[10:11]
	v_mov_b32_e32 v15, v6
	s_cbranch_vccnz .LBB165_1020
; %bb.1019:                             ;   in Loop: Header=BB165_991 Depth=1
	flat_load_dword v15, v[13:14] offset:384
.LBB165_1020:                           ;   in Loop: Header=BB165_991 Depth=1
	s_and_b64 vcc, exec, s[10:11]
	v_mov_b32_e32 v16, v7
	s_cbranch_vccnz .LBB165_989
; %bb.1021:                             ;   in Loop: Header=BB165_991 Depth=1
	flat_load_dword v16, v[13:14] offset:388
	s_branch .LBB165_989
.LBB165_1022:
	s_xor_b64 s[4:5], s[30:31], -1
	v_lshlrev_b32_e32 v4, 3, v17
	ds_write_b64 v4, v[10:11] offset:32768
	s_waitcnt lgkmcnt(0)
	s_barrier
	s_and_saveexec_b64 s[6:7], s[2:3]
	s_cbranch_execz .LBB165_1024
; %bb.1023:
	v_lshlrev_b32_e32 v16, 3, v0
	ds_read2st64_b64 v[5:8], v16 offset0:65 offset1:66
	ds_read2st64_b64 v[12:15], v16 offset0:67 offset1:68
	ds_read_b64 v[2:3], v16 offset:40448
	s_waitcnt lgkmcnt(2)
	v_add_f32_e32 v5, v10, v5
	v_add_f32_e32 v6, v11, v6
	;; [unrolled: 1-line block ×4, first 2 shown]
	ds_read2st64_b64 v[5:8], v16 offset0:69 offset1:70
	s_waitcnt lgkmcnt(2)
	v_add_f32_e32 v9, v9, v12
	v_add_f32_e32 v10, v10, v13
	;; [unrolled: 1-line block ×4, first 2 shown]
	s_waitcnt lgkmcnt(0)
	v_add_f32_e32 v5, v9, v5
	ds_read2st64_b64 v[9:12], v16 offset0:71 offset1:72
	v_add_f32_e32 v6, v13, v6
	v_add_f32_e32 v13, v5, v7
	;; [unrolled: 1-line block ×3, first 2 shown]
	ds_read2st64_b64 v[5:8], v16 offset0:73 offset1:74
	s_waitcnt lgkmcnt(1)
	v_add_f32_e32 v9, v13, v9
	v_add_f32_e32 v10, v14, v10
	;; [unrolled: 1-line block ×4, first 2 shown]
	s_waitcnt lgkmcnt(0)
	v_add_f32_e32 v5, v9, v5
	ds_read2st64_b64 v[9:12], v16 offset0:75 offset1:76
	v_add_f32_e32 v6, v13, v6
	v_add_f32_e32 v13, v5, v7
	;; [unrolled: 1-line block ×3, first 2 shown]
	ds_read2st64_b64 v[5:8], v16 offset0:77 offset1:78
	s_waitcnt lgkmcnt(1)
	v_add_f32_e32 v9, v13, v9
	v_add_f32_e32 v10, v14, v10
	;; [unrolled: 1-line block ×4, first 2 shown]
	s_waitcnt lgkmcnt(0)
	v_add_f32_e32 v5, v9, v5
	v_add_f32_e32 v6, v10, v6
	;; [unrolled: 1-line block ×6, first 2 shown]
	v_cndmask_b32_e64 v10, -v2, 0, s[14:15]
	v_cndmask_b32_e64 v11, -v3, 0, s[14:15]
.LBB165_1024:
	s_or_b64 exec, exec, s[6:7]
	s_and_b64 vcc, exec, s[42:43]
	s_cbranch_vccnz .LBB165_1037
; %bb.1025:
	v_mov_b32_e32 v2, 0xa000
	v_lshl_or_b32 v5, v1, 3, v2
	s_and_saveexec_b64 s[6:7], s[2:3]
; %bb.1026:
	v_lshl_add_u32 v2, v0, 3, v5
	ds_write_b64 v2, v[10:11]
; %bb.1027:
	s_or_b64 exec, exec, s[6:7]
	v_cmp_le_u32_e32 vcc, v0, v1
	v_mov_b32_e32 v2, 0
	v_mov_b32_e32 v3, 0
	s_waitcnt lgkmcnt(0)
	s_barrier
	s_and_saveexec_b64 s[6:7], vcc
	s_cbranch_execz .LBB165_1029
; %bb.1028:
	ds_read_b64 v[2:3], v4
	ds_read_b64 v[6:7], v5
	s_waitcnt lgkmcnt(0)
	v_mul_f32_e32 v8, v7, v3
	v_mul_f32_e32 v3, v6, v3
	v_fma_f32 v6, v6, v2, -v8
	v_fmac_f32_e32 v3, v7, v2
	v_add_f32_e32 v2, 0, v6
	v_add_f32_e32 v3, 0, v3
.LBB165_1029:
	s_or_b64 exec, exec, s[6:7]
	v_add_u32_e32 v6, 16, v1
	v_cmp_le_u32_e32 vcc, v0, v6
	s_and_saveexec_b64 s[6:7], vcc
	s_cbranch_execz .LBB165_1031
; %bb.1030:
	ds_read_b64 v[6:7], v4 offset:8192
	ds_read_b64 v[8:9], v5 offset:128
	s_waitcnt lgkmcnt(0)
	v_mul_f32_e32 v12, v9, v7
	v_mul_f32_e32 v7, v8, v7
	v_fma_f32 v8, v8, v6, -v12
	v_fmac_f32_e32 v7, v9, v6
	v_add_f32_e32 v2, v2, v8
	v_add_f32_e32 v3, v3, v7
.LBB165_1031:
	s_or_b64 exec, exec, s[6:7]
	v_add_u32_e32 v6, 32, v1
	v_cmp_le_u32_e32 vcc, v0, v6
	s_and_saveexec_b64 s[6:7], vcc
	s_cbranch_execz .LBB165_1033
; %bb.1032:
	ds_read_b64 v[6:7], v4 offset:16384
	ds_read_b64 v[8:9], v5 offset:256
	s_waitcnt lgkmcnt(0)
	v_mul_f32_e32 v12, v9, v7
	v_mul_f32_e32 v7, v8, v7
	v_fma_f32 v8, v8, v6, -v12
	v_fmac_f32_e32 v7, v9, v6
	v_add_f32_e32 v2, v2, v8
	v_add_f32_e32 v3, v3, v7
.LBB165_1033:
	s_or_b64 exec, exec, s[6:7]
	v_add_u32_e32 v1, 48, v1
	v_add_u32_e32 v6, 0x8000, v4
	v_cmp_le_u32_e32 vcc, v0, v1
	s_and_saveexec_b64 s[6:7], vcc
	s_cbranch_execz .LBB165_1035
; %bb.1034:
	ds_read_b64 v[7:8], v4 offset:24576
	ds_read_b64 v[4:5], v5 offset:384
	s_waitcnt lgkmcnt(0)
	v_mul_f32_e32 v1, v5, v8
	v_mul_f32_e32 v8, v4, v8
	v_fma_f32 v1, v4, v7, -v1
	v_fmac_f32_e32 v8, v5, v7
	v_add_f32_e32 v2, v2, v1
	v_add_f32_e32 v3, v3, v8
.LBB165_1035:
	s_or_b64 exec, exec, s[6:7]
	s_mov_b64 s[8:9], 0
	s_mov_b64 s[6:7], 0
	ds_write_b64 v6, v[2:3]
	s_waitcnt lgkmcnt(0)
	s_barrier
                                        ; implicit-def: $vgpr1
                                        ; implicit-def: $vgpr4
	s_and_saveexec_b64 s[10:11], s[2:3]
	s_cbranch_execz .LBB165_1055
; %bb.1036:
	v_lshlrev_b32_e32 v9, 3, v0
	ds_read2st64_b64 v[4:7], v9 offset0:65 offset1:66
	ds_read2st64_b64 v[12:15], v9 offset0:67 offset1:68
	ds_read_b64 v[16:17], v9 offset:40448
	s_mov_b64 s[6:7], exec
	s_waitcnt lgkmcnt(2)
	v_add_f32_e32 v1, v2, v4
	v_add_f32_e32 v2, v3, v5
	;; [unrolled: 1-line block ×4, first 2 shown]
	ds_read2st64_b64 v[1:4], v9 offset0:69 offset1:70
	s_waitcnt lgkmcnt(2)
	v_add_f32_e32 v5, v5, v12
	v_add_f32_e32 v6, v6, v13
	;; [unrolled: 1-line block ×4, first 2 shown]
	s_waitcnt lgkmcnt(0)
	v_add_f32_e32 v1, v5, v1
	ds_read2st64_b64 v[5:8], v9 offset0:71 offset1:72
	v_add_f32_e32 v2, v12, v2
	v_add_f32_e32 v12, v1, v3
	;; [unrolled: 1-line block ×3, first 2 shown]
	ds_read2st64_b64 v[1:4], v9 offset0:73 offset1:74
	s_waitcnt lgkmcnt(1)
	v_add_f32_e32 v5, v12, v5
	v_add_f32_e32 v6, v13, v6
	;; [unrolled: 1-line block ×4, first 2 shown]
	s_waitcnt lgkmcnt(0)
	v_add_f32_e32 v1, v5, v1
	ds_read2st64_b64 v[5:8], v9 offset0:75 offset1:76
	v_add_f32_e32 v2, v12, v2
	v_add_f32_e32 v12, v1, v3
	;; [unrolled: 1-line block ×3, first 2 shown]
	ds_read2st64_b64 v[1:4], v9 offset0:77 offset1:78
	s_waitcnt lgkmcnt(1)
	v_add_f32_e32 v5, v12, v5
	v_add_f32_e32 v6, v13, v6
	;; [unrolled: 1-line block ×4, first 2 shown]
	s_waitcnt lgkmcnt(0)
	v_add_f32_e32 v1, v5, v1
	v_add_f32_e32 v2, v6, v2
	v_add_f32_e32 v1, v1, v3
	v_add_f32_e32 v2, v2, v4
	v_add_f32_e32 v4, v1, v16
	v_add_f32_e32 v1, v2, v17
	s_or_b64 exec, exec, s[10:11]
	s_and_b64 vcc, exec, s[8:9]
	s_cbranch_vccnz .LBB165_1038
	s_branch .LBB165_1056
.LBB165_1037:
	s_mov_b64 s[6:7], 0
                                        ; implicit-def: $vgpr1
                                        ; implicit-def: $vgpr4
	s_cbranch_execz .LBB165_1056
.LBB165_1038:
	v_mov_b32_e32 v1, 0x7c00
	v_lshl_add_u32 v1, v0, 3, v1
	v_mov_b32_e32 v3, 63
	v_mov_b32_e32 v2, 0
	s_branch .LBB165_1040
.LBB165_1039:                           ;   in Loop: Header=BB165_1040 Depth=1
	s_or_b64 exec, exec, s[8:9]
	v_subrev_co_u32_e32 v3, vcc, 1, v3
	s_andn2_b64 vcc, exec, vcc
	v_add_u32_e32 v1, 0xfffffc00, v1
	s_barrier
	s_cbranch_vccz .LBB165_1048
.LBB165_1040:                           ; =>This Inner Loop Header: Depth=1
	v_cmp_eq_u32_e32 vcc, v0, v3
	s_and_b64 s[10:11], s[2:3], vcc
	s_and_saveexec_b64 s[8:9], s[10:11]
; %bb.1041:                             ;   in Loop: Header=BB165_1040 Depth=1
	ds_write_b64 v2, v[10:11] offset:41472
; %bb.1042:                             ;   in Loop: Header=BB165_1040 Depth=1
	s_or_b64 exec, exec, s[8:9]
	v_cmp_lt_u32_e32 vcc, v0, v3
	s_and_b64 s[10:11], s[2:3], vcc
	s_waitcnt lgkmcnt(0)
	s_barrier
	s_and_saveexec_b64 s[8:9], s[10:11]
	s_cbranch_execz .LBB165_1044
; %bb.1043:                             ;   in Loop: Header=BB165_1040 Depth=1
	ds_read_b64 v[4:5], v1 offset:512
	ds_read_b64 v[6:7], v2 offset:41472
	s_waitcnt lgkmcnt(0)
	v_mul_f32_e32 v8, v7, v5
	v_mul_f32_e32 v5, v6, v5
	v_fma_f32 v6, v6, v4, -v8
	v_fmac_f32_e32 v5, v7, v4
	v_add_f32_e32 v10, v10, v6
	v_add_f32_e32 v11, v11, v5
.LBB165_1044:                           ;   in Loop: Header=BB165_1040 Depth=1
	s_or_b64 exec, exec, s[8:9]
	v_add_u32_e32 v3, -1, v3
	v_cmp_eq_u32_e32 vcc, v0, v3
	s_and_b64 s[10:11], s[2:3], vcc
	s_barrier
	s_and_saveexec_b64 s[8:9], s[10:11]
; %bb.1045:                             ;   in Loop: Header=BB165_1040 Depth=1
	ds_write_b64 v2, v[10:11] offset:41472
; %bb.1046:                             ;   in Loop: Header=BB165_1040 Depth=1
	s_or_b64 exec, exec, s[8:9]
	v_cmp_lt_u32_e32 vcc, v0, v3
	s_and_b64 s[10:11], s[2:3], vcc
	s_waitcnt lgkmcnt(0)
	s_barrier
	s_and_saveexec_b64 s[8:9], s[10:11]
	s_cbranch_execz .LBB165_1039
; %bb.1047:                             ;   in Loop: Header=BB165_1040 Depth=1
	ds_read_b64 v[4:5], v1
	ds_read_b64 v[6:7], v2 offset:41472
	s_waitcnt lgkmcnt(0)
	v_mul_f32_e32 v8, v7, v5
	v_mul_f32_e32 v5, v6, v5
	v_fma_f32 v6, v6, v4, -v8
	v_fmac_f32_e32 v5, v7, v4
	v_add_f32_e32 v10, v10, v6
	v_add_f32_e32 v11, v11, v5
	s_branch .LBB165_1039
.LBB165_1048:
	s_mov_b64 s[8:9], -1
	s_and_b64 vcc, exec, s[4:5]
	s_cbranch_vccnz .LBB165_1057
; %bb.1049:
	s_andn2_b64 vcc, exec, s[8:9]
	s_cbranch_vccz .LBB165_1058
.LBB165_1050:
	s_and_saveexec_b64 s[2:3], s[6:7]
	s_cbranch_execz .LBB165_1052
.LBB165_1051:
	s_lshl_b32 s4, s33, 6
	s_ashr_i32 s5, s4, 31
	v_mov_b32_e32 v0, s5
	v_add_co_u32_e32 v1, vcc, s4, v18
	v_addc_co_u32_e32 v0, vcc, 0, v0, vcc
	v_mul_lo_u32 v2, v0, s26
	v_mul_lo_u32 v3, v1, s27
	v_mad_u64_u32 v[0:1], s[4:5], v1, s26, 0
	v_add3_u32 v1, v1, v3, v2
	v_lshlrev_b64 v[0:1], 3, v[0:1]
	v_mov_b32_e32 v2, s21
	v_add_co_u32_e32 v0, vcc, s20, v0
	v_addc_co_u32_e32 v1, vcc, v2, v1, vcc
	flat_store_dwordx2 v[0:1], v[10:11]
.LBB165_1052:
	s_or_b64 exec, exec, s[2:3]
	v_cmp_eq_u32_e32 vcc, 0, v18
	s_waitcnt vmcnt(0) lgkmcnt(0)
	buffer_wbinvl1_vol
	s_barrier
	s_and_saveexec_b64 s[2:3], vcc
	s_cbranch_execz .LBB165_1054
; %bb.1053:
	s_lshl_b64 s[4:5], s[24:25], 2
	s_add_u32 s0, s0, s4
	s_addc_u32 s1, s1, s5
	v_mov_b32_e32 v0, 0
	global_load_dword v1, v0, s[0:1]
	s_waitcnt vmcnt(0)
	v_add_u32_e32 v1, 1, v1
	global_store_dword v0, v1, s[0:1]
.LBB165_1054:
	s_or_b64 exec, exec, s[2:3]
	s_waitcnt vmcnt(0)
	buffer_wbinvl1_vol
	s_endpgm
.LBB165_1055:
	s_or_b64 exec, exec, s[10:11]
	s_and_b64 vcc, exec, s[8:9]
	s_cbranch_vccnz .LBB165_1038
.LBB165_1056:
	v_mov_b32_e32 v11, v1
	v_mov_b32_e32 v10, v4
	s_and_saveexec_b64 s[2:3], s[6:7]
	s_cbranch_execnz .LBB165_1051
	s_branch .LBB165_1052
.LBB165_1057:
	s_andn2_b64 s[4:5], s[6:7], exec
	s_and_b64 s[6:7], s[2:3], exec
	s_or_b64 s[6:7], s[4:5], s[6:7]
	s_cbranch_execnz .LBB165_1050
.LBB165_1058:
	v_cmp_gt_i32_e32 vcc, s94, v0
	s_and_b64 s[2:3], s[2:3], vcc
	s_andn2_b64 s[4:5], s[6:7], exec
	s_and_b64 s[2:3], s[2:3], exec
	s_or_b64 s[6:7], s[4:5], s[2:3]
	s_and_saveexec_b64 s[2:3], s[6:7]
	s_cbranch_execnz .LBB165_1051
	s_branch .LBB165_1052
.LBB165_1059:
	v_lshlrev_b32_e32 v21, 3, v20
	v_sub_u32_e32 v21, v18, v21
	v_lshl_add_u32 v21, v19, 3, v21
	ds_read_b64 v[21:22], v21 offset:544
	ds_read_b64 v[23:24], v18 offset:8
	s_waitcnt lgkmcnt(0)
	v_mul_f32_e32 v25, v24, v22
	v_mul_f32_e32 v22, v23, v22
	v_fma_f32 v23, v23, v21, -v25
	v_fmac_f32_e32 v22, v24, v21
	v_add_f32_e32 v10, v10, v23
	v_add_f32_e32 v11, v11, v22
	s_or_b64 exec, exec, s[14:15]
	v_cmp_gt_u32_e64 s[10:11], 8, v17
	s_and_saveexec_b64 s[14:15], s[10:11]
	s_cbranch_execz .LBB165_85
.LBB165_1060:
	ds_read_b64 v[21:22], v15 offset:1056
	ds_read_b64 v[23:24], v18 offset:16
	s_waitcnt lgkmcnt(0)
	v_mul_f32_e32 v18, v24, v22
	v_mul_f32_e32 v22, v23, v22
	v_fma_f32 v18, v23, v21, -v18
	v_fmac_f32_e32 v22, v24, v21
	v_add_f32_e32 v10, v10, v18
	v_add_f32_e32 v11, v11, v22
	s_or_b64 exec, exec, s[14:15]
	v_cmp_gt_u32_e64 s[10:11], 4, v17
	s_and_saveexec_b64 s[14:15], s[10:11]
	s_cbranch_execnz .LBB165_86
	s_branch .LBB165_87
.LBB165_1061:
	v_lshlrev_b32_e32 v26, 3, v25
	v_sub_u32_e32 v26, v23, v26
	v_lshl_add_u32 v26, v24, 3, v26
	ds_read_b64 v[26:27], v26 offset:576
	ds_read_b64 v[28:29], v23 offset:8
	s_waitcnt lgkmcnt(0)
	v_mul_f32_e32 v30, v29, v27
	v_mul_f32_e32 v27, v28, v27
	v_fma_f32 v28, v28, v26, -v30
	v_fmac_f32_e32 v27, v29, v26
	v_add_f32_e32 v10, v10, v28
	v_add_f32_e32 v11, v11, v27
	s_or_b64 exec, exec, s[16:17]
	v_cmp_gt_u32_e64 s[14:15], 48, v17
	s_and_saveexec_b64 s[16:17], s[14:15]
	s_cbranch_execz .LBB165_127
.LBB165_1062:
	v_lshlrev_b32_e32 v26, 3, v25
	v_sub_u32_e32 v26, v23, v26
	v_lshl_add_u32 v26, v24, 3, v26
	ds_read_b64 v[26:27], v26 offset:1088
	ds_read_b64 v[28:29], v23 offset:16
	s_waitcnt lgkmcnt(0)
	v_mul_f32_e32 v30, v29, v27
	v_mul_f32_e32 v27, v28, v27
	v_fma_f32 v28, v28, v26, -v30
	v_fmac_f32_e32 v27, v29, v26
	v_add_f32_e32 v10, v10, v28
	v_add_f32_e32 v11, v11, v27
	s_or_b64 exec, exec, s[16:17]
	v_cmp_gt_u32_e64 s[14:15], 40, v17
	s_and_saveexec_b64 s[16:17], s[14:15]
	s_cbranch_execz .LBB165_128
.LBB165_1063:
	v_lshlrev_b32_e32 v26, 3, v25
	v_sub_u32_e32 v26, v23, v26
	v_lshl_add_u32 v26, v24, 3, v26
	ds_read_b64 v[26:27], v26 offset:1600
	ds_read_b64 v[28:29], v23 offset:24
	s_waitcnt lgkmcnt(0)
	v_mul_f32_e32 v30, v29, v27
	v_mul_f32_e32 v27, v28, v27
	v_fma_f32 v28, v28, v26, -v30
	v_fmac_f32_e32 v27, v29, v26
	v_add_f32_e32 v10, v10, v28
	v_add_f32_e32 v11, v11, v27
	s_or_b64 exec, exec, s[16:17]
	v_cmp_gt_u32_e64 s[14:15], 32, v17
	s_and_saveexec_b64 s[16:17], s[14:15]
	s_cbranch_execz .LBB165_129
.LBB165_1064:
	ds_read_b64 v[26:27], v21 offset:2112
	ds_read_b64 v[28:29], v23 offset:32
	s_waitcnt lgkmcnt(0)
	v_mul_f32_e32 v30, v29, v27
	v_mul_f32_e32 v27, v28, v27
	v_fma_f32 v28, v28, v26, -v30
	v_fmac_f32_e32 v27, v29, v26
	v_add_f32_e32 v10, v10, v28
	v_add_f32_e32 v11, v11, v27
	s_or_b64 exec, exec, s[16:17]
	v_cmp_gt_u32_e64 s[14:15], 24, v17
	s_and_saveexec_b64 s[16:17], s[14:15]
	s_cbranch_execz .LBB165_130
.LBB165_1065:
	v_lshlrev_b32_e32 v26, 3, v25
	v_sub_u32_e32 v26, v23, v26
	v_lshl_add_u32 v26, v24, 3, v26
	ds_read_b64 v[26:27], v26 offset:2624
	ds_read_b64 v[28:29], v23 offset:40
	s_waitcnt lgkmcnt(0)
	v_mul_f32_e32 v30, v29, v27
	v_mul_f32_e32 v27, v28, v27
	v_fma_f32 v28, v28, v26, -v30
	v_fmac_f32_e32 v27, v29, v26
	v_add_f32_e32 v10, v10, v28
	v_add_f32_e32 v11, v11, v27
	s_or_b64 exec, exec, s[16:17]
	v_cmp_gt_u32_e64 s[14:15], 16, v17
	s_and_saveexec_b64 s[16:17], s[14:15]
	s_cbranch_execz .LBB165_131
.LBB165_1066:
	ds_read_b64 v[26:27], v21 offset:3136
	ds_read_b64 v[28:29], v23 offset:48
	s_waitcnt lgkmcnt(0)
	v_mul_f32_e32 v23, v29, v27
	v_mul_f32_e32 v27, v28, v27
	v_fma_f32 v23, v28, v26, -v23
	v_fmac_f32_e32 v27, v29, v26
	v_add_f32_e32 v10, v10, v23
	v_add_f32_e32 v11, v11, v27
	s_or_b64 exec, exec, s[16:17]
	v_cmp_gt_u32_e64 s[14:15], 8, v17
	s_and_saveexec_b64 s[16:17], s[14:15]
	s_cbranch_execnz .LBB165_132
	s_branch .LBB165_133
.LBB165_1067:
	v_lshlrev_b32_e32 v27, 3, v20
	v_sub_u32_e32 v27, v26, v27
	v_lshl_add_u32 v27, v19, 3, v27
	ds_read_b64 v[27:28], v27 offset:4704
	ds_read_b64 v[29:30], v26 offset:4168
	s_waitcnt lgkmcnt(0)
	v_mul_f32_e32 v31, v30, v28
	v_mul_f32_e32 v28, v29, v28
	v_fma_f32 v29, v29, v27, -v31
	v_fmac_f32_e32 v28, v30, v27
	v_add_f32_e32 v10, v10, v29
	v_add_f32_e32 v11, v11, v28
	s_or_b64 exec, exec, s[14:15]
	v_cmp_gt_u32_e64 s[10:11], 8, v17
	s_and_saveexec_b64 s[14:15], s[10:11]
	s_cbranch_execz .LBB165_189
.LBB165_1068:
	ds_read_b64 v[27:28], v15 offset:5216
	ds_read_b64 v[29:30], v26 offset:4176
	s_waitcnt lgkmcnt(0)
	v_mul_f32_e32 v26, v30, v28
	v_mul_f32_e32 v28, v29, v28
	v_fma_f32 v26, v29, v27, -v26
	v_fmac_f32_e32 v28, v30, v27
	v_add_f32_e32 v10, v10, v26
	v_add_f32_e32 v11, v11, v28
	s_or_b64 exec, exec, s[14:15]
	v_cmp_gt_u32_e64 s[10:11], 4, v17
	s_and_saveexec_b64 s[14:15], s[10:11]
	s_cbranch_execnz .LBB165_190
	s_branch .LBB165_191
.LBB165_1069:
	v_lshlrev_b32_e32 v31, 3, v27
	v_lshl_add_u32 v31, v29, 3, v31
	ds_read_b64 v[31:32], v31 offset:5760
	ds_read_b64 v[33:34], v28 offset:88
	s_waitcnt lgkmcnt(0)
	v_mul_f32_e32 v35, v34, v32
	v_mul_f32_e32 v32, v33, v32
	v_fma_f32 v33, v33, v31, -v35
	v_fmac_f32_e32 v32, v34, v31
	v_add_f32_e32 v10, v10, v33
	v_add_f32_e32 v11, v11, v32
	s_or_b64 exec, exec, s[20:21]
	v_cmp_gt_u32_e64 s[16:17], 64, v17
	s_and_saveexec_b64 s[20:21], s[16:17]
	s_cbranch_execz .LBB165_251
.LBB165_1070:
	ds_read_b64 v[31:32], v26 offset:6272
	ds_read_b64 v[33:34], v28 offset:96
	s_waitcnt lgkmcnt(0)
	v_mul_f32_e32 v35, v34, v32
	v_mul_f32_e32 v32, v33, v32
	v_fma_f32 v33, v33, v31, -v35
	v_fmac_f32_e32 v32, v34, v31
	v_add_f32_e32 v10, v10, v33
	v_add_f32_e32 v11, v11, v32
	s_or_b64 exec, exec, s[20:21]
	v_cmp_gt_u32_e64 s[16:17], 48, v17
	s_and_saveexec_b64 s[20:21], s[16:17]
	s_cbranch_execz .LBB165_252
.LBB165_1071:
	v_lshlrev_b32_e32 v31, 3, v27
	v_lshl_add_u32 v31, v29, 3, v31
	ds_read_b64 v[31:32], v31 offset:6784
	ds_read_b64 v[33:34], v28 offset:104
	s_waitcnt lgkmcnt(0)
	v_mul_f32_e32 v35, v34, v32
	v_mul_f32_e32 v32, v33, v32
	v_fma_f32 v33, v33, v31, -v35
	v_fmac_f32_e32 v32, v34, v31
	v_add_f32_e32 v10, v10, v33
	v_add_f32_e32 v11, v11, v32
	s_or_b64 exec, exec, s[20:21]
	v_cmp_gt_u32_e64 s[16:17], 32, v17
	s_and_saveexec_b64 s[20:21], s[16:17]
	s_cbranch_execz .LBB165_253
.LBB165_1072:
	ds_read_b64 v[31:32], v26 offset:7296
	ds_read_b64 v[33:34], v28 offset:112
	s_waitcnt lgkmcnt(0)
	v_mul_f32_e32 v28, v34, v32
	v_mul_f32_e32 v32, v33, v32
	v_fma_f32 v28, v33, v31, -v28
	v_fmac_f32_e32 v32, v34, v31
	v_add_f32_e32 v10, v10, v28
	v_add_f32_e32 v11, v11, v32
	s_or_b64 exec, exec, s[20:21]
	v_cmp_gt_u32_e64 s[16:17], 16, v17
	s_and_saveexec_b64 s[20:21], s[16:17]
	s_cbranch_execnz .LBB165_254
	s_branch .LBB165_255
.LBB165_1073:
	v_lshlrev_b32_e32 v32, 3, v20
	v_sub_u32_e32 v32, v31, v32
	v_lshl_add_u32 v32, v19, 3, v32
	ds_read_b64 v[32:33], v32 offset:8864
	ds_read_b64 v[34:35], v31 offset:8328
	s_waitcnt lgkmcnt(0)
	v_mul_f32_e32 v36, v35, v33
	v_mul_f32_e32 v33, v34, v33
	v_fma_f32 v34, v34, v32, -v36
	v_fmac_f32_e32 v33, v35, v32
	v_add_f32_e32 v10, v10, v34
	v_add_f32_e32 v11, v11, v33
	s_or_b64 exec, exec, s[20:21]
	v_cmp_gt_u32_e64 s[14:15], 8, v17
	s_and_saveexec_b64 s[20:21], s[14:15]
	s_cbranch_execz .LBB165_343
.LBB165_1074:
	ds_read_b64 v[32:33], v15 offset:9376
	ds_read_b64 v[34:35], v31 offset:8336
	s_waitcnt lgkmcnt(0)
	v_mul_f32_e32 v31, v35, v33
	v_mul_f32_e32 v33, v34, v33
	v_fma_f32 v31, v34, v32, -v31
	v_fmac_f32_e32 v33, v35, v32
	v_add_f32_e32 v10, v10, v31
	v_add_f32_e32 v11, v11, v33
	s_or_b64 exec, exec, s[20:21]
	v_cmp_gt_u32_e64 s[14:15], 4, v17
	s_and_saveexec_b64 s[20:21], s[14:15]
	s_cbranch_execnz .LBB165_344
	s_branch .LBB165_345
.LBB165_1075:
	v_lshlrev_b32_e32 v32, 3, v25
	v_sub_u32_e32 v32, v31, v32
	v_lshl_add_u32 v32, v24, 3, v32
	ds_read_b64 v[32:33], v32 offset:8896
	ds_read_b64 v[34:35], v31 offset:8328
	s_waitcnt lgkmcnt(0)
	v_mul_f32_e32 v36, v35, v33
	v_mul_f32_e32 v33, v34, v33
	v_fma_f32 v34, v34, v32, -v36
	v_fmac_f32_e32 v33, v35, v32
	v_add_f32_e32 v10, v10, v34
	v_add_f32_e32 v11, v11, v33
	s_or_b64 exec, exec, s[20:21]
	v_cmp_gt_u32_e64 s[14:15], 48, v17
	s_and_saveexec_b64 s[20:21], s[14:15]
	s_cbranch_execz .LBB165_385
.LBB165_1076:
	v_lshlrev_b32_e32 v32, 3, v25
	v_sub_u32_e32 v32, v31, v32
	v_lshl_add_u32 v32, v24, 3, v32
	ds_read_b64 v[32:33], v32 offset:9408
	ds_read_b64 v[34:35], v31 offset:8336
	s_waitcnt lgkmcnt(0)
	v_mul_f32_e32 v36, v35, v33
	v_mul_f32_e32 v33, v34, v33
	v_fma_f32 v34, v34, v32, -v36
	v_fmac_f32_e32 v33, v35, v32
	v_add_f32_e32 v10, v10, v34
	v_add_f32_e32 v11, v11, v33
	s_or_b64 exec, exec, s[20:21]
	v_cmp_gt_u32_e64 s[14:15], 40, v17
	s_and_saveexec_b64 s[20:21], s[14:15]
	s_cbranch_execz .LBB165_386
.LBB165_1077:
	v_lshlrev_b32_e32 v32, 3, v25
	v_sub_u32_e32 v32, v31, v32
	v_lshl_add_u32 v32, v24, 3, v32
	ds_read_b64 v[32:33], v32 offset:9920
	ds_read_b64 v[34:35], v31 offset:8344
	s_waitcnt lgkmcnt(0)
	v_mul_f32_e32 v36, v35, v33
	v_mul_f32_e32 v33, v34, v33
	v_fma_f32 v34, v34, v32, -v36
	v_fmac_f32_e32 v33, v35, v32
	v_add_f32_e32 v10, v10, v34
	v_add_f32_e32 v11, v11, v33
	s_or_b64 exec, exec, s[20:21]
	v_cmp_gt_u32_e64 s[14:15], 32, v17
	s_and_saveexec_b64 s[20:21], s[14:15]
	s_cbranch_execz .LBB165_387
.LBB165_1078:
	ds_read_b64 v[32:33], v21 offset:10432
	ds_read_b64 v[34:35], v31 offset:8352
	s_waitcnt lgkmcnt(0)
	v_mul_f32_e32 v36, v35, v33
	v_mul_f32_e32 v33, v34, v33
	v_fma_f32 v34, v34, v32, -v36
	v_fmac_f32_e32 v33, v35, v32
	v_add_f32_e32 v10, v10, v34
	v_add_f32_e32 v11, v11, v33
	s_or_b64 exec, exec, s[20:21]
	v_cmp_gt_u32_e64 s[14:15], 24, v17
	s_and_saveexec_b64 s[20:21], s[14:15]
	s_cbranch_execz .LBB165_388
.LBB165_1079:
	v_lshlrev_b32_e32 v32, 3, v25
	v_sub_u32_e32 v32, v31, v32
	v_lshl_add_u32 v32, v24, 3, v32
	ds_read_b64 v[32:33], v32 offset:10944
	ds_read_b64 v[34:35], v31 offset:8360
	s_waitcnt lgkmcnt(0)
	v_mul_f32_e32 v36, v35, v33
	v_mul_f32_e32 v33, v34, v33
	v_fma_f32 v34, v34, v32, -v36
	v_fmac_f32_e32 v33, v35, v32
	v_add_f32_e32 v10, v10, v34
	v_add_f32_e32 v11, v11, v33
	s_or_b64 exec, exec, s[20:21]
	v_cmp_gt_u32_e64 s[14:15], 16, v17
	s_and_saveexec_b64 s[20:21], s[14:15]
	s_cbranch_execz .LBB165_389
.LBB165_1080:
	ds_read_b64 v[32:33], v21 offset:11456
	ds_read_b64 v[34:35], v31 offset:8368
	s_waitcnt lgkmcnt(0)
	v_mul_f32_e32 v31, v35, v33
	v_mul_f32_e32 v33, v34, v33
	v_fma_f32 v31, v34, v32, -v31
	v_fmac_f32_e32 v33, v35, v32
	v_add_f32_e32 v10, v10, v31
	v_add_f32_e32 v11, v11, v33
	s_or_b64 exec, exec, s[20:21]
	v_cmp_gt_u32_e64 s[14:15], 8, v17
	s_and_saveexec_b64 s[20:21], s[14:15]
	s_cbranch_execnz .LBB165_390
	s_branch .LBB165_391
.LBB165_1081:
	v_lshlrev_b32_e32 v32, 3, v20
	v_sub_u32_e32 v32, v31, v32
	v_lshl_add_u32 v32, v19, 3, v32
	ds_read_b64 v[32:33], v32 offset:13024
	ds_read_b64 v[34:35], v31 offset:12488
	s_waitcnt lgkmcnt(0)
	v_mul_f32_e32 v36, v35, v33
	v_mul_f32_e32 v33, v34, v33
	v_fma_f32 v34, v34, v32, -v36
	v_fmac_f32_e32 v33, v35, v32
	v_add_f32_e32 v10, v10, v34
	v_add_f32_e32 v11, v11, v33
	s_or_b64 exec, exec, s[20:21]
	v_cmp_gt_u32_e64 s[14:15], 8, v17
	s_and_saveexec_b64 s[20:21], s[14:15]
	s_cbranch_execz .LBB165_447
.LBB165_1082:
	ds_read_b64 v[32:33], v15 offset:13536
	ds_read_b64 v[34:35], v31 offset:12496
	s_waitcnt lgkmcnt(0)
	v_mul_f32_e32 v31, v35, v33
	v_mul_f32_e32 v33, v34, v33
	v_fma_f32 v31, v34, v32, -v31
	v_fmac_f32_e32 v33, v35, v32
	v_add_f32_e32 v10, v10, v31
	v_add_f32_e32 v11, v11, v33
	s_or_b64 exec, exec, s[20:21]
	v_cmp_gt_u32_e64 s[14:15], 4, v17
	s_and_saveexec_b64 s[20:21], s[14:15]
	s_cbranch_execnz .LBB165_448
	s_branch .LBB165_449
.LBB165_1083:
	ds_read_b64 v[37:38], v36 offset:15104
	ds_read_b64 v[39:40], v35 offset:232
	s_waitcnt lgkmcnt(0)
	v_mul_f32_e32 v41, v40, v38
	v_mul_f32_e32 v38, v39, v38
	v_fma_f32 v39, v39, v37, -v41
	v_fmac_f32_e32 v38, v40, v37
	v_add_f32_e32 v10, v10, v39
	v_add_f32_e32 v11, v11, v38
	s_or_b64 exec, exec, s[22:23]
	v_cmp_gt_u32_e64 s[20:21], 64, v17
	s_and_saveexec_b64 s[22:23], s[20:21]
	s_cbranch_execz .LBB165_545
.LBB165_1084:
	ds_read_b64 v[36:37], v36 offset:15616
	ds_read_b64 v[38:39], v35 offset:240
	s_waitcnt lgkmcnt(0)
	v_mul_f32_e32 v40, v39, v37
	v_mul_f32_e32 v37, v38, v37
	v_fma_f32 v38, v38, v36, -v40
	v_fmac_f32_e32 v37, v39, v36
	v_add_f32_e32 v10, v10, v38
	v_add_f32_e32 v11, v11, v37
	s_or_b64 exec, exec, s[22:23]
	v_cmp_gt_u32_e64 s[20:21], 32, v17
	s_and_saveexec_b64 s[22:23], s[20:21]
	s_cbranch_execnz .LBB165_546
	s_branch .LBB165_547
.LBB165_1085:
	v_lshlrev_b32_e32 v32, 3, v20
	v_sub_u32_e32 v32, v31, v32
	v_lshl_add_u32 v32, v19, 3, v32
	ds_read_b64 v[32:33], v32 offset:17184
	ds_read_b64 v[34:35], v31 offset:16648
	s_waitcnt lgkmcnt(0)
	v_mul_f32_e32 v36, v35, v33
	v_mul_f32_e32 v33, v34, v33
	v_fma_f32 v34, v34, v32, -v36
	v_fmac_f32_e32 v33, v35, v32
	v_add_f32_e32 v10, v10, v34
	v_add_f32_e32 v11, v11, v33
	s_or_b64 exec, exec, s[16:17]
	v_cmp_gt_u32_e64 s[12:13], 8, v17
	s_and_saveexec_b64 s[16:17], s[12:13]
	s_cbranch_execz .LBB165_583
.LBB165_1086:
	ds_read_b64 v[32:33], v15 offset:17696
	ds_read_b64 v[34:35], v31 offset:16656
	s_waitcnt lgkmcnt(0)
	v_mul_f32_e32 v31, v35, v33
	v_mul_f32_e32 v33, v34, v33
	v_fma_f32 v31, v34, v32, -v31
	v_fmac_f32_e32 v33, v35, v32
	v_add_f32_e32 v10, v10, v31
	v_add_f32_e32 v11, v11, v33
	s_or_b64 exec, exec, s[16:17]
	v_cmp_gt_u32_e64 s[12:13], 4, v17
	s_and_saveexec_b64 s[16:17], s[12:13]
	s_cbranch_execnz .LBB165_584
	s_branch .LBB165_585
.LBB165_1087:
	v_lshlrev_b32_e32 v32, 3, v25
	v_sub_u32_e32 v32, v31, v32
	v_lshl_add_u32 v32, v24, 3, v32
	ds_read_b64 v[32:33], v32 offset:17216
	ds_read_b64 v[34:35], v31 offset:16648
	s_waitcnt lgkmcnt(0)
	v_mul_f32_e32 v36, v35, v33
	v_mul_f32_e32 v33, v34, v33
	v_fma_f32 v34, v34, v32, -v36
	v_fmac_f32_e32 v33, v35, v32
	v_add_f32_e32 v10, v10, v34
	v_add_f32_e32 v11, v11, v33
	s_or_b64 exec, exec, s[16:17]
	v_cmp_gt_u32_e64 s[12:13], 48, v17
	s_and_saveexec_b64 s[16:17], s[12:13]
	s_cbranch_execz .LBB165_625
.LBB165_1088:
	v_lshlrev_b32_e32 v32, 3, v25
	v_sub_u32_e32 v32, v31, v32
	v_lshl_add_u32 v32, v24, 3, v32
	ds_read_b64 v[32:33], v32 offset:17728
	ds_read_b64 v[34:35], v31 offset:16656
	s_waitcnt lgkmcnt(0)
	v_mul_f32_e32 v36, v35, v33
	v_mul_f32_e32 v33, v34, v33
	v_fma_f32 v34, v34, v32, -v36
	v_fmac_f32_e32 v33, v35, v32
	v_add_f32_e32 v10, v10, v34
	v_add_f32_e32 v11, v11, v33
	s_or_b64 exec, exec, s[16:17]
	v_cmp_gt_u32_e64 s[12:13], 40, v17
	s_and_saveexec_b64 s[16:17], s[12:13]
	s_cbranch_execz .LBB165_626
.LBB165_1089:
	v_lshlrev_b32_e32 v32, 3, v25
	v_sub_u32_e32 v32, v31, v32
	v_lshl_add_u32 v32, v24, 3, v32
	ds_read_b64 v[32:33], v32 offset:18240
	ds_read_b64 v[34:35], v31 offset:16664
	s_waitcnt lgkmcnt(0)
	v_mul_f32_e32 v36, v35, v33
	v_mul_f32_e32 v33, v34, v33
	v_fma_f32 v34, v34, v32, -v36
	v_fmac_f32_e32 v33, v35, v32
	v_add_f32_e32 v10, v10, v34
	v_add_f32_e32 v11, v11, v33
	s_or_b64 exec, exec, s[16:17]
	v_cmp_gt_u32_e64 s[12:13], 32, v17
	s_and_saveexec_b64 s[16:17], s[12:13]
	s_cbranch_execz .LBB165_627
.LBB165_1090:
	ds_read_b64 v[32:33], v21 offset:18752
	ds_read_b64 v[34:35], v31 offset:16672
	s_waitcnt lgkmcnt(0)
	v_mul_f32_e32 v36, v35, v33
	v_mul_f32_e32 v33, v34, v33
	v_fma_f32 v34, v34, v32, -v36
	v_fmac_f32_e32 v33, v35, v32
	v_add_f32_e32 v10, v10, v34
	v_add_f32_e32 v11, v11, v33
	s_or_b64 exec, exec, s[16:17]
	v_cmp_gt_u32_e64 s[12:13], 24, v17
	s_and_saveexec_b64 s[16:17], s[12:13]
	s_cbranch_execz .LBB165_628
.LBB165_1091:
	v_lshlrev_b32_e32 v32, 3, v25
	v_sub_u32_e32 v32, v31, v32
	v_lshl_add_u32 v32, v24, 3, v32
	ds_read_b64 v[32:33], v32 offset:19264
	ds_read_b64 v[34:35], v31 offset:16680
	s_waitcnt lgkmcnt(0)
	v_mul_f32_e32 v36, v35, v33
	v_mul_f32_e32 v33, v34, v33
	v_fma_f32 v34, v34, v32, -v36
	v_fmac_f32_e32 v33, v35, v32
	v_add_f32_e32 v10, v10, v34
	v_add_f32_e32 v11, v11, v33
	s_or_b64 exec, exec, s[16:17]
	v_cmp_gt_u32_e64 s[12:13], 16, v17
	s_and_saveexec_b64 s[16:17], s[12:13]
	s_cbranch_execz .LBB165_629
.LBB165_1092:
	ds_read_b64 v[32:33], v21 offset:19776
	ds_read_b64 v[34:35], v31 offset:16688
	s_waitcnt lgkmcnt(0)
	v_mul_f32_e32 v31, v35, v33
	v_mul_f32_e32 v33, v34, v33
	v_fma_f32 v31, v34, v32, -v31
	v_fmac_f32_e32 v33, v35, v32
	v_add_f32_e32 v10, v10, v31
	v_add_f32_e32 v11, v11, v33
	s_or_b64 exec, exec, s[16:17]
	v_cmp_gt_u32_e64 s[12:13], 8, v17
	s_and_saveexec_b64 s[16:17], s[12:13]
	s_cbranch_execnz .LBB165_630
	s_branch .LBB165_631
.LBB165_1093:
	v_lshlrev_b32_e32 v32, 3, v20
	v_sub_u32_e32 v32, v31, v32
	v_lshl_add_u32 v32, v19, 3, v32
	ds_read_b64 v[32:33], v32 offset:21344
	ds_read_b64 v[34:35], v31 offset:20808
	s_waitcnt lgkmcnt(0)
	v_mul_f32_e32 v36, v35, v33
	v_mul_f32_e32 v33, v34, v33
	v_fma_f32 v34, v34, v32, -v36
	v_fmac_f32_e32 v33, v35, v32
	v_add_f32_e32 v10, v10, v34
	v_add_f32_e32 v11, v11, v33
	s_or_b64 exec, exec, s[16:17]
	v_cmp_gt_u32_e64 s[12:13], 8, v17
	s_and_saveexec_b64 s[16:17], s[12:13]
	s_cbranch_execz .LBB165_687
.LBB165_1094:
	ds_read_b64 v[32:33], v15 offset:21856
	ds_read_b64 v[34:35], v31 offset:20816
	s_waitcnt lgkmcnt(0)
	v_mul_f32_e32 v31, v35, v33
	v_mul_f32_e32 v33, v34, v33
	v_fma_f32 v31, v34, v32, -v31
	v_fmac_f32_e32 v33, v35, v32
	v_add_f32_e32 v10, v10, v31
	v_add_f32_e32 v11, v11, v33
	s_or_b64 exec, exec, s[16:17]
	v_cmp_gt_u32_e64 s[12:13], 4, v17
	s_and_saveexec_b64 s[16:17], s[12:13]
	s_cbranch_execnz .LBB165_688
	s_branch .LBB165_689
.LBB165_1095:
	v_lshlrev_b32_e32 v30, 3, v27
	v_lshl_add_u32 v30, v29, 3, v30
	ds_read_b64 v[32:33], v30 offset:22400
	ds_read_b64 v[34:35], v31 offset:16728
	s_waitcnt lgkmcnt(0)
	v_mul_f32_e32 v30, v35, v33
	v_mul_f32_e32 v33, v34, v33
	v_fma_f32 v30, v34, v32, -v30
	v_fmac_f32_e32 v33, v35, v32
	v_add_f32_e32 v10, v10, v30
	v_add_f32_e32 v11, v11, v33
	s_or_b64 exec, exec, s[16:17]
	v_cmp_gt_u32_e64 s[12:13], 64, v17
	s_and_saveexec_b64 s[16:17], s[12:13]
	s_cbranch_execz .LBB165_749
.LBB165_1096:
	ds_read_b64 v[32:33], v26 offset:22912
	ds_read_b64 v[34:35], v31 offset:16736
	s_waitcnt lgkmcnt(0)
	v_mul_f32_e32 v30, v35, v33
	v_mul_f32_e32 v33, v34, v33
	v_fma_f32 v30, v34, v32, -v30
	v_fmac_f32_e32 v33, v35, v32
	v_add_f32_e32 v10, v10, v30
	v_add_f32_e32 v11, v11, v33
	s_or_b64 exec, exec, s[16:17]
	v_cmp_gt_u32_e64 s[12:13], 48, v17
	s_and_saveexec_b64 s[16:17], s[12:13]
	s_cbranch_execz .LBB165_750
.LBB165_1097:
	v_lshlrev_b32_e32 v30, 3, v27
	v_lshl_add_u32 v29, v29, 3, v30
	ds_read_b64 v[29:30], v29 offset:23424
	ds_read_b64 v[32:33], v31 offset:16744
	s_waitcnt lgkmcnt(0)
	v_mul_f32_e32 v34, v33, v30
	v_mul_f32_e32 v30, v32, v30
	v_fma_f32 v32, v32, v29, -v34
	v_fmac_f32_e32 v30, v33, v29
	v_add_f32_e32 v10, v10, v32
	v_add_f32_e32 v11, v11, v30
	s_or_b64 exec, exec, s[16:17]
	v_cmp_gt_u32_e64 s[12:13], 32, v17
	s_and_saveexec_b64 s[16:17], s[12:13]
	s_cbranch_execz .LBB165_751
.LBB165_1098:
	ds_read_b64 v[29:30], v26 offset:23936
	ds_read_b64 v[31:32], v31 offset:16752
	s_waitcnt lgkmcnt(0)
	v_mul_f32_e32 v33, v32, v30
	v_mul_f32_e32 v30, v31, v30
	v_fma_f32 v31, v31, v29, -v33
	v_fmac_f32_e32 v30, v32, v29
	v_add_f32_e32 v10, v10, v31
	v_add_f32_e32 v11, v11, v30
	s_or_b64 exec, exec, s[16:17]
	v_cmp_gt_u32_e64 s[12:13], 16, v17
	s_and_saveexec_b64 s[16:17], s[12:13]
	s_cbranch_execnz .LBB165_752
	s_branch .LBB165_753
.LBB165_1099:
	v_lshlrev_b32_e32 v27, 3, v20
	v_sub_u32_e32 v27, v26, v27
	v_lshl_add_u32 v27, v19, 3, v27
	ds_read_b64 v[27:28], v27 offset:25504
	ds_read_b64 v[29:30], v26 offset:24968
	s_waitcnt lgkmcnt(0)
	v_mul_f32_e32 v31, v30, v28
	v_mul_f32_e32 v28, v29, v28
	v_fma_f32 v29, v29, v27, -v31
	v_fmac_f32_e32 v28, v30, v27
	v_add_f32_e32 v10, v10, v29
	v_add_f32_e32 v11, v11, v28
	s_or_b64 exec, exec, s[12:13]
	v_cmp_gt_u32_e64 s[10:11], 8, v17
	s_and_saveexec_b64 s[12:13], s[10:11]
	s_cbranch_execz .LBB165_841
.LBB165_1100:
	ds_read_b64 v[27:28], v15 offset:26016
	ds_read_b64 v[29:30], v26 offset:24976
	s_waitcnt lgkmcnt(0)
	v_mul_f32_e32 v26, v30, v28
	v_mul_f32_e32 v28, v29, v28
	v_fma_f32 v26, v29, v27, -v26
	v_fmac_f32_e32 v28, v30, v27
	v_add_f32_e32 v10, v10, v26
	v_add_f32_e32 v11, v11, v28
	s_or_b64 exec, exec, s[12:13]
	v_cmp_gt_u32_e64 s[10:11], 4, v17
	s_and_saveexec_b64 s[12:13], s[10:11]
	s_cbranch_execnz .LBB165_842
	s_branch .LBB165_843
.LBB165_1101:
	v_lshlrev_b32_e32 v27, 3, v25
	v_sub_u32_e32 v27, v26, v27
	v_lshl_add_u32 v27, v24, 3, v27
	ds_read_b64 v[27:28], v27 offset:25536
	ds_read_b64 v[29:30], v26 offset:24968
	s_waitcnt lgkmcnt(0)
	v_mul_f32_e32 v31, v30, v28
	v_mul_f32_e32 v28, v29, v28
	v_fma_f32 v29, v29, v27, -v31
	v_fmac_f32_e32 v28, v30, v27
	v_add_f32_e32 v10, v10, v29
	v_add_f32_e32 v11, v11, v28
	s_or_b64 exec, exec, s[12:13]
	v_cmp_gt_u32_e64 s[10:11], 48, v17
	s_and_saveexec_b64 s[12:13], s[10:11]
	s_cbranch_execz .LBB165_883
.LBB165_1102:
	v_lshlrev_b32_e32 v27, 3, v25
	v_sub_u32_e32 v27, v26, v27
	v_lshl_add_u32 v27, v24, 3, v27
	ds_read_b64 v[27:28], v27 offset:26048
	ds_read_b64 v[29:30], v26 offset:24976
	s_waitcnt lgkmcnt(0)
	v_mul_f32_e32 v31, v30, v28
	v_mul_f32_e32 v28, v29, v28
	v_fma_f32 v29, v29, v27, -v31
	v_fmac_f32_e32 v28, v30, v27
	v_add_f32_e32 v10, v10, v29
	v_add_f32_e32 v11, v11, v28
	s_or_b64 exec, exec, s[12:13]
	v_cmp_gt_u32_e64 s[10:11], 40, v17
	s_and_saveexec_b64 s[12:13], s[10:11]
	s_cbranch_execz .LBB165_884
.LBB165_1103:
	v_lshlrev_b32_e32 v27, 3, v25
	v_sub_u32_e32 v27, v26, v27
	v_lshl_add_u32 v27, v24, 3, v27
	ds_read_b64 v[27:28], v27 offset:26560
	ds_read_b64 v[29:30], v26 offset:24984
	s_waitcnt lgkmcnt(0)
	v_mul_f32_e32 v31, v30, v28
	v_mul_f32_e32 v28, v29, v28
	v_fma_f32 v29, v29, v27, -v31
	v_fmac_f32_e32 v28, v30, v27
	v_add_f32_e32 v10, v10, v29
	v_add_f32_e32 v11, v11, v28
	s_or_b64 exec, exec, s[12:13]
	v_cmp_gt_u32_e64 s[10:11], 32, v17
	s_and_saveexec_b64 s[12:13], s[10:11]
	s_cbranch_execz .LBB165_885
.LBB165_1104:
	ds_read_b64 v[27:28], v21 offset:27072
	ds_read_b64 v[29:30], v26 offset:24992
	s_waitcnt lgkmcnt(0)
	v_mul_f32_e32 v31, v30, v28
	v_mul_f32_e32 v28, v29, v28
	v_fma_f32 v29, v29, v27, -v31
	v_fmac_f32_e32 v28, v30, v27
	v_add_f32_e32 v10, v10, v29
	v_add_f32_e32 v11, v11, v28
	s_or_b64 exec, exec, s[12:13]
	v_cmp_gt_u32_e64 s[10:11], 24, v17
	s_and_saveexec_b64 s[12:13], s[10:11]
	s_cbranch_execz .LBB165_886
.LBB165_1105:
	v_lshlrev_b32_e32 v25, 3, v25
	v_sub_u32_e32 v25, v26, v25
	v_lshl_add_u32 v24, v24, 3, v25
	ds_read_b64 v[24:25], v24 offset:27584
	ds_read_b64 v[27:28], v26 offset:25000
	s_waitcnt lgkmcnt(0)
	v_mul_f32_e32 v29, v28, v25
	v_mul_f32_e32 v25, v27, v25
	v_fma_f32 v27, v27, v24, -v29
	v_fmac_f32_e32 v25, v28, v24
	v_add_f32_e32 v10, v10, v27
	v_add_f32_e32 v11, v11, v25
	s_or_b64 exec, exec, s[12:13]
	v_cmp_gt_u32_e64 s[10:11], 16, v17
	s_and_saveexec_b64 s[12:13], s[10:11]
	s_cbranch_execz .LBB165_887
.LBB165_1106:
	ds_read_b64 v[24:25], v21 offset:28096
	ds_read_b64 v[26:27], v26 offset:25008
	s_waitcnt lgkmcnt(0)
	v_mul_f32_e32 v28, v27, v25
	v_mul_f32_e32 v25, v26, v25
	v_fma_f32 v26, v26, v24, -v28
	v_fmac_f32_e32 v25, v27, v24
	v_add_f32_e32 v10, v10, v26
	v_add_f32_e32 v11, v11, v25
	s_or_b64 exec, exec, s[12:13]
	v_cmp_gt_u32_e64 s[10:11], 8, v17
	s_and_saveexec_b64 s[12:13], s[10:11]
	s_cbranch_execnz .LBB165_888
	s_branch .LBB165_889
.LBB165_1107:
	v_lshlrev_b32_e32 v20, 3, v20
	v_sub_u32_e32 v20, v21, v20
	v_lshl_add_u32 v19, v19, 3, v20
	ds_read_b64 v[19:20], v19 offset:29664
	ds_read_b64 v[22:23], v21 offset:29128
	s_waitcnt lgkmcnt(0)
	v_mul_f32_e32 v24, v23, v20
	v_mul_f32_e32 v20, v22, v20
	v_fma_f32 v22, v22, v19, -v24
	v_fmac_f32_e32 v20, v23, v19
	v_add_f32_e32 v10, v10, v22
	v_add_f32_e32 v11, v11, v20
	s_or_b64 exec, exec, s[10:11]
	v_cmp_gt_u32_e64 s[8:9], 8, v17
	s_and_saveexec_b64 s[10:11], s[8:9]
	s_cbranch_execz .LBB165_945
.LBB165_1108:
	ds_read_b64 v[19:20], v15 offset:30176
	ds_read_b64 v[21:22], v21 offset:29136
	s_waitcnt lgkmcnt(0)
	v_mul_f32_e32 v23, v22, v20
	v_mul_f32_e32 v20, v21, v20
	v_fma_f32 v21, v21, v19, -v23
	v_fmac_f32_e32 v20, v22, v19
	v_add_f32_e32 v10, v10, v21
	v_add_f32_e32 v11, v11, v20
	s_or_b64 exec, exec, s[10:11]
	v_cmp_gt_u32_e64 s[8:9], 4, v17
	s_and_saveexec_b64 s[10:11], s[8:9]
	s_cbranch_execnz .LBB165_946
	s_branch .LBB165_947
	.section	.rodata,"a",@progbits
	.p2align	6, 0x0
	.amdhsa_kernel _ZL19rocblas_trsv_deviceILi64ELi16ELb1ELb1ELb1ELb1E19rocblas_complex_numIfES1_PKPKS1_PKPS1_EviT7_lllT6_T8_lllPii
		.amdhsa_group_segment_fixed_size 41480
		.amdhsa_private_segment_fixed_size 0
		.amdhsa_kernarg_size 352
		.amdhsa_user_sgpr_count 6
		.amdhsa_user_sgpr_private_segment_buffer 1
		.amdhsa_user_sgpr_dispatch_ptr 0
		.amdhsa_user_sgpr_queue_ptr 0
		.amdhsa_user_sgpr_kernarg_segment_ptr 1
		.amdhsa_user_sgpr_dispatch_id 0
		.amdhsa_user_sgpr_flat_scratch_init 0
		.amdhsa_user_sgpr_private_segment_size 0
		.amdhsa_uses_dynamic_stack 0
		.amdhsa_system_sgpr_private_segment_wavefront_offset 0
		.amdhsa_system_sgpr_workgroup_id_x 1
		.amdhsa_system_sgpr_workgroup_id_y 0
		.amdhsa_system_sgpr_workgroup_id_z 1
		.amdhsa_system_sgpr_workgroup_info 0
		.amdhsa_system_vgpr_workitem_id 1
		.amdhsa_next_free_vgpr 49
		.amdhsa_next_free_sgpr 98
		.amdhsa_reserve_vcc 1
		.amdhsa_reserve_flat_scratch 0
		.amdhsa_float_round_mode_32 0
		.amdhsa_float_round_mode_16_64 0
		.amdhsa_float_denorm_mode_32 3
		.amdhsa_float_denorm_mode_16_64 3
		.amdhsa_dx10_clamp 1
		.amdhsa_ieee_mode 1
		.amdhsa_fp16_overflow 0
		.amdhsa_exception_fp_ieee_invalid_op 0
		.amdhsa_exception_fp_denorm_src 0
		.amdhsa_exception_fp_ieee_div_zero 0
		.amdhsa_exception_fp_ieee_overflow 0
		.amdhsa_exception_fp_ieee_underflow 0
		.amdhsa_exception_fp_ieee_inexact 0
		.amdhsa_exception_int_div_zero 0
	.end_amdhsa_kernel
	.section	.text._ZL19rocblas_trsv_deviceILi64ELi16ELb1ELb1ELb1ELb1E19rocblas_complex_numIfES1_PKPKS1_PKPS1_EviT7_lllT6_T8_lllPii,"axG",@progbits,_ZL19rocblas_trsv_deviceILi64ELi16ELb1ELb1ELb1ELb1E19rocblas_complex_numIfES1_PKPKS1_PKPS1_EviT7_lllT6_T8_lllPii,comdat
.Lfunc_end165:
	.size	_ZL19rocblas_trsv_deviceILi64ELi16ELb1ELb1ELb1ELb1E19rocblas_complex_numIfES1_PKPKS1_PKPS1_EviT7_lllT6_T8_lllPii, .Lfunc_end165-_ZL19rocblas_trsv_deviceILi64ELi16ELb1ELb1ELb1ELb1E19rocblas_complex_numIfES1_PKPKS1_PKPS1_EviT7_lllT6_T8_lllPii
                                        ; -- End function
	.set _ZL19rocblas_trsv_deviceILi64ELi16ELb1ELb1ELb1ELb1E19rocblas_complex_numIfES1_PKPKS1_PKPS1_EviT7_lllT6_T8_lllPii.num_vgpr, 43
	.set _ZL19rocblas_trsv_deviceILi64ELi16ELb1ELb1ELb1ELb1E19rocblas_complex_numIfES1_PKPKS1_PKPS1_EviT7_lllT6_T8_lllPii.num_agpr, 0
	.set _ZL19rocblas_trsv_deviceILi64ELi16ELb1ELb1ELb1ELb1E19rocblas_complex_numIfES1_PKPKS1_PKPS1_EviT7_lllT6_T8_lllPii.numbered_sgpr, 96
	.set _ZL19rocblas_trsv_deviceILi64ELi16ELb1ELb1ELb1ELb1E19rocblas_complex_numIfES1_PKPKS1_PKPS1_EviT7_lllT6_T8_lllPii.num_named_barrier, 0
	.set _ZL19rocblas_trsv_deviceILi64ELi16ELb1ELb1ELb1ELb1E19rocblas_complex_numIfES1_PKPKS1_PKPS1_EviT7_lllT6_T8_lllPii.private_seg_size, 0
	.set _ZL19rocblas_trsv_deviceILi64ELi16ELb1ELb1ELb1ELb1E19rocblas_complex_numIfES1_PKPKS1_PKPS1_EviT7_lllT6_T8_lllPii.uses_vcc, 1
	.set _ZL19rocblas_trsv_deviceILi64ELi16ELb1ELb1ELb1ELb1E19rocblas_complex_numIfES1_PKPKS1_PKPS1_EviT7_lllT6_T8_lllPii.uses_flat_scratch, 0
	.set _ZL19rocblas_trsv_deviceILi64ELi16ELb1ELb1ELb1ELb1E19rocblas_complex_numIfES1_PKPKS1_PKPS1_EviT7_lllT6_T8_lllPii.has_dyn_sized_stack, 0
	.set _ZL19rocblas_trsv_deviceILi64ELi16ELb1ELb1ELb1ELb1E19rocblas_complex_numIfES1_PKPKS1_PKPS1_EviT7_lllT6_T8_lllPii.has_recursion, 0
	.set _ZL19rocblas_trsv_deviceILi64ELi16ELb1ELb1ELb1ELb1E19rocblas_complex_numIfES1_PKPKS1_PKPS1_EviT7_lllT6_T8_lllPii.has_indirect_call, 0
	.section	.AMDGPU.csdata,"",@progbits
; Kernel info:
; codeLenInByte = 39020
; TotalNumSgprs: 100
; NumVgprs: 43
; ScratchSize: 0
; MemoryBound: 0
; FloatMode: 240
; IeeeMode: 1
; LDSByteSize: 41480 bytes/workgroup (compile time only)
; SGPRBlocks: 12
; VGPRBlocks: 12
; NumSGPRsForWavesPerEU: 102
; NumVGPRsForWavesPerEU: 49
; Occupancy: 4
; WaveLimiterHint : 1
; COMPUTE_PGM_RSRC2:SCRATCH_EN: 0
; COMPUTE_PGM_RSRC2:USER_SGPR: 6
; COMPUTE_PGM_RSRC2:TRAP_HANDLER: 0
; COMPUTE_PGM_RSRC2:TGID_X_EN: 1
; COMPUTE_PGM_RSRC2:TGID_Y_EN: 0
; COMPUTE_PGM_RSRC2:TGID_Z_EN: 1
; COMPUTE_PGM_RSRC2:TIDIG_COMP_CNT: 1
	.section	.text._ZL19rocblas_trsv_deviceILi64ELi16ELb1ELb0ELb0ELb0E19rocblas_complex_numIfES1_PKPKS1_PKPS1_EviT7_lllT6_T8_lllPii,"axG",@progbits,_ZL19rocblas_trsv_deviceILi64ELi16ELb1ELb0ELb0ELb0E19rocblas_complex_numIfES1_PKPKS1_PKPS1_EviT7_lllT6_T8_lllPii,comdat
	.globl	_ZL19rocblas_trsv_deviceILi64ELi16ELb1ELb0ELb0ELb0E19rocblas_complex_numIfES1_PKPKS1_PKPS1_EviT7_lllT6_T8_lllPii ; -- Begin function _ZL19rocblas_trsv_deviceILi64ELi16ELb1ELb0ELb0ELb0E19rocblas_complex_numIfES1_PKPKS1_PKPS1_EviT7_lllT6_T8_lllPii
	.p2align	8
	.type	_ZL19rocblas_trsv_deviceILi64ELi16ELb1ELb0ELb0ELb0E19rocblas_complex_numIfES1_PKPKS1_PKPS1_EviT7_lllT6_T8_lllPii,@function
_ZL19rocblas_trsv_deviceILi64ELi16ELb1ELb0ELb0ELb0E19rocblas_complex_numIfES1_PKPKS1_PKPS1_EviT7_lllT6_T8_lllPii: ; @_ZL19rocblas_trsv_deviceILi64ELi16ELb1ELb0ELb0ELb0E19rocblas_complex_numIfES1_PKPKS1_PKPS1_EviT7_lllT6_T8_lllPii
; %bb.0:
	s_add_u32 flat_scratch_lo, s6, s10
	s_mov_b32 s24, s9
	s_load_dwordx4 s[12:15], s[4:5], 0x8
	s_load_dword s9, s[4:5], 0x0
	s_addc_u32 flat_scratch_hi, s7, 0
	s_add_u32 s0, s0, s10
	s_mov_b32 s25, 0
	s_addc_u32 s1, s1, 0
	s_lshl_b64 s[6:7], s[24:25], 3
	s_waitcnt lgkmcnt(0)
	s_add_u32 s10, s12, s6
	s_addc_u32 s11, s13, s7
	s_load_dwordx2 s[12:13], s[10:11], 0x0
	s_load_dwordx2 s[28:29], s[4:5], 0x18
	;; [unrolled: 1-line block ×3, first 2 shown]
	s_load_dwordx4 s[16:19], s[4:5], 0x30
	s_load_dwordx2 s[26:27], s[4:5], 0x40
	s_lshl_b64 s[10:11], s[14:15], 3
	s_waitcnt lgkmcnt(0)
	s_add_u32 s85, s12, s10
	s_addc_u32 s86, s13, s11
	s_add_u32 s6, s16, s6
	s_addc_u32 s7, s17, s7
	s_load_dwordx2 s[22:23], s[6:7], 0x0
	s_load_dword s87, s[4:5], 0x6c
	v_mov_b32_e32 v2, v1
	s_cmp_eq_u32 s8, 0
	s_mov_b32 s33, s25
	s_cbranch_scc1 .LBB166_18
; %bb.1:
	s_lshl_b32 s33, s8, 6
	v_add_u32_e32 v1, s33, v2
	v_subrev_u32_e32 v1, 64, v1
	v_ashrrev_i32_e32 v3, 31, v1
	v_mul_lo_u32 v7, s28, v3
	v_mul_lo_u32 v8, s29, v1
	v_mad_u64_u32 v[3:4], s[6:7], s28, v1, 0
	v_add_u32_e32 v5, s33, v0
	v_ashrrev_i32_e32 v6, 31, v5
	v_add3_u32 v4, v4, v7, v8
	v_lshlrev_b64 v[3:4], 3, v[3:4]
	v_mov_b32_e32 v7, s86
	v_add_co_u32_e64 v8, s[6:7], s85, v3
	v_addc_co_u32_e64 v7, s[6:7], v7, v4, s[6:7]
	v_lshlrev_b64 v[3:4], 3, v[5:6]
	v_cmp_gt_i32_e32 vcc, s9, v5
	v_add_co_u32_e64 v3, s[6:7], v8, v3
	v_addc_co_u32_e64 v4, s[6:7], v7, v4, s[6:7]
	v_max_i32_e32 v5, v5, v1
	v_cmp_le_i32_e64 s[6:7], s9, v5
	s_waitcnt lgkmcnt(0)
	s_barrier
	s_and_saveexec_b64 s[10:11], s[6:7]
	s_xor_b64 s[6:7], exec, s[10:11]
	s_cbranch_execz .LBB166_3
; %bb.2:
	v_mov_b32_e32 v5, 0
	buffer_store_dword v5, off, s[0:3], 0
	buffer_store_dword v5, off, s[0:3], 0 offset:4
.LBB166_3:
	s_andn2_saveexec_b64 s[6:7], s[6:7]
	s_cbranch_execz .LBB166_5
; %bb.4:
	flat_load_dwordx2 v[5:6], v[3:4]
	s_waitcnt vmcnt(0) lgkmcnt(0)
	buffer_store_dword v6, off, s[0:3], 0 offset:4
	buffer_store_dword v5, off, s[0:3], 0
.LBB166_5:
	s_or_b64 exec, exec, s[6:7]
	v_add_u32_e32 v5, 16, v1
	v_cmp_le_i32_e64 s[6:7], s9, v5
	s_xor_b64 s[10:11], vcc, -1
	s_or_b64 s[6:7], s[10:11], s[6:7]
	s_waitcnt vmcnt(0)
	s_barrier
	s_and_saveexec_b64 s[12:13], s[6:7]
	s_xor_b64 s[6:7], exec, s[12:13]
	s_cbranch_execz .LBB166_7
; %bb.6:
	v_mov_b32_e32 v5, 0
	buffer_store_dword v5, off, s[0:3], 0 offset:8
	buffer_store_dword v5, off, s[0:3], 0 offset:12
.LBB166_7:
	s_andn2_saveexec_b64 s[6:7], s[6:7]
	s_cbranch_execz .LBB166_9
; %bb.8:
	s_lshl_b64 s[12:13], s[28:29], 7
	v_mov_b32_e32 v6, s13
	v_add_co_u32_e32 v5, vcc, s12, v3
	v_addc_co_u32_e32 v6, vcc, v4, v6, vcc
	flat_load_dwordx2 v[5:6], v[5:6]
	s_waitcnt vmcnt(0) lgkmcnt(0)
	buffer_store_dword v6, off, s[0:3], 0 offset:12
	buffer_store_dword v5, off, s[0:3], 0 offset:8
.LBB166_9:
	s_or_b64 exec, exec, s[6:7]
	v_add_u32_e32 v5, 32, v1
	v_cmp_le_i32_e32 vcc, s9, v5
	s_or_b64 s[6:7], s[10:11], vcc
	s_waitcnt vmcnt(0)
	s_barrier
	s_and_saveexec_b64 s[12:13], s[6:7]
	s_xor_b64 s[6:7], exec, s[12:13]
	s_cbranch_execz .LBB166_11
; %bb.10:
	v_mov_b32_e32 v5, 0
	buffer_store_dword v5, off, s[0:3], 0 offset:16
	buffer_store_dword v5, off, s[0:3], 0 offset:20
.LBB166_11:
	s_andn2_saveexec_b64 s[6:7], s[6:7]
	s_cbranch_execz .LBB166_13
; %bb.12:
	s_lshl_b64 s[12:13], s[28:29], 8
	v_mov_b32_e32 v6, s13
	v_add_co_u32_e32 v5, vcc, s12, v3
	v_addc_co_u32_e32 v6, vcc, v4, v6, vcc
	flat_load_dwordx2 v[5:6], v[5:6]
	s_waitcnt vmcnt(0) lgkmcnt(0)
	buffer_store_dword v6, off, s[0:3], 0 offset:20
	buffer_store_dword v5, off, s[0:3], 0 offset:16
.LBB166_13:
	s_or_b64 exec, exec, s[6:7]
	v_add_u32_e32 v1, 48, v1
	v_cmp_le_i32_e32 vcc, s9, v1
	s_or_b64 s[6:7], s[10:11], vcc
	s_waitcnt vmcnt(0)
	s_barrier
	s_and_saveexec_b64 s[10:11], s[6:7]
	s_xor_b64 s[6:7], exec, s[10:11]
	s_cbranch_execz .LBB166_15
; %bb.14:
	v_mov_b32_e32 v1, 0
	buffer_store_dword v1, off, s[0:3], 0 offset:24
	buffer_store_dword v1, off, s[0:3], 0 offset:28
                                        ; implicit-def: $vgpr3_vgpr4
.LBB166_15:
	s_andn2_saveexec_b64 s[6:7], s[6:7]
	s_cbranch_execz .LBB166_17
; %bb.16:
	v_mov_b32_e32 v1, 0x180
	v_mad_u64_u32 v[3:4], s[10:11], s28, v1, v[3:4]
	s_mul_i32 s10, s29, 0x180
	v_add_u32_e32 v4, s10, v4
	flat_load_dwordx2 v[3:4], v[3:4]
	s_waitcnt vmcnt(0) lgkmcnt(0)
	buffer_store_dword v4, off, s[0:3], 0 offset:28
	buffer_store_dword v3, off, s[0:3], 0 offset:24
.LBB166_17:
	s_or_b64 exec, exec, s[6:7]
.LBB166_18:
	s_ashr_i32 s6, s9, 31
	s_lshr_b32 s6, s6, 26
	s_add_i32 s6, s9, s6
	s_andn2_b32 s6, s6, 63
	s_sub_i32 s84, s9, s6
	s_add_i32 s6, s9, -1
	s_ashr_i32 s7, s6, 31
	s_lshr_b32 s7, s7, 26
	s_add_i32 s6, s6, s7
	s_ashr_i32 s6, s6, 6
	s_cmp_eq_u32 s6, s8
	s_cselect_b64 s[6:7], -1, 0
	s_cmp_lg_u32 s84, 0
	s_cselect_b64 s[10:11], -1, 0
	s_and_b64 s[30:31], s[10:11], s[6:7]
	s_ashr_i32 s58, s33, 31
	s_add_u32 s12, s28, 1
	v_mov_b32_e32 v1, 0
	v_mov_b32_e32 v3, s33
	v_mad_u64_u32 v[3:4], s[6:7], s12, v3, v[0:1]
	s_addc_u32 s13, s29, 0
	s_mul_i32 s6, s12, s58
	s_mul_i32 s13, s13, s33
	s_add_i32 s6, s6, s13
	s_mov_b64 s[10:11], -1
	v_add_u32_e32 v4, s6, v4
	s_and_b64 vcc, exec, s[30:31]
	v_cmp_le_u32_e64 s[6:7], v0, v2
	v_lshl_add_u32 v1, v2, 6, v0
	s_cbranch_vccnz .LBB166_76
; %bb.19:
	v_mad_u64_u32 v[5:6], s[10:11], s28, v2, v[3:4]
	v_mad_u64_u32 v[6:7], s[10:11], s29, v2, v[6:7]
	s_and_saveexec_b64 s[10:11], s[6:7]
	s_xor_b64 s[6:7], exec, s[10:11]
	s_cbranch_execz .LBB166_31
; %bb.20:
	v_cmp_ne_u32_e32 vcc, v0, v2
	s_and_saveexec_b64 s[10:11], vcc
	s_xor_b64 s[10:11], exec, s[10:11]
	s_cbranch_execz .LBB166_24
; %bb.21:
	v_or_b32_e32 v5, v2, v0
	v_cmp_gt_u32_e32 vcc, 64, v5
	s_and_saveexec_b64 s[12:13], vcc
; %bb.22:
	v_mov_b32_e32 v5, 0
	v_lshlrev_b32_e32 v7, 3, v1
	v_mov_b32_e32 v6, v5
	ds_write_b64 v7, v[5:6]
; %bb.23:
	s_or_b64 exec, exec, s[12:13]
                                        ; implicit-def: $vgpr5_vgpr6
.LBB166_24:
	s_andn2_saveexec_b64 s[10:11], s[10:11]
	s_cbranch_execz .LBB166_30
; %bb.25:
	v_lshlrev_b64 v[5:6], 3, v[5:6]
	v_mov_b32_e32 v7, s86
	v_add_co_u32_e32 v5, vcc, s85, v5
	v_addc_co_u32_e32 v6, vcc, v7, v6, vcc
	flat_load_dwordx2 v[5:6], v[5:6]
                                        ; implicit-def: $vgpr7
	s_waitcnt vmcnt(0) lgkmcnt(0)
	v_cmp_ngt_f32_e64 s[12:13], |v5|, |v6|
	s_and_saveexec_b64 s[14:15], s[12:13]
	s_xor_b64 s[12:13], exec, s[14:15]
	s_cbranch_execz .LBB166_27
; %bb.26:
	v_div_scale_f32 v7, s[14:15], v6, v6, v5
	v_div_scale_f32 v8, vcc, v5, v6, v5
	v_rcp_f32_e32 v9, v7
	v_fma_f32 v10, -v7, v9, 1.0
	v_fmac_f32_e32 v9, v10, v9
	v_mul_f32_e32 v10, v8, v9
	v_fma_f32 v11, -v7, v10, v8
	v_fmac_f32_e32 v10, v11, v9
	v_fma_f32 v7, -v7, v10, v8
	v_div_fmas_f32 v7, v7, v9, v10
	v_div_fixup_f32 v7, v7, v6, v5
	v_fmac_f32_e32 v6, v5, v7
	v_div_scale_f32 v5, s[14:15], v6, v6, 1.0
	v_div_scale_f32 v8, vcc, 1.0, v6, 1.0
	v_rcp_f32_e32 v9, v5
	v_fma_f32 v10, -v5, v9, 1.0
	v_fmac_f32_e32 v9, v10, v9
	v_mul_f32_e32 v10, v8, v9
	v_fma_f32 v11, -v5, v10, v8
	v_fmac_f32_e32 v10, v11, v9
	v_fma_f32 v5, -v5, v10, v8
	v_div_fmas_f32 v5, v5, v9, v10
	v_div_fixup_f32 v5, v5, v6, 1.0
	v_mul_f32_e32 v7, v7, v5
	v_xor_b32_e32 v8, 0x80000000, v5
                                        ; implicit-def: $vgpr5_vgpr6
.LBB166_27:
	s_andn2_saveexec_b64 s[12:13], s[12:13]
	s_cbranch_execz .LBB166_29
; %bb.28:
	v_div_scale_f32 v7, s[14:15], v5, v5, v6
	v_div_scale_f32 v8, vcc, v6, v5, v6
	v_rcp_f32_e32 v9, v7
	v_fma_f32 v10, -v7, v9, 1.0
	v_fmac_f32_e32 v9, v10, v9
	v_mul_f32_e32 v10, v8, v9
	v_fma_f32 v11, -v7, v10, v8
	v_fmac_f32_e32 v10, v11, v9
	v_fma_f32 v7, -v7, v10, v8
	v_div_fmas_f32 v7, v7, v9, v10
	v_div_fixup_f32 v8, v7, v5, v6
	v_fmac_f32_e32 v5, v6, v8
	v_div_scale_f32 v6, s[14:15], v5, v5, 1.0
	v_div_scale_f32 v7, vcc, 1.0, v5, 1.0
	v_rcp_f32_e32 v9, v6
	v_fma_f32 v10, -v6, v9, 1.0
	v_fmac_f32_e32 v9, v10, v9
	v_mul_f32_e32 v10, v7, v9
	v_fma_f32 v11, -v6, v10, v7
	v_fmac_f32_e32 v10, v11, v9
	v_fma_f32 v6, -v6, v10, v7
	v_div_fmas_f32 v6, v6, v9, v10
	v_div_fixup_f32 v7, v6, v5, 1.0
	v_mul_f32_e64 v8, v8, -v7
.LBB166_29:
	s_or_b64 exec, exec, s[12:13]
	v_lshlrev_b32_e32 v5, 3, v1
	ds_write_b64 v5, v[7:8]
.LBB166_30:
	s_or_b64 exec, exec, s[10:11]
                                        ; implicit-def: $vgpr5_vgpr6
.LBB166_31:
	s_andn2_saveexec_b64 s[6:7], s[6:7]
	s_cbranch_execz .LBB166_33
; %bb.32:
	v_lshlrev_b64 v[5:6], 3, v[5:6]
	v_mov_b32_e32 v7, s86
	v_add_co_u32_e32 v5, vcc, s85, v5
	v_addc_co_u32_e32 v6, vcc, v7, v6, vcc
	flat_load_dwordx2 v[5:6], v[5:6]
	v_lshlrev_b32_e32 v7, 3, v1
	s_waitcnt vmcnt(0) lgkmcnt(0)
	v_xor_b32_e32 v5, 0x80000000, v5
	v_xor_b32_e32 v6, 0x80000000, v6
	ds_write_b64 v7, v[5:6]
.LBB166_33:
	s_or_b64 exec, exec, s[6:7]
	v_add_u32_e32 v7, 16, v2
	v_mad_u64_u32 v[5:6], s[6:7], s28, v7, v[3:4]
	v_cmp_le_u32_e32 vcc, v0, v7
	v_mad_u64_u32 v[8:9], s[6:7], s29, v7, v[6:7]
	v_lshl_add_u32 v9, v7, 6, v0
	v_mov_b32_e32 v6, v8
	s_and_saveexec_b64 s[6:7], vcc
	s_xor_b64 s[6:7], exec, s[6:7]
	s_cbranch_execz .LBB166_45
; %bb.34:
	v_cmp_ne_u32_e32 vcc, v0, v7
	s_and_saveexec_b64 s[10:11], vcc
	s_xor_b64 s[10:11], exec, s[10:11]
	s_cbranch_execz .LBB166_38
; %bb.35:
	v_or_b32_e32 v5, v7, v0
	v_cmp_gt_u32_e32 vcc, 64, v5
	s_and_saveexec_b64 s[12:13], vcc
; %bb.36:
	v_mov_b32_e32 v5, 0
	v_lshlrev_b32_e32 v7, 3, v9
	v_mov_b32_e32 v6, v5
	ds_write_b64 v7, v[5:6]
; %bb.37:
	s_or_b64 exec, exec, s[12:13]
                                        ; implicit-def: $vgpr9
                                        ; implicit-def: $vgpr5_vgpr6
.LBB166_38:
	s_andn2_saveexec_b64 s[10:11], s[10:11]
	s_cbranch_execz .LBB166_44
; %bb.39:
	v_lshlrev_b64 v[5:6], 3, v[5:6]
	v_mov_b32_e32 v7, s86
	v_add_co_u32_e32 v5, vcc, s85, v5
	v_addc_co_u32_e32 v6, vcc, v7, v6, vcc
	flat_load_dwordx2 v[5:6], v[5:6]
                                        ; implicit-def: $vgpr7
	s_waitcnt vmcnt(0) lgkmcnt(0)
	v_cmp_ngt_f32_e64 s[12:13], |v5|, |v6|
	s_and_saveexec_b64 s[14:15], s[12:13]
	s_xor_b64 s[12:13], exec, s[14:15]
	s_cbranch_execz .LBB166_41
; %bb.40:
	v_div_scale_f32 v7, s[14:15], v6, v6, v5
	v_div_scale_f32 v8, vcc, v5, v6, v5
	v_rcp_f32_e32 v10, v7
	v_fma_f32 v11, -v7, v10, 1.0
	v_fmac_f32_e32 v10, v11, v10
	v_mul_f32_e32 v11, v8, v10
	v_fma_f32 v12, -v7, v11, v8
	v_fmac_f32_e32 v11, v12, v10
	v_fma_f32 v7, -v7, v11, v8
	v_div_fmas_f32 v7, v7, v10, v11
	v_div_fixup_f32 v7, v7, v6, v5
	v_fmac_f32_e32 v6, v5, v7
	v_div_scale_f32 v5, s[14:15], v6, v6, 1.0
	v_div_scale_f32 v8, vcc, 1.0, v6, 1.0
	v_rcp_f32_e32 v10, v5
	v_fma_f32 v11, -v5, v10, 1.0
	v_fmac_f32_e32 v10, v11, v10
	v_mul_f32_e32 v11, v8, v10
	v_fma_f32 v12, -v5, v11, v8
	v_fmac_f32_e32 v11, v12, v10
	v_fma_f32 v5, -v5, v11, v8
	v_div_fmas_f32 v5, v5, v10, v11
	v_div_fixup_f32 v5, v5, v6, 1.0
	v_mul_f32_e32 v7, v7, v5
	v_xor_b32_e32 v8, 0x80000000, v5
                                        ; implicit-def: $vgpr5_vgpr6
.LBB166_41:
	s_andn2_saveexec_b64 s[12:13], s[12:13]
	s_cbranch_execz .LBB166_43
; %bb.42:
	v_div_scale_f32 v7, s[14:15], v5, v5, v6
	v_div_scale_f32 v8, vcc, v6, v5, v6
	v_rcp_f32_e32 v10, v7
	v_fma_f32 v11, -v7, v10, 1.0
	v_fmac_f32_e32 v10, v11, v10
	v_mul_f32_e32 v11, v8, v10
	v_fma_f32 v12, -v7, v11, v8
	v_fmac_f32_e32 v11, v12, v10
	v_fma_f32 v7, -v7, v11, v8
	v_div_fmas_f32 v7, v7, v10, v11
	v_div_fixup_f32 v8, v7, v5, v6
	v_fmac_f32_e32 v5, v6, v8
	v_div_scale_f32 v6, s[14:15], v5, v5, 1.0
	v_div_scale_f32 v7, vcc, 1.0, v5, 1.0
	v_rcp_f32_e32 v10, v6
	v_fma_f32 v11, -v6, v10, 1.0
	v_fmac_f32_e32 v10, v11, v10
	v_mul_f32_e32 v11, v7, v10
	v_fma_f32 v12, -v6, v11, v7
	v_fmac_f32_e32 v11, v12, v10
	v_fma_f32 v6, -v6, v11, v7
	v_div_fmas_f32 v6, v6, v10, v11
	v_div_fixup_f32 v7, v6, v5, 1.0
	v_mul_f32_e64 v8, v8, -v7
.LBB166_43:
	s_or_b64 exec, exec, s[12:13]
	v_lshlrev_b32_e32 v5, 3, v9
	ds_write_b64 v5, v[7:8]
.LBB166_44:
	s_or_b64 exec, exec, s[10:11]
                                        ; implicit-def: $vgpr5_vgpr6
                                        ; implicit-def: $vgpr9
.LBB166_45:
	s_andn2_saveexec_b64 s[6:7], s[6:7]
	s_cbranch_execz .LBB166_47
; %bb.46:
	v_lshlrev_b64 v[5:6], 3, v[5:6]
	v_mov_b32_e32 v7, s86
	v_add_co_u32_e32 v5, vcc, s85, v5
	v_addc_co_u32_e32 v6, vcc, v7, v6, vcc
	flat_load_dwordx2 v[5:6], v[5:6]
	v_lshlrev_b32_e32 v7, 3, v9
	s_waitcnt vmcnt(0) lgkmcnt(0)
	v_xor_b32_e32 v5, 0x80000000, v5
	v_xor_b32_e32 v6, 0x80000000, v6
	ds_write_b64 v7, v[5:6]
.LBB166_47:
	s_or_b64 exec, exec, s[6:7]
	v_add_u32_e32 v7, 32, v2
	v_mad_u64_u32 v[5:6], s[6:7], s28, v7, v[3:4]
	v_cmp_le_u32_e32 vcc, v0, v7
	v_mad_u64_u32 v[8:9], s[6:7], s29, v7, v[6:7]
	v_lshl_add_u32 v9, v7, 6, v0
	v_mov_b32_e32 v6, v8
	s_and_saveexec_b64 s[6:7], vcc
	s_xor_b64 s[6:7], exec, s[6:7]
	s_cbranch_execz .LBB166_59
; %bb.48:
	v_cmp_ne_u32_e32 vcc, v0, v7
	s_and_saveexec_b64 s[10:11], vcc
	s_xor_b64 s[10:11], exec, s[10:11]
	s_cbranch_execz .LBB166_52
; %bb.49:
	v_or_b32_e32 v5, v7, v0
	v_cmp_gt_u32_e32 vcc, 64, v5
	s_and_saveexec_b64 s[12:13], vcc
; %bb.50:
	v_mov_b32_e32 v5, 0
	v_lshlrev_b32_e32 v7, 3, v9
	v_mov_b32_e32 v6, v5
	ds_write_b64 v7, v[5:6]
; %bb.51:
	s_or_b64 exec, exec, s[12:13]
                                        ; implicit-def: $vgpr9
                                        ; implicit-def: $vgpr5_vgpr6
.LBB166_52:
	s_andn2_saveexec_b64 s[10:11], s[10:11]
	s_cbranch_execz .LBB166_58
; %bb.53:
	v_lshlrev_b64 v[5:6], 3, v[5:6]
	v_mov_b32_e32 v7, s86
	v_add_co_u32_e32 v5, vcc, s85, v5
	v_addc_co_u32_e32 v6, vcc, v7, v6, vcc
	flat_load_dwordx2 v[5:6], v[5:6]
                                        ; implicit-def: $vgpr7
	s_waitcnt vmcnt(0) lgkmcnt(0)
	v_cmp_ngt_f32_e64 s[12:13], |v5|, |v6|
	s_and_saveexec_b64 s[14:15], s[12:13]
	s_xor_b64 s[12:13], exec, s[14:15]
	s_cbranch_execz .LBB166_55
; %bb.54:
	v_div_scale_f32 v7, s[14:15], v6, v6, v5
	v_div_scale_f32 v8, vcc, v5, v6, v5
	v_rcp_f32_e32 v10, v7
	v_fma_f32 v11, -v7, v10, 1.0
	v_fmac_f32_e32 v10, v11, v10
	v_mul_f32_e32 v11, v8, v10
	v_fma_f32 v12, -v7, v11, v8
	v_fmac_f32_e32 v11, v12, v10
	v_fma_f32 v7, -v7, v11, v8
	v_div_fmas_f32 v7, v7, v10, v11
	v_div_fixup_f32 v7, v7, v6, v5
	v_fmac_f32_e32 v6, v5, v7
	v_div_scale_f32 v5, s[14:15], v6, v6, 1.0
	v_div_scale_f32 v8, vcc, 1.0, v6, 1.0
	v_rcp_f32_e32 v10, v5
	v_fma_f32 v11, -v5, v10, 1.0
	v_fmac_f32_e32 v10, v11, v10
	v_mul_f32_e32 v11, v8, v10
	v_fma_f32 v12, -v5, v11, v8
	v_fmac_f32_e32 v11, v12, v10
	v_fma_f32 v5, -v5, v11, v8
	v_div_fmas_f32 v5, v5, v10, v11
	v_div_fixup_f32 v5, v5, v6, 1.0
	v_mul_f32_e32 v7, v7, v5
	v_xor_b32_e32 v8, 0x80000000, v5
                                        ; implicit-def: $vgpr5_vgpr6
.LBB166_55:
	s_andn2_saveexec_b64 s[12:13], s[12:13]
	s_cbranch_execz .LBB166_57
; %bb.56:
	v_div_scale_f32 v7, s[14:15], v5, v5, v6
	v_div_scale_f32 v8, vcc, v6, v5, v6
	v_rcp_f32_e32 v10, v7
	v_fma_f32 v11, -v7, v10, 1.0
	v_fmac_f32_e32 v10, v11, v10
	v_mul_f32_e32 v11, v8, v10
	v_fma_f32 v12, -v7, v11, v8
	v_fmac_f32_e32 v11, v12, v10
	v_fma_f32 v7, -v7, v11, v8
	v_div_fmas_f32 v7, v7, v10, v11
	v_div_fixup_f32 v8, v7, v5, v6
	v_fmac_f32_e32 v5, v6, v8
	v_div_scale_f32 v6, s[14:15], v5, v5, 1.0
	v_div_scale_f32 v7, vcc, 1.0, v5, 1.0
	v_rcp_f32_e32 v10, v6
	v_fma_f32 v11, -v6, v10, 1.0
	v_fmac_f32_e32 v10, v11, v10
	v_mul_f32_e32 v11, v7, v10
	v_fma_f32 v12, -v6, v11, v7
	v_fmac_f32_e32 v11, v12, v10
	v_fma_f32 v6, -v6, v11, v7
	v_div_fmas_f32 v6, v6, v10, v11
	v_div_fixup_f32 v7, v6, v5, 1.0
	v_mul_f32_e64 v8, v8, -v7
.LBB166_57:
	s_or_b64 exec, exec, s[12:13]
	v_lshlrev_b32_e32 v5, 3, v9
	ds_write_b64 v5, v[7:8]
.LBB166_58:
	s_or_b64 exec, exec, s[10:11]
                                        ; implicit-def: $vgpr5_vgpr6
                                        ; implicit-def: $vgpr9
.LBB166_59:
	s_andn2_saveexec_b64 s[6:7], s[6:7]
	s_cbranch_execz .LBB166_61
; %bb.60:
	v_lshlrev_b64 v[5:6], 3, v[5:6]
	v_mov_b32_e32 v7, s86
	v_add_co_u32_e32 v5, vcc, s85, v5
	v_addc_co_u32_e32 v6, vcc, v7, v6, vcc
	flat_load_dwordx2 v[5:6], v[5:6]
	v_lshlrev_b32_e32 v7, 3, v9
	s_waitcnt vmcnt(0) lgkmcnt(0)
	v_xor_b32_e32 v5, 0x80000000, v5
	v_xor_b32_e32 v6, 0x80000000, v6
	ds_write_b64 v7, v[5:6]
.LBB166_61:
	s_or_b64 exec, exec, s[6:7]
	v_add_u32_e32 v7, 48, v2
	v_mad_u64_u32 v[5:6], s[6:7], s28, v7, v[3:4]
	v_cmp_le_u32_e32 vcc, v0, v7
	v_mad_u64_u32 v[8:9], s[6:7], s29, v7, v[6:7]
	v_lshl_add_u32 v9, v7, 6, v0
	v_mov_b32_e32 v6, v8
	s_and_saveexec_b64 s[6:7], vcc
	s_xor_b64 s[6:7], exec, s[6:7]
	s_cbranch_execz .LBB166_73
; %bb.62:
	v_cmp_ne_u32_e32 vcc, v0, v7
	s_and_saveexec_b64 s[10:11], vcc
	s_xor_b64 s[10:11], exec, s[10:11]
	s_cbranch_execz .LBB166_66
; %bb.63:
	v_or_b32_e32 v5, v7, v0
	v_cmp_gt_u32_e32 vcc, 64, v5
	s_and_saveexec_b64 s[12:13], vcc
; %bb.64:
	v_mov_b32_e32 v5, 0
	v_lshlrev_b32_e32 v7, 3, v9
	v_mov_b32_e32 v6, v5
	ds_write_b64 v7, v[5:6]
; %bb.65:
	s_or_b64 exec, exec, s[12:13]
                                        ; implicit-def: $vgpr9
                                        ; implicit-def: $vgpr5_vgpr6
.LBB166_66:
	s_andn2_saveexec_b64 s[10:11], s[10:11]
	s_cbranch_execz .LBB166_72
; %bb.67:
	v_lshlrev_b64 v[5:6], 3, v[5:6]
	v_mov_b32_e32 v7, s86
	v_add_co_u32_e32 v5, vcc, s85, v5
	v_addc_co_u32_e32 v6, vcc, v7, v6, vcc
	flat_load_dwordx2 v[5:6], v[5:6]
                                        ; implicit-def: $vgpr7
	s_waitcnt vmcnt(0) lgkmcnt(0)
	v_cmp_ngt_f32_e64 s[12:13], |v5|, |v6|
	s_and_saveexec_b64 s[14:15], s[12:13]
	s_xor_b64 s[12:13], exec, s[14:15]
	s_cbranch_execz .LBB166_69
; %bb.68:
	v_div_scale_f32 v7, s[14:15], v6, v6, v5
	v_div_scale_f32 v8, vcc, v5, v6, v5
	v_rcp_f32_e32 v10, v7
	v_fma_f32 v11, -v7, v10, 1.0
	v_fmac_f32_e32 v10, v11, v10
	v_mul_f32_e32 v11, v8, v10
	v_fma_f32 v12, -v7, v11, v8
	v_fmac_f32_e32 v11, v12, v10
	v_fma_f32 v7, -v7, v11, v8
	v_div_fmas_f32 v7, v7, v10, v11
	v_div_fixup_f32 v7, v7, v6, v5
	v_fmac_f32_e32 v6, v5, v7
	v_div_scale_f32 v5, s[14:15], v6, v6, 1.0
	v_div_scale_f32 v8, vcc, 1.0, v6, 1.0
	v_rcp_f32_e32 v10, v5
	v_fma_f32 v11, -v5, v10, 1.0
	v_fmac_f32_e32 v10, v11, v10
	v_mul_f32_e32 v11, v8, v10
	v_fma_f32 v12, -v5, v11, v8
	v_fmac_f32_e32 v11, v12, v10
	v_fma_f32 v5, -v5, v11, v8
	v_div_fmas_f32 v5, v5, v10, v11
	v_div_fixup_f32 v5, v5, v6, 1.0
	v_mul_f32_e32 v7, v7, v5
	v_xor_b32_e32 v8, 0x80000000, v5
                                        ; implicit-def: $vgpr5_vgpr6
.LBB166_69:
	s_andn2_saveexec_b64 s[12:13], s[12:13]
	s_cbranch_execz .LBB166_71
; %bb.70:
	v_div_scale_f32 v7, s[14:15], v5, v5, v6
	v_div_scale_f32 v8, vcc, v6, v5, v6
	v_rcp_f32_e32 v10, v7
	v_fma_f32 v11, -v7, v10, 1.0
	v_fmac_f32_e32 v10, v11, v10
	v_mul_f32_e32 v11, v8, v10
	v_fma_f32 v12, -v7, v11, v8
	v_fmac_f32_e32 v11, v12, v10
	v_fma_f32 v7, -v7, v11, v8
	v_div_fmas_f32 v7, v7, v10, v11
	v_div_fixup_f32 v8, v7, v5, v6
	v_fmac_f32_e32 v5, v6, v8
	v_div_scale_f32 v6, s[14:15], v5, v5, 1.0
	v_div_scale_f32 v7, vcc, 1.0, v5, 1.0
	v_rcp_f32_e32 v10, v6
	v_fma_f32 v11, -v6, v10, 1.0
	v_fmac_f32_e32 v10, v11, v10
	v_mul_f32_e32 v11, v7, v10
	v_fma_f32 v12, -v6, v11, v7
	v_fmac_f32_e32 v11, v12, v10
	v_fma_f32 v6, -v6, v11, v7
	v_div_fmas_f32 v6, v6, v10, v11
	v_div_fixup_f32 v7, v6, v5, 1.0
	v_mul_f32_e64 v8, v8, -v7
.LBB166_71:
	s_or_b64 exec, exec, s[12:13]
	v_lshlrev_b32_e32 v5, 3, v9
	ds_write_b64 v5, v[7:8]
.LBB166_72:
	s_or_b64 exec, exec, s[10:11]
                                        ; implicit-def: $vgpr5_vgpr6
                                        ; implicit-def: $vgpr9
.LBB166_73:
	s_andn2_saveexec_b64 s[6:7], s[6:7]
	s_cbranch_execz .LBB166_75
; %bb.74:
	v_lshlrev_b64 v[5:6], 3, v[5:6]
	v_mov_b32_e32 v7, s86
	v_add_co_u32_e32 v5, vcc, s85, v5
	v_addc_co_u32_e32 v6, vcc, v7, v6, vcc
	flat_load_dwordx2 v[5:6], v[5:6]
	v_lshlrev_b32_e32 v7, 3, v9
	s_waitcnt vmcnt(0) lgkmcnt(0)
	v_xor_b32_e32 v5, 0x80000000, v5
	v_xor_b32_e32 v6, 0x80000000, v6
	ds_write_b64 v7, v[5:6]
.LBB166_75:
	s_or_b64 exec, exec, s[6:7]
	s_mov_b64 s[10:11], 0
.LBB166_76:
	s_and_b64 vcc, exec, s[10:11]
	s_cbranch_vccz .LBB166_134
; %bb.77:
	v_mad_u64_u32 v[5:6], s[6:7], s28, v2, v[3:4]
	v_cmp_le_u32_e32 vcc, v0, v2
	v_cmp_gt_i32_e64 s[6:7], s84, v0
	v_mad_u64_u32 v[6:7], s[10:11], s29, v2, v[6:7]
	v_max_i32_e32 v7, v2, v0
	v_cmp_le_i32_e64 s[10:11], s84, v7
	s_or_b64 s[10:11], s[10:11], vcc
	s_and_saveexec_b64 s[12:13], s[10:11]
	s_xor_b64 s[10:11], exec, s[12:13]
	s_cbranch_execz .LBB166_89
; %bb.78:
	v_cmp_ne_u32_e32 vcc, v0, v2
	s_xor_b64 s[12:13], s[6:7], -1
	s_or_b64 s[12:13], s[12:13], vcc
	s_and_saveexec_b64 s[14:15], s[12:13]
	s_xor_b64 s[12:13], exec, s[14:15]
	s_cbranch_execz .LBB166_82
; %bb.79:
	v_or_b32_e32 v5, v2, v0
	v_cmp_gt_u32_e32 vcc, 64, v5
	s_and_saveexec_b64 s[14:15], vcc
; %bb.80:
	v_mov_b32_e32 v5, 0
	v_lshlrev_b32_e32 v7, 3, v1
	v_mov_b32_e32 v6, v5
	ds_write_b64 v7, v[5:6]
; %bb.81:
	s_or_b64 exec, exec, s[14:15]
                                        ; implicit-def: $vgpr5_vgpr6
.LBB166_82:
	s_andn2_saveexec_b64 s[12:13], s[12:13]
	s_cbranch_execz .LBB166_88
; %bb.83:
	v_lshlrev_b64 v[5:6], 3, v[5:6]
	v_mov_b32_e32 v7, s86
	v_add_co_u32_e32 v5, vcc, s85, v5
	v_addc_co_u32_e32 v6, vcc, v7, v6, vcc
	flat_load_dwordx2 v[5:6], v[5:6]
                                        ; implicit-def: $vgpr7
	s_waitcnt vmcnt(0) lgkmcnt(0)
	v_cmp_ngt_f32_e64 s[14:15], |v5|, |v6|
	s_and_saveexec_b64 s[16:17], s[14:15]
	s_xor_b64 s[14:15], exec, s[16:17]
	s_cbranch_execz .LBB166_85
; %bb.84:
	v_div_scale_f32 v7, s[16:17], v6, v6, v5
	v_div_scale_f32 v8, vcc, v5, v6, v5
	v_rcp_f32_e32 v9, v7
	v_fma_f32 v10, -v7, v9, 1.0
	v_fmac_f32_e32 v9, v10, v9
	v_mul_f32_e32 v10, v8, v9
	v_fma_f32 v11, -v7, v10, v8
	v_fmac_f32_e32 v10, v11, v9
	v_fma_f32 v7, -v7, v10, v8
	v_div_fmas_f32 v7, v7, v9, v10
	v_div_fixup_f32 v7, v7, v6, v5
	v_fmac_f32_e32 v6, v5, v7
	v_div_scale_f32 v5, s[16:17], v6, v6, 1.0
	v_div_scale_f32 v8, vcc, 1.0, v6, 1.0
	v_rcp_f32_e32 v9, v5
	v_fma_f32 v10, -v5, v9, 1.0
	v_fmac_f32_e32 v9, v10, v9
	v_mul_f32_e32 v10, v8, v9
	v_fma_f32 v11, -v5, v10, v8
	v_fmac_f32_e32 v10, v11, v9
	v_fma_f32 v5, -v5, v10, v8
	v_div_fmas_f32 v5, v5, v9, v10
	v_div_fixup_f32 v5, v5, v6, 1.0
	v_mul_f32_e32 v7, v7, v5
	v_xor_b32_e32 v8, 0x80000000, v5
                                        ; implicit-def: $vgpr5_vgpr6
.LBB166_85:
	s_andn2_saveexec_b64 s[14:15], s[14:15]
	s_cbranch_execz .LBB166_87
; %bb.86:
	v_div_scale_f32 v7, s[16:17], v5, v5, v6
	v_div_scale_f32 v8, vcc, v6, v5, v6
	v_rcp_f32_e32 v9, v7
	v_fma_f32 v10, -v7, v9, 1.0
	v_fmac_f32_e32 v9, v10, v9
	v_mul_f32_e32 v10, v8, v9
	v_fma_f32 v11, -v7, v10, v8
	v_fmac_f32_e32 v10, v11, v9
	v_fma_f32 v7, -v7, v10, v8
	v_div_fmas_f32 v7, v7, v9, v10
	v_div_fixup_f32 v8, v7, v5, v6
	v_fmac_f32_e32 v5, v6, v8
	v_div_scale_f32 v6, s[16:17], v5, v5, 1.0
	v_div_scale_f32 v7, vcc, 1.0, v5, 1.0
	v_rcp_f32_e32 v9, v6
	v_fma_f32 v10, -v6, v9, 1.0
	v_fmac_f32_e32 v9, v10, v9
	v_mul_f32_e32 v10, v7, v9
	v_fma_f32 v11, -v6, v10, v7
	v_fmac_f32_e32 v10, v11, v9
	v_fma_f32 v6, -v6, v10, v7
	v_div_fmas_f32 v6, v6, v9, v10
	v_div_fixup_f32 v7, v6, v5, 1.0
	v_mul_f32_e64 v8, v8, -v7
.LBB166_87:
	s_or_b64 exec, exec, s[14:15]
	v_lshlrev_b32_e32 v5, 3, v1
	ds_write_b64 v5, v[7:8]
.LBB166_88:
	s_or_b64 exec, exec, s[12:13]
                                        ; implicit-def: $vgpr5_vgpr6
.LBB166_89:
	s_andn2_saveexec_b64 s[10:11], s[10:11]
	s_cbranch_execz .LBB166_91
; %bb.90:
	v_lshlrev_b64 v[5:6], 3, v[5:6]
	v_mov_b32_e32 v7, s86
	v_add_co_u32_e32 v5, vcc, s85, v5
	v_addc_co_u32_e32 v6, vcc, v7, v6, vcc
	flat_load_dwordx2 v[5:6], v[5:6]
	v_lshlrev_b32_e32 v7, 3, v1
	s_waitcnt vmcnt(0) lgkmcnt(0)
	v_xor_b32_e32 v5, 0x80000000, v5
	v_xor_b32_e32 v6, 0x80000000, v6
	ds_write_b64 v7, v[5:6]
.LBB166_91:
	s_or_b64 exec, exec, s[10:11]
	v_add_u32_e32 v7, 16, v2
	v_mad_u64_u32 v[5:6], s[10:11], s28, v7, v[3:4]
	v_cmp_gt_u32_e32 vcc, v0, v7
	v_lshl_add_u32 v9, v7, 6, v0
	v_mad_u64_u32 v[10:11], s[10:11], s29, v7, v[6:7]
	v_cmp_gt_i32_e64 s[10:11], s84, v7
	s_and_b64 s[10:11], vcc, s[10:11]
	s_and_b64 s[10:11], s[6:7], s[10:11]
	v_mov_b32_e32 v6, v10
	s_xor_b64 s[10:11], s[10:11], -1
	s_and_saveexec_b64 s[12:13], s[10:11]
	s_xor_b64 s[10:11], exec, s[12:13]
	s_cbranch_execz .LBB166_103
; %bb.92:
	v_cmp_ne_u32_e32 vcc, v0, v7
	s_xor_b64 s[12:13], s[6:7], -1
	s_or_b64 s[12:13], s[12:13], vcc
	s_and_saveexec_b64 s[14:15], s[12:13]
	s_xor_b64 s[12:13], exec, s[14:15]
	s_cbranch_execz .LBB166_96
; %bb.93:
	v_or_b32_e32 v5, v7, v0
	v_cmp_gt_u32_e32 vcc, 64, v5
	s_and_saveexec_b64 s[14:15], vcc
; %bb.94:
	v_mov_b32_e32 v5, 0
	v_lshlrev_b32_e32 v7, 3, v9
	v_mov_b32_e32 v6, v5
	ds_write_b64 v7, v[5:6]
; %bb.95:
	s_or_b64 exec, exec, s[14:15]
                                        ; implicit-def: $vgpr9
                                        ; implicit-def: $vgpr5_vgpr6
.LBB166_96:
	s_andn2_saveexec_b64 s[12:13], s[12:13]
	s_cbranch_execz .LBB166_102
; %bb.97:
	v_lshlrev_b64 v[5:6], 3, v[5:6]
	v_mov_b32_e32 v7, s86
	v_add_co_u32_e32 v5, vcc, s85, v5
	v_addc_co_u32_e32 v6, vcc, v7, v6, vcc
	flat_load_dwordx2 v[5:6], v[5:6]
                                        ; implicit-def: $vgpr7
	s_waitcnt vmcnt(0) lgkmcnt(0)
	v_cmp_ngt_f32_e64 s[14:15], |v5|, |v6|
	s_and_saveexec_b64 s[16:17], s[14:15]
	s_xor_b64 s[14:15], exec, s[16:17]
	s_cbranch_execz .LBB166_99
; %bb.98:
	v_div_scale_f32 v7, s[16:17], v6, v6, v5
	v_div_scale_f32 v8, vcc, v5, v6, v5
	v_rcp_f32_e32 v10, v7
	v_fma_f32 v11, -v7, v10, 1.0
	v_fmac_f32_e32 v10, v11, v10
	v_mul_f32_e32 v11, v8, v10
	v_fma_f32 v12, -v7, v11, v8
	v_fmac_f32_e32 v11, v12, v10
	v_fma_f32 v7, -v7, v11, v8
	v_div_fmas_f32 v7, v7, v10, v11
	v_div_fixup_f32 v7, v7, v6, v5
	v_fmac_f32_e32 v6, v5, v7
	v_div_scale_f32 v5, s[16:17], v6, v6, 1.0
	v_div_scale_f32 v8, vcc, 1.0, v6, 1.0
	v_rcp_f32_e32 v10, v5
	v_fma_f32 v11, -v5, v10, 1.0
	v_fmac_f32_e32 v10, v11, v10
	v_mul_f32_e32 v11, v8, v10
	v_fma_f32 v12, -v5, v11, v8
	v_fmac_f32_e32 v11, v12, v10
	v_fma_f32 v5, -v5, v11, v8
	v_div_fmas_f32 v5, v5, v10, v11
	v_div_fixup_f32 v5, v5, v6, 1.0
	v_mul_f32_e32 v7, v7, v5
	v_xor_b32_e32 v8, 0x80000000, v5
                                        ; implicit-def: $vgpr5_vgpr6
.LBB166_99:
	s_andn2_saveexec_b64 s[14:15], s[14:15]
	s_cbranch_execz .LBB166_101
; %bb.100:
	v_div_scale_f32 v7, s[16:17], v5, v5, v6
	v_div_scale_f32 v8, vcc, v6, v5, v6
	v_rcp_f32_e32 v10, v7
	v_fma_f32 v11, -v7, v10, 1.0
	v_fmac_f32_e32 v10, v11, v10
	v_mul_f32_e32 v11, v8, v10
	v_fma_f32 v12, -v7, v11, v8
	v_fmac_f32_e32 v11, v12, v10
	v_fma_f32 v7, -v7, v11, v8
	v_div_fmas_f32 v7, v7, v10, v11
	v_div_fixup_f32 v8, v7, v5, v6
	v_fmac_f32_e32 v5, v6, v8
	v_div_scale_f32 v6, s[16:17], v5, v5, 1.0
	v_div_scale_f32 v7, vcc, 1.0, v5, 1.0
	v_rcp_f32_e32 v10, v6
	v_fma_f32 v11, -v6, v10, 1.0
	v_fmac_f32_e32 v10, v11, v10
	v_mul_f32_e32 v11, v7, v10
	v_fma_f32 v12, -v6, v11, v7
	v_fmac_f32_e32 v11, v12, v10
	v_fma_f32 v6, -v6, v11, v7
	v_div_fmas_f32 v6, v6, v10, v11
	v_div_fixup_f32 v7, v6, v5, 1.0
	v_mul_f32_e64 v8, v8, -v7
.LBB166_101:
	s_or_b64 exec, exec, s[14:15]
	v_lshlrev_b32_e32 v5, 3, v9
	ds_write_b64 v5, v[7:8]
.LBB166_102:
	s_or_b64 exec, exec, s[12:13]
                                        ; implicit-def: $vgpr5_vgpr6
                                        ; implicit-def: $vgpr9
.LBB166_103:
	s_andn2_saveexec_b64 s[10:11], s[10:11]
	s_cbranch_execz .LBB166_105
; %bb.104:
	v_lshlrev_b64 v[5:6], 3, v[5:6]
	v_mov_b32_e32 v7, s86
	v_add_co_u32_e32 v5, vcc, s85, v5
	v_addc_co_u32_e32 v6, vcc, v7, v6, vcc
	flat_load_dwordx2 v[5:6], v[5:6]
	v_lshlrev_b32_e32 v7, 3, v9
	s_waitcnt vmcnt(0) lgkmcnt(0)
	v_xor_b32_e32 v5, 0x80000000, v5
	v_xor_b32_e32 v6, 0x80000000, v6
	ds_write_b64 v7, v[5:6]
.LBB166_105:
	s_or_b64 exec, exec, s[10:11]
	v_add_u32_e32 v7, 32, v2
	v_mad_u64_u32 v[5:6], s[10:11], s28, v7, v[3:4]
	v_cmp_gt_u32_e32 vcc, v0, v7
	v_lshl_add_u32 v9, v7, 6, v0
	v_mad_u64_u32 v[10:11], s[10:11], s29, v7, v[6:7]
	v_cmp_gt_i32_e64 s[10:11], s84, v7
	s_and_b64 s[10:11], vcc, s[10:11]
	s_and_b64 s[10:11], s[6:7], s[10:11]
	v_mov_b32_e32 v6, v10
	s_xor_b64 s[10:11], s[10:11], -1
	s_and_saveexec_b64 s[12:13], s[10:11]
	s_xor_b64 s[10:11], exec, s[12:13]
	s_cbranch_execz .LBB166_117
; %bb.106:
	v_cmp_ne_u32_e32 vcc, v0, v7
	s_xor_b64 s[12:13], s[6:7], -1
	s_or_b64 s[12:13], s[12:13], vcc
	s_and_saveexec_b64 s[14:15], s[12:13]
	s_xor_b64 s[12:13], exec, s[14:15]
	s_cbranch_execz .LBB166_110
; %bb.107:
	v_or_b32_e32 v5, v7, v0
	v_cmp_gt_u32_e32 vcc, 64, v5
	s_and_saveexec_b64 s[14:15], vcc
; %bb.108:
	v_mov_b32_e32 v5, 0
	v_lshlrev_b32_e32 v7, 3, v9
	v_mov_b32_e32 v6, v5
	ds_write_b64 v7, v[5:6]
; %bb.109:
	s_or_b64 exec, exec, s[14:15]
                                        ; implicit-def: $vgpr9
                                        ; implicit-def: $vgpr5_vgpr6
.LBB166_110:
	s_andn2_saveexec_b64 s[12:13], s[12:13]
	s_cbranch_execz .LBB166_116
; %bb.111:
	v_lshlrev_b64 v[5:6], 3, v[5:6]
	v_mov_b32_e32 v7, s86
	v_add_co_u32_e32 v5, vcc, s85, v5
	v_addc_co_u32_e32 v6, vcc, v7, v6, vcc
	flat_load_dwordx2 v[5:6], v[5:6]
                                        ; implicit-def: $vgpr7
	s_waitcnt vmcnt(0) lgkmcnt(0)
	v_cmp_ngt_f32_e64 s[14:15], |v5|, |v6|
	s_and_saveexec_b64 s[16:17], s[14:15]
	s_xor_b64 s[14:15], exec, s[16:17]
	s_cbranch_execz .LBB166_113
; %bb.112:
	v_div_scale_f32 v7, s[16:17], v6, v6, v5
	v_div_scale_f32 v8, vcc, v5, v6, v5
	v_rcp_f32_e32 v10, v7
	v_fma_f32 v11, -v7, v10, 1.0
	v_fmac_f32_e32 v10, v11, v10
	v_mul_f32_e32 v11, v8, v10
	v_fma_f32 v12, -v7, v11, v8
	v_fmac_f32_e32 v11, v12, v10
	v_fma_f32 v7, -v7, v11, v8
	v_div_fmas_f32 v7, v7, v10, v11
	v_div_fixup_f32 v7, v7, v6, v5
	v_fmac_f32_e32 v6, v5, v7
	v_div_scale_f32 v5, s[16:17], v6, v6, 1.0
	v_div_scale_f32 v8, vcc, 1.0, v6, 1.0
	v_rcp_f32_e32 v10, v5
	v_fma_f32 v11, -v5, v10, 1.0
	v_fmac_f32_e32 v10, v11, v10
	v_mul_f32_e32 v11, v8, v10
	v_fma_f32 v12, -v5, v11, v8
	v_fmac_f32_e32 v11, v12, v10
	v_fma_f32 v5, -v5, v11, v8
	v_div_fmas_f32 v5, v5, v10, v11
	v_div_fixup_f32 v5, v5, v6, 1.0
	v_mul_f32_e32 v7, v7, v5
	v_xor_b32_e32 v8, 0x80000000, v5
                                        ; implicit-def: $vgpr5_vgpr6
.LBB166_113:
	s_andn2_saveexec_b64 s[14:15], s[14:15]
	s_cbranch_execz .LBB166_115
; %bb.114:
	v_div_scale_f32 v7, s[16:17], v5, v5, v6
	v_div_scale_f32 v8, vcc, v6, v5, v6
	v_rcp_f32_e32 v10, v7
	v_fma_f32 v11, -v7, v10, 1.0
	v_fmac_f32_e32 v10, v11, v10
	v_mul_f32_e32 v11, v8, v10
	v_fma_f32 v12, -v7, v11, v8
	v_fmac_f32_e32 v11, v12, v10
	v_fma_f32 v7, -v7, v11, v8
	v_div_fmas_f32 v7, v7, v10, v11
	v_div_fixup_f32 v8, v7, v5, v6
	v_fmac_f32_e32 v5, v6, v8
	v_div_scale_f32 v6, s[16:17], v5, v5, 1.0
	v_div_scale_f32 v7, vcc, 1.0, v5, 1.0
	v_rcp_f32_e32 v10, v6
	v_fma_f32 v11, -v6, v10, 1.0
	v_fmac_f32_e32 v10, v11, v10
	v_mul_f32_e32 v11, v7, v10
	v_fma_f32 v12, -v6, v11, v7
	v_fmac_f32_e32 v11, v12, v10
	v_fma_f32 v6, -v6, v11, v7
	v_div_fmas_f32 v6, v6, v10, v11
	v_div_fixup_f32 v7, v6, v5, 1.0
	v_mul_f32_e64 v8, v8, -v7
.LBB166_115:
	s_or_b64 exec, exec, s[14:15]
	v_lshlrev_b32_e32 v5, 3, v9
	ds_write_b64 v5, v[7:8]
.LBB166_116:
	s_or_b64 exec, exec, s[12:13]
                                        ; implicit-def: $vgpr5_vgpr6
                                        ; implicit-def: $vgpr9
.LBB166_117:
	s_andn2_saveexec_b64 s[10:11], s[10:11]
	s_cbranch_execz .LBB166_119
; %bb.118:
	v_lshlrev_b64 v[5:6], 3, v[5:6]
	v_mov_b32_e32 v7, s86
	v_add_co_u32_e32 v5, vcc, s85, v5
	v_addc_co_u32_e32 v6, vcc, v7, v6, vcc
	flat_load_dwordx2 v[5:6], v[5:6]
	v_lshlrev_b32_e32 v7, 3, v9
	s_waitcnt vmcnt(0) lgkmcnt(0)
	v_xor_b32_e32 v5, 0x80000000, v5
	v_xor_b32_e32 v6, 0x80000000, v6
	ds_write_b64 v7, v[5:6]
.LBB166_119:
	s_or_b64 exec, exec, s[10:11]
	v_add_u32_e32 v5, 48, v2
	v_mad_u64_u32 v[3:4], s[10:11], s28, v5, v[3:4]
	v_cmp_gt_u32_e32 vcc, v0, v5
	v_lshl_add_u32 v7, v5, 6, v0
	v_mad_u64_u32 v[8:9], s[10:11], s29, v5, v[4:5]
	v_cmp_gt_i32_e64 s[10:11], s84, v5
	s_and_b64 s[10:11], vcc, s[10:11]
	s_and_b64 s[10:11], s[6:7], s[10:11]
	v_mov_b32_e32 v4, v8
	s_xor_b64 s[10:11], s[10:11], -1
	s_and_saveexec_b64 s[12:13], s[10:11]
	s_xor_b64 s[10:11], exec, s[12:13]
	s_cbranch_execz .LBB166_131
; %bb.120:
	v_cmp_ne_u32_e32 vcc, v0, v5
	s_xor_b64 s[6:7], s[6:7], -1
	s_or_b64 s[6:7], s[6:7], vcc
	s_and_saveexec_b64 s[12:13], s[6:7]
	s_xor_b64 s[6:7], exec, s[12:13]
	s_cbranch_execz .LBB166_124
; %bb.121:
	v_or_b32_e32 v3, v5, v0
	v_cmp_gt_u32_e32 vcc, 64, v3
	s_and_saveexec_b64 s[12:13], vcc
; %bb.122:
	v_mov_b32_e32 v3, 0
	v_lshlrev_b32_e32 v5, 3, v7
	v_mov_b32_e32 v4, v3
	ds_write_b64 v5, v[3:4]
; %bb.123:
	s_or_b64 exec, exec, s[12:13]
                                        ; implicit-def: $vgpr7
                                        ; implicit-def: $vgpr3_vgpr4
.LBB166_124:
	s_andn2_saveexec_b64 s[6:7], s[6:7]
	s_cbranch_execz .LBB166_130
; %bb.125:
	v_lshlrev_b64 v[3:4], 3, v[3:4]
	v_mov_b32_e32 v5, s86
	v_add_co_u32_e32 v3, vcc, s85, v3
	v_addc_co_u32_e32 v4, vcc, v5, v4, vcc
	flat_load_dwordx2 v[3:4], v[3:4]
                                        ; implicit-def: $vgpr5
	s_waitcnt vmcnt(0) lgkmcnt(0)
	v_cmp_ngt_f32_e64 s[12:13], |v3|, |v4|
	s_and_saveexec_b64 s[14:15], s[12:13]
	s_xor_b64 s[12:13], exec, s[14:15]
	s_cbranch_execz .LBB166_127
; %bb.126:
	v_div_scale_f32 v5, s[14:15], v4, v4, v3
	v_div_scale_f32 v6, vcc, v3, v4, v3
	v_rcp_f32_e32 v8, v5
	v_fma_f32 v9, -v5, v8, 1.0
	v_fmac_f32_e32 v8, v9, v8
	v_mul_f32_e32 v9, v6, v8
	v_fma_f32 v10, -v5, v9, v6
	v_fmac_f32_e32 v9, v10, v8
	v_fma_f32 v5, -v5, v9, v6
	v_div_fmas_f32 v5, v5, v8, v9
	v_div_fixup_f32 v5, v5, v4, v3
	v_fmac_f32_e32 v4, v3, v5
	v_div_scale_f32 v3, s[14:15], v4, v4, 1.0
	v_div_scale_f32 v6, vcc, 1.0, v4, 1.0
	v_rcp_f32_e32 v8, v3
	v_fma_f32 v9, -v3, v8, 1.0
	v_fmac_f32_e32 v8, v9, v8
	v_mul_f32_e32 v9, v6, v8
	v_fma_f32 v10, -v3, v9, v6
	v_fmac_f32_e32 v9, v10, v8
	v_fma_f32 v3, -v3, v9, v6
	v_div_fmas_f32 v3, v3, v8, v9
	v_div_fixup_f32 v3, v3, v4, 1.0
	v_mul_f32_e32 v5, v5, v3
	v_xor_b32_e32 v6, 0x80000000, v3
                                        ; implicit-def: $vgpr3_vgpr4
.LBB166_127:
	s_andn2_saveexec_b64 s[12:13], s[12:13]
	s_cbranch_execz .LBB166_129
; %bb.128:
	v_div_scale_f32 v5, s[14:15], v3, v3, v4
	v_div_scale_f32 v6, vcc, v4, v3, v4
	v_rcp_f32_e32 v8, v5
	v_fma_f32 v9, -v5, v8, 1.0
	v_fmac_f32_e32 v8, v9, v8
	v_mul_f32_e32 v9, v6, v8
	v_fma_f32 v10, -v5, v9, v6
	v_fmac_f32_e32 v9, v10, v8
	v_fma_f32 v5, -v5, v9, v6
	v_div_fmas_f32 v5, v5, v8, v9
	v_div_fixup_f32 v6, v5, v3, v4
	v_fmac_f32_e32 v3, v4, v6
	v_div_scale_f32 v4, s[14:15], v3, v3, 1.0
	v_div_scale_f32 v5, vcc, 1.0, v3, 1.0
	v_rcp_f32_e32 v8, v4
	v_fma_f32 v9, -v4, v8, 1.0
	v_fmac_f32_e32 v8, v9, v8
	v_mul_f32_e32 v9, v5, v8
	v_fma_f32 v10, -v4, v9, v5
	v_fmac_f32_e32 v9, v10, v8
	v_fma_f32 v4, -v4, v9, v5
	v_div_fmas_f32 v4, v4, v8, v9
	v_div_fixup_f32 v5, v4, v3, 1.0
	v_mul_f32_e64 v6, v6, -v5
.LBB166_129:
	s_or_b64 exec, exec, s[12:13]
	v_lshlrev_b32_e32 v3, 3, v7
	ds_write_b64 v3, v[5:6]
.LBB166_130:
	s_or_b64 exec, exec, s[6:7]
                                        ; implicit-def: $vgpr3_vgpr4
                                        ; implicit-def: $vgpr7
.LBB166_131:
	s_andn2_saveexec_b64 s[6:7], s[10:11]
	s_cbranch_execz .LBB166_133
; %bb.132:
	v_lshlrev_b64 v[3:4], 3, v[3:4]
	v_mov_b32_e32 v5, s86
	v_add_co_u32_e32 v3, vcc, s85, v3
	v_addc_co_u32_e32 v4, vcc, v5, v4, vcc
	flat_load_dwordx2 v[3:4], v[3:4]
	v_lshlrev_b32_e32 v5, 3, v7
	s_waitcnt vmcnt(0) lgkmcnt(0)
	v_xor_b32_e32 v3, 0x80000000, v3
	v_xor_b32_e32 v4, 0x80000000, v4
	ds_write_b64 v5, v[3:4]
.LBB166_133:
	s_or_b64 exec, exec, s[6:7]
.LBB166_134:
	s_cmp_lt_i32 s8, 5
	s_cselect_b64 s[6:7], -1, 0
	s_or_b64 s[38:39], s[6:7], s[30:31]
	s_and_b64 vcc, exec, s[38:39]
	s_waitcnt vmcnt(0) lgkmcnt(0)
	s_barrier
	s_cbranch_vccnz .LBB166_994
; %bb.135:
	v_or_b32_e32 v3, v0, v2
	v_cmp_eq_u32_e32 vcc, 0, v3
	s_and_saveexec_b64 s[6:7], vcc
	s_cbranch_execz .LBB166_137
; %bb.136:
	v_mov_b32_e32 v9, 0
	ds_read_b128 v[3:6], v9
	ds_read_b64 v[7:8], v9 offset:520
	s_waitcnt lgkmcnt(0)
	v_mul_f32_e32 v10, v8, v4
	v_mul_f32_e32 v11, v7, v4
	v_fma_f32 v7, v7, v3, -v10
	v_fmac_f32_e32 v11, v8, v3
	v_mul_f32_e32 v3, v11, v6
	v_mul_f32_e32 v4, v7, v6
	v_fma_f32 v3, v7, v5, -v3
	v_fmac_f32_e32 v4, v11, v5
	ds_write_b64 v9, v[3:4] offset:8
.LBB166_137:
	s_or_b64 exec, exec, s[6:7]
	v_and_b32_e32 v8, 1, v0
	v_lshrrev_b32_e32 v5, 1, v1
	v_lshlrev_b32_e32 v3, 3, v8
	v_cmp_lt_u32_e64 s[10:11], 3, v1
	v_cmp_gt_u32_e64 s[6:7], 4, v1
	v_lshl_or_b32 v3, v5, 9, v3
	v_mov_b32_e32 v6, 0
	v_mov_b32_e32 v7, 0
	s_waitcnt lgkmcnt(0)
	s_barrier
	s_and_saveexec_b64 s[14:15], s[6:7]
	s_cbranch_execz .LBB166_141
; %bb.138:
	v_mul_u32_u24_e32 v4, 0x208, v5
	ds_read_b64 v[6:7], v3 offset:16
	ds_read_b64 v[9:10], v4
	v_cmp_gt_u32_e64 s[12:13], 2, v1
	s_waitcnt lgkmcnt(0)
	v_mul_f32_e32 v4, v10, v7
	v_mul_f32_e32 v7, v9, v7
	v_fma_f32 v4, v9, v6, -v4
	v_fmac_f32_e32 v7, v10, v6
	v_add_f32_e32 v4, 0, v4
	v_add_f32_e32 v6, 0, v7
	s_and_saveexec_b64 s[16:17], s[12:13]
	s_cbranch_execz .LBB166_140
; %bb.139:
	v_lshlrev_b32_e32 v7, 3, v0
	v_mov_b32_e32 v11, 0
	ds_read_b64 v[9:10], v7 offset:528
	ds_read_b64 v[11:12], v11 offset:8
	s_waitcnt lgkmcnt(0)
	v_mul_f32_e32 v7, v12, v10
	v_mul_f32_e32 v10, v11, v10
	v_fma_f32 v7, v11, v9, -v7
	v_fmac_f32_e32 v10, v12, v9
	v_add_f32_e32 v4, v4, v7
	v_add_f32_e32 v6, v6, v10
.LBB166_140:
	s_or_b64 exec, exec, s[16:17]
	v_xor_b32_e32 v7, 0x80000000, v4
	v_xor_b32_e32 v6, 0x80000000, v6
.LBB166_141:
	s_or_b64 exec, exec, s[14:15]
	v_mov_b32_e32 v4, 0x8000
	v_cmp_eq_u32_e64 s[12:13], 0, v8
	s_xor_b64 s[14:15], s[10:11], -1
	v_lshl_add_u32 v4, v5, 3, v4
	s_and_b64 s[42:43], s[12:13], s[14:15]
	s_and_saveexec_b64 s[10:11], s[42:43]
	s_cbranch_execz .LBB166_143
; %bb.142:
	v_mov_b32_e32 v9, 0
	ds_read_b64 v[9:10], v9 offset:1040
	s_waitcnt lgkmcnt(0)
	v_mul_f32_e32 v12, v6, v10
	v_mul_f32_e32 v11, v7, v10
	v_fma_f32 v10, v7, v9, -v12
	v_fmac_f32_e32 v11, v6, v9
	v_mov_b32_e32 v7, v10
	v_mov_b32_e32 v6, v11
	ds_write_b64 v4, v[10:11]
.LBB166_143:
	s_or_b64 exec, exec, s[10:11]
	v_cmp_ne_u32_e64 s[10:11], 0, v8
	s_and_b64 s[40:41], s[10:11], s[14:15]
	s_waitcnt lgkmcnt(0)
	s_barrier
	s_and_saveexec_b64 s[10:11], s[40:41]
	s_cbranch_execz .LBB166_145
; %bb.144:
	v_mov_b32_e32 v8, 0
	ds_read_b64 v[8:9], v8 offset:1048
	ds_read_b64 v[10:11], v4
	s_waitcnt lgkmcnt(0)
	v_mul_f32_e32 v12, v11, v9
	v_mul_f32_e32 v9, v10, v9
	v_fma_f32 v10, v10, v8, -v12
	v_fmac_f32_e32 v9, v11, v8
	v_add_f32_e32 v7, v7, v10
	v_add_f32_e32 v6, v6, v9
.LBB166_145:
	s_or_b64 exec, exec, s[10:11]
	s_barrier
	s_and_saveexec_b64 s[10:11], s[40:41]
	s_cbranch_execz .LBB166_147
; %bb.146:
	v_mov_b32_e32 v8, 0
	ds_read_b64 v[8:9], v8 offset:1560
	s_waitcnt lgkmcnt(0)
	v_mul_f32_e32 v11, v6, v9
	v_mul_f32_e32 v10, v7, v9
	v_fma_f32 v9, v7, v8, -v11
	v_fmac_f32_e32 v10, v6, v8
	v_mov_b32_e32 v7, v9
	v_mov_b32_e32 v6, v10
	ds_write_b64 v4, v[9:10]
.LBB166_147:
	s_or_b64 exec, exec, s[10:11]
	s_waitcnt lgkmcnt(0)
	s_barrier
	s_barrier
	s_and_saveexec_b64 s[10:11], s[6:7]
; %bb.148:
	v_xor_b32_e32 v8, 0x80000000, v6
	v_xor_b32_e32 v7, 0x80000000, v7
	ds_write_b64 v3, v[7:8] offset:16
; %bb.149:
	s_or_b64 exec, exec, s[10:11]
	s_waitcnt lgkmcnt(0)
	s_barrier
	s_barrier
	s_and_saveexec_b64 s[10:11], vcc
	s_cbranch_execz .LBB166_151
; %bb.150:
	v_mov_b32_e32 v12, 0
	ds_read_b128 v[6:9], v12 offset:1040
	ds_read_b64 v[10:11], v12 offset:1560
	s_waitcnt lgkmcnt(0)
	v_mul_f32_e32 v13, v11, v7
	v_mul_f32_e32 v14, v10, v7
	v_fma_f32 v10, v10, v6, -v13
	v_fmac_f32_e32 v14, v11, v6
	v_mul_f32_e32 v6, v14, v9
	v_mul_f32_e32 v7, v10, v9
	v_fma_f32 v6, v10, v8, -v6
	v_fmac_f32_e32 v7, v14, v8
	ds_write_b64 v12, v[6:7] offset:1048
.LBB166_151:
	s_or_b64 exec, exec, s[10:11]
	v_and_b32_e32 v9, 3, v0
	v_lshrrev_b32_e32 v10, 2, v1
	v_lshlrev_b32_e32 v7, 3, v9
	v_cmp_lt_u32_e64 s[10:11], 15, v1
	v_cmp_gt_u32_e64 s[18:19], 16, v1
	v_lshl_or_b32 v6, v10, 9, v7
	v_mov_b32_e32 v11, 0
	v_mov_b32_e32 v12, 0
	s_waitcnt lgkmcnt(0)
	s_barrier
	s_and_saveexec_b64 s[14:15], s[18:19]
	s_cbranch_execz .LBB166_157
; %bb.152:
	v_mul_u32_u24_e32 v12, 0x208, v10
	ds_read_b64 v[13:14], v6 offset:32
	ds_read_b64 v[15:16], v12
	v_cmp_gt_u32_e64 s[12:13], 12, v1
	s_waitcnt lgkmcnt(0)
	v_mul_f32_e32 v8, v16, v14
	v_mul_f32_e32 v11, v15, v14
	v_fma_f32 v8, v15, v13, -v8
	v_fmac_f32_e32 v11, v16, v13
	v_add_f32_e32 v8, 0, v8
	v_add_f32_e32 v11, 0, v11
	s_and_saveexec_b64 s[16:17], s[12:13]
	s_cbranch_execnz .LBB166_1054
; %bb.153:
	s_or_b64 exec, exec, s[16:17]
	v_cmp_gt_u32_e64 s[12:13], 8, v1
	s_and_saveexec_b64 s[16:17], s[12:13]
	s_cbranch_execnz .LBB166_1055
.LBB166_154:
	s_or_b64 exec, exec, s[16:17]
	v_cmp_gt_u32_e64 s[12:13], 4, v1
	s_and_saveexec_b64 s[16:17], s[12:13]
	s_cbranch_execz .LBB166_156
.LBB166_155:
	v_lshlrev_b32_e32 v12, 3, v0
	v_mov_b32_e32 v14, 0
	ds_read_b64 v[12:13], v12 offset:1568
	ds_read_b64 v[14:15], v14 offset:24
	s_waitcnt lgkmcnt(0)
	v_mul_f32_e32 v16, v15, v13
	v_mul_f32_e32 v13, v14, v13
	v_fma_f32 v14, v14, v12, -v16
	v_fmac_f32_e32 v13, v15, v12
	v_add_f32_e32 v8, v8, v14
	v_add_f32_e32 v11, v11, v13
.LBB166_156:
	s_or_b64 exec, exec, s[16:17]
	v_xor_b32_e32 v12, 0x80000000, v8
	v_xor_b32_e32 v11, 0x80000000, v11
.LBB166_157:
                                        ; implicit-def: $vgpr34 : SGPR spill to VGPR lane
	v_writelane_b32 v34, s22, 0
	v_writelane_b32 v34, s23, 1
	s_or_b64 exec, exec, s[14:15]
	v_mov_b32_e32 v8, 0x8000
	v_cmp_eq_u32_e64 s[12:13], 0, v9
	s_xor_b64 s[14:15], s[10:11], -1
	v_lshl_add_u32 v8, v10, 3, v8
	s_and_b64 s[46:47], s[12:13], s[14:15]
	s_and_saveexec_b64 s[10:11], s[46:47]
	s_cbranch_execz .LBB166_159
; %bb.158:
	v_mov_b32_e32 v13, 0
	ds_read_b64 v[13:14], v13 offset:2080
	s_waitcnt lgkmcnt(0)
	v_mul_f32_e32 v16, v11, v14
	v_mul_f32_e32 v15, v12, v14
	v_fma_f32 v14, v12, v13, -v16
	v_fmac_f32_e32 v15, v11, v13
	v_mov_b32_e32 v12, v14
	v_mov_b32_e32 v11, v15
	ds_write_b64 v8, v[14:15]
.LBB166_159:
	s_or_b64 exec, exec, s[10:11]
	v_cmp_ne_u32_e64 s[10:11], 0, v9
	s_and_b64 s[48:49], s[10:11], s[14:15]
	s_waitcnt lgkmcnt(0)
	s_barrier
	s_and_saveexec_b64 s[10:11], s[48:49]
	s_cbranch_execz .LBB166_161
; %bb.160:
	ds_read_b64 v[13:14], v7 offset:2080
	ds_read_b64 v[15:16], v8
	s_waitcnt lgkmcnt(0)
	v_mul_f32_e32 v17, v16, v14
	v_mul_f32_e32 v14, v15, v14
	v_fma_f32 v15, v15, v13, -v17
	v_fmac_f32_e32 v14, v16, v13
	v_add_f32_e32 v12, v12, v15
	v_add_f32_e32 v11, v11, v14
.LBB166_161:
	s_or_b64 exec, exec, s[10:11]
	v_cmp_eq_u32_e64 s[10:11], 1, v9
	s_and_b64 s[50:51], s[10:11], s[14:15]
	s_barrier
	s_and_saveexec_b64 s[10:11], s[50:51]
	s_cbranch_execz .LBB166_163
; %bb.162:
	v_mov_b32_e32 v13, 0
	ds_read_b64 v[13:14], v13 offset:2600
	s_waitcnt lgkmcnt(0)
	v_mul_f32_e32 v16, v11, v14
	v_mul_f32_e32 v15, v12, v14
	v_fma_f32 v14, v12, v13, -v16
	v_fmac_f32_e32 v15, v11, v13
	v_mov_b32_e32 v12, v14
	v_mov_b32_e32 v11, v15
	ds_write_b64 v8, v[14:15]
.LBB166_163:
	s_or_b64 exec, exec, s[10:11]
	v_cmp_lt_u32_e64 s[10:11], 1, v9
	s_and_b64 s[52:53], s[10:11], s[14:15]
	s_waitcnt lgkmcnt(0)
	s_barrier
	s_and_saveexec_b64 s[10:11], s[52:53]
	s_cbranch_execz .LBB166_165
; %bb.164:
	ds_read_b64 v[13:14], v7 offset:2592
	ds_read_b64 v[15:16], v8
	s_waitcnt lgkmcnt(0)
	v_mul_f32_e32 v17, v16, v14
	v_mul_f32_e32 v14, v15, v14
	v_fma_f32 v15, v15, v13, -v17
	v_fmac_f32_e32 v14, v16, v13
	v_add_f32_e32 v12, v12, v15
	v_add_f32_e32 v11, v11, v14
.LBB166_165:
	s_or_b64 exec, exec, s[10:11]
	v_cmp_eq_u32_e64 s[10:11], 2, v9
	s_and_b64 s[54:55], s[10:11], s[14:15]
	s_barrier
	s_and_saveexec_b64 s[10:11], s[54:55]
	s_cbranch_execz .LBB166_167
; %bb.166:
	v_mov_b32_e32 v13, 0
	ds_read_b64 v[13:14], v13 offset:3120
	s_waitcnt lgkmcnt(0)
	v_mul_f32_e32 v16, v11, v14
	v_mul_f32_e32 v15, v12, v14
	v_fma_f32 v14, v12, v13, -v16
	v_fmac_f32_e32 v15, v11, v13
	v_mov_b32_e32 v12, v14
	v_mov_b32_e32 v11, v15
	ds_write_b64 v8, v[14:15]
.LBB166_167:
	s_or_b64 exec, exec, s[10:11]
	v_cmp_eq_u32_e64 s[10:11], 3, v9
	s_and_b64 s[44:45], s[10:11], s[14:15]
	s_waitcnt lgkmcnt(0)
	s_barrier
	s_and_saveexec_b64 s[10:11], s[44:45]
	s_cbranch_execz .LBB166_169
; %bb.168:
	v_mov_b32_e32 v13, 0
	ds_read_b64 v[13:14], v13 offset:3128
	ds_read_b64 v[15:16], v8
	s_waitcnt lgkmcnt(0)
	v_mul_f32_e32 v17, v16, v14
	v_mul_f32_e32 v14, v15, v14
	v_fma_f32 v15, v15, v13, -v17
	v_fmac_f32_e32 v14, v16, v13
	v_add_f32_e32 v12, v12, v15
	v_add_f32_e32 v11, v11, v14
.LBB166_169:
	s_or_b64 exec, exec, s[10:11]
	s_barrier
	s_and_saveexec_b64 s[10:11], s[44:45]
	s_cbranch_execz .LBB166_171
; %bb.170:
	v_mov_b32_e32 v13, 0
	ds_read_b64 v[13:14], v13 offset:3640
	s_waitcnt lgkmcnt(0)
	v_mul_f32_e32 v16, v11, v14
	v_mul_f32_e32 v15, v12, v14
	v_fma_f32 v14, v12, v13, -v16
	v_fmac_f32_e32 v15, v11, v13
	v_mov_b32_e32 v12, v14
	v_mov_b32_e32 v11, v15
	ds_write_b64 v8, v[14:15]
.LBB166_171:
	s_or_b64 exec, exec, s[10:11]
	s_waitcnt lgkmcnt(0)
	s_barrier
	s_barrier
	s_and_saveexec_b64 s[10:11], s[18:19]
; %bb.172:
	v_xor_b32_e32 v12, 0x80000000, v12
	v_xor_b32_e32 v13, 0x80000000, v11
	ds_write_b64 v6, v[12:13] offset:32
; %bb.173:
	s_or_b64 exec, exec, s[10:11]
	s_waitcnt lgkmcnt(0)
	s_barrier
	s_barrier
	s_and_saveexec_b64 s[10:11], vcc
	s_cbranch_execz .LBB166_175
; %bb.174:
	v_mov_b32_e32 v17, 0
	ds_read_b128 v[11:14], v17 offset:2080
	ds_read_b64 v[15:16], v17 offset:2600
	s_waitcnt lgkmcnt(0)
	v_mul_f32_e32 v18, v16, v12
	v_mul_f32_e32 v19, v15, v12
	v_fma_f32 v15, v15, v11, -v18
	v_fmac_f32_e32 v19, v16, v11
	v_mul_f32_e32 v11, v19, v14
	v_mul_f32_e32 v12, v15, v14
	v_fma_f32 v11, v15, v13, -v11
	v_fmac_f32_e32 v12, v19, v13
	ds_write_b64 v17, v[11:12] offset:2088
.LBB166_175:
	s_or_b64 exec, exec, s[10:11]
	v_mov_b32_e32 v11, 0
	v_mov_b32_e32 v12, 0
	s_waitcnt lgkmcnt(0)
	s_barrier
	s_and_saveexec_b64 s[12:13], s[6:7]
	s_cbranch_execz .LBB166_179
; %bb.176:
	v_mul_u32_u24_e32 v13, 0x208, v5
	ds_read_b64 v[11:12], v3 offset:2096
	ds_read_b64 v[13:14], v13 offset:2080
	v_cmp_gt_u32_e64 s[10:11], 2, v1
	s_waitcnt lgkmcnt(0)
	v_mul_f32_e32 v15, v14, v12
	v_mul_f32_e32 v12, v13, v12
	v_fma_f32 v13, v13, v11, -v15
	v_fmac_f32_e32 v12, v14, v11
	v_add_f32_e32 v11, 0, v13
	v_add_f32_e32 v13, 0, v12
	s_and_saveexec_b64 s[14:15], s[10:11]
	s_cbranch_execz .LBB166_178
; %bb.177:
	v_lshlrev_b32_e32 v12, 3, v0
	v_mov_b32_e32 v16, 0
	ds_read_b64 v[14:15], v12 offset:2608
	ds_read_b64 v[16:17], v16 offset:2088
	s_waitcnt lgkmcnt(0)
	v_mul_f32_e32 v12, v17, v15
	v_mul_f32_e32 v15, v16, v15
	v_fma_f32 v12, v16, v14, -v12
	v_fmac_f32_e32 v15, v17, v14
	v_add_f32_e32 v11, v11, v12
	v_add_f32_e32 v13, v13, v15
.LBB166_178:
	s_or_b64 exec, exec, s[14:15]
	v_xor_b32_e32 v12, 0x80000000, v11
	v_xor_b32_e32 v11, 0x80000000, v13
.LBB166_179:
	s_or_b64 exec, exec, s[12:13]
	s_and_saveexec_b64 s[10:11], s[42:43]
	s_cbranch_execz .LBB166_181
; %bb.180:
	v_mov_b32_e32 v13, 0
	ds_read_b64 v[13:14], v13 offset:3120
	s_waitcnt lgkmcnt(0)
	v_mul_f32_e32 v16, v11, v14
	v_mul_f32_e32 v15, v12, v14
	v_fma_f32 v14, v12, v13, -v16
	v_fmac_f32_e32 v15, v11, v13
	v_mov_b32_e32 v12, v14
	v_mov_b32_e32 v11, v15
	ds_write_b64 v4, v[14:15]
.LBB166_181:
	s_or_b64 exec, exec, s[10:11]
	s_waitcnt lgkmcnt(0)
	s_barrier
	s_and_saveexec_b64 s[10:11], s[40:41]
	s_cbranch_execz .LBB166_183
; %bb.182:
	v_mov_b32_e32 v13, 0
	ds_read_b64 v[13:14], v13 offset:3128
	ds_read_b64 v[15:16], v4
	s_waitcnt lgkmcnt(0)
	v_mul_f32_e32 v17, v16, v14
	v_mul_f32_e32 v14, v15, v14
	v_fma_f32 v15, v15, v13, -v17
	v_fmac_f32_e32 v14, v16, v13
	v_add_f32_e32 v12, v12, v15
	v_add_f32_e32 v11, v11, v14
.LBB166_183:
	s_or_b64 exec, exec, s[10:11]
	s_barrier
	s_and_saveexec_b64 s[10:11], s[40:41]
	s_cbranch_execz .LBB166_185
; %bb.184:
	v_mov_b32_e32 v13, 0
	ds_read_b64 v[13:14], v13 offset:3640
	s_waitcnt lgkmcnt(0)
	v_mul_f32_e32 v16, v11, v14
	v_mul_f32_e32 v15, v12, v14
	v_fma_f32 v14, v12, v13, -v16
	v_fmac_f32_e32 v15, v11, v13
	v_mov_b32_e32 v12, v14
	v_mov_b32_e32 v11, v15
	ds_write_b64 v4, v[14:15]
.LBB166_185:
	s_or_b64 exec, exec, s[10:11]
	s_waitcnt lgkmcnt(0)
	s_barrier
	s_barrier
	s_and_saveexec_b64 s[10:11], s[6:7]
; %bb.186:
	v_xor_b32_e32 v13, 0x80000000, v11
	v_xor_b32_e32 v12, 0x80000000, v12
	ds_write_b64 v3, v[12:13] offset:2096
; %bb.187:
	s_or_b64 exec, exec, s[10:11]
	s_waitcnt lgkmcnt(0)
	s_barrier
	s_barrier
	s_and_saveexec_b64 s[10:11], vcc
	s_cbranch_execz .LBB166_189
; %bb.188:
	v_mov_b32_e32 v17, 0
	ds_read_b128 v[11:14], v17 offset:3120
	ds_read_b64 v[15:16], v17 offset:3640
	s_waitcnt lgkmcnt(0)
	v_mul_f32_e32 v18, v16, v12
	v_mul_f32_e32 v19, v15, v12
	v_fma_f32 v15, v15, v11, -v18
	v_fmac_f32_e32 v19, v16, v11
	v_mul_f32_e32 v11, v19, v14
	v_mul_f32_e32 v12, v15, v14
	v_fma_f32 v11, v15, v13, -v11
	v_fmac_f32_e32 v12, v19, v13
	ds_write_b64 v17, v[11:12] offset:3128
.LBB166_189:
	s_or_b64 exec, exec, s[10:11]
	v_and_b32_e32 v14, 7, v0
	v_lshrrev_b32_e32 v15, 3, v1
	v_lshlrev_b32_e32 v12, 3, v14
	v_cmp_lt_u32_e64 s[12:13], 63, v1
	v_cmp_gt_u32_e64 s[10:11], 64, v1
	v_lshl_or_b32 v11, v15, 9, v12
	v_mov_b32_e32 v16, 0
	v_mov_b32_e32 v17, 0
	s_waitcnt lgkmcnt(0)
	s_barrier
	s_and_saveexec_b64 s[16:17], s[10:11]
	s_cbranch_execz .LBB166_199
; %bb.190:
	v_mul_u32_u24_e32 v17, 0x208, v15
	ds_read_b64 v[18:19], v11 offset:64
	ds_read_b64 v[20:21], v17
	v_cmp_gt_u32_e64 s[14:15], 56, v1
	s_waitcnt lgkmcnt(0)
	v_mul_f32_e32 v13, v21, v19
	v_mul_f32_e32 v16, v20, v19
	v_fma_f32 v13, v20, v18, -v13
	v_fmac_f32_e32 v16, v21, v18
	v_add_f32_e32 v13, 0, v13
	v_add_f32_e32 v16, 0, v16
	s_and_saveexec_b64 s[20:21], s[14:15]
	s_cbranch_execnz .LBB166_1056
; %bb.191:
	s_or_b64 exec, exec, s[20:21]
	v_cmp_gt_u32_e64 s[14:15], 48, v1
	s_and_saveexec_b64 s[20:21], s[14:15]
	s_cbranch_execnz .LBB166_1057
.LBB166_192:
	s_or_b64 exec, exec, s[20:21]
	v_cmp_gt_u32_e64 s[14:15], 40, v1
	s_and_saveexec_b64 s[20:21], s[14:15]
	s_cbranch_execnz .LBB166_1058
.LBB166_193:
	s_or_b64 exec, exec, s[20:21]
	v_cmp_gt_u32_e64 s[14:15], 32, v1
	s_and_saveexec_b64 s[20:21], s[14:15]
	s_cbranch_execnz .LBB166_1059
.LBB166_194:
	s_or_b64 exec, exec, s[20:21]
	v_cmp_gt_u32_e64 s[14:15], 24, v1
	s_and_saveexec_b64 s[20:21], s[14:15]
	s_cbranch_execnz .LBB166_1060
.LBB166_195:
	s_or_b64 exec, exec, s[20:21]
	v_cmp_gt_u32_e64 s[14:15], 16, v1
	s_and_saveexec_b64 s[20:21], s[14:15]
	s_cbranch_execnz .LBB166_1061
.LBB166_196:
	s_or_b64 exec, exec, s[20:21]
	v_cmp_gt_u32_e64 s[14:15], 8, v1
	s_and_saveexec_b64 s[20:21], s[14:15]
	s_cbranch_execz .LBB166_198
.LBB166_197:
	v_lshlrev_b32_e32 v17, 3, v0
	v_mov_b32_e32 v19, 0
	ds_read_b64 v[17:18], v17 offset:3648
	ds_read_b64 v[19:20], v19 offset:56
	s_waitcnt lgkmcnt(0)
	v_mul_f32_e32 v21, v20, v18
	v_mul_f32_e32 v18, v19, v18
	v_fma_f32 v19, v19, v17, -v21
	v_fmac_f32_e32 v18, v20, v17
	v_add_f32_e32 v13, v13, v19
	v_add_f32_e32 v16, v16, v18
.LBB166_198:
	s_or_b64 exec, exec, s[20:21]
	v_xor_b32_e32 v17, 0x80000000, v13
	v_xor_b32_e32 v16, 0x80000000, v16
.LBB166_199:
	v_writelane_b32 v34, s58, 2
	s_or_b64 exec, exec, s[16:17]
	v_mov_b32_e32 v13, 0x8000
	v_cmp_eq_u32_e64 s[14:15], 0, v14
	s_xor_b64 s[16:17], s[12:13], -1
	v_lshl_add_u32 v13, v15, 3, v13
	s_and_b64 s[58:59], s[14:15], s[16:17]
	s_and_saveexec_b64 s[12:13], s[58:59]
	s_cbranch_execz .LBB166_201
; %bb.200:
	v_mov_b32_e32 v18, 0
	ds_read_b64 v[18:19], v18 offset:4160
	s_waitcnt lgkmcnt(0)
	v_mul_f32_e32 v21, v16, v19
	v_mul_f32_e32 v20, v17, v19
	v_fma_f32 v19, v17, v18, -v21
	v_fmac_f32_e32 v20, v16, v18
	v_mov_b32_e32 v17, v19
	v_mov_b32_e32 v16, v20
	ds_write_b64 v13, v[19:20]
.LBB166_201:
	s_or_b64 exec, exec, s[12:13]
	v_cmp_ne_u32_e64 s[12:13], 0, v14
	s_and_b64 s[60:61], s[12:13], s[16:17]
	s_waitcnt lgkmcnt(0)
	s_barrier
	s_and_saveexec_b64 s[12:13], s[60:61]
	s_cbranch_execz .LBB166_203
; %bb.202:
	ds_read_b64 v[18:19], v12 offset:4160
	ds_read_b64 v[20:21], v13
	s_waitcnt lgkmcnt(0)
	v_mul_f32_e32 v22, v21, v19
	v_mul_f32_e32 v19, v20, v19
	v_fma_f32 v20, v20, v18, -v22
	v_fmac_f32_e32 v19, v21, v18
	v_add_f32_e32 v17, v17, v20
	v_add_f32_e32 v16, v16, v19
.LBB166_203:
	s_or_b64 exec, exec, s[12:13]
	v_cmp_eq_u32_e64 s[12:13], 1, v14
	s_and_b64 s[62:63], s[12:13], s[16:17]
	s_barrier
	s_and_saveexec_b64 s[12:13], s[62:63]
	s_cbranch_execz .LBB166_205
; %bb.204:
	v_mov_b32_e32 v18, 0
	ds_read_b64 v[18:19], v18 offset:4680
	s_waitcnt lgkmcnt(0)
	v_mul_f32_e32 v21, v16, v19
	v_mul_f32_e32 v20, v17, v19
	v_fma_f32 v19, v17, v18, -v21
	v_fmac_f32_e32 v20, v16, v18
	v_mov_b32_e32 v17, v19
	v_mov_b32_e32 v16, v20
	ds_write_b64 v13, v[19:20]
.LBB166_205:
	s_or_b64 exec, exec, s[12:13]
	v_cmp_lt_u32_e64 s[12:13], 1, v14
	s_and_b64 s[64:65], s[12:13], s[16:17]
	s_waitcnt lgkmcnt(0)
	s_barrier
	s_and_saveexec_b64 s[12:13], s[64:65]
	s_cbranch_execz .LBB166_207
; %bb.206:
	ds_read_b64 v[18:19], v12 offset:4672
	ds_read_b64 v[20:21], v13
	s_waitcnt lgkmcnt(0)
	v_mul_f32_e32 v22, v21, v19
	v_mul_f32_e32 v19, v20, v19
	v_fma_f32 v20, v20, v18, -v22
	v_fmac_f32_e32 v19, v21, v18
	v_add_f32_e32 v17, v17, v20
	v_add_f32_e32 v16, v16, v19
.LBB166_207:
	s_or_b64 exec, exec, s[12:13]
	v_cmp_eq_u32_e64 s[12:13], 2, v14
	s_and_b64 s[66:67], s[12:13], s[16:17]
	s_barrier
	s_and_saveexec_b64 s[12:13], s[66:67]
	s_cbranch_execz .LBB166_209
; %bb.208:
	v_mov_b32_e32 v18, 0
	ds_read_b64 v[18:19], v18 offset:5200
	s_waitcnt lgkmcnt(0)
	v_mul_f32_e32 v21, v16, v19
	v_mul_f32_e32 v20, v17, v19
	v_fma_f32 v19, v17, v18, -v21
	v_fmac_f32_e32 v20, v16, v18
	v_mov_b32_e32 v17, v19
	v_mov_b32_e32 v16, v20
	ds_write_b64 v13, v[19:20]
.LBB166_209:
	s_or_b64 exec, exec, s[12:13]
	v_cmp_lt_u32_e64 s[12:13], 2, v14
	s_and_b64 s[68:69], s[12:13], s[16:17]
	s_waitcnt lgkmcnt(0)
	s_barrier
	s_and_saveexec_b64 s[12:13], s[68:69]
	s_cbranch_execz .LBB166_211
; %bb.210:
	ds_read_b64 v[18:19], v12 offset:5184
	ds_read_b64 v[20:21], v13
	s_waitcnt lgkmcnt(0)
	v_mul_f32_e32 v22, v21, v19
	v_mul_f32_e32 v19, v20, v19
	v_fma_f32 v20, v20, v18, -v22
	v_fmac_f32_e32 v19, v21, v18
	v_add_f32_e32 v17, v17, v20
	v_add_f32_e32 v16, v16, v19
.LBB166_211:
	s_or_b64 exec, exec, s[12:13]
	v_cmp_eq_u32_e64 s[12:13], 3, v14
	s_and_b64 s[70:71], s[12:13], s[16:17]
	s_barrier
	s_and_saveexec_b64 s[12:13], s[70:71]
	s_cbranch_execz .LBB166_213
; %bb.212:
	v_mov_b32_e32 v18, 0
	ds_read_b64 v[18:19], v18 offset:5720
	s_waitcnt lgkmcnt(0)
	v_mul_f32_e32 v21, v16, v19
	v_mul_f32_e32 v20, v17, v19
	v_fma_f32 v19, v17, v18, -v21
	v_fmac_f32_e32 v20, v16, v18
	v_mov_b32_e32 v17, v19
	v_mov_b32_e32 v16, v20
	ds_write_b64 v13, v[19:20]
.LBB166_213:
	s_or_b64 exec, exec, s[12:13]
	v_cmp_lt_u32_e64 s[12:13], 3, v14
	s_and_b64 s[72:73], s[12:13], s[16:17]
	s_waitcnt lgkmcnt(0)
	s_barrier
	s_and_saveexec_b64 s[12:13], s[72:73]
	s_cbranch_execz .LBB166_215
; %bb.214:
	ds_read_b64 v[18:19], v12 offset:5696
	ds_read_b64 v[20:21], v13
	s_waitcnt lgkmcnt(0)
	v_mul_f32_e32 v22, v21, v19
	v_mul_f32_e32 v19, v20, v19
	v_fma_f32 v20, v20, v18, -v22
	v_fmac_f32_e32 v19, v21, v18
	v_add_f32_e32 v17, v17, v20
	v_add_f32_e32 v16, v16, v19
.LBB166_215:
	s_or_b64 exec, exec, s[12:13]
	v_cmp_eq_u32_e64 s[12:13], 4, v14
	s_and_b64 s[74:75], s[12:13], s[16:17]
	s_barrier
	s_and_saveexec_b64 s[12:13], s[74:75]
	s_cbranch_execz .LBB166_217
; %bb.216:
	v_mov_b32_e32 v18, 0
	ds_read_b64 v[18:19], v18 offset:6240
	s_waitcnt lgkmcnt(0)
	v_mul_f32_e32 v21, v16, v19
	v_mul_f32_e32 v20, v17, v19
	v_fma_f32 v19, v17, v18, -v21
	v_fmac_f32_e32 v20, v16, v18
	v_mov_b32_e32 v17, v19
	v_mov_b32_e32 v16, v20
	ds_write_b64 v13, v[19:20]
.LBB166_217:
	s_or_b64 exec, exec, s[12:13]
	v_cmp_lt_u32_e64 s[12:13], 4, v14
	s_and_b64 s[76:77], s[12:13], s[16:17]
	s_waitcnt lgkmcnt(0)
	s_barrier
	s_and_saveexec_b64 s[12:13], s[76:77]
	s_cbranch_execz .LBB166_219
; %bb.218:
	ds_read_b64 v[18:19], v12 offset:6208
	ds_read_b64 v[20:21], v13
	s_waitcnt lgkmcnt(0)
	v_mul_f32_e32 v22, v21, v19
	v_mul_f32_e32 v19, v20, v19
	v_fma_f32 v20, v20, v18, -v22
	v_fmac_f32_e32 v19, v21, v18
	v_add_f32_e32 v17, v17, v20
	v_add_f32_e32 v16, v16, v19
.LBB166_219:
	s_or_b64 exec, exec, s[12:13]
	v_cmp_eq_u32_e64 s[12:13], 5, v14
	s_and_b64 s[78:79], s[12:13], s[16:17]
	s_barrier
	s_and_saveexec_b64 s[12:13], s[78:79]
	s_cbranch_execz .LBB166_221
; %bb.220:
	v_mov_b32_e32 v18, 0
	ds_read_b64 v[18:19], v18 offset:6760
	s_waitcnt lgkmcnt(0)
	v_mul_f32_e32 v21, v16, v19
	v_mul_f32_e32 v20, v17, v19
	v_fma_f32 v19, v17, v18, -v21
	v_fmac_f32_e32 v20, v16, v18
	v_mov_b32_e32 v17, v19
	v_mov_b32_e32 v16, v20
	ds_write_b64 v13, v[19:20]
.LBB166_221:
	s_or_b64 exec, exec, s[12:13]
	v_cmp_lt_u32_e64 s[12:13], 5, v14
	s_and_b64 s[80:81], s[12:13], s[16:17]
	s_waitcnt lgkmcnt(0)
	s_barrier
	s_and_saveexec_b64 s[12:13], s[80:81]
	s_cbranch_execz .LBB166_223
; %bb.222:
	ds_read_b64 v[18:19], v12 offset:6720
	ds_read_b64 v[20:21], v13
	s_waitcnt lgkmcnt(0)
	v_mul_f32_e32 v22, v21, v19
	v_mul_f32_e32 v19, v20, v19
	v_fma_f32 v20, v20, v18, -v22
	v_fmac_f32_e32 v19, v21, v18
	v_add_f32_e32 v17, v17, v20
	v_add_f32_e32 v16, v16, v19
.LBB166_223:
	s_or_b64 exec, exec, s[12:13]
	v_cmp_eq_u32_e64 s[12:13], 6, v14
	s_and_b64 s[82:83], s[12:13], s[16:17]
	s_barrier
	s_and_saveexec_b64 s[12:13], s[82:83]
	s_cbranch_execz .LBB166_225
; %bb.224:
	v_mov_b32_e32 v18, 0
	ds_read_b64 v[18:19], v18 offset:7280
	s_waitcnt lgkmcnt(0)
	v_mul_f32_e32 v21, v16, v19
	v_mul_f32_e32 v20, v17, v19
	v_fma_f32 v19, v17, v18, -v21
	v_fmac_f32_e32 v20, v16, v18
	v_mov_b32_e32 v17, v19
	v_mov_b32_e32 v16, v20
	ds_write_b64 v13, v[19:20]
.LBB166_225:
	s_or_b64 exec, exec, s[12:13]
	v_cmp_eq_u32_e64 s[12:13], 7, v14
	s_and_b64 s[56:57], s[12:13], s[16:17]
	s_waitcnt lgkmcnt(0)
	s_barrier
	s_and_saveexec_b64 s[12:13], s[56:57]
	s_cbranch_execz .LBB166_227
; %bb.226:
	v_mov_b32_e32 v18, 0
	ds_read_b64 v[18:19], v18 offset:7288
	ds_read_b64 v[20:21], v13
	s_waitcnt lgkmcnt(0)
	v_mul_f32_e32 v22, v21, v19
	v_mul_f32_e32 v19, v20, v19
	v_fma_f32 v20, v20, v18, -v22
	v_fmac_f32_e32 v19, v21, v18
	v_add_f32_e32 v17, v17, v20
	v_add_f32_e32 v16, v16, v19
.LBB166_227:
	s_or_b64 exec, exec, s[12:13]
	s_barrier
	s_and_saveexec_b64 s[12:13], s[56:57]
	s_cbranch_execz .LBB166_229
; %bb.228:
	v_mov_b32_e32 v18, 0
	ds_read_b64 v[18:19], v18 offset:7800
	s_waitcnt lgkmcnt(0)
	v_mul_f32_e32 v21, v16, v19
	v_mul_f32_e32 v20, v17, v19
	v_fma_f32 v19, v17, v18, -v21
	v_fmac_f32_e32 v20, v16, v18
	v_mov_b32_e32 v17, v19
	v_mov_b32_e32 v16, v20
	ds_write_b64 v13, v[19:20]
.LBB166_229:
	s_or_b64 exec, exec, s[12:13]
	s_waitcnt lgkmcnt(0)
	s_barrier
	s_barrier
	s_and_saveexec_b64 s[12:13], s[10:11]
; %bb.230:
	v_xor_b32_e32 v18, 0x80000000, v16
	v_xor_b32_e32 v17, 0x80000000, v17
	ds_write_b64 v11, v[17:18] offset:64
; %bb.231:
	s_or_b64 exec, exec, s[12:13]
	s_waitcnt lgkmcnt(0)
	s_barrier
	s_barrier
	s_and_saveexec_b64 s[12:13], vcc
	s_cbranch_execz .LBB166_233
; %bb.232:
	v_mov_b32_e32 v22, 0
	ds_read_b128 v[16:19], v22 offset:4160
	ds_read_b64 v[20:21], v22 offset:4680
	s_waitcnt lgkmcnt(0)
	v_mul_f32_e32 v23, v21, v17
	v_mul_f32_e32 v24, v20, v17
	v_fma_f32 v20, v20, v16, -v23
	v_fmac_f32_e32 v24, v21, v16
	v_mul_f32_e32 v16, v24, v19
	v_mul_f32_e32 v17, v20, v19
	v_fma_f32 v16, v20, v18, -v16
	v_fmac_f32_e32 v17, v24, v18
	ds_write_b64 v22, v[16:17] offset:4168
.LBB166_233:
	s_or_b64 exec, exec, s[12:13]
	v_mov_b32_e32 v16, 0
	v_mov_b32_e32 v17, 0
	s_waitcnt lgkmcnt(0)
	s_barrier
	s_and_saveexec_b64 s[14:15], s[6:7]
	s_cbranch_execz .LBB166_237
; %bb.234:
	v_mul_u32_u24_e32 v18, 0x208, v5
	ds_read_b64 v[16:17], v3 offset:4176
	ds_read_b64 v[18:19], v18 offset:4160
	v_cmp_gt_u32_e64 s[12:13], 2, v1
	s_waitcnt lgkmcnt(0)
	v_mul_f32_e32 v20, v19, v17
	v_mul_f32_e32 v17, v18, v17
	v_fma_f32 v18, v18, v16, -v20
	v_fmac_f32_e32 v17, v19, v16
	v_add_f32_e32 v16, 0, v18
	v_add_f32_e32 v18, 0, v17
	s_and_saveexec_b64 s[16:17], s[12:13]
	s_cbranch_execz .LBB166_236
; %bb.235:
	v_lshlrev_b32_e32 v17, 3, v0
	v_mov_b32_e32 v21, 0
	ds_read_b64 v[19:20], v17 offset:4688
	ds_read_b64 v[21:22], v21 offset:4168
	s_waitcnt lgkmcnt(0)
	v_mul_f32_e32 v17, v22, v20
	v_mul_f32_e32 v20, v21, v20
	v_fma_f32 v17, v21, v19, -v17
	v_fmac_f32_e32 v20, v22, v19
	v_add_f32_e32 v16, v16, v17
	v_add_f32_e32 v18, v18, v20
.LBB166_236:
	s_or_b64 exec, exec, s[16:17]
	v_xor_b32_e32 v17, 0x80000000, v16
	v_xor_b32_e32 v16, 0x80000000, v18
.LBB166_237:
	s_or_b64 exec, exec, s[14:15]
	s_and_saveexec_b64 s[12:13], s[42:43]
	s_cbranch_execz .LBB166_239
; %bb.238:
	v_mov_b32_e32 v18, 0
	ds_read_b64 v[18:19], v18 offset:5200
	s_waitcnt lgkmcnt(0)
	v_mul_f32_e32 v21, v16, v19
	v_mul_f32_e32 v20, v17, v19
	v_fma_f32 v19, v17, v18, -v21
	v_fmac_f32_e32 v20, v16, v18
	v_mov_b32_e32 v17, v19
	v_mov_b32_e32 v16, v20
	ds_write_b64 v4, v[19:20]
.LBB166_239:
	s_or_b64 exec, exec, s[12:13]
	s_waitcnt lgkmcnt(0)
	s_barrier
	s_and_saveexec_b64 s[12:13], s[40:41]
	s_cbranch_execz .LBB166_241
; %bb.240:
	v_mov_b32_e32 v18, 0
	ds_read_b64 v[18:19], v18 offset:5208
	ds_read_b64 v[20:21], v4
	s_waitcnt lgkmcnt(0)
	v_mul_f32_e32 v22, v21, v19
	v_mul_f32_e32 v19, v20, v19
	v_fma_f32 v20, v20, v18, -v22
	v_fmac_f32_e32 v19, v21, v18
	v_add_f32_e32 v17, v17, v20
	v_add_f32_e32 v16, v16, v19
.LBB166_241:
	s_or_b64 exec, exec, s[12:13]
	s_barrier
	s_and_saveexec_b64 s[12:13], s[40:41]
	s_cbranch_execz .LBB166_243
; %bb.242:
	v_mov_b32_e32 v18, 0
	ds_read_b64 v[18:19], v18 offset:5720
	s_waitcnt lgkmcnt(0)
	v_mul_f32_e32 v21, v16, v19
	v_mul_f32_e32 v20, v17, v19
	v_fma_f32 v19, v17, v18, -v21
	v_fmac_f32_e32 v20, v16, v18
	v_mov_b32_e32 v17, v19
	v_mov_b32_e32 v16, v20
	ds_write_b64 v4, v[19:20]
.LBB166_243:
	s_or_b64 exec, exec, s[12:13]
	s_waitcnt lgkmcnt(0)
	s_barrier
	s_barrier
	s_and_saveexec_b64 s[12:13], s[6:7]
; %bb.244:
	v_xor_b32_e32 v18, 0x80000000, v16
	v_xor_b32_e32 v17, 0x80000000, v17
	ds_write_b64 v3, v[17:18] offset:4176
; %bb.245:
	s_or_b64 exec, exec, s[12:13]
	s_waitcnt lgkmcnt(0)
	s_barrier
	s_barrier
	s_and_saveexec_b64 s[12:13], vcc
	s_cbranch_execz .LBB166_247
; %bb.246:
	v_mov_b32_e32 v22, 0
	ds_read_b128 v[16:19], v22 offset:5200
	ds_read_b64 v[20:21], v22 offset:5720
	s_waitcnt lgkmcnt(0)
	v_mul_f32_e32 v23, v21, v17
	v_mul_f32_e32 v24, v20, v17
	v_fma_f32 v20, v20, v16, -v23
	v_fmac_f32_e32 v24, v21, v16
	v_mul_f32_e32 v16, v24, v19
	v_mul_f32_e32 v17, v20, v19
	v_fma_f32 v16, v20, v18, -v16
	v_fmac_f32_e32 v17, v24, v18
	ds_write_b64 v22, v[16:17] offset:5208
.LBB166_247:
	s_or_b64 exec, exec, s[12:13]
	v_mov_b32_e32 v16, 0
	v_mov_b32_e32 v17, 0
	s_waitcnt lgkmcnt(0)
	s_barrier
	s_and_saveexec_b64 s[14:15], s[18:19]
	s_cbranch_execz .LBB166_253
; %bb.248:
	v_mul_u32_u24_e32 v17, 0x208, v10
	ds_read_b64 v[18:19], v6 offset:4192
	ds_read_b64 v[20:21], v17 offset:4160
	v_cmp_gt_u32_e64 s[12:13], 12, v1
	s_waitcnt lgkmcnt(0)
	v_mul_f32_e32 v16, v21, v19
	v_mul_f32_e32 v19, v20, v19
	v_fma_f32 v16, v20, v18, -v16
	v_fmac_f32_e32 v19, v21, v18
	v_add_f32_e32 v16, 0, v16
	v_add_f32_e32 v18, 0, v19
	s_and_saveexec_b64 s[16:17], s[12:13]
	s_cbranch_execnz .LBB166_1062
; %bb.249:
	s_or_b64 exec, exec, s[16:17]
	v_cmp_gt_u32_e64 s[12:13], 8, v1
	s_and_saveexec_b64 s[16:17], s[12:13]
	s_cbranch_execnz .LBB166_1063
.LBB166_250:
	s_or_b64 exec, exec, s[16:17]
	v_cmp_gt_u32_e64 s[12:13], 4, v1
	s_and_saveexec_b64 s[16:17], s[12:13]
	s_cbranch_execz .LBB166_252
.LBB166_251:
	v_lshlrev_b32_e32 v17, 3, v0
	v_mov_b32_e32 v21, 0
	ds_read_b64 v[19:20], v17 offset:5728
	ds_read_b64 v[21:22], v21 offset:4184
	s_waitcnt lgkmcnt(0)
	v_mul_f32_e32 v17, v22, v20
	v_mul_f32_e32 v20, v21, v20
	v_fma_f32 v17, v21, v19, -v17
	v_fmac_f32_e32 v20, v22, v19
	v_add_f32_e32 v16, v16, v17
	v_add_f32_e32 v18, v18, v20
.LBB166_252:
	s_or_b64 exec, exec, s[16:17]
	v_xor_b32_e32 v17, 0x80000000, v16
	v_xor_b32_e32 v16, 0x80000000, v18
.LBB166_253:
	s_or_b64 exec, exec, s[14:15]
	s_and_saveexec_b64 s[12:13], s[46:47]
	s_cbranch_execz .LBB166_255
; %bb.254:
	v_mov_b32_e32 v18, 0
	ds_read_b64 v[18:19], v18 offset:6240
	s_waitcnt lgkmcnt(0)
	v_mul_f32_e32 v21, v16, v19
	v_mul_f32_e32 v20, v17, v19
	v_fma_f32 v19, v17, v18, -v21
	v_fmac_f32_e32 v20, v16, v18
	v_mov_b32_e32 v17, v19
	v_mov_b32_e32 v16, v20
	ds_write_b64 v8, v[19:20]
.LBB166_255:
	s_or_b64 exec, exec, s[12:13]
	s_waitcnt lgkmcnt(0)
	s_barrier
	s_and_saveexec_b64 s[12:13], s[48:49]
	s_cbranch_execz .LBB166_257
; %bb.256:
	ds_read_b64 v[18:19], v7 offset:6240
	ds_read_b64 v[20:21], v8
	s_waitcnt lgkmcnt(0)
	v_mul_f32_e32 v22, v21, v19
	v_mul_f32_e32 v19, v20, v19
	v_fma_f32 v20, v20, v18, -v22
	v_fmac_f32_e32 v19, v21, v18
	v_add_f32_e32 v17, v17, v20
	v_add_f32_e32 v16, v16, v19
.LBB166_257:
	s_or_b64 exec, exec, s[12:13]
	s_barrier
	s_and_saveexec_b64 s[12:13], s[50:51]
	s_cbranch_execz .LBB166_259
; %bb.258:
	v_mov_b32_e32 v18, 0
	ds_read_b64 v[18:19], v18 offset:6760
	s_waitcnt lgkmcnt(0)
	v_mul_f32_e32 v21, v16, v19
	v_mul_f32_e32 v20, v17, v19
	v_fma_f32 v19, v17, v18, -v21
	v_fmac_f32_e32 v20, v16, v18
	v_mov_b32_e32 v17, v19
	v_mov_b32_e32 v16, v20
	ds_write_b64 v8, v[19:20]
.LBB166_259:
	s_or_b64 exec, exec, s[12:13]
	s_waitcnt lgkmcnt(0)
	s_barrier
	s_and_saveexec_b64 s[12:13], s[52:53]
	s_cbranch_execz .LBB166_261
; %bb.260:
	ds_read_b64 v[18:19], v7 offset:6752
	ds_read_b64 v[20:21], v8
	s_waitcnt lgkmcnt(0)
	v_mul_f32_e32 v22, v21, v19
	v_mul_f32_e32 v19, v20, v19
	v_fma_f32 v20, v20, v18, -v22
	v_fmac_f32_e32 v19, v21, v18
	v_add_f32_e32 v17, v17, v20
	v_add_f32_e32 v16, v16, v19
.LBB166_261:
	s_or_b64 exec, exec, s[12:13]
	s_barrier
	s_and_saveexec_b64 s[12:13], s[54:55]
	s_cbranch_execz .LBB166_263
; %bb.262:
	v_mov_b32_e32 v18, 0
	ds_read_b64 v[18:19], v18 offset:7280
	s_waitcnt lgkmcnt(0)
	v_mul_f32_e32 v21, v16, v19
	v_mul_f32_e32 v20, v17, v19
	v_fma_f32 v19, v17, v18, -v21
	v_fmac_f32_e32 v20, v16, v18
	v_mov_b32_e32 v17, v19
	v_mov_b32_e32 v16, v20
	ds_write_b64 v8, v[19:20]
.LBB166_263:
	s_or_b64 exec, exec, s[12:13]
	s_waitcnt lgkmcnt(0)
	s_barrier
	s_and_saveexec_b64 s[12:13], s[44:45]
	s_cbranch_execz .LBB166_265
; %bb.264:
	v_mov_b32_e32 v18, 0
	ds_read_b64 v[18:19], v18 offset:7288
	ds_read_b64 v[20:21], v8
	s_waitcnt lgkmcnt(0)
	v_mul_f32_e32 v22, v21, v19
	v_mul_f32_e32 v19, v20, v19
	v_fma_f32 v20, v20, v18, -v22
	v_fmac_f32_e32 v19, v21, v18
	v_add_f32_e32 v17, v17, v20
	v_add_f32_e32 v16, v16, v19
.LBB166_265:
	s_or_b64 exec, exec, s[12:13]
	s_barrier
	s_and_saveexec_b64 s[12:13], s[44:45]
	s_cbranch_execz .LBB166_267
; %bb.266:
	v_mov_b32_e32 v18, 0
	ds_read_b64 v[18:19], v18 offset:7800
	s_waitcnt lgkmcnt(0)
	v_mul_f32_e32 v21, v16, v19
	v_mul_f32_e32 v20, v17, v19
	v_fma_f32 v19, v17, v18, -v21
	v_fmac_f32_e32 v20, v16, v18
	v_mov_b32_e32 v17, v19
	v_mov_b32_e32 v16, v20
	ds_write_b64 v8, v[19:20]
.LBB166_267:
	s_or_b64 exec, exec, s[12:13]
	s_waitcnt lgkmcnt(0)
	s_barrier
	s_barrier
	s_and_saveexec_b64 s[12:13], s[18:19]
; %bb.268:
	v_xor_b32_e32 v17, 0x80000000, v17
	v_xor_b32_e32 v18, 0x80000000, v16
	ds_write_b64 v6, v[17:18] offset:4192
; %bb.269:
	s_or_b64 exec, exec, s[12:13]
	s_waitcnt lgkmcnt(0)
	s_barrier
	s_barrier
	s_and_saveexec_b64 s[12:13], vcc
	s_cbranch_execz .LBB166_271
; %bb.270:
	v_mov_b32_e32 v22, 0
	ds_read_b128 v[16:19], v22 offset:6240
	ds_read_b64 v[20:21], v22 offset:6760
	s_waitcnt lgkmcnt(0)
	v_mul_f32_e32 v23, v21, v17
	v_mul_f32_e32 v24, v20, v17
	v_fma_f32 v20, v20, v16, -v23
	v_fmac_f32_e32 v24, v21, v16
	v_mul_f32_e32 v16, v24, v19
	v_mul_f32_e32 v17, v20, v19
	v_fma_f32 v16, v20, v18, -v16
	v_fmac_f32_e32 v17, v24, v18
	ds_write_b64 v22, v[16:17] offset:6248
.LBB166_271:
	s_or_b64 exec, exec, s[12:13]
	v_mov_b32_e32 v16, 0
	v_mov_b32_e32 v17, 0
	s_waitcnt lgkmcnt(0)
	s_barrier
	s_and_saveexec_b64 s[14:15], s[6:7]
	s_cbranch_execz .LBB166_275
; %bb.272:
	v_mul_u32_u24_e32 v18, 0x208, v5
	ds_read_b64 v[16:17], v3 offset:6256
	ds_read_b64 v[18:19], v18 offset:6240
	v_cmp_gt_u32_e64 s[12:13], 2, v1
	s_waitcnt lgkmcnt(0)
	v_mul_f32_e32 v20, v19, v17
	v_mul_f32_e32 v17, v18, v17
	v_fma_f32 v18, v18, v16, -v20
	v_fmac_f32_e32 v17, v19, v16
	v_add_f32_e32 v16, 0, v18
	v_add_f32_e32 v18, 0, v17
	s_and_saveexec_b64 s[16:17], s[12:13]
	s_cbranch_execz .LBB166_274
; %bb.273:
	v_lshlrev_b32_e32 v17, 3, v0
	v_mov_b32_e32 v21, 0
	ds_read_b64 v[19:20], v17 offset:6768
	ds_read_b64 v[21:22], v21 offset:6248
	s_waitcnt lgkmcnt(0)
	v_mul_f32_e32 v17, v22, v20
	v_mul_f32_e32 v20, v21, v20
	v_fma_f32 v17, v21, v19, -v17
	v_fmac_f32_e32 v20, v22, v19
	v_add_f32_e32 v16, v16, v17
	v_add_f32_e32 v18, v18, v20
.LBB166_274:
	s_or_b64 exec, exec, s[16:17]
	v_xor_b32_e32 v17, 0x80000000, v16
	v_xor_b32_e32 v16, 0x80000000, v18
.LBB166_275:
	s_or_b64 exec, exec, s[14:15]
	s_and_saveexec_b64 s[12:13], s[42:43]
	s_cbranch_execz .LBB166_277
; %bb.276:
	v_mov_b32_e32 v18, 0
	ds_read_b64 v[18:19], v18 offset:7280
	s_waitcnt lgkmcnt(0)
	v_mul_f32_e32 v21, v16, v19
	v_mul_f32_e32 v20, v17, v19
	v_fma_f32 v19, v17, v18, -v21
	v_fmac_f32_e32 v20, v16, v18
	v_mov_b32_e32 v17, v19
	v_mov_b32_e32 v16, v20
	ds_write_b64 v4, v[19:20]
.LBB166_277:
	s_or_b64 exec, exec, s[12:13]
	s_waitcnt lgkmcnt(0)
	s_barrier
	s_and_saveexec_b64 s[12:13], s[40:41]
	s_cbranch_execz .LBB166_279
; %bb.278:
	v_mov_b32_e32 v18, 0
	ds_read_b64 v[18:19], v18 offset:7288
	ds_read_b64 v[20:21], v4
	s_waitcnt lgkmcnt(0)
	v_mul_f32_e32 v22, v21, v19
	v_mul_f32_e32 v19, v20, v19
	v_fma_f32 v20, v20, v18, -v22
	v_fmac_f32_e32 v19, v21, v18
	v_add_f32_e32 v17, v17, v20
	v_add_f32_e32 v16, v16, v19
.LBB166_279:
	s_or_b64 exec, exec, s[12:13]
	s_barrier
	s_and_saveexec_b64 s[12:13], s[40:41]
	s_cbranch_execz .LBB166_281
; %bb.280:
	v_mov_b32_e32 v18, 0
	ds_read_b64 v[18:19], v18 offset:7800
	s_waitcnt lgkmcnt(0)
	v_mul_f32_e32 v21, v16, v19
	v_mul_f32_e32 v20, v17, v19
	v_fma_f32 v19, v17, v18, -v21
	v_fmac_f32_e32 v20, v16, v18
	v_mov_b32_e32 v17, v19
	v_mov_b32_e32 v16, v20
	ds_write_b64 v4, v[19:20]
.LBB166_281:
	s_or_b64 exec, exec, s[12:13]
	s_waitcnt lgkmcnt(0)
	s_barrier
	s_barrier
	s_and_saveexec_b64 s[12:13], s[6:7]
; %bb.282:
	v_xor_b32_e32 v18, 0x80000000, v16
	v_xor_b32_e32 v17, 0x80000000, v17
	ds_write_b64 v3, v[17:18] offset:6256
; %bb.283:
	s_or_b64 exec, exec, s[12:13]
	s_waitcnt lgkmcnt(0)
	s_barrier
	s_barrier
	s_and_saveexec_b64 s[12:13], vcc
	s_cbranch_execz .LBB166_285
; %bb.284:
	v_mov_b32_e32 v22, 0
	ds_read_b128 v[16:19], v22 offset:7280
	ds_read_b64 v[20:21], v22 offset:7800
	s_waitcnt lgkmcnt(0)
	v_mul_f32_e32 v23, v21, v17
	v_mul_f32_e32 v24, v20, v17
	v_fma_f32 v20, v20, v16, -v23
	v_fmac_f32_e32 v24, v21, v16
	v_mul_f32_e32 v16, v24, v19
	v_mul_f32_e32 v17, v20, v19
	v_fma_f32 v16, v20, v18, -v16
	v_fmac_f32_e32 v17, v24, v18
	ds_write_b64 v22, v[16:17] offset:7288
.LBB166_285:
	s_or_b64 exec, exec, s[12:13]
	v_lshrrev_b32_e32 v20, 4, v1
	v_and_b32_e32 v17, 15, v0
	s_movk_i32 s12, 0xff
	v_lshlrev_b32_e32 v19, 6, v20
	v_cmp_lt_u32_e64 s[14:15], s12, v1
	s_movk_i32 s12, 0x100
	v_or_b32_e32 v16, v19, v17
	v_cmp_gt_u32_e64 s[12:13], s12, v1
	v_lshlrev_b32_e32 v16, 3, v16
	v_mov_b32_e32 v21, 0
	v_mov_b32_e32 v22, 0
	s_waitcnt lgkmcnt(0)
	s_barrier
	s_and_saveexec_b64 s[20:21], s[12:13]
	s_cbranch_execz .LBB166_313
; %bb.286:
	v_mul_u32_u24_e32 v22, 0x208, v20
	ds_read_b64 v[23:24], v16 offset:128
	ds_read_b64 v[25:26], v22
	s_movk_i32 s16, 0xf0
	v_cmp_gt_u32_e64 s[16:17], s16, v1
	s_waitcnt lgkmcnt(0)
	v_mul_f32_e32 v18, v26, v24
	v_mul_f32_e32 v21, v25, v24
	v_fma_f32 v18, v25, v23, -v18
	v_fmac_f32_e32 v21, v26, v23
	v_add_f32_e32 v18, 0, v18
	v_add_f32_e32 v21, 0, v21
	s_and_saveexec_b64 s[22:23], s[16:17]
	s_cbranch_execz .LBB166_288
; %bb.287:
	v_lshlrev_b32_e32 v23, 3, v20
	v_sub_u32_e32 v23, v22, v23
	v_lshl_add_u32 v23, v17, 3, v23
	ds_read_b64 v[23:24], v23 offset:640
	ds_read_b64 v[25:26], v22 offset:8
	s_waitcnt lgkmcnt(0)
	v_mul_f32_e32 v27, v26, v24
	v_mul_f32_e32 v24, v25, v24
	v_fma_f32 v25, v25, v23, -v27
	v_fmac_f32_e32 v24, v26, v23
	v_add_f32_e32 v18, v18, v25
	v_add_f32_e32 v21, v21, v24
.LBB166_288:
	s_or_b64 exec, exec, s[22:23]
	s_movk_i32 s16, 0xe0
	v_cmp_gt_u32_e64 s[16:17], s16, v1
	s_and_saveexec_b64 s[22:23], s[16:17]
	s_cbranch_execz .LBB166_290
; %bb.289:
	v_lshlrev_b32_e32 v23, 3, v20
	v_sub_u32_e32 v23, v22, v23
	v_lshl_add_u32 v23, v17, 3, v23
	ds_read_b64 v[23:24], v23 offset:1152
	ds_read_b64 v[25:26], v22 offset:16
	s_waitcnt lgkmcnt(0)
	v_mul_f32_e32 v27, v26, v24
	v_mul_f32_e32 v24, v25, v24
	v_fma_f32 v25, v25, v23, -v27
	v_fmac_f32_e32 v24, v26, v23
	v_add_f32_e32 v18, v18, v25
	v_add_f32_e32 v21, v21, v24
.LBB166_290:
	s_or_b64 exec, exec, s[22:23]
	s_movk_i32 s16, 0xd0
	v_cmp_gt_u32_e64 s[16:17], s16, v1
	;; [unrolled: 19-line block ×7, first 2 shown]
	s_and_saveexec_b64 s[22:23], s[16:17]
	s_cbranch_execz .LBB166_302
; %bb.301:
	ds_read_b64 v[23:24], v16 offset:4224
	ds_read_b64 v[25:26], v22 offset:64
	s_waitcnt lgkmcnt(0)
	v_mul_f32_e32 v27, v26, v24
	v_mul_f32_e32 v24, v25, v24
	v_fma_f32 v25, v25, v23, -v27
	v_fmac_f32_e32 v24, v26, v23
	v_add_f32_e32 v18, v18, v25
	v_add_f32_e32 v21, v21, v24
.LBB166_302:
	s_or_b64 exec, exec, s[22:23]
	s_movk_i32 s16, 0x70
	v_cmp_gt_u32_e64 s[16:17], s16, v1
	s_and_saveexec_b64 s[22:23], s[16:17]
	s_cbranch_execz .LBB166_304
; %bb.303:
	v_lshlrev_b32_e32 v23, 3, v17
	v_lshl_add_u32 v23, v19, 3, v23
	ds_read_b64 v[23:24], v23 offset:4736
	ds_read_b64 v[25:26], v22 offset:72
	s_waitcnt lgkmcnt(0)
	v_mul_f32_e32 v27, v26, v24
	v_mul_f32_e32 v24, v25, v24
	v_fma_f32 v25, v25, v23, -v27
	v_fmac_f32_e32 v24, v26, v23
	v_add_f32_e32 v18, v18, v25
	v_add_f32_e32 v21, v21, v24
.LBB166_304:
	s_or_b64 exec, exec, s[22:23]
	s_movk_i32 s16, 0x60
	v_cmp_gt_u32_e64 s[16:17], s16, v1
	s_and_saveexec_b64 s[22:23], s[16:17]
	s_cbranch_execz .LBB166_306
; %bb.305:
	v_lshlrev_b32_e32 v23, 3, v17
	v_lshl_add_u32 v23, v19, 3, v23
	ds_read_b64 v[23:24], v23 offset:5248
	ds_read_b64 v[25:26], v22 offset:80
	s_waitcnt lgkmcnt(0)
	v_mul_f32_e32 v27, v26, v24
	v_mul_f32_e32 v24, v25, v24
	v_fma_f32 v25, v25, v23, -v27
	v_fmac_f32_e32 v24, v26, v23
	v_add_f32_e32 v18, v18, v25
	v_add_f32_e32 v21, v21, v24
.LBB166_306:
	s_or_b64 exec, exec, s[22:23]
	s_movk_i32 s16, 0x50
	v_cmp_gt_u32_e64 s[16:17], s16, v1
	s_and_saveexec_b64 s[22:23], s[16:17]
	s_cbranch_execnz .LBB166_1064
; %bb.307:
	s_or_b64 exec, exec, s[22:23]
	v_cmp_gt_u32_e64 s[16:17], 64, v1
	s_and_saveexec_b64 s[22:23], s[16:17]
	s_cbranch_execnz .LBB166_1065
.LBB166_308:
	s_or_b64 exec, exec, s[22:23]
	v_cmp_gt_u32_e64 s[16:17], 48, v1
	s_and_saveexec_b64 s[22:23], s[16:17]
	s_cbranch_execnz .LBB166_1066
.LBB166_309:
	s_or_b64 exec, exec, s[22:23]
	v_cmp_gt_u32_e64 s[16:17], 32, v1
	s_and_saveexec_b64 s[22:23], s[16:17]
	s_cbranch_execnz .LBB166_1067
.LBB166_310:
	s_or_b64 exec, exec, s[22:23]
	v_cmp_gt_u32_e64 s[16:17], 16, v1
	s_and_saveexec_b64 s[22:23], s[16:17]
	s_cbranch_execz .LBB166_312
.LBB166_311:
	v_lshlrev_b32_e32 v22, 3, v0
	v_mov_b32_e32 v24, 0
	ds_read_b64 v[22:23], v22 offset:7808
	ds_read_b64 v[24:25], v24 offset:120
	s_waitcnt lgkmcnt(0)
	v_mul_f32_e32 v26, v25, v23
	v_mul_f32_e32 v23, v24, v23
	v_fma_f32 v24, v24, v22, -v26
	v_fmac_f32_e32 v23, v25, v22
	v_add_f32_e32 v18, v18, v24
	v_add_f32_e32 v21, v21, v23
.LBB166_312:
	s_or_b64 exec, exec, s[22:23]
	v_xor_b32_e32 v22, 0x80000000, v18
	v_xor_b32_e32 v21, 0x80000000, v21
.LBB166_313:
	s_or_b64 exec, exec, s[20:21]
	v_mov_b32_e32 v18, 0x8000
	v_lshl_add_u32 v18, v20, 3, v18
	v_cmp_eq_u32_e64 s[16:17], 0, v17
	s_xor_b64 s[20:21], s[14:15], -1
	s_and_b64 s[16:17], s[16:17], s[20:21]
	s_mov_b64 s[14:15], exec
	v_writelane_b32 v34, s16, 3
	v_writelane_b32 v34, s17, 4
	s_and_b64 s[16:17], s[14:15], s[16:17]
	s_mov_b64 exec, s[16:17]
	s_cbranch_execz .LBB166_315
; %bb.314:
	v_mov_b32_e32 v23, 0
	ds_read_b64 v[23:24], v23 offset:8320
	s_waitcnt lgkmcnt(0)
	v_mul_f32_e32 v26, v21, v24
	v_mul_f32_e32 v25, v22, v24
	v_fma_f32 v24, v22, v23, -v26
	v_fmac_f32_e32 v25, v21, v23
	v_mov_b32_e32 v22, v24
	v_mov_b32_e32 v21, v25
	ds_write_b64 v18, v[24:25]
.LBB166_315:
	s_or_b64 exec, exec, s[14:15]
	v_cmp_ne_u32_e64 s[14:15], 0, v17
	s_waitcnt lgkmcnt(0)
	s_barrier
	s_and_b64 s[16:17], s[14:15], s[20:21]
	s_mov_b64 s[14:15], exec
	v_writelane_b32 v34, s16, 5
	v_writelane_b32 v34, s17, 6
	s_and_b64 s[16:17], s[14:15], s[16:17]
	s_mov_b64 exec, s[16:17]
	s_cbranch_execz .LBB166_317
; %bb.316:
	v_lshlrev_b32_e32 v23, 3, v17
	ds_read_b64 v[23:24], v23 offset:8320
	ds_read_b64 v[25:26], v18
	s_waitcnt lgkmcnt(0)
	v_mul_f32_e32 v27, v26, v24
	v_mul_f32_e32 v24, v25, v24
	v_fma_f32 v25, v25, v23, -v27
	v_fmac_f32_e32 v24, v26, v23
	v_add_f32_e32 v22, v22, v25
	v_add_f32_e32 v21, v21, v24
.LBB166_317:
	s_or_b64 exec, exec, s[14:15]
	v_cmp_eq_u32_e64 s[14:15], 1, v17
	s_barrier
	s_and_b64 s[16:17], s[14:15], s[20:21]
	s_mov_b64 s[14:15], exec
	v_writelane_b32 v34, s16, 7
	v_writelane_b32 v34, s17, 8
	s_and_b64 s[16:17], s[14:15], s[16:17]
	s_mov_b64 exec, s[16:17]
	s_cbranch_execz .LBB166_319
; %bb.318:
	v_mov_b32_e32 v23, 0
	ds_read_b64 v[23:24], v23 offset:8840
	s_waitcnt lgkmcnt(0)
	v_mul_f32_e32 v26, v21, v24
	v_mul_f32_e32 v25, v22, v24
	v_fma_f32 v24, v22, v23, -v26
	v_fmac_f32_e32 v25, v21, v23
	v_mov_b32_e32 v22, v24
	v_mov_b32_e32 v21, v25
	ds_write_b64 v18, v[24:25]
.LBB166_319:
	s_or_b64 exec, exec, s[14:15]
	v_cmp_lt_u32_e64 s[14:15], 1, v17
	s_waitcnt lgkmcnt(0)
	s_barrier
	s_and_b64 s[16:17], s[14:15], s[20:21]
	s_mov_b64 s[14:15], exec
	v_writelane_b32 v34, s16, 9
	v_writelane_b32 v34, s17, 10
	s_and_b64 s[16:17], s[14:15], s[16:17]
	s_mov_b64 exec, s[16:17]
	s_cbranch_execz .LBB166_321
; %bb.320:
	v_lshlrev_b32_e32 v23, 3, v17
	ds_read_b64 v[23:24], v23 offset:8832
	ds_read_b64 v[25:26], v18
	s_waitcnt lgkmcnt(0)
	v_mul_f32_e32 v27, v26, v24
	v_mul_f32_e32 v24, v25, v24
	v_fma_f32 v25, v25, v23, -v27
	v_fmac_f32_e32 v24, v26, v23
	v_add_f32_e32 v22, v22, v25
	v_add_f32_e32 v21, v21, v24
.LBB166_321:
	s_or_b64 exec, exec, s[14:15]
	v_cmp_eq_u32_e64 s[14:15], 2, v17
	s_barrier
	s_and_b64 s[16:17], s[14:15], s[20:21]
	s_mov_b64 s[14:15], exec
	v_writelane_b32 v34, s16, 11
	v_writelane_b32 v34, s17, 12
	s_and_b64 s[16:17], s[14:15], s[16:17]
	s_mov_b64 exec, s[16:17]
	s_cbranch_execz .LBB166_323
; %bb.322:
	v_mov_b32_e32 v23, 0
	ds_read_b64 v[23:24], v23 offset:9360
	s_waitcnt lgkmcnt(0)
	v_mul_f32_e32 v26, v21, v24
	v_mul_f32_e32 v25, v22, v24
	v_fma_f32 v24, v22, v23, -v26
	v_fmac_f32_e32 v25, v21, v23
	v_mov_b32_e32 v22, v24
	v_mov_b32_e32 v21, v25
	ds_write_b64 v18, v[24:25]
.LBB166_323:
	s_or_b64 exec, exec, s[14:15]
	v_cmp_lt_u32_e64 s[14:15], 2, v17
	;; [unrolled: 45-line block ×11, first 2 shown]
	s_and_b64 s[88:89], s[14:15], s[20:21]
	s_waitcnt lgkmcnt(0)
	s_barrier
	s_and_saveexec_b64 s[14:15], s[88:89]
	s_cbranch_execz .LBB166_361
; %bb.360:
	v_lshlrev_b32_e32 v23, 3, v17
	ds_read_b64 v[23:24], v23 offset:13952
	ds_read_b64 v[25:26], v18
	s_waitcnt lgkmcnt(0)
	v_mul_f32_e32 v27, v26, v24
	v_mul_f32_e32 v24, v25, v24
	v_fma_f32 v25, v25, v23, -v27
	v_fmac_f32_e32 v24, v26, v23
	v_add_f32_e32 v22, v22, v25
	v_add_f32_e32 v21, v21, v24
.LBB166_361:
	s_or_b64 exec, exec, s[14:15]
	v_cmp_eq_u32_e64 s[14:15], 12, v17
	s_and_b64 s[90:91], s[14:15], s[20:21]
	s_barrier
	s_and_saveexec_b64 s[14:15], s[90:91]
	s_cbranch_execz .LBB166_363
; %bb.362:
	v_mov_b32_e32 v23, 0
	ds_read_b64 v[23:24], v23 offset:14560
	s_waitcnt lgkmcnt(0)
	v_mul_f32_e32 v26, v21, v24
	v_mul_f32_e32 v25, v22, v24
	v_fma_f32 v24, v22, v23, -v26
	v_fmac_f32_e32 v25, v21, v23
	v_mov_b32_e32 v22, v24
	v_mov_b32_e32 v21, v25
	ds_write_b64 v18, v[24:25]
.LBB166_363:
	s_or_b64 exec, exec, s[14:15]
	v_cmp_lt_u32_e64 s[14:15], 12, v17
	s_and_b64 s[92:93], s[14:15], s[20:21]
	s_waitcnt lgkmcnt(0)
	s_barrier
	s_and_saveexec_b64 s[14:15], s[92:93]
	s_cbranch_execz .LBB166_365
; %bb.364:
	v_lshlrev_b32_e32 v23, 3, v17
	ds_read_b64 v[23:24], v23 offset:14464
	ds_read_b64 v[25:26], v18
	s_waitcnt lgkmcnt(0)
	v_mul_f32_e32 v27, v26, v24
	v_mul_f32_e32 v24, v25, v24
	v_fma_f32 v25, v25, v23, -v27
	v_fmac_f32_e32 v24, v26, v23
	v_add_f32_e32 v22, v22, v25
	v_add_f32_e32 v21, v21, v24
.LBB166_365:
	s_or_b64 exec, exec, s[14:15]
	v_cmp_eq_u32_e64 s[14:15], 13, v17
	s_and_b64 s[94:95], s[14:15], s[20:21]
	s_barrier
	s_and_saveexec_b64 s[14:15], s[94:95]
	s_cbranch_execz .LBB166_367
; %bb.366:
	v_mov_b32_e32 v23, 0
	ds_read_b64 v[23:24], v23 offset:15080
	s_waitcnt lgkmcnt(0)
	v_mul_f32_e32 v26, v21, v24
	v_mul_f32_e32 v25, v22, v24
	v_fma_f32 v24, v22, v23, -v26
	v_fmac_f32_e32 v25, v21, v23
	v_mov_b32_e32 v22, v24
	v_mov_b32_e32 v21, v25
	ds_write_b64 v18, v[24:25]
.LBB166_367:
	s_or_b64 exec, exec, s[14:15]
	v_cmp_lt_u32_e64 s[14:15], 13, v17
	s_and_b64 s[96:97], s[14:15], s[20:21]
	s_waitcnt lgkmcnt(0)
	s_barrier
	s_and_saveexec_b64 s[14:15], s[96:97]
	s_cbranch_execz .LBB166_369
; %bb.368:
	v_lshlrev_b32_e32 v23, 3, v17
	ds_read_b64 v[23:24], v23 offset:14976
	ds_read_b64 v[25:26], v18
	s_waitcnt lgkmcnt(0)
	v_mul_f32_e32 v27, v26, v24
	v_mul_f32_e32 v24, v25, v24
	v_fma_f32 v25, v25, v23, -v27
	v_fmac_f32_e32 v24, v26, v23
	v_add_f32_e32 v22, v22, v25
	v_add_f32_e32 v21, v21, v24
.LBB166_369:
	s_or_b64 exec, exec, s[14:15]
	v_cmp_eq_u32_e64 s[14:15], 14, v17
	s_and_b64 s[34:35], s[14:15], s[20:21]
	s_barrier
	s_and_saveexec_b64 s[14:15], s[34:35]
	s_cbranch_execz .LBB166_371
; %bb.370:
	v_mov_b32_e32 v23, 0
	ds_read_b64 v[23:24], v23 offset:15600
	s_waitcnt lgkmcnt(0)
	v_mul_f32_e32 v26, v21, v24
	v_mul_f32_e32 v25, v22, v24
	v_fma_f32 v24, v22, v23, -v26
	v_fmac_f32_e32 v25, v21, v23
	v_mov_b32_e32 v22, v24
	v_mov_b32_e32 v21, v25
	ds_write_b64 v18, v[24:25]
.LBB166_371:
	s_or_b64 exec, exec, s[14:15]
	v_cmp_eq_u32_e64 s[14:15], 15, v17
	s_and_b64 s[22:23], s[14:15], s[20:21]
	s_waitcnt lgkmcnt(0)
	s_barrier
	s_and_saveexec_b64 s[14:15], s[22:23]
	s_cbranch_execz .LBB166_373
; %bb.372:
	v_mov_b32_e32 v23, 0
	ds_read_b64 v[23:24], v23 offset:15608
	ds_read_b64 v[25:26], v18
	s_waitcnt lgkmcnt(0)
	v_mul_f32_e32 v27, v26, v24
	v_mul_f32_e32 v24, v25, v24
	v_fma_f32 v25, v25, v23, -v27
	v_fmac_f32_e32 v24, v26, v23
	v_add_f32_e32 v22, v22, v25
	v_add_f32_e32 v21, v21, v24
.LBB166_373:
	s_or_b64 exec, exec, s[14:15]
	s_barrier
	s_and_saveexec_b64 s[14:15], s[22:23]
	s_cbranch_execz .LBB166_375
; %bb.374:
	v_mov_b32_e32 v23, 0
	ds_read_b64 v[23:24], v23 offset:16120
	s_waitcnt lgkmcnt(0)
	v_mul_f32_e32 v26, v21, v24
	v_mul_f32_e32 v25, v22, v24
	v_fma_f32 v24, v22, v23, -v26
	v_fmac_f32_e32 v25, v21, v23
	v_mov_b32_e32 v22, v24
	v_mov_b32_e32 v21, v25
	ds_write_b64 v18, v[24:25]
.LBB166_375:
	s_or_b64 exec, exec, s[14:15]
	s_waitcnt lgkmcnt(0)
	s_barrier
	s_barrier
	s_and_saveexec_b64 s[14:15], s[12:13]
; %bb.376:
	v_xor_b32_e32 v22, 0x80000000, v22
	v_xor_b32_e32 v23, 0x80000000, v21
	ds_write_b64 v16, v[22:23] offset:128
; %bb.377:
	s_or_b64 exec, exec, s[14:15]
	s_waitcnt lgkmcnt(0)
	s_barrier
	s_barrier
	s_and_saveexec_b64 s[14:15], vcc
	s_cbranch_execz .LBB166_379
; %bb.378:
	v_mov_b32_e32 v27, 0
	ds_read_b128 v[21:24], v27 offset:8320
	ds_read_b64 v[25:26], v27 offset:8840
	s_waitcnt lgkmcnt(0)
	v_mul_f32_e32 v28, v26, v22
	v_mul_f32_e32 v29, v25, v22
	v_fma_f32 v25, v25, v21, -v28
	v_fmac_f32_e32 v29, v26, v21
	v_mul_f32_e32 v21, v29, v24
	v_mul_f32_e32 v22, v25, v24
	v_fma_f32 v21, v25, v23, -v21
	v_fmac_f32_e32 v22, v29, v23
	ds_write_b64 v27, v[21:22] offset:8328
.LBB166_379:
	s_or_b64 exec, exec, s[14:15]
	v_mov_b32_e32 v21, 0
	v_mov_b32_e32 v22, 0
	s_waitcnt lgkmcnt(0)
	s_barrier
	s_and_saveexec_b64 s[16:17], s[6:7]
	s_cbranch_execz .LBB166_383
; %bb.380:
	v_mul_u32_u24_e32 v23, 0x208, v5
	ds_read_b64 v[21:22], v3 offset:8336
	ds_read_b64 v[23:24], v23 offset:8320
	v_cmp_gt_u32_e64 s[14:15], 2, v1
	s_waitcnt lgkmcnt(0)
	v_mul_f32_e32 v25, v24, v22
	v_mul_f32_e32 v22, v23, v22
	v_fma_f32 v23, v23, v21, -v25
	v_fmac_f32_e32 v22, v24, v21
	v_add_f32_e32 v21, 0, v23
	v_add_f32_e32 v23, 0, v22
	s_and_saveexec_b64 s[20:21], s[14:15]
	s_cbranch_execz .LBB166_382
; %bb.381:
	v_lshlrev_b32_e32 v22, 3, v0
	v_mov_b32_e32 v26, 0
	ds_read_b64 v[24:25], v22 offset:8848
	ds_read_b64 v[26:27], v26 offset:8328
	s_waitcnt lgkmcnt(0)
	v_mul_f32_e32 v22, v27, v25
	v_mul_f32_e32 v25, v26, v25
	v_fma_f32 v22, v26, v24, -v22
	v_fmac_f32_e32 v25, v27, v24
	v_add_f32_e32 v21, v21, v22
	v_add_f32_e32 v23, v23, v25
.LBB166_382:
	s_or_b64 exec, exec, s[20:21]
	v_xor_b32_e32 v22, 0x80000000, v21
	v_xor_b32_e32 v21, 0x80000000, v23
.LBB166_383:
	s_or_b64 exec, exec, s[16:17]
	s_and_saveexec_b64 s[14:15], s[42:43]
	s_cbranch_execz .LBB166_385
; %bb.384:
	v_mov_b32_e32 v23, 0
	ds_read_b64 v[23:24], v23 offset:9360
	s_waitcnt lgkmcnt(0)
	v_mul_f32_e32 v26, v21, v24
	v_mul_f32_e32 v25, v22, v24
	v_fma_f32 v24, v22, v23, -v26
	v_fmac_f32_e32 v25, v21, v23
	v_mov_b32_e32 v22, v24
	v_mov_b32_e32 v21, v25
	ds_write_b64 v4, v[24:25]
.LBB166_385:
	s_or_b64 exec, exec, s[14:15]
	s_waitcnt lgkmcnt(0)
	s_barrier
	s_and_saveexec_b64 s[14:15], s[40:41]
	s_cbranch_execz .LBB166_387
; %bb.386:
	v_mov_b32_e32 v23, 0
	ds_read_b64 v[23:24], v23 offset:9368
	ds_read_b64 v[25:26], v4
	s_waitcnt lgkmcnt(0)
	v_mul_f32_e32 v27, v26, v24
	v_mul_f32_e32 v24, v25, v24
	v_fma_f32 v25, v25, v23, -v27
	v_fmac_f32_e32 v24, v26, v23
	v_add_f32_e32 v22, v22, v25
	v_add_f32_e32 v21, v21, v24
.LBB166_387:
	s_or_b64 exec, exec, s[14:15]
	s_barrier
	s_and_saveexec_b64 s[14:15], s[40:41]
	s_cbranch_execz .LBB166_389
; %bb.388:
	v_mov_b32_e32 v23, 0
	ds_read_b64 v[23:24], v23 offset:9880
	s_waitcnt lgkmcnt(0)
	v_mul_f32_e32 v26, v21, v24
	v_mul_f32_e32 v25, v22, v24
	v_fma_f32 v24, v22, v23, -v26
	v_fmac_f32_e32 v25, v21, v23
	v_mov_b32_e32 v22, v24
	v_mov_b32_e32 v21, v25
	ds_write_b64 v4, v[24:25]
.LBB166_389:
	s_or_b64 exec, exec, s[14:15]
	s_waitcnt lgkmcnt(0)
	s_barrier
	s_barrier
	s_and_saveexec_b64 s[14:15], s[6:7]
; %bb.390:
	v_xor_b32_e32 v23, 0x80000000, v21
	v_xor_b32_e32 v22, 0x80000000, v22
	ds_write_b64 v3, v[22:23] offset:8336
; %bb.391:
	s_or_b64 exec, exec, s[14:15]
	s_waitcnt lgkmcnt(0)
	s_barrier
	s_barrier
	s_and_saveexec_b64 s[14:15], vcc
	s_cbranch_execz .LBB166_393
; %bb.392:
	v_mov_b32_e32 v27, 0
	ds_read_b128 v[21:24], v27 offset:9360
	ds_read_b64 v[25:26], v27 offset:9880
	s_waitcnt lgkmcnt(0)
	v_mul_f32_e32 v28, v26, v22
	v_mul_f32_e32 v29, v25, v22
	v_fma_f32 v25, v25, v21, -v28
	v_fmac_f32_e32 v29, v26, v21
	v_mul_f32_e32 v21, v29, v24
	v_mul_f32_e32 v22, v25, v24
	v_fma_f32 v21, v25, v23, -v21
	v_fmac_f32_e32 v22, v29, v23
	ds_write_b64 v27, v[21:22] offset:9368
.LBB166_393:
	s_or_b64 exec, exec, s[14:15]
	v_mov_b32_e32 v21, 0
	v_mov_b32_e32 v22, 0
	s_waitcnt lgkmcnt(0)
	s_barrier
	s_and_saveexec_b64 s[16:17], s[18:19]
	s_cbranch_execz .LBB166_399
; %bb.394:
	v_mul_u32_u24_e32 v22, 0x208, v10
	ds_read_b64 v[23:24], v6 offset:8352
	ds_read_b64 v[25:26], v22 offset:8320
	v_cmp_gt_u32_e64 s[14:15], 12, v1
	s_waitcnt lgkmcnt(0)
	v_mul_f32_e32 v21, v26, v24
	v_mul_f32_e32 v24, v25, v24
	v_fma_f32 v21, v25, v23, -v21
	v_fmac_f32_e32 v24, v26, v23
	v_add_f32_e32 v21, 0, v21
	v_add_f32_e32 v23, 0, v24
	s_and_saveexec_b64 s[20:21], s[14:15]
	s_cbranch_execnz .LBB166_1068
; %bb.395:
	s_or_b64 exec, exec, s[20:21]
	v_cmp_gt_u32_e64 s[14:15], 8, v1
	s_and_saveexec_b64 s[20:21], s[14:15]
	s_cbranch_execnz .LBB166_1069
.LBB166_396:
	s_or_b64 exec, exec, s[20:21]
	v_cmp_gt_u32_e64 s[14:15], 4, v1
	s_and_saveexec_b64 s[20:21], s[14:15]
	s_cbranch_execz .LBB166_398
.LBB166_397:
	v_lshlrev_b32_e32 v22, 3, v0
	v_mov_b32_e32 v26, 0
	ds_read_b64 v[24:25], v22 offset:9888
	ds_read_b64 v[26:27], v26 offset:8344
	s_waitcnt lgkmcnt(0)
	v_mul_f32_e32 v22, v27, v25
	v_mul_f32_e32 v25, v26, v25
	v_fma_f32 v22, v26, v24, -v22
	v_fmac_f32_e32 v25, v27, v24
	v_add_f32_e32 v21, v21, v22
	v_add_f32_e32 v23, v23, v25
.LBB166_398:
	s_or_b64 exec, exec, s[20:21]
	v_xor_b32_e32 v22, 0x80000000, v21
	v_xor_b32_e32 v21, 0x80000000, v23
.LBB166_399:
	s_or_b64 exec, exec, s[16:17]
	s_and_saveexec_b64 s[14:15], s[46:47]
	s_cbranch_execz .LBB166_401
; %bb.400:
	v_mov_b32_e32 v23, 0
	ds_read_b64 v[23:24], v23 offset:10400
	s_waitcnt lgkmcnt(0)
	v_mul_f32_e32 v26, v21, v24
	v_mul_f32_e32 v25, v22, v24
	v_fma_f32 v24, v22, v23, -v26
	v_fmac_f32_e32 v25, v21, v23
	v_mov_b32_e32 v22, v24
	v_mov_b32_e32 v21, v25
	ds_write_b64 v8, v[24:25]
.LBB166_401:
	s_or_b64 exec, exec, s[14:15]
	s_waitcnt lgkmcnt(0)
	s_barrier
	s_and_saveexec_b64 s[14:15], s[48:49]
	s_cbranch_execz .LBB166_403
; %bb.402:
	ds_read_b64 v[23:24], v7 offset:10400
	ds_read_b64 v[25:26], v8
	s_waitcnt lgkmcnt(0)
	v_mul_f32_e32 v27, v26, v24
	v_mul_f32_e32 v24, v25, v24
	v_fma_f32 v25, v25, v23, -v27
	v_fmac_f32_e32 v24, v26, v23
	v_add_f32_e32 v22, v22, v25
	v_add_f32_e32 v21, v21, v24
.LBB166_403:
	s_or_b64 exec, exec, s[14:15]
	s_barrier
	s_and_saveexec_b64 s[14:15], s[50:51]
	s_cbranch_execz .LBB166_405
; %bb.404:
	v_mov_b32_e32 v23, 0
	ds_read_b64 v[23:24], v23 offset:10920
	s_waitcnt lgkmcnt(0)
	v_mul_f32_e32 v26, v21, v24
	v_mul_f32_e32 v25, v22, v24
	v_fma_f32 v24, v22, v23, -v26
	v_fmac_f32_e32 v25, v21, v23
	v_mov_b32_e32 v22, v24
	v_mov_b32_e32 v21, v25
	ds_write_b64 v8, v[24:25]
.LBB166_405:
	s_or_b64 exec, exec, s[14:15]
	s_waitcnt lgkmcnt(0)
	s_barrier
	s_and_saveexec_b64 s[14:15], s[52:53]
	s_cbranch_execz .LBB166_407
; %bb.406:
	ds_read_b64 v[23:24], v7 offset:10912
	ds_read_b64 v[25:26], v8
	s_waitcnt lgkmcnt(0)
	v_mul_f32_e32 v27, v26, v24
	v_mul_f32_e32 v24, v25, v24
	v_fma_f32 v25, v25, v23, -v27
	v_fmac_f32_e32 v24, v26, v23
	v_add_f32_e32 v22, v22, v25
	v_add_f32_e32 v21, v21, v24
.LBB166_407:
	s_or_b64 exec, exec, s[14:15]
	s_barrier
	s_and_saveexec_b64 s[14:15], s[54:55]
	s_cbranch_execz .LBB166_409
; %bb.408:
	v_mov_b32_e32 v23, 0
	ds_read_b64 v[23:24], v23 offset:11440
	s_waitcnt lgkmcnt(0)
	v_mul_f32_e32 v26, v21, v24
	v_mul_f32_e32 v25, v22, v24
	v_fma_f32 v24, v22, v23, -v26
	v_fmac_f32_e32 v25, v21, v23
	v_mov_b32_e32 v22, v24
	v_mov_b32_e32 v21, v25
	ds_write_b64 v8, v[24:25]
.LBB166_409:
	s_or_b64 exec, exec, s[14:15]
	s_waitcnt lgkmcnt(0)
	s_barrier
	s_and_saveexec_b64 s[14:15], s[44:45]
	s_cbranch_execz .LBB166_411
; %bb.410:
	v_mov_b32_e32 v23, 0
	ds_read_b64 v[23:24], v23 offset:11448
	ds_read_b64 v[25:26], v8
	s_waitcnt lgkmcnt(0)
	v_mul_f32_e32 v27, v26, v24
	v_mul_f32_e32 v24, v25, v24
	v_fma_f32 v25, v25, v23, -v27
	v_fmac_f32_e32 v24, v26, v23
	v_add_f32_e32 v22, v22, v25
	v_add_f32_e32 v21, v21, v24
.LBB166_411:
	s_or_b64 exec, exec, s[14:15]
	s_barrier
	s_and_saveexec_b64 s[14:15], s[44:45]
	s_cbranch_execz .LBB166_413
; %bb.412:
	v_mov_b32_e32 v23, 0
	ds_read_b64 v[23:24], v23 offset:11960
	s_waitcnt lgkmcnt(0)
	v_mul_f32_e32 v26, v21, v24
	v_mul_f32_e32 v25, v22, v24
	v_fma_f32 v24, v22, v23, -v26
	v_fmac_f32_e32 v25, v21, v23
	v_mov_b32_e32 v22, v24
	v_mov_b32_e32 v21, v25
	ds_write_b64 v8, v[24:25]
.LBB166_413:
	s_or_b64 exec, exec, s[14:15]
	s_waitcnt lgkmcnt(0)
	s_barrier
	s_barrier
	s_and_saveexec_b64 s[14:15], s[18:19]
; %bb.414:
	v_xor_b32_e32 v22, 0x80000000, v22
	v_xor_b32_e32 v23, 0x80000000, v21
	ds_write_b64 v6, v[22:23] offset:8352
; %bb.415:
	s_or_b64 exec, exec, s[14:15]
	s_waitcnt lgkmcnt(0)
	s_barrier
	s_barrier
	s_and_saveexec_b64 s[14:15], vcc
	s_cbranch_execz .LBB166_417
; %bb.416:
	v_mov_b32_e32 v27, 0
	ds_read_b128 v[21:24], v27 offset:10400
	ds_read_b64 v[25:26], v27 offset:10920
	s_waitcnt lgkmcnt(0)
	v_mul_f32_e32 v28, v26, v22
	v_mul_f32_e32 v29, v25, v22
	v_fma_f32 v25, v25, v21, -v28
	v_fmac_f32_e32 v29, v26, v21
	v_mul_f32_e32 v21, v29, v24
	v_mul_f32_e32 v22, v25, v24
	v_fma_f32 v21, v25, v23, -v21
	v_fmac_f32_e32 v22, v29, v23
	ds_write_b64 v27, v[21:22] offset:10408
.LBB166_417:
	s_or_b64 exec, exec, s[14:15]
	v_mov_b32_e32 v21, 0
	v_mov_b32_e32 v22, 0
	s_waitcnt lgkmcnt(0)
	s_barrier
	s_and_saveexec_b64 s[16:17], s[6:7]
	s_cbranch_execz .LBB166_421
; %bb.418:
	v_mul_u32_u24_e32 v23, 0x208, v5
	ds_read_b64 v[21:22], v3 offset:10416
	ds_read_b64 v[23:24], v23 offset:10400
	v_cmp_gt_u32_e64 s[14:15], 2, v1
	s_waitcnt lgkmcnt(0)
	v_mul_f32_e32 v25, v24, v22
	v_mul_f32_e32 v22, v23, v22
	v_fma_f32 v23, v23, v21, -v25
	v_fmac_f32_e32 v22, v24, v21
	v_add_f32_e32 v21, 0, v23
	v_add_f32_e32 v23, 0, v22
	s_and_saveexec_b64 s[20:21], s[14:15]
	s_cbranch_execz .LBB166_420
; %bb.419:
	v_lshlrev_b32_e32 v22, 3, v0
	v_mov_b32_e32 v26, 0
	ds_read_b64 v[24:25], v22 offset:10928
	ds_read_b64 v[26:27], v26 offset:10408
	s_waitcnt lgkmcnt(0)
	v_mul_f32_e32 v22, v27, v25
	v_mul_f32_e32 v25, v26, v25
	v_fma_f32 v22, v26, v24, -v22
	v_fmac_f32_e32 v25, v27, v24
	v_add_f32_e32 v21, v21, v22
	v_add_f32_e32 v23, v23, v25
.LBB166_420:
	s_or_b64 exec, exec, s[20:21]
	v_xor_b32_e32 v22, 0x80000000, v21
	v_xor_b32_e32 v21, 0x80000000, v23
.LBB166_421:
	s_or_b64 exec, exec, s[16:17]
	s_and_saveexec_b64 s[14:15], s[42:43]
	s_cbranch_execz .LBB166_423
; %bb.422:
	v_mov_b32_e32 v23, 0
	ds_read_b64 v[23:24], v23 offset:11440
	s_waitcnt lgkmcnt(0)
	v_mul_f32_e32 v26, v21, v24
	v_mul_f32_e32 v25, v22, v24
	v_fma_f32 v24, v22, v23, -v26
	v_fmac_f32_e32 v25, v21, v23
	v_mov_b32_e32 v22, v24
	v_mov_b32_e32 v21, v25
	ds_write_b64 v4, v[24:25]
.LBB166_423:
	s_or_b64 exec, exec, s[14:15]
	s_waitcnt lgkmcnt(0)
	s_barrier
	s_and_saveexec_b64 s[14:15], s[40:41]
	s_cbranch_execz .LBB166_425
; %bb.424:
	v_mov_b32_e32 v23, 0
	ds_read_b64 v[23:24], v23 offset:11448
	ds_read_b64 v[25:26], v4
	s_waitcnt lgkmcnt(0)
	v_mul_f32_e32 v27, v26, v24
	v_mul_f32_e32 v24, v25, v24
	v_fma_f32 v25, v25, v23, -v27
	v_fmac_f32_e32 v24, v26, v23
	v_add_f32_e32 v22, v22, v25
	v_add_f32_e32 v21, v21, v24
.LBB166_425:
	s_or_b64 exec, exec, s[14:15]
	s_barrier
	s_and_saveexec_b64 s[14:15], s[40:41]
	s_cbranch_execz .LBB166_427
; %bb.426:
	v_mov_b32_e32 v23, 0
	ds_read_b64 v[23:24], v23 offset:11960
	s_waitcnt lgkmcnt(0)
	v_mul_f32_e32 v26, v21, v24
	v_mul_f32_e32 v25, v22, v24
	v_fma_f32 v24, v22, v23, -v26
	v_fmac_f32_e32 v25, v21, v23
	v_mov_b32_e32 v22, v24
	v_mov_b32_e32 v21, v25
	ds_write_b64 v4, v[24:25]
.LBB166_427:
	s_or_b64 exec, exec, s[14:15]
	s_waitcnt lgkmcnt(0)
	s_barrier
	s_barrier
	s_and_saveexec_b64 s[14:15], s[6:7]
; %bb.428:
	v_xor_b32_e32 v23, 0x80000000, v21
	v_xor_b32_e32 v22, 0x80000000, v22
	ds_write_b64 v3, v[22:23] offset:10416
; %bb.429:
	s_or_b64 exec, exec, s[14:15]
	s_waitcnt lgkmcnt(0)
	s_barrier
	s_barrier
	s_and_saveexec_b64 s[14:15], vcc
	s_cbranch_execz .LBB166_431
; %bb.430:
	v_mov_b32_e32 v27, 0
	ds_read_b128 v[21:24], v27 offset:11440
	ds_read_b64 v[25:26], v27 offset:11960
	s_waitcnt lgkmcnt(0)
	v_mul_f32_e32 v28, v26, v22
	v_mul_f32_e32 v29, v25, v22
	v_fma_f32 v25, v25, v21, -v28
	v_fmac_f32_e32 v29, v26, v21
	v_mul_f32_e32 v21, v29, v24
	v_mul_f32_e32 v22, v25, v24
	v_fma_f32 v21, v25, v23, -v21
	v_fmac_f32_e32 v22, v29, v23
	ds_write_b64 v27, v[21:22] offset:11448
.LBB166_431:
	s_or_b64 exec, exec, s[14:15]
	v_mov_b32_e32 v21, 0
	v_mov_b32_e32 v22, 0
	s_waitcnt lgkmcnt(0)
	s_barrier
	s_and_saveexec_b64 s[16:17], s[10:11]
	s_cbranch_execz .LBB166_441
; %bb.432:
	v_mul_u32_u24_e32 v22, 0x208, v15
	ds_read_b64 v[23:24], v11 offset:8384
	ds_read_b64 v[25:26], v22 offset:8320
	v_cmp_gt_u32_e64 s[14:15], 56, v1
	s_waitcnt lgkmcnt(0)
	v_mul_f32_e32 v21, v26, v24
	v_mul_f32_e32 v24, v25, v24
	v_fma_f32 v21, v25, v23, -v21
	v_fmac_f32_e32 v24, v26, v23
	v_add_f32_e32 v21, 0, v21
	v_add_f32_e32 v23, 0, v24
	s_and_saveexec_b64 s[20:21], s[14:15]
	s_cbranch_execnz .LBB166_1070
; %bb.433:
	s_or_b64 exec, exec, s[20:21]
	v_cmp_gt_u32_e64 s[14:15], 48, v1
	s_and_saveexec_b64 s[20:21], s[14:15]
	s_cbranch_execnz .LBB166_1071
.LBB166_434:
	s_or_b64 exec, exec, s[20:21]
	v_cmp_gt_u32_e64 s[14:15], 40, v1
	s_and_saveexec_b64 s[20:21], s[14:15]
	s_cbranch_execnz .LBB166_1072
.LBB166_435:
	s_or_b64 exec, exec, s[20:21]
	v_cmp_gt_u32_e64 s[14:15], 32, v1
	s_and_saveexec_b64 s[20:21], s[14:15]
	s_cbranch_execnz .LBB166_1073
.LBB166_436:
	s_or_b64 exec, exec, s[20:21]
	v_cmp_gt_u32_e64 s[14:15], 24, v1
	s_and_saveexec_b64 s[20:21], s[14:15]
	s_cbranch_execnz .LBB166_1074
.LBB166_437:
	s_or_b64 exec, exec, s[20:21]
	v_cmp_gt_u32_e64 s[14:15], 16, v1
	s_and_saveexec_b64 s[20:21], s[14:15]
	s_cbranch_execnz .LBB166_1075
.LBB166_438:
	s_or_b64 exec, exec, s[20:21]
	v_cmp_gt_u32_e64 s[14:15], 8, v1
	s_and_saveexec_b64 s[20:21], s[14:15]
	s_cbranch_execz .LBB166_440
.LBB166_439:
	v_lshlrev_b32_e32 v22, 3, v0
	v_mov_b32_e32 v26, 0
	ds_read_b64 v[24:25], v22 offset:11968
	ds_read_b64 v[26:27], v26 offset:8376
	s_waitcnt lgkmcnt(0)
	v_mul_f32_e32 v22, v27, v25
	v_mul_f32_e32 v25, v26, v25
	v_fma_f32 v22, v26, v24, -v22
	v_fmac_f32_e32 v25, v27, v24
	v_add_f32_e32 v21, v21, v22
	v_add_f32_e32 v23, v23, v25
.LBB166_440:
	s_or_b64 exec, exec, s[20:21]
	v_xor_b32_e32 v22, 0x80000000, v21
	v_xor_b32_e32 v21, 0x80000000, v23
.LBB166_441:
	s_or_b64 exec, exec, s[16:17]
	s_and_saveexec_b64 s[14:15], s[58:59]
	s_cbranch_execz .LBB166_443
; %bb.442:
	v_mov_b32_e32 v23, 0
	ds_read_b64 v[23:24], v23 offset:12480
	s_waitcnt lgkmcnt(0)
	v_mul_f32_e32 v26, v21, v24
	v_mul_f32_e32 v25, v22, v24
	v_fma_f32 v24, v22, v23, -v26
	v_fmac_f32_e32 v25, v21, v23
	v_mov_b32_e32 v22, v24
	v_mov_b32_e32 v21, v25
	ds_write_b64 v13, v[24:25]
.LBB166_443:
	s_or_b64 exec, exec, s[14:15]
	s_waitcnt lgkmcnt(0)
	s_barrier
	s_and_saveexec_b64 s[14:15], s[60:61]
	s_cbranch_execz .LBB166_445
; %bb.444:
	ds_read_b64 v[23:24], v12 offset:12480
	ds_read_b64 v[25:26], v13
	s_waitcnt lgkmcnt(0)
	v_mul_f32_e32 v27, v26, v24
	v_mul_f32_e32 v24, v25, v24
	v_fma_f32 v25, v25, v23, -v27
	v_fmac_f32_e32 v24, v26, v23
	v_add_f32_e32 v22, v22, v25
	v_add_f32_e32 v21, v21, v24
.LBB166_445:
	s_or_b64 exec, exec, s[14:15]
	s_barrier
	s_and_saveexec_b64 s[14:15], s[62:63]
	s_cbranch_execz .LBB166_447
; %bb.446:
	v_mov_b32_e32 v23, 0
	ds_read_b64 v[23:24], v23 offset:13000
	s_waitcnt lgkmcnt(0)
	v_mul_f32_e32 v26, v21, v24
	v_mul_f32_e32 v25, v22, v24
	v_fma_f32 v24, v22, v23, -v26
	v_fmac_f32_e32 v25, v21, v23
	v_mov_b32_e32 v22, v24
	v_mov_b32_e32 v21, v25
	ds_write_b64 v13, v[24:25]
.LBB166_447:
	s_or_b64 exec, exec, s[14:15]
	s_waitcnt lgkmcnt(0)
	s_barrier
	s_and_saveexec_b64 s[14:15], s[64:65]
	s_cbranch_execz .LBB166_449
; %bb.448:
	ds_read_b64 v[23:24], v12 offset:12992
	ds_read_b64 v[25:26], v13
	s_waitcnt lgkmcnt(0)
	v_mul_f32_e32 v27, v26, v24
	v_mul_f32_e32 v24, v25, v24
	v_fma_f32 v25, v25, v23, -v27
	v_fmac_f32_e32 v24, v26, v23
	v_add_f32_e32 v22, v22, v25
	v_add_f32_e32 v21, v21, v24
.LBB166_449:
	s_or_b64 exec, exec, s[14:15]
	s_barrier
	;; [unrolled: 32-line block ×6, first 2 shown]
	s_and_saveexec_b64 s[14:15], s[82:83]
	s_cbranch_execz .LBB166_467
; %bb.466:
	v_mov_b32_e32 v23, 0
	ds_read_b64 v[23:24], v23 offset:15600
	s_waitcnt lgkmcnt(0)
	v_mul_f32_e32 v26, v21, v24
	v_mul_f32_e32 v25, v22, v24
	v_fma_f32 v24, v22, v23, -v26
	v_fmac_f32_e32 v25, v21, v23
	v_mov_b32_e32 v22, v24
	v_mov_b32_e32 v21, v25
	ds_write_b64 v13, v[24:25]
.LBB166_467:
	s_or_b64 exec, exec, s[14:15]
	s_waitcnt lgkmcnt(0)
	s_barrier
	s_and_saveexec_b64 s[14:15], s[56:57]
	s_cbranch_execz .LBB166_469
; %bb.468:
	v_mov_b32_e32 v23, 0
	ds_read_b64 v[23:24], v23 offset:15608
	ds_read_b64 v[25:26], v13
	s_waitcnt lgkmcnt(0)
	v_mul_f32_e32 v27, v26, v24
	v_mul_f32_e32 v24, v25, v24
	v_fma_f32 v25, v25, v23, -v27
	v_fmac_f32_e32 v24, v26, v23
	v_add_f32_e32 v22, v22, v25
	v_add_f32_e32 v21, v21, v24
.LBB166_469:
	s_or_b64 exec, exec, s[14:15]
	s_barrier
	s_and_saveexec_b64 s[14:15], s[56:57]
	s_cbranch_execz .LBB166_471
; %bb.470:
	v_mov_b32_e32 v23, 0
	ds_read_b64 v[23:24], v23 offset:16120
	s_waitcnt lgkmcnt(0)
	v_mul_f32_e32 v26, v21, v24
	v_mul_f32_e32 v25, v22, v24
	v_fma_f32 v24, v22, v23, -v26
	v_fmac_f32_e32 v25, v21, v23
	v_mov_b32_e32 v22, v24
	v_mov_b32_e32 v21, v25
	ds_write_b64 v13, v[24:25]
.LBB166_471:
	s_or_b64 exec, exec, s[14:15]
	s_waitcnt lgkmcnt(0)
	s_barrier
	s_barrier
	s_and_saveexec_b64 s[14:15], s[10:11]
; %bb.472:
	v_xor_b32_e32 v23, 0x80000000, v21
	v_xor_b32_e32 v22, 0x80000000, v22
	ds_write_b64 v11, v[22:23] offset:8384
; %bb.473:
	s_or_b64 exec, exec, s[14:15]
	s_waitcnt lgkmcnt(0)
	s_barrier
	s_barrier
	s_and_saveexec_b64 s[14:15], vcc
	s_cbranch_execz .LBB166_475
; %bb.474:
	v_mov_b32_e32 v27, 0
	ds_read_b128 v[21:24], v27 offset:12480
	ds_read_b64 v[25:26], v27 offset:13000
	s_waitcnt lgkmcnt(0)
	v_mul_f32_e32 v28, v26, v22
	v_mul_f32_e32 v29, v25, v22
	v_fma_f32 v25, v25, v21, -v28
	v_fmac_f32_e32 v29, v26, v21
	v_mul_f32_e32 v21, v29, v24
	v_mul_f32_e32 v22, v25, v24
	v_fma_f32 v21, v25, v23, -v21
	v_fmac_f32_e32 v22, v29, v23
	ds_write_b64 v27, v[21:22] offset:12488
.LBB166_475:
	s_or_b64 exec, exec, s[14:15]
	v_mov_b32_e32 v21, 0
	v_mov_b32_e32 v22, 0
	s_waitcnt lgkmcnt(0)
	s_barrier
	s_and_saveexec_b64 s[16:17], s[6:7]
	s_cbranch_execz .LBB166_479
; %bb.476:
	v_mul_u32_u24_e32 v23, 0x208, v5
	ds_read_b64 v[21:22], v3 offset:12496
	ds_read_b64 v[23:24], v23 offset:12480
	v_cmp_gt_u32_e64 s[14:15], 2, v1
	s_waitcnt lgkmcnt(0)
	v_mul_f32_e32 v25, v24, v22
	v_mul_f32_e32 v22, v23, v22
	v_fma_f32 v23, v23, v21, -v25
	v_fmac_f32_e32 v22, v24, v21
	v_add_f32_e32 v21, 0, v23
	v_add_f32_e32 v23, 0, v22
	s_and_saveexec_b64 s[20:21], s[14:15]
	s_cbranch_execz .LBB166_478
; %bb.477:
	v_lshlrev_b32_e32 v22, 3, v0
	v_mov_b32_e32 v26, 0
	ds_read_b64 v[24:25], v22 offset:13008
	ds_read_b64 v[26:27], v26 offset:12488
	s_waitcnt lgkmcnt(0)
	v_mul_f32_e32 v22, v27, v25
	v_mul_f32_e32 v25, v26, v25
	v_fma_f32 v22, v26, v24, -v22
	v_fmac_f32_e32 v25, v27, v24
	v_add_f32_e32 v21, v21, v22
	v_add_f32_e32 v23, v23, v25
.LBB166_478:
	s_or_b64 exec, exec, s[20:21]
	v_xor_b32_e32 v22, 0x80000000, v21
	v_xor_b32_e32 v21, 0x80000000, v23
.LBB166_479:
	s_or_b64 exec, exec, s[16:17]
	s_and_saveexec_b64 s[14:15], s[42:43]
	s_cbranch_execz .LBB166_481
; %bb.480:
	v_mov_b32_e32 v23, 0
	ds_read_b64 v[23:24], v23 offset:13520
	s_waitcnt lgkmcnt(0)
	v_mul_f32_e32 v26, v21, v24
	v_mul_f32_e32 v25, v22, v24
	v_fma_f32 v24, v22, v23, -v26
	v_fmac_f32_e32 v25, v21, v23
	v_mov_b32_e32 v22, v24
	v_mov_b32_e32 v21, v25
	ds_write_b64 v4, v[24:25]
.LBB166_481:
	s_or_b64 exec, exec, s[14:15]
	s_waitcnt lgkmcnt(0)
	s_barrier
	s_and_saveexec_b64 s[14:15], s[40:41]
	s_cbranch_execz .LBB166_483
; %bb.482:
	v_mov_b32_e32 v23, 0
	ds_read_b64 v[23:24], v23 offset:13528
	ds_read_b64 v[25:26], v4
	s_waitcnt lgkmcnt(0)
	v_mul_f32_e32 v27, v26, v24
	v_mul_f32_e32 v24, v25, v24
	v_fma_f32 v25, v25, v23, -v27
	v_fmac_f32_e32 v24, v26, v23
	v_add_f32_e32 v22, v22, v25
	v_add_f32_e32 v21, v21, v24
.LBB166_483:
	s_or_b64 exec, exec, s[14:15]
	s_barrier
	s_and_saveexec_b64 s[14:15], s[40:41]
	s_cbranch_execz .LBB166_485
; %bb.484:
	v_mov_b32_e32 v23, 0
	ds_read_b64 v[23:24], v23 offset:14040
	s_waitcnt lgkmcnt(0)
	v_mul_f32_e32 v26, v21, v24
	v_mul_f32_e32 v25, v22, v24
	v_fma_f32 v24, v22, v23, -v26
	v_fmac_f32_e32 v25, v21, v23
	v_mov_b32_e32 v22, v24
	v_mov_b32_e32 v21, v25
	ds_write_b64 v4, v[24:25]
.LBB166_485:
	s_or_b64 exec, exec, s[14:15]
	s_waitcnt lgkmcnt(0)
	s_barrier
	s_barrier
	s_and_saveexec_b64 s[14:15], s[6:7]
; %bb.486:
	v_xor_b32_e32 v23, 0x80000000, v21
	v_xor_b32_e32 v22, 0x80000000, v22
	ds_write_b64 v3, v[22:23] offset:12496
; %bb.487:
	s_or_b64 exec, exec, s[14:15]
	s_waitcnt lgkmcnt(0)
	s_barrier
	s_barrier
	s_and_saveexec_b64 s[14:15], vcc
	s_cbranch_execz .LBB166_489
; %bb.488:
	v_mov_b32_e32 v27, 0
	ds_read_b128 v[21:24], v27 offset:13520
	ds_read_b64 v[25:26], v27 offset:14040
	s_waitcnt lgkmcnt(0)
	v_mul_f32_e32 v28, v26, v22
	v_mul_f32_e32 v29, v25, v22
	v_fma_f32 v25, v25, v21, -v28
	v_fmac_f32_e32 v29, v26, v21
	v_mul_f32_e32 v21, v29, v24
	v_mul_f32_e32 v22, v25, v24
	v_fma_f32 v21, v25, v23, -v21
	v_fmac_f32_e32 v22, v29, v23
	ds_write_b64 v27, v[21:22] offset:13528
.LBB166_489:
	s_or_b64 exec, exec, s[14:15]
	v_mov_b32_e32 v21, 0
	v_mov_b32_e32 v22, 0
	s_waitcnt lgkmcnt(0)
	s_barrier
	s_and_saveexec_b64 s[16:17], s[18:19]
	s_cbranch_execz .LBB166_495
; %bb.490:
	v_mul_u32_u24_e32 v22, 0x208, v10
	ds_read_b64 v[23:24], v6 offset:12512
	ds_read_b64 v[25:26], v22 offset:12480
	v_cmp_gt_u32_e64 s[14:15], 12, v1
	s_waitcnt lgkmcnt(0)
	v_mul_f32_e32 v21, v26, v24
	v_mul_f32_e32 v24, v25, v24
	v_fma_f32 v21, v25, v23, -v21
	v_fmac_f32_e32 v24, v26, v23
	v_add_f32_e32 v21, 0, v21
	v_add_f32_e32 v23, 0, v24
	s_and_saveexec_b64 s[20:21], s[14:15]
	s_cbranch_execnz .LBB166_1076
; %bb.491:
	s_or_b64 exec, exec, s[20:21]
	v_cmp_gt_u32_e64 s[14:15], 8, v1
	s_and_saveexec_b64 s[20:21], s[14:15]
	s_cbranch_execnz .LBB166_1077
.LBB166_492:
	s_or_b64 exec, exec, s[20:21]
	v_cmp_gt_u32_e64 s[14:15], 4, v1
	s_and_saveexec_b64 s[20:21], s[14:15]
	s_cbranch_execz .LBB166_494
.LBB166_493:
	v_lshlrev_b32_e32 v22, 3, v0
	v_mov_b32_e32 v26, 0
	ds_read_b64 v[24:25], v22 offset:14048
	ds_read_b64 v[26:27], v26 offset:12504
	s_waitcnt lgkmcnt(0)
	v_mul_f32_e32 v22, v27, v25
	v_mul_f32_e32 v25, v26, v25
	v_fma_f32 v22, v26, v24, -v22
	v_fmac_f32_e32 v25, v27, v24
	v_add_f32_e32 v21, v21, v22
	v_add_f32_e32 v23, v23, v25
.LBB166_494:
	s_or_b64 exec, exec, s[20:21]
	v_xor_b32_e32 v22, 0x80000000, v21
	v_xor_b32_e32 v21, 0x80000000, v23
.LBB166_495:
	s_or_b64 exec, exec, s[16:17]
	s_and_saveexec_b64 s[14:15], s[46:47]
	s_cbranch_execz .LBB166_497
; %bb.496:
	v_mov_b32_e32 v23, 0
	ds_read_b64 v[23:24], v23 offset:14560
	s_waitcnt lgkmcnt(0)
	v_mul_f32_e32 v26, v21, v24
	v_mul_f32_e32 v25, v22, v24
	v_fma_f32 v24, v22, v23, -v26
	v_fmac_f32_e32 v25, v21, v23
	v_mov_b32_e32 v22, v24
	v_mov_b32_e32 v21, v25
	ds_write_b64 v8, v[24:25]
.LBB166_497:
	s_or_b64 exec, exec, s[14:15]
	s_waitcnt lgkmcnt(0)
	s_barrier
	s_and_saveexec_b64 s[14:15], s[48:49]
	s_cbranch_execz .LBB166_499
; %bb.498:
	ds_read_b64 v[23:24], v7 offset:14560
	ds_read_b64 v[25:26], v8
	s_waitcnt lgkmcnt(0)
	v_mul_f32_e32 v27, v26, v24
	v_mul_f32_e32 v24, v25, v24
	v_fma_f32 v25, v25, v23, -v27
	v_fmac_f32_e32 v24, v26, v23
	v_add_f32_e32 v22, v22, v25
	v_add_f32_e32 v21, v21, v24
.LBB166_499:
	s_or_b64 exec, exec, s[14:15]
	s_barrier
	s_and_saveexec_b64 s[14:15], s[50:51]
	s_cbranch_execz .LBB166_501
; %bb.500:
	v_mov_b32_e32 v23, 0
	ds_read_b64 v[23:24], v23 offset:15080
	s_waitcnt lgkmcnt(0)
	v_mul_f32_e32 v26, v21, v24
	v_mul_f32_e32 v25, v22, v24
	v_fma_f32 v24, v22, v23, -v26
	v_fmac_f32_e32 v25, v21, v23
	v_mov_b32_e32 v22, v24
	v_mov_b32_e32 v21, v25
	ds_write_b64 v8, v[24:25]
.LBB166_501:
	s_or_b64 exec, exec, s[14:15]
	s_waitcnt lgkmcnt(0)
	s_barrier
	s_and_saveexec_b64 s[14:15], s[52:53]
	s_cbranch_execz .LBB166_503
; %bb.502:
	ds_read_b64 v[23:24], v7 offset:15072
	ds_read_b64 v[25:26], v8
	s_waitcnt lgkmcnt(0)
	v_mul_f32_e32 v27, v26, v24
	v_mul_f32_e32 v24, v25, v24
	v_fma_f32 v25, v25, v23, -v27
	v_fmac_f32_e32 v24, v26, v23
	v_add_f32_e32 v22, v22, v25
	v_add_f32_e32 v21, v21, v24
.LBB166_503:
	s_or_b64 exec, exec, s[14:15]
	s_barrier
	s_and_saveexec_b64 s[14:15], s[54:55]
	s_cbranch_execz .LBB166_505
; %bb.504:
	v_mov_b32_e32 v23, 0
	ds_read_b64 v[23:24], v23 offset:15600
	s_waitcnt lgkmcnt(0)
	v_mul_f32_e32 v26, v21, v24
	v_mul_f32_e32 v25, v22, v24
	v_fma_f32 v24, v22, v23, -v26
	v_fmac_f32_e32 v25, v21, v23
	v_mov_b32_e32 v22, v24
	v_mov_b32_e32 v21, v25
	ds_write_b64 v8, v[24:25]
.LBB166_505:
	s_or_b64 exec, exec, s[14:15]
	s_waitcnt lgkmcnt(0)
	s_barrier
	s_and_saveexec_b64 s[14:15], s[44:45]
	s_cbranch_execz .LBB166_507
; %bb.506:
	v_mov_b32_e32 v23, 0
	ds_read_b64 v[23:24], v23 offset:15608
	ds_read_b64 v[25:26], v8
	s_waitcnt lgkmcnt(0)
	v_mul_f32_e32 v27, v26, v24
	v_mul_f32_e32 v24, v25, v24
	v_fma_f32 v25, v25, v23, -v27
	v_fmac_f32_e32 v24, v26, v23
	v_add_f32_e32 v22, v22, v25
	v_add_f32_e32 v21, v21, v24
.LBB166_507:
	s_or_b64 exec, exec, s[14:15]
	s_barrier
	s_and_saveexec_b64 s[14:15], s[44:45]
	s_cbranch_execz .LBB166_509
; %bb.508:
	v_mov_b32_e32 v23, 0
	ds_read_b64 v[23:24], v23 offset:16120
	s_waitcnt lgkmcnt(0)
	v_mul_f32_e32 v26, v21, v24
	v_mul_f32_e32 v25, v22, v24
	v_fma_f32 v24, v22, v23, -v26
	v_fmac_f32_e32 v25, v21, v23
	v_mov_b32_e32 v22, v24
	v_mov_b32_e32 v21, v25
	ds_write_b64 v8, v[24:25]
.LBB166_509:
	s_or_b64 exec, exec, s[14:15]
	s_waitcnt lgkmcnt(0)
	s_barrier
	s_barrier
	s_and_saveexec_b64 s[14:15], s[18:19]
; %bb.510:
	v_xor_b32_e32 v22, 0x80000000, v22
	v_xor_b32_e32 v23, 0x80000000, v21
	ds_write_b64 v6, v[22:23] offset:12512
; %bb.511:
	s_or_b64 exec, exec, s[14:15]
	s_waitcnt lgkmcnt(0)
	s_barrier
	s_barrier
	s_and_saveexec_b64 s[14:15], vcc
	s_cbranch_execz .LBB166_513
; %bb.512:
	v_mov_b32_e32 v27, 0
	ds_read_b128 v[21:24], v27 offset:14560
	ds_read_b64 v[25:26], v27 offset:15080
	s_waitcnt lgkmcnt(0)
	v_mul_f32_e32 v28, v26, v22
	v_mul_f32_e32 v29, v25, v22
	v_fma_f32 v25, v25, v21, -v28
	v_fmac_f32_e32 v29, v26, v21
	v_mul_f32_e32 v21, v29, v24
	v_mul_f32_e32 v22, v25, v24
	v_fma_f32 v21, v25, v23, -v21
	v_fmac_f32_e32 v22, v29, v23
	ds_write_b64 v27, v[21:22] offset:14568
.LBB166_513:
	s_or_b64 exec, exec, s[14:15]
	v_mov_b32_e32 v21, 0
	v_mov_b32_e32 v22, 0
	s_waitcnt lgkmcnt(0)
	s_barrier
	s_and_saveexec_b64 s[16:17], s[6:7]
	s_cbranch_execz .LBB166_517
; %bb.514:
	v_mul_u32_u24_e32 v23, 0x208, v5
	ds_read_b64 v[21:22], v3 offset:14576
	ds_read_b64 v[23:24], v23 offset:14560
	v_cmp_gt_u32_e64 s[14:15], 2, v1
	s_waitcnt lgkmcnt(0)
	v_mul_f32_e32 v25, v24, v22
	v_mul_f32_e32 v22, v23, v22
	v_fma_f32 v23, v23, v21, -v25
	v_fmac_f32_e32 v22, v24, v21
	v_add_f32_e32 v21, 0, v23
	v_add_f32_e32 v23, 0, v22
	s_and_saveexec_b64 s[20:21], s[14:15]
	s_cbranch_execz .LBB166_516
; %bb.515:
	v_lshlrev_b32_e32 v22, 3, v0
	v_mov_b32_e32 v26, 0
	ds_read_b64 v[24:25], v22 offset:15088
	ds_read_b64 v[26:27], v26 offset:14568
	s_waitcnt lgkmcnt(0)
	v_mul_f32_e32 v22, v27, v25
	v_mul_f32_e32 v25, v26, v25
	v_fma_f32 v22, v26, v24, -v22
	v_fmac_f32_e32 v25, v27, v24
	v_add_f32_e32 v21, v21, v22
	v_add_f32_e32 v23, v23, v25
.LBB166_516:
	s_or_b64 exec, exec, s[20:21]
	v_xor_b32_e32 v22, 0x80000000, v21
	v_xor_b32_e32 v21, 0x80000000, v23
.LBB166_517:
	s_or_b64 exec, exec, s[16:17]
	s_and_saveexec_b64 s[14:15], s[42:43]
	s_cbranch_execz .LBB166_519
; %bb.518:
	v_mov_b32_e32 v23, 0
	ds_read_b64 v[23:24], v23 offset:15600
	s_waitcnt lgkmcnt(0)
	v_mul_f32_e32 v26, v21, v24
	v_mul_f32_e32 v25, v22, v24
	v_fma_f32 v24, v22, v23, -v26
	v_fmac_f32_e32 v25, v21, v23
	v_mov_b32_e32 v22, v24
	v_mov_b32_e32 v21, v25
	ds_write_b64 v4, v[24:25]
.LBB166_519:
	s_or_b64 exec, exec, s[14:15]
	s_waitcnt lgkmcnt(0)
	s_barrier
	s_and_saveexec_b64 s[14:15], s[40:41]
	s_cbranch_execz .LBB166_521
; %bb.520:
	v_mov_b32_e32 v23, 0
	ds_read_b64 v[23:24], v23 offset:15608
	ds_read_b64 v[25:26], v4
	s_waitcnt lgkmcnt(0)
	v_mul_f32_e32 v27, v26, v24
	v_mul_f32_e32 v24, v25, v24
	v_fma_f32 v25, v25, v23, -v27
	v_fmac_f32_e32 v24, v26, v23
	v_add_f32_e32 v22, v22, v25
	v_add_f32_e32 v21, v21, v24
.LBB166_521:
	s_or_b64 exec, exec, s[14:15]
	s_barrier
	s_and_saveexec_b64 s[14:15], s[40:41]
	s_cbranch_execz .LBB166_523
; %bb.522:
	v_mov_b32_e32 v23, 0
	ds_read_b64 v[23:24], v23 offset:16120
	s_waitcnt lgkmcnt(0)
	v_mul_f32_e32 v26, v21, v24
	v_mul_f32_e32 v25, v22, v24
	v_fma_f32 v24, v22, v23, -v26
	v_fmac_f32_e32 v25, v21, v23
	v_mov_b32_e32 v22, v24
	v_mov_b32_e32 v21, v25
	ds_write_b64 v4, v[24:25]
.LBB166_523:
	s_or_b64 exec, exec, s[14:15]
	s_waitcnt lgkmcnt(0)
	s_barrier
	s_barrier
	s_and_saveexec_b64 s[14:15], s[6:7]
; %bb.524:
	v_xor_b32_e32 v23, 0x80000000, v21
	v_xor_b32_e32 v22, 0x80000000, v22
	ds_write_b64 v3, v[22:23] offset:14576
; %bb.525:
	s_or_b64 exec, exec, s[14:15]
	s_waitcnt lgkmcnt(0)
	s_barrier
	s_barrier
	s_and_saveexec_b64 s[14:15], vcc
	s_cbranch_execz .LBB166_527
; %bb.526:
	v_mov_b32_e32 v27, 0
	ds_read_b128 v[21:24], v27 offset:15600
	ds_read_b64 v[25:26], v27 offset:16120
	s_waitcnt lgkmcnt(0)
	v_mul_f32_e32 v28, v26, v22
	v_mul_f32_e32 v29, v25, v22
	v_fma_f32 v25, v25, v21, -v28
	v_fmac_f32_e32 v29, v26, v21
	v_mul_f32_e32 v21, v29, v24
	v_mul_f32_e32 v22, v25, v24
	v_fma_f32 v21, v25, v23, -v21
	v_fmac_f32_e32 v22, v29, v23
	ds_write_b64 v27, v[21:22] offset:15608
.LBB166_527:
	s_or_b64 exec, exec, s[14:15]
	s_movk_i32 s14, 0x3ff
	v_lshrrev_b32_e32 v23, 5, v1
	v_cmp_lt_u32_e64 s[16:17], s14, v1
	s_movk_i32 s14, 0x400
	v_and_b32_e32 v21, 31, v0
	v_cmp_gt_u32_e64 s[14:15], s14, v1
	v_lshlrev_b32_e32 v22, 9, v23
	v_mov_b32_e32 v24, 0
	v_mov_b32_e32 v26, 0
	s_waitcnt lgkmcnt(0)
	s_barrier
	s_and_saveexec_b64 s[98:99], s[14:15]
	s_cbranch_execz .LBB166_589
; %bb.528:
	v_lshlrev_b32_e32 v26, 3, v21
	v_add_u32_e32 v28, v26, v22
	v_mul_u32_u24_e32 v27, 0x208, v23
	ds_read_b64 v[24:25], v28 offset:256
	ds_read_b64 v[29:30], v27
	s_movk_i32 s20, 0x3e0
	v_cmp_gt_u32_e64 s[20:21], s20, v1
	s_waitcnt lgkmcnt(0)
	v_mul_f32_e32 v31, v30, v25
	v_mul_f32_e32 v25, v29, v25
	v_fma_f32 v29, v29, v24, -v31
	v_fmac_f32_e32 v25, v30, v24
	v_add_f32_e32 v24, 0, v29
	v_add_f32_e32 v25, 0, v25
	s_and_saveexec_b64 s[36:37], s[20:21]
	s_cbranch_execz .LBB166_530
; %bb.529:
	ds_read_b64 v[29:30], v28 offset:768
	ds_read_b64 v[31:32], v27 offset:8
	s_waitcnt lgkmcnt(0)
	v_mul_f32_e32 v33, v32, v30
	v_mul_f32_e32 v30, v31, v30
	v_fma_f32 v31, v31, v29, -v33
	v_fmac_f32_e32 v30, v32, v29
	v_add_f32_e32 v24, v24, v31
	v_add_f32_e32 v25, v25, v30
.LBB166_530:
	s_or_b64 exec, exec, s[36:37]
	s_movk_i32 s20, 0x3c0
	v_cmp_gt_u32_e64 s[20:21], s20, v1
	s_and_saveexec_b64 s[36:37], s[20:21]
	s_cbranch_execz .LBB166_532
; %bb.531:
	ds_read_b64 v[29:30], v28 offset:1280
	ds_read_b64 v[31:32], v27 offset:16
	s_waitcnt lgkmcnt(0)
	v_mul_f32_e32 v33, v32, v30
	v_mul_f32_e32 v30, v31, v30
	v_fma_f32 v31, v31, v29, -v33
	v_fmac_f32_e32 v30, v32, v29
	v_add_f32_e32 v24, v24, v31
	v_add_f32_e32 v25, v25, v30
.LBB166_532:
	s_or_b64 exec, exec, s[36:37]
	s_movk_i32 s20, 0x3a0
	v_cmp_gt_u32_e64 s[20:21], s20, v1
	;; [unrolled: 16-line block ×28, first 2 shown]
	s_and_saveexec_b64 s[36:37], s[20:21]
	s_cbranch_execnz .LBB166_1078
; %bb.585:
	s_or_b64 exec, exec, s[36:37]
	v_cmp_gt_u32_e64 s[20:21], 64, v1
	s_and_saveexec_b64 s[36:37], s[20:21]
	s_cbranch_execnz .LBB166_1079
.LBB166_586:
	s_or_b64 exec, exec, s[36:37]
	v_cmp_gt_u32_e64 s[20:21], 32, v1
	s_and_saveexec_b64 s[36:37], s[20:21]
	s_cbranch_execz .LBB166_588
.LBB166_587:
	ds_read_b64 v[28:29], v26 offset:16128
	ds_read_b64 v[26:27], v27 offset:248
	s_waitcnt lgkmcnt(0)
	v_mul_f32_e32 v30, v27, v29
	v_mul_f32_e32 v29, v26, v29
	v_fma_f32 v26, v26, v28, -v30
	v_fmac_f32_e32 v29, v27, v28
	v_add_f32_e32 v24, v24, v26
	v_add_f32_e32 v25, v25, v29
.LBB166_588:
	s_or_b64 exec, exec, s[36:37]
	v_xor_b32_e32 v26, 0x80000000, v24
	v_xor_b32_e32 v24, 0x80000000, v25
.LBB166_589:
	s_or_b64 exec, exec, s[98:99]
	v_mov_b32_e32 v25, 0x8000
	v_lshl_or_b32 v23, v23, 3, v25
	v_mul_u32_u24_e32 v25, 0x208, v21
	v_lshlrev_b32_e32 v27, 9, v21
	v_sub_u32_e32 v27, v25, v27
	v_add_u32_e32 v27, 0x4100, v27
	s_mov_b32 s36, 0
	s_xor_b64 s[20:21], s[16:17], -1
	v_mov_b32_e32 v28, v21
	s_branch .LBB166_591
.LBB166_590:                            ;   in Loop: Header=BB166_591 Depth=1
	s_or_b64 exec, exec, s[16:17]
	s_add_i32 s36, s36, 2
	v_add_u32_e32 v27, 0x400, v27
	s_cmp_eq_u32 s36, 32
	v_add_u32_e32 v28, -2, v28
	s_barrier
	s_cbranch_scc1 .LBB166_599
.LBB166_591:                            ; =>This Inner Loop Header: Depth=1
	v_cmp_eq_u32_e64 s[16:17], 0, v28
	s_and_b64 s[98:99], s[20:21], s[16:17]
	s_and_saveexec_b64 s[16:17], s[98:99]
	s_cbranch_execz .LBB166_593
; %bb.592:                              ;   in Loop: Header=BB166_591 Depth=1
	ds_read_b64 v[29:30], v25 offset:16640
	s_waitcnt lgkmcnt(0)
	v_mul_f32_e32 v32, v24, v30
	v_mul_f32_e32 v31, v26, v30
	v_fma_f32 v30, v26, v29, -v32
	v_fmac_f32_e32 v31, v24, v29
	v_mov_b32_e32 v26, v30
	v_mov_b32_e32 v24, v31
	ds_write_b64 v23, v[30:31]
.LBB166_593:                            ;   in Loop: Header=BB166_591 Depth=1
	s_or_b64 exec, exec, s[16:17]
	v_cmp_lt_u32_e64 s[16:17], s36, v21
	s_and_b64 s[98:99], s[20:21], s[16:17]
	s_waitcnt lgkmcnt(0)
	s_barrier
	s_and_saveexec_b64 s[16:17], s[98:99]
	s_cbranch_execz .LBB166_595
; %bb.594:                              ;   in Loop: Header=BB166_591 Depth=1
	ds_read_b64 v[29:30], v27
	ds_read_b64 v[31:32], v23
	s_waitcnt lgkmcnt(0)
	v_mul_f32_e32 v33, v32, v30
	v_mul_f32_e32 v30, v31, v30
	v_fma_f32 v31, v31, v29, -v33
	v_fmac_f32_e32 v30, v32, v29
	v_add_f32_e32 v26, v26, v31
	v_add_f32_e32 v24, v24, v30
.LBB166_595:                            ;   in Loop: Header=BB166_591 Depth=1
	s_or_b64 exec, exec, s[16:17]
	s_or_b32 s37, s36, 1
	v_cmp_eq_u32_e64 s[16:17], s37, v21
	s_and_b64 s[98:99], s[20:21], s[16:17]
	s_barrier
	s_and_saveexec_b64 s[16:17], s[98:99]
	s_cbranch_execz .LBB166_597
; %bb.596:                              ;   in Loop: Header=BB166_591 Depth=1
	ds_read_b64 v[29:30], v25 offset:16640
	s_waitcnt lgkmcnt(0)
	v_mul_f32_e32 v32, v24, v30
	v_mul_f32_e32 v31, v26, v30
	v_fma_f32 v30, v26, v29, -v32
	v_fmac_f32_e32 v31, v24, v29
	v_mov_b32_e32 v26, v30
	v_mov_b32_e32 v24, v31
	ds_write_b64 v23, v[30:31]
.LBB166_597:                            ;   in Loop: Header=BB166_591 Depth=1
	s_or_b64 exec, exec, s[16:17]
	v_cmp_lt_u32_e64 s[16:17], s37, v21
	s_and_b64 s[98:99], s[20:21], s[16:17]
	s_waitcnt lgkmcnt(0)
	s_barrier
	s_and_saveexec_b64 s[16:17], s[98:99]
	s_cbranch_execz .LBB166_590
; %bb.598:                              ;   in Loop: Header=BB166_591 Depth=1
	ds_read_b64 v[29:30], v27 offset:512
	ds_read_b64 v[31:32], v23
	s_waitcnt lgkmcnt(0)
	v_mul_f32_e32 v33, v32, v30
	v_mul_f32_e32 v30, v31, v30
	v_fma_f32 v31, v31, v29, -v33
	v_fmac_f32_e32 v30, v32, v29
	v_add_f32_e32 v26, v26, v31
	v_add_f32_e32 v24, v24, v30
	s_branch .LBB166_590
.LBB166_599:
	s_and_saveexec_b64 s[16:17], s[14:15]
; %bb.600:
	v_lshl_add_u32 v23, v21, 3, v22
	v_xor_b32_e32 v22, 0x80000000, v24
	v_xor_b32_e32 v21, 0x80000000, v26
	ds_write_b64 v23, v[21:22] offset:256
; %bb.601:
	s_or_b64 exec, exec, s[16:17]
	s_waitcnt lgkmcnt(0)
	s_barrier
	s_barrier
	s_and_saveexec_b64 s[14:15], vcc
	s_cbranch_execz .LBB166_603
; %bb.602:
	v_mov_b32_e32 v27, 0
	ds_read_b128 v[21:24], v27 offset:16640
	ds_read_b64 v[25:26], v27 offset:17160
	s_waitcnt lgkmcnt(0)
	v_mul_f32_e32 v28, v26, v22
	v_mul_f32_e32 v29, v25, v22
	v_fma_f32 v25, v25, v21, -v28
	v_fmac_f32_e32 v29, v26, v21
	v_mul_f32_e32 v21, v29, v24
	v_mul_f32_e32 v22, v25, v24
	v_fma_f32 v21, v25, v23, -v21
	v_fmac_f32_e32 v22, v29, v23
	ds_write_b64 v27, v[21:22] offset:16648
.LBB166_603:
	s_or_b64 exec, exec, s[14:15]
	v_mov_b32_e32 v21, 0
	v_mov_b32_e32 v22, 0
	s_waitcnt lgkmcnt(0)
	s_barrier
	s_and_saveexec_b64 s[16:17], s[6:7]
	s_cbranch_execz .LBB166_607
; %bb.604:
	v_mul_u32_u24_e32 v23, 0x208, v5
	ds_read_b64 v[21:22], v3 offset:16656
	ds_read_b64 v[23:24], v23 offset:16640
	v_cmp_gt_u32_e64 s[14:15], 2, v1
	s_waitcnt lgkmcnt(0)
	v_mul_f32_e32 v25, v24, v22
	v_mul_f32_e32 v22, v23, v22
	v_fma_f32 v23, v23, v21, -v25
	v_fmac_f32_e32 v22, v24, v21
	v_add_f32_e32 v21, 0, v23
	v_add_f32_e32 v23, 0, v22
	s_and_saveexec_b64 s[20:21], s[14:15]
	s_cbranch_execz .LBB166_606
; %bb.605:
	v_lshlrev_b32_e32 v22, 3, v0
	v_mov_b32_e32 v26, 0
	ds_read_b64 v[24:25], v22 offset:17168
	ds_read_b64 v[26:27], v26 offset:16648
	s_waitcnt lgkmcnt(0)
	v_mul_f32_e32 v22, v27, v25
	v_mul_f32_e32 v25, v26, v25
	v_fma_f32 v22, v26, v24, -v22
	v_fmac_f32_e32 v25, v27, v24
	v_add_f32_e32 v21, v21, v22
	v_add_f32_e32 v23, v23, v25
.LBB166_606:
	s_or_b64 exec, exec, s[20:21]
	v_xor_b32_e32 v22, 0x80000000, v21
	v_xor_b32_e32 v21, 0x80000000, v23
.LBB166_607:
	s_or_b64 exec, exec, s[16:17]
	s_and_saveexec_b64 s[14:15], s[42:43]
	s_cbranch_execz .LBB166_609
; %bb.608:
	v_mov_b32_e32 v23, 0
	ds_read_b64 v[23:24], v23 offset:17680
	s_waitcnt lgkmcnt(0)
	v_mul_f32_e32 v26, v21, v24
	v_mul_f32_e32 v25, v22, v24
	v_fma_f32 v24, v22, v23, -v26
	v_fmac_f32_e32 v25, v21, v23
	v_mov_b32_e32 v22, v24
	v_mov_b32_e32 v21, v25
	ds_write_b64 v4, v[24:25]
.LBB166_609:
	s_or_b64 exec, exec, s[14:15]
	s_waitcnt lgkmcnt(0)
	s_barrier
	s_and_saveexec_b64 s[14:15], s[40:41]
	s_cbranch_execz .LBB166_611
; %bb.610:
	v_mov_b32_e32 v23, 0
	ds_read_b64 v[23:24], v23 offset:17688
	ds_read_b64 v[25:26], v4
	s_waitcnt lgkmcnt(0)
	v_mul_f32_e32 v27, v26, v24
	v_mul_f32_e32 v24, v25, v24
	v_fma_f32 v25, v25, v23, -v27
	v_fmac_f32_e32 v24, v26, v23
	v_add_f32_e32 v22, v22, v25
	v_add_f32_e32 v21, v21, v24
.LBB166_611:
	s_or_b64 exec, exec, s[14:15]
	s_barrier
	s_and_saveexec_b64 s[14:15], s[40:41]
	s_cbranch_execz .LBB166_613
; %bb.612:
	v_mov_b32_e32 v23, 0
	ds_read_b64 v[23:24], v23 offset:18200
	s_waitcnt lgkmcnt(0)
	v_mul_f32_e32 v26, v21, v24
	v_mul_f32_e32 v25, v22, v24
	v_fma_f32 v24, v22, v23, -v26
	v_fmac_f32_e32 v25, v21, v23
	v_mov_b32_e32 v22, v24
	v_mov_b32_e32 v21, v25
	ds_write_b64 v4, v[24:25]
.LBB166_613:
	s_or_b64 exec, exec, s[14:15]
	s_waitcnt lgkmcnt(0)
	s_barrier
	s_barrier
	s_and_saveexec_b64 s[14:15], s[6:7]
; %bb.614:
	v_xor_b32_e32 v23, 0x80000000, v21
	v_xor_b32_e32 v22, 0x80000000, v22
	ds_write_b64 v3, v[22:23] offset:16656
; %bb.615:
	s_or_b64 exec, exec, s[14:15]
	s_waitcnt lgkmcnt(0)
	s_barrier
	s_barrier
	s_and_saveexec_b64 s[14:15], vcc
	s_cbranch_execz .LBB166_617
; %bb.616:
	v_mov_b32_e32 v27, 0
	ds_read_b128 v[21:24], v27 offset:17680
	ds_read_b64 v[25:26], v27 offset:18200
	s_waitcnt lgkmcnt(0)
	v_mul_f32_e32 v28, v26, v22
	v_mul_f32_e32 v29, v25, v22
	v_fma_f32 v25, v25, v21, -v28
	v_fmac_f32_e32 v29, v26, v21
	v_mul_f32_e32 v21, v29, v24
	v_mul_f32_e32 v22, v25, v24
	v_fma_f32 v21, v25, v23, -v21
	v_fmac_f32_e32 v22, v29, v23
	ds_write_b64 v27, v[21:22] offset:17688
.LBB166_617:
	s_or_b64 exec, exec, s[14:15]
	v_mov_b32_e32 v21, 0
	v_mov_b32_e32 v22, 0
	s_waitcnt lgkmcnt(0)
	s_barrier
	s_and_saveexec_b64 s[16:17], s[18:19]
	s_cbranch_execz .LBB166_623
; %bb.618:
	v_mul_u32_u24_e32 v22, 0x208, v10
	ds_read_b64 v[23:24], v6 offset:16672
	ds_read_b64 v[25:26], v22 offset:16640
	v_cmp_gt_u32_e64 s[14:15], 12, v1
	s_waitcnt lgkmcnt(0)
	v_mul_f32_e32 v21, v26, v24
	v_mul_f32_e32 v24, v25, v24
	v_fma_f32 v21, v25, v23, -v21
	v_fmac_f32_e32 v24, v26, v23
	v_add_f32_e32 v21, 0, v21
	v_add_f32_e32 v23, 0, v24
	s_and_saveexec_b64 s[20:21], s[14:15]
	s_cbranch_execnz .LBB166_1080
; %bb.619:
	s_or_b64 exec, exec, s[20:21]
	v_cmp_gt_u32_e64 s[14:15], 8, v1
	s_and_saveexec_b64 s[20:21], s[14:15]
	s_cbranch_execnz .LBB166_1081
.LBB166_620:
	s_or_b64 exec, exec, s[20:21]
	v_cmp_gt_u32_e64 s[14:15], 4, v1
	s_and_saveexec_b64 s[20:21], s[14:15]
	s_cbranch_execz .LBB166_622
.LBB166_621:
	v_lshlrev_b32_e32 v22, 3, v0
	v_mov_b32_e32 v26, 0
	ds_read_b64 v[24:25], v22 offset:18208
	ds_read_b64 v[26:27], v26 offset:16664
	s_waitcnt lgkmcnt(0)
	v_mul_f32_e32 v22, v27, v25
	v_mul_f32_e32 v25, v26, v25
	v_fma_f32 v22, v26, v24, -v22
	v_fmac_f32_e32 v25, v27, v24
	v_add_f32_e32 v21, v21, v22
	v_add_f32_e32 v23, v23, v25
.LBB166_622:
	s_or_b64 exec, exec, s[20:21]
	v_xor_b32_e32 v22, 0x80000000, v21
	v_xor_b32_e32 v21, 0x80000000, v23
.LBB166_623:
	s_or_b64 exec, exec, s[16:17]
	s_and_saveexec_b64 s[14:15], s[46:47]
	s_cbranch_execz .LBB166_625
; %bb.624:
	v_mov_b32_e32 v23, 0
	ds_read_b64 v[23:24], v23 offset:18720
	s_waitcnt lgkmcnt(0)
	v_mul_f32_e32 v26, v21, v24
	v_mul_f32_e32 v25, v22, v24
	v_fma_f32 v24, v22, v23, -v26
	v_fmac_f32_e32 v25, v21, v23
	v_mov_b32_e32 v22, v24
	v_mov_b32_e32 v21, v25
	ds_write_b64 v8, v[24:25]
.LBB166_625:
	s_or_b64 exec, exec, s[14:15]
	s_waitcnt lgkmcnt(0)
	s_barrier
	s_and_saveexec_b64 s[14:15], s[48:49]
	s_cbranch_execz .LBB166_627
; %bb.626:
	ds_read_b64 v[23:24], v7 offset:18720
	ds_read_b64 v[25:26], v8
	s_waitcnt lgkmcnt(0)
	v_mul_f32_e32 v27, v26, v24
	v_mul_f32_e32 v24, v25, v24
	v_fma_f32 v25, v25, v23, -v27
	v_fmac_f32_e32 v24, v26, v23
	v_add_f32_e32 v22, v22, v25
	v_add_f32_e32 v21, v21, v24
.LBB166_627:
	s_or_b64 exec, exec, s[14:15]
	s_barrier
	s_and_saveexec_b64 s[14:15], s[50:51]
	s_cbranch_execz .LBB166_629
; %bb.628:
	v_mov_b32_e32 v23, 0
	ds_read_b64 v[23:24], v23 offset:19240
	s_waitcnt lgkmcnt(0)
	v_mul_f32_e32 v26, v21, v24
	v_mul_f32_e32 v25, v22, v24
	v_fma_f32 v24, v22, v23, -v26
	v_fmac_f32_e32 v25, v21, v23
	v_mov_b32_e32 v22, v24
	v_mov_b32_e32 v21, v25
	ds_write_b64 v8, v[24:25]
.LBB166_629:
	s_or_b64 exec, exec, s[14:15]
	s_waitcnt lgkmcnt(0)
	s_barrier
	s_and_saveexec_b64 s[14:15], s[52:53]
	s_cbranch_execz .LBB166_631
; %bb.630:
	ds_read_b64 v[23:24], v7 offset:19232
	ds_read_b64 v[25:26], v8
	s_waitcnt lgkmcnt(0)
	v_mul_f32_e32 v27, v26, v24
	v_mul_f32_e32 v24, v25, v24
	v_fma_f32 v25, v25, v23, -v27
	v_fmac_f32_e32 v24, v26, v23
	v_add_f32_e32 v22, v22, v25
	v_add_f32_e32 v21, v21, v24
.LBB166_631:
	s_or_b64 exec, exec, s[14:15]
	s_barrier
	s_and_saveexec_b64 s[14:15], s[54:55]
	s_cbranch_execz .LBB166_633
; %bb.632:
	v_mov_b32_e32 v23, 0
	ds_read_b64 v[23:24], v23 offset:19760
	s_waitcnt lgkmcnt(0)
	v_mul_f32_e32 v26, v21, v24
	v_mul_f32_e32 v25, v22, v24
	v_fma_f32 v24, v22, v23, -v26
	v_fmac_f32_e32 v25, v21, v23
	v_mov_b32_e32 v22, v24
	v_mov_b32_e32 v21, v25
	ds_write_b64 v8, v[24:25]
.LBB166_633:
	s_or_b64 exec, exec, s[14:15]
	s_waitcnt lgkmcnt(0)
	s_barrier
	s_and_saveexec_b64 s[14:15], s[44:45]
	s_cbranch_execz .LBB166_635
; %bb.634:
	v_mov_b32_e32 v23, 0
	ds_read_b64 v[23:24], v23 offset:19768
	ds_read_b64 v[25:26], v8
	s_waitcnt lgkmcnt(0)
	v_mul_f32_e32 v27, v26, v24
	v_mul_f32_e32 v24, v25, v24
	v_fma_f32 v25, v25, v23, -v27
	v_fmac_f32_e32 v24, v26, v23
	v_add_f32_e32 v22, v22, v25
	v_add_f32_e32 v21, v21, v24
.LBB166_635:
	s_or_b64 exec, exec, s[14:15]
	s_barrier
	s_and_saveexec_b64 s[14:15], s[44:45]
	s_cbranch_execz .LBB166_637
; %bb.636:
	v_mov_b32_e32 v23, 0
	ds_read_b64 v[23:24], v23 offset:20280
	s_waitcnt lgkmcnt(0)
	v_mul_f32_e32 v26, v21, v24
	v_mul_f32_e32 v25, v22, v24
	v_fma_f32 v24, v22, v23, -v26
	v_fmac_f32_e32 v25, v21, v23
	v_mov_b32_e32 v22, v24
	v_mov_b32_e32 v21, v25
	ds_write_b64 v8, v[24:25]
.LBB166_637:
	s_or_b64 exec, exec, s[14:15]
	s_waitcnt lgkmcnt(0)
	s_barrier
	s_barrier
	s_and_saveexec_b64 s[14:15], s[18:19]
; %bb.638:
	v_xor_b32_e32 v22, 0x80000000, v22
	v_xor_b32_e32 v23, 0x80000000, v21
	ds_write_b64 v6, v[22:23] offset:16672
; %bb.639:
	s_or_b64 exec, exec, s[14:15]
	s_waitcnt lgkmcnt(0)
	s_barrier
	s_barrier
	s_and_saveexec_b64 s[14:15], vcc
	s_cbranch_execz .LBB166_641
; %bb.640:
	v_mov_b32_e32 v27, 0
	ds_read_b128 v[21:24], v27 offset:18720
	ds_read_b64 v[25:26], v27 offset:19240
	s_waitcnt lgkmcnt(0)
	v_mul_f32_e32 v28, v26, v22
	v_mul_f32_e32 v29, v25, v22
	v_fma_f32 v25, v25, v21, -v28
	v_fmac_f32_e32 v29, v26, v21
	v_mul_f32_e32 v21, v29, v24
	v_mul_f32_e32 v22, v25, v24
	v_fma_f32 v21, v25, v23, -v21
	v_fmac_f32_e32 v22, v29, v23
	ds_write_b64 v27, v[21:22] offset:18728
.LBB166_641:
	s_or_b64 exec, exec, s[14:15]
	v_mov_b32_e32 v21, 0
	v_mov_b32_e32 v22, 0
	s_waitcnt lgkmcnt(0)
	s_barrier
	s_and_saveexec_b64 s[16:17], s[6:7]
	s_cbranch_execz .LBB166_645
; %bb.642:
	v_mul_u32_u24_e32 v23, 0x208, v5
	ds_read_b64 v[21:22], v3 offset:18736
	ds_read_b64 v[23:24], v23 offset:18720
	v_cmp_gt_u32_e64 s[14:15], 2, v1
	s_waitcnt lgkmcnt(0)
	v_mul_f32_e32 v25, v24, v22
	v_mul_f32_e32 v22, v23, v22
	v_fma_f32 v23, v23, v21, -v25
	v_fmac_f32_e32 v22, v24, v21
	v_add_f32_e32 v21, 0, v23
	v_add_f32_e32 v23, 0, v22
	s_and_saveexec_b64 s[20:21], s[14:15]
	s_cbranch_execz .LBB166_644
; %bb.643:
	v_lshlrev_b32_e32 v22, 3, v0
	v_mov_b32_e32 v26, 0
	ds_read_b64 v[24:25], v22 offset:19248
	ds_read_b64 v[26:27], v26 offset:18728
	s_waitcnt lgkmcnt(0)
	v_mul_f32_e32 v22, v27, v25
	v_mul_f32_e32 v25, v26, v25
	v_fma_f32 v22, v26, v24, -v22
	v_fmac_f32_e32 v25, v27, v24
	v_add_f32_e32 v21, v21, v22
	v_add_f32_e32 v23, v23, v25
.LBB166_644:
	s_or_b64 exec, exec, s[20:21]
	v_xor_b32_e32 v22, 0x80000000, v21
	v_xor_b32_e32 v21, 0x80000000, v23
.LBB166_645:
	s_or_b64 exec, exec, s[16:17]
	s_and_saveexec_b64 s[14:15], s[42:43]
	s_cbranch_execz .LBB166_647
; %bb.646:
	v_mov_b32_e32 v23, 0
	ds_read_b64 v[23:24], v23 offset:19760
	s_waitcnt lgkmcnt(0)
	v_mul_f32_e32 v26, v21, v24
	v_mul_f32_e32 v25, v22, v24
	v_fma_f32 v24, v22, v23, -v26
	v_fmac_f32_e32 v25, v21, v23
	v_mov_b32_e32 v22, v24
	v_mov_b32_e32 v21, v25
	ds_write_b64 v4, v[24:25]
.LBB166_647:
	s_or_b64 exec, exec, s[14:15]
	s_waitcnt lgkmcnt(0)
	s_barrier
	s_and_saveexec_b64 s[14:15], s[40:41]
	s_cbranch_execz .LBB166_649
; %bb.648:
	v_mov_b32_e32 v23, 0
	ds_read_b64 v[23:24], v23 offset:19768
	ds_read_b64 v[25:26], v4
	s_waitcnt lgkmcnt(0)
	v_mul_f32_e32 v27, v26, v24
	v_mul_f32_e32 v24, v25, v24
	v_fma_f32 v25, v25, v23, -v27
	v_fmac_f32_e32 v24, v26, v23
	v_add_f32_e32 v22, v22, v25
	v_add_f32_e32 v21, v21, v24
.LBB166_649:
	s_or_b64 exec, exec, s[14:15]
	s_barrier
	s_and_saveexec_b64 s[14:15], s[40:41]
	s_cbranch_execz .LBB166_651
; %bb.650:
	v_mov_b32_e32 v23, 0
	ds_read_b64 v[23:24], v23 offset:20280
	s_waitcnt lgkmcnt(0)
	v_mul_f32_e32 v26, v21, v24
	v_mul_f32_e32 v25, v22, v24
	v_fma_f32 v24, v22, v23, -v26
	v_fmac_f32_e32 v25, v21, v23
	v_mov_b32_e32 v22, v24
	v_mov_b32_e32 v21, v25
	ds_write_b64 v4, v[24:25]
.LBB166_651:
	s_or_b64 exec, exec, s[14:15]
	s_waitcnt lgkmcnt(0)
	s_barrier
	s_barrier
	s_and_saveexec_b64 s[14:15], s[6:7]
; %bb.652:
	v_xor_b32_e32 v23, 0x80000000, v21
	v_xor_b32_e32 v22, 0x80000000, v22
	ds_write_b64 v3, v[22:23] offset:18736
; %bb.653:
	s_or_b64 exec, exec, s[14:15]
	s_waitcnt lgkmcnt(0)
	s_barrier
	s_barrier
	s_and_saveexec_b64 s[14:15], vcc
	s_cbranch_execz .LBB166_655
; %bb.654:
	v_mov_b32_e32 v27, 0
	ds_read_b128 v[21:24], v27 offset:19760
	ds_read_b64 v[25:26], v27 offset:20280
	s_waitcnt lgkmcnt(0)
	v_mul_f32_e32 v28, v26, v22
	v_mul_f32_e32 v29, v25, v22
	v_fma_f32 v25, v25, v21, -v28
	v_fmac_f32_e32 v29, v26, v21
	v_mul_f32_e32 v21, v29, v24
	v_mul_f32_e32 v22, v25, v24
	v_fma_f32 v21, v25, v23, -v21
	v_fmac_f32_e32 v22, v29, v23
	ds_write_b64 v27, v[21:22] offset:19768
.LBB166_655:
	s_or_b64 exec, exec, s[14:15]
	v_mov_b32_e32 v21, 0
	v_mov_b32_e32 v22, 0
	s_waitcnt lgkmcnt(0)
	s_barrier
	s_and_saveexec_b64 s[16:17], s[10:11]
	s_cbranch_execz .LBB166_665
; %bb.656:
	v_mul_u32_u24_e32 v22, 0x208, v15
	ds_read_b64 v[23:24], v11 offset:16704
	ds_read_b64 v[25:26], v22 offset:16640
	v_cmp_gt_u32_e64 s[14:15], 56, v1
	s_waitcnt lgkmcnt(0)
	v_mul_f32_e32 v21, v26, v24
	v_mul_f32_e32 v24, v25, v24
	v_fma_f32 v21, v25, v23, -v21
	v_fmac_f32_e32 v24, v26, v23
	v_add_f32_e32 v21, 0, v21
	v_add_f32_e32 v23, 0, v24
	s_and_saveexec_b64 s[20:21], s[14:15]
	s_cbranch_execnz .LBB166_1082
; %bb.657:
	s_or_b64 exec, exec, s[20:21]
	v_cmp_gt_u32_e64 s[14:15], 48, v1
	s_and_saveexec_b64 s[20:21], s[14:15]
	s_cbranch_execnz .LBB166_1083
.LBB166_658:
	s_or_b64 exec, exec, s[20:21]
	v_cmp_gt_u32_e64 s[14:15], 40, v1
	s_and_saveexec_b64 s[20:21], s[14:15]
	s_cbranch_execnz .LBB166_1084
.LBB166_659:
	s_or_b64 exec, exec, s[20:21]
	v_cmp_gt_u32_e64 s[14:15], 32, v1
	s_and_saveexec_b64 s[20:21], s[14:15]
	s_cbranch_execnz .LBB166_1085
.LBB166_660:
	s_or_b64 exec, exec, s[20:21]
	v_cmp_gt_u32_e64 s[14:15], 24, v1
	s_and_saveexec_b64 s[20:21], s[14:15]
	s_cbranch_execnz .LBB166_1086
.LBB166_661:
	s_or_b64 exec, exec, s[20:21]
	v_cmp_gt_u32_e64 s[14:15], 16, v1
	s_and_saveexec_b64 s[20:21], s[14:15]
	s_cbranch_execnz .LBB166_1087
.LBB166_662:
	s_or_b64 exec, exec, s[20:21]
	v_cmp_gt_u32_e64 s[14:15], 8, v1
	s_and_saveexec_b64 s[20:21], s[14:15]
	s_cbranch_execz .LBB166_664
.LBB166_663:
	v_lshlrev_b32_e32 v22, 3, v0
	v_mov_b32_e32 v26, 0
	ds_read_b64 v[24:25], v22 offset:20288
	ds_read_b64 v[26:27], v26 offset:16696
	s_waitcnt lgkmcnt(0)
	v_mul_f32_e32 v22, v27, v25
	v_mul_f32_e32 v25, v26, v25
	v_fma_f32 v22, v26, v24, -v22
	v_fmac_f32_e32 v25, v27, v24
	v_add_f32_e32 v21, v21, v22
	v_add_f32_e32 v23, v23, v25
.LBB166_664:
	s_or_b64 exec, exec, s[20:21]
	v_xor_b32_e32 v22, 0x80000000, v21
	v_xor_b32_e32 v21, 0x80000000, v23
.LBB166_665:
	s_or_b64 exec, exec, s[16:17]
	s_and_saveexec_b64 s[14:15], s[58:59]
	s_cbranch_execz .LBB166_667
; %bb.666:
	v_mov_b32_e32 v23, 0
	ds_read_b64 v[23:24], v23 offset:20800
	s_waitcnt lgkmcnt(0)
	v_mul_f32_e32 v26, v21, v24
	v_mul_f32_e32 v25, v22, v24
	v_fma_f32 v24, v22, v23, -v26
	v_fmac_f32_e32 v25, v21, v23
	v_mov_b32_e32 v22, v24
	v_mov_b32_e32 v21, v25
	ds_write_b64 v13, v[24:25]
.LBB166_667:
	s_or_b64 exec, exec, s[14:15]
	s_waitcnt lgkmcnt(0)
	s_barrier
	s_and_saveexec_b64 s[14:15], s[60:61]
	s_cbranch_execz .LBB166_669
; %bb.668:
	ds_read_b64 v[23:24], v12 offset:20800
	ds_read_b64 v[25:26], v13
	s_waitcnt lgkmcnt(0)
	v_mul_f32_e32 v27, v26, v24
	v_mul_f32_e32 v24, v25, v24
	v_fma_f32 v25, v25, v23, -v27
	v_fmac_f32_e32 v24, v26, v23
	v_add_f32_e32 v22, v22, v25
	v_add_f32_e32 v21, v21, v24
.LBB166_669:
	s_or_b64 exec, exec, s[14:15]
	s_barrier
	s_and_saveexec_b64 s[14:15], s[62:63]
	s_cbranch_execz .LBB166_671
; %bb.670:
	v_mov_b32_e32 v23, 0
	ds_read_b64 v[23:24], v23 offset:21320
	s_waitcnt lgkmcnt(0)
	v_mul_f32_e32 v26, v21, v24
	v_mul_f32_e32 v25, v22, v24
	v_fma_f32 v24, v22, v23, -v26
	v_fmac_f32_e32 v25, v21, v23
	v_mov_b32_e32 v22, v24
	v_mov_b32_e32 v21, v25
	ds_write_b64 v13, v[24:25]
.LBB166_671:
	s_or_b64 exec, exec, s[14:15]
	s_waitcnt lgkmcnt(0)
	s_barrier
	s_and_saveexec_b64 s[14:15], s[64:65]
	s_cbranch_execz .LBB166_673
; %bb.672:
	ds_read_b64 v[23:24], v12 offset:21312
	ds_read_b64 v[25:26], v13
	s_waitcnt lgkmcnt(0)
	v_mul_f32_e32 v27, v26, v24
	v_mul_f32_e32 v24, v25, v24
	v_fma_f32 v25, v25, v23, -v27
	v_fmac_f32_e32 v24, v26, v23
	v_add_f32_e32 v22, v22, v25
	v_add_f32_e32 v21, v21, v24
.LBB166_673:
	s_or_b64 exec, exec, s[14:15]
	s_barrier
	;; [unrolled: 32-line block ×6, first 2 shown]
	s_and_saveexec_b64 s[14:15], s[82:83]
	s_cbranch_execz .LBB166_691
; %bb.690:
	v_mov_b32_e32 v23, 0
	ds_read_b64 v[23:24], v23 offset:23920
	s_waitcnt lgkmcnt(0)
	v_mul_f32_e32 v26, v21, v24
	v_mul_f32_e32 v25, v22, v24
	v_fma_f32 v24, v22, v23, -v26
	v_fmac_f32_e32 v25, v21, v23
	v_mov_b32_e32 v22, v24
	v_mov_b32_e32 v21, v25
	ds_write_b64 v13, v[24:25]
.LBB166_691:
	s_or_b64 exec, exec, s[14:15]
	s_waitcnt lgkmcnt(0)
	s_barrier
	s_and_saveexec_b64 s[14:15], s[56:57]
	s_cbranch_execz .LBB166_693
; %bb.692:
	v_mov_b32_e32 v23, 0
	ds_read_b64 v[23:24], v23 offset:23928
	ds_read_b64 v[25:26], v13
	s_waitcnt lgkmcnt(0)
	v_mul_f32_e32 v27, v26, v24
	v_mul_f32_e32 v24, v25, v24
	v_fma_f32 v25, v25, v23, -v27
	v_fmac_f32_e32 v24, v26, v23
	v_add_f32_e32 v22, v22, v25
	v_add_f32_e32 v21, v21, v24
.LBB166_693:
	s_or_b64 exec, exec, s[14:15]
	s_barrier
	s_and_saveexec_b64 s[14:15], s[56:57]
	s_cbranch_execz .LBB166_695
; %bb.694:
	v_mov_b32_e32 v23, 0
	ds_read_b64 v[23:24], v23 offset:24440
	s_waitcnt lgkmcnt(0)
	v_mul_f32_e32 v26, v21, v24
	v_mul_f32_e32 v25, v22, v24
	v_fma_f32 v24, v22, v23, -v26
	v_fmac_f32_e32 v25, v21, v23
	v_mov_b32_e32 v22, v24
	v_mov_b32_e32 v21, v25
	ds_write_b64 v13, v[24:25]
.LBB166_695:
	s_or_b64 exec, exec, s[14:15]
	s_waitcnt lgkmcnt(0)
	s_barrier
	s_barrier
	s_and_saveexec_b64 s[14:15], s[10:11]
; %bb.696:
	v_xor_b32_e32 v23, 0x80000000, v21
	v_xor_b32_e32 v22, 0x80000000, v22
	ds_write_b64 v11, v[22:23] offset:16704
; %bb.697:
	s_or_b64 exec, exec, s[14:15]
	s_waitcnt lgkmcnt(0)
	s_barrier
	s_barrier
	s_and_saveexec_b64 s[14:15], vcc
	s_cbranch_execz .LBB166_699
; %bb.698:
	v_mov_b32_e32 v27, 0
	ds_read_b128 v[21:24], v27 offset:20800
	ds_read_b64 v[25:26], v27 offset:21320
	s_waitcnt lgkmcnt(0)
	v_mul_f32_e32 v28, v26, v22
	v_mul_f32_e32 v29, v25, v22
	v_fma_f32 v25, v25, v21, -v28
	v_fmac_f32_e32 v29, v26, v21
	v_mul_f32_e32 v21, v29, v24
	v_mul_f32_e32 v22, v25, v24
	v_fma_f32 v21, v25, v23, -v21
	v_fmac_f32_e32 v22, v29, v23
	ds_write_b64 v27, v[21:22] offset:20808
.LBB166_699:
	s_or_b64 exec, exec, s[14:15]
	v_mov_b32_e32 v21, 0
	v_mov_b32_e32 v22, 0
	s_waitcnt lgkmcnt(0)
	s_barrier
	s_and_saveexec_b64 s[16:17], s[6:7]
	s_cbranch_execz .LBB166_703
; %bb.700:
	v_mul_u32_u24_e32 v23, 0x208, v5
	ds_read_b64 v[21:22], v3 offset:20816
	ds_read_b64 v[23:24], v23 offset:20800
	v_cmp_gt_u32_e64 s[14:15], 2, v1
	s_waitcnt lgkmcnt(0)
	v_mul_f32_e32 v25, v24, v22
	v_mul_f32_e32 v22, v23, v22
	v_fma_f32 v23, v23, v21, -v25
	v_fmac_f32_e32 v22, v24, v21
	v_add_f32_e32 v21, 0, v23
	v_add_f32_e32 v23, 0, v22
	s_and_saveexec_b64 s[20:21], s[14:15]
	s_cbranch_execz .LBB166_702
; %bb.701:
	v_lshlrev_b32_e32 v22, 3, v0
	v_mov_b32_e32 v26, 0
	ds_read_b64 v[24:25], v22 offset:21328
	ds_read_b64 v[26:27], v26 offset:20808
	s_waitcnt lgkmcnt(0)
	v_mul_f32_e32 v22, v27, v25
	v_mul_f32_e32 v25, v26, v25
	v_fma_f32 v22, v26, v24, -v22
	v_fmac_f32_e32 v25, v27, v24
	v_add_f32_e32 v21, v21, v22
	v_add_f32_e32 v23, v23, v25
.LBB166_702:
	s_or_b64 exec, exec, s[20:21]
	v_xor_b32_e32 v22, 0x80000000, v21
	v_xor_b32_e32 v21, 0x80000000, v23
.LBB166_703:
	s_or_b64 exec, exec, s[16:17]
	s_and_saveexec_b64 s[14:15], s[42:43]
	s_cbranch_execz .LBB166_705
; %bb.704:
	v_mov_b32_e32 v23, 0
	ds_read_b64 v[23:24], v23 offset:21840
	s_waitcnt lgkmcnt(0)
	v_mul_f32_e32 v26, v21, v24
	v_mul_f32_e32 v25, v22, v24
	v_fma_f32 v24, v22, v23, -v26
	v_fmac_f32_e32 v25, v21, v23
	v_mov_b32_e32 v22, v24
	v_mov_b32_e32 v21, v25
	ds_write_b64 v4, v[24:25]
.LBB166_705:
	s_or_b64 exec, exec, s[14:15]
	s_waitcnt lgkmcnt(0)
	s_barrier
	s_and_saveexec_b64 s[14:15], s[40:41]
	s_cbranch_execz .LBB166_707
; %bb.706:
	v_mov_b32_e32 v23, 0
	ds_read_b64 v[23:24], v23 offset:21848
	ds_read_b64 v[25:26], v4
	s_waitcnt lgkmcnt(0)
	v_mul_f32_e32 v27, v26, v24
	v_mul_f32_e32 v24, v25, v24
	v_fma_f32 v25, v25, v23, -v27
	v_fmac_f32_e32 v24, v26, v23
	v_add_f32_e32 v22, v22, v25
	v_add_f32_e32 v21, v21, v24
.LBB166_707:
	s_or_b64 exec, exec, s[14:15]
	s_barrier
	s_and_saveexec_b64 s[14:15], s[40:41]
	s_cbranch_execz .LBB166_709
; %bb.708:
	v_mov_b32_e32 v23, 0
	ds_read_b64 v[23:24], v23 offset:22360
	s_waitcnt lgkmcnt(0)
	v_mul_f32_e32 v26, v21, v24
	v_mul_f32_e32 v25, v22, v24
	v_fma_f32 v24, v22, v23, -v26
	v_fmac_f32_e32 v25, v21, v23
	v_mov_b32_e32 v22, v24
	v_mov_b32_e32 v21, v25
	ds_write_b64 v4, v[24:25]
.LBB166_709:
	s_or_b64 exec, exec, s[14:15]
	s_waitcnt lgkmcnt(0)
	s_barrier
	s_barrier
	s_and_saveexec_b64 s[14:15], s[6:7]
; %bb.710:
	v_xor_b32_e32 v23, 0x80000000, v21
	v_xor_b32_e32 v22, 0x80000000, v22
	ds_write_b64 v3, v[22:23] offset:20816
; %bb.711:
	s_or_b64 exec, exec, s[14:15]
	s_waitcnt lgkmcnt(0)
	s_barrier
	s_barrier
	s_and_saveexec_b64 s[14:15], vcc
	s_cbranch_execz .LBB166_713
; %bb.712:
	v_mov_b32_e32 v27, 0
	ds_read_b128 v[21:24], v27 offset:21840
	ds_read_b64 v[25:26], v27 offset:22360
	s_waitcnt lgkmcnt(0)
	v_mul_f32_e32 v28, v26, v22
	v_mul_f32_e32 v29, v25, v22
	v_fma_f32 v25, v25, v21, -v28
	v_fmac_f32_e32 v29, v26, v21
	v_mul_f32_e32 v21, v29, v24
	v_mul_f32_e32 v22, v25, v24
	v_fma_f32 v21, v25, v23, -v21
	v_fmac_f32_e32 v22, v29, v23
	ds_write_b64 v27, v[21:22] offset:21848
.LBB166_713:
	s_or_b64 exec, exec, s[14:15]
	v_mov_b32_e32 v21, 0
	v_mov_b32_e32 v22, 0
	s_waitcnt lgkmcnt(0)
	s_barrier
	s_and_saveexec_b64 s[16:17], s[18:19]
	s_cbranch_execz .LBB166_719
; %bb.714:
	v_mul_u32_u24_e32 v22, 0x208, v10
	ds_read_b64 v[23:24], v6 offset:20832
	ds_read_b64 v[25:26], v22 offset:20800
	v_cmp_gt_u32_e64 s[14:15], 12, v1
	s_waitcnt lgkmcnt(0)
	v_mul_f32_e32 v21, v26, v24
	v_mul_f32_e32 v24, v25, v24
	v_fma_f32 v21, v25, v23, -v21
	v_fmac_f32_e32 v24, v26, v23
	v_add_f32_e32 v21, 0, v21
	v_add_f32_e32 v23, 0, v24
	s_and_saveexec_b64 s[20:21], s[14:15]
	s_cbranch_execnz .LBB166_1088
; %bb.715:
	s_or_b64 exec, exec, s[20:21]
	v_cmp_gt_u32_e64 s[14:15], 8, v1
	s_and_saveexec_b64 s[20:21], s[14:15]
	s_cbranch_execnz .LBB166_1089
.LBB166_716:
	s_or_b64 exec, exec, s[20:21]
	v_cmp_gt_u32_e64 s[14:15], 4, v1
	s_and_saveexec_b64 s[20:21], s[14:15]
	s_cbranch_execz .LBB166_718
.LBB166_717:
	v_lshlrev_b32_e32 v22, 3, v0
	v_mov_b32_e32 v26, 0
	ds_read_b64 v[24:25], v22 offset:22368
	ds_read_b64 v[26:27], v26 offset:20824
	s_waitcnt lgkmcnt(0)
	v_mul_f32_e32 v22, v27, v25
	v_mul_f32_e32 v25, v26, v25
	v_fma_f32 v22, v26, v24, -v22
	v_fmac_f32_e32 v25, v27, v24
	v_add_f32_e32 v21, v21, v22
	v_add_f32_e32 v23, v23, v25
.LBB166_718:
	s_or_b64 exec, exec, s[20:21]
	v_xor_b32_e32 v22, 0x80000000, v21
	v_xor_b32_e32 v21, 0x80000000, v23
.LBB166_719:
	s_or_b64 exec, exec, s[16:17]
	s_and_saveexec_b64 s[14:15], s[46:47]
	s_cbranch_execz .LBB166_721
; %bb.720:
	v_mov_b32_e32 v23, 0
	ds_read_b64 v[23:24], v23 offset:22880
	s_waitcnt lgkmcnt(0)
	v_mul_f32_e32 v26, v21, v24
	v_mul_f32_e32 v25, v22, v24
	v_fma_f32 v24, v22, v23, -v26
	v_fmac_f32_e32 v25, v21, v23
	v_mov_b32_e32 v22, v24
	v_mov_b32_e32 v21, v25
	ds_write_b64 v8, v[24:25]
.LBB166_721:
	s_or_b64 exec, exec, s[14:15]
	s_waitcnt lgkmcnt(0)
	s_barrier
	s_and_saveexec_b64 s[14:15], s[48:49]
	s_cbranch_execz .LBB166_723
; %bb.722:
	ds_read_b64 v[23:24], v7 offset:22880
	ds_read_b64 v[25:26], v8
	s_waitcnt lgkmcnt(0)
	v_mul_f32_e32 v27, v26, v24
	v_mul_f32_e32 v24, v25, v24
	v_fma_f32 v25, v25, v23, -v27
	v_fmac_f32_e32 v24, v26, v23
	v_add_f32_e32 v22, v22, v25
	v_add_f32_e32 v21, v21, v24
.LBB166_723:
	s_or_b64 exec, exec, s[14:15]
	s_barrier
	s_and_saveexec_b64 s[14:15], s[50:51]
	s_cbranch_execz .LBB166_725
; %bb.724:
	v_mov_b32_e32 v23, 0
	ds_read_b64 v[23:24], v23 offset:23400
	s_waitcnt lgkmcnt(0)
	v_mul_f32_e32 v26, v21, v24
	v_mul_f32_e32 v25, v22, v24
	v_fma_f32 v24, v22, v23, -v26
	v_fmac_f32_e32 v25, v21, v23
	v_mov_b32_e32 v22, v24
	v_mov_b32_e32 v21, v25
	ds_write_b64 v8, v[24:25]
.LBB166_725:
	s_or_b64 exec, exec, s[14:15]
	s_waitcnt lgkmcnt(0)
	s_barrier
	s_and_saveexec_b64 s[14:15], s[52:53]
	s_cbranch_execz .LBB166_727
; %bb.726:
	ds_read_b64 v[23:24], v7 offset:23392
	ds_read_b64 v[25:26], v8
	s_waitcnt lgkmcnt(0)
	v_mul_f32_e32 v27, v26, v24
	v_mul_f32_e32 v24, v25, v24
	v_fma_f32 v25, v25, v23, -v27
	v_fmac_f32_e32 v24, v26, v23
	v_add_f32_e32 v22, v22, v25
	v_add_f32_e32 v21, v21, v24
.LBB166_727:
	s_or_b64 exec, exec, s[14:15]
	s_barrier
	s_and_saveexec_b64 s[14:15], s[54:55]
	s_cbranch_execz .LBB166_729
; %bb.728:
	v_mov_b32_e32 v23, 0
	ds_read_b64 v[23:24], v23 offset:23920
	s_waitcnt lgkmcnt(0)
	v_mul_f32_e32 v26, v21, v24
	v_mul_f32_e32 v25, v22, v24
	v_fma_f32 v24, v22, v23, -v26
	v_fmac_f32_e32 v25, v21, v23
	v_mov_b32_e32 v22, v24
	v_mov_b32_e32 v21, v25
	ds_write_b64 v8, v[24:25]
.LBB166_729:
	s_or_b64 exec, exec, s[14:15]
	s_waitcnt lgkmcnt(0)
	s_barrier
	s_and_saveexec_b64 s[14:15], s[44:45]
	s_cbranch_execz .LBB166_731
; %bb.730:
	v_mov_b32_e32 v23, 0
	ds_read_b64 v[23:24], v23 offset:23928
	ds_read_b64 v[25:26], v8
	s_waitcnt lgkmcnt(0)
	v_mul_f32_e32 v27, v26, v24
	v_mul_f32_e32 v24, v25, v24
	v_fma_f32 v25, v25, v23, -v27
	v_fmac_f32_e32 v24, v26, v23
	v_add_f32_e32 v22, v22, v25
	v_add_f32_e32 v21, v21, v24
.LBB166_731:
	s_or_b64 exec, exec, s[14:15]
	s_barrier
	s_and_saveexec_b64 s[14:15], s[44:45]
	s_cbranch_execz .LBB166_733
; %bb.732:
	v_mov_b32_e32 v23, 0
	ds_read_b64 v[23:24], v23 offset:24440
	s_waitcnt lgkmcnt(0)
	v_mul_f32_e32 v26, v21, v24
	v_mul_f32_e32 v25, v22, v24
	v_fma_f32 v24, v22, v23, -v26
	v_fmac_f32_e32 v25, v21, v23
	v_mov_b32_e32 v22, v24
	v_mov_b32_e32 v21, v25
	ds_write_b64 v8, v[24:25]
.LBB166_733:
	s_or_b64 exec, exec, s[14:15]
	s_waitcnt lgkmcnt(0)
	s_barrier
	s_barrier
	s_and_saveexec_b64 s[14:15], s[18:19]
; %bb.734:
	v_xor_b32_e32 v22, 0x80000000, v22
	v_xor_b32_e32 v23, 0x80000000, v21
	ds_write_b64 v6, v[22:23] offset:20832
; %bb.735:
	s_or_b64 exec, exec, s[14:15]
	s_waitcnt lgkmcnt(0)
	s_barrier
	s_barrier
	s_and_saveexec_b64 s[14:15], vcc
	s_cbranch_execz .LBB166_737
; %bb.736:
	v_mov_b32_e32 v27, 0
	ds_read_b128 v[21:24], v27 offset:22880
	ds_read_b64 v[25:26], v27 offset:23400
	s_waitcnt lgkmcnt(0)
	v_mul_f32_e32 v28, v26, v22
	v_mul_f32_e32 v29, v25, v22
	v_fma_f32 v25, v25, v21, -v28
	v_fmac_f32_e32 v29, v26, v21
	v_mul_f32_e32 v21, v29, v24
	v_mul_f32_e32 v22, v25, v24
	v_fma_f32 v21, v25, v23, -v21
	v_fmac_f32_e32 v22, v29, v23
	ds_write_b64 v27, v[21:22] offset:22888
.LBB166_737:
	s_or_b64 exec, exec, s[14:15]
	v_mov_b32_e32 v21, 0
	v_mov_b32_e32 v22, 0
	s_waitcnt lgkmcnt(0)
	s_barrier
	s_and_saveexec_b64 s[16:17], s[6:7]
	s_cbranch_execz .LBB166_741
; %bb.738:
	v_mul_u32_u24_e32 v23, 0x208, v5
	ds_read_b64 v[21:22], v3 offset:22896
	ds_read_b64 v[23:24], v23 offset:22880
	v_cmp_gt_u32_e64 s[14:15], 2, v1
	s_waitcnt lgkmcnt(0)
	v_mul_f32_e32 v25, v24, v22
	v_mul_f32_e32 v22, v23, v22
	v_fma_f32 v23, v23, v21, -v25
	v_fmac_f32_e32 v22, v24, v21
	v_add_f32_e32 v21, 0, v23
	v_add_f32_e32 v23, 0, v22
	s_and_saveexec_b64 s[20:21], s[14:15]
	s_cbranch_execz .LBB166_740
; %bb.739:
	v_lshlrev_b32_e32 v22, 3, v0
	v_mov_b32_e32 v26, 0
	ds_read_b64 v[24:25], v22 offset:23408
	ds_read_b64 v[26:27], v26 offset:22888
	s_waitcnt lgkmcnt(0)
	v_mul_f32_e32 v22, v27, v25
	v_mul_f32_e32 v25, v26, v25
	v_fma_f32 v22, v26, v24, -v22
	v_fmac_f32_e32 v25, v27, v24
	v_add_f32_e32 v21, v21, v22
	v_add_f32_e32 v23, v23, v25
.LBB166_740:
	s_or_b64 exec, exec, s[20:21]
	v_xor_b32_e32 v22, 0x80000000, v21
	v_xor_b32_e32 v21, 0x80000000, v23
.LBB166_741:
	s_or_b64 exec, exec, s[16:17]
	s_and_saveexec_b64 s[14:15], s[42:43]
	s_cbranch_execz .LBB166_743
; %bb.742:
	v_mov_b32_e32 v23, 0
	ds_read_b64 v[23:24], v23 offset:23920
	s_waitcnt lgkmcnt(0)
	v_mul_f32_e32 v26, v21, v24
	v_mul_f32_e32 v25, v22, v24
	v_fma_f32 v24, v22, v23, -v26
	v_fmac_f32_e32 v25, v21, v23
	v_mov_b32_e32 v22, v24
	v_mov_b32_e32 v21, v25
	ds_write_b64 v4, v[24:25]
.LBB166_743:
	s_or_b64 exec, exec, s[14:15]
	s_waitcnt lgkmcnt(0)
	s_barrier
	s_and_saveexec_b64 s[14:15], s[40:41]
	s_cbranch_execz .LBB166_745
; %bb.744:
	v_mov_b32_e32 v23, 0
	ds_read_b64 v[23:24], v23 offset:23928
	ds_read_b64 v[25:26], v4
	s_waitcnt lgkmcnt(0)
	v_mul_f32_e32 v27, v26, v24
	v_mul_f32_e32 v24, v25, v24
	v_fma_f32 v25, v25, v23, -v27
	v_fmac_f32_e32 v24, v26, v23
	v_add_f32_e32 v22, v22, v25
	v_add_f32_e32 v21, v21, v24
.LBB166_745:
	s_or_b64 exec, exec, s[14:15]
	s_barrier
	s_and_saveexec_b64 s[14:15], s[40:41]
	s_cbranch_execz .LBB166_747
; %bb.746:
	v_mov_b32_e32 v23, 0
	ds_read_b64 v[23:24], v23 offset:24440
	s_waitcnt lgkmcnt(0)
	v_mul_f32_e32 v26, v21, v24
	v_mul_f32_e32 v25, v22, v24
	v_fma_f32 v24, v22, v23, -v26
	v_fmac_f32_e32 v25, v21, v23
	v_mov_b32_e32 v22, v24
	v_mov_b32_e32 v21, v25
	ds_write_b64 v4, v[24:25]
.LBB166_747:
	s_or_b64 exec, exec, s[14:15]
	s_waitcnt lgkmcnt(0)
	s_barrier
	s_barrier
	s_and_saveexec_b64 s[14:15], s[6:7]
; %bb.748:
	v_xor_b32_e32 v23, 0x80000000, v21
	v_xor_b32_e32 v22, 0x80000000, v22
	ds_write_b64 v3, v[22:23] offset:22896
; %bb.749:
	s_or_b64 exec, exec, s[14:15]
	s_waitcnt lgkmcnt(0)
	s_barrier
	s_barrier
	s_and_saveexec_b64 s[14:15], vcc
	s_cbranch_execz .LBB166_751
; %bb.750:
	v_mov_b32_e32 v27, 0
	ds_read_b128 v[21:24], v27 offset:23920
	ds_read_b64 v[25:26], v27 offset:24440
	s_waitcnt lgkmcnt(0)
	v_mul_f32_e32 v28, v26, v22
	v_mul_f32_e32 v29, v25, v22
	v_fma_f32 v25, v25, v21, -v28
	v_fmac_f32_e32 v29, v26, v21
	v_mul_f32_e32 v21, v29, v24
	v_mul_f32_e32 v22, v25, v24
	v_fma_f32 v21, v25, v23, -v21
	v_fmac_f32_e32 v22, v29, v23
	ds_write_b64 v27, v[21:22] offset:23928
.LBB166_751:
	s_or_b64 exec, exec, s[14:15]
	v_mov_b32_e32 v21, 0
	v_mov_b32_e32 v22, 0
	s_waitcnt lgkmcnt(0)
	s_barrier
	s_and_saveexec_b64 s[16:17], s[12:13]
	s_cbranch_execz .LBB166_779
; %bb.752:
	v_mul_u32_u24_e32 v22, 0x208, v20
	ds_read_b64 v[23:24], v16 offset:16768
	ds_read_b64 v[25:26], v22 offset:16640
	s_movk_i32 s14, 0xf0
	v_cmp_gt_u32_e64 s[14:15], s14, v1
	s_waitcnt lgkmcnt(0)
	v_mul_f32_e32 v21, v26, v24
	v_mul_f32_e32 v24, v25, v24
	v_fma_f32 v21, v25, v23, -v21
	v_fmac_f32_e32 v24, v26, v23
	v_add_f32_e32 v21, 0, v21
	v_add_f32_e32 v23, 0, v24
	s_and_saveexec_b64 s[20:21], s[14:15]
	s_cbranch_execz .LBB166_754
; %bb.753:
	v_lshlrev_b32_e32 v24, 3, v20
	v_sub_u32_e32 v24, v22, v24
	v_lshl_add_u32 v24, v17, 3, v24
	ds_read_b64 v[24:25], v24 offset:17280
	ds_read_b64 v[26:27], v22 offset:16648
	s_waitcnt lgkmcnt(0)
	v_mul_f32_e32 v28, v27, v25
	v_mul_f32_e32 v25, v26, v25
	v_fma_f32 v26, v26, v24, -v28
	v_fmac_f32_e32 v25, v27, v24
	v_add_f32_e32 v21, v21, v26
	v_add_f32_e32 v23, v23, v25
.LBB166_754:
	s_or_b64 exec, exec, s[20:21]
	s_movk_i32 s14, 0xe0
	v_cmp_gt_u32_e64 s[14:15], s14, v1
	s_and_saveexec_b64 s[20:21], s[14:15]
	s_cbranch_execz .LBB166_756
; %bb.755:
	v_lshlrev_b32_e32 v24, 3, v20
	v_sub_u32_e32 v24, v22, v24
	v_lshl_add_u32 v24, v17, 3, v24
	ds_read_b64 v[24:25], v24 offset:17792
	ds_read_b64 v[26:27], v22 offset:16656
	s_waitcnt lgkmcnt(0)
	v_mul_f32_e32 v28, v27, v25
	v_mul_f32_e32 v25, v26, v25
	v_fma_f32 v26, v26, v24, -v28
	v_fmac_f32_e32 v25, v27, v24
	v_add_f32_e32 v21, v21, v26
	v_add_f32_e32 v23, v23, v25
.LBB166_756:
	s_or_b64 exec, exec, s[20:21]
	s_movk_i32 s14, 0xd0
	v_cmp_gt_u32_e64 s[14:15], s14, v1
	;; [unrolled: 19-line block ×6, first 2 shown]
	s_and_saveexec_b64 s[20:21], s[14:15]
	s_cbranch_execz .LBB166_766
; %bb.765:
	v_lshlrev_b32_e32 v20, 3, v17
	v_lshl_add_u32 v20, v19, 3, v20
	ds_read_b64 v[24:25], v20 offset:20352
	ds_read_b64 v[26:27], v22 offset:16696
	s_waitcnt lgkmcnt(0)
	v_mul_f32_e32 v20, v27, v25
	v_mul_f32_e32 v25, v26, v25
	v_fma_f32 v20, v26, v24, -v20
	v_fmac_f32_e32 v25, v27, v24
	v_add_f32_e32 v21, v21, v20
	v_add_f32_e32 v23, v23, v25
.LBB166_766:
	s_or_b64 exec, exec, s[20:21]
	s_movk_i32 s14, 0x80
	v_cmp_gt_u32_e64 s[14:15], s14, v1
	s_and_saveexec_b64 s[20:21], s[14:15]
	s_cbranch_execz .LBB166_768
; %bb.767:
	ds_read_b64 v[24:25], v16 offset:20864
	ds_read_b64 v[26:27], v22 offset:16704
	s_waitcnt lgkmcnt(0)
	v_mul_f32_e32 v20, v27, v25
	v_mul_f32_e32 v25, v26, v25
	v_fma_f32 v20, v26, v24, -v20
	v_fmac_f32_e32 v25, v27, v24
	v_add_f32_e32 v21, v21, v20
	v_add_f32_e32 v23, v23, v25
.LBB166_768:
	s_or_b64 exec, exec, s[20:21]
	s_movk_i32 s14, 0x70
	v_cmp_gt_u32_e64 s[14:15], s14, v1
	s_and_saveexec_b64 s[20:21], s[14:15]
	s_cbranch_execz .LBB166_770
; %bb.769:
	v_lshlrev_b32_e32 v20, 3, v17
	v_lshl_add_u32 v20, v19, 3, v20
	ds_read_b64 v[24:25], v20 offset:21376
	ds_read_b64 v[26:27], v22 offset:16712
	s_waitcnt lgkmcnt(0)
	v_mul_f32_e32 v20, v27, v25
	v_mul_f32_e32 v25, v26, v25
	v_fma_f32 v20, v26, v24, -v20
	v_fmac_f32_e32 v25, v27, v24
	v_add_f32_e32 v21, v21, v20
	v_add_f32_e32 v23, v23, v25
.LBB166_770:
	s_or_b64 exec, exec, s[20:21]
	s_movk_i32 s14, 0x60
	v_cmp_gt_u32_e64 s[14:15], s14, v1
	s_and_saveexec_b64 s[20:21], s[14:15]
	s_cbranch_execz .LBB166_772
; %bb.771:
	v_lshlrev_b32_e32 v20, 3, v17
	v_lshl_add_u32 v20, v19, 3, v20
	ds_read_b64 v[24:25], v20 offset:21888
	ds_read_b64 v[26:27], v22 offset:16720
	s_waitcnt lgkmcnt(0)
	v_mul_f32_e32 v20, v27, v25
	v_mul_f32_e32 v25, v26, v25
	v_fma_f32 v20, v26, v24, -v20
	v_fmac_f32_e32 v25, v27, v24
	v_add_f32_e32 v21, v21, v20
	v_add_f32_e32 v23, v23, v25
.LBB166_772:
	s_or_b64 exec, exec, s[20:21]
	s_movk_i32 s14, 0x50
	v_cmp_gt_u32_e64 s[14:15], s14, v1
	s_and_saveexec_b64 s[20:21], s[14:15]
	s_cbranch_execnz .LBB166_1090
; %bb.773:
	s_or_b64 exec, exec, s[20:21]
	v_cmp_gt_u32_e64 s[14:15], 64, v1
	s_and_saveexec_b64 s[20:21], s[14:15]
	s_cbranch_execnz .LBB166_1091
.LBB166_774:
	s_or_b64 exec, exec, s[20:21]
	v_cmp_gt_u32_e64 s[14:15], 48, v1
	s_and_saveexec_b64 s[20:21], s[14:15]
	s_cbranch_execnz .LBB166_1092
.LBB166_775:
	s_or_b64 exec, exec, s[20:21]
	v_cmp_gt_u32_e64 s[14:15], 32, v1
	s_and_saveexec_b64 s[20:21], s[14:15]
	s_cbranch_execnz .LBB166_1093
.LBB166_776:
	s_or_b64 exec, exec, s[20:21]
	v_cmp_gt_u32_e64 s[14:15], 16, v1
	s_and_saveexec_b64 s[20:21], s[14:15]
	s_cbranch_execz .LBB166_778
.LBB166_777:
	v_lshlrev_b32_e32 v19, 3, v0
	v_mov_b32_e32 v22, 0
	ds_read_b64 v[19:20], v19 offset:24448
	ds_read_b64 v[24:25], v22 offset:16760
	s_waitcnt lgkmcnt(0)
	v_mul_f32_e32 v22, v25, v20
	v_mul_f32_e32 v20, v24, v20
	v_fma_f32 v22, v24, v19, -v22
	v_fmac_f32_e32 v20, v25, v19
	v_add_f32_e32 v21, v21, v22
	v_add_f32_e32 v23, v23, v20
.LBB166_778:
	s_or_b64 exec, exec, s[20:21]
	v_xor_b32_e32 v22, 0x80000000, v21
	v_xor_b32_e32 v21, 0x80000000, v23
.LBB166_779:
	s_or_b64 exec, exec, s[16:17]
	s_mov_b64 s[14:15], exec
	v_readlane_b32 s16, v34, 3
	v_readlane_b32 s17, v34, 4
	s_and_b64 s[16:17], s[14:15], s[16:17]
	s_mov_b64 exec, s[16:17]
	s_cbranch_execz .LBB166_781
; %bb.780:
	v_mov_b32_e32 v19, 0
	ds_read_b64 v[19:20], v19 offset:24960
	s_waitcnt lgkmcnt(0)
	v_mul_f32_e32 v23, v22, v20
	v_mul_f32_e32 v24, v21, v20
	v_fmac_f32_e32 v23, v21, v19
	v_fma_f32 v22, v22, v19, -v24
	v_mov_b32_e32 v21, v23
	ds_write_b64 v18, v[22:23]
.LBB166_781:
	s_or_b64 exec, exec, s[14:15]
	s_waitcnt lgkmcnt(0)
	s_barrier
	s_mov_b64 s[14:15], exec
	v_readlane_b32 s16, v34, 5
	v_readlane_b32 s17, v34, 6
	s_and_b64 s[16:17], s[14:15], s[16:17]
	s_mov_b64 exec, s[16:17]
	s_cbranch_execz .LBB166_783
; %bb.782:
	v_lshlrev_b32_e32 v19, 3, v17
	ds_read_b64 v[19:20], v19 offset:24960
	ds_read_b64 v[23:24], v18
	s_waitcnt lgkmcnt(0)
	v_mul_f32_e32 v25, v24, v20
	v_mul_f32_e32 v20, v23, v20
	v_fma_f32 v23, v23, v19, -v25
	v_fmac_f32_e32 v20, v24, v19
	v_add_f32_e32 v22, v22, v23
	v_add_f32_e32 v21, v21, v20
.LBB166_783:
	s_or_b64 exec, exec, s[14:15]
	s_barrier
	s_mov_b64 s[14:15], exec
	v_readlane_b32 s16, v34, 7
	v_readlane_b32 s17, v34, 8
	s_and_b64 s[16:17], s[14:15], s[16:17]
	s_mov_b64 exec, s[16:17]
	s_cbranch_execz .LBB166_785
; %bb.784:
	v_mov_b32_e32 v19, 0
	ds_read_b64 v[19:20], v19 offset:25480
	s_waitcnt lgkmcnt(0)
	v_mul_f32_e32 v23, v22, v20
	v_mul_f32_e32 v24, v21, v20
	v_fmac_f32_e32 v23, v21, v19
	v_fma_f32 v22, v22, v19, -v24
	v_mov_b32_e32 v21, v23
	ds_write_b64 v18, v[22:23]
.LBB166_785:
	s_or_b64 exec, exec, s[14:15]
	s_waitcnt lgkmcnt(0)
	s_barrier
	s_mov_b64 s[14:15], exec
	v_readlane_b32 s16, v34, 9
	v_readlane_b32 s17, v34, 10
	s_and_b64 s[16:17], s[14:15], s[16:17]
	s_mov_b64 exec, s[16:17]
	s_cbranch_execz .LBB166_787
; %bb.786:
	v_lshlrev_b32_e32 v19, 3, v17
	ds_read_b64 v[19:20], v19 offset:25472
	ds_read_b64 v[23:24], v18
	s_waitcnt lgkmcnt(0)
	v_mul_f32_e32 v25, v24, v20
	v_mul_f32_e32 v20, v23, v20
	v_fma_f32 v23, v23, v19, -v25
	v_fmac_f32_e32 v20, v24, v19
	v_add_f32_e32 v22, v22, v23
	v_add_f32_e32 v21, v21, v20
.LBB166_787:
	s_or_b64 exec, exec, s[14:15]
	s_barrier
	;; [unrolled: 40-line block ×11, first 2 shown]
	s_mov_b64 s[14:15], exec
	v_readlane_b32 s16, v34, 47
	v_readlane_b32 s17, v34, 48
	s_and_b64 s[16:17], s[14:15], s[16:17]
	s_mov_b64 exec, s[16:17]
	s_cbranch_execz .LBB166_825
; %bb.824:
	v_mov_b32_e32 v19, 0
	ds_read_b64 v[19:20], v19 offset:30680
	s_waitcnt lgkmcnt(0)
	v_mul_f32_e32 v23, v22, v20
	v_mul_f32_e32 v24, v21, v20
	v_fmac_f32_e32 v23, v21, v19
	v_fma_f32 v22, v22, v19, -v24
	v_mov_b32_e32 v21, v23
	ds_write_b64 v18, v[22:23]
.LBB166_825:
	s_or_b64 exec, exec, s[14:15]
	s_waitcnt lgkmcnt(0)
	s_barrier
	s_and_saveexec_b64 s[14:15], s[88:89]
	s_cbranch_execz .LBB166_827
; %bb.826:
	v_lshlrev_b32_e32 v19, 3, v17
	ds_read_b64 v[19:20], v19 offset:30592
	ds_read_b64 v[23:24], v18
	s_waitcnt lgkmcnt(0)
	v_mul_f32_e32 v25, v24, v20
	v_mul_f32_e32 v20, v23, v20
	v_fma_f32 v23, v23, v19, -v25
	v_fmac_f32_e32 v20, v24, v19
	v_add_f32_e32 v22, v22, v23
	v_add_f32_e32 v21, v21, v20
.LBB166_827:
	s_or_b64 exec, exec, s[14:15]
	s_barrier
	s_and_saveexec_b64 s[14:15], s[90:91]
	s_cbranch_execz .LBB166_829
; %bb.828:
	v_mov_b32_e32 v19, 0
	ds_read_b64 v[19:20], v19 offset:31200
	s_waitcnt lgkmcnt(0)
	v_mul_f32_e32 v23, v22, v20
	v_mul_f32_e32 v24, v21, v20
	v_fmac_f32_e32 v23, v21, v19
	v_fma_f32 v22, v22, v19, -v24
	v_mov_b32_e32 v21, v23
	ds_write_b64 v18, v[22:23]
.LBB166_829:
	s_or_b64 exec, exec, s[14:15]
	s_waitcnt lgkmcnt(0)
	s_barrier
	s_and_saveexec_b64 s[14:15], s[92:93]
	s_cbranch_execz .LBB166_831
; %bb.830:
	v_lshlrev_b32_e32 v19, 3, v17
	ds_read_b64 v[19:20], v19 offset:31104
	ds_read_b64 v[23:24], v18
	s_waitcnt lgkmcnt(0)
	v_mul_f32_e32 v25, v24, v20
	v_mul_f32_e32 v20, v23, v20
	v_fma_f32 v23, v23, v19, -v25
	v_fmac_f32_e32 v20, v24, v19
	v_add_f32_e32 v22, v22, v23
	v_add_f32_e32 v21, v21, v20
.LBB166_831:
	s_or_b64 exec, exec, s[14:15]
	s_barrier
	s_and_saveexec_b64 s[14:15], s[94:95]
	s_cbranch_execz .LBB166_833
; %bb.832:
	v_mov_b32_e32 v19, 0
	ds_read_b64 v[19:20], v19 offset:31720
	s_waitcnt lgkmcnt(0)
	v_mul_f32_e32 v23, v22, v20
	v_mul_f32_e32 v24, v21, v20
	v_fmac_f32_e32 v23, v21, v19
	v_fma_f32 v22, v22, v19, -v24
	v_mov_b32_e32 v21, v23
	ds_write_b64 v18, v[22:23]
.LBB166_833:
	s_or_b64 exec, exec, s[14:15]
	s_waitcnt lgkmcnt(0)
	s_barrier
	s_and_saveexec_b64 s[14:15], s[96:97]
	s_cbranch_execz .LBB166_835
; %bb.834:
	v_lshlrev_b32_e32 v17, 3, v17
	ds_read_b64 v[19:20], v17 offset:31616
	ds_read_b64 v[23:24], v18
	s_waitcnt lgkmcnt(0)
	v_mul_f32_e32 v17, v24, v20
	v_mul_f32_e32 v20, v23, v20
	v_fma_f32 v17, v23, v19, -v17
	v_fmac_f32_e32 v20, v24, v19
	v_add_f32_e32 v22, v22, v17
	v_add_f32_e32 v21, v21, v20
.LBB166_835:
	s_or_b64 exec, exec, s[14:15]
	s_barrier
	s_and_saveexec_b64 s[14:15], s[34:35]
	s_cbranch_execz .LBB166_837
; %bb.836:
	v_mov_b32_e32 v17, 0
	ds_read_b64 v[19:20], v17 offset:32240
	s_waitcnt lgkmcnt(0)
	v_mul_f32_e32 v23, v22, v20
	v_mul_f32_e32 v17, v21, v20
	v_fmac_f32_e32 v23, v21, v19
	v_fma_f32 v22, v22, v19, -v17
	v_mov_b32_e32 v21, v23
	ds_write_b64 v18, v[22:23]
.LBB166_837:
	s_or_b64 exec, exec, s[14:15]
	s_waitcnt lgkmcnt(0)
	s_barrier
	s_and_saveexec_b64 s[14:15], s[22:23]
	s_cbranch_execz .LBB166_839
; %bb.838:
	v_mov_b32_e32 v17, 0
	ds_read_b64 v[19:20], v17 offset:32248
	ds_read_b64 v[23:24], v18
	s_waitcnt lgkmcnt(0)
	v_mul_f32_e32 v17, v24, v20
	v_mul_f32_e32 v20, v23, v20
	v_fma_f32 v17, v23, v19, -v17
	v_fmac_f32_e32 v20, v24, v19
	v_add_f32_e32 v22, v22, v17
	v_add_f32_e32 v21, v21, v20
.LBB166_839:
	s_or_b64 exec, exec, s[14:15]
	s_barrier
	s_and_saveexec_b64 s[14:15], s[22:23]
	s_cbranch_execz .LBB166_841
; %bb.840:
	v_mov_b32_e32 v17, 0
	ds_read_b64 v[19:20], v17 offset:32760
	s_waitcnt lgkmcnt(0)
	v_mul_f32_e32 v23, v22, v20
	v_mul_f32_e32 v17, v21, v20
	v_fmac_f32_e32 v23, v21, v19
	v_fma_f32 v22, v22, v19, -v17
	v_mov_b32_e32 v21, v23
	ds_write_b64 v18, v[22:23]
.LBB166_841:
	s_or_b64 exec, exec, s[14:15]
	s_waitcnt lgkmcnt(0)
	s_barrier
	s_barrier
	s_and_saveexec_b64 s[14:15], s[12:13]
; %bb.842:
	v_xor_b32_e32 v17, 0x80000000, v22
	v_xor_b32_e32 v18, 0x80000000, v21
	ds_write_b64 v16, v[17:18] offset:16768
; %bb.843:
	s_or_b64 exec, exec, s[14:15]
	s_waitcnt lgkmcnt(0)
	s_barrier
	s_barrier
	s_and_saveexec_b64 s[12:13], vcc
	s_cbranch_execz .LBB166_845
; %bb.844:
	v_mov_b32_e32 v22, 0
	ds_read_b128 v[16:19], v22 offset:24960
	ds_read_b64 v[20:21], v22 offset:25480
	s_waitcnt lgkmcnt(0)
	v_mul_f32_e32 v23, v21, v17
	v_mul_f32_e32 v24, v20, v17
	v_fma_f32 v20, v20, v16, -v23
	v_fmac_f32_e32 v24, v21, v16
	v_mul_f32_e32 v16, v24, v19
	v_mul_f32_e32 v17, v20, v19
	v_fma_f32 v16, v20, v18, -v16
	v_fmac_f32_e32 v17, v24, v18
	ds_write_b64 v22, v[16:17] offset:24968
.LBB166_845:
	s_or_b64 exec, exec, s[12:13]
	v_mov_b32_e32 v16, 0
	v_mov_b32_e32 v17, 0
	s_waitcnt lgkmcnt(0)
	s_barrier
	s_and_saveexec_b64 s[14:15], s[6:7]
	s_cbranch_execz .LBB166_849
; %bb.846:
	v_mul_u32_u24_e32 v18, 0x208, v5
	ds_read_b64 v[16:17], v3 offset:24976
	ds_read_b64 v[18:19], v18 offset:24960
	v_cmp_gt_u32_e64 s[12:13], 2, v1
	s_waitcnt lgkmcnt(0)
	v_mul_f32_e32 v20, v19, v17
	v_mul_f32_e32 v17, v18, v17
	v_fma_f32 v18, v18, v16, -v20
	v_fmac_f32_e32 v17, v19, v16
	v_add_f32_e32 v16, 0, v18
	v_add_f32_e32 v18, 0, v17
	s_and_saveexec_b64 s[16:17], s[12:13]
	s_cbranch_execz .LBB166_848
; %bb.847:
	v_lshlrev_b32_e32 v17, 3, v0
	v_mov_b32_e32 v21, 0
	ds_read_b64 v[19:20], v17 offset:25488
	ds_read_b64 v[21:22], v21 offset:24968
	s_waitcnt lgkmcnt(0)
	v_mul_f32_e32 v17, v22, v20
	v_mul_f32_e32 v20, v21, v20
	v_fma_f32 v17, v21, v19, -v17
	v_fmac_f32_e32 v20, v22, v19
	v_add_f32_e32 v16, v16, v17
	v_add_f32_e32 v18, v18, v20
.LBB166_848:
	s_or_b64 exec, exec, s[16:17]
	v_xor_b32_e32 v17, 0x80000000, v16
	v_xor_b32_e32 v16, 0x80000000, v18
.LBB166_849:
	s_or_b64 exec, exec, s[14:15]
	s_and_saveexec_b64 s[12:13], s[42:43]
	s_cbranch_execz .LBB166_851
; %bb.850:
	v_mov_b32_e32 v18, 0
	ds_read_b64 v[18:19], v18 offset:26000
	s_waitcnt lgkmcnt(0)
	v_mul_f32_e32 v21, v16, v19
	v_mul_f32_e32 v20, v17, v19
	v_fma_f32 v19, v17, v18, -v21
	v_fmac_f32_e32 v20, v16, v18
	v_mov_b32_e32 v17, v19
	v_mov_b32_e32 v16, v20
	ds_write_b64 v4, v[19:20]
.LBB166_851:
	s_or_b64 exec, exec, s[12:13]
	s_waitcnt lgkmcnt(0)
	s_barrier
	s_and_saveexec_b64 s[12:13], s[40:41]
	s_cbranch_execz .LBB166_853
; %bb.852:
	v_mov_b32_e32 v18, 0
	ds_read_b64 v[18:19], v18 offset:26008
	ds_read_b64 v[20:21], v4
	s_waitcnt lgkmcnt(0)
	v_mul_f32_e32 v22, v21, v19
	v_mul_f32_e32 v19, v20, v19
	v_fma_f32 v20, v20, v18, -v22
	v_fmac_f32_e32 v19, v21, v18
	v_add_f32_e32 v17, v17, v20
	v_add_f32_e32 v16, v16, v19
.LBB166_853:
	s_or_b64 exec, exec, s[12:13]
	s_barrier
	s_and_saveexec_b64 s[12:13], s[40:41]
	s_cbranch_execz .LBB166_855
; %bb.854:
	v_mov_b32_e32 v18, 0
	ds_read_b64 v[18:19], v18 offset:26520
	s_waitcnt lgkmcnt(0)
	v_mul_f32_e32 v21, v16, v19
	v_mul_f32_e32 v20, v17, v19
	v_fma_f32 v19, v17, v18, -v21
	v_fmac_f32_e32 v20, v16, v18
	v_mov_b32_e32 v17, v19
	v_mov_b32_e32 v16, v20
	ds_write_b64 v4, v[19:20]
.LBB166_855:
	s_or_b64 exec, exec, s[12:13]
	s_waitcnt lgkmcnt(0)
	s_barrier
	s_barrier
	s_and_saveexec_b64 s[12:13], s[6:7]
; %bb.856:
	v_xor_b32_e32 v18, 0x80000000, v16
	v_xor_b32_e32 v17, 0x80000000, v17
	ds_write_b64 v3, v[17:18] offset:24976
; %bb.857:
	s_or_b64 exec, exec, s[12:13]
	s_waitcnt lgkmcnt(0)
	s_barrier
	s_barrier
	s_and_saveexec_b64 s[12:13], vcc
	s_cbranch_execz .LBB166_859
; %bb.858:
	v_mov_b32_e32 v22, 0
	ds_read_b128 v[16:19], v22 offset:26000
	ds_read_b64 v[20:21], v22 offset:26520
	s_waitcnt lgkmcnt(0)
	v_mul_f32_e32 v23, v21, v17
	v_mul_f32_e32 v24, v20, v17
	v_fma_f32 v20, v20, v16, -v23
	v_fmac_f32_e32 v24, v21, v16
	v_mul_f32_e32 v16, v24, v19
	v_mul_f32_e32 v17, v20, v19
	v_fma_f32 v16, v20, v18, -v16
	v_fmac_f32_e32 v17, v24, v18
	ds_write_b64 v22, v[16:17] offset:26008
.LBB166_859:
	s_or_b64 exec, exec, s[12:13]
	v_mov_b32_e32 v16, 0
	v_mov_b32_e32 v17, 0
	s_waitcnt lgkmcnt(0)
	s_barrier
	s_and_saveexec_b64 s[14:15], s[18:19]
	s_cbranch_execz .LBB166_865
; %bb.860:
	v_mul_u32_u24_e32 v17, 0x208, v10
	ds_read_b64 v[18:19], v6 offset:24992
	ds_read_b64 v[20:21], v17 offset:24960
	v_cmp_gt_u32_e64 s[12:13], 12, v1
	s_waitcnt lgkmcnt(0)
	v_mul_f32_e32 v16, v21, v19
	v_mul_f32_e32 v19, v20, v19
	v_fma_f32 v16, v20, v18, -v16
	v_fmac_f32_e32 v19, v21, v18
	v_add_f32_e32 v16, 0, v16
	v_add_f32_e32 v18, 0, v19
	s_and_saveexec_b64 s[16:17], s[12:13]
	s_cbranch_execnz .LBB166_1094
; %bb.861:
	s_or_b64 exec, exec, s[16:17]
	v_cmp_gt_u32_e64 s[12:13], 8, v1
	s_and_saveexec_b64 s[16:17], s[12:13]
	s_cbranch_execnz .LBB166_1095
.LBB166_862:
	s_or_b64 exec, exec, s[16:17]
	v_cmp_gt_u32_e64 s[12:13], 4, v1
	s_and_saveexec_b64 s[16:17], s[12:13]
	s_cbranch_execz .LBB166_864
.LBB166_863:
	v_lshlrev_b32_e32 v17, 3, v0
	v_mov_b32_e32 v21, 0
	ds_read_b64 v[19:20], v17 offset:26528
	ds_read_b64 v[21:22], v21 offset:24984
	s_waitcnt lgkmcnt(0)
	v_mul_f32_e32 v17, v22, v20
	v_mul_f32_e32 v20, v21, v20
	v_fma_f32 v17, v21, v19, -v17
	v_fmac_f32_e32 v20, v22, v19
	v_add_f32_e32 v16, v16, v17
	v_add_f32_e32 v18, v18, v20
.LBB166_864:
	s_or_b64 exec, exec, s[16:17]
	v_xor_b32_e32 v17, 0x80000000, v16
	v_xor_b32_e32 v16, 0x80000000, v18
.LBB166_865:
	s_or_b64 exec, exec, s[14:15]
	s_and_saveexec_b64 s[12:13], s[46:47]
	s_cbranch_execz .LBB166_867
; %bb.866:
	v_mov_b32_e32 v18, 0
	ds_read_b64 v[18:19], v18 offset:27040
	s_waitcnt lgkmcnt(0)
	v_mul_f32_e32 v21, v16, v19
	v_mul_f32_e32 v20, v17, v19
	v_fma_f32 v19, v17, v18, -v21
	v_fmac_f32_e32 v20, v16, v18
	v_mov_b32_e32 v17, v19
	v_mov_b32_e32 v16, v20
	ds_write_b64 v8, v[19:20]
.LBB166_867:
	s_or_b64 exec, exec, s[12:13]
	s_waitcnt lgkmcnt(0)
	s_barrier
	s_and_saveexec_b64 s[12:13], s[48:49]
	s_cbranch_execz .LBB166_869
; %bb.868:
	ds_read_b64 v[18:19], v7 offset:27040
	ds_read_b64 v[20:21], v8
	s_waitcnt lgkmcnt(0)
	v_mul_f32_e32 v22, v21, v19
	v_mul_f32_e32 v19, v20, v19
	v_fma_f32 v20, v20, v18, -v22
	v_fmac_f32_e32 v19, v21, v18
	v_add_f32_e32 v17, v17, v20
	v_add_f32_e32 v16, v16, v19
.LBB166_869:
	s_or_b64 exec, exec, s[12:13]
	s_barrier
	s_and_saveexec_b64 s[12:13], s[50:51]
	s_cbranch_execz .LBB166_871
; %bb.870:
	v_mov_b32_e32 v18, 0
	ds_read_b64 v[18:19], v18 offset:27560
	s_waitcnt lgkmcnt(0)
	v_mul_f32_e32 v21, v16, v19
	v_mul_f32_e32 v20, v17, v19
	v_fma_f32 v19, v17, v18, -v21
	v_fmac_f32_e32 v20, v16, v18
	v_mov_b32_e32 v17, v19
	v_mov_b32_e32 v16, v20
	ds_write_b64 v8, v[19:20]
.LBB166_871:
	s_or_b64 exec, exec, s[12:13]
	s_waitcnt lgkmcnt(0)
	s_barrier
	s_and_saveexec_b64 s[12:13], s[52:53]
	s_cbranch_execz .LBB166_873
; %bb.872:
	ds_read_b64 v[18:19], v7 offset:27552
	ds_read_b64 v[20:21], v8
	s_waitcnt lgkmcnt(0)
	v_mul_f32_e32 v22, v21, v19
	v_mul_f32_e32 v19, v20, v19
	v_fma_f32 v20, v20, v18, -v22
	v_fmac_f32_e32 v19, v21, v18
	v_add_f32_e32 v17, v17, v20
	v_add_f32_e32 v16, v16, v19
.LBB166_873:
	s_or_b64 exec, exec, s[12:13]
	s_barrier
	s_and_saveexec_b64 s[12:13], s[54:55]
	s_cbranch_execz .LBB166_875
; %bb.874:
	v_mov_b32_e32 v18, 0
	ds_read_b64 v[18:19], v18 offset:28080
	s_waitcnt lgkmcnt(0)
	v_mul_f32_e32 v21, v16, v19
	v_mul_f32_e32 v20, v17, v19
	v_fma_f32 v19, v17, v18, -v21
	v_fmac_f32_e32 v20, v16, v18
	v_mov_b32_e32 v17, v19
	v_mov_b32_e32 v16, v20
	ds_write_b64 v8, v[19:20]
.LBB166_875:
	s_or_b64 exec, exec, s[12:13]
	s_waitcnt lgkmcnt(0)
	s_barrier
	s_and_saveexec_b64 s[12:13], s[44:45]
	s_cbranch_execz .LBB166_877
; %bb.876:
	v_mov_b32_e32 v18, 0
	ds_read_b64 v[18:19], v18 offset:28088
	ds_read_b64 v[20:21], v8
	s_waitcnt lgkmcnt(0)
	v_mul_f32_e32 v22, v21, v19
	v_mul_f32_e32 v19, v20, v19
	v_fma_f32 v20, v20, v18, -v22
	v_fmac_f32_e32 v19, v21, v18
	v_add_f32_e32 v17, v17, v20
	v_add_f32_e32 v16, v16, v19
.LBB166_877:
	s_or_b64 exec, exec, s[12:13]
	s_barrier
	s_and_saveexec_b64 s[12:13], s[44:45]
	s_cbranch_execz .LBB166_879
; %bb.878:
	v_mov_b32_e32 v18, 0
	ds_read_b64 v[18:19], v18 offset:28600
	s_waitcnt lgkmcnt(0)
	v_mul_f32_e32 v21, v16, v19
	v_mul_f32_e32 v20, v17, v19
	v_fma_f32 v19, v17, v18, -v21
	v_fmac_f32_e32 v20, v16, v18
	v_mov_b32_e32 v17, v19
	v_mov_b32_e32 v16, v20
	ds_write_b64 v8, v[19:20]
.LBB166_879:
	s_or_b64 exec, exec, s[12:13]
	s_waitcnt lgkmcnt(0)
	s_barrier
	s_barrier
	s_and_saveexec_b64 s[12:13], s[18:19]
; %bb.880:
	v_xor_b32_e32 v17, 0x80000000, v17
	v_xor_b32_e32 v18, 0x80000000, v16
	ds_write_b64 v6, v[17:18] offset:24992
; %bb.881:
	s_or_b64 exec, exec, s[12:13]
	s_waitcnt lgkmcnt(0)
	s_barrier
	s_barrier
	s_and_saveexec_b64 s[12:13], vcc
	s_cbranch_execz .LBB166_883
; %bb.882:
	v_mov_b32_e32 v22, 0
	ds_read_b128 v[16:19], v22 offset:27040
	ds_read_b64 v[20:21], v22 offset:27560
	s_waitcnt lgkmcnt(0)
	v_mul_f32_e32 v23, v21, v17
	v_mul_f32_e32 v24, v20, v17
	v_fma_f32 v20, v20, v16, -v23
	v_fmac_f32_e32 v24, v21, v16
	v_mul_f32_e32 v16, v24, v19
	v_mul_f32_e32 v17, v20, v19
	v_fma_f32 v16, v20, v18, -v16
	v_fmac_f32_e32 v17, v24, v18
	ds_write_b64 v22, v[16:17] offset:27048
.LBB166_883:
	s_or_b64 exec, exec, s[12:13]
	v_mov_b32_e32 v16, 0
	v_mov_b32_e32 v17, 0
	s_waitcnt lgkmcnt(0)
	s_barrier
	s_and_saveexec_b64 s[14:15], s[6:7]
	s_cbranch_execz .LBB166_887
; %bb.884:
	v_mul_u32_u24_e32 v18, 0x208, v5
	ds_read_b64 v[16:17], v3 offset:27056
	ds_read_b64 v[18:19], v18 offset:27040
	v_cmp_gt_u32_e64 s[12:13], 2, v1
	s_waitcnt lgkmcnt(0)
	v_mul_f32_e32 v20, v19, v17
	v_mul_f32_e32 v17, v18, v17
	v_fma_f32 v18, v18, v16, -v20
	v_fmac_f32_e32 v17, v19, v16
	v_add_f32_e32 v16, 0, v18
	v_add_f32_e32 v18, 0, v17
	s_and_saveexec_b64 s[16:17], s[12:13]
	s_cbranch_execz .LBB166_886
; %bb.885:
	v_lshlrev_b32_e32 v17, 3, v0
	v_mov_b32_e32 v21, 0
	ds_read_b64 v[19:20], v17 offset:27568
	ds_read_b64 v[21:22], v21 offset:27048
	s_waitcnt lgkmcnt(0)
	v_mul_f32_e32 v17, v22, v20
	v_mul_f32_e32 v20, v21, v20
	v_fma_f32 v17, v21, v19, -v17
	v_fmac_f32_e32 v20, v22, v19
	v_add_f32_e32 v16, v16, v17
	v_add_f32_e32 v18, v18, v20
.LBB166_886:
	s_or_b64 exec, exec, s[16:17]
	v_xor_b32_e32 v17, 0x80000000, v16
	v_xor_b32_e32 v16, 0x80000000, v18
.LBB166_887:
	s_or_b64 exec, exec, s[14:15]
	s_and_saveexec_b64 s[12:13], s[42:43]
	s_cbranch_execz .LBB166_889
; %bb.888:
	v_mov_b32_e32 v18, 0
	ds_read_b64 v[18:19], v18 offset:28080
	s_waitcnt lgkmcnt(0)
	v_mul_f32_e32 v21, v16, v19
	v_mul_f32_e32 v20, v17, v19
	v_fma_f32 v19, v17, v18, -v21
	v_fmac_f32_e32 v20, v16, v18
	v_mov_b32_e32 v17, v19
	v_mov_b32_e32 v16, v20
	ds_write_b64 v4, v[19:20]
.LBB166_889:
	s_or_b64 exec, exec, s[12:13]
	s_waitcnt lgkmcnt(0)
	s_barrier
	s_and_saveexec_b64 s[12:13], s[40:41]
	s_cbranch_execz .LBB166_891
; %bb.890:
	v_mov_b32_e32 v18, 0
	ds_read_b64 v[18:19], v18 offset:28088
	ds_read_b64 v[20:21], v4
	s_waitcnt lgkmcnt(0)
	v_mul_f32_e32 v22, v21, v19
	v_mul_f32_e32 v19, v20, v19
	v_fma_f32 v20, v20, v18, -v22
	v_fmac_f32_e32 v19, v21, v18
	v_add_f32_e32 v17, v17, v20
	v_add_f32_e32 v16, v16, v19
.LBB166_891:
	s_or_b64 exec, exec, s[12:13]
	s_barrier
	s_and_saveexec_b64 s[12:13], s[40:41]
	s_cbranch_execz .LBB166_893
; %bb.892:
	v_mov_b32_e32 v18, 0
	ds_read_b64 v[18:19], v18 offset:28600
	s_waitcnt lgkmcnt(0)
	v_mul_f32_e32 v21, v16, v19
	v_mul_f32_e32 v20, v17, v19
	v_fma_f32 v19, v17, v18, -v21
	v_fmac_f32_e32 v20, v16, v18
	v_mov_b32_e32 v17, v19
	v_mov_b32_e32 v16, v20
	ds_write_b64 v4, v[19:20]
.LBB166_893:
	s_or_b64 exec, exec, s[12:13]
	s_waitcnt lgkmcnt(0)
	s_barrier
	s_barrier
	s_and_saveexec_b64 s[12:13], s[6:7]
; %bb.894:
	v_xor_b32_e32 v18, 0x80000000, v16
	v_xor_b32_e32 v17, 0x80000000, v17
	ds_write_b64 v3, v[17:18] offset:27056
; %bb.895:
	s_or_b64 exec, exec, s[12:13]
	s_waitcnt lgkmcnt(0)
	s_barrier
	s_barrier
	s_and_saveexec_b64 s[12:13], vcc
	s_cbranch_execz .LBB166_897
; %bb.896:
	v_mov_b32_e32 v22, 0
	ds_read_b128 v[16:19], v22 offset:28080
	ds_read_b64 v[20:21], v22 offset:28600
	s_waitcnt lgkmcnt(0)
	v_mul_f32_e32 v23, v21, v17
	v_mul_f32_e32 v24, v20, v17
	v_fma_f32 v20, v20, v16, -v23
	v_fmac_f32_e32 v24, v21, v16
	v_mul_f32_e32 v16, v24, v19
	v_mul_f32_e32 v17, v20, v19
	v_fma_f32 v16, v20, v18, -v16
	v_fmac_f32_e32 v17, v24, v18
	ds_write_b64 v22, v[16:17] offset:28088
.LBB166_897:
	s_or_b64 exec, exec, s[12:13]
	v_mov_b32_e32 v16, 0
	v_mov_b32_e32 v17, 0
	s_waitcnt lgkmcnt(0)
	s_barrier
	s_and_saveexec_b64 s[14:15], s[10:11]
	s_cbranch_execz .LBB166_907
; %bb.898:
	v_mul_u32_u24_e32 v17, 0x208, v15
	ds_read_b64 v[18:19], v11 offset:25024
	ds_read_b64 v[20:21], v17 offset:24960
	v_cmp_gt_u32_e64 s[12:13], 56, v1
	s_waitcnt lgkmcnt(0)
	v_mul_f32_e32 v16, v21, v19
	v_mul_f32_e32 v19, v20, v19
	v_fma_f32 v16, v20, v18, -v16
	v_fmac_f32_e32 v19, v21, v18
	v_add_f32_e32 v16, 0, v16
	v_add_f32_e32 v18, 0, v19
	s_and_saveexec_b64 s[16:17], s[12:13]
	s_cbranch_execnz .LBB166_1096
; %bb.899:
	s_or_b64 exec, exec, s[16:17]
	v_cmp_gt_u32_e64 s[12:13], 48, v1
	s_and_saveexec_b64 s[16:17], s[12:13]
	s_cbranch_execnz .LBB166_1097
.LBB166_900:
	s_or_b64 exec, exec, s[16:17]
	v_cmp_gt_u32_e64 s[12:13], 40, v1
	s_and_saveexec_b64 s[16:17], s[12:13]
	s_cbranch_execnz .LBB166_1098
.LBB166_901:
	s_or_b64 exec, exec, s[16:17]
	v_cmp_gt_u32_e64 s[12:13], 32, v1
	s_and_saveexec_b64 s[16:17], s[12:13]
	s_cbranch_execnz .LBB166_1099
.LBB166_902:
	s_or_b64 exec, exec, s[16:17]
	v_cmp_gt_u32_e64 s[12:13], 24, v1
	s_and_saveexec_b64 s[16:17], s[12:13]
	s_cbranch_execnz .LBB166_1100
.LBB166_903:
	s_or_b64 exec, exec, s[16:17]
	v_cmp_gt_u32_e64 s[12:13], 16, v1
	s_and_saveexec_b64 s[16:17], s[12:13]
	s_cbranch_execnz .LBB166_1101
.LBB166_904:
	s_or_b64 exec, exec, s[16:17]
	v_cmp_gt_u32_e64 s[12:13], 8, v1
	s_and_saveexec_b64 s[16:17], s[12:13]
	s_cbranch_execz .LBB166_906
.LBB166_905:
	v_lshlrev_b32_e32 v14, 3, v0
	v_mov_b32_e32 v17, 0
	ds_read_b64 v[14:15], v14 offset:28608
	ds_read_b64 v[19:20], v17 offset:25016
	s_waitcnt lgkmcnt(0)
	v_mul_f32_e32 v17, v20, v15
	v_mul_f32_e32 v15, v19, v15
	v_fma_f32 v17, v19, v14, -v17
	v_fmac_f32_e32 v15, v20, v14
	v_add_f32_e32 v16, v16, v17
	v_add_f32_e32 v18, v18, v15
.LBB166_906:
	s_or_b64 exec, exec, s[16:17]
	v_xor_b32_e32 v17, 0x80000000, v16
	v_xor_b32_e32 v16, 0x80000000, v18
.LBB166_907:
	s_or_b64 exec, exec, s[14:15]
	s_and_saveexec_b64 s[12:13], s[58:59]
	s_cbranch_execz .LBB166_909
; %bb.908:
	v_mov_b32_e32 v14, 0
	ds_read_b64 v[14:15], v14 offset:29120
	s_waitcnt lgkmcnt(0)
	v_mul_f32_e32 v18, v17, v15
	v_mul_f32_e32 v19, v16, v15
	v_fmac_f32_e32 v18, v16, v14
	v_fma_f32 v17, v17, v14, -v19
	v_mov_b32_e32 v16, v18
	ds_write_b64 v13, v[17:18]
.LBB166_909:
	s_or_b64 exec, exec, s[12:13]
	s_waitcnt lgkmcnt(0)
	s_barrier
	s_and_saveexec_b64 s[12:13], s[60:61]
	v_readlane_b32 s58, v34, 2
	s_cbranch_execz .LBB166_911
; %bb.910:
	ds_read_b64 v[14:15], v12 offset:29120
	ds_read_b64 v[18:19], v13
	s_waitcnt lgkmcnt(0)
	v_mul_f32_e32 v20, v19, v15
	v_mul_f32_e32 v15, v18, v15
	v_fma_f32 v18, v18, v14, -v20
	v_fmac_f32_e32 v15, v19, v14
	v_add_f32_e32 v17, v17, v18
	v_add_f32_e32 v16, v16, v15
.LBB166_911:
	s_or_b64 exec, exec, s[12:13]
	s_barrier
	s_and_saveexec_b64 s[12:13], s[62:63]
	s_cbranch_execz .LBB166_913
; %bb.912:
	v_mov_b32_e32 v14, 0
	ds_read_b64 v[14:15], v14 offset:29640
	s_waitcnt lgkmcnt(0)
	v_mul_f32_e32 v18, v17, v15
	v_mul_f32_e32 v19, v16, v15
	v_fmac_f32_e32 v18, v16, v14
	v_fma_f32 v17, v17, v14, -v19
	v_mov_b32_e32 v16, v18
	ds_write_b64 v13, v[17:18]
.LBB166_913:
	s_or_b64 exec, exec, s[12:13]
	s_waitcnt lgkmcnt(0)
	s_barrier
	s_and_saveexec_b64 s[12:13], s[64:65]
	s_cbranch_execz .LBB166_915
; %bb.914:
	ds_read_b64 v[14:15], v12 offset:29632
	ds_read_b64 v[18:19], v13
	s_waitcnt lgkmcnt(0)
	v_mul_f32_e32 v20, v19, v15
	v_mul_f32_e32 v15, v18, v15
	v_fma_f32 v18, v18, v14, -v20
	v_fmac_f32_e32 v15, v19, v14
	v_add_f32_e32 v17, v17, v18
	v_add_f32_e32 v16, v16, v15
.LBB166_915:
	s_or_b64 exec, exec, s[12:13]
	s_barrier
	s_and_saveexec_b64 s[12:13], s[66:67]
	s_cbranch_execz .LBB166_917
; %bb.916:
	v_mov_b32_e32 v14, 0
	ds_read_b64 v[14:15], v14 offset:30160
	s_waitcnt lgkmcnt(0)
	v_mul_f32_e32 v18, v17, v15
	v_mul_f32_e32 v19, v16, v15
	v_fmac_f32_e32 v18, v16, v14
	v_fma_f32 v17, v17, v14, -v19
	v_mov_b32_e32 v16, v18
	ds_write_b64 v13, v[17:18]
.LBB166_917:
	s_or_b64 exec, exec, s[12:13]
	s_waitcnt lgkmcnt(0)
	s_barrier
	s_and_saveexec_b64 s[12:13], s[68:69]
	;; [unrolled: 31-line block ×6, first 2 shown]
	s_cbranch_execz .LBB166_935
; %bb.934:
	v_mov_b32_e32 v12, 0
	ds_read_b64 v[14:15], v12 offset:32248
	ds_read_b64 v[18:19], v13
	s_waitcnt lgkmcnt(0)
	v_mul_f32_e32 v12, v19, v15
	v_mul_f32_e32 v15, v18, v15
	v_fma_f32 v12, v18, v14, -v12
	v_fmac_f32_e32 v15, v19, v14
	v_add_f32_e32 v17, v17, v12
	v_add_f32_e32 v16, v16, v15
.LBB166_935:
	s_or_b64 exec, exec, s[12:13]
	s_barrier
	s_and_saveexec_b64 s[12:13], s[56:57]
	s_cbranch_execz .LBB166_937
; %bb.936:
	v_mov_b32_e32 v12, 0
	ds_read_b64 v[14:15], v12 offset:32760
	s_waitcnt lgkmcnt(0)
	v_mul_f32_e32 v18, v17, v15
	v_mul_f32_e32 v12, v16, v15
	v_fmac_f32_e32 v18, v16, v14
	v_fma_f32 v17, v17, v14, -v12
	v_mov_b32_e32 v16, v18
	ds_write_b64 v13, v[17:18]
.LBB166_937:
	s_or_b64 exec, exec, s[12:13]
	s_waitcnt lgkmcnt(0)
	s_barrier
	s_barrier
	s_and_saveexec_b64 s[12:13], s[10:11]
; %bb.938:
	v_xor_b32_e32 v13, 0x80000000, v16
	v_xor_b32_e32 v12, 0x80000000, v17
	ds_write_b64 v11, v[12:13] offset:25024
; %bb.939:
	s_or_b64 exec, exec, s[12:13]
	s_waitcnt lgkmcnt(0)
	s_barrier
	s_barrier
	s_and_saveexec_b64 s[10:11], vcc
	s_cbranch_execz .LBB166_941
; %bb.940:
	v_mov_b32_e32 v17, 0
	ds_read_b128 v[11:14], v17 offset:29120
	ds_read_b64 v[15:16], v17 offset:29640
	s_waitcnt lgkmcnt(0)
	v_mul_f32_e32 v18, v16, v12
	v_mul_f32_e32 v19, v15, v12
	v_fma_f32 v15, v15, v11, -v18
	v_fmac_f32_e32 v19, v16, v11
	v_mul_f32_e32 v11, v19, v14
	v_mul_f32_e32 v12, v15, v14
	v_fma_f32 v11, v15, v13, -v11
	v_fmac_f32_e32 v12, v19, v13
	ds_write_b64 v17, v[11:12] offset:29128
.LBB166_941:
	s_or_b64 exec, exec, s[10:11]
	v_mov_b32_e32 v11, 0
	v_mov_b32_e32 v12, 0
	s_waitcnt lgkmcnt(0)
	s_barrier
	s_and_saveexec_b64 s[12:13], s[6:7]
	s_cbranch_execz .LBB166_945
; %bb.942:
	v_mul_u32_u24_e32 v13, 0x208, v5
	ds_read_b64 v[11:12], v3 offset:29136
	ds_read_b64 v[13:14], v13 offset:29120
	v_cmp_gt_u32_e64 s[10:11], 2, v1
	s_waitcnt lgkmcnt(0)
	v_mul_f32_e32 v15, v14, v12
	v_mul_f32_e32 v12, v13, v12
	v_fma_f32 v13, v13, v11, -v15
	v_fmac_f32_e32 v12, v14, v11
	v_add_f32_e32 v11, 0, v13
	v_add_f32_e32 v13, 0, v12
	s_and_saveexec_b64 s[14:15], s[10:11]
	s_cbranch_execz .LBB166_944
; %bb.943:
	v_lshlrev_b32_e32 v12, 3, v0
	v_mov_b32_e32 v16, 0
	ds_read_b64 v[14:15], v12 offset:29648
	ds_read_b64 v[16:17], v16 offset:29128
	s_waitcnt lgkmcnt(0)
	v_mul_f32_e32 v12, v17, v15
	v_mul_f32_e32 v15, v16, v15
	v_fma_f32 v12, v16, v14, -v12
	v_fmac_f32_e32 v15, v17, v14
	v_add_f32_e32 v11, v11, v12
	v_add_f32_e32 v13, v13, v15
.LBB166_944:
	s_or_b64 exec, exec, s[14:15]
	v_xor_b32_e32 v12, 0x80000000, v11
	v_xor_b32_e32 v11, 0x80000000, v13
.LBB166_945:
	s_or_b64 exec, exec, s[12:13]
	s_and_saveexec_b64 s[10:11], s[42:43]
	s_cbranch_execz .LBB166_947
; %bb.946:
	v_mov_b32_e32 v13, 0
	ds_read_b64 v[13:14], v13 offset:30160
	s_waitcnt lgkmcnt(0)
	v_mul_f32_e32 v16, v11, v14
	v_mul_f32_e32 v15, v12, v14
	v_fma_f32 v14, v12, v13, -v16
	v_fmac_f32_e32 v15, v11, v13
	v_mov_b32_e32 v12, v14
	v_mov_b32_e32 v11, v15
	ds_write_b64 v4, v[14:15]
.LBB166_947:
	s_or_b64 exec, exec, s[10:11]
	s_waitcnt lgkmcnt(0)
	s_barrier
	s_and_saveexec_b64 s[10:11], s[40:41]
	s_cbranch_execz .LBB166_949
; %bb.948:
	v_mov_b32_e32 v13, 0
	ds_read_b64 v[13:14], v13 offset:30168
	ds_read_b64 v[15:16], v4
	s_waitcnt lgkmcnt(0)
	v_mul_f32_e32 v17, v16, v14
	v_mul_f32_e32 v14, v15, v14
	v_fma_f32 v15, v15, v13, -v17
	v_fmac_f32_e32 v14, v16, v13
	v_add_f32_e32 v12, v12, v15
	v_add_f32_e32 v11, v11, v14
.LBB166_949:
	s_or_b64 exec, exec, s[10:11]
	s_barrier
	s_and_saveexec_b64 s[10:11], s[40:41]
	s_cbranch_execz .LBB166_951
; %bb.950:
	v_mov_b32_e32 v13, 0
	ds_read_b64 v[13:14], v13 offset:30680
	s_waitcnt lgkmcnt(0)
	v_mul_f32_e32 v16, v11, v14
	v_mul_f32_e32 v15, v12, v14
	v_fma_f32 v14, v12, v13, -v16
	v_fmac_f32_e32 v15, v11, v13
	v_mov_b32_e32 v12, v14
	v_mov_b32_e32 v11, v15
	ds_write_b64 v4, v[14:15]
.LBB166_951:
	s_or_b64 exec, exec, s[10:11]
	s_waitcnt lgkmcnt(0)
	s_barrier
	s_barrier
	s_and_saveexec_b64 s[10:11], s[6:7]
; %bb.952:
	v_xor_b32_e32 v13, 0x80000000, v11
	v_xor_b32_e32 v12, 0x80000000, v12
	ds_write_b64 v3, v[12:13] offset:29136
; %bb.953:
	s_or_b64 exec, exec, s[10:11]
	s_waitcnt lgkmcnt(0)
	s_barrier
	s_barrier
	s_and_saveexec_b64 s[10:11], vcc
	s_cbranch_execz .LBB166_955
; %bb.954:
	v_mov_b32_e32 v17, 0
	ds_read_b128 v[11:14], v17 offset:30160
	ds_read_b64 v[15:16], v17 offset:30680
	s_waitcnt lgkmcnt(0)
	v_mul_f32_e32 v18, v16, v12
	v_mul_f32_e32 v19, v15, v12
	v_fma_f32 v15, v15, v11, -v18
	v_fmac_f32_e32 v19, v16, v11
	v_mul_f32_e32 v11, v19, v14
	v_mul_f32_e32 v12, v15, v14
	v_fma_f32 v11, v15, v13, -v11
	v_fmac_f32_e32 v12, v19, v13
	ds_write_b64 v17, v[11:12] offset:30168
.LBB166_955:
	s_or_b64 exec, exec, s[10:11]
	v_mov_b32_e32 v11, 0
	v_mov_b32_e32 v12, 0
	s_waitcnt lgkmcnt(0)
	s_barrier
	s_and_saveexec_b64 s[12:13], s[18:19]
	s_cbranch_execz .LBB166_961
; %bb.956:
	v_mul_u32_u24_e32 v12, 0x208, v10
	ds_read_b64 v[13:14], v6 offset:29152
	ds_read_b64 v[15:16], v12 offset:29120
	v_cmp_gt_u32_e64 s[10:11], 12, v1
	s_waitcnt lgkmcnt(0)
	v_mul_f32_e32 v11, v16, v14
	v_mul_f32_e32 v14, v15, v14
	v_fma_f32 v11, v15, v13, -v11
	v_fmac_f32_e32 v14, v16, v13
	v_add_f32_e32 v11, 0, v11
	v_add_f32_e32 v13, 0, v14
	s_and_saveexec_b64 s[14:15], s[10:11]
	s_cbranch_execnz .LBB166_1102
; %bb.957:
	s_or_b64 exec, exec, s[14:15]
	v_cmp_gt_u32_e64 s[10:11], 8, v1
	s_and_saveexec_b64 s[14:15], s[10:11]
	s_cbranch_execnz .LBB166_1103
.LBB166_958:
	s_or_b64 exec, exec, s[14:15]
	v_cmp_gt_u32_e64 s[10:11], 4, v1
	s_and_saveexec_b64 s[14:15], s[10:11]
	s_cbranch_execz .LBB166_960
.LBB166_959:
	v_lshlrev_b32_e32 v9, 3, v0
	v_mov_b32_e32 v12, 0
	ds_read_b64 v[9:10], v9 offset:30688
	ds_read_b64 v[14:15], v12 offset:29144
	s_waitcnt lgkmcnt(0)
	v_mul_f32_e32 v12, v15, v10
	v_mul_f32_e32 v10, v14, v10
	v_fma_f32 v12, v14, v9, -v12
	v_fmac_f32_e32 v10, v15, v9
	v_add_f32_e32 v11, v11, v12
	v_add_f32_e32 v13, v13, v10
.LBB166_960:
	s_or_b64 exec, exec, s[14:15]
	v_xor_b32_e32 v12, 0x80000000, v11
	v_xor_b32_e32 v11, 0x80000000, v13
.LBB166_961:
	s_or_b64 exec, exec, s[12:13]
	s_and_saveexec_b64 s[10:11], s[46:47]
	s_cbranch_execz .LBB166_963
; %bb.962:
	v_mov_b32_e32 v9, 0
	ds_read_b64 v[9:10], v9 offset:31200
	s_waitcnt lgkmcnt(0)
	v_mul_f32_e32 v13, v12, v10
	v_mul_f32_e32 v14, v11, v10
	v_fmac_f32_e32 v13, v11, v9
	v_fma_f32 v12, v12, v9, -v14
	v_mov_b32_e32 v11, v13
	ds_write_b64 v8, v[12:13]
.LBB166_963:
	s_or_b64 exec, exec, s[10:11]
	s_waitcnt lgkmcnt(0)
	s_barrier
	s_and_saveexec_b64 s[10:11], s[48:49]
	s_load_dwordx2 s[20:21], s[4:5], 0x28
	v_readlane_b32 s22, v34, 0
	v_readlane_b32 s23, v34, 1
	s_cbranch_execz .LBB166_965
; %bb.964:
	ds_read_b64 v[9:10], v7 offset:31200
	ds_read_b64 v[13:14], v8
	s_waitcnt lgkmcnt(0)
	v_mul_f32_e32 v15, v14, v10
	v_mul_f32_e32 v10, v13, v10
	v_fma_f32 v13, v13, v9, -v15
	v_fmac_f32_e32 v10, v14, v9
	v_add_f32_e32 v12, v12, v13
	v_add_f32_e32 v11, v11, v10
.LBB166_965:
	s_or_b64 exec, exec, s[10:11]
	s_waitcnt lgkmcnt(0)
	s_barrier
	s_and_saveexec_b64 s[10:11], s[50:51]
	s_cbranch_execz .LBB166_967
; %bb.966:
	v_mov_b32_e32 v9, 0
	ds_read_b64 v[9:10], v9 offset:31720
	s_waitcnt lgkmcnt(0)
	v_mul_f32_e32 v13, v12, v10
	v_mul_f32_e32 v14, v11, v10
	v_fmac_f32_e32 v13, v11, v9
	v_fma_f32 v12, v12, v9, -v14
	v_mov_b32_e32 v11, v13
	ds_write_b64 v8, v[12:13]
.LBB166_967:
	s_or_b64 exec, exec, s[10:11]
	s_waitcnt lgkmcnt(0)
	s_barrier
	s_and_saveexec_b64 s[10:11], s[52:53]
	s_cbranch_execz .LBB166_969
; %bb.968:
	ds_read_b64 v[9:10], v7 offset:31712
	ds_read_b64 v[13:14], v8
	s_waitcnt lgkmcnt(0)
	v_mul_f32_e32 v7, v14, v10
	v_mul_f32_e32 v10, v13, v10
	v_fma_f32 v7, v13, v9, -v7
	v_fmac_f32_e32 v10, v14, v9
	v_add_f32_e32 v12, v12, v7
	v_add_f32_e32 v11, v11, v10
.LBB166_969:
	s_or_b64 exec, exec, s[10:11]
	s_barrier
	s_and_saveexec_b64 s[10:11], s[54:55]
	s_cbranch_execz .LBB166_971
; %bb.970:
	v_mov_b32_e32 v7, 0
	ds_read_b64 v[9:10], v7 offset:32240
	s_waitcnt lgkmcnt(0)
	v_mul_f32_e32 v13, v12, v10
	v_mul_f32_e32 v7, v11, v10
	v_fmac_f32_e32 v13, v11, v9
	v_fma_f32 v12, v12, v9, -v7
	v_mov_b32_e32 v11, v13
	ds_write_b64 v8, v[12:13]
.LBB166_971:
	s_or_b64 exec, exec, s[10:11]
	s_waitcnt lgkmcnt(0)
	s_barrier
	s_and_saveexec_b64 s[10:11], s[44:45]
	s_cbranch_execz .LBB166_973
; %bb.972:
	v_mov_b32_e32 v7, 0
	ds_read_b64 v[9:10], v7 offset:32248
	ds_read_b64 v[13:14], v8
	s_waitcnt lgkmcnt(0)
	v_mul_f32_e32 v7, v14, v10
	v_mul_f32_e32 v10, v13, v10
	v_fma_f32 v7, v13, v9, -v7
	v_fmac_f32_e32 v10, v14, v9
	v_add_f32_e32 v12, v12, v7
	v_add_f32_e32 v11, v11, v10
.LBB166_973:
	s_or_b64 exec, exec, s[10:11]
	s_barrier
	s_and_saveexec_b64 s[10:11], s[44:45]
	s_cbranch_execz .LBB166_975
; %bb.974:
	v_mov_b32_e32 v7, 0
	ds_read_b64 v[9:10], v7 offset:32760
	s_waitcnt lgkmcnt(0)
	v_mul_f32_e32 v13, v12, v10
	v_mul_f32_e32 v7, v11, v10
	v_fmac_f32_e32 v13, v11, v9
	v_fma_f32 v12, v12, v9, -v7
	v_mov_b32_e32 v11, v13
	ds_write_b64 v8, v[12:13]
.LBB166_975:
	s_or_b64 exec, exec, s[10:11]
	s_waitcnt lgkmcnt(0)
	s_barrier
	s_barrier
	s_and_saveexec_b64 s[10:11], s[18:19]
; %bb.976:
	v_xor_b32_e32 v7, 0x80000000, v12
	v_xor_b32_e32 v8, 0x80000000, v11
	ds_write_b64 v6, v[7:8] offset:29152
; %bb.977:
	s_or_b64 exec, exec, s[10:11]
	s_waitcnt lgkmcnt(0)
	s_barrier
	s_barrier
	s_and_saveexec_b64 s[10:11], vcc
	s_cbranch_execz .LBB166_979
; %bb.978:
	v_mov_b32_e32 v12, 0
	ds_read_b128 v[6:9], v12 offset:31200
	ds_read_b64 v[10:11], v12 offset:31720
	s_waitcnt lgkmcnt(0)
	v_mul_f32_e32 v13, v11, v7
	v_mul_f32_e32 v14, v10, v7
	v_fma_f32 v10, v10, v6, -v13
	v_fmac_f32_e32 v14, v11, v6
	v_mul_f32_e32 v6, v14, v9
	v_mul_f32_e32 v7, v10, v9
	v_fma_f32 v6, v10, v8, -v6
	v_fmac_f32_e32 v7, v14, v8
	ds_write_b64 v12, v[6:7] offset:31208
.LBB166_979:
	s_or_b64 exec, exec, s[10:11]
	v_mov_b32_e32 v6, 0
	v_mov_b32_e32 v7, 0
	s_waitcnt lgkmcnt(0)
	s_barrier
	s_and_saveexec_b64 s[12:13], s[6:7]
	s_cbranch_execz .LBB166_983
; %bb.980:
	v_mul_u32_u24_e32 v7, 0x208, v5
	ds_read_b64 v[5:6], v3 offset:31216
	ds_read_b64 v[7:8], v7 offset:31200
	v_cmp_gt_u32_e64 s[10:11], 2, v1
	s_waitcnt lgkmcnt(0)
	v_mul_f32_e32 v9, v8, v6
	v_mul_f32_e32 v6, v7, v6
	v_fma_f32 v7, v7, v5, -v9
	v_fmac_f32_e32 v6, v8, v5
	v_add_f32_e32 v5, 0, v7
	v_add_f32_e32 v6, 0, v6
	s_and_saveexec_b64 s[14:15], s[10:11]
	s_cbranch_execz .LBB166_982
; %bb.981:
	v_lshlrev_b32_e32 v7, 3, v0
	v_mov_b32_e32 v9, 0
	ds_read_b64 v[7:8], v7 offset:31728
	ds_read_b64 v[9:10], v9 offset:31208
	s_waitcnt lgkmcnt(0)
	v_mul_f32_e32 v11, v10, v8
	v_mul_f32_e32 v8, v9, v8
	v_fma_f32 v9, v9, v7, -v11
	v_fmac_f32_e32 v8, v10, v7
	v_add_f32_e32 v5, v5, v9
	v_add_f32_e32 v6, v6, v8
.LBB166_982:
	s_or_b64 exec, exec, s[14:15]
	v_xor_b32_e32 v7, 0x80000000, v5
	v_xor_b32_e32 v6, 0x80000000, v6
.LBB166_983:
	s_or_b64 exec, exec, s[12:13]
	s_and_saveexec_b64 s[10:11], s[42:43]
	s_cbranch_execz .LBB166_985
; %bb.984:
	v_mov_b32_e32 v5, 0
	ds_read_b64 v[8:9], v5 offset:32240
	s_waitcnt lgkmcnt(0)
	v_mul_f32_e32 v5, v6, v9
	v_mul_f32_e32 v10, v7, v9
	v_fma_f32 v9, v7, v8, -v5
	v_fmac_f32_e32 v10, v6, v8
	v_mov_b32_e32 v7, v9
	v_mov_b32_e32 v6, v10
	ds_write_b64 v4, v[9:10]
.LBB166_985:
	s_or_b64 exec, exec, s[10:11]
	s_waitcnt lgkmcnt(0)
	s_barrier
	s_and_saveexec_b64 s[10:11], s[40:41]
	s_cbranch_execz .LBB166_987
; %bb.986:
	v_mov_b32_e32 v5, 0
	ds_read_b64 v[8:9], v5 offset:32248
	ds_read_b64 v[10:11], v4
	s_waitcnt lgkmcnt(0)
	v_mul_f32_e32 v5, v11, v9
	v_mul_f32_e32 v9, v10, v9
	v_fma_f32 v5, v10, v8, -v5
	v_fmac_f32_e32 v9, v11, v8
	v_add_f32_e32 v7, v7, v5
	v_add_f32_e32 v6, v6, v9
.LBB166_987:
	s_or_b64 exec, exec, s[10:11]
	s_barrier
	s_and_saveexec_b64 s[10:11], s[40:41]
	s_cbranch_execz .LBB166_989
; %bb.988:
	v_mov_b32_e32 v5, 0
	ds_read_b64 v[8:9], v5 offset:32760
	s_waitcnt lgkmcnt(0)
	v_mul_f32_e32 v5, v6, v9
	v_mul_f32_e32 v10, v7, v9
	v_fma_f32 v9, v7, v8, -v5
	v_fmac_f32_e32 v10, v6, v8
	v_mov_b32_e32 v7, v9
	v_mov_b32_e32 v6, v10
	ds_write_b64 v4, v[9:10]
.LBB166_989:
	s_or_b64 exec, exec, s[10:11]
	s_waitcnt lgkmcnt(0)
	s_barrier
	s_barrier
	s_and_saveexec_b64 s[10:11], s[6:7]
; %bb.990:
	v_xor_b32_e32 v5, 0x80000000, v6
	v_xor_b32_e32 v4, 0x80000000, v7
	ds_write_b64 v3, v[4:5] offset:31216
; %bb.991:
	s_or_b64 exec, exec, s[10:11]
	s_waitcnt lgkmcnt(0)
	s_barrier
	s_barrier
	s_and_saveexec_b64 s[6:7], vcc
	s_cbranch_execz .LBB166_993
; %bb.992:
	v_mov_b32_e32 v9, 0
	ds_read_b128 v[3:6], v9 offset:32240
	ds_read_b64 v[7:8], v9 offset:32760
	s_waitcnt lgkmcnt(0)
	v_mul_f32_e32 v10, v8, v4
	v_mul_f32_e32 v11, v7, v4
	v_fma_f32 v7, v7, v3, -v10
	v_fmac_f32_e32 v11, v8, v3
	v_mul_f32_e32 v3, v11, v6
	v_mul_f32_e32 v4, v7, v6
	v_fma_f32 v3, v7, v5, -v3
	v_fmac_f32_e32 v4, v11, v5
	ds_write_b64 v9, v[3:4] offset:32248
.LBB166_993:
	s_or_b64 exec, exec, s[6:7]
.LBB166_994:
	s_load_dwordx4 s[12:15], s[4:5], 0x30
	v_cmp_le_i32_e32 vcc, s84, v0
	v_mov_b32_e32 v3, 0
	v_add_u32_e32 v6, s33, v0
	v_mov_b32_e32 v4, 0
	s_waitcnt lgkmcnt(0)
	s_lshl_b64 s[6:7], s[14:15], 3
	s_add_u32 s42, s22, s6
	s_addc_u32 s43, s23, s7
	s_and_b64 s[18:19], vcc, s[30:31]
	v_cmp_eq_u32_e64 s[6:7], 0, v2
	s_xor_b64 s[10:11], s[18:19], -1
	s_and_b64 s[12:13], s[6:7], s[10:11]
	s_barrier
	s_and_saveexec_b64 s[10:11], s[12:13]
	s_cbranch_execz .LBB166_996
; %bb.995:
	v_ashrrev_i32_e32 v5, 31, v6
	v_mul_lo_u32 v7, s27, v6
	v_mad_u64_u32 v[3:4], s[12:13], s26, v6, 0
	v_mul_lo_u32 v5, s26, v5
	v_add3_u32 v4, v4, v5, v7
	v_lshlrev_b64 v[3:4], 3, v[3:4]
	v_mov_b32_e32 v5, s43
	v_add_co_u32_e32 v3, vcc, s42, v3
	v_addc_co_u32_e32 v4, vcc, v5, v4, vcc
	flat_load_dwordx2 v[4:5], v[3:4]
	s_waitcnt vmcnt(0) lgkmcnt(0)
	v_mul_f32_e32 v3, s20, v4
	v_mul_f32_e32 v7, s20, v5
	v_fma_f32 v3, s21, v5, -v3
	v_fma_f32 v4, v4, -s21, -v7
.LBB166_996:
	s_or_b64 exec, exec, s[10:11]
	s_load_dwordx2 s[16:17], s[4:5], 0x50
	s_and_b32 s4, 0xffff, s87
	v_mad_u32_u24 v8, v2, s4, v0
	s_cmp_lt_i32 s8, 1
	v_cmp_eq_u32_e64 s[4:5], 0, v8
	s_cbranch_scc1 .LBB166_1015
; %bb.997:
	v_mov_b32_e32 v5, 0
	v_mov_b32_e32 v7, v5
	s_lshl_b64 s[10:11], s[24:25], 2
	v_lshlrev_b64 v[11:12], 3, v[6:7]
	s_waitcnt lgkmcnt(0)
	s_add_u32 s22, s16, s10
	s_mov_b64 s[20:21], src_private_base
	s_addc_u32 s23, s17, s11
	v_mov_b32_e32 v10, 0xa000
	v_cmp_gt_i32_e64 s[10:11], s9, v6
	v_mov_b32_e32 v6, s86
	v_add_co_u32_e32 v7, vcc, s85, v11
	s_mul_i32 s14, s29, 0x180
	s_mul_hi_u32 s15, s28, 0x180
	s_mov_b32 s20, 0
	v_cmp_gt_u32_e64 s[12:13], 64, v8
	v_lshl_add_u32 v9, v8, 3, v10
	v_lshl_or_b32 v10, v2, 3, v10
	s_add_i32 s44, s8, -1
	v_addc_co_u32_e32 v11, vcc, v6, v12, vcc
	s_lshl_b64 s[34:35], s[28:29], 7
	s_lshl_b64 s[36:37], s[28:29], 8
	s_add_i32 s45, s15, s14
	s_mul_i32 s46, s28, 0x180
	v_mov_b32_e32 v15, -1
	v_mov_b32_e32 v12, 0
	v_mov_b32_e32 v13, 8
	;; [unrolled: 1-line block ×4, first 2 shown]
	s_branch .LBB166_999
.LBB166_998:                            ;   in Loop: Header=BB166_999 Depth=1
	s_or_b64 exec, exec, s[40:41]
	s_add_i32 s20, s20, 1
	s_cmp_eq_u32 s20, s8
	s_cbranch_scc1 .LBB166_1015
.LBB166_999:                            ; =>This Loop Header: Depth=1
                                        ;     Child Loop BB166_1001 Depth 2
	v_cmp_gt_i32_e32 vcc, s20, v15
	s_and_b64 s[40:41], s[4:5], vcc
	s_and_saveexec_b64 s[14:15], s[40:41]
	s_cbranch_execz .LBB166_1002
; %bb.1000:                             ;   in Loop: Header=BB166_999 Depth=1
	global_load_dword v15, v5, s[22:23]
	s_waitcnt vmcnt(0)
	v_cmp_le_i32_e32 vcc, s20, v15
	s_cbranch_vccnz .LBB166_1002
.LBB166_1001:                           ;   Parent Loop BB166_999 Depth=1
                                        ; =>  This Inner Loop Header: Depth=2
	buffer_wbinvl1_vol
	global_load_dword v15, v5, s[22:23]
	s_waitcnt vmcnt(0)
	v_cmp_gt_i32_e32 vcc, s20, v15
	s_cbranch_vccnz .LBB166_1001
.LBB166_1002:                           ;   in Loop: Header=BB166_999 Depth=1
	s_or_b64 exec, exec, s[14:15]
	s_lshl_b32 s47, s20, 6
	buffer_wbinvl1_vol
	s_barrier
	s_and_saveexec_b64 s[14:15], s[12:13]
	s_cbranch_execz .LBB166_1007
; %bb.1003:                             ;   in Loop: Header=BB166_999 Depth=1
	v_or_b32_e32 v6, s47, v8
	v_cmp_le_i32_e32 vcc, s9, v6
	s_and_saveexec_b64 s[40:41], vcc
	s_xor_b64 s[40:41], exec, s[40:41]
; %bb.1004:                             ;   in Loop: Header=BB166_999 Depth=1
	v_mov_b32_e32 v6, v5
	ds_write_b64 v9, v[5:6]
                                        ; implicit-def: $vgpr6
; %bb.1005:                             ;   in Loop: Header=BB166_999 Depth=1
	s_andn2_saveexec_b64 s[40:41], s[40:41]
	s_cbranch_execz .LBB166_1007
; %bb.1006:                             ;   in Loop: Header=BB166_999 Depth=1
	v_mad_u64_u32 v[17:18], s[40:41], s26, v6, 0
	v_mad_u64_u32 v[18:19], s[40:41], s27, v6, v[18:19]
	v_mov_b32_e32 v6, s43
	v_lshlrev_b64 v[17:18], 3, v[17:18]
	v_add_co_u32_e32 v17, vcc, s42, v17
	v_addc_co_u32_e32 v18, vcc, v6, v18, vcc
	flat_load_dwordx2 v[17:18], v[17:18]
	s_waitcnt vmcnt(0) lgkmcnt(0)
	ds_write_b64 v9, v[17:18]
.LBB166_1007:                           ;   in Loop: Header=BB166_999 Depth=1
	s_or_b64 exec, exec, s[14:15]
	v_add_u32_e32 v6, s47, v2
	v_mad_u64_u32 v[17:18], s[14:15], s28, v6, 0
	s_cmp_eq_u32 s20, s44
	s_cselect_b64 vcc, -1, 0
	v_mad_u64_u32 v[18:19], s[14:15], s29, v6, v[18:19]
	s_waitcnt lgkmcnt(0)
	s_barrier
	v_lshlrev_b64 v[17:18], 3, v[17:18]
	v_add_co_u32_e64 v17, s[14:15], v7, v17
	v_addc_co_u32_e64 v18, s[14:15], v11, v18, s[14:15]
	v_cmp_gt_i32_e64 s[14:15], s9, v6
	s_and_b64 s[40:41], s[10:11], s[14:15]
	s_and_saveexec_b64 s[14:15], s[40:41]
	s_cbranch_execz .LBB166_1009
; %bb.1008:                             ;   in Loop: Header=BB166_999 Depth=1
	v_mov_b32_e32 v19, s21
	v_cndmask_b32_e32 v20, v18, v19, vcc
	v_cndmask_b32_e32 v19, v17, v12, vcc
	flat_load_dwordx2 v[19:20], v[19:20]
	ds_read_b64 v[21:22], v10
	s_waitcnt vmcnt(0) lgkmcnt(0)
	v_mul_f32_e32 v23, v22, v20
	v_mul_f32_e32 v20, v21, v20
	v_fma_f32 v21, v21, v19, -v23
	v_fmac_f32_e32 v20, v22, v19
	v_add_f32_e32 v3, v3, v21
	v_add_f32_e32 v4, v4, v20
.LBB166_1009:                           ;   in Loop: Header=BB166_999 Depth=1
	s_or_b64 exec, exec, s[14:15]
	v_add_u32_e32 v19, 16, v6
	v_cmp_gt_i32_e64 s[14:15], s9, v19
	s_and_b64 s[14:15], s[10:11], s[14:15]
	s_and_saveexec_b64 s[40:41], s[14:15]
	s_cbranch_execz .LBB166_1011
; %bb.1010:                             ;   in Loop: Header=BB166_999 Depth=1
	v_mov_b32_e32 v19, s35
	v_add_co_u32_e64 v21, s[14:15], s34, v17
	v_addc_co_u32_e64 v19, s[14:15], v18, v19, s[14:15]
	v_mov_b32_e32 v20, s21
	v_cndmask_b32_e32 v20, v19, v20, vcc
	v_cndmask_b32_e32 v19, v21, v13, vcc
	flat_load_dwordx2 v[19:20], v[19:20]
	ds_read_b64 v[21:22], v10 offset:128
	s_waitcnt vmcnt(0) lgkmcnt(0)
	v_mul_f32_e32 v23, v22, v20
	v_mul_f32_e32 v20, v21, v20
	v_fma_f32 v21, v21, v19, -v23
	v_fmac_f32_e32 v20, v22, v19
	v_add_f32_e32 v3, v3, v21
	v_add_f32_e32 v4, v4, v20
.LBB166_1011:                           ;   in Loop: Header=BB166_999 Depth=1
	s_or_b64 exec, exec, s[40:41]
	v_add_u32_e32 v19, 32, v6
	v_cmp_gt_i32_e64 s[14:15], s9, v19
	s_and_b64 s[14:15], s[10:11], s[14:15]
	s_and_saveexec_b64 s[40:41], s[14:15]
	s_cbranch_execz .LBB166_1013
; %bb.1012:                             ;   in Loop: Header=BB166_999 Depth=1
	v_mov_b32_e32 v19, s37
	v_add_co_u32_e64 v21, s[14:15], s36, v17
	v_addc_co_u32_e64 v19, s[14:15], v18, v19, s[14:15]
	v_mov_b32_e32 v20, s21
	v_cndmask_b32_e32 v20, v19, v20, vcc
	v_cndmask_b32_e32 v19, v21, v14, vcc
	flat_load_dwordx2 v[19:20], v[19:20]
	ds_read_b64 v[21:22], v10 offset:256
	s_waitcnt vmcnt(0) lgkmcnt(0)
	v_mul_f32_e32 v23, v22, v20
	v_mul_f32_e32 v20, v21, v20
	v_fma_f32 v21, v21, v19, -v23
	v_fmac_f32_e32 v20, v22, v19
	v_add_f32_e32 v3, v3, v21
	v_add_f32_e32 v4, v4, v20
.LBB166_1013:                           ;   in Loop: Header=BB166_999 Depth=1
	s_or_b64 exec, exec, s[40:41]
	v_add_u32_e32 v6, 48, v6
	v_cmp_gt_i32_e64 s[14:15], s9, v6
	s_and_b64 s[14:15], s[10:11], s[14:15]
	s_and_saveexec_b64 s[40:41], s[14:15]
	s_cbranch_execz .LBB166_998
; %bb.1014:                             ;   in Loop: Header=BB166_999 Depth=1
	v_mov_b32_e32 v6, s45
	v_add_co_u32_e64 v17, s[14:15], s46, v17
	v_addc_co_u32_e64 v6, s[14:15], v18, v6, s[14:15]
	v_mov_b32_e32 v18, s21
	v_cndmask_b32_e32 v18, v6, v18, vcc
	v_cndmask_b32_e32 v17, v17, v16, vcc
	flat_load_dwordx2 v[17:18], v[17:18]
	ds_read_b64 v[19:20], v10 offset:384
	s_waitcnt vmcnt(0) lgkmcnt(0)
	v_mul_f32_e32 v6, v20, v18
	v_mul_f32_e32 v18, v19, v18
	v_fma_f32 v6, v19, v17, -v6
	v_fmac_f32_e32 v18, v20, v17
	v_add_f32_e32 v3, v3, v6
	v_add_f32_e32 v4, v4, v18
	s_branch .LBB166_998
.LBB166_1015:
	s_xor_b64 s[4:5], s[30:31], -1
	s_xor_b64 s[8:9], s[38:39], -1
	v_lshlrev_b32_e32 v1, 3, v1
	ds_write_b64 v1, v[3:4] offset:32768
	s_waitcnt lgkmcnt(0)
	s_barrier
	s_and_saveexec_b64 s[10:11], s[6:7]
	s_cbranch_execz .LBB166_1017
; %bb.1016:
	v_lshlrev_b32_e32 v7, 3, v0
	ds_read2st64_b64 v[9:12], v7 offset0:65 offset1:66
	ds_read2st64_b64 v[13:16], v7 offset0:67 offset1:68
	ds_read_b64 v[17:18], v7 offset:40448
	s_waitcnt lgkmcnt(2)
	v_add_f32_e32 v3, v3, v9
	v_add_f32_e32 v4, v4, v10
	;; [unrolled: 1-line block ×4, first 2 shown]
	ds_read2st64_b64 v[3:6], v7 offset0:69 offset1:70
	s_waitcnt lgkmcnt(2)
	v_add_f32_e32 v9, v9, v13
	v_add_f32_e32 v10, v10, v14
	;; [unrolled: 1-line block ×4, first 2 shown]
	s_waitcnt lgkmcnt(0)
	v_add_f32_e32 v3, v9, v3
	ds_read2st64_b64 v[9:12], v7 offset0:71 offset1:72
	v_add_f32_e32 v4, v13, v4
	v_add_f32_e32 v13, v3, v5
	;; [unrolled: 1-line block ×3, first 2 shown]
	ds_read2st64_b64 v[3:6], v7 offset0:73 offset1:74
	s_waitcnt lgkmcnt(1)
	v_add_f32_e32 v9, v13, v9
	v_add_f32_e32 v10, v14, v10
	;; [unrolled: 1-line block ×4, first 2 shown]
	s_waitcnt lgkmcnt(0)
	v_add_f32_e32 v3, v9, v3
	ds_read2st64_b64 v[9:12], v7 offset0:75 offset1:76
	v_add_f32_e32 v4, v13, v4
	v_add_f32_e32 v13, v3, v5
	v_add_f32_e32 v14, v4, v6
	ds_read2st64_b64 v[3:6], v7 offset0:77 offset1:78
	s_waitcnt lgkmcnt(1)
	v_add_f32_e32 v7, v13, v9
	v_add_f32_e32 v9, v14, v10
	;; [unrolled: 1-line block ×4, first 2 shown]
	s_waitcnt lgkmcnt(0)
	v_add_f32_e32 v3, v7, v3
	v_add_f32_e32 v4, v9, v4
	;; [unrolled: 1-line block ×6, first 2 shown]
	v_cndmask_b32_e64 v3, -v3, 0, s[18:19]
	v_cndmask_b32_e64 v4, -v4, 0, s[18:19]
.LBB166_1017:
	s_or_b64 exec, exec, s[10:11]
	s_andn2_b64 vcc, exec, s[8:9]
	s_cbranch_vccnz .LBB166_1030
; %bb.1018:
	v_mov_b32_e32 v5, 0xa000
	v_lshl_or_b32 v7, v2, 3, v5
	s_and_saveexec_b64 s[8:9], s[6:7]
; %bb.1019:
	v_lshl_add_u32 v5, v0, 3, v7
	ds_write_b64 v5, v[3:4]
; %bb.1020:
	s_or_b64 exec, exec, s[8:9]
	v_cmp_ge_u32_e32 vcc, v0, v2
	v_mov_b32_e32 v5, 0
	v_mov_b32_e32 v6, 0
	s_waitcnt lgkmcnt(0)
	s_barrier
	s_and_saveexec_b64 s[8:9], vcc
	s_cbranch_execz .LBB166_1022
; %bb.1021:
	ds_read_b64 v[5:6], v1
	ds_read_b64 v[9:10], v7
	s_waitcnt lgkmcnt(0)
	v_mul_f32_e32 v11, v10, v6
	v_mul_f32_e32 v6, v9, v6
	v_fma_f32 v9, v9, v5, -v11
	v_fmac_f32_e32 v6, v10, v5
	v_add_f32_e32 v5, 0, v9
	v_add_f32_e32 v6, 0, v6
.LBB166_1022:
	s_or_b64 exec, exec, s[8:9]
	v_add_u32_e32 v9, 16, v2
	v_cmp_ge_u32_e32 vcc, v0, v9
	s_and_saveexec_b64 s[8:9], vcc
	s_cbranch_execz .LBB166_1024
; %bb.1023:
	ds_read_b64 v[9:10], v1 offset:8192
	ds_read_b64 v[11:12], v7 offset:128
	s_waitcnt lgkmcnt(0)
	v_mul_f32_e32 v13, v12, v10
	v_mul_f32_e32 v10, v11, v10
	v_fma_f32 v11, v11, v9, -v13
	v_fmac_f32_e32 v10, v12, v9
	v_add_f32_e32 v5, v5, v11
	v_add_f32_e32 v6, v6, v10
.LBB166_1024:
	s_or_b64 exec, exec, s[8:9]
	v_add_u32_e32 v9, 32, v2
	v_cmp_ge_u32_e32 vcc, v0, v9
	s_and_saveexec_b64 s[8:9], vcc
	s_cbranch_execz .LBB166_1026
; %bb.1025:
	ds_read_b64 v[9:10], v1 offset:16384
	ds_read_b64 v[11:12], v7 offset:256
	s_waitcnt lgkmcnt(0)
	v_mul_f32_e32 v13, v12, v10
	v_mul_f32_e32 v10, v11, v10
	v_fma_f32 v11, v11, v9, -v13
	v_fmac_f32_e32 v10, v12, v9
	v_add_f32_e32 v5, v5, v11
	v_add_f32_e32 v6, v6, v10
.LBB166_1026:
	s_or_b64 exec, exec, s[8:9]
	v_add_u32_e32 v2, 48, v2
	v_add_u32_e32 v9, 0x8000, v1
	v_cmp_ge_u32_e32 vcc, v0, v2
	s_and_saveexec_b64 s[8:9], vcc
	s_cbranch_execz .LBB166_1028
; %bb.1027:
	ds_read_b64 v[1:2], v1 offset:24576
	ds_read_b64 v[10:11], v7 offset:384
	s_waitcnt lgkmcnt(0)
	v_mul_f32_e32 v7, v11, v2
	v_mul_f32_e32 v2, v10, v2
	v_fma_f32 v7, v10, v1, -v7
	v_fmac_f32_e32 v2, v11, v1
	v_add_f32_e32 v5, v5, v7
	v_add_f32_e32 v6, v6, v2
.LBB166_1028:
	s_or_b64 exec, exec, s[8:9]
	s_mov_b64 s[10:11], 0
	s_mov_b64 s[8:9], 0
	ds_write_b64 v9, v[5:6]
	s_waitcnt lgkmcnt(0)
	s_barrier
                                        ; implicit-def: $vgpr7
                                        ; implicit-def: $vgpr9
                                        ; implicit-def: $vgpr1_vgpr2
	s_and_saveexec_b64 s[12:13], s[6:7]
	s_cbranch_execz .LBB166_1043
; %bb.1029:
	v_lshlrev_b32_e32 v1, 3, v0
	ds_read2st64_b64 v[9:12], v1 offset0:65 offset1:66
	ds_read2st64_b64 v[13:16], v1 offset0:67 offset1:68
	ds_read_b64 v[17:18], v1 offset:40448
	v_add_u32_e32 v7, s33, v8
	s_mov_b64 s[8:9], exec
	s_waitcnt lgkmcnt(2)
	v_add_f32_e32 v2, v5, v9
	v_add_f32_e32 v5, v6, v10
	v_add_f32_e32 v2, v2, v11
	v_add_f32_e32 v5, v5, v12
	ds_read2st64_b64 v[9:12], v1 offset0:69 offset1:70
	s_waitcnt lgkmcnt(2)
	v_add_f32_e32 v2, v2, v13
	v_add_f32_e32 v5, v5, v14
	v_add_f32_e32 v2, v2, v15
	v_add_f32_e32 v5, v5, v16
	ds_read2st64_b64 v[13:16], v1 offset0:71 offset1:72
	;; [unrolled: 6-line block ×5, first 2 shown]
	s_waitcnt lgkmcnt(1)
	v_add_f32_e32 v1, v2, v13
	v_add_f32_e32 v2, v5, v14
	;; [unrolled: 1-line block ×4, first 2 shown]
	v_mad_u64_u32 v[1:2], s[14:15], s26, v7, 0
	s_waitcnt lgkmcnt(0)
	v_add_f32_e32 v5, v5, v9
	v_add_f32_e32 v9, v6, v10
	;; [unrolled: 1-line block ×3, first 2 shown]
	v_mad_u64_u32 v[5:6], s[14:15], s27, v7, v[2:3]
	v_add_f32_e32 v2, v9, v12
	v_add_f32_e32 v9, v10, v17
	;; [unrolled: 1-line block ×3, first 2 shown]
	v_mov_b32_e32 v2, v5
	s_or_b64 exec, exec, s[12:13]
	s_and_b64 vcc, exec, s[10:11]
	s_cbranch_vccnz .LBB166_1031
	s_branch .LBB166_1044
.LBB166_1030:
	s_mov_b64 s[8:9], 0
                                        ; implicit-def: $vgpr7
                                        ; implicit-def: $vgpr9
                                        ; implicit-def: $vgpr1_vgpr2
	s_cbranch_execz .LBB166_1044
.LBB166_1031:
	v_mul_u32_u24_e32 v1, 0x208, v0
	v_lshlrev_b32_e32 v2, 9, v0
	v_sub_u32_e32 v2, v1, v2
	s_mov_b32 s12, 0
	v_mov_b32_e32 v5, 0
	v_mov_b32_e32 v6, v0
	s_branch .LBB166_1033
.LBB166_1032:                           ;   in Loop: Header=BB166_1033 Depth=1
	s_or_b64 exec, exec, s[10:11]
	s_add_i32 s12, s12, 2
	v_add_u32_e32 v2, 0x400, v2
	s_cmp_lg_u32 s12, 64
	v_add_u32_e32 v6, -2, v6
	s_barrier
	s_cbranch_scc0 .LBB166_1041
.LBB166_1033:                           ; =>This Inner Loop Header: Depth=1
	v_cmp_eq_u32_e32 vcc, 0, v6
	s_and_b64 s[14:15], s[6:7], vcc
	s_and_saveexec_b64 s[10:11], s[14:15]
	s_cbranch_execz .LBB166_1035
; %bb.1034:                             ;   in Loop: Header=BB166_1033 Depth=1
	ds_read_b64 v[9:10], v1
	s_waitcnt lgkmcnt(0)
	v_mul_f32_e32 v7, v4, v10
	v_mul_f32_e32 v11, v3, v10
	v_fma_f32 v10, v3, v9, -v7
	v_fmac_f32_e32 v11, v4, v9
	v_mov_b32_e32 v3, v10
	v_mov_b32_e32 v4, v11
	ds_write_b64 v5, v[10:11] offset:41472
.LBB166_1035:                           ;   in Loop: Header=BB166_1033 Depth=1
	s_or_b64 exec, exec, s[10:11]
	v_cmp_lt_u32_e32 vcc, s12, v0
	s_and_b64 s[14:15], s[6:7], vcc
	s_waitcnt lgkmcnt(0)
	s_barrier
	s_and_saveexec_b64 s[10:11], s[14:15]
	s_cbranch_execz .LBB166_1037
; %bb.1036:                             ;   in Loop: Header=BB166_1033 Depth=1
	ds_read_b64 v[9:10], v2
	ds_read_b64 v[11:12], v5 offset:41472
	s_waitcnt lgkmcnt(0)
	v_mul_f32_e32 v7, v12, v10
	v_mul_f32_e32 v10, v11, v10
	v_fma_f32 v7, v11, v9, -v7
	v_fmac_f32_e32 v10, v12, v9
	v_add_f32_e32 v3, v3, v7
	v_add_f32_e32 v4, v4, v10
.LBB166_1037:                           ;   in Loop: Header=BB166_1033 Depth=1
	s_or_b64 exec, exec, s[10:11]
	s_or_b32 s13, s12, 1
	v_cmp_eq_u32_e32 vcc, s13, v0
	s_and_b64 s[14:15], s[6:7], vcc
	s_barrier
	s_and_saveexec_b64 s[10:11], s[14:15]
	s_cbranch_execz .LBB166_1039
; %bb.1038:                             ;   in Loop: Header=BB166_1033 Depth=1
	ds_read_b64 v[9:10], v1
	s_waitcnt lgkmcnt(0)
	v_mul_f32_e32 v7, v4, v10
	v_mul_f32_e32 v11, v3, v10
	v_fma_f32 v10, v3, v9, -v7
	v_fmac_f32_e32 v11, v4, v9
	v_mov_b32_e32 v3, v10
	v_mov_b32_e32 v4, v11
	ds_write_b64 v5, v[10:11] offset:41472
.LBB166_1039:                           ;   in Loop: Header=BB166_1033 Depth=1
	s_or_b64 exec, exec, s[10:11]
	v_cmp_lt_u32_e32 vcc, s13, v0
	s_and_b64 s[14:15], s[6:7], vcc
	s_waitcnt lgkmcnt(0)
	s_barrier
	s_and_saveexec_b64 s[10:11], s[14:15]
	s_cbranch_execz .LBB166_1032
; %bb.1040:                             ;   in Loop: Header=BB166_1033 Depth=1
	ds_read_b64 v[9:10], v2 offset:512
	ds_read_b64 v[11:12], v5 offset:41472
	s_waitcnt lgkmcnt(0)
	v_mul_f32_e32 v7, v12, v10
	v_mul_f32_e32 v10, v11, v10
	v_fma_f32 v7, v11, v9, -v7
	v_fmac_f32_e32 v10, v12, v9
	v_add_f32_e32 v3, v3, v7
	v_add_f32_e32 v4, v4, v10
	s_branch .LBB166_1032
.LBB166_1041:
	s_and_b64 vcc, exec, s[4:5]
	s_cbranch_vccz .LBB166_1045
; %bb.1042:
	s_and_b64 s[4:5], s[6:7], exec
	s_cbranch_execz .LBB166_1046
	s_branch .LBB166_1047
.LBB166_1043:
	s_or_b64 exec, exec, s[12:13]
	s_and_b64 vcc, exec, s[10:11]
	s_cbranch_vccnz .LBB166_1031
.LBB166_1044:
	v_mov_b32_e32 v4, v7
	v_mov_b32_e32 v3, v9
	s_and_saveexec_b64 s[4:5], s[8:9]
	s_cbranch_execnz .LBB166_1050
	s_branch .LBB166_1051
.LBB166_1045:
	s_mov_b64 s[4:5], 0
.LBB166_1046:
	v_cmp_gt_i32_e32 vcc, s84, v0
	s_and_b64 s[6:7], s[6:7], vcc
	s_andn2_b64 s[4:5], s[4:5], exec
	s_and_b64 s[6:7], s[6:7], exec
	s_or_b64 s[4:5], s[4:5], s[6:7]
.LBB166_1047:
                                        ; implicit-def: $vgpr1_vgpr2
	s_and_saveexec_b64 s[6:7], s[4:5]
	s_cbranch_execz .LBB166_1049
; %bb.1048:
	v_mov_b32_e32 v0, s58
	v_add_co_u32_e32 v1, vcc, s33, v8
	v_addc_co_u32_e32 v0, vcc, 0, v0, vcc
	v_mul_lo_u32 v0, v0, s26
	v_mul_lo_u32 v5, v1, s27
	v_mad_u64_u32 v[1:2], s[4:5], v1, s26, 0
	s_or_b64 s[8:9], s[8:9], exec
	v_add3_u32 v2, v2, v5, v0
.LBB166_1049:
	s_or_b64 exec, exec, s[6:7]
	s_and_saveexec_b64 s[4:5], s[8:9]
	s_cbranch_execz .LBB166_1051
.LBB166_1050:
	v_lshlrev_b64 v[0:1], 3, v[1:2]
	v_mov_b32_e32 v2, s43
	v_add_co_u32_e32 v0, vcc, s42, v0
	v_addc_co_u32_e32 v1, vcc, v2, v1, vcc
	flat_store_dwordx2 v[0:1], v[3:4]
.LBB166_1051:
	s_or_b64 exec, exec, s[4:5]
	v_cmp_eq_u32_e32 vcc, 0, v8
	s_waitcnt vmcnt(0) lgkmcnt(0)
	buffer_wbinvl1_vol
	s_barrier
	s_and_saveexec_b64 s[4:5], vcc
	s_cbranch_execz .LBB166_1053
; %bb.1052:
	s_lshl_b64 s[6:7], s[24:25], 2
	s_add_u32 s6, s16, s6
	s_addc_u32 s7, s17, s7
	v_mov_b32_e32 v0, 0
	global_load_dword v1, v0, s[6:7]
	s_waitcnt vmcnt(0)
	v_add_u32_e32 v1, 1, v1
	global_store_dword v0, v1, s[6:7]
.LBB166_1053:
	s_or_b64 exec, exec, s[4:5]
	s_waitcnt vmcnt(0)
	buffer_wbinvl1_vol
	s_endpgm
.LBB166_1054:
	v_lshlrev_b32_e32 v13, 3, v10
	v_sub_u32_e32 v13, v12, v13
	v_lshl_add_u32 v13, v9, 3, v13
	ds_read_b64 v[13:14], v13 offset:544
	ds_read_b64 v[15:16], v12 offset:8
	s_waitcnt lgkmcnt(0)
	v_mul_f32_e32 v17, v16, v14
	v_mul_f32_e32 v14, v15, v14
	v_fma_f32 v15, v15, v13, -v17
	v_fmac_f32_e32 v14, v16, v13
	v_add_f32_e32 v8, v8, v15
	v_add_f32_e32 v11, v11, v14
	s_or_b64 exec, exec, s[16:17]
	v_cmp_gt_u32_e64 s[12:13], 8, v1
	s_and_saveexec_b64 s[16:17], s[12:13]
	s_cbranch_execz .LBB166_154
.LBB166_1055:
	ds_read_b64 v[13:14], v6 offset:1056
	ds_read_b64 v[15:16], v12 offset:16
	s_waitcnt lgkmcnt(0)
	v_mul_f32_e32 v12, v16, v14
	v_mul_f32_e32 v14, v15, v14
	v_fma_f32 v12, v15, v13, -v12
	v_fmac_f32_e32 v14, v16, v13
	v_add_f32_e32 v8, v8, v12
	v_add_f32_e32 v11, v11, v14
	s_or_b64 exec, exec, s[16:17]
	v_cmp_gt_u32_e64 s[12:13], 4, v1
	s_and_saveexec_b64 s[16:17], s[12:13]
	s_cbranch_execnz .LBB166_155
	s_branch .LBB166_156
.LBB166_1056:
	v_lshlrev_b32_e32 v18, 3, v15
	v_sub_u32_e32 v18, v17, v18
	v_lshl_add_u32 v18, v14, 3, v18
	ds_read_b64 v[18:19], v18 offset:576
	ds_read_b64 v[20:21], v17 offset:8
	s_waitcnt lgkmcnt(0)
	v_mul_f32_e32 v22, v21, v19
	v_mul_f32_e32 v19, v20, v19
	v_fma_f32 v20, v20, v18, -v22
	v_fmac_f32_e32 v19, v21, v18
	v_add_f32_e32 v13, v13, v20
	v_add_f32_e32 v16, v16, v19
	s_or_b64 exec, exec, s[20:21]
	v_cmp_gt_u32_e64 s[14:15], 48, v1
	s_and_saveexec_b64 s[20:21], s[14:15]
	s_cbranch_execz .LBB166_192
.LBB166_1057:
	v_lshlrev_b32_e32 v18, 3, v15
	v_sub_u32_e32 v18, v17, v18
	v_lshl_add_u32 v18, v14, 3, v18
	ds_read_b64 v[18:19], v18 offset:1088
	ds_read_b64 v[20:21], v17 offset:16
	s_waitcnt lgkmcnt(0)
	v_mul_f32_e32 v22, v21, v19
	v_mul_f32_e32 v19, v20, v19
	v_fma_f32 v20, v20, v18, -v22
	v_fmac_f32_e32 v19, v21, v18
	v_add_f32_e32 v13, v13, v20
	v_add_f32_e32 v16, v16, v19
	s_or_b64 exec, exec, s[20:21]
	v_cmp_gt_u32_e64 s[14:15], 40, v1
	s_and_saveexec_b64 s[20:21], s[14:15]
	s_cbranch_execz .LBB166_193
.LBB166_1058:
	v_lshlrev_b32_e32 v18, 3, v15
	v_sub_u32_e32 v18, v17, v18
	v_lshl_add_u32 v18, v14, 3, v18
	ds_read_b64 v[18:19], v18 offset:1600
	ds_read_b64 v[20:21], v17 offset:24
	s_waitcnt lgkmcnt(0)
	v_mul_f32_e32 v22, v21, v19
	v_mul_f32_e32 v19, v20, v19
	v_fma_f32 v20, v20, v18, -v22
	v_fmac_f32_e32 v19, v21, v18
	v_add_f32_e32 v13, v13, v20
	v_add_f32_e32 v16, v16, v19
	s_or_b64 exec, exec, s[20:21]
	v_cmp_gt_u32_e64 s[14:15], 32, v1
	s_and_saveexec_b64 s[20:21], s[14:15]
	s_cbranch_execz .LBB166_194
.LBB166_1059:
	ds_read_b64 v[18:19], v11 offset:2112
	ds_read_b64 v[20:21], v17 offset:32
	s_waitcnt lgkmcnt(0)
	v_mul_f32_e32 v22, v21, v19
	v_mul_f32_e32 v19, v20, v19
	v_fma_f32 v20, v20, v18, -v22
	v_fmac_f32_e32 v19, v21, v18
	v_add_f32_e32 v13, v13, v20
	v_add_f32_e32 v16, v16, v19
	s_or_b64 exec, exec, s[20:21]
	v_cmp_gt_u32_e64 s[14:15], 24, v1
	s_and_saveexec_b64 s[20:21], s[14:15]
	s_cbranch_execz .LBB166_195
.LBB166_1060:
	v_lshlrev_b32_e32 v18, 3, v15
	v_sub_u32_e32 v18, v17, v18
	v_lshl_add_u32 v18, v14, 3, v18
	ds_read_b64 v[18:19], v18 offset:2624
	ds_read_b64 v[20:21], v17 offset:40
	s_waitcnt lgkmcnt(0)
	v_mul_f32_e32 v22, v21, v19
	v_mul_f32_e32 v19, v20, v19
	v_fma_f32 v20, v20, v18, -v22
	v_fmac_f32_e32 v19, v21, v18
	v_add_f32_e32 v13, v13, v20
	v_add_f32_e32 v16, v16, v19
	s_or_b64 exec, exec, s[20:21]
	v_cmp_gt_u32_e64 s[14:15], 16, v1
	s_and_saveexec_b64 s[20:21], s[14:15]
	s_cbranch_execz .LBB166_196
.LBB166_1061:
	ds_read_b64 v[18:19], v11 offset:3136
	ds_read_b64 v[20:21], v17 offset:48
	s_waitcnt lgkmcnt(0)
	v_mul_f32_e32 v17, v21, v19
	v_mul_f32_e32 v19, v20, v19
	v_fma_f32 v17, v20, v18, -v17
	v_fmac_f32_e32 v19, v21, v18
	v_add_f32_e32 v13, v13, v17
	v_add_f32_e32 v16, v16, v19
	s_or_b64 exec, exec, s[20:21]
	v_cmp_gt_u32_e64 s[14:15], 8, v1
	s_and_saveexec_b64 s[20:21], s[14:15]
	s_cbranch_execnz .LBB166_197
	s_branch .LBB166_198
.LBB166_1062:
	v_lshlrev_b32_e32 v19, 3, v10
	v_sub_u32_e32 v19, v17, v19
	v_lshl_add_u32 v19, v9, 3, v19
	ds_read_b64 v[19:20], v19 offset:4704
	ds_read_b64 v[21:22], v17 offset:4168
	s_waitcnt lgkmcnt(0)
	v_mul_f32_e32 v23, v22, v20
	v_mul_f32_e32 v20, v21, v20
	v_fma_f32 v21, v21, v19, -v23
	v_fmac_f32_e32 v20, v22, v19
	v_add_f32_e32 v16, v16, v21
	v_add_f32_e32 v18, v18, v20
	s_or_b64 exec, exec, s[16:17]
	v_cmp_gt_u32_e64 s[12:13], 8, v1
	s_and_saveexec_b64 s[16:17], s[12:13]
	s_cbranch_execz .LBB166_250
.LBB166_1063:
	ds_read_b64 v[19:20], v6 offset:5216
	ds_read_b64 v[21:22], v17 offset:4176
	s_waitcnt lgkmcnt(0)
	v_mul_f32_e32 v17, v22, v20
	v_mul_f32_e32 v20, v21, v20
	v_fma_f32 v17, v21, v19, -v17
	v_fmac_f32_e32 v20, v22, v19
	v_add_f32_e32 v16, v16, v17
	v_add_f32_e32 v18, v18, v20
	s_or_b64 exec, exec, s[16:17]
	v_cmp_gt_u32_e64 s[12:13], 4, v1
	s_and_saveexec_b64 s[16:17], s[12:13]
	s_cbranch_execnz .LBB166_251
	s_branch .LBB166_252
.LBB166_1064:
	v_lshlrev_b32_e32 v23, 3, v17
	v_lshl_add_u32 v23, v19, 3, v23
	ds_read_b64 v[23:24], v23 offset:5760
	ds_read_b64 v[25:26], v22 offset:88
	s_waitcnt lgkmcnt(0)
	v_mul_f32_e32 v27, v26, v24
	v_mul_f32_e32 v24, v25, v24
	v_fma_f32 v25, v25, v23, -v27
	v_fmac_f32_e32 v24, v26, v23
	v_add_f32_e32 v18, v18, v25
	v_add_f32_e32 v21, v21, v24
	s_or_b64 exec, exec, s[22:23]
	v_cmp_gt_u32_e64 s[16:17], 64, v1
	s_and_saveexec_b64 s[22:23], s[16:17]
	s_cbranch_execz .LBB166_308
.LBB166_1065:
	ds_read_b64 v[23:24], v16 offset:6272
	ds_read_b64 v[25:26], v22 offset:96
	s_waitcnt lgkmcnt(0)
	v_mul_f32_e32 v27, v26, v24
	v_mul_f32_e32 v24, v25, v24
	v_fma_f32 v25, v25, v23, -v27
	v_fmac_f32_e32 v24, v26, v23
	v_add_f32_e32 v18, v18, v25
	v_add_f32_e32 v21, v21, v24
	s_or_b64 exec, exec, s[22:23]
	v_cmp_gt_u32_e64 s[16:17], 48, v1
	s_and_saveexec_b64 s[22:23], s[16:17]
	s_cbranch_execz .LBB166_309
.LBB166_1066:
	v_lshlrev_b32_e32 v23, 3, v17
	v_lshl_add_u32 v23, v19, 3, v23
	ds_read_b64 v[23:24], v23 offset:6784
	ds_read_b64 v[25:26], v22 offset:104
	s_waitcnt lgkmcnt(0)
	v_mul_f32_e32 v27, v26, v24
	v_mul_f32_e32 v24, v25, v24
	v_fma_f32 v25, v25, v23, -v27
	v_fmac_f32_e32 v24, v26, v23
	v_add_f32_e32 v18, v18, v25
	v_add_f32_e32 v21, v21, v24
	s_or_b64 exec, exec, s[22:23]
	v_cmp_gt_u32_e64 s[16:17], 32, v1
	s_and_saveexec_b64 s[22:23], s[16:17]
	s_cbranch_execz .LBB166_310
.LBB166_1067:
	ds_read_b64 v[23:24], v16 offset:7296
	ds_read_b64 v[25:26], v22 offset:112
	s_waitcnt lgkmcnt(0)
	v_mul_f32_e32 v22, v26, v24
	v_mul_f32_e32 v24, v25, v24
	v_fma_f32 v22, v25, v23, -v22
	v_fmac_f32_e32 v24, v26, v23
	v_add_f32_e32 v18, v18, v22
	v_add_f32_e32 v21, v21, v24
	s_or_b64 exec, exec, s[22:23]
	v_cmp_gt_u32_e64 s[16:17], 16, v1
	s_and_saveexec_b64 s[22:23], s[16:17]
	s_cbranch_execnz .LBB166_311
	s_branch .LBB166_312
.LBB166_1068:
	v_lshlrev_b32_e32 v24, 3, v10
	v_sub_u32_e32 v24, v22, v24
	v_lshl_add_u32 v24, v9, 3, v24
	ds_read_b64 v[24:25], v24 offset:8864
	ds_read_b64 v[26:27], v22 offset:8328
	s_waitcnt lgkmcnt(0)
	v_mul_f32_e32 v28, v27, v25
	v_mul_f32_e32 v25, v26, v25
	v_fma_f32 v26, v26, v24, -v28
	v_fmac_f32_e32 v25, v27, v24
	v_add_f32_e32 v21, v21, v26
	v_add_f32_e32 v23, v23, v25
	s_or_b64 exec, exec, s[20:21]
	v_cmp_gt_u32_e64 s[14:15], 8, v1
	s_and_saveexec_b64 s[20:21], s[14:15]
	s_cbranch_execz .LBB166_396
.LBB166_1069:
	ds_read_b64 v[24:25], v6 offset:9376
	ds_read_b64 v[26:27], v22 offset:8336
	s_waitcnt lgkmcnt(0)
	v_mul_f32_e32 v22, v27, v25
	v_mul_f32_e32 v25, v26, v25
	v_fma_f32 v22, v26, v24, -v22
	v_fmac_f32_e32 v25, v27, v24
	v_add_f32_e32 v21, v21, v22
	v_add_f32_e32 v23, v23, v25
	s_or_b64 exec, exec, s[20:21]
	v_cmp_gt_u32_e64 s[14:15], 4, v1
	s_and_saveexec_b64 s[20:21], s[14:15]
	s_cbranch_execnz .LBB166_397
	s_branch .LBB166_398
.LBB166_1070:
	v_lshlrev_b32_e32 v24, 3, v15
	v_sub_u32_e32 v24, v22, v24
	v_lshl_add_u32 v24, v14, 3, v24
	ds_read_b64 v[24:25], v24 offset:8896
	ds_read_b64 v[26:27], v22 offset:8328
	s_waitcnt lgkmcnt(0)
	v_mul_f32_e32 v28, v27, v25
	v_mul_f32_e32 v25, v26, v25
	v_fma_f32 v26, v26, v24, -v28
	v_fmac_f32_e32 v25, v27, v24
	v_add_f32_e32 v21, v21, v26
	v_add_f32_e32 v23, v23, v25
	s_or_b64 exec, exec, s[20:21]
	v_cmp_gt_u32_e64 s[14:15], 48, v1
	s_and_saveexec_b64 s[20:21], s[14:15]
	s_cbranch_execz .LBB166_434
.LBB166_1071:
	v_lshlrev_b32_e32 v24, 3, v15
	v_sub_u32_e32 v24, v22, v24
	v_lshl_add_u32 v24, v14, 3, v24
	ds_read_b64 v[24:25], v24 offset:9408
	ds_read_b64 v[26:27], v22 offset:8336
	s_waitcnt lgkmcnt(0)
	v_mul_f32_e32 v28, v27, v25
	v_mul_f32_e32 v25, v26, v25
	v_fma_f32 v26, v26, v24, -v28
	v_fmac_f32_e32 v25, v27, v24
	v_add_f32_e32 v21, v21, v26
	v_add_f32_e32 v23, v23, v25
	s_or_b64 exec, exec, s[20:21]
	v_cmp_gt_u32_e64 s[14:15], 40, v1
	s_and_saveexec_b64 s[20:21], s[14:15]
	s_cbranch_execz .LBB166_435
.LBB166_1072:
	v_lshlrev_b32_e32 v24, 3, v15
	v_sub_u32_e32 v24, v22, v24
	v_lshl_add_u32 v24, v14, 3, v24
	ds_read_b64 v[24:25], v24 offset:9920
	ds_read_b64 v[26:27], v22 offset:8344
	s_waitcnt lgkmcnt(0)
	v_mul_f32_e32 v28, v27, v25
	v_mul_f32_e32 v25, v26, v25
	v_fma_f32 v26, v26, v24, -v28
	v_fmac_f32_e32 v25, v27, v24
	v_add_f32_e32 v21, v21, v26
	v_add_f32_e32 v23, v23, v25
	s_or_b64 exec, exec, s[20:21]
	v_cmp_gt_u32_e64 s[14:15], 32, v1
	s_and_saveexec_b64 s[20:21], s[14:15]
	s_cbranch_execz .LBB166_436
.LBB166_1073:
	ds_read_b64 v[24:25], v11 offset:10432
	ds_read_b64 v[26:27], v22 offset:8352
	s_waitcnt lgkmcnt(0)
	v_mul_f32_e32 v28, v27, v25
	v_mul_f32_e32 v25, v26, v25
	v_fma_f32 v26, v26, v24, -v28
	v_fmac_f32_e32 v25, v27, v24
	v_add_f32_e32 v21, v21, v26
	v_add_f32_e32 v23, v23, v25
	s_or_b64 exec, exec, s[20:21]
	v_cmp_gt_u32_e64 s[14:15], 24, v1
	s_and_saveexec_b64 s[20:21], s[14:15]
	s_cbranch_execz .LBB166_437
.LBB166_1074:
	v_lshlrev_b32_e32 v24, 3, v15
	v_sub_u32_e32 v24, v22, v24
	v_lshl_add_u32 v24, v14, 3, v24
	ds_read_b64 v[24:25], v24 offset:10944
	ds_read_b64 v[26:27], v22 offset:8360
	s_waitcnt lgkmcnt(0)
	v_mul_f32_e32 v28, v27, v25
	v_mul_f32_e32 v25, v26, v25
	v_fma_f32 v26, v26, v24, -v28
	v_fmac_f32_e32 v25, v27, v24
	v_add_f32_e32 v21, v21, v26
	v_add_f32_e32 v23, v23, v25
	s_or_b64 exec, exec, s[20:21]
	v_cmp_gt_u32_e64 s[14:15], 16, v1
	s_and_saveexec_b64 s[20:21], s[14:15]
	s_cbranch_execz .LBB166_438
.LBB166_1075:
	ds_read_b64 v[24:25], v11 offset:11456
	ds_read_b64 v[26:27], v22 offset:8368
	s_waitcnt lgkmcnt(0)
	v_mul_f32_e32 v22, v27, v25
	v_mul_f32_e32 v25, v26, v25
	v_fma_f32 v22, v26, v24, -v22
	v_fmac_f32_e32 v25, v27, v24
	v_add_f32_e32 v21, v21, v22
	v_add_f32_e32 v23, v23, v25
	s_or_b64 exec, exec, s[20:21]
	v_cmp_gt_u32_e64 s[14:15], 8, v1
	s_and_saveexec_b64 s[20:21], s[14:15]
	s_cbranch_execnz .LBB166_439
	s_branch .LBB166_440
.LBB166_1076:
	v_lshlrev_b32_e32 v24, 3, v10
	v_sub_u32_e32 v24, v22, v24
	v_lshl_add_u32 v24, v9, 3, v24
	ds_read_b64 v[24:25], v24 offset:13024
	ds_read_b64 v[26:27], v22 offset:12488
	s_waitcnt lgkmcnt(0)
	v_mul_f32_e32 v28, v27, v25
	v_mul_f32_e32 v25, v26, v25
	v_fma_f32 v26, v26, v24, -v28
	v_fmac_f32_e32 v25, v27, v24
	v_add_f32_e32 v21, v21, v26
	v_add_f32_e32 v23, v23, v25
	s_or_b64 exec, exec, s[20:21]
	v_cmp_gt_u32_e64 s[14:15], 8, v1
	s_and_saveexec_b64 s[20:21], s[14:15]
	s_cbranch_execz .LBB166_492
.LBB166_1077:
	ds_read_b64 v[24:25], v6 offset:13536
	ds_read_b64 v[26:27], v22 offset:12496
	s_waitcnt lgkmcnt(0)
	v_mul_f32_e32 v22, v27, v25
	v_mul_f32_e32 v25, v26, v25
	v_fma_f32 v22, v26, v24, -v22
	v_fmac_f32_e32 v25, v27, v24
	v_add_f32_e32 v21, v21, v22
	v_add_f32_e32 v23, v23, v25
	s_or_b64 exec, exec, s[20:21]
	v_cmp_gt_u32_e64 s[14:15], 4, v1
	s_and_saveexec_b64 s[20:21], s[14:15]
	s_cbranch_execnz .LBB166_493
	s_branch .LBB166_494
.LBB166_1078:
	ds_read_b64 v[29:30], v28 offset:15104
	ds_read_b64 v[31:32], v27 offset:232
	s_waitcnt lgkmcnt(0)
	v_mul_f32_e32 v33, v32, v30
	v_mul_f32_e32 v30, v31, v30
	v_fma_f32 v31, v31, v29, -v33
	v_fmac_f32_e32 v30, v32, v29
	v_add_f32_e32 v24, v24, v31
	v_add_f32_e32 v25, v25, v30
	s_or_b64 exec, exec, s[36:37]
	v_cmp_gt_u32_e64 s[20:21], 64, v1
	s_and_saveexec_b64 s[36:37], s[20:21]
	s_cbranch_execz .LBB166_586
.LBB166_1079:
	ds_read_b64 v[28:29], v28 offset:15616
	ds_read_b64 v[30:31], v27 offset:240
	s_waitcnt lgkmcnt(0)
	v_mul_f32_e32 v32, v31, v29
	v_mul_f32_e32 v29, v30, v29
	v_fma_f32 v30, v30, v28, -v32
	v_fmac_f32_e32 v29, v31, v28
	v_add_f32_e32 v24, v24, v30
	v_add_f32_e32 v25, v25, v29
	s_or_b64 exec, exec, s[36:37]
	v_cmp_gt_u32_e64 s[20:21], 32, v1
	s_and_saveexec_b64 s[36:37], s[20:21]
	s_cbranch_execnz .LBB166_587
	s_branch .LBB166_588
.LBB166_1080:
	v_lshlrev_b32_e32 v24, 3, v10
	v_sub_u32_e32 v24, v22, v24
	v_lshl_add_u32 v24, v9, 3, v24
	ds_read_b64 v[24:25], v24 offset:17184
	ds_read_b64 v[26:27], v22 offset:16648
	s_waitcnt lgkmcnt(0)
	v_mul_f32_e32 v28, v27, v25
	v_mul_f32_e32 v25, v26, v25
	v_fma_f32 v26, v26, v24, -v28
	v_fmac_f32_e32 v25, v27, v24
	v_add_f32_e32 v21, v21, v26
	v_add_f32_e32 v23, v23, v25
	s_or_b64 exec, exec, s[20:21]
	v_cmp_gt_u32_e64 s[14:15], 8, v1
	s_and_saveexec_b64 s[20:21], s[14:15]
	s_cbranch_execz .LBB166_620
.LBB166_1081:
	ds_read_b64 v[24:25], v6 offset:17696
	ds_read_b64 v[26:27], v22 offset:16656
	s_waitcnt lgkmcnt(0)
	v_mul_f32_e32 v22, v27, v25
	v_mul_f32_e32 v25, v26, v25
	v_fma_f32 v22, v26, v24, -v22
	v_fmac_f32_e32 v25, v27, v24
	v_add_f32_e32 v21, v21, v22
	v_add_f32_e32 v23, v23, v25
	s_or_b64 exec, exec, s[20:21]
	v_cmp_gt_u32_e64 s[14:15], 4, v1
	s_and_saveexec_b64 s[20:21], s[14:15]
	s_cbranch_execnz .LBB166_621
	s_branch .LBB166_622
.LBB166_1082:
	v_lshlrev_b32_e32 v24, 3, v15
	v_sub_u32_e32 v24, v22, v24
	v_lshl_add_u32 v24, v14, 3, v24
	ds_read_b64 v[24:25], v24 offset:17216
	ds_read_b64 v[26:27], v22 offset:16648
	s_waitcnt lgkmcnt(0)
	v_mul_f32_e32 v28, v27, v25
	v_mul_f32_e32 v25, v26, v25
	v_fma_f32 v26, v26, v24, -v28
	v_fmac_f32_e32 v25, v27, v24
	v_add_f32_e32 v21, v21, v26
	v_add_f32_e32 v23, v23, v25
	s_or_b64 exec, exec, s[20:21]
	v_cmp_gt_u32_e64 s[14:15], 48, v1
	s_and_saveexec_b64 s[20:21], s[14:15]
	s_cbranch_execz .LBB166_658
.LBB166_1083:
	v_lshlrev_b32_e32 v24, 3, v15
	v_sub_u32_e32 v24, v22, v24
	v_lshl_add_u32 v24, v14, 3, v24
	ds_read_b64 v[24:25], v24 offset:17728
	ds_read_b64 v[26:27], v22 offset:16656
	s_waitcnt lgkmcnt(0)
	v_mul_f32_e32 v28, v27, v25
	v_mul_f32_e32 v25, v26, v25
	v_fma_f32 v26, v26, v24, -v28
	v_fmac_f32_e32 v25, v27, v24
	v_add_f32_e32 v21, v21, v26
	v_add_f32_e32 v23, v23, v25
	s_or_b64 exec, exec, s[20:21]
	v_cmp_gt_u32_e64 s[14:15], 40, v1
	s_and_saveexec_b64 s[20:21], s[14:15]
	s_cbranch_execz .LBB166_659
.LBB166_1084:
	v_lshlrev_b32_e32 v24, 3, v15
	v_sub_u32_e32 v24, v22, v24
	v_lshl_add_u32 v24, v14, 3, v24
	ds_read_b64 v[24:25], v24 offset:18240
	ds_read_b64 v[26:27], v22 offset:16664
	s_waitcnt lgkmcnt(0)
	v_mul_f32_e32 v28, v27, v25
	v_mul_f32_e32 v25, v26, v25
	v_fma_f32 v26, v26, v24, -v28
	v_fmac_f32_e32 v25, v27, v24
	v_add_f32_e32 v21, v21, v26
	v_add_f32_e32 v23, v23, v25
	s_or_b64 exec, exec, s[20:21]
	v_cmp_gt_u32_e64 s[14:15], 32, v1
	s_and_saveexec_b64 s[20:21], s[14:15]
	s_cbranch_execz .LBB166_660
.LBB166_1085:
	ds_read_b64 v[24:25], v11 offset:18752
	ds_read_b64 v[26:27], v22 offset:16672
	s_waitcnt lgkmcnt(0)
	v_mul_f32_e32 v28, v27, v25
	v_mul_f32_e32 v25, v26, v25
	v_fma_f32 v26, v26, v24, -v28
	v_fmac_f32_e32 v25, v27, v24
	v_add_f32_e32 v21, v21, v26
	v_add_f32_e32 v23, v23, v25
	s_or_b64 exec, exec, s[20:21]
	v_cmp_gt_u32_e64 s[14:15], 24, v1
	s_and_saveexec_b64 s[20:21], s[14:15]
	s_cbranch_execz .LBB166_661
.LBB166_1086:
	v_lshlrev_b32_e32 v24, 3, v15
	v_sub_u32_e32 v24, v22, v24
	v_lshl_add_u32 v24, v14, 3, v24
	ds_read_b64 v[24:25], v24 offset:19264
	ds_read_b64 v[26:27], v22 offset:16680
	s_waitcnt lgkmcnt(0)
	v_mul_f32_e32 v28, v27, v25
	v_mul_f32_e32 v25, v26, v25
	v_fma_f32 v26, v26, v24, -v28
	v_fmac_f32_e32 v25, v27, v24
	v_add_f32_e32 v21, v21, v26
	v_add_f32_e32 v23, v23, v25
	s_or_b64 exec, exec, s[20:21]
	v_cmp_gt_u32_e64 s[14:15], 16, v1
	s_and_saveexec_b64 s[20:21], s[14:15]
	s_cbranch_execz .LBB166_662
.LBB166_1087:
	ds_read_b64 v[24:25], v11 offset:19776
	ds_read_b64 v[26:27], v22 offset:16688
	s_waitcnt lgkmcnt(0)
	v_mul_f32_e32 v22, v27, v25
	v_mul_f32_e32 v25, v26, v25
	v_fma_f32 v22, v26, v24, -v22
	v_fmac_f32_e32 v25, v27, v24
	v_add_f32_e32 v21, v21, v22
	v_add_f32_e32 v23, v23, v25
	s_or_b64 exec, exec, s[20:21]
	v_cmp_gt_u32_e64 s[14:15], 8, v1
	s_and_saveexec_b64 s[20:21], s[14:15]
	s_cbranch_execnz .LBB166_663
	s_branch .LBB166_664
.LBB166_1088:
	v_lshlrev_b32_e32 v24, 3, v10
	v_sub_u32_e32 v24, v22, v24
	v_lshl_add_u32 v24, v9, 3, v24
	ds_read_b64 v[24:25], v24 offset:21344
	ds_read_b64 v[26:27], v22 offset:20808
	s_waitcnt lgkmcnt(0)
	v_mul_f32_e32 v28, v27, v25
	v_mul_f32_e32 v25, v26, v25
	v_fma_f32 v26, v26, v24, -v28
	v_fmac_f32_e32 v25, v27, v24
	v_add_f32_e32 v21, v21, v26
	v_add_f32_e32 v23, v23, v25
	s_or_b64 exec, exec, s[20:21]
	v_cmp_gt_u32_e64 s[14:15], 8, v1
	s_and_saveexec_b64 s[20:21], s[14:15]
	s_cbranch_execz .LBB166_716
.LBB166_1089:
	ds_read_b64 v[24:25], v6 offset:21856
	ds_read_b64 v[26:27], v22 offset:20816
	s_waitcnt lgkmcnt(0)
	v_mul_f32_e32 v22, v27, v25
	v_mul_f32_e32 v25, v26, v25
	v_fma_f32 v22, v26, v24, -v22
	v_fmac_f32_e32 v25, v27, v24
	v_add_f32_e32 v21, v21, v22
	v_add_f32_e32 v23, v23, v25
	s_or_b64 exec, exec, s[20:21]
	v_cmp_gt_u32_e64 s[14:15], 4, v1
	s_and_saveexec_b64 s[20:21], s[14:15]
	s_cbranch_execnz .LBB166_717
	s_branch .LBB166_718
.LBB166_1090:
	v_lshlrev_b32_e32 v20, 3, v17
	v_lshl_add_u32 v20, v19, 3, v20
	ds_read_b64 v[24:25], v20 offset:22400
	ds_read_b64 v[26:27], v22 offset:16728
	s_waitcnt lgkmcnt(0)
	v_mul_f32_e32 v20, v27, v25
	v_mul_f32_e32 v25, v26, v25
	v_fma_f32 v20, v26, v24, -v20
	v_fmac_f32_e32 v25, v27, v24
	v_add_f32_e32 v21, v21, v20
	v_add_f32_e32 v23, v23, v25
	s_or_b64 exec, exec, s[20:21]
	v_cmp_gt_u32_e64 s[14:15], 64, v1
	s_and_saveexec_b64 s[20:21], s[14:15]
	s_cbranch_execz .LBB166_774
.LBB166_1091:
	ds_read_b64 v[24:25], v16 offset:22912
	ds_read_b64 v[26:27], v22 offset:16736
	s_waitcnt lgkmcnt(0)
	v_mul_f32_e32 v20, v27, v25
	v_mul_f32_e32 v25, v26, v25
	v_fma_f32 v20, v26, v24, -v20
	v_fmac_f32_e32 v25, v27, v24
	v_add_f32_e32 v21, v21, v20
	v_add_f32_e32 v23, v23, v25
	s_or_b64 exec, exec, s[20:21]
	v_cmp_gt_u32_e64 s[14:15], 48, v1
	s_and_saveexec_b64 s[20:21], s[14:15]
	s_cbranch_execz .LBB166_775
.LBB166_1092:
	v_lshlrev_b32_e32 v20, 3, v17
	v_lshl_add_u32 v19, v19, 3, v20
	ds_read_b64 v[19:20], v19 offset:23424
	ds_read_b64 v[24:25], v22 offset:16744
	s_waitcnt lgkmcnt(0)
	v_mul_f32_e32 v26, v25, v20
	v_mul_f32_e32 v20, v24, v20
	v_fma_f32 v24, v24, v19, -v26
	v_fmac_f32_e32 v20, v25, v19
	v_add_f32_e32 v21, v21, v24
	v_add_f32_e32 v23, v23, v20
	s_or_b64 exec, exec, s[20:21]
	v_cmp_gt_u32_e64 s[14:15], 32, v1
	s_and_saveexec_b64 s[20:21], s[14:15]
	s_cbranch_execz .LBB166_776
.LBB166_1093:
	ds_read_b64 v[19:20], v16 offset:23936
	ds_read_b64 v[24:25], v22 offset:16752
	s_waitcnt lgkmcnt(0)
	v_mul_f32_e32 v22, v25, v20
	v_mul_f32_e32 v20, v24, v20
	v_fma_f32 v22, v24, v19, -v22
	v_fmac_f32_e32 v20, v25, v19
	v_add_f32_e32 v21, v21, v22
	v_add_f32_e32 v23, v23, v20
	s_or_b64 exec, exec, s[20:21]
	v_cmp_gt_u32_e64 s[14:15], 16, v1
	s_and_saveexec_b64 s[20:21], s[14:15]
	s_cbranch_execnz .LBB166_777
	s_branch .LBB166_778
.LBB166_1094:
	v_lshlrev_b32_e32 v19, 3, v10
	v_sub_u32_e32 v19, v17, v19
	v_lshl_add_u32 v19, v9, 3, v19
	ds_read_b64 v[19:20], v19 offset:25504
	ds_read_b64 v[21:22], v17 offset:24968
	s_waitcnt lgkmcnt(0)
	v_mul_f32_e32 v23, v22, v20
	v_mul_f32_e32 v20, v21, v20
	v_fma_f32 v21, v21, v19, -v23
	v_fmac_f32_e32 v20, v22, v19
	v_add_f32_e32 v16, v16, v21
	v_add_f32_e32 v18, v18, v20
	s_or_b64 exec, exec, s[16:17]
	v_cmp_gt_u32_e64 s[12:13], 8, v1
	s_and_saveexec_b64 s[16:17], s[12:13]
	s_cbranch_execz .LBB166_862
.LBB166_1095:
	ds_read_b64 v[19:20], v6 offset:26016
	ds_read_b64 v[21:22], v17 offset:24976
	s_waitcnt lgkmcnt(0)
	v_mul_f32_e32 v17, v22, v20
	v_mul_f32_e32 v20, v21, v20
	v_fma_f32 v17, v21, v19, -v17
	v_fmac_f32_e32 v20, v22, v19
	v_add_f32_e32 v16, v16, v17
	v_add_f32_e32 v18, v18, v20
	s_or_b64 exec, exec, s[16:17]
	v_cmp_gt_u32_e64 s[12:13], 4, v1
	s_and_saveexec_b64 s[16:17], s[12:13]
	s_cbranch_execnz .LBB166_863
	s_branch .LBB166_864
.LBB166_1096:
	v_lshlrev_b32_e32 v19, 3, v15
	v_sub_u32_e32 v19, v17, v19
	v_lshl_add_u32 v19, v14, 3, v19
	ds_read_b64 v[19:20], v19 offset:25536
	ds_read_b64 v[21:22], v17 offset:24968
	s_waitcnt lgkmcnt(0)
	v_mul_f32_e32 v23, v22, v20
	v_mul_f32_e32 v20, v21, v20
	v_fma_f32 v21, v21, v19, -v23
	v_fmac_f32_e32 v20, v22, v19
	v_add_f32_e32 v16, v16, v21
	v_add_f32_e32 v18, v18, v20
	s_or_b64 exec, exec, s[16:17]
	v_cmp_gt_u32_e64 s[12:13], 48, v1
	s_and_saveexec_b64 s[16:17], s[12:13]
	s_cbranch_execz .LBB166_900
.LBB166_1097:
	v_lshlrev_b32_e32 v19, 3, v15
	v_sub_u32_e32 v19, v17, v19
	v_lshl_add_u32 v19, v14, 3, v19
	ds_read_b64 v[19:20], v19 offset:26048
	ds_read_b64 v[21:22], v17 offset:24976
	s_waitcnt lgkmcnt(0)
	v_mul_f32_e32 v23, v22, v20
	v_mul_f32_e32 v20, v21, v20
	v_fma_f32 v21, v21, v19, -v23
	v_fmac_f32_e32 v20, v22, v19
	v_add_f32_e32 v16, v16, v21
	v_add_f32_e32 v18, v18, v20
	s_or_b64 exec, exec, s[16:17]
	v_cmp_gt_u32_e64 s[12:13], 40, v1
	s_and_saveexec_b64 s[16:17], s[12:13]
	s_cbranch_execz .LBB166_901
.LBB166_1098:
	v_lshlrev_b32_e32 v19, 3, v15
	v_sub_u32_e32 v19, v17, v19
	v_lshl_add_u32 v19, v14, 3, v19
	ds_read_b64 v[19:20], v19 offset:26560
	ds_read_b64 v[21:22], v17 offset:24984
	s_waitcnt lgkmcnt(0)
	v_mul_f32_e32 v23, v22, v20
	v_mul_f32_e32 v20, v21, v20
	v_fma_f32 v21, v21, v19, -v23
	v_fmac_f32_e32 v20, v22, v19
	v_add_f32_e32 v16, v16, v21
	v_add_f32_e32 v18, v18, v20
	s_or_b64 exec, exec, s[16:17]
	v_cmp_gt_u32_e64 s[12:13], 32, v1
	s_and_saveexec_b64 s[16:17], s[12:13]
	s_cbranch_execz .LBB166_902
.LBB166_1099:
	ds_read_b64 v[19:20], v11 offset:27072
	ds_read_b64 v[21:22], v17 offset:24992
	s_waitcnt lgkmcnt(0)
	v_mul_f32_e32 v23, v22, v20
	v_mul_f32_e32 v20, v21, v20
	v_fma_f32 v21, v21, v19, -v23
	v_fmac_f32_e32 v20, v22, v19
	v_add_f32_e32 v16, v16, v21
	v_add_f32_e32 v18, v18, v20
	s_or_b64 exec, exec, s[16:17]
	v_cmp_gt_u32_e64 s[12:13], 24, v1
	s_and_saveexec_b64 s[16:17], s[12:13]
	s_cbranch_execz .LBB166_903
.LBB166_1100:
	v_lshlrev_b32_e32 v15, 3, v15
	v_sub_u32_e32 v15, v17, v15
	v_lshl_add_u32 v14, v14, 3, v15
	ds_read_b64 v[14:15], v14 offset:27584
	ds_read_b64 v[19:20], v17 offset:25000
	s_waitcnt lgkmcnt(0)
	v_mul_f32_e32 v21, v20, v15
	v_mul_f32_e32 v15, v19, v15
	v_fma_f32 v19, v19, v14, -v21
	v_fmac_f32_e32 v15, v20, v14
	v_add_f32_e32 v16, v16, v19
	v_add_f32_e32 v18, v18, v15
	s_or_b64 exec, exec, s[16:17]
	v_cmp_gt_u32_e64 s[12:13], 16, v1
	s_and_saveexec_b64 s[16:17], s[12:13]
	s_cbranch_execz .LBB166_904
.LBB166_1101:
	ds_read_b64 v[14:15], v11 offset:28096
	ds_read_b64 v[19:20], v17 offset:25008
	s_waitcnt lgkmcnt(0)
	v_mul_f32_e32 v17, v20, v15
	v_mul_f32_e32 v15, v19, v15
	v_fma_f32 v17, v19, v14, -v17
	v_fmac_f32_e32 v15, v20, v14
	v_add_f32_e32 v16, v16, v17
	v_add_f32_e32 v18, v18, v15
	s_or_b64 exec, exec, s[16:17]
	v_cmp_gt_u32_e64 s[12:13], 8, v1
	s_and_saveexec_b64 s[16:17], s[12:13]
	s_cbranch_execnz .LBB166_905
	s_branch .LBB166_906
.LBB166_1102:
	v_lshlrev_b32_e32 v10, 3, v10
	v_sub_u32_e32 v10, v12, v10
	v_lshl_add_u32 v9, v9, 3, v10
	ds_read_b64 v[9:10], v9 offset:29664
	ds_read_b64 v[14:15], v12 offset:29128
	s_waitcnt lgkmcnt(0)
	v_mul_f32_e32 v16, v15, v10
	v_mul_f32_e32 v10, v14, v10
	v_fma_f32 v14, v14, v9, -v16
	v_fmac_f32_e32 v10, v15, v9
	v_add_f32_e32 v11, v11, v14
	v_add_f32_e32 v13, v13, v10
	s_or_b64 exec, exec, s[14:15]
	v_cmp_gt_u32_e64 s[10:11], 8, v1
	s_and_saveexec_b64 s[14:15], s[10:11]
	s_cbranch_execz .LBB166_958
.LBB166_1103:
	ds_read_b64 v[9:10], v6 offset:30176
	ds_read_b64 v[14:15], v12 offset:29136
	s_waitcnt lgkmcnt(0)
	v_mul_f32_e32 v12, v15, v10
	v_mul_f32_e32 v10, v14, v10
	v_fma_f32 v12, v14, v9, -v12
	v_fmac_f32_e32 v10, v15, v9
	v_add_f32_e32 v11, v11, v12
	v_add_f32_e32 v13, v13, v10
	s_or_b64 exec, exec, s[14:15]
	v_cmp_gt_u32_e64 s[10:11], 4, v1
	s_and_saveexec_b64 s[14:15], s[10:11]
	s_cbranch_execnz .LBB166_959
	s_branch .LBB166_960
	.section	.rodata,"a",@progbits
	.p2align	6, 0x0
	.amdhsa_kernel _ZL19rocblas_trsv_deviceILi64ELi16ELb1ELb0ELb0ELb0E19rocblas_complex_numIfES1_PKPKS1_PKPS1_EviT7_lllT6_T8_lllPii
		.amdhsa_group_segment_fixed_size 41480
		.amdhsa_private_segment_fixed_size 48
		.amdhsa_kernarg_size 352
		.amdhsa_user_sgpr_count 8
		.amdhsa_user_sgpr_private_segment_buffer 1
		.amdhsa_user_sgpr_dispatch_ptr 0
		.amdhsa_user_sgpr_queue_ptr 0
		.amdhsa_user_sgpr_kernarg_segment_ptr 1
		.amdhsa_user_sgpr_dispatch_id 0
		.amdhsa_user_sgpr_flat_scratch_init 1
		.amdhsa_user_sgpr_private_segment_size 0
		.amdhsa_uses_dynamic_stack 0
		.amdhsa_system_sgpr_private_segment_wavefront_offset 1
		.amdhsa_system_sgpr_workgroup_id_x 1
		.amdhsa_system_sgpr_workgroup_id_y 0
		.amdhsa_system_sgpr_workgroup_id_z 1
		.amdhsa_system_sgpr_workgroup_info 0
		.amdhsa_system_vgpr_workitem_id 1
		.amdhsa_next_free_vgpr 49
		.amdhsa_next_free_sgpr 100
		.amdhsa_reserve_vcc 1
		.amdhsa_reserve_flat_scratch 1
		.amdhsa_float_round_mode_32 0
		.amdhsa_float_round_mode_16_64 0
		.amdhsa_float_denorm_mode_32 3
		.amdhsa_float_denorm_mode_16_64 3
		.amdhsa_dx10_clamp 1
		.amdhsa_ieee_mode 1
		.amdhsa_fp16_overflow 0
		.amdhsa_exception_fp_ieee_invalid_op 0
		.amdhsa_exception_fp_denorm_src 0
		.amdhsa_exception_fp_ieee_div_zero 0
		.amdhsa_exception_fp_ieee_overflow 0
		.amdhsa_exception_fp_ieee_underflow 0
		.amdhsa_exception_fp_ieee_inexact 0
		.amdhsa_exception_int_div_zero 0
	.end_amdhsa_kernel
	.section	.text._ZL19rocblas_trsv_deviceILi64ELi16ELb1ELb0ELb0ELb0E19rocblas_complex_numIfES1_PKPKS1_PKPS1_EviT7_lllT6_T8_lllPii,"axG",@progbits,_ZL19rocblas_trsv_deviceILi64ELi16ELb1ELb0ELb0ELb0E19rocblas_complex_numIfES1_PKPKS1_PKPS1_EviT7_lllT6_T8_lllPii,comdat
.Lfunc_end166:
	.size	_ZL19rocblas_trsv_deviceILi64ELi16ELb1ELb0ELb0ELb0E19rocblas_complex_numIfES1_PKPKS1_PKPS1_EviT7_lllT6_T8_lllPii, .Lfunc_end166-_ZL19rocblas_trsv_deviceILi64ELi16ELb1ELb0ELb0ELb0E19rocblas_complex_numIfES1_PKPKS1_PKPS1_EviT7_lllT6_T8_lllPii
                                        ; -- End function
	.set _ZL19rocblas_trsv_deviceILi64ELi16ELb1ELb0ELb0ELb0E19rocblas_complex_numIfES1_PKPKS1_PKPS1_EviT7_lllT6_T8_lllPii.num_vgpr, 35
	.set _ZL19rocblas_trsv_deviceILi64ELi16ELb1ELb0ELb0ELb0E19rocblas_complex_numIfES1_PKPKS1_PKPS1_EviT7_lllT6_T8_lllPii.num_agpr, 0
	.set _ZL19rocblas_trsv_deviceILi64ELi16ELb1ELb0ELb0ELb0E19rocblas_complex_numIfES1_PKPKS1_PKPS1_EviT7_lllT6_T8_lllPii.numbered_sgpr, 100
	.set _ZL19rocblas_trsv_deviceILi64ELi16ELb1ELb0ELb0ELb0E19rocblas_complex_numIfES1_PKPKS1_PKPS1_EviT7_lllT6_T8_lllPii.num_named_barrier, 0
	.set _ZL19rocblas_trsv_deviceILi64ELi16ELb1ELb0ELb0ELb0E19rocblas_complex_numIfES1_PKPKS1_PKPS1_EviT7_lllT6_T8_lllPii.private_seg_size, 48
	.set _ZL19rocblas_trsv_deviceILi64ELi16ELb1ELb0ELb0ELb0E19rocblas_complex_numIfES1_PKPKS1_PKPS1_EviT7_lllT6_T8_lllPii.uses_vcc, 1
	.set _ZL19rocblas_trsv_deviceILi64ELi16ELb1ELb0ELb0ELb0E19rocblas_complex_numIfES1_PKPKS1_PKPS1_EviT7_lllT6_T8_lllPii.uses_flat_scratch, 1
	.set _ZL19rocblas_trsv_deviceILi64ELi16ELb1ELb0ELb0ELb0E19rocblas_complex_numIfES1_PKPKS1_PKPS1_EviT7_lllT6_T8_lllPii.has_dyn_sized_stack, 0
	.set _ZL19rocblas_trsv_deviceILi64ELi16ELb1ELb0ELb0ELb0E19rocblas_complex_numIfES1_PKPKS1_PKPS1_EviT7_lllT6_T8_lllPii.has_recursion, 0
	.set _ZL19rocblas_trsv_deviceILi64ELi16ELb1ELb0ELb0ELb0E19rocblas_complex_numIfES1_PKPKS1_PKPS1_EviT7_lllT6_T8_lllPii.has_indirect_call, 0
	.section	.AMDGPU.csdata,"",@progbits
; Kernel info:
; codeLenInByte = 44468
; TotalNumSgprs: 106
; NumVgprs: 35
; ScratchSize: 48
; MemoryBound: 1
; FloatMode: 240
; IeeeMode: 1
; LDSByteSize: 41480 bytes/workgroup (compile time only)
; SGPRBlocks: 13
; VGPRBlocks: 12
; NumSGPRsForWavesPerEU: 106
; NumVGPRsForWavesPerEU: 49
; Occupancy: 4
; WaveLimiterHint : 1
; COMPUTE_PGM_RSRC2:SCRATCH_EN: 1
; COMPUTE_PGM_RSRC2:USER_SGPR: 8
; COMPUTE_PGM_RSRC2:TRAP_HANDLER: 0
; COMPUTE_PGM_RSRC2:TGID_X_EN: 1
; COMPUTE_PGM_RSRC2:TGID_Y_EN: 0
; COMPUTE_PGM_RSRC2:TGID_Z_EN: 1
; COMPUTE_PGM_RSRC2:TIDIG_COMP_CNT: 1
	.section	.text._ZL19rocblas_trsv_deviceILi64ELi16ELb1ELb1ELb0ELb0E19rocblas_complex_numIfES1_PKPKS1_PKPS1_EviT7_lllT6_T8_lllPii,"axG",@progbits,_ZL19rocblas_trsv_deviceILi64ELi16ELb1ELb1ELb0ELb0E19rocblas_complex_numIfES1_PKPKS1_PKPS1_EviT7_lllT6_T8_lllPii,comdat
	.globl	_ZL19rocblas_trsv_deviceILi64ELi16ELb1ELb1ELb0ELb0E19rocblas_complex_numIfES1_PKPKS1_PKPS1_EviT7_lllT6_T8_lllPii ; -- Begin function _ZL19rocblas_trsv_deviceILi64ELi16ELb1ELb1ELb0ELb0E19rocblas_complex_numIfES1_PKPKS1_PKPS1_EviT7_lllT6_T8_lllPii
	.p2align	8
	.type	_ZL19rocblas_trsv_deviceILi64ELi16ELb1ELb1ELb0ELb0E19rocblas_complex_numIfES1_PKPKS1_PKPS1_EviT7_lllT6_T8_lllPii,@function
_ZL19rocblas_trsv_deviceILi64ELi16ELb1ELb1ELb0ELb0E19rocblas_complex_numIfES1_PKPKS1_PKPS1_EviT7_lllT6_T8_lllPii: ; @_ZL19rocblas_trsv_deviceILi64ELi16ELb1ELb1ELb0ELb0E19rocblas_complex_numIfES1_PKPKS1_PKPS1_EviT7_lllT6_T8_lllPii
; %bb.0:
	s_load_dwordx4 s[12:15], s[4:5], 0x8
	s_add_u32 flat_scratch_lo, s6, s10
	s_addc_u32 flat_scratch_hi, s7, 0
	s_add_u32 s0, s0, s10
	s_mov_b32 s28, s9
	s_mov_b32 s29, 0
	s_addc_u32 s1, s1, 0
	s_lshl_b64 s[6:7], s[28:29], 3
	s_waitcnt lgkmcnt(0)
	s_add_u32 s10, s12, s6
	s_addc_u32 s11, s13, s7
	s_load_dwordx2 s[12:13], s[10:11], 0x0
	s_load_dword s34, s[4:5], 0x0
	s_load_dwordx2 s[38:39], s[4:5], 0x18
	s_load_dwordx4 s[16:19], s[4:5], 0x30
	s_lshl_b64 s[10:11], s[14:15], 3
	s_waitcnt lgkmcnt(0)
	s_add_u32 s93, s12, s10
	s_addc_u32 s94, s13, s11
	s_load_dword s9, s[4:5], 0x60
	s_add_u32 s6, s16, s6
	s_addc_u32 s7, s17, s7
	s_load_dwordx2 s[26:27], s[6:7], 0x0
	s_load_dword s24, s[4:5], 0x6c
	v_mov_b32_e32 v2, v1
	s_waitcnt lgkmcnt(0)
	s_add_i32 s9, s9, -1
	s_sub_i32 s95, s9, s8
	s_cmp_lg_u32 s8, 0
	s_cbranch_scc0 .LBB167_1111
; %bb.1:
	s_lshl_b32 s33, s95, 6
	v_add_u32_e32 v1, s33, v0
	v_ashrrev_i32_e32 v3, 31, v1
	v_mul_lo_u32 v7, s38, v3
	v_mul_lo_u32 v8, s39, v1
	v_mad_u64_u32 v[3:4], s[6:7], s38, v1, 0
	v_add3_u32 v5, v2, s33, 64
	v_ashrrev_i32_e32 v6, 31, v5
	v_add3_u32 v4, v4, v7, v8
	v_lshlrev_b64 v[3:4], 3, v[3:4]
	v_mov_b32_e32 v7, s94
	v_add_co_u32_e64 v8, s[6:7], s93, v3
	v_addc_co_u32_e64 v7, s[6:7], v7, v4, s[6:7]
	v_lshlrev_b64 v[3:4], 3, v[5:6]
	v_cmp_gt_i32_e32 vcc, s34, v1
	v_add_co_u32_e64 v3, s[6:7], v8, v3
	v_addc_co_u32_e64 v4, s[6:7], v7, v4, s[6:7]
	v_max_i32_e32 v1, v5, v1
	v_cmp_le_i32_e64 s[6:7], s34, v1
	s_barrier
	s_and_saveexec_b64 s[10:11], s[6:7]
	s_xor_b64 s[6:7], exec, s[10:11]
	s_cbranch_execz .LBB167_3
; %bb.2:
	v_mov_b32_e32 v1, 0
	buffer_store_dword v1, off, s[0:3], 0
	buffer_store_dword v1, off, s[0:3], 0 offset:4
.LBB167_3:
	s_andn2_saveexec_b64 s[6:7], s[6:7]
	s_cbranch_execz .LBB167_5
; %bb.4:
	flat_load_dwordx2 v[6:7], v[3:4]
	s_waitcnt vmcnt(0) lgkmcnt(0)
	buffer_store_dword v7, off, s[0:3], 0 offset:4
	buffer_store_dword v6, off, s[0:3], 0
.LBB167_5:
	s_or_b64 exec, exec, s[6:7]
	v_add_u32_e32 v1, 16, v5
	v_cmp_le_i32_e64 s[6:7], s34, v1
	s_xor_b64 s[10:11], vcc, -1
	s_or_b64 s[6:7], s[6:7], s[10:11]
	s_waitcnt vmcnt(0)
	s_barrier
	s_and_saveexec_b64 s[12:13], s[6:7]
	s_xor_b64 s[6:7], exec, s[12:13]
	s_cbranch_execz .LBB167_7
; %bb.6:
	v_mov_b32_e32 v1, 0
	buffer_store_dword v1, off, s[0:3], 0 offset:8
	buffer_store_dword v1, off, s[0:3], 0 offset:12
.LBB167_7:
	s_andn2_saveexec_b64 s[6:7], s[6:7]
	s_cbranch_execz .LBB167_9
; %bb.8:
	flat_load_dwordx2 v[6:7], v[3:4] offset:128
	s_waitcnt vmcnt(0) lgkmcnt(0)
	buffer_store_dword v7, off, s[0:3], 0 offset:12
	buffer_store_dword v6, off, s[0:3], 0 offset:8
.LBB167_9:
	s_or_b64 exec, exec, s[6:7]
	v_add_u32_e32 v1, 32, v5
	v_cmp_le_i32_e32 vcc, s34, v1
	s_or_b64 s[6:7], vcc, s[10:11]
	s_waitcnt vmcnt(0)
	s_barrier
	s_and_saveexec_b64 s[12:13], s[6:7]
	s_xor_b64 s[6:7], exec, s[12:13]
	s_cbranch_execz .LBB167_11
; %bb.10:
	v_mov_b32_e32 v1, 0
	buffer_store_dword v1, off, s[0:3], 0 offset:16
	buffer_store_dword v1, off, s[0:3], 0 offset:20
.LBB167_11:
	s_andn2_saveexec_b64 s[6:7], s[6:7]
	s_cbranch_execz .LBB167_13
; %bb.12:
	flat_load_dwordx2 v[6:7], v[3:4] offset:256
	s_waitcnt vmcnt(0) lgkmcnt(0)
	buffer_store_dword v7, off, s[0:3], 0 offset:20
	buffer_store_dword v6, off, s[0:3], 0 offset:16
.LBB167_13:
	s_or_b64 exec, exec, s[6:7]
	v_add_u32_e32 v1, 48, v5
	v_cmp_le_i32_e32 vcc, s34, v1
	s_or_b64 s[6:7], vcc, s[10:11]
	s_waitcnt vmcnt(0)
	s_barrier
	s_and_saveexec_b64 s[10:11], s[6:7]
	s_xor_b64 s[6:7], exec, s[10:11]
	s_cbranch_execz .LBB167_15
; %bb.14:
	v_mov_b32_e32 v1, 0
	buffer_store_dword v1, off, s[0:3], 0 offset:24
	buffer_store_dword v1, off, s[0:3], 0 offset:28
                                        ; implicit-def: $vgpr3_vgpr4
.LBB167_15:
	s_andn2_saveexec_b64 s[6:7], s[6:7]
	s_cbranch_execz .LBB167_17
; %bb.16:
	flat_load_dwordx2 v[3:4], v[3:4] offset:384
	s_waitcnt vmcnt(0) lgkmcnt(0)
	buffer_store_dword v4, off, s[0:3], 0 offset:28
	buffer_store_dword v3, off, s[0:3], 0 offset:24
.LBB167_17:
	s_or_b64 exec, exec, s[6:7]
	s_branch .LBB167_19
.LBB167_18:
	s_lshl_b32 s33, s95, 6
.LBB167_19:
	s_ashr_i32 s35, s34, 31
	s_lshr_b32 s6, s35, 26
	s_add_i32 s6, s34, s6
	s_andn2_b32 s6, s6, 63
	s_sub_i32 s92, s34, s6
	s_add_i32 s6, s34, -1
	s_ashr_i32 s7, s6, 31
	s_lshr_b32 s7, s7, 26
	s_add_i32 s6, s6, s7
	s_ashr_i32 s6, s6, 6
	s_cmp_eq_u32 s6, s95
	s_cselect_b64 s[6:7], -1, 0
	s_cmp_lg_u32 s92, 0
	s_cselect_b64 s[10:11], -1, 0
	s_and_b64 s[36:37], s[10:11], s[6:7]
	s_cmp_lt_i32 s8, 5
	s_cselect_b64 s[12:13], -1, 0
	s_or_b64 s[6:7], s[12:13], s[36:37]
	s_ashr_i32 s44, s33, 31
	s_add_u32 s14, s38, 1
	v_mov_b32_e32 v1, 0
	v_mov_b32_e32 v3, s33
	s_load_dwordx2 s[30:31], s[4:5], 0x40
	v_mad_u64_u32 v[3:4], s[10:11], s14, v3, v[0:1]
	s_addc_u32 s15, s39, 0
	s_mul_i32 s10, s14, s44
	s_mul_i32 s15, s15, s33
	v_lshlrev_b32_e32 v9, 6, v0
	s_add_i32 s10, s10, s15
	s_mov_b64 s[16:17], -1
	v_add_u32_e32 v4, s10, v4
	s_and_b64 vcc, exec, s[36:37]
	v_add_u32_e32 v10, v2, v9
	v_cmp_le_u32_e64 s[10:11], v0, v2
	v_lshl_add_u32 v1, v2, 6, v0
	s_cbranch_vccnz .LBB167_77
; %bb.20:
	v_mad_u64_u32 v[5:6], s[14:15], s38, v2, v[3:4]
	v_cndmask_b32_e64 v11, v1, v10, s[12:13]
	v_mad_u64_u32 v[6:7], s[14:15], s39, v2, v[6:7]
	s_and_saveexec_b64 s[12:13], s[10:11]
	s_xor_b64 s[10:11], exec, s[12:13]
	s_cbranch_execz .LBB167_32
; %bb.21:
	v_cmp_ne_u32_e32 vcc, v0, v2
	s_and_saveexec_b64 s[12:13], vcc
	s_xor_b64 s[12:13], exec, s[12:13]
	s_cbranch_execz .LBB167_25
; %bb.22:
	v_or_b32_e32 v5, v2, v0
	v_cmp_gt_u32_e32 vcc, 64, v5
	s_and_saveexec_b64 s[14:15], vcc
; %bb.23:
	v_mov_b32_e32 v5, 0
	v_lshlrev_b32_e32 v7, 3, v11
	v_mov_b32_e32 v6, v5
	ds_write_b64 v7, v[5:6]
; %bb.24:
	s_or_b64 exec, exec, s[14:15]
                                        ; implicit-def: $vgpr11
                                        ; implicit-def: $vgpr5_vgpr6
.LBB167_25:
	s_andn2_saveexec_b64 s[12:13], s[12:13]
	s_cbranch_execz .LBB167_31
; %bb.26:
	v_lshlrev_b64 v[5:6], 3, v[5:6]
	v_mov_b32_e32 v7, s94
	v_add_co_u32_e32 v5, vcc, s93, v5
	v_addc_co_u32_e32 v6, vcc, v7, v6, vcc
	flat_load_dwordx2 v[5:6], v[5:6]
                                        ; implicit-def: $vgpr7
	s_waitcnt vmcnt(0) lgkmcnt(0)
	v_cmp_ngt_f32_e64 s[14:15], |v5|, |v6|
	s_and_saveexec_b64 s[16:17], s[14:15]
	s_xor_b64 s[14:15], exec, s[16:17]
	s_cbranch_execz .LBB167_28
; %bb.27:
	v_div_scale_f32 v7, s[16:17], v6, v6, v5
	v_div_scale_f32 v8, vcc, v5, v6, v5
	v_rcp_f32_e32 v12, v7
	v_fma_f32 v13, -v7, v12, 1.0
	v_fmac_f32_e32 v12, v13, v12
	v_mul_f32_e32 v13, v8, v12
	v_fma_f32 v14, -v7, v13, v8
	v_fmac_f32_e32 v13, v14, v12
	v_fma_f32 v7, -v7, v13, v8
	v_div_fmas_f32 v7, v7, v12, v13
	v_div_fixup_f32 v7, v7, v6, v5
	v_fmac_f32_e32 v6, v5, v7
	v_div_scale_f32 v5, s[16:17], v6, v6, 1.0
	v_div_scale_f32 v8, vcc, 1.0, v6, 1.0
	v_rcp_f32_e32 v12, v5
	v_fma_f32 v13, -v5, v12, 1.0
	v_fmac_f32_e32 v12, v13, v12
	v_mul_f32_e32 v13, v8, v12
	v_fma_f32 v14, -v5, v13, v8
	v_fmac_f32_e32 v13, v14, v12
	v_fma_f32 v5, -v5, v13, v8
	v_div_fmas_f32 v5, v5, v12, v13
	v_div_fixup_f32 v5, v5, v6, 1.0
	v_mul_f32_e32 v7, v7, v5
	v_xor_b32_e32 v8, 0x80000000, v5
                                        ; implicit-def: $vgpr5_vgpr6
.LBB167_28:
	s_andn2_saveexec_b64 s[14:15], s[14:15]
	s_cbranch_execz .LBB167_30
; %bb.29:
	v_div_scale_f32 v7, s[16:17], v5, v5, v6
	v_div_scale_f32 v8, vcc, v6, v5, v6
	v_rcp_f32_e32 v12, v7
	v_fma_f32 v13, -v7, v12, 1.0
	v_fmac_f32_e32 v12, v13, v12
	v_mul_f32_e32 v13, v8, v12
	v_fma_f32 v14, -v7, v13, v8
	v_fmac_f32_e32 v13, v14, v12
	v_fma_f32 v7, -v7, v13, v8
	v_div_fmas_f32 v7, v7, v12, v13
	v_div_fixup_f32 v8, v7, v5, v6
	v_fmac_f32_e32 v5, v6, v8
	v_div_scale_f32 v6, s[16:17], v5, v5, 1.0
	v_div_scale_f32 v7, vcc, 1.0, v5, 1.0
	v_rcp_f32_e32 v12, v6
	v_fma_f32 v13, -v6, v12, 1.0
	v_fmac_f32_e32 v12, v13, v12
	v_mul_f32_e32 v13, v7, v12
	v_fma_f32 v14, -v6, v13, v7
	v_fmac_f32_e32 v13, v14, v12
	v_fma_f32 v6, -v6, v13, v7
	v_div_fmas_f32 v6, v6, v12, v13
	v_div_fixup_f32 v7, v6, v5, 1.0
	v_mul_f32_e64 v8, v8, -v7
.LBB167_30:
	s_or_b64 exec, exec, s[14:15]
	v_lshlrev_b32_e32 v5, 3, v11
	ds_write_b64 v5, v[7:8]
.LBB167_31:
	s_or_b64 exec, exec, s[12:13]
                                        ; implicit-def: $vgpr5_vgpr6
                                        ; implicit-def: $vgpr11
.LBB167_32:
	s_andn2_saveexec_b64 s[10:11], s[10:11]
	s_cbranch_execz .LBB167_34
; %bb.33:
	v_lshlrev_b64 v[5:6], 3, v[5:6]
	v_mov_b32_e32 v7, s94
	v_add_co_u32_e32 v5, vcc, s93, v5
	v_addc_co_u32_e32 v6, vcc, v7, v6, vcc
	flat_load_dwordx2 v[5:6], v[5:6]
	v_lshlrev_b32_e32 v7, 3, v11
	s_waitcnt vmcnt(0) lgkmcnt(0)
	v_xor_b32_e32 v5, 0x80000000, v5
	v_xor_b32_e32 v6, 0x80000000, v6
	ds_write_b64 v7, v[5:6]
.LBB167_34:
	s_or_b64 exec, exec, s[10:11]
	v_add_u32_e32 v7, 16, v2
	v_mad_u64_u32 v[5:6], s[10:11], s38, v7, v[3:4]
	v_lshl_add_u32 v8, v7, 6, v0
	v_cmp_le_u32_e32 vcc, v0, v7
	v_mad_u64_u32 v[12:13], s[10:11], s39, v7, v[6:7]
	v_add_u32_e32 v6, v7, v9
	v_cndmask_b32_e64 v11, v8, v6, s[6:7]
	v_mov_b32_e32 v6, v12
	s_and_saveexec_b64 s[10:11], vcc
	s_xor_b64 s[10:11], exec, s[10:11]
	s_cbranch_execz .LBB167_46
; %bb.35:
	v_cmp_ne_u32_e32 vcc, v0, v7
	s_and_saveexec_b64 s[12:13], vcc
	s_xor_b64 s[12:13], exec, s[12:13]
	s_cbranch_execz .LBB167_39
; %bb.36:
	v_or_b32_e32 v5, v7, v0
	v_cmp_gt_u32_e32 vcc, 64, v5
	s_and_saveexec_b64 s[14:15], vcc
; %bb.37:
	v_mov_b32_e32 v5, 0
	v_lshlrev_b32_e32 v7, 3, v11
	v_mov_b32_e32 v6, v5
	ds_write_b64 v7, v[5:6]
; %bb.38:
	s_or_b64 exec, exec, s[14:15]
                                        ; implicit-def: $vgpr11
                                        ; implicit-def: $vgpr5_vgpr6
.LBB167_39:
	s_andn2_saveexec_b64 s[12:13], s[12:13]
	s_cbranch_execz .LBB167_45
; %bb.40:
	v_lshlrev_b64 v[5:6], 3, v[5:6]
	v_mov_b32_e32 v7, s94
	v_add_co_u32_e32 v5, vcc, s93, v5
	v_addc_co_u32_e32 v6, vcc, v7, v6, vcc
	flat_load_dwordx2 v[5:6], v[5:6]
                                        ; implicit-def: $vgpr7
	s_waitcnt vmcnt(0) lgkmcnt(0)
	v_cmp_ngt_f32_e64 s[14:15], |v5|, |v6|
	s_and_saveexec_b64 s[16:17], s[14:15]
	s_xor_b64 s[14:15], exec, s[16:17]
	s_cbranch_execz .LBB167_42
; %bb.41:
	v_div_scale_f32 v7, s[16:17], v6, v6, v5
	v_div_scale_f32 v8, vcc, v5, v6, v5
	v_rcp_f32_e32 v12, v7
	v_fma_f32 v13, -v7, v12, 1.0
	v_fmac_f32_e32 v12, v13, v12
	v_mul_f32_e32 v13, v8, v12
	v_fma_f32 v14, -v7, v13, v8
	v_fmac_f32_e32 v13, v14, v12
	v_fma_f32 v7, -v7, v13, v8
	v_div_fmas_f32 v7, v7, v12, v13
	v_div_fixup_f32 v7, v7, v6, v5
	v_fmac_f32_e32 v6, v5, v7
	v_div_scale_f32 v5, s[16:17], v6, v6, 1.0
	v_div_scale_f32 v8, vcc, 1.0, v6, 1.0
	v_rcp_f32_e32 v12, v5
	v_fma_f32 v13, -v5, v12, 1.0
	v_fmac_f32_e32 v12, v13, v12
	v_mul_f32_e32 v13, v8, v12
	v_fma_f32 v14, -v5, v13, v8
	v_fmac_f32_e32 v13, v14, v12
	v_fma_f32 v5, -v5, v13, v8
	v_div_fmas_f32 v5, v5, v12, v13
	v_div_fixup_f32 v5, v5, v6, 1.0
	v_mul_f32_e32 v7, v7, v5
	v_xor_b32_e32 v8, 0x80000000, v5
                                        ; implicit-def: $vgpr5_vgpr6
.LBB167_42:
	s_andn2_saveexec_b64 s[14:15], s[14:15]
	s_cbranch_execz .LBB167_44
; %bb.43:
	v_div_scale_f32 v7, s[16:17], v5, v5, v6
	v_div_scale_f32 v8, vcc, v6, v5, v6
	v_rcp_f32_e32 v12, v7
	v_fma_f32 v13, -v7, v12, 1.0
	v_fmac_f32_e32 v12, v13, v12
	v_mul_f32_e32 v13, v8, v12
	v_fma_f32 v14, -v7, v13, v8
	v_fmac_f32_e32 v13, v14, v12
	v_fma_f32 v7, -v7, v13, v8
	v_div_fmas_f32 v7, v7, v12, v13
	v_div_fixup_f32 v8, v7, v5, v6
	v_fmac_f32_e32 v5, v6, v8
	v_div_scale_f32 v6, s[16:17], v5, v5, 1.0
	v_div_scale_f32 v7, vcc, 1.0, v5, 1.0
	v_rcp_f32_e32 v12, v6
	v_fma_f32 v13, -v6, v12, 1.0
	v_fmac_f32_e32 v12, v13, v12
	v_mul_f32_e32 v13, v7, v12
	v_fma_f32 v14, -v6, v13, v7
	v_fmac_f32_e32 v13, v14, v12
	v_fma_f32 v6, -v6, v13, v7
	v_div_fmas_f32 v6, v6, v12, v13
	v_div_fixup_f32 v7, v6, v5, 1.0
	v_mul_f32_e64 v8, v8, -v7
.LBB167_44:
	s_or_b64 exec, exec, s[14:15]
	v_lshlrev_b32_e32 v5, 3, v11
	ds_write_b64 v5, v[7:8]
.LBB167_45:
	s_or_b64 exec, exec, s[12:13]
                                        ; implicit-def: $vgpr5_vgpr6
                                        ; implicit-def: $vgpr11
.LBB167_46:
	s_andn2_saveexec_b64 s[10:11], s[10:11]
	s_cbranch_execz .LBB167_48
; %bb.47:
	v_lshlrev_b64 v[5:6], 3, v[5:6]
	v_mov_b32_e32 v7, s94
	v_add_co_u32_e32 v5, vcc, s93, v5
	v_addc_co_u32_e32 v6, vcc, v7, v6, vcc
	flat_load_dwordx2 v[5:6], v[5:6]
	v_lshlrev_b32_e32 v7, 3, v11
	s_waitcnt vmcnt(0) lgkmcnt(0)
	v_xor_b32_e32 v5, 0x80000000, v5
	v_xor_b32_e32 v6, 0x80000000, v6
	ds_write_b64 v7, v[5:6]
.LBB167_48:
	s_or_b64 exec, exec, s[10:11]
	v_add_u32_e32 v7, 32, v2
	v_mad_u64_u32 v[5:6], s[10:11], s38, v7, v[3:4]
	v_lshl_add_u32 v8, v7, 6, v0
	v_cmp_le_u32_e32 vcc, v0, v7
	v_mad_u64_u32 v[12:13], s[10:11], s39, v7, v[6:7]
	v_add_u32_e32 v6, v7, v9
	v_cndmask_b32_e64 v11, v8, v6, s[6:7]
	v_mov_b32_e32 v6, v12
	s_and_saveexec_b64 s[10:11], vcc
	s_xor_b64 s[10:11], exec, s[10:11]
	s_cbranch_execz .LBB167_60
; %bb.49:
	v_cmp_ne_u32_e32 vcc, v0, v7
	s_and_saveexec_b64 s[12:13], vcc
	s_xor_b64 s[12:13], exec, s[12:13]
	s_cbranch_execz .LBB167_53
; %bb.50:
	v_or_b32_e32 v5, v7, v0
	v_cmp_gt_u32_e32 vcc, 64, v5
	s_and_saveexec_b64 s[14:15], vcc
; %bb.51:
	v_mov_b32_e32 v5, 0
	v_lshlrev_b32_e32 v7, 3, v11
	v_mov_b32_e32 v6, v5
	ds_write_b64 v7, v[5:6]
; %bb.52:
	s_or_b64 exec, exec, s[14:15]
                                        ; implicit-def: $vgpr11
                                        ; implicit-def: $vgpr5_vgpr6
.LBB167_53:
	s_andn2_saveexec_b64 s[12:13], s[12:13]
	s_cbranch_execz .LBB167_59
; %bb.54:
	v_lshlrev_b64 v[5:6], 3, v[5:6]
	v_mov_b32_e32 v7, s94
	v_add_co_u32_e32 v5, vcc, s93, v5
	v_addc_co_u32_e32 v6, vcc, v7, v6, vcc
	flat_load_dwordx2 v[5:6], v[5:6]
                                        ; implicit-def: $vgpr7
	s_waitcnt vmcnt(0) lgkmcnt(0)
	v_cmp_ngt_f32_e64 s[14:15], |v5|, |v6|
	s_and_saveexec_b64 s[16:17], s[14:15]
	s_xor_b64 s[14:15], exec, s[16:17]
	s_cbranch_execz .LBB167_56
; %bb.55:
	v_div_scale_f32 v7, s[16:17], v6, v6, v5
	v_div_scale_f32 v8, vcc, v5, v6, v5
	v_rcp_f32_e32 v12, v7
	v_fma_f32 v13, -v7, v12, 1.0
	v_fmac_f32_e32 v12, v13, v12
	v_mul_f32_e32 v13, v8, v12
	v_fma_f32 v14, -v7, v13, v8
	v_fmac_f32_e32 v13, v14, v12
	v_fma_f32 v7, -v7, v13, v8
	v_div_fmas_f32 v7, v7, v12, v13
	v_div_fixup_f32 v7, v7, v6, v5
	v_fmac_f32_e32 v6, v5, v7
	v_div_scale_f32 v5, s[16:17], v6, v6, 1.0
	v_div_scale_f32 v8, vcc, 1.0, v6, 1.0
	v_rcp_f32_e32 v12, v5
	v_fma_f32 v13, -v5, v12, 1.0
	v_fmac_f32_e32 v12, v13, v12
	v_mul_f32_e32 v13, v8, v12
	v_fma_f32 v14, -v5, v13, v8
	v_fmac_f32_e32 v13, v14, v12
	v_fma_f32 v5, -v5, v13, v8
	v_div_fmas_f32 v5, v5, v12, v13
	v_div_fixup_f32 v5, v5, v6, 1.0
	v_mul_f32_e32 v7, v7, v5
	v_xor_b32_e32 v8, 0x80000000, v5
                                        ; implicit-def: $vgpr5_vgpr6
.LBB167_56:
	s_andn2_saveexec_b64 s[14:15], s[14:15]
	s_cbranch_execz .LBB167_58
; %bb.57:
	v_div_scale_f32 v7, s[16:17], v5, v5, v6
	v_div_scale_f32 v8, vcc, v6, v5, v6
	v_rcp_f32_e32 v12, v7
	v_fma_f32 v13, -v7, v12, 1.0
	v_fmac_f32_e32 v12, v13, v12
	v_mul_f32_e32 v13, v8, v12
	v_fma_f32 v14, -v7, v13, v8
	v_fmac_f32_e32 v13, v14, v12
	v_fma_f32 v7, -v7, v13, v8
	v_div_fmas_f32 v7, v7, v12, v13
	v_div_fixup_f32 v8, v7, v5, v6
	v_fmac_f32_e32 v5, v6, v8
	v_div_scale_f32 v6, s[16:17], v5, v5, 1.0
	v_div_scale_f32 v7, vcc, 1.0, v5, 1.0
	v_rcp_f32_e32 v12, v6
	v_fma_f32 v13, -v6, v12, 1.0
	v_fmac_f32_e32 v12, v13, v12
	v_mul_f32_e32 v13, v7, v12
	v_fma_f32 v14, -v6, v13, v7
	v_fmac_f32_e32 v13, v14, v12
	v_fma_f32 v6, -v6, v13, v7
	v_div_fmas_f32 v6, v6, v12, v13
	v_div_fixup_f32 v7, v6, v5, 1.0
	v_mul_f32_e64 v8, v8, -v7
.LBB167_58:
	s_or_b64 exec, exec, s[14:15]
	v_lshlrev_b32_e32 v5, 3, v11
	ds_write_b64 v5, v[7:8]
.LBB167_59:
	s_or_b64 exec, exec, s[12:13]
                                        ; implicit-def: $vgpr5_vgpr6
                                        ; implicit-def: $vgpr11
.LBB167_60:
	s_andn2_saveexec_b64 s[10:11], s[10:11]
	s_cbranch_execz .LBB167_62
; %bb.61:
	v_lshlrev_b64 v[5:6], 3, v[5:6]
	v_mov_b32_e32 v7, s94
	v_add_co_u32_e32 v5, vcc, s93, v5
	v_addc_co_u32_e32 v6, vcc, v7, v6, vcc
	flat_load_dwordx2 v[5:6], v[5:6]
	v_lshlrev_b32_e32 v7, 3, v11
	s_waitcnt vmcnt(0) lgkmcnt(0)
	v_xor_b32_e32 v5, 0x80000000, v5
	v_xor_b32_e32 v6, 0x80000000, v6
	ds_write_b64 v7, v[5:6]
.LBB167_62:
	s_or_b64 exec, exec, s[10:11]
	v_add_u32_e32 v7, 48, v2
	v_mad_u64_u32 v[5:6], s[10:11], s38, v7, v[3:4]
	v_lshl_add_u32 v8, v7, 6, v0
	v_cmp_le_u32_e32 vcc, v0, v7
	v_mad_u64_u32 v[12:13], s[10:11], s39, v7, v[6:7]
	v_add_u32_e32 v6, v7, v9
	v_cndmask_b32_e64 v11, v8, v6, s[6:7]
	v_mov_b32_e32 v6, v12
	s_and_saveexec_b64 s[10:11], vcc
	s_xor_b64 s[10:11], exec, s[10:11]
	s_cbranch_execz .LBB167_74
; %bb.63:
	v_cmp_ne_u32_e32 vcc, v0, v7
	s_and_saveexec_b64 s[12:13], vcc
	s_xor_b64 s[12:13], exec, s[12:13]
	s_cbranch_execz .LBB167_67
; %bb.64:
	v_or_b32_e32 v5, v7, v0
	v_cmp_gt_u32_e32 vcc, 64, v5
	s_and_saveexec_b64 s[14:15], vcc
; %bb.65:
	v_mov_b32_e32 v5, 0
	v_lshlrev_b32_e32 v7, 3, v11
	v_mov_b32_e32 v6, v5
	ds_write_b64 v7, v[5:6]
; %bb.66:
	s_or_b64 exec, exec, s[14:15]
                                        ; implicit-def: $vgpr11
                                        ; implicit-def: $vgpr5_vgpr6
.LBB167_67:
	s_andn2_saveexec_b64 s[12:13], s[12:13]
	s_cbranch_execz .LBB167_73
; %bb.68:
	v_lshlrev_b64 v[5:6], 3, v[5:6]
	v_mov_b32_e32 v7, s94
	v_add_co_u32_e32 v5, vcc, s93, v5
	v_addc_co_u32_e32 v6, vcc, v7, v6, vcc
	flat_load_dwordx2 v[5:6], v[5:6]
                                        ; implicit-def: $vgpr7
	s_waitcnt vmcnt(0) lgkmcnt(0)
	v_cmp_ngt_f32_e64 s[14:15], |v5|, |v6|
	s_and_saveexec_b64 s[16:17], s[14:15]
	s_xor_b64 s[14:15], exec, s[16:17]
	s_cbranch_execz .LBB167_70
; %bb.69:
	v_div_scale_f32 v7, s[16:17], v6, v6, v5
	v_div_scale_f32 v8, vcc, v5, v6, v5
	v_rcp_f32_e32 v12, v7
	v_fma_f32 v13, -v7, v12, 1.0
	v_fmac_f32_e32 v12, v13, v12
	v_mul_f32_e32 v13, v8, v12
	v_fma_f32 v14, -v7, v13, v8
	v_fmac_f32_e32 v13, v14, v12
	v_fma_f32 v7, -v7, v13, v8
	v_div_fmas_f32 v7, v7, v12, v13
	v_div_fixup_f32 v7, v7, v6, v5
	v_fmac_f32_e32 v6, v5, v7
	v_div_scale_f32 v5, s[16:17], v6, v6, 1.0
	v_div_scale_f32 v8, vcc, 1.0, v6, 1.0
	v_rcp_f32_e32 v12, v5
	v_fma_f32 v13, -v5, v12, 1.0
	v_fmac_f32_e32 v12, v13, v12
	v_mul_f32_e32 v13, v8, v12
	v_fma_f32 v14, -v5, v13, v8
	v_fmac_f32_e32 v13, v14, v12
	v_fma_f32 v5, -v5, v13, v8
	v_div_fmas_f32 v5, v5, v12, v13
	v_div_fixup_f32 v5, v5, v6, 1.0
	v_mul_f32_e32 v7, v7, v5
	v_xor_b32_e32 v8, 0x80000000, v5
                                        ; implicit-def: $vgpr5_vgpr6
.LBB167_70:
	s_andn2_saveexec_b64 s[14:15], s[14:15]
	s_cbranch_execz .LBB167_72
; %bb.71:
	v_div_scale_f32 v7, s[16:17], v5, v5, v6
	v_div_scale_f32 v8, vcc, v6, v5, v6
	v_rcp_f32_e32 v12, v7
	v_fma_f32 v13, -v7, v12, 1.0
	v_fmac_f32_e32 v12, v13, v12
	v_mul_f32_e32 v13, v8, v12
	v_fma_f32 v14, -v7, v13, v8
	v_fmac_f32_e32 v13, v14, v12
	v_fma_f32 v7, -v7, v13, v8
	v_div_fmas_f32 v7, v7, v12, v13
	v_div_fixup_f32 v8, v7, v5, v6
	v_fmac_f32_e32 v5, v6, v8
	v_div_scale_f32 v6, s[16:17], v5, v5, 1.0
	v_div_scale_f32 v7, vcc, 1.0, v5, 1.0
	v_rcp_f32_e32 v12, v6
	v_fma_f32 v13, -v6, v12, 1.0
	v_fmac_f32_e32 v12, v13, v12
	v_mul_f32_e32 v13, v7, v12
	v_fma_f32 v14, -v6, v13, v7
	v_fmac_f32_e32 v13, v14, v12
	v_fma_f32 v6, -v6, v13, v7
	v_div_fmas_f32 v6, v6, v12, v13
	v_div_fixup_f32 v7, v6, v5, 1.0
	v_mul_f32_e64 v8, v8, -v7
.LBB167_72:
	s_or_b64 exec, exec, s[14:15]
	v_lshlrev_b32_e32 v5, 3, v11
	ds_write_b64 v5, v[7:8]
.LBB167_73:
	s_or_b64 exec, exec, s[12:13]
                                        ; implicit-def: $vgpr5_vgpr6
                                        ; implicit-def: $vgpr11
.LBB167_74:
	s_andn2_saveexec_b64 s[10:11], s[10:11]
	s_cbranch_execz .LBB167_76
; %bb.75:
	v_lshlrev_b64 v[5:6], 3, v[5:6]
	v_mov_b32_e32 v7, s94
	v_add_co_u32_e32 v5, vcc, s93, v5
	v_addc_co_u32_e32 v6, vcc, v7, v6, vcc
	flat_load_dwordx2 v[5:6], v[5:6]
	v_lshlrev_b32_e32 v7, 3, v11
	s_waitcnt vmcnt(0) lgkmcnt(0)
	v_xor_b32_e32 v5, 0x80000000, v5
	v_xor_b32_e32 v6, 0x80000000, v6
	ds_write_b64 v7, v[5:6]
.LBB167_76:
	s_or_b64 exec, exec, s[10:11]
	s_mov_b64 s[16:17], 0
.LBB167_77:
	s_xor_b64 s[14:15], s[6:7], -1
	s_and_b64 vcc, exec, s[16:17]
	s_cbranch_vccz .LBB167_135
; %bb.78:
	v_mad_u64_u32 v[5:6], s[10:11], s38, v2, v[3:4]
	v_cmp_le_u32_e32 vcc, v0, v2
	v_cmp_gt_i32_e64 s[10:11], s92, v0
	v_mad_u64_u32 v[6:7], s[12:13], s39, v2, v[6:7]
	v_max_i32_e32 v7, v2, v0
	v_cmp_le_i32_e64 s[12:13], s92, v7
	s_or_b64 s[12:13], s[12:13], vcc
	s_and_saveexec_b64 s[16:17], s[12:13]
	s_xor_b64 s[12:13], exec, s[16:17]
	s_cbranch_execz .LBB167_90
; %bb.79:
	v_cmp_ne_u32_e32 vcc, v0, v2
	s_xor_b64 s[16:17], s[10:11], -1
	s_or_b64 s[16:17], s[16:17], vcc
	s_and_saveexec_b64 s[18:19], s[16:17]
	s_xor_b64 s[16:17], exec, s[18:19]
	s_cbranch_execz .LBB167_83
; %bb.80:
	v_or_b32_e32 v5, v2, v0
	v_cmp_gt_u32_e32 vcc, 64, v5
	s_and_saveexec_b64 s[18:19], vcc
; %bb.81:
	v_mov_b32_e32 v5, 0
	v_lshlrev_b32_e32 v7, 3, v10
	v_mov_b32_e32 v6, v5
	ds_write_b64 v7, v[5:6]
; %bb.82:
	s_or_b64 exec, exec, s[18:19]
                                        ; implicit-def: $vgpr10
                                        ; implicit-def: $vgpr5_vgpr6
.LBB167_83:
	s_andn2_saveexec_b64 s[16:17], s[16:17]
	s_cbranch_execz .LBB167_89
; %bb.84:
	v_lshlrev_b64 v[5:6], 3, v[5:6]
	v_mov_b32_e32 v7, s94
	v_add_co_u32_e32 v5, vcc, s93, v5
	v_addc_co_u32_e32 v6, vcc, v7, v6, vcc
	flat_load_dwordx2 v[5:6], v[5:6]
                                        ; implicit-def: $vgpr7
	s_waitcnt vmcnt(0) lgkmcnt(0)
	v_cmp_ngt_f32_e64 s[18:19], |v5|, |v6|
	s_and_saveexec_b64 s[20:21], s[18:19]
	s_xor_b64 s[18:19], exec, s[20:21]
	s_cbranch_execz .LBB167_86
; %bb.85:
	v_div_scale_f32 v7, s[20:21], v6, v6, v5
	v_div_scale_f32 v8, vcc, v5, v6, v5
	v_rcp_f32_e32 v11, v7
	v_fma_f32 v12, -v7, v11, 1.0
	v_fmac_f32_e32 v11, v12, v11
	v_mul_f32_e32 v12, v8, v11
	v_fma_f32 v13, -v7, v12, v8
	v_fmac_f32_e32 v12, v13, v11
	v_fma_f32 v7, -v7, v12, v8
	v_div_fmas_f32 v7, v7, v11, v12
	v_div_fixup_f32 v7, v7, v6, v5
	v_fmac_f32_e32 v6, v5, v7
	v_div_scale_f32 v5, s[20:21], v6, v6, 1.0
	v_div_scale_f32 v8, vcc, 1.0, v6, 1.0
	v_rcp_f32_e32 v11, v5
	v_fma_f32 v12, -v5, v11, 1.0
	v_fmac_f32_e32 v11, v12, v11
	v_mul_f32_e32 v12, v8, v11
	v_fma_f32 v13, -v5, v12, v8
	v_fmac_f32_e32 v12, v13, v11
	v_fma_f32 v5, -v5, v12, v8
	v_div_fmas_f32 v5, v5, v11, v12
	v_div_fixup_f32 v5, v5, v6, 1.0
	v_mul_f32_e32 v7, v7, v5
	v_xor_b32_e32 v8, 0x80000000, v5
                                        ; implicit-def: $vgpr5_vgpr6
.LBB167_86:
	s_andn2_saveexec_b64 s[18:19], s[18:19]
	s_cbranch_execz .LBB167_88
; %bb.87:
	v_div_scale_f32 v7, s[20:21], v5, v5, v6
	v_div_scale_f32 v8, vcc, v6, v5, v6
	v_rcp_f32_e32 v11, v7
	v_fma_f32 v12, -v7, v11, 1.0
	v_fmac_f32_e32 v11, v12, v11
	v_mul_f32_e32 v12, v8, v11
	v_fma_f32 v13, -v7, v12, v8
	v_fmac_f32_e32 v12, v13, v11
	v_fma_f32 v7, -v7, v12, v8
	v_div_fmas_f32 v7, v7, v11, v12
	v_div_fixup_f32 v8, v7, v5, v6
	v_fmac_f32_e32 v5, v6, v8
	v_div_scale_f32 v6, s[20:21], v5, v5, 1.0
	v_div_scale_f32 v7, vcc, 1.0, v5, 1.0
	v_rcp_f32_e32 v11, v6
	v_fma_f32 v12, -v6, v11, 1.0
	v_fmac_f32_e32 v11, v12, v11
	v_mul_f32_e32 v12, v7, v11
	v_fma_f32 v13, -v6, v12, v7
	v_fmac_f32_e32 v12, v13, v11
	v_fma_f32 v6, -v6, v12, v7
	v_div_fmas_f32 v6, v6, v11, v12
	v_div_fixup_f32 v7, v6, v5, 1.0
	v_mul_f32_e64 v8, v8, -v7
.LBB167_88:
	s_or_b64 exec, exec, s[18:19]
	v_lshlrev_b32_e32 v5, 3, v10
	ds_write_b64 v5, v[7:8]
.LBB167_89:
	s_or_b64 exec, exec, s[16:17]
                                        ; implicit-def: $vgpr5_vgpr6
                                        ; implicit-def: $vgpr10
.LBB167_90:
	s_andn2_saveexec_b64 s[12:13], s[12:13]
	s_cbranch_execz .LBB167_92
; %bb.91:
	v_lshlrev_b64 v[5:6], 3, v[5:6]
	v_mov_b32_e32 v7, s94
	v_add_co_u32_e32 v5, vcc, s93, v5
	v_addc_co_u32_e32 v6, vcc, v7, v6, vcc
	flat_load_dwordx2 v[5:6], v[5:6]
	v_lshlrev_b32_e32 v7, 3, v10
	s_waitcnt vmcnt(0) lgkmcnt(0)
	v_xor_b32_e32 v5, 0x80000000, v5
	v_xor_b32_e32 v6, 0x80000000, v6
	ds_write_b64 v7, v[5:6]
.LBB167_92:
	s_or_b64 exec, exec, s[12:13]
	v_add_u32_e32 v7, 16, v2
	v_mad_u64_u32 v[5:6], s[12:13], s38, v7, v[3:4]
	v_cmp_gt_u32_e32 vcc, v0, v7
	v_add_u32_e32 v8, v7, v9
	v_mad_u64_u32 v[11:12], s[12:13], s39, v7, v[6:7]
	v_cmp_gt_i32_e64 s[12:13], s92, v7
	s_and_b64 s[12:13], vcc, s[12:13]
	v_lshl_add_u32 v6, v7, 6, v0
	s_and_b64 s[12:13], s[10:11], s[12:13]
	v_cndmask_b32_e64 v10, v6, v8, s[6:7]
	v_mov_b32_e32 v6, v11
	s_xor_b64 s[12:13], s[12:13], -1
	s_and_saveexec_b64 s[16:17], s[12:13]
	s_xor_b64 s[12:13], exec, s[16:17]
	s_cbranch_execz .LBB167_104
; %bb.93:
	v_cmp_ne_u32_e32 vcc, v0, v7
	s_xor_b64 s[16:17], s[10:11], -1
	s_or_b64 s[16:17], s[16:17], vcc
	s_and_saveexec_b64 s[18:19], s[16:17]
	s_xor_b64 s[16:17], exec, s[18:19]
	s_cbranch_execz .LBB167_97
; %bb.94:
	v_or_b32_e32 v5, v7, v0
	v_cmp_gt_u32_e32 vcc, 64, v5
	s_and_saveexec_b64 s[18:19], vcc
; %bb.95:
	v_mov_b32_e32 v5, 0
	v_lshlrev_b32_e32 v7, 3, v10
	v_mov_b32_e32 v6, v5
	ds_write_b64 v7, v[5:6]
; %bb.96:
	s_or_b64 exec, exec, s[18:19]
                                        ; implicit-def: $vgpr10
                                        ; implicit-def: $vgpr5_vgpr6
.LBB167_97:
	s_andn2_saveexec_b64 s[16:17], s[16:17]
	s_cbranch_execz .LBB167_103
; %bb.98:
	v_lshlrev_b64 v[5:6], 3, v[5:6]
	v_mov_b32_e32 v7, s94
	v_add_co_u32_e32 v5, vcc, s93, v5
	v_addc_co_u32_e32 v6, vcc, v7, v6, vcc
	flat_load_dwordx2 v[5:6], v[5:6]
                                        ; implicit-def: $vgpr7
	s_waitcnt vmcnt(0) lgkmcnt(0)
	v_cmp_ngt_f32_e64 s[18:19], |v5|, |v6|
	s_and_saveexec_b64 s[20:21], s[18:19]
	s_xor_b64 s[18:19], exec, s[20:21]
	s_cbranch_execz .LBB167_100
; %bb.99:
	v_div_scale_f32 v7, s[20:21], v6, v6, v5
	v_div_scale_f32 v8, vcc, v5, v6, v5
	v_rcp_f32_e32 v11, v7
	v_fma_f32 v12, -v7, v11, 1.0
	v_fmac_f32_e32 v11, v12, v11
	v_mul_f32_e32 v12, v8, v11
	v_fma_f32 v13, -v7, v12, v8
	v_fmac_f32_e32 v12, v13, v11
	v_fma_f32 v7, -v7, v12, v8
	v_div_fmas_f32 v7, v7, v11, v12
	v_div_fixup_f32 v7, v7, v6, v5
	v_fmac_f32_e32 v6, v5, v7
	v_div_scale_f32 v5, s[20:21], v6, v6, 1.0
	v_div_scale_f32 v8, vcc, 1.0, v6, 1.0
	v_rcp_f32_e32 v11, v5
	v_fma_f32 v12, -v5, v11, 1.0
	v_fmac_f32_e32 v11, v12, v11
	v_mul_f32_e32 v12, v8, v11
	v_fma_f32 v13, -v5, v12, v8
	v_fmac_f32_e32 v12, v13, v11
	v_fma_f32 v5, -v5, v12, v8
	v_div_fmas_f32 v5, v5, v11, v12
	v_div_fixup_f32 v5, v5, v6, 1.0
	v_mul_f32_e32 v7, v7, v5
	v_xor_b32_e32 v8, 0x80000000, v5
                                        ; implicit-def: $vgpr5_vgpr6
.LBB167_100:
	s_andn2_saveexec_b64 s[18:19], s[18:19]
	s_cbranch_execz .LBB167_102
; %bb.101:
	v_div_scale_f32 v7, s[20:21], v5, v5, v6
	v_div_scale_f32 v8, vcc, v6, v5, v6
	v_rcp_f32_e32 v11, v7
	v_fma_f32 v12, -v7, v11, 1.0
	v_fmac_f32_e32 v11, v12, v11
	v_mul_f32_e32 v12, v8, v11
	v_fma_f32 v13, -v7, v12, v8
	v_fmac_f32_e32 v12, v13, v11
	v_fma_f32 v7, -v7, v12, v8
	v_div_fmas_f32 v7, v7, v11, v12
	v_div_fixup_f32 v8, v7, v5, v6
	v_fmac_f32_e32 v5, v6, v8
	v_div_scale_f32 v6, s[20:21], v5, v5, 1.0
	v_div_scale_f32 v7, vcc, 1.0, v5, 1.0
	v_rcp_f32_e32 v11, v6
	v_fma_f32 v12, -v6, v11, 1.0
	v_fmac_f32_e32 v11, v12, v11
	v_mul_f32_e32 v12, v7, v11
	v_fma_f32 v13, -v6, v12, v7
	v_fmac_f32_e32 v12, v13, v11
	v_fma_f32 v6, -v6, v12, v7
	v_div_fmas_f32 v6, v6, v11, v12
	v_div_fixup_f32 v7, v6, v5, 1.0
	v_mul_f32_e64 v8, v8, -v7
.LBB167_102:
	s_or_b64 exec, exec, s[18:19]
	v_lshlrev_b32_e32 v5, 3, v10
	ds_write_b64 v5, v[7:8]
.LBB167_103:
	s_or_b64 exec, exec, s[16:17]
                                        ; implicit-def: $vgpr5_vgpr6
                                        ; implicit-def: $vgpr10
.LBB167_104:
	s_andn2_saveexec_b64 s[12:13], s[12:13]
	s_cbranch_execz .LBB167_106
; %bb.105:
	v_lshlrev_b64 v[5:6], 3, v[5:6]
	v_mov_b32_e32 v7, s94
	v_add_co_u32_e32 v5, vcc, s93, v5
	v_addc_co_u32_e32 v6, vcc, v7, v6, vcc
	flat_load_dwordx2 v[5:6], v[5:6]
	v_lshlrev_b32_e32 v7, 3, v10
	s_waitcnt vmcnt(0) lgkmcnt(0)
	v_xor_b32_e32 v5, 0x80000000, v5
	v_xor_b32_e32 v6, 0x80000000, v6
	ds_write_b64 v7, v[5:6]
.LBB167_106:
	s_or_b64 exec, exec, s[12:13]
	v_add_u32_e32 v7, 32, v2
	v_mad_u64_u32 v[5:6], s[12:13], s38, v7, v[3:4]
	v_cmp_gt_u32_e32 vcc, v0, v7
	v_add_u32_e32 v8, v7, v9
	v_mad_u64_u32 v[11:12], s[12:13], s39, v7, v[6:7]
	v_cmp_gt_i32_e64 s[12:13], s92, v7
	s_and_b64 s[12:13], vcc, s[12:13]
	v_lshl_add_u32 v6, v7, 6, v0
	s_and_b64 s[12:13], s[10:11], s[12:13]
	v_cndmask_b32_e64 v10, v6, v8, s[6:7]
	v_mov_b32_e32 v6, v11
	s_xor_b64 s[12:13], s[12:13], -1
	s_and_saveexec_b64 s[16:17], s[12:13]
	s_xor_b64 s[12:13], exec, s[16:17]
	s_cbranch_execz .LBB167_118
; %bb.107:
	v_cmp_ne_u32_e32 vcc, v0, v7
	s_xor_b64 s[16:17], s[10:11], -1
	s_or_b64 s[16:17], s[16:17], vcc
	s_and_saveexec_b64 s[18:19], s[16:17]
	s_xor_b64 s[16:17], exec, s[18:19]
	s_cbranch_execz .LBB167_111
; %bb.108:
	v_or_b32_e32 v5, v7, v0
	v_cmp_gt_u32_e32 vcc, 64, v5
	s_and_saveexec_b64 s[18:19], vcc
; %bb.109:
	v_mov_b32_e32 v5, 0
	v_lshlrev_b32_e32 v7, 3, v10
	v_mov_b32_e32 v6, v5
	ds_write_b64 v7, v[5:6]
; %bb.110:
	s_or_b64 exec, exec, s[18:19]
                                        ; implicit-def: $vgpr10
                                        ; implicit-def: $vgpr5_vgpr6
.LBB167_111:
	s_andn2_saveexec_b64 s[16:17], s[16:17]
	s_cbranch_execz .LBB167_117
; %bb.112:
	v_lshlrev_b64 v[5:6], 3, v[5:6]
	v_mov_b32_e32 v7, s94
	v_add_co_u32_e32 v5, vcc, s93, v5
	v_addc_co_u32_e32 v6, vcc, v7, v6, vcc
	flat_load_dwordx2 v[5:6], v[5:6]
                                        ; implicit-def: $vgpr7
	s_waitcnt vmcnt(0) lgkmcnt(0)
	v_cmp_ngt_f32_e64 s[18:19], |v5|, |v6|
	s_and_saveexec_b64 s[20:21], s[18:19]
	s_xor_b64 s[18:19], exec, s[20:21]
	s_cbranch_execz .LBB167_114
; %bb.113:
	v_div_scale_f32 v7, s[20:21], v6, v6, v5
	v_div_scale_f32 v8, vcc, v5, v6, v5
	v_rcp_f32_e32 v11, v7
	v_fma_f32 v12, -v7, v11, 1.0
	v_fmac_f32_e32 v11, v12, v11
	v_mul_f32_e32 v12, v8, v11
	v_fma_f32 v13, -v7, v12, v8
	v_fmac_f32_e32 v12, v13, v11
	v_fma_f32 v7, -v7, v12, v8
	v_div_fmas_f32 v7, v7, v11, v12
	v_div_fixup_f32 v7, v7, v6, v5
	v_fmac_f32_e32 v6, v5, v7
	v_div_scale_f32 v5, s[20:21], v6, v6, 1.0
	v_div_scale_f32 v8, vcc, 1.0, v6, 1.0
	v_rcp_f32_e32 v11, v5
	v_fma_f32 v12, -v5, v11, 1.0
	v_fmac_f32_e32 v11, v12, v11
	v_mul_f32_e32 v12, v8, v11
	v_fma_f32 v13, -v5, v12, v8
	v_fmac_f32_e32 v12, v13, v11
	v_fma_f32 v5, -v5, v12, v8
	v_div_fmas_f32 v5, v5, v11, v12
	v_div_fixup_f32 v5, v5, v6, 1.0
	v_mul_f32_e32 v7, v7, v5
	v_xor_b32_e32 v8, 0x80000000, v5
                                        ; implicit-def: $vgpr5_vgpr6
.LBB167_114:
	s_andn2_saveexec_b64 s[18:19], s[18:19]
	s_cbranch_execz .LBB167_116
; %bb.115:
	v_div_scale_f32 v7, s[20:21], v5, v5, v6
	v_div_scale_f32 v8, vcc, v6, v5, v6
	v_rcp_f32_e32 v11, v7
	v_fma_f32 v12, -v7, v11, 1.0
	v_fmac_f32_e32 v11, v12, v11
	v_mul_f32_e32 v12, v8, v11
	v_fma_f32 v13, -v7, v12, v8
	v_fmac_f32_e32 v12, v13, v11
	v_fma_f32 v7, -v7, v12, v8
	v_div_fmas_f32 v7, v7, v11, v12
	v_div_fixup_f32 v8, v7, v5, v6
	v_fmac_f32_e32 v5, v6, v8
	v_div_scale_f32 v6, s[20:21], v5, v5, 1.0
	v_div_scale_f32 v7, vcc, 1.0, v5, 1.0
	v_rcp_f32_e32 v11, v6
	v_fma_f32 v12, -v6, v11, 1.0
	v_fmac_f32_e32 v11, v12, v11
	v_mul_f32_e32 v12, v7, v11
	v_fma_f32 v13, -v6, v12, v7
	v_fmac_f32_e32 v12, v13, v11
	v_fma_f32 v6, -v6, v12, v7
	v_div_fmas_f32 v6, v6, v11, v12
	v_div_fixup_f32 v7, v6, v5, 1.0
	v_mul_f32_e64 v8, v8, -v7
.LBB167_116:
	s_or_b64 exec, exec, s[18:19]
	v_lshlrev_b32_e32 v5, 3, v10
	ds_write_b64 v5, v[7:8]
.LBB167_117:
	s_or_b64 exec, exec, s[16:17]
                                        ; implicit-def: $vgpr5_vgpr6
                                        ; implicit-def: $vgpr10
.LBB167_118:
	s_andn2_saveexec_b64 s[12:13], s[12:13]
	s_cbranch_execz .LBB167_120
; %bb.119:
	v_lshlrev_b64 v[5:6], 3, v[5:6]
	v_mov_b32_e32 v7, s94
	v_add_co_u32_e32 v5, vcc, s93, v5
	v_addc_co_u32_e32 v6, vcc, v7, v6, vcc
	flat_load_dwordx2 v[5:6], v[5:6]
	v_lshlrev_b32_e32 v7, 3, v10
	s_waitcnt vmcnt(0) lgkmcnt(0)
	v_xor_b32_e32 v5, 0x80000000, v5
	v_xor_b32_e32 v6, 0x80000000, v6
	ds_write_b64 v7, v[5:6]
.LBB167_120:
	s_or_b64 exec, exec, s[12:13]
	v_add_u32_e32 v5, 48, v2
	v_mad_u64_u32 v[3:4], s[12:13], s38, v5, v[3:4]
	v_add_u32_e32 v8, v5, v9
	v_cmp_gt_u32_e32 vcc, v0, v5
	v_mad_u64_u32 v[6:7], s[12:13], s39, v5, v[4:5]
	v_lshl_add_u32 v4, v5, 6, v0
	v_cndmask_b32_e64 v7, v4, v8, s[6:7]
	v_cmp_gt_i32_e64 s[6:7], s92, v5
	s_and_b64 s[6:7], vcc, s[6:7]
	s_and_b64 s[6:7], s[10:11], s[6:7]
	v_mov_b32_e32 v4, v6
	s_xor_b64 s[6:7], s[6:7], -1
	s_and_saveexec_b64 s[12:13], s[6:7]
	s_xor_b64 s[6:7], exec, s[12:13]
	s_cbranch_execz .LBB167_132
; %bb.121:
	v_cmp_ne_u32_e32 vcc, v0, v5
	s_xor_b64 s[10:11], s[10:11], -1
	s_or_b64 s[10:11], s[10:11], vcc
	s_and_saveexec_b64 s[12:13], s[10:11]
	s_xor_b64 s[10:11], exec, s[12:13]
	s_cbranch_execz .LBB167_125
; %bb.122:
	v_or_b32_e32 v3, v5, v0
	v_cmp_gt_u32_e32 vcc, 64, v3
	s_and_saveexec_b64 s[12:13], vcc
; %bb.123:
	v_mov_b32_e32 v3, 0
	v_lshlrev_b32_e32 v5, 3, v7
	v_mov_b32_e32 v4, v3
	ds_write_b64 v5, v[3:4]
; %bb.124:
	s_or_b64 exec, exec, s[12:13]
                                        ; implicit-def: $vgpr7
                                        ; implicit-def: $vgpr3_vgpr4
.LBB167_125:
	s_andn2_saveexec_b64 s[10:11], s[10:11]
	s_cbranch_execz .LBB167_131
; %bb.126:
	v_lshlrev_b64 v[3:4], 3, v[3:4]
	v_mov_b32_e32 v5, s94
	v_add_co_u32_e32 v3, vcc, s93, v3
	v_addc_co_u32_e32 v4, vcc, v5, v4, vcc
	flat_load_dwordx2 v[3:4], v[3:4]
                                        ; implicit-def: $vgpr5
	s_waitcnt vmcnt(0) lgkmcnt(0)
	v_cmp_ngt_f32_e64 s[12:13], |v3|, |v4|
	s_and_saveexec_b64 s[16:17], s[12:13]
	s_xor_b64 s[12:13], exec, s[16:17]
	s_cbranch_execz .LBB167_128
; %bb.127:
	v_div_scale_f32 v5, s[16:17], v4, v4, v3
	v_div_scale_f32 v6, vcc, v3, v4, v3
	v_rcp_f32_e32 v8, v5
	v_fma_f32 v9, -v5, v8, 1.0
	v_fmac_f32_e32 v8, v9, v8
	v_mul_f32_e32 v9, v6, v8
	v_fma_f32 v10, -v5, v9, v6
	v_fmac_f32_e32 v9, v10, v8
	v_fma_f32 v5, -v5, v9, v6
	v_div_fmas_f32 v5, v5, v8, v9
	v_div_fixup_f32 v5, v5, v4, v3
	v_fmac_f32_e32 v4, v3, v5
	v_div_scale_f32 v3, s[16:17], v4, v4, 1.0
	v_div_scale_f32 v6, vcc, 1.0, v4, 1.0
	v_rcp_f32_e32 v8, v3
	v_fma_f32 v9, -v3, v8, 1.0
	v_fmac_f32_e32 v8, v9, v8
	v_mul_f32_e32 v9, v6, v8
	v_fma_f32 v10, -v3, v9, v6
	v_fmac_f32_e32 v9, v10, v8
	v_fma_f32 v3, -v3, v9, v6
	v_div_fmas_f32 v3, v3, v8, v9
	v_div_fixup_f32 v3, v3, v4, 1.0
	v_mul_f32_e32 v5, v5, v3
	v_xor_b32_e32 v6, 0x80000000, v3
                                        ; implicit-def: $vgpr3_vgpr4
.LBB167_128:
	s_andn2_saveexec_b64 s[12:13], s[12:13]
	s_cbranch_execz .LBB167_130
; %bb.129:
	v_div_scale_f32 v5, s[16:17], v3, v3, v4
	v_div_scale_f32 v6, vcc, v4, v3, v4
	v_rcp_f32_e32 v8, v5
	v_fma_f32 v9, -v5, v8, 1.0
	v_fmac_f32_e32 v8, v9, v8
	v_mul_f32_e32 v9, v6, v8
	v_fma_f32 v10, -v5, v9, v6
	v_fmac_f32_e32 v9, v10, v8
	v_fma_f32 v5, -v5, v9, v6
	v_div_fmas_f32 v5, v5, v8, v9
	v_div_fixup_f32 v6, v5, v3, v4
	v_fmac_f32_e32 v3, v4, v6
	v_div_scale_f32 v4, s[16:17], v3, v3, 1.0
	v_div_scale_f32 v5, vcc, 1.0, v3, 1.0
	v_rcp_f32_e32 v8, v4
	v_fma_f32 v9, -v4, v8, 1.0
	v_fmac_f32_e32 v8, v9, v8
	v_mul_f32_e32 v9, v5, v8
	v_fma_f32 v10, -v4, v9, v5
	v_fmac_f32_e32 v9, v10, v8
	v_fma_f32 v4, -v4, v9, v5
	v_div_fmas_f32 v4, v4, v8, v9
	v_div_fixup_f32 v5, v4, v3, 1.0
	v_mul_f32_e64 v6, v6, -v5
.LBB167_130:
	s_or_b64 exec, exec, s[12:13]
	v_lshlrev_b32_e32 v3, 3, v7
	ds_write_b64 v3, v[5:6]
.LBB167_131:
	s_or_b64 exec, exec, s[10:11]
                                        ; implicit-def: $vgpr3_vgpr4
                                        ; implicit-def: $vgpr7
.LBB167_132:
	s_andn2_saveexec_b64 s[6:7], s[6:7]
	s_cbranch_execz .LBB167_134
; %bb.133:
	v_lshlrev_b64 v[3:4], 3, v[3:4]
	v_mov_b32_e32 v5, s94
	v_add_co_u32_e32 v3, vcc, s93, v3
	v_addc_co_u32_e32 v4, vcc, v5, v4, vcc
	flat_load_dwordx2 v[3:4], v[3:4]
	v_lshlrev_b32_e32 v5, 3, v7
	s_waitcnt vmcnt(0) lgkmcnt(0)
	v_xor_b32_e32 v3, 0x80000000, v3
	v_xor_b32_e32 v4, 0x80000000, v4
	ds_write_b64 v5, v[3:4]
.LBB167_134:
	s_or_b64 exec, exec, s[6:7]
.LBB167_135:
	v_cndmask_b32_e64 v3, 0, 1, s[14:15]
	v_cmp_ne_u32_e64 s[50:51], 1, v3
	s_andn2_b64 vcc, exec, s[14:15]
	s_waitcnt vmcnt(0) lgkmcnt(0)
	s_barrier
	s_cbranch_vccnz .LBB167_1057
; %bb.136:
	v_or_b32_e32 v3, v0, v2
	v_cmp_eq_u32_e32 vcc, 0, v3
	s_and_saveexec_b64 s[6:7], vcc
	s_cbranch_execz .LBB167_138
; %bb.137:
	v_mov_b32_e32 v9, 0
	ds_read_b128 v[3:6], v9
	ds_read_b64 v[7:8], v9 offset:520
	s_waitcnt lgkmcnt(0)
	v_mul_f32_e32 v10, v8, v4
	v_mul_f32_e32 v11, v7, v4
	v_fma_f32 v7, v7, v3, -v10
	v_fmac_f32_e32 v11, v8, v3
	v_mul_f32_e32 v3, v11, v6
	v_mul_f32_e32 v4, v7, v6
	v_fma_f32 v3, v7, v5, -v3
	v_fmac_f32_e32 v4, v11, v5
	ds_write2_b64 v9, v[3:4], v[3:4] offset0:1 offset1:64
.LBB167_138:
	s_or_b64 exec, exec, s[6:7]
	v_and_b32_e32 v8, 1, v0
	v_lshrrev_b32_e32 v5, 1, v1
	v_lshlrev_b32_e32 v3, 3, v8
	v_cmp_lt_u32_e64 s[10:11], 3, v1
	v_cmp_gt_u32_e64 s[22:23], 4, v1
	v_lshl_or_b32 v3, v5, 9, v3
	v_mov_b32_e32 v6, 0
	v_mov_b32_e32 v7, 0
	s_waitcnt lgkmcnt(0)
	s_barrier
	s_and_saveexec_b64 s[6:7], s[22:23]
	s_cbranch_execz .LBB167_142
; %bb.139:
	v_mul_u32_u24_e32 v4, 0x208, v5
	ds_read_b64 v[6:7], v3 offset:16
	ds_read_b64 v[9:10], v4
	v_cmp_gt_u32_e64 s[12:13], 2, v1
	s_waitcnt lgkmcnt(0)
	v_mul_f32_e32 v4, v10, v7
	v_mul_f32_e32 v7, v9, v7
	v_fma_f32 v4, v9, v6, -v4
	v_fmac_f32_e32 v7, v10, v6
	v_add_f32_e32 v4, 0, v4
	v_add_f32_e32 v6, 0, v7
	s_and_saveexec_b64 s[14:15], s[12:13]
	s_cbranch_execz .LBB167_141
; %bb.140:
	v_lshlrev_b32_e32 v7, 3, v0
	v_mov_b32_e32 v11, 0
	ds_read_b64 v[9:10], v7 offset:528
	ds_read_b64 v[11:12], v11 offset:8
	s_waitcnt lgkmcnt(0)
	v_mul_f32_e32 v7, v12, v10
	v_mul_f32_e32 v10, v11, v10
	v_fma_f32 v7, v11, v9, -v7
	v_fmac_f32_e32 v10, v12, v9
	v_add_f32_e32 v4, v4, v7
	v_add_f32_e32 v6, v6, v10
.LBB167_141:
	s_or_b64 exec, exec, s[14:15]
	v_xor_b32_e32 v7, 0x80000000, v4
	v_xor_b32_e32 v6, 0x80000000, v6
.LBB167_142:
                                        ; implicit-def: $vgpr34 : SGPR spill to VGPR lane
	v_writelane_b32 v34, s44, 0
	s_or_b64 exec, exec, s[6:7]
	v_mov_b32_e32 v4, 0x8000
	v_cmp_eq_u32_e64 s[12:13], 0, v8
	s_xor_b64 s[6:7], s[10:11], -1
	v_lshl_add_u32 v4, v5, 3, v4
	s_and_b64 s[44:45], s[12:13], s[6:7]
	s_and_saveexec_b64 s[10:11], s[44:45]
	s_cbranch_execz .LBB167_144
; %bb.143:
	v_mov_b32_e32 v9, 0
	ds_read_b64 v[9:10], v9 offset:1040
	s_waitcnt lgkmcnt(0)
	v_mul_f32_e32 v12, v6, v10
	v_mul_f32_e32 v11, v7, v10
	v_fma_f32 v10, v7, v9, -v12
	v_fmac_f32_e32 v11, v6, v9
	v_mov_b32_e32 v7, v10
	v_mov_b32_e32 v6, v11
	ds_write_b64 v4, v[10:11]
.LBB167_144:
	s_or_b64 exec, exec, s[10:11]
	v_cmp_ne_u32_e64 s[10:11], 0, v8
	s_and_b64 s[42:43], s[10:11], s[6:7]
	s_waitcnt lgkmcnt(0)
	s_barrier
	s_and_saveexec_b64 s[6:7], s[42:43]
	s_cbranch_execz .LBB167_146
; %bb.145:
	v_mov_b32_e32 v8, 0
	ds_read_b64 v[8:9], v8 offset:1048
	ds_read_b64 v[10:11], v4
	s_waitcnt lgkmcnt(0)
	v_mul_f32_e32 v12, v11, v9
	v_mul_f32_e32 v9, v10, v9
	v_fma_f32 v10, v10, v8, -v12
	v_fmac_f32_e32 v9, v11, v8
	v_add_f32_e32 v7, v7, v10
	v_add_f32_e32 v6, v6, v9
.LBB167_146:
	s_or_b64 exec, exec, s[6:7]
	s_barrier
	s_and_saveexec_b64 s[6:7], s[42:43]
	s_cbranch_execz .LBB167_148
; %bb.147:
	v_mov_b32_e32 v8, 0
	ds_read_b64 v[8:9], v8 offset:1560
	s_waitcnt lgkmcnt(0)
	v_mul_f32_e32 v11, v6, v9
	v_mul_f32_e32 v10, v7, v9
	v_fma_f32 v9, v7, v8, -v11
	v_fmac_f32_e32 v10, v6, v8
	v_mov_b32_e32 v7, v9
	v_mov_b32_e32 v6, v10
	ds_write_b64 v4, v[9:10]
.LBB167_148:
	s_or_b64 exec, exec, s[6:7]
	s_waitcnt lgkmcnt(0)
	s_barrier
	s_barrier
	s_and_saveexec_b64 s[6:7], s[22:23]
; %bb.149:
	v_xor_b32_e32 v8, 0x80000000, v6
	v_xor_b32_e32 v7, 0x80000000, v7
	ds_write_b64 v3, v[7:8] offset:16
; %bb.150:
	s_or_b64 exec, exec, s[6:7]
	v_cmp_eq_u32_e64 s[16:17], 0, v2
	v_cmp_gt_u32_e64 s[10:11], 2, v0
	s_and_b64 s[46:47], s[16:17], s[10:11]
	s_waitcnt lgkmcnt(0)
	s_barrier
	s_barrier
	s_and_saveexec_b64 s[6:7], s[46:47]
	s_cbranch_execz .LBB167_152
; %bb.151:
	v_lshlrev_b32_e32 v8, 3, v0
	s_movk_i32 s10, 0x1f8
	v_mad_u32_u24 v9, v0, s10, v8
	ds_read_b64 v[6:7], v9 offset:16
	s_waitcnt lgkmcnt(0)
	ds_write_b64 v8, v[6:7] offset:1024
	ds_read_b64 v[6:7], v9 offset:24
	s_waitcnt lgkmcnt(0)
	ds_write_b64 v8, v[6:7] offset:1536
.LBB167_152:
	s_or_b64 exec, exec, s[6:7]
	s_waitcnt lgkmcnt(0)
	s_barrier
	s_and_saveexec_b64 s[6:7], vcc
	s_cbranch_execz .LBB167_154
; %bb.153:
	v_mov_b32_e32 v12, 0
	ds_read_b128 v[6:9], v12 offset:1040
	ds_read_b64 v[10:11], v12 offset:1560
	s_waitcnt lgkmcnt(0)
	v_mul_f32_e32 v13, v11, v7
	v_mul_f32_e32 v14, v10, v7
	v_fma_f32 v10, v10, v6, -v13
	v_fmac_f32_e32 v14, v11, v6
	v_mul_f32_e32 v6, v14, v9
	v_mul_f32_e32 v7, v10, v9
	v_fma_f32 v6, v10, v8, -v6
	v_fmac_f32_e32 v7, v14, v8
	ds_write2_b64 v12, v[6:7], v[6:7] offset0:131 offset1:194
.LBB167_154:
	s_or_b64 exec, exec, s[6:7]
	v_and_b32_e32 v9, 3, v0
	v_lshrrev_b32_e32 v10, 2, v1
	v_lshlrev_b32_e32 v7, 3, v9
	v_cmp_lt_u32_e64 s[12:13], 15, v1
	v_cmp_gt_u32_e64 s[10:11], 16, v1
	v_lshl_or_b32 v6, v10, 9, v7
	v_mov_b32_e32 v11, 0
	v_mov_b32_e32 v12, 0
	s_waitcnt lgkmcnt(0)
	s_barrier
	s_and_saveexec_b64 s[6:7], s[10:11]
	s_cbranch_execz .LBB167_160
; %bb.155:
	v_mul_u32_u24_e32 v12, 0x208, v10
	ds_read_b64 v[13:14], v6 offset:32
	ds_read_b64 v[15:16], v12
	v_cmp_gt_u32_e64 s[14:15], 12, v1
	s_waitcnt lgkmcnt(0)
	v_mul_f32_e32 v8, v16, v14
	v_mul_f32_e32 v11, v15, v14
	v_fma_f32 v8, v15, v13, -v8
	v_fmac_f32_e32 v11, v16, v13
	v_add_f32_e32 v8, 0, v8
	v_add_f32_e32 v11, 0, v11
	s_and_saveexec_b64 s[18:19], s[14:15]
	s_cbranch_execnz .LBB167_1116
; %bb.156:
	s_or_b64 exec, exec, s[18:19]
	v_cmp_gt_u32_e64 s[14:15], 8, v1
	s_and_saveexec_b64 s[18:19], s[14:15]
	s_cbranch_execnz .LBB167_1117
.LBB167_157:
	s_or_b64 exec, exec, s[18:19]
	v_cmp_gt_u32_e64 s[14:15], 4, v1
	s_and_saveexec_b64 s[18:19], s[14:15]
	s_cbranch_execz .LBB167_159
.LBB167_158:
	v_lshlrev_b32_e32 v12, 3, v0
	v_mov_b32_e32 v14, 0
	ds_read_b64 v[12:13], v12 offset:1568
	ds_read_b64 v[14:15], v14 offset:24
	s_waitcnt lgkmcnt(0)
	v_mul_f32_e32 v16, v15, v13
	v_mul_f32_e32 v13, v14, v13
	v_fma_f32 v14, v14, v12, -v16
	v_fmac_f32_e32 v13, v15, v12
	v_add_f32_e32 v8, v8, v14
	v_add_f32_e32 v11, v11, v13
.LBB167_159:
	s_or_b64 exec, exec, s[18:19]
	v_xor_b32_e32 v12, 0x80000000, v8
	v_xor_b32_e32 v11, 0x80000000, v11
.LBB167_160:
	v_writelane_b32 v34, s50, 1
	v_writelane_b32 v34, s51, 2
	;; [unrolled: 1-line block ×4, first 2 shown]
	s_or_b64 exec, exec, s[6:7]
	v_mov_b32_e32 v8, 0x8000
	v_cmp_eq_u32_e64 s[14:15], 0, v9
	s_xor_b64 s[6:7], s[12:13], -1
	v_lshl_add_u32 v8, v10, 3, v8
	s_and_b64 s[50:51], s[14:15], s[6:7]
	s_and_saveexec_b64 s[12:13], s[50:51]
	s_cbranch_execz .LBB167_162
; %bb.161:
	v_mov_b32_e32 v13, 0
	ds_read_b64 v[13:14], v13 offset:2080
	s_waitcnt lgkmcnt(0)
	v_mul_f32_e32 v16, v11, v14
	v_mul_f32_e32 v15, v12, v14
	v_fma_f32 v14, v12, v13, -v16
	v_fmac_f32_e32 v15, v11, v13
	v_mov_b32_e32 v12, v14
	v_mov_b32_e32 v11, v15
	ds_write_b64 v8, v[14:15]
.LBB167_162:
	s_or_b64 exec, exec, s[12:13]
	v_cmp_ne_u32_e64 s[12:13], 0, v9
	s_and_b64 s[52:53], s[12:13], s[6:7]
	s_waitcnt lgkmcnt(0)
	s_barrier
	s_and_saveexec_b64 s[12:13], s[52:53]
	s_cbranch_execz .LBB167_164
; %bb.163:
	ds_read_b64 v[13:14], v7 offset:2080
	ds_read_b64 v[15:16], v8
	s_waitcnt lgkmcnt(0)
	v_mul_f32_e32 v17, v16, v14
	v_mul_f32_e32 v14, v15, v14
	v_fma_f32 v15, v15, v13, -v17
	v_fmac_f32_e32 v14, v16, v13
	v_add_f32_e32 v12, v12, v15
	v_add_f32_e32 v11, v11, v14
.LBB167_164:
	s_or_b64 exec, exec, s[12:13]
	v_cmp_eq_u32_e64 s[12:13], 1, v9
	s_and_b64 s[54:55], s[12:13], s[6:7]
	s_barrier
	s_and_saveexec_b64 s[12:13], s[54:55]
	s_cbranch_execz .LBB167_166
; %bb.165:
	v_mov_b32_e32 v13, 0
	ds_read_b64 v[13:14], v13 offset:2600
	s_waitcnt lgkmcnt(0)
	v_mul_f32_e32 v16, v11, v14
	v_mul_f32_e32 v15, v12, v14
	v_fma_f32 v14, v12, v13, -v16
	v_fmac_f32_e32 v15, v11, v13
	v_mov_b32_e32 v12, v14
	v_mov_b32_e32 v11, v15
	ds_write_b64 v8, v[14:15]
.LBB167_166:
	s_or_b64 exec, exec, s[12:13]
	v_cmp_lt_u32_e64 s[12:13], 1, v9
	s_and_b64 s[56:57], s[12:13], s[6:7]
	s_waitcnt lgkmcnt(0)
	s_barrier
	s_and_saveexec_b64 s[12:13], s[56:57]
	s_cbranch_execz .LBB167_168
; %bb.167:
	ds_read_b64 v[13:14], v7 offset:2592
	ds_read_b64 v[15:16], v8
	s_waitcnt lgkmcnt(0)
	v_mul_f32_e32 v17, v16, v14
	v_mul_f32_e32 v14, v15, v14
	v_fma_f32 v15, v15, v13, -v17
	v_fmac_f32_e32 v14, v16, v13
	v_add_f32_e32 v12, v12, v15
	v_add_f32_e32 v11, v11, v14
.LBB167_168:
	s_or_b64 exec, exec, s[12:13]
	v_cmp_eq_u32_e64 s[12:13], 2, v9
	s_and_b64 s[58:59], s[12:13], s[6:7]
	s_barrier
	s_and_saveexec_b64 s[12:13], s[58:59]
	s_cbranch_execz .LBB167_170
; %bb.169:
	v_mov_b32_e32 v13, 0
	ds_read_b64 v[13:14], v13 offset:3120
	s_waitcnt lgkmcnt(0)
	v_mul_f32_e32 v16, v11, v14
	v_mul_f32_e32 v15, v12, v14
	v_fma_f32 v14, v12, v13, -v16
	v_fmac_f32_e32 v15, v11, v13
	v_mov_b32_e32 v12, v14
	v_mov_b32_e32 v11, v15
	ds_write_b64 v8, v[14:15]
.LBB167_170:
	s_or_b64 exec, exec, s[12:13]
	v_cmp_eq_u32_e64 s[12:13], 3, v9
	s_and_b64 s[48:49], s[12:13], s[6:7]
	s_waitcnt lgkmcnt(0)
	s_barrier
	s_and_saveexec_b64 s[6:7], s[48:49]
	s_cbranch_execz .LBB167_172
; %bb.171:
	v_mov_b32_e32 v13, 0
	ds_read_b64 v[13:14], v13 offset:3128
	ds_read_b64 v[15:16], v8
	s_waitcnt lgkmcnt(0)
	v_mul_f32_e32 v17, v16, v14
	v_mul_f32_e32 v14, v15, v14
	v_fma_f32 v15, v15, v13, -v17
	v_fmac_f32_e32 v14, v16, v13
	v_add_f32_e32 v12, v12, v15
	v_add_f32_e32 v11, v11, v14
.LBB167_172:
	s_or_b64 exec, exec, s[6:7]
	s_barrier
	s_and_saveexec_b64 s[6:7], s[48:49]
	s_cbranch_execz .LBB167_174
; %bb.173:
	v_mov_b32_e32 v13, 0
	ds_read_b64 v[13:14], v13 offset:3640
	s_waitcnt lgkmcnt(0)
	v_mul_f32_e32 v16, v11, v14
	v_mul_f32_e32 v15, v12, v14
	v_fma_f32 v14, v12, v13, -v16
	v_fmac_f32_e32 v15, v11, v13
	v_mov_b32_e32 v12, v14
	v_mov_b32_e32 v11, v15
	ds_write_b64 v8, v[14:15]
.LBB167_174:
	s_or_b64 exec, exec, s[6:7]
	s_waitcnt lgkmcnt(0)
	s_barrier
	s_barrier
	s_and_saveexec_b64 s[6:7], s[10:11]
; %bb.175:
	v_xor_b32_e32 v12, 0x80000000, v12
	v_xor_b32_e32 v13, 0x80000000, v11
	ds_write_b64 v6, v[12:13] offset:32
; %bb.176:
	s_or_b64 exec, exec, s[6:7]
	v_cmp_gt_u32_e64 s[12:13], 4, v0
	s_and_b64 s[60:61], s[16:17], s[12:13]
	s_waitcnt lgkmcnt(0)
	s_barrier
	s_barrier
	s_and_saveexec_b64 s[6:7], s[60:61]
	s_cbranch_execz .LBB167_178
; %bb.177:
	v_lshlrev_b32_e32 v13, 9, v0
	ds_read_b64 v[11:12], v13 offset:32
	s_movk_i32 s12, 0xfe08
	v_mad_i32_i24 v14, v0, s12, v13
	s_waitcnt lgkmcnt(0)
	ds_write_b64 v14, v[11:12] offset:2048
	ds_read_b64 v[11:12], v13 offset:40
	s_waitcnt lgkmcnt(0)
	ds_write_b64 v14, v[11:12] offset:2560
	ds_read_b64 v[11:12], v13 offset:48
	;; [unrolled: 3-line block ×3, first 2 shown]
	s_waitcnt lgkmcnt(0)
	ds_write_b64 v14, v[11:12] offset:3584
.LBB167_178:
	s_or_b64 exec, exec, s[6:7]
	s_waitcnt lgkmcnt(0)
	s_barrier
	s_and_saveexec_b64 s[6:7], vcc
	s_cbranch_execz .LBB167_180
; %bb.179:
	v_mov_b32_e32 v15, 0
	ds_read_b128 v[11:14], v15 offset:2080
	ds_read_b64 v[15:16], v15 offset:2600
	s_movk_i32 s12, 0x800
	s_waitcnt lgkmcnt(0)
	v_mul_f32_e32 v17, v16, v12
	v_mul_f32_e32 v18, v15, v12
	v_fma_f32 v15, v15, v11, -v17
	v_fmac_f32_e32 v18, v16, v11
	v_mul_f32_e32 v11, v18, v14
	v_mul_f32_e32 v12, v15, v14
	v_fma_f32 v11, v15, v13, -v11
	v_fmac_f32_e32 v12, v18, v13
	v_add_u32_e64 v13, s12, 0
	ds_write2_b64 v13, v[11:12], v[11:12] offset0:5 offset1:68
.LBB167_180:
	s_or_b64 exec, exec, s[6:7]
	v_mov_b32_e32 v11, 0
	v_mov_b32_e32 v12, 0
	s_waitcnt lgkmcnt(0)
	s_barrier
	s_and_saveexec_b64 s[6:7], s[22:23]
	s_cbranch_execz .LBB167_184
; %bb.181:
	v_mul_u32_u24_e32 v13, 0x208, v5
	ds_read_b64 v[11:12], v3 offset:2096
	ds_read_b64 v[13:14], v13 offset:2080
	v_cmp_gt_u32_e64 s[12:13], 2, v1
	s_waitcnt lgkmcnt(0)
	v_mul_f32_e32 v15, v14, v12
	v_mul_f32_e32 v12, v13, v12
	v_fma_f32 v13, v13, v11, -v15
	v_fmac_f32_e32 v12, v14, v11
	v_add_f32_e32 v11, 0, v13
	v_add_f32_e32 v13, 0, v12
	s_and_saveexec_b64 s[14:15], s[12:13]
	s_cbranch_execz .LBB167_183
; %bb.182:
	v_lshlrev_b32_e32 v12, 3, v0
	v_mov_b32_e32 v16, 0
	ds_read_b64 v[14:15], v12 offset:2608
	ds_read_b64 v[16:17], v16 offset:2088
	s_waitcnt lgkmcnt(0)
	v_mul_f32_e32 v12, v17, v15
	v_mul_f32_e32 v15, v16, v15
	v_fma_f32 v12, v16, v14, -v12
	v_fmac_f32_e32 v15, v17, v14
	v_add_f32_e32 v11, v11, v12
	v_add_f32_e32 v13, v13, v15
.LBB167_183:
	s_or_b64 exec, exec, s[14:15]
	v_xor_b32_e32 v12, 0x80000000, v11
	v_xor_b32_e32 v11, 0x80000000, v13
.LBB167_184:
	s_or_b64 exec, exec, s[6:7]
	s_and_saveexec_b64 s[6:7], s[44:45]
	s_cbranch_execz .LBB167_186
; %bb.185:
	v_mov_b32_e32 v13, 0
	ds_read_b64 v[13:14], v13 offset:3120
	s_waitcnt lgkmcnt(0)
	v_mul_f32_e32 v16, v11, v14
	v_mul_f32_e32 v15, v12, v14
	v_fma_f32 v14, v12, v13, -v16
	v_fmac_f32_e32 v15, v11, v13
	v_mov_b32_e32 v12, v14
	v_mov_b32_e32 v11, v15
	ds_write_b64 v4, v[14:15]
.LBB167_186:
	s_or_b64 exec, exec, s[6:7]
	s_waitcnt lgkmcnt(0)
	s_barrier
	s_and_saveexec_b64 s[6:7], s[42:43]
	s_cbranch_execz .LBB167_188
; %bb.187:
	v_mov_b32_e32 v13, 0
	ds_read_b64 v[13:14], v13 offset:3128
	ds_read_b64 v[15:16], v4
	s_waitcnt lgkmcnt(0)
	v_mul_f32_e32 v17, v16, v14
	v_mul_f32_e32 v14, v15, v14
	v_fma_f32 v15, v15, v13, -v17
	v_fmac_f32_e32 v14, v16, v13
	v_add_f32_e32 v12, v12, v15
	v_add_f32_e32 v11, v11, v14
.LBB167_188:
	s_or_b64 exec, exec, s[6:7]
	s_barrier
	s_and_saveexec_b64 s[6:7], s[42:43]
	s_cbranch_execz .LBB167_190
; %bb.189:
	v_mov_b32_e32 v13, 0
	ds_read_b64 v[13:14], v13 offset:3640
	s_waitcnt lgkmcnt(0)
	v_mul_f32_e32 v16, v11, v14
	v_mul_f32_e32 v15, v12, v14
	v_fma_f32 v14, v12, v13, -v16
	v_fmac_f32_e32 v15, v11, v13
	v_mov_b32_e32 v12, v14
	v_mov_b32_e32 v11, v15
	ds_write_b64 v4, v[14:15]
.LBB167_190:
	s_or_b64 exec, exec, s[6:7]
	s_waitcnt lgkmcnt(0)
	s_barrier
	s_barrier
	s_and_saveexec_b64 s[6:7], s[22:23]
; %bb.191:
	v_xor_b32_e32 v13, 0x80000000, v11
	v_xor_b32_e32 v12, 0x80000000, v12
	ds_write_b64 v3, v[12:13] offset:2096
; %bb.192:
	s_or_b64 exec, exec, s[6:7]
	s_waitcnt lgkmcnt(0)
	s_barrier
	s_barrier
	s_and_saveexec_b64 s[6:7], s[46:47]
	s_cbranch_execz .LBB167_194
; %bb.193:
	v_lshlrev_b32_e32 v13, 3, v0
	s_movk_i32 s12, 0x1f8
	v_mad_u32_u24 v14, v0, s12, v13
	ds_read_b64 v[11:12], v14 offset:2096
	s_waitcnt lgkmcnt(0)
	ds_write_b64 v13, v[11:12] offset:3104
	ds_read_b64 v[11:12], v14 offset:2104
	s_waitcnt lgkmcnt(0)
	ds_write_b64 v13, v[11:12] offset:3616
.LBB167_194:
	s_or_b64 exec, exec, s[6:7]
	s_waitcnt lgkmcnt(0)
	s_barrier
	s_and_saveexec_b64 s[6:7], vcc
	s_cbranch_execz .LBB167_196
; %bb.195:
	v_mov_b32_e32 v15, 0
	ds_read_b128 v[11:14], v15 offset:3120
	ds_read_b64 v[15:16], v15 offset:3640
	s_movk_i32 s12, 0x800
	s_waitcnt lgkmcnt(0)
	v_mul_f32_e32 v17, v16, v12
	v_mul_f32_e32 v18, v15, v12
	v_fma_f32 v15, v15, v11, -v17
	v_fmac_f32_e32 v18, v16, v11
	v_mul_f32_e32 v11, v18, v14
	v_mul_f32_e32 v12, v15, v14
	v_fma_f32 v11, v15, v13, -v11
	v_fmac_f32_e32 v12, v18, v13
	v_add_u32_e64 v13, s12, 0
	ds_write2_b64 v13, v[11:12], v[11:12] offset0:135 offset1:198
.LBB167_196:
	s_or_b64 exec, exec, s[6:7]
	v_and_b32_e32 v14, 7, v0
	v_lshrrev_b32_e32 v15, 3, v1
	v_lshlrev_b32_e32 v12, 3, v14
	v_cmp_lt_u32_e64 s[14:15], 63, v1
	v_cmp_gt_u32_e64 s[12:13], 64, v1
	v_lshl_or_b32 v11, v15, 9, v12
	v_mov_b32_e32 v16, 0
	v_mov_b32_e32 v17, 0
	s_waitcnt lgkmcnt(0)
	s_barrier
	s_and_saveexec_b64 s[6:7], s[12:13]
	s_cbranch_execz .LBB167_206
; %bb.197:
	v_mul_u32_u24_e32 v17, 0x208, v15
	ds_read_b64 v[18:19], v11 offset:64
	ds_read_b64 v[20:21], v17
	v_cmp_gt_u32_e64 s[18:19], 56, v1
	s_waitcnt lgkmcnt(0)
	v_mul_f32_e32 v13, v21, v19
	v_mul_f32_e32 v16, v20, v19
	v_fma_f32 v13, v20, v18, -v13
	v_fmac_f32_e32 v16, v21, v18
	v_add_f32_e32 v13, 0, v13
	v_add_f32_e32 v16, 0, v16
	s_and_saveexec_b64 s[20:21], s[18:19]
	s_cbranch_execnz .LBB167_1118
; %bb.198:
	s_or_b64 exec, exec, s[20:21]
	v_cmp_gt_u32_e64 s[18:19], 48, v1
	s_and_saveexec_b64 s[20:21], s[18:19]
	s_cbranch_execnz .LBB167_1119
.LBB167_199:
	s_or_b64 exec, exec, s[20:21]
	v_cmp_gt_u32_e64 s[18:19], 40, v1
	s_and_saveexec_b64 s[20:21], s[18:19]
	s_cbranch_execnz .LBB167_1120
.LBB167_200:
	s_or_b64 exec, exec, s[20:21]
	v_cmp_gt_u32_e64 s[18:19], 32, v1
	s_and_saveexec_b64 s[20:21], s[18:19]
	s_cbranch_execnz .LBB167_1121
.LBB167_201:
	s_or_b64 exec, exec, s[20:21]
	v_cmp_gt_u32_e64 s[18:19], 24, v1
	s_and_saveexec_b64 s[20:21], s[18:19]
	s_cbranch_execnz .LBB167_1122
.LBB167_202:
	s_or_b64 exec, exec, s[20:21]
	v_cmp_gt_u32_e64 s[18:19], 16, v1
	s_and_saveexec_b64 s[20:21], s[18:19]
	s_cbranch_execnz .LBB167_1123
.LBB167_203:
	s_or_b64 exec, exec, s[20:21]
	v_cmp_gt_u32_e64 s[18:19], 8, v1
	s_and_saveexec_b64 s[20:21], s[18:19]
	s_cbranch_execz .LBB167_205
.LBB167_204:
	v_lshlrev_b32_e32 v17, 3, v0
	v_mov_b32_e32 v19, 0
	ds_read_b64 v[17:18], v17 offset:3648
	ds_read_b64 v[19:20], v19 offset:56
	s_waitcnt lgkmcnt(0)
	v_mul_f32_e32 v21, v20, v18
	v_mul_f32_e32 v18, v19, v18
	v_fma_f32 v19, v19, v17, -v21
	v_fmac_f32_e32 v18, v20, v17
	v_add_f32_e32 v13, v13, v19
	v_add_f32_e32 v16, v16, v18
.LBB167_205:
	s_or_b64 exec, exec, s[20:21]
	v_xor_b32_e32 v17, 0x80000000, v13
	v_xor_b32_e32 v16, 0x80000000, v16
.LBB167_206:
	s_or_b64 exec, exec, s[6:7]
	v_mov_b32_e32 v13, 0x8000
	v_cmp_eq_u32_e64 s[18:19], 0, v14
	s_xor_b64 s[6:7], s[14:15], -1
	v_lshl_add_u32 v13, v15, 3, v13
	s_and_b64 s[64:65], s[18:19], s[6:7]
	s_and_saveexec_b64 s[14:15], s[64:65]
	s_cbranch_execz .LBB167_208
; %bb.207:
	v_mov_b32_e32 v18, 0
	ds_read_b64 v[18:19], v18 offset:4160
	s_waitcnt lgkmcnt(0)
	v_mul_f32_e32 v21, v16, v19
	v_mul_f32_e32 v20, v17, v19
	v_fma_f32 v19, v17, v18, -v21
	v_fmac_f32_e32 v20, v16, v18
	v_mov_b32_e32 v17, v19
	v_mov_b32_e32 v16, v20
	ds_write_b64 v13, v[19:20]
.LBB167_208:
	s_or_b64 exec, exec, s[14:15]
	v_cmp_ne_u32_e64 s[14:15], 0, v14
	s_and_b64 s[66:67], s[14:15], s[6:7]
	s_waitcnt lgkmcnt(0)
	s_barrier
	s_and_saveexec_b64 s[14:15], s[66:67]
	s_cbranch_execz .LBB167_210
; %bb.209:
	ds_read_b64 v[18:19], v12 offset:4160
	ds_read_b64 v[20:21], v13
	s_waitcnt lgkmcnt(0)
	v_mul_f32_e32 v22, v21, v19
	v_mul_f32_e32 v19, v20, v19
	v_fma_f32 v20, v20, v18, -v22
	v_fmac_f32_e32 v19, v21, v18
	v_add_f32_e32 v17, v17, v20
	v_add_f32_e32 v16, v16, v19
.LBB167_210:
	s_or_b64 exec, exec, s[14:15]
	v_cmp_eq_u32_e64 s[14:15], 1, v14
	s_and_b64 s[68:69], s[14:15], s[6:7]
	s_barrier
	s_and_saveexec_b64 s[14:15], s[68:69]
	s_cbranch_execz .LBB167_212
; %bb.211:
	v_mov_b32_e32 v18, 0
	ds_read_b64 v[18:19], v18 offset:4680
	s_waitcnt lgkmcnt(0)
	v_mul_f32_e32 v21, v16, v19
	v_mul_f32_e32 v20, v17, v19
	v_fma_f32 v19, v17, v18, -v21
	v_fmac_f32_e32 v20, v16, v18
	v_mov_b32_e32 v17, v19
	v_mov_b32_e32 v16, v20
	ds_write_b64 v13, v[19:20]
.LBB167_212:
	s_or_b64 exec, exec, s[14:15]
	v_cmp_lt_u32_e64 s[14:15], 1, v14
	s_and_b64 s[70:71], s[14:15], s[6:7]
	s_waitcnt lgkmcnt(0)
	s_barrier
	s_and_saveexec_b64 s[14:15], s[70:71]
	s_cbranch_execz .LBB167_214
; %bb.213:
	ds_read_b64 v[18:19], v12 offset:4672
	ds_read_b64 v[20:21], v13
	s_waitcnt lgkmcnt(0)
	v_mul_f32_e32 v22, v21, v19
	v_mul_f32_e32 v19, v20, v19
	v_fma_f32 v20, v20, v18, -v22
	v_fmac_f32_e32 v19, v21, v18
	v_add_f32_e32 v17, v17, v20
	v_add_f32_e32 v16, v16, v19
.LBB167_214:
	s_or_b64 exec, exec, s[14:15]
	v_cmp_eq_u32_e64 s[14:15], 2, v14
	s_and_b64 s[72:73], s[14:15], s[6:7]
	s_barrier
	s_and_saveexec_b64 s[14:15], s[72:73]
	s_cbranch_execz .LBB167_216
; %bb.215:
	v_mov_b32_e32 v18, 0
	ds_read_b64 v[18:19], v18 offset:5200
	s_waitcnt lgkmcnt(0)
	v_mul_f32_e32 v21, v16, v19
	v_mul_f32_e32 v20, v17, v19
	v_fma_f32 v19, v17, v18, -v21
	v_fmac_f32_e32 v20, v16, v18
	v_mov_b32_e32 v17, v19
	v_mov_b32_e32 v16, v20
	ds_write_b64 v13, v[19:20]
.LBB167_216:
	s_or_b64 exec, exec, s[14:15]
	v_cmp_lt_u32_e64 s[14:15], 2, v14
	;; [unrolled: 36-line block ×5, first 2 shown]
	s_and_b64 s[86:87], s[14:15], s[6:7]
	s_waitcnt lgkmcnt(0)
	s_barrier
	s_and_saveexec_b64 s[14:15], s[86:87]
	s_cbranch_execz .LBB167_230
; %bb.229:
	ds_read_b64 v[18:19], v12 offset:6720
	ds_read_b64 v[20:21], v13
	s_waitcnt lgkmcnt(0)
	v_mul_f32_e32 v22, v21, v19
	v_mul_f32_e32 v19, v20, v19
	v_fma_f32 v20, v20, v18, -v22
	v_fmac_f32_e32 v19, v21, v18
	v_add_f32_e32 v17, v17, v20
	v_add_f32_e32 v16, v16, v19
.LBB167_230:
	s_or_b64 exec, exec, s[14:15]
	v_cmp_eq_u32_e64 s[14:15], 6, v14
	s_and_b64 s[88:89], s[14:15], s[6:7]
	s_barrier
	s_and_saveexec_b64 s[14:15], s[88:89]
	s_cbranch_execz .LBB167_232
; %bb.231:
	v_mov_b32_e32 v18, 0
	ds_read_b64 v[18:19], v18 offset:7280
	s_waitcnt lgkmcnt(0)
	v_mul_f32_e32 v21, v16, v19
	v_mul_f32_e32 v20, v17, v19
	v_fma_f32 v19, v17, v18, -v21
	v_fmac_f32_e32 v20, v16, v18
	v_mov_b32_e32 v17, v19
	v_mov_b32_e32 v16, v20
	ds_write_b64 v13, v[19:20]
.LBB167_232:
	s_or_b64 exec, exec, s[14:15]
	v_cmp_eq_u32_e64 s[14:15], 7, v14
	s_and_b64 s[62:63], s[14:15], s[6:7]
	s_waitcnt lgkmcnt(0)
	s_barrier
	s_and_saveexec_b64 s[6:7], s[62:63]
	s_cbranch_execz .LBB167_234
; %bb.233:
	v_mov_b32_e32 v18, 0
	ds_read_b64 v[18:19], v18 offset:7288
	ds_read_b64 v[20:21], v13
	s_waitcnt lgkmcnt(0)
	v_mul_f32_e32 v22, v21, v19
	v_mul_f32_e32 v19, v20, v19
	v_fma_f32 v20, v20, v18, -v22
	v_fmac_f32_e32 v19, v21, v18
	v_add_f32_e32 v17, v17, v20
	v_add_f32_e32 v16, v16, v19
.LBB167_234:
	s_or_b64 exec, exec, s[6:7]
	s_barrier
	s_and_saveexec_b64 s[6:7], s[62:63]
	s_cbranch_execz .LBB167_236
; %bb.235:
	v_mov_b32_e32 v18, 0
	ds_read_b64 v[18:19], v18 offset:7800
	s_waitcnt lgkmcnt(0)
	v_mul_f32_e32 v21, v16, v19
	v_mul_f32_e32 v20, v17, v19
	v_fma_f32 v19, v17, v18, -v21
	v_fmac_f32_e32 v20, v16, v18
	v_mov_b32_e32 v17, v19
	v_mov_b32_e32 v16, v20
	ds_write_b64 v13, v[19:20]
.LBB167_236:
	s_or_b64 exec, exec, s[6:7]
	s_waitcnt lgkmcnt(0)
	s_barrier
	s_barrier
	s_and_saveexec_b64 s[6:7], s[12:13]
; %bb.237:
	v_xor_b32_e32 v18, 0x80000000, v16
	v_xor_b32_e32 v17, 0x80000000, v17
	ds_write_b64 v11, v[17:18] offset:64
; %bb.238:
	s_or_b64 exec, exec, s[6:7]
	v_cmp_gt_u32_e64 s[14:15], 8, v0
	s_and_b64 s[90:91], s[16:17], s[14:15]
	s_waitcnt lgkmcnt(0)
	s_barrier
	s_barrier
	s_and_saveexec_b64 s[6:7], s[90:91]
	s_cbranch_execz .LBB167_240
; %bb.239:
	v_lshlrev_b32_e32 v18, 9, v0
	ds_read_b64 v[16:17], v18 offset:64
	s_movk_i32 s14, 0xfe08
	v_mad_i32_i24 v19, v0, s14, v18
	s_waitcnt lgkmcnt(0)
	ds_write_b64 v19, v[16:17] offset:4096
	ds_read_b64 v[16:17], v18 offset:72
	s_waitcnt lgkmcnt(0)
	ds_write_b64 v19, v[16:17] offset:4608
	ds_read_b64 v[16:17], v18 offset:80
	;; [unrolled: 3-line block ×7, first 2 shown]
	s_waitcnt lgkmcnt(0)
	ds_write_b64 v19, v[16:17] offset:7680
.LBB167_240:
	s_or_b64 exec, exec, s[6:7]
	s_waitcnt lgkmcnt(0)
	s_barrier
	s_and_saveexec_b64 s[6:7], vcc
	s_cbranch_execz .LBB167_242
; %bb.241:
	v_mov_b32_e32 v20, 0
	ds_read_b128 v[16:19], v20 offset:4160
	ds_read_b64 v[20:21], v20 offset:4680
	s_movk_i32 s14, 0x1000
	s_waitcnt lgkmcnt(0)
	v_mul_f32_e32 v22, v21, v17
	v_mul_f32_e32 v23, v20, v17
	v_fma_f32 v20, v20, v16, -v22
	v_fmac_f32_e32 v23, v21, v16
	v_mul_f32_e32 v16, v23, v19
	v_mul_f32_e32 v17, v20, v19
	v_fma_f32 v16, v20, v18, -v16
	v_fmac_f32_e32 v17, v23, v18
	v_add_u32_e64 v18, s14, 0
	ds_write2_b64 v18, v[16:17], v[16:17] offset0:9 offset1:72
.LBB167_242:
	s_or_b64 exec, exec, s[6:7]
	v_mov_b32_e32 v16, 0
	v_mov_b32_e32 v17, 0
	s_waitcnt lgkmcnt(0)
	s_barrier
	s_and_saveexec_b64 s[6:7], s[22:23]
	s_cbranch_execz .LBB167_246
; %bb.243:
	v_mul_u32_u24_e32 v18, 0x208, v5
	ds_read_b64 v[16:17], v3 offset:4176
	ds_read_b64 v[18:19], v18 offset:4160
	v_cmp_gt_u32_e64 s[14:15], 2, v1
	s_waitcnt lgkmcnt(0)
	v_mul_f32_e32 v20, v19, v17
	v_mul_f32_e32 v17, v18, v17
	v_fma_f32 v18, v18, v16, -v20
	v_fmac_f32_e32 v17, v19, v16
	v_add_f32_e32 v16, 0, v18
	v_add_f32_e32 v18, 0, v17
	s_and_saveexec_b64 s[18:19], s[14:15]
	s_cbranch_execz .LBB167_245
; %bb.244:
	v_lshlrev_b32_e32 v17, 3, v0
	v_mov_b32_e32 v21, 0
	ds_read_b64 v[19:20], v17 offset:4688
	ds_read_b64 v[21:22], v21 offset:4168
	s_waitcnt lgkmcnt(0)
	v_mul_f32_e32 v17, v22, v20
	v_mul_f32_e32 v20, v21, v20
	v_fma_f32 v17, v21, v19, -v17
	v_fmac_f32_e32 v20, v22, v19
	v_add_f32_e32 v16, v16, v17
	v_add_f32_e32 v18, v18, v20
.LBB167_245:
	s_or_b64 exec, exec, s[18:19]
	v_xor_b32_e32 v17, 0x80000000, v16
	v_xor_b32_e32 v16, 0x80000000, v18
.LBB167_246:
	s_or_b64 exec, exec, s[6:7]
	s_and_saveexec_b64 s[6:7], s[44:45]
	s_cbranch_execz .LBB167_248
; %bb.247:
	v_mov_b32_e32 v18, 0
	ds_read_b64 v[18:19], v18 offset:5200
	s_waitcnt lgkmcnt(0)
	v_mul_f32_e32 v21, v16, v19
	v_mul_f32_e32 v20, v17, v19
	v_fma_f32 v19, v17, v18, -v21
	v_fmac_f32_e32 v20, v16, v18
	v_mov_b32_e32 v17, v19
	v_mov_b32_e32 v16, v20
	ds_write_b64 v4, v[19:20]
.LBB167_248:
	s_or_b64 exec, exec, s[6:7]
	s_waitcnt lgkmcnt(0)
	s_barrier
	s_and_saveexec_b64 s[6:7], s[42:43]
	s_cbranch_execz .LBB167_250
; %bb.249:
	v_mov_b32_e32 v18, 0
	ds_read_b64 v[18:19], v18 offset:5208
	ds_read_b64 v[20:21], v4
	s_waitcnt lgkmcnt(0)
	v_mul_f32_e32 v22, v21, v19
	v_mul_f32_e32 v19, v20, v19
	v_fma_f32 v20, v20, v18, -v22
	v_fmac_f32_e32 v19, v21, v18
	v_add_f32_e32 v17, v17, v20
	v_add_f32_e32 v16, v16, v19
.LBB167_250:
	s_or_b64 exec, exec, s[6:7]
	s_barrier
	s_and_saveexec_b64 s[6:7], s[42:43]
	s_cbranch_execz .LBB167_252
; %bb.251:
	v_mov_b32_e32 v18, 0
	ds_read_b64 v[18:19], v18 offset:5720
	s_waitcnt lgkmcnt(0)
	v_mul_f32_e32 v21, v16, v19
	v_mul_f32_e32 v20, v17, v19
	v_fma_f32 v19, v17, v18, -v21
	v_fmac_f32_e32 v20, v16, v18
	v_mov_b32_e32 v17, v19
	v_mov_b32_e32 v16, v20
	ds_write_b64 v4, v[19:20]
.LBB167_252:
	s_or_b64 exec, exec, s[6:7]
	s_waitcnt lgkmcnt(0)
	s_barrier
	s_barrier
	s_and_saveexec_b64 s[6:7], s[22:23]
; %bb.253:
	v_xor_b32_e32 v18, 0x80000000, v16
	v_xor_b32_e32 v17, 0x80000000, v17
	ds_write_b64 v3, v[17:18] offset:4176
; %bb.254:
	s_or_b64 exec, exec, s[6:7]
	s_waitcnt lgkmcnt(0)
	s_barrier
	s_barrier
	s_and_saveexec_b64 s[6:7], s[46:47]
	s_cbranch_execz .LBB167_256
; %bb.255:
	v_lshlrev_b32_e32 v18, 3, v0
	s_movk_i32 s14, 0x1f8
	v_mad_u32_u24 v19, v0, s14, v18
	ds_read_b64 v[16:17], v19 offset:4176
	s_waitcnt lgkmcnt(0)
	ds_write_b64 v18, v[16:17] offset:5184
	ds_read_b64 v[16:17], v19 offset:4184
	s_waitcnt lgkmcnt(0)
	ds_write_b64 v18, v[16:17] offset:5696
.LBB167_256:
	s_or_b64 exec, exec, s[6:7]
	s_waitcnt lgkmcnt(0)
	s_barrier
	s_and_saveexec_b64 s[6:7], vcc
	s_cbranch_execz .LBB167_258
; %bb.257:
	v_mov_b32_e32 v20, 0
	ds_read_b128 v[16:19], v20 offset:5200
	ds_read_b64 v[20:21], v20 offset:5720
	s_movk_i32 s14, 0x1000
	s_waitcnt lgkmcnt(0)
	v_mul_f32_e32 v22, v21, v17
	v_mul_f32_e32 v23, v20, v17
	v_fma_f32 v20, v20, v16, -v22
	v_fmac_f32_e32 v23, v21, v16
	v_mul_f32_e32 v16, v23, v19
	v_mul_f32_e32 v17, v20, v19
	v_fma_f32 v16, v20, v18, -v16
	v_fmac_f32_e32 v17, v23, v18
	v_add_u32_e64 v18, s14, 0
	ds_write2_b64 v18, v[16:17], v[16:17] offset0:139 offset1:202
.LBB167_258:
	s_or_b64 exec, exec, s[6:7]
	v_mov_b32_e32 v16, 0
	v_mov_b32_e32 v17, 0
	s_waitcnt lgkmcnt(0)
	s_barrier
	s_and_saveexec_b64 s[6:7], s[10:11]
	s_cbranch_execz .LBB167_264
; %bb.259:
	v_mul_u32_u24_e32 v17, 0x208, v10
	ds_read_b64 v[18:19], v6 offset:4192
	ds_read_b64 v[20:21], v17 offset:4160
	v_cmp_gt_u32_e64 s[14:15], 12, v1
	s_waitcnt lgkmcnt(0)
	v_mul_f32_e32 v16, v21, v19
	v_mul_f32_e32 v19, v20, v19
	v_fma_f32 v16, v20, v18, -v16
	v_fmac_f32_e32 v19, v21, v18
	v_add_f32_e32 v16, 0, v16
	v_add_f32_e32 v18, 0, v19
	s_and_saveexec_b64 s[18:19], s[14:15]
	s_cbranch_execnz .LBB167_1124
; %bb.260:
	s_or_b64 exec, exec, s[18:19]
	v_cmp_gt_u32_e64 s[14:15], 8, v1
	s_and_saveexec_b64 s[18:19], s[14:15]
	s_cbranch_execnz .LBB167_1125
.LBB167_261:
	s_or_b64 exec, exec, s[18:19]
	v_cmp_gt_u32_e64 s[14:15], 4, v1
	s_and_saveexec_b64 s[18:19], s[14:15]
	s_cbranch_execz .LBB167_263
.LBB167_262:
	v_lshlrev_b32_e32 v17, 3, v0
	v_mov_b32_e32 v21, 0
	ds_read_b64 v[19:20], v17 offset:5728
	ds_read_b64 v[21:22], v21 offset:4184
	s_waitcnt lgkmcnt(0)
	v_mul_f32_e32 v17, v22, v20
	v_mul_f32_e32 v20, v21, v20
	v_fma_f32 v17, v21, v19, -v17
	v_fmac_f32_e32 v20, v22, v19
	v_add_f32_e32 v16, v16, v17
	v_add_f32_e32 v18, v18, v20
.LBB167_263:
	s_or_b64 exec, exec, s[18:19]
	v_xor_b32_e32 v17, 0x80000000, v16
	v_xor_b32_e32 v16, 0x80000000, v18
.LBB167_264:
	s_or_b64 exec, exec, s[6:7]
	s_and_saveexec_b64 s[6:7], s[50:51]
	s_cbranch_execz .LBB167_266
; %bb.265:
	v_mov_b32_e32 v18, 0
	ds_read_b64 v[18:19], v18 offset:6240
	s_waitcnt lgkmcnt(0)
	v_mul_f32_e32 v21, v16, v19
	v_mul_f32_e32 v20, v17, v19
	v_fma_f32 v19, v17, v18, -v21
	v_fmac_f32_e32 v20, v16, v18
	v_mov_b32_e32 v17, v19
	v_mov_b32_e32 v16, v20
	ds_write_b64 v8, v[19:20]
.LBB167_266:
	s_or_b64 exec, exec, s[6:7]
	s_waitcnt lgkmcnt(0)
	s_barrier
	s_and_saveexec_b64 s[6:7], s[52:53]
	s_cbranch_execz .LBB167_268
; %bb.267:
	ds_read_b64 v[18:19], v7 offset:6240
	ds_read_b64 v[20:21], v8
	s_waitcnt lgkmcnt(0)
	v_mul_f32_e32 v22, v21, v19
	v_mul_f32_e32 v19, v20, v19
	v_fma_f32 v20, v20, v18, -v22
	v_fmac_f32_e32 v19, v21, v18
	v_add_f32_e32 v17, v17, v20
	v_add_f32_e32 v16, v16, v19
.LBB167_268:
	s_or_b64 exec, exec, s[6:7]
	s_barrier
	s_and_saveexec_b64 s[6:7], s[54:55]
	s_cbranch_execz .LBB167_270
; %bb.269:
	v_mov_b32_e32 v18, 0
	ds_read_b64 v[18:19], v18 offset:6760
	s_waitcnt lgkmcnt(0)
	v_mul_f32_e32 v21, v16, v19
	v_mul_f32_e32 v20, v17, v19
	v_fma_f32 v19, v17, v18, -v21
	v_fmac_f32_e32 v20, v16, v18
	v_mov_b32_e32 v17, v19
	v_mov_b32_e32 v16, v20
	ds_write_b64 v8, v[19:20]
.LBB167_270:
	s_or_b64 exec, exec, s[6:7]
	s_waitcnt lgkmcnt(0)
	s_barrier
	s_and_saveexec_b64 s[6:7], s[56:57]
	s_cbranch_execz .LBB167_272
; %bb.271:
	ds_read_b64 v[18:19], v7 offset:6752
	ds_read_b64 v[20:21], v8
	s_waitcnt lgkmcnt(0)
	v_mul_f32_e32 v22, v21, v19
	v_mul_f32_e32 v19, v20, v19
	v_fma_f32 v20, v20, v18, -v22
	v_fmac_f32_e32 v19, v21, v18
	v_add_f32_e32 v17, v17, v20
	v_add_f32_e32 v16, v16, v19
.LBB167_272:
	s_or_b64 exec, exec, s[6:7]
	s_barrier
	s_and_saveexec_b64 s[6:7], s[58:59]
	s_cbranch_execz .LBB167_274
; %bb.273:
	v_mov_b32_e32 v18, 0
	ds_read_b64 v[18:19], v18 offset:7280
	s_waitcnt lgkmcnt(0)
	v_mul_f32_e32 v21, v16, v19
	v_mul_f32_e32 v20, v17, v19
	v_fma_f32 v19, v17, v18, -v21
	v_fmac_f32_e32 v20, v16, v18
	v_mov_b32_e32 v17, v19
	v_mov_b32_e32 v16, v20
	ds_write_b64 v8, v[19:20]
.LBB167_274:
	s_or_b64 exec, exec, s[6:7]
	s_waitcnt lgkmcnt(0)
	s_barrier
	s_and_saveexec_b64 s[6:7], s[48:49]
	s_cbranch_execz .LBB167_276
; %bb.275:
	v_mov_b32_e32 v18, 0
	ds_read_b64 v[18:19], v18 offset:7288
	ds_read_b64 v[20:21], v8
	s_waitcnt lgkmcnt(0)
	v_mul_f32_e32 v22, v21, v19
	v_mul_f32_e32 v19, v20, v19
	v_fma_f32 v20, v20, v18, -v22
	v_fmac_f32_e32 v19, v21, v18
	v_add_f32_e32 v17, v17, v20
	v_add_f32_e32 v16, v16, v19
.LBB167_276:
	s_or_b64 exec, exec, s[6:7]
	s_barrier
	s_and_saveexec_b64 s[6:7], s[48:49]
	s_cbranch_execz .LBB167_278
; %bb.277:
	v_mov_b32_e32 v18, 0
	ds_read_b64 v[18:19], v18 offset:7800
	s_waitcnt lgkmcnt(0)
	v_mul_f32_e32 v21, v16, v19
	v_mul_f32_e32 v20, v17, v19
	v_fma_f32 v19, v17, v18, -v21
	v_fmac_f32_e32 v20, v16, v18
	v_mov_b32_e32 v17, v19
	v_mov_b32_e32 v16, v20
	ds_write_b64 v8, v[19:20]
.LBB167_278:
	s_or_b64 exec, exec, s[6:7]
	s_waitcnt lgkmcnt(0)
	s_barrier
	s_barrier
	s_and_saveexec_b64 s[6:7], s[10:11]
; %bb.279:
	v_xor_b32_e32 v17, 0x80000000, v17
	v_xor_b32_e32 v18, 0x80000000, v16
	ds_write_b64 v6, v[17:18] offset:4192
; %bb.280:
	s_or_b64 exec, exec, s[6:7]
	s_waitcnt lgkmcnt(0)
	s_barrier
	s_barrier
	s_and_saveexec_b64 s[6:7], s[60:61]
	s_cbranch_execz .LBB167_282
; %bb.281:
	v_lshlrev_b32_e32 v18, 9, v0
	ds_read_b64 v[16:17], v18 offset:4192
	s_movk_i32 s14, 0xfe08
	v_mad_i32_i24 v19, v0, s14, v18
	s_waitcnt lgkmcnt(0)
	ds_write_b64 v19, v[16:17] offset:6208
	ds_read_b64 v[16:17], v18 offset:4200
	s_waitcnt lgkmcnt(0)
	ds_write_b64 v19, v[16:17] offset:6720
	ds_read_b64 v[16:17], v18 offset:4208
	s_waitcnt lgkmcnt(0)
	ds_write_b64 v19, v[16:17] offset:7232
	ds_read_b64 v[16:17], v18 offset:4216
	s_waitcnt lgkmcnt(0)
	ds_write_b64 v19, v[16:17] offset:7744
.LBB167_282:
	s_or_b64 exec, exec, s[6:7]
	s_waitcnt lgkmcnt(0)
	s_barrier
	s_and_saveexec_b64 s[6:7], vcc
	s_cbranch_execz .LBB167_284
; %bb.283:
	v_mov_b32_e32 v20, 0
	ds_read_b128 v[16:19], v20 offset:6240
	ds_read_b64 v[20:21], v20 offset:6760
	s_movk_i32 s14, 0x1800
	s_waitcnt lgkmcnt(0)
	v_mul_f32_e32 v22, v21, v17
	v_mul_f32_e32 v23, v20, v17
	v_fma_f32 v20, v20, v16, -v22
	v_fmac_f32_e32 v23, v21, v16
	v_mul_f32_e32 v16, v23, v19
	v_mul_f32_e32 v17, v20, v19
	v_fma_f32 v16, v20, v18, -v16
	v_fmac_f32_e32 v17, v23, v18
	v_add_u32_e64 v18, s14, 0
	ds_write2_b64 v18, v[16:17], v[16:17] offset0:13 offset1:76
.LBB167_284:
	s_or_b64 exec, exec, s[6:7]
	v_mov_b32_e32 v16, 0
	v_mov_b32_e32 v17, 0
	s_waitcnt lgkmcnt(0)
	s_barrier
	s_and_saveexec_b64 s[6:7], s[22:23]
	s_cbranch_execz .LBB167_288
; %bb.285:
	v_mul_u32_u24_e32 v18, 0x208, v5
	ds_read_b64 v[16:17], v3 offset:6256
	ds_read_b64 v[18:19], v18 offset:6240
	v_cmp_gt_u32_e64 s[14:15], 2, v1
	s_waitcnt lgkmcnt(0)
	v_mul_f32_e32 v20, v19, v17
	v_mul_f32_e32 v17, v18, v17
	v_fma_f32 v18, v18, v16, -v20
	v_fmac_f32_e32 v17, v19, v16
	v_add_f32_e32 v16, 0, v18
	v_add_f32_e32 v18, 0, v17
	s_and_saveexec_b64 s[18:19], s[14:15]
	s_cbranch_execz .LBB167_287
; %bb.286:
	v_lshlrev_b32_e32 v17, 3, v0
	v_mov_b32_e32 v21, 0
	ds_read_b64 v[19:20], v17 offset:6768
	ds_read_b64 v[21:22], v21 offset:6248
	s_waitcnt lgkmcnt(0)
	v_mul_f32_e32 v17, v22, v20
	v_mul_f32_e32 v20, v21, v20
	v_fma_f32 v17, v21, v19, -v17
	v_fmac_f32_e32 v20, v22, v19
	v_add_f32_e32 v16, v16, v17
	v_add_f32_e32 v18, v18, v20
.LBB167_287:
	s_or_b64 exec, exec, s[18:19]
	v_xor_b32_e32 v17, 0x80000000, v16
	v_xor_b32_e32 v16, 0x80000000, v18
.LBB167_288:
	s_or_b64 exec, exec, s[6:7]
	s_and_saveexec_b64 s[6:7], s[44:45]
	s_cbranch_execz .LBB167_290
; %bb.289:
	v_mov_b32_e32 v18, 0
	ds_read_b64 v[18:19], v18 offset:7280
	s_waitcnt lgkmcnt(0)
	v_mul_f32_e32 v21, v16, v19
	v_mul_f32_e32 v20, v17, v19
	v_fma_f32 v19, v17, v18, -v21
	v_fmac_f32_e32 v20, v16, v18
	v_mov_b32_e32 v17, v19
	v_mov_b32_e32 v16, v20
	ds_write_b64 v4, v[19:20]
.LBB167_290:
	s_or_b64 exec, exec, s[6:7]
	s_waitcnt lgkmcnt(0)
	s_barrier
	s_and_saveexec_b64 s[6:7], s[42:43]
	s_cbranch_execz .LBB167_292
; %bb.291:
	v_mov_b32_e32 v18, 0
	ds_read_b64 v[18:19], v18 offset:7288
	ds_read_b64 v[20:21], v4
	s_waitcnt lgkmcnt(0)
	v_mul_f32_e32 v22, v21, v19
	v_mul_f32_e32 v19, v20, v19
	v_fma_f32 v20, v20, v18, -v22
	v_fmac_f32_e32 v19, v21, v18
	v_add_f32_e32 v17, v17, v20
	v_add_f32_e32 v16, v16, v19
.LBB167_292:
	s_or_b64 exec, exec, s[6:7]
	s_barrier
	s_and_saveexec_b64 s[6:7], s[42:43]
	s_cbranch_execz .LBB167_294
; %bb.293:
	v_mov_b32_e32 v18, 0
	ds_read_b64 v[18:19], v18 offset:7800
	s_waitcnt lgkmcnt(0)
	v_mul_f32_e32 v21, v16, v19
	v_mul_f32_e32 v20, v17, v19
	v_fma_f32 v19, v17, v18, -v21
	v_fmac_f32_e32 v20, v16, v18
	v_mov_b32_e32 v17, v19
	v_mov_b32_e32 v16, v20
	ds_write_b64 v4, v[19:20]
.LBB167_294:
	s_or_b64 exec, exec, s[6:7]
	s_waitcnt lgkmcnt(0)
	s_barrier
	s_barrier
	s_and_saveexec_b64 s[6:7], s[22:23]
; %bb.295:
	v_xor_b32_e32 v18, 0x80000000, v16
	v_xor_b32_e32 v17, 0x80000000, v17
	ds_write_b64 v3, v[17:18] offset:6256
; %bb.296:
	s_or_b64 exec, exec, s[6:7]
	s_waitcnt lgkmcnt(0)
	s_barrier
	s_barrier
	s_and_saveexec_b64 s[6:7], s[46:47]
	s_cbranch_execz .LBB167_298
; %bb.297:
	v_lshlrev_b32_e32 v18, 3, v0
	s_movk_i32 s14, 0x1f8
	v_mad_u32_u24 v19, v0, s14, v18
	ds_read_b64 v[16:17], v19 offset:6256
	s_waitcnt lgkmcnt(0)
	ds_write_b64 v18, v[16:17] offset:7264
	ds_read_b64 v[16:17], v19 offset:6264
	s_waitcnt lgkmcnt(0)
	ds_write_b64 v18, v[16:17] offset:7776
.LBB167_298:
	s_or_b64 exec, exec, s[6:7]
	s_waitcnt lgkmcnt(0)
	s_barrier
	s_and_saveexec_b64 s[6:7], vcc
	s_cbranch_execz .LBB167_300
; %bb.299:
	v_mov_b32_e32 v20, 0
	ds_read_b128 v[16:19], v20 offset:7280
	ds_read_b64 v[20:21], v20 offset:7800
	s_movk_i32 s14, 0x1800
	s_waitcnt lgkmcnt(0)
	v_mul_f32_e32 v22, v21, v17
	v_mul_f32_e32 v23, v20, v17
	v_fma_f32 v20, v20, v16, -v22
	v_fmac_f32_e32 v23, v21, v16
	v_mul_f32_e32 v16, v23, v19
	v_mul_f32_e32 v17, v20, v19
	v_fma_f32 v16, v20, v18, -v16
	v_fmac_f32_e32 v17, v23, v18
	v_add_u32_e64 v18, s14, 0
	ds_write2_b64 v18, v[16:17], v[16:17] offset0:143 offset1:206
.LBB167_300:
	s_or_b64 exec, exec, s[6:7]
	v_lshrrev_b32_e32 v20, 4, v1
	v_and_b32_e32 v17, 15, v0
	s_movk_i32 s6, 0xff
	v_lshlrev_b32_e32 v19, 6, v20
	v_cmp_lt_u32_e64 s[18:19], s6, v1
	s_movk_i32 s6, 0x100
	v_or_b32_e32 v16, v19, v17
	v_cmp_gt_u32_e64 s[14:15], s6, v1
	v_lshlrev_b32_e32 v16, 3, v16
	v_mov_b32_e32 v21, 0
	v_mov_b32_e32 v22, 0
	s_waitcnt lgkmcnt(0)
	s_barrier
	s_and_saveexec_b64 s[6:7], s[14:15]
	s_cbranch_execz .LBB167_328
; %bb.301:
	v_mul_u32_u24_e32 v22, 0x208, v20
	ds_read_b64 v[23:24], v16 offset:128
	ds_read_b64 v[25:26], v22
	s_movk_i32 s20, 0xf0
	v_cmp_gt_u32_e64 s[20:21], s20, v1
	s_waitcnt lgkmcnt(0)
	v_mul_f32_e32 v18, v26, v24
	v_mul_f32_e32 v21, v25, v24
	v_fma_f32 v18, v25, v23, -v18
	v_fmac_f32_e32 v21, v26, v23
	v_add_f32_e32 v18, 0, v18
	v_add_f32_e32 v21, 0, v21
	s_and_saveexec_b64 s[24:25], s[20:21]
	s_cbranch_execz .LBB167_303
; %bb.302:
	v_lshlrev_b32_e32 v23, 3, v20
	v_sub_u32_e32 v23, v22, v23
	v_lshl_add_u32 v23, v17, 3, v23
	ds_read_b64 v[23:24], v23 offset:640
	ds_read_b64 v[25:26], v22 offset:8
	s_waitcnt lgkmcnt(0)
	v_mul_f32_e32 v27, v26, v24
	v_mul_f32_e32 v24, v25, v24
	v_fma_f32 v25, v25, v23, -v27
	v_fmac_f32_e32 v24, v26, v23
	v_add_f32_e32 v18, v18, v25
	v_add_f32_e32 v21, v21, v24
.LBB167_303:
	s_or_b64 exec, exec, s[24:25]
	s_movk_i32 s20, 0xe0
	v_cmp_gt_u32_e64 s[20:21], s20, v1
	s_and_saveexec_b64 s[24:25], s[20:21]
	s_cbranch_execz .LBB167_305
; %bb.304:
	v_lshlrev_b32_e32 v23, 3, v20
	v_sub_u32_e32 v23, v22, v23
	v_lshl_add_u32 v23, v17, 3, v23
	ds_read_b64 v[23:24], v23 offset:1152
	ds_read_b64 v[25:26], v22 offset:16
	s_waitcnt lgkmcnt(0)
	v_mul_f32_e32 v27, v26, v24
	v_mul_f32_e32 v24, v25, v24
	v_fma_f32 v25, v25, v23, -v27
	v_fmac_f32_e32 v24, v26, v23
	v_add_f32_e32 v18, v18, v25
	v_add_f32_e32 v21, v21, v24
.LBB167_305:
	s_or_b64 exec, exec, s[24:25]
	s_movk_i32 s20, 0xd0
	v_cmp_gt_u32_e64 s[20:21], s20, v1
	;; [unrolled: 19-line block ×7, first 2 shown]
	s_and_saveexec_b64 s[24:25], s[20:21]
	s_cbranch_execz .LBB167_317
; %bb.316:
	ds_read_b64 v[23:24], v16 offset:4224
	ds_read_b64 v[25:26], v22 offset:64
	s_waitcnt lgkmcnt(0)
	v_mul_f32_e32 v27, v26, v24
	v_mul_f32_e32 v24, v25, v24
	v_fma_f32 v25, v25, v23, -v27
	v_fmac_f32_e32 v24, v26, v23
	v_add_f32_e32 v18, v18, v25
	v_add_f32_e32 v21, v21, v24
.LBB167_317:
	s_or_b64 exec, exec, s[24:25]
	s_movk_i32 s20, 0x70
	v_cmp_gt_u32_e64 s[20:21], s20, v1
	s_and_saveexec_b64 s[24:25], s[20:21]
	s_cbranch_execz .LBB167_319
; %bb.318:
	v_lshlrev_b32_e32 v23, 3, v17
	v_lshl_add_u32 v23, v19, 3, v23
	ds_read_b64 v[23:24], v23 offset:4736
	ds_read_b64 v[25:26], v22 offset:72
	s_waitcnt lgkmcnt(0)
	v_mul_f32_e32 v27, v26, v24
	v_mul_f32_e32 v24, v25, v24
	v_fma_f32 v25, v25, v23, -v27
	v_fmac_f32_e32 v24, v26, v23
	v_add_f32_e32 v18, v18, v25
	v_add_f32_e32 v21, v21, v24
.LBB167_319:
	s_or_b64 exec, exec, s[24:25]
	s_movk_i32 s20, 0x60
	v_cmp_gt_u32_e64 s[20:21], s20, v1
	s_and_saveexec_b64 s[24:25], s[20:21]
	s_cbranch_execz .LBB167_321
; %bb.320:
	v_lshlrev_b32_e32 v23, 3, v17
	v_lshl_add_u32 v23, v19, 3, v23
	ds_read_b64 v[23:24], v23 offset:5248
	ds_read_b64 v[25:26], v22 offset:80
	s_waitcnt lgkmcnt(0)
	v_mul_f32_e32 v27, v26, v24
	v_mul_f32_e32 v24, v25, v24
	v_fma_f32 v25, v25, v23, -v27
	v_fmac_f32_e32 v24, v26, v23
	v_add_f32_e32 v18, v18, v25
	v_add_f32_e32 v21, v21, v24
.LBB167_321:
	s_or_b64 exec, exec, s[24:25]
	s_movk_i32 s20, 0x50
	v_cmp_gt_u32_e64 s[20:21], s20, v1
	s_and_saveexec_b64 s[24:25], s[20:21]
	s_cbranch_execnz .LBB167_1126
; %bb.322:
	s_or_b64 exec, exec, s[24:25]
	v_cmp_gt_u32_e64 s[20:21], 64, v1
	s_and_saveexec_b64 s[24:25], s[20:21]
	s_cbranch_execnz .LBB167_1127
.LBB167_323:
	s_or_b64 exec, exec, s[24:25]
	v_cmp_gt_u32_e64 s[20:21], 48, v1
	s_and_saveexec_b64 s[24:25], s[20:21]
	s_cbranch_execnz .LBB167_1128
.LBB167_324:
	s_or_b64 exec, exec, s[24:25]
	v_cmp_gt_u32_e64 s[20:21], 32, v1
	s_and_saveexec_b64 s[24:25], s[20:21]
	s_cbranch_execnz .LBB167_1129
.LBB167_325:
	s_or_b64 exec, exec, s[24:25]
	v_cmp_gt_u32_e64 s[20:21], 16, v1
	s_and_saveexec_b64 s[24:25], s[20:21]
	s_cbranch_execz .LBB167_327
.LBB167_326:
	v_lshlrev_b32_e32 v22, 3, v0
	v_mov_b32_e32 v24, 0
	ds_read_b64 v[22:23], v22 offset:7808
	ds_read_b64 v[24:25], v24 offset:120
	s_waitcnt lgkmcnt(0)
	v_mul_f32_e32 v26, v25, v23
	v_mul_f32_e32 v23, v24, v23
	v_fma_f32 v24, v24, v22, -v26
	v_fmac_f32_e32 v23, v25, v22
	v_add_f32_e32 v18, v18, v24
	v_add_f32_e32 v21, v21, v23
.LBB167_327:
	s_or_b64 exec, exec, s[24:25]
	v_xor_b32_e32 v22, 0x80000000, v18
	v_xor_b32_e32 v21, 0x80000000, v21
.LBB167_328:
	s_or_b64 exec, exec, s[6:7]
	v_mov_b32_e32 v18, 0x8000
	v_lshl_add_u32 v18, v20, 3, v18
	v_cmp_eq_u32_e64 s[20:21], 0, v17
	s_xor_b64 s[24:25], s[18:19], -1
	s_and_b64 s[18:19], s[20:21], s[24:25]
	s_mov_b64 s[6:7], exec
	v_writelane_b32 v34, s18, 5
	v_writelane_b32 v34, s19, 6
	s_and_b64 s[18:19], s[6:7], s[18:19]
	s_mov_b64 exec, s[18:19]
	s_cbranch_execz .LBB167_330
; %bb.329:
	v_mov_b32_e32 v23, 0
	ds_read_b64 v[23:24], v23 offset:8320
	s_waitcnt lgkmcnt(0)
	v_mul_f32_e32 v26, v21, v24
	v_mul_f32_e32 v25, v22, v24
	v_fma_f32 v24, v22, v23, -v26
	v_fmac_f32_e32 v25, v21, v23
	v_mov_b32_e32 v22, v24
	v_mov_b32_e32 v21, v25
	ds_write_b64 v18, v[24:25]
.LBB167_330:
	s_or_b64 exec, exec, s[6:7]
	v_cmp_ne_u32_e64 s[18:19], 0, v17
	s_waitcnt lgkmcnt(0)
	s_barrier
	s_and_b64 s[18:19], s[18:19], s[24:25]
	s_mov_b64 s[6:7], exec
	v_writelane_b32 v34, s18, 7
	v_writelane_b32 v34, s19, 8
	s_and_b64 s[18:19], s[6:7], s[18:19]
	s_mov_b64 exec, s[18:19]
	s_cbranch_execz .LBB167_332
; %bb.331:
	v_lshlrev_b32_e32 v23, 3, v17
	ds_read_b64 v[23:24], v23 offset:8320
	ds_read_b64 v[25:26], v18
	s_waitcnt lgkmcnt(0)
	v_mul_f32_e32 v27, v26, v24
	v_mul_f32_e32 v24, v25, v24
	v_fma_f32 v25, v25, v23, -v27
	v_fmac_f32_e32 v24, v26, v23
	v_add_f32_e32 v22, v22, v25
	v_add_f32_e32 v21, v21, v24
.LBB167_332:
	s_or_b64 exec, exec, s[6:7]
	v_cmp_eq_u32_e64 s[18:19], 1, v17
	s_barrier
	s_and_b64 s[18:19], s[18:19], s[24:25]
	s_mov_b64 s[6:7], exec
	v_writelane_b32 v34, s18, 9
	v_writelane_b32 v34, s19, 10
	s_and_b64 s[18:19], s[6:7], s[18:19]
	s_mov_b64 exec, s[18:19]
	s_cbranch_execz .LBB167_334
; %bb.333:
	v_mov_b32_e32 v23, 0
	ds_read_b64 v[23:24], v23 offset:8840
	s_waitcnt lgkmcnt(0)
	v_mul_f32_e32 v26, v21, v24
	v_mul_f32_e32 v25, v22, v24
	v_fma_f32 v24, v22, v23, -v26
	v_fmac_f32_e32 v25, v21, v23
	v_mov_b32_e32 v22, v24
	v_mov_b32_e32 v21, v25
	ds_write_b64 v18, v[24:25]
.LBB167_334:
	s_or_b64 exec, exec, s[6:7]
	v_cmp_lt_u32_e64 s[18:19], 1, v17
	s_waitcnt lgkmcnt(0)
	s_barrier
	s_and_b64 s[18:19], s[18:19], s[24:25]
	s_mov_b64 s[6:7], exec
	v_writelane_b32 v34, s18, 11
	v_writelane_b32 v34, s19, 12
	s_and_b64 s[18:19], s[6:7], s[18:19]
	s_mov_b64 exec, s[18:19]
	s_cbranch_execz .LBB167_336
; %bb.335:
	v_lshlrev_b32_e32 v23, 3, v17
	ds_read_b64 v[23:24], v23 offset:8832
	ds_read_b64 v[25:26], v18
	s_waitcnt lgkmcnt(0)
	v_mul_f32_e32 v27, v26, v24
	v_mul_f32_e32 v24, v25, v24
	v_fma_f32 v25, v25, v23, -v27
	v_fmac_f32_e32 v24, v26, v23
	v_add_f32_e32 v22, v22, v25
	v_add_f32_e32 v21, v21, v24
.LBB167_336:
	s_or_b64 exec, exec, s[6:7]
	v_cmp_eq_u32_e64 s[18:19], 2, v17
	s_barrier
	s_and_b64 s[18:19], s[18:19], s[24:25]
	s_mov_b64 s[6:7], exec
	v_writelane_b32 v34, s18, 13
	v_writelane_b32 v34, s19, 14
	s_and_b64 s[18:19], s[6:7], s[18:19]
	s_mov_b64 exec, s[18:19]
	s_cbranch_execz .LBB167_338
; %bb.337:
	v_mov_b32_e32 v23, 0
	ds_read_b64 v[23:24], v23 offset:9360
	s_waitcnt lgkmcnt(0)
	v_mul_f32_e32 v26, v21, v24
	v_mul_f32_e32 v25, v22, v24
	v_fma_f32 v24, v22, v23, -v26
	v_fmac_f32_e32 v25, v21, v23
	v_mov_b32_e32 v22, v24
	v_mov_b32_e32 v21, v25
	ds_write_b64 v18, v[24:25]
.LBB167_338:
	s_or_b64 exec, exec, s[6:7]
	v_cmp_lt_u32_e64 s[18:19], 2, v17
	;; [unrolled: 45-line block ×13, first 2 shown]
	s_waitcnt lgkmcnt(0)
	s_barrier
	s_and_b64 s[18:19], s[18:19], s[24:25]
	s_mov_b64 s[6:7], exec
	v_writelane_b32 v34, s18, 59
	v_writelane_b32 v34, s19, 60
	s_and_b64 s[18:19], s[6:7], s[18:19]
	s_mov_b64 exec, s[18:19]
	s_cbranch_execz .LBB167_384
; %bb.383:
	v_lshlrev_b32_e32 v23, 3, v17
	ds_read_b64 v[23:24], v23 offset:14976
	ds_read_b64 v[25:26], v18
	s_waitcnt lgkmcnt(0)
	v_mul_f32_e32 v27, v26, v24
	v_mul_f32_e32 v24, v25, v24
	v_fma_f32 v25, v25, v23, -v27
	v_fmac_f32_e32 v24, v26, v23
	v_add_f32_e32 v22, v22, v25
	v_add_f32_e32 v21, v21, v24
.LBB167_384:
	s_or_b64 exec, exec, s[6:7]
	v_cmp_eq_u32_e64 s[18:19], 14, v17
	s_and_b64 s[96:97], s[18:19], s[24:25]
	s_barrier
	s_and_saveexec_b64 s[6:7], s[96:97]
	s_cbranch_execz .LBB167_386
; %bb.385:
	v_mov_b32_e32 v23, 0
	ds_read_b64 v[23:24], v23 offset:15600
	s_waitcnt lgkmcnt(0)
	v_mul_f32_e32 v26, v21, v24
	v_mul_f32_e32 v25, v22, v24
	v_fma_f32 v24, v22, v23, -v26
	v_fmac_f32_e32 v25, v21, v23
	v_mov_b32_e32 v22, v24
	v_mov_b32_e32 v21, v25
	ds_write_b64 v18, v[24:25]
.LBB167_386:
	s_or_b64 exec, exec, s[6:7]
	v_cmp_eq_u32_e64 s[18:19], 15, v17
	s_and_b64 s[98:99], s[18:19], s[24:25]
	s_waitcnt lgkmcnt(0)
	s_barrier
	s_and_saveexec_b64 s[6:7], s[98:99]
	s_cbranch_execz .LBB167_388
; %bb.387:
	v_mov_b32_e32 v23, 0
	ds_read_b64 v[23:24], v23 offset:15608
	ds_read_b64 v[25:26], v18
	s_waitcnt lgkmcnt(0)
	v_mul_f32_e32 v27, v26, v24
	v_mul_f32_e32 v24, v25, v24
	v_fma_f32 v25, v25, v23, -v27
	v_fmac_f32_e32 v24, v26, v23
	v_add_f32_e32 v22, v22, v25
	v_add_f32_e32 v21, v21, v24
.LBB167_388:
	s_or_b64 exec, exec, s[6:7]
	s_barrier
	s_and_saveexec_b64 s[6:7], s[98:99]
	s_cbranch_execz .LBB167_390
; %bb.389:
	v_mov_b32_e32 v23, 0
	ds_read_b64 v[23:24], v23 offset:16120
	s_waitcnt lgkmcnt(0)
	v_mul_f32_e32 v26, v21, v24
	v_mul_f32_e32 v25, v22, v24
	v_fma_f32 v24, v22, v23, -v26
	v_fmac_f32_e32 v25, v21, v23
	v_mov_b32_e32 v22, v24
	v_mov_b32_e32 v21, v25
	ds_write_b64 v18, v[24:25]
.LBB167_390:
	s_or_b64 exec, exec, s[6:7]
	s_waitcnt lgkmcnt(0)
	s_barrier
	s_barrier
	s_and_saveexec_b64 s[6:7], s[14:15]
; %bb.391:
	v_xor_b32_e32 v22, 0x80000000, v22
	v_xor_b32_e32 v23, 0x80000000, v21
	ds_write_b64 v16, v[22:23] offset:128
; %bb.392:
	s_or_b64 exec, exec, s[6:7]
	v_cmp_gt_u32_e64 s[18:19], 16, v0
	s_and_b64 s[26:27], s[16:17], s[18:19]
	s_waitcnt lgkmcnt(0)
	s_barrier
	s_barrier
	s_and_saveexec_b64 s[6:7], s[26:27]
	s_cbranch_execz .LBB167_394
; %bb.393:
	v_lshlrev_b32_e32 v23, 9, v0
	ds_read_b64 v[21:22], v23 offset:128
	s_movk_i32 s18, 0xfe08
	v_mad_i32_i24 v24, v0, s18, v23
	s_waitcnt lgkmcnt(0)
	ds_write_b64 v24, v[21:22] offset:8192
	ds_read_b64 v[21:22], v23 offset:136
	s_waitcnt lgkmcnt(0)
	ds_write_b64 v24, v[21:22] offset:8704
	ds_read_b64 v[21:22], v23 offset:144
	;; [unrolled: 3-line block ×15, first 2 shown]
	s_waitcnt lgkmcnt(0)
	ds_write_b64 v24, v[21:22] offset:15872
.LBB167_394:
	s_or_b64 exec, exec, s[6:7]
	s_waitcnt lgkmcnt(0)
	s_barrier
	s_and_saveexec_b64 s[6:7], vcc
	s_cbranch_execz .LBB167_396
; %bb.395:
	v_mov_b32_e32 v25, 0
	ds_read_b128 v[21:24], v25 offset:8320
	ds_read_b64 v[25:26], v25 offset:8840
	s_movk_i32 s18, 0x2000
	s_waitcnt lgkmcnt(0)
	v_mul_f32_e32 v27, v26, v22
	v_mul_f32_e32 v28, v25, v22
	v_fma_f32 v25, v25, v21, -v27
	v_fmac_f32_e32 v28, v26, v21
	v_mul_f32_e32 v21, v28, v24
	v_mul_f32_e32 v22, v25, v24
	v_fma_f32 v21, v25, v23, -v21
	v_fmac_f32_e32 v22, v28, v23
	v_add_u32_e64 v23, s18, 0
	ds_write2_b64 v23, v[21:22], v[21:22] offset0:17 offset1:80
.LBB167_396:
	s_or_b64 exec, exec, s[6:7]
	v_mov_b32_e32 v21, 0
	v_mov_b32_e32 v22, 0
	s_waitcnt lgkmcnt(0)
	s_barrier
	s_and_saveexec_b64 s[6:7], s[22:23]
	s_cbranch_execz .LBB167_400
; %bb.397:
	v_mul_u32_u24_e32 v23, 0x208, v5
	ds_read_b64 v[21:22], v3 offset:8336
	ds_read_b64 v[23:24], v23 offset:8320
	v_cmp_gt_u32_e64 s[18:19], 2, v1
	s_waitcnt lgkmcnt(0)
	v_mul_f32_e32 v25, v24, v22
	v_mul_f32_e32 v22, v23, v22
	v_fma_f32 v23, v23, v21, -v25
	v_fmac_f32_e32 v22, v24, v21
	v_add_f32_e32 v21, 0, v23
	v_add_f32_e32 v23, 0, v22
	s_and_saveexec_b64 s[20:21], s[18:19]
	s_cbranch_execz .LBB167_399
; %bb.398:
	v_lshlrev_b32_e32 v22, 3, v0
	v_mov_b32_e32 v26, 0
	ds_read_b64 v[24:25], v22 offset:8848
	ds_read_b64 v[26:27], v26 offset:8328
	s_waitcnt lgkmcnt(0)
	v_mul_f32_e32 v22, v27, v25
	v_mul_f32_e32 v25, v26, v25
	v_fma_f32 v22, v26, v24, -v22
	v_fmac_f32_e32 v25, v27, v24
	v_add_f32_e32 v21, v21, v22
	v_add_f32_e32 v23, v23, v25
.LBB167_399:
	s_or_b64 exec, exec, s[20:21]
	v_xor_b32_e32 v22, 0x80000000, v21
	v_xor_b32_e32 v21, 0x80000000, v23
.LBB167_400:
	s_or_b64 exec, exec, s[6:7]
	s_and_saveexec_b64 s[6:7], s[44:45]
	s_cbranch_execz .LBB167_402
; %bb.401:
	v_mov_b32_e32 v23, 0
	ds_read_b64 v[23:24], v23 offset:9360
	s_waitcnt lgkmcnt(0)
	v_mul_f32_e32 v26, v21, v24
	v_mul_f32_e32 v25, v22, v24
	v_fma_f32 v24, v22, v23, -v26
	v_fmac_f32_e32 v25, v21, v23
	v_mov_b32_e32 v22, v24
	v_mov_b32_e32 v21, v25
	ds_write_b64 v4, v[24:25]
.LBB167_402:
	s_or_b64 exec, exec, s[6:7]
	s_waitcnt lgkmcnt(0)
	s_barrier
	s_and_saveexec_b64 s[6:7], s[42:43]
	s_cbranch_execz .LBB167_404
; %bb.403:
	v_mov_b32_e32 v23, 0
	ds_read_b64 v[23:24], v23 offset:9368
	ds_read_b64 v[25:26], v4
	s_waitcnt lgkmcnt(0)
	v_mul_f32_e32 v27, v26, v24
	v_mul_f32_e32 v24, v25, v24
	v_fma_f32 v25, v25, v23, -v27
	v_fmac_f32_e32 v24, v26, v23
	v_add_f32_e32 v22, v22, v25
	v_add_f32_e32 v21, v21, v24
.LBB167_404:
	s_or_b64 exec, exec, s[6:7]
	s_barrier
	s_and_saveexec_b64 s[6:7], s[42:43]
	s_cbranch_execz .LBB167_406
; %bb.405:
	v_mov_b32_e32 v23, 0
	ds_read_b64 v[23:24], v23 offset:9880
	s_waitcnt lgkmcnt(0)
	v_mul_f32_e32 v26, v21, v24
	v_mul_f32_e32 v25, v22, v24
	v_fma_f32 v24, v22, v23, -v26
	v_fmac_f32_e32 v25, v21, v23
	v_mov_b32_e32 v22, v24
	v_mov_b32_e32 v21, v25
	ds_write_b64 v4, v[24:25]
.LBB167_406:
	s_or_b64 exec, exec, s[6:7]
	s_waitcnt lgkmcnt(0)
	s_barrier
	s_barrier
	s_and_saveexec_b64 s[6:7], s[22:23]
; %bb.407:
	v_xor_b32_e32 v23, 0x80000000, v21
	v_xor_b32_e32 v22, 0x80000000, v22
	ds_write_b64 v3, v[22:23] offset:8336
; %bb.408:
	s_or_b64 exec, exec, s[6:7]
	s_waitcnt lgkmcnt(0)
	s_barrier
	s_barrier
	s_and_saveexec_b64 s[6:7], s[46:47]
	s_cbranch_execz .LBB167_410
; %bb.409:
	v_lshlrev_b32_e32 v23, 3, v0
	s_movk_i32 s18, 0x1f8
	v_mad_u32_u24 v24, v0, s18, v23
	ds_read_b64 v[21:22], v24 offset:8336
	s_waitcnt lgkmcnt(0)
	ds_write_b64 v23, v[21:22] offset:9344
	ds_read_b64 v[21:22], v24 offset:8344
	s_waitcnt lgkmcnt(0)
	ds_write_b64 v23, v[21:22] offset:9856
.LBB167_410:
	s_or_b64 exec, exec, s[6:7]
	s_waitcnt lgkmcnt(0)
	s_barrier
	s_and_saveexec_b64 s[6:7], vcc
	s_cbranch_execz .LBB167_412
; %bb.411:
	v_mov_b32_e32 v25, 0
	ds_read_b128 v[21:24], v25 offset:9360
	ds_read_b64 v[25:26], v25 offset:9880
	s_movk_i32 s18, 0x2000
	s_waitcnt lgkmcnt(0)
	v_mul_f32_e32 v27, v26, v22
	v_mul_f32_e32 v28, v25, v22
	v_fma_f32 v25, v25, v21, -v27
	v_fmac_f32_e32 v28, v26, v21
	v_mul_f32_e32 v21, v28, v24
	v_mul_f32_e32 v22, v25, v24
	v_fma_f32 v21, v25, v23, -v21
	v_fmac_f32_e32 v22, v28, v23
	v_add_u32_e64 v23, s18, 0
	ds_write2_b64 v23, v[21:22], v[21:22] offset0:147 offset1:210
.LBB167_412:
	s_or_b64 exec, exec, s[6:7]
	v_mov_b32_e32 v21, 0
	v_mov_b32_e32 v22, 0
	s_waitcnt lgkmcnt(0)
	s_barrier
	s_and_saveexec_b64 s[6:7], s[10:11]
	s_cbranch_execz .LBB167_418
; %bb.413:
	v_mul_u32_u24_e32 v22, 0x208, v10
	ds_read_b64 v[23:24], v6 offset:8352
	ds_read_b64 v[25:26], v22 offset:8320
	v_cmp_gt_u32_e64 s[18:19], 12, v1
	s_waitcnt lgkmcnt(0)
	v_mul_f32_e32 v21, v26, v24
	v_mul_f32_e32 v24, v25, v24
	v_fma_f32 v21, v25, v23, -v21
	v_fmac_f32_e32 v24, v26, v23
	v_add_f32_e32 v21, 0, v21
	v_add_f32_e32 v23, 0, v24
	s_and_saveexec_b64 s[20:21], s[18:19]
	s_cbranch_execnz .LBB167_1130
; %bb.414:
	s_or_b64 exec, exec, s[20:21]
	v_cmp_gt_u32_e64 s[18:19], 8, v1
	s_and_saveexec_b64 s[20:21], s[18:19]
	s_cbranch_execnz .LBB167_1131
.LBB167_415:
	s_or_b64 exec, exec, s[20:21]
	v_cmp_gt_u32_e64 s[18:19], 4, v1
	s_and_saveexec_b64 s[20:21], s[18:19]
	s_cbranch_execz .LBB167_417
.LBB167_416:
	v_lshlrev_b32_e32 v22, 3, v0
	v_mov_b32_e32 v26, 0
	ds_read_b64 v[24:25], v22 offset:9888
	ds_read_b64 v[26:27], v26 offset:8344
	s_waitcnt lgkmcnt(0)
	v_mul_f32_e32 v22, v27, v25
	v_mul_f32_e32 v25, v26, v25
	v_fma_f32 v22, v26, v24, -v22
	v_fmac_f32_e32 v25, v27, v24
	v_add_f32_e32 v21, v21, v22
	v_add_f32_e32 v23, v23, v25
.LBB167_417:
	s_or_b64 exec, exec, s[20:21]
	v_xor_b32_e32 v22, 0x80000000, v21
	v_xor_b32_e32 v21, 0x80000000, v23
.LBB167_418:
	s_or_b64 exec, exec, s[6:7]
	s_and_saveexec_b64 s[6:7], s[50:51]
	s_cbranch_execz .LBB167_420
; %bb.419:
	v_mov_b32_e32 v23, 0
	ds_read_b64 v[23:24], v23 offset:10400
	s_waitcnt lgkmcnt(0)
	v_mul_f32_e32 v26, v21, v24
	v_mul_f32_e32 v25, v22, v24
	v_fma_f32 v24, v22, v23, -v26
	v_fmac_f32_e32 v25, v21, v23
	v_mov_b32_e32 v22, v24
	v_mov_b32_e32 v21, v25
	ds_write_b64 v8, v[24:25]
.LBB167_420:
	s_or_b64 exec, exec, s[6:7]
	s_waitcnt lgkmcnt(0)
	s_barrier
	s_and_saveexec_b64 s[6:7], s[52:53]
	s_cbranch_execz .LBB167_422
; %bb.421:
	ds_read_b64 v[23:24], v7 offset:10400
	ds_read_b64 v[25:26], v8
	s_waitcnt lgkmcnt(0)
	v_mul_f32_e32 v27, v26, v24
	v_mul_f32_e32 v24, v25, v24
	v_fma_f32 v25, v25, v23, -v27
	v_fmac_f32_e32 v24, v26, v23
	v_add_f32_e32 v22, v22, v25
	v_add_f32_e32 v21, v21, v24
.LBB167_422:
	s_or_b64 exec, exec, s[6:7]
	s_barrier
	s_and_saveexec_b64 s[6:7], s[54:55]
	s_cbranch_execz .LBB167_424
; %bb.423:
	v_mov_b32_e32 v23, 0
	ds_read_b64 v[23:24], v23 offset:10920
	s_waitcnt lgkmcnt(0)
	v_mul_f32_e32 v26, v21, v24
	v_mul_f32_e32 v25, v22, v24
	v_fma_f32 v24, v22, v23, -v26
	v_fmac_f32_e32 v25, v21, v23
	v_mov_b32_e32 v22, v24
	v_mov_b32_e32 v21, v25
	ds_write_b64 v8, v[24:25]
.LBB167_424:
	s_or_b64 exec, exec, s[6:7]
	s_waitcnt lgkmcnt(0)
	s_barrier
	s_and_saveexec_b64 s[6:7], s[56:57]
	s_cbranch_execz .LBB167_426
; %bb.425:
	ds_read_b64 v[23:24], v7 offset:10912
	ds_read_b64 v[25:26], v8
	s_waitcnt lgkmcnt(0)
	v_mul_f32_e32 v27, v26, v24
	v_mul_f32_e32 v24, v25, v24
	v_fma_f32 v25, v25, v23, -v27
	v_fmac_f32_e32 v24, v26, v23
	v_add_f32_e32 v22, v22, v25
	v_add_f32_e32 v21, v21, v24
.LBB167_426:
	s_or_b64 exec, exec, s[6:7]
	s_barrier
	s_and_saveexec_b64 s[6:7], s[58:59]
	s_cbranch_execz .LBB167_428
; %bb.427:
	v_mov_b32_e32 v23, 0
	ds_read_b64 v[23:24], v23 offset:11440
	s_waitcnt lgkmcnt(0)
	v_mul_f32_e32 v26, v21, v24
	v_mul_f32_e32 v25, v22, v24
	v_fma_f32 v24, v22, v23, -v26
	v_fmac_f32_e32 v25, v21, v23
	v_mov_b32_e32 v22, v24
	v_mov_b32_e32 v21, v25
	ds_write_b64 v8, v[24:25]
.LBB167_428:
	s_or_b64 exec, exec, s[6:7]
	s_waitcnt lgkmcnt(0)
	s_barrier
	s_and_saveexec_b64 s[6:7], s[48:49]
	s_cbranch_execz .LBB167_430
; %bb.429:
	v_mov_b32_e32 v23, 0
	ds_read_b64 v[23:24], v23 offset:11448
	ds_read_b64 v[25:26], v8
	s_waitcnt lgkmcnt(0)
	v_mul_f32_e32 v27, v26, v24
	v_mul_f32_e32 v24, v25, v24
	v_fma_f32 v25, v25, v23, -v27
	v_fmac_f32_e32 v24, v26, v23
	v_add_f32_e32 v22, v22, v25
	v_add_f32_e32 v21, v21, v24
.LBB167_430:
	s_or_b64 exec, exec, s[6:7]
	s_barrier
	s_and_saveexec_b64 s[6:7], s[48:49]
	s_cbranch_execz .LBB167_432
; %bb.431:
	v_mov_b32_e32 v23, 0
	ds_read_b64 v[23:24], v23 offset:11960
	s_waitcnt lgkmcnt(0)
	v_mul_f32_e32 v26, v21, v24
	v_mul_f32_e32 v25, v22, v24
	v_fma_f32 v24, v22, v23, -v26
	v_fmac_f32_e32 v25, v21, v23
	v_mov_b32_e32 v22, v24
	v_mov_b32_e32 v21, v25
	ds_write_b64 v8, v[24:25]
.LBB167_432:
	s_or_b64 exec, exec, s[6:7]
	s_waitcnt lgkmcnt(0)
	s_barrier
	s_barrier
	s_and_saveexec_b64 s[6:7], s[10:11]
; %bb.433:
	v_xor_b32_e32 v22, 0x80000000, v22
	v_xor_b32_e32 v23, 0x80000000, v21
	ds_write_b64 v6, v[22:23] offset:8352
; %bb.434:
	s_or_b64 exec, exec, s[6:7]
	s_waitcnt lgkmcnt(0)
	s_barrier
	s_barrier
	s_and_saveexec_b64 s[6:7], s[60:61]
	s_cbranch_execz .LBB167_436
; %bb.435:
	v_lshlrev_b32_e32 v23, 9, v0
	ds_read_b64 v[21:22], v23 offset:8352
	s_movk_i32 s18, 0xfe08
	v_mad_i32_i24 v24, v0, s18, v23
	s_waitcnt lgkmcnt(0)
	ds_write_b64 v24, v[21:22] offset:10368
	ds_read_b64 v[21:22], v23 offset:8360
	s_waitcnt lgkmcnt(0)
	ds_write_b64 v24, v[21:22] offset:10880
	ds_read_b64 v[21:22], v23 offset:8368
	;; [unrolled: 3-line block ×3, first 2 shown]
	s_waitcnt lgkmcnt(0)
	ds_write_b64 v24, v[21:22] offset:11904
.LBB167_436:
	s_or_b64 exec, exec, s[6:7]
	s_waitcnt lgkmcnt(0)
	s_barrier
	s_and_saveexec_b64 s[6:7], vcc
	s_cbranch_execz .LBB167_438
; %bb.437:
	v_mov_b32_e32 v25, 0
	ds_read_b128 v[21:24], v25 offset:10400
	ds_read_b64 v[25:26], v25 offset:10920
	s_movk_i32 s18, 0x2800
	s_waitcnt lgkmcnt(0)
	v_mul_f32_e32 v27, v26, v22
	v_mul_f32_e32 v28, v25, v22
	v_fma_f32 v25, v25, v21, -v27
	v_fmac_f32_e32 v28, v26, v21
	v_mul_f32_e32 v21, v28, v24
	v_mul_f32_e32 v22, v25, v24
	v_fma_f32 v21, v25, v23, -v21
	v_fmac_f32_e32 v22, v28, v23
	v_add_u32_e64 v23, s18, 0
	ds_write2_b64 v23, v[21:22], v[21:22] offset0:21 offset1:84
.LBB167_438:
	s_or_b64 exec, exec, s[6:7]
	v_mov_b32_e32 v21, 0
	v_mov_b32_e32 v22, 0
	s_waitcnt lgkmcnt(0)
	s_barrier
	s_and_saveexec_b64 s[6:7], s[22:23]
	s_cbranch_execz .LBB167_442
; %bb.439:
	v_mul_u32_u24_e32 v23, 0x208, v5
	ds_read_b64 v[21:22], v3 offset:10416
	ds_read_b64 v[23:24], v23 offset:10400
	v_cmp_gt_u32_e64 s[18:19], 2, v1
	s_waitcnt lgkmcnt(0)
	v_mul_f32_e32 v25, v24, v22
	v_mul_f32_e32 v22, v23, v22
	v_fma_f32 v23, v23, v21, -v25
	v_fmac_f32_e32 v22, v24, v21
	v_add_f32_e32 v21, 0, v23
	v_add_f32_e32 v23, 0, v22
	s_and_saveexec_b64 s[20:21], s[18:19]
	s_cbranch_execz .LBB167_441
; %bb.440:
	v_lshlrev_b32_e32 v22, 3, v0
	v_mov_b32_e32 v26, 0
	ds_read_b64 v[24:25], v22 offset:10928
	ds_read_b64 v[26:27], v26 offset:10408
	s_waitcnt lgkmcnt(0)
	v_mul_f32_e32 v22, v27, v25
	v_mul_f32_e32 v25, v26, v25
	v_fma_f32 v22, v26, v24, -v22
	v_fmac_f32_e32 v25, v27, v24
	v_add_f32_e32 v21, v21, v22
	v_add_f32_e32 v23, v23, v25
.LBB167_441:
	s_or_b64 exec, exec, s[20:21]
	v_xor_b32_e32 v22, 0x80000000, v21
	v_xor_b32_e32 v21, 0x80000000, v23
.LBB167_442:
	s_or_b64 exec, exec, s[6:7]
	s_and_saveexec_b64 s[6:7], s[44:45]
	s_cbranch_execz .LBB167_444
; %bb.443:
	v_mov_b32_e32 v23, 0
	ds_read_b64 v[23:24], v23 offset:11440
	s_waitcnt lgkmcnt(0)
	v_mul_f32_e32 v26, v21, v24
	v_mul_f32_e32 v25, v22, v24
	v_fma_f32 v24, v22, v23, -v26
	v_fmac_f32_e32 v25, v21, v23
	v_mov_b32_e32 v22, v24
	v_mov_b32_e32 v21, v25
	ds_write_b64 v4, v[24:25]
.LBB167_444:
	s_or_b64 exec, exec, s[6:7]
	s_waitcnt lgkmcnt(0)
	s_barrier
	s_and_saveexec_b64 s[6:7], s[42:43]
	s_cbranch_execz .LBB167_446
; %bb.445:
	v_mov_b32_e32 v23, 0
	ds_read_b64 v[23:24], v23 offset:11448
	ds_read_b64 v[25:26], v4
	s_waitcnt lgkmcnt(0)
	v_mul_f32_e32 v27, v26, v24
	v_mul_f32_e32 v24, v25, v24
	v_fma_f32 v25, v25, v23, -v27
	v_fmac_f32_e32 v24, v26, v23
	v_add_f32_e32 v22, v22, v25
	v_add_f32_e32 v21, v21, v24
.LBB167_446:
	s_or_b64 exec, exec, s[6:7]
	s_barrier
	s_and_saveexec_b64 s[6:7], s[42:43]
	s_cbranch_execz .LBB167_448
; %bb.447:
	v_mov_b32_e32 v23, 0
	ds_read_b64 v[23:24], v23 offset:11960
	s_waitcnt lgkmcnt(0)
	v_mul_f32_e32 v26, v21, v24
	v_mul_f32_e32 v25, v22, v24
	v_fma_f32 v24, v22, v23, -v26
	v_fmac_f32_e32 v25, v21, v23
	v_mov_b32_e32 v22, v24
	v_mov_b32_e32 v21, v25
	ds_write_b64 v4, v[24:25]
.LBB167_448:
	s_or_b64 exec, exec, s[6:7]
	s_waitcnt lgkmcnt(0)
	s_barrier
	s_barrier
	s_and_saveexec_b64 s[6:7], s[22:23]
; %bb.449:
	v_xor_b32_e32 v23, 0x80000000, v21
	v_xor_b32_e32 v22, 0x80000000, v22
	ds_write_b64 v3, v[22:23] offset:10416
; %bb.450:
	s_or_b64 exec, exec, s[6:7]
	s_waitcnt lgkmcnt(0)
	s_barrier
	s_barrier
	s_and_saveexec_b64 s[6:7], s[46:47]
	s_cbranch_execz .LBB167_452
; %bb.451:
	v_lshlrev_b32_e32 v23, 3, v0
	s_movk_i32 s18, 0x1f8
	v_mad_u32_u24 v24, v0, s18, v23
	ds_read_b64 v[21:22], v24 offset:10416
	s_waitcnt lgkmcnt(0)
	ds_write_b64 v23, v[21:22] offset:11424
	ds_read_b64 v[21:22], v24 offset:10424
	s_waitcnt lgkmcnt(0)
	ds_write_b64 v23, v[21:22] offset:11936
.LBB167_452:
	s_or_b64 exec, exec, s[6:7]
	s_waitcnt lgkmcnt(0)
	s_barrier
	s_and_saveexec_b64 s[6:7], vcc
	s_cbranch_execz .LBB167_454
; %bb.453:
	v_mov_b32_e32 v25, 0
	ds_read_b128 v[21:24], v25 offset:11440
	ds_read_b64 v[25:26], v25 offset:11960
	s_movk_i32 s18, 0x2800
	s_waitcnt lgkmcnt(0)
	v_mul_f32_e32 v27, v26, v22
	v_mul_f32_e32 v28, v25, v22
	v_fma_f32 v25, v25, v21, -v27
	v_fmac_f32_e32 v28, v26, v21
	v_mul_f32_e32 v21, v28, v24
	v_mul_f32_e32 v22, v25, v24
	v_fma_f32 v21, v25, v23, -v21
	v_fmac_f32_e32 v22, v28, v23
	v_add_u32_e64 v23, s18, 0
	ds_write2_b64 v23, v[21:22], v[21:22] offset0:151 offset1:214
.LBB167_454:
	s_or_b64 exec, exec, s[6:7]
	v_mov_b32_e32 v21, 0
	v_mov_b32_e32 v22, 0
	s_waitcnt lgkmcnt(0)
	s_barrier
	s_and_saveexec_b64 s[6:7], s[12:13]
	s_cbranch_execz .LBB167_464
; %bb.455:
	v_mul_u32_u24_e32 v22, 0x208, v15
	ds_read_b64 v[23:24], v11 offset:8384
	ds_read_b64 v[25:26], v22 offset:8320
	v_cmp_gt_u32_e64 s[18:19], 56, v1
	s_waitcnt lgkmcnt(0)
	v_mul_f32_e32 v21, v26, v24
	v_mul_f32_e32 v24, v25, v24
	v_fma_f32 v21, v25, v23, -v21
	v_fmac_f32_e32 v24, v26, v23
	v_add_f32_e32 v21, 0, v21
	v_add_f32_e32 v23, 0, v24
	s_and_saveexec_b64 s[20:21], s[18:19]
	s_cbranch_execnz .LBB167_1132
; %bb.456:
	s_or_b64 exec, exec, s[20:21]
	v_cmp_gt_u32_e64 s[18:19], 48, v1
	s_and_saveexec_b64 s[20:21], s[18:19]
	s_cbranch_execnz .LBB167_1133
.LBB167_457:
	s_or_b64 exec, exec, s[20:21]
	v_cmp_gt_u32_e64 s[18:19], 40, v1
	s_and_saveexec_b64 s[20:21], s[18:19]
	s_cbranch_execnz .LBB167_1134
.LBB167_458:
	s_or_b64 exec, exec, s[20:21]
	v_cmp_gt_u32_e64 s[18:19], 32, v1
	s_and_saveexec_b64 s[20:21], s[18:19]
	s_cbranch_execnz .LBB167_1135
.LBB167_459:
	s_or_b64 exec, exec, s[20:21]
	v_cmp_gt_u32_e64 s[18:19], 24, v1
	s_and_saveexec_b64 s[20:21], s[18:19]
	s_cbranch_execnz .LBB167_1136
.LBB167_460:
	s_or_b64 exec, exec, s[20:21]
	v_cmp_gt_u32_e64 s[18:19], 16, v1
	s_and_saveexec_b64 s[20:21], s[18:19]
	s_cbranch_execnz .LBB167_1137
.LBB167_461:
	s_or_b64 exec, exec, s[20:21]
	v_cmp_gt_u32_e64 s[18:19], 8, v1
	s_and_saveexec_b64 s[20:21], s[18:19]
	s_cbranch_execz .LBB167_463
.LBB167_462:
	v_lshlrev_b32_e32 v22, 3, v0
	v_mov_b32_e32 v26, 0
	ds_read_b64 v[24:25], v22 offset:11968
	ds_read_b64 v[26:27], v26 offset:8376
	s_waitcnt lgkmcnt(0)
	v_mul_f32_e32 v22, v27, v25
	v_mul_f32_e32 v25, v26, v25
	v_fma_f32 v22, v26, v24, -v22
	v_fmac_f32_e32 v25, v27, v24
	v_add_f32_e32 v21, v21, v22
	v_add_f32_e32 v23, v23, v25
.LBB167_463:
	s_or_b64 exec, exec, s[20:21]
	v_xor_b32_e32 v22, 0x80000000, v21
	v_xor_b32_e32 v21, 0x80000000, v23
.LBB167_464:
	s_or_b64 exec, exec, s[6:7]
	s_and_saveexec_b64 s[6:7], s[64:65]
	s_cbranch_execz .LBB167_466
; %bb.465:
	v_mov_b32_e32 v23, 0
	ds_read_b64 v[23:24], v23 offset:12480
	s_waitcnt lgkmcnt(0)
	v_mul_f32_e32 v26, v21, v24
	v_mul_f32_e32 v25, v22, v24
	v_fma_f32 v24, v22, v23, -v26
	v_fmac_f32_e32 v25, v21, v23
	v_mov_b32_e32 v22, v24
	v_mov_b32_e32 v21, v25
	ds_write_b64 v13, v[24:25]
.LBB167_466:
	s_or_b64 exec, exec, s[6:7]
	s_waitcnt lgkmcnt(0)
	s_barrier
	s_and_saveexec_b64 s[6:7], s[66:67]
	s_cbranch_execz .LBB167_468
; %bb.467:
	ds_read_b64 v[23:24], v12 offset:12480
	ds_read_b64 v[25:26], v13
	s_waitcnt lgkmcnt(0)
	v_mul_f32_e32 v27, v26, v24
	v_mul_f32_e32 v24, v25, v24
	v_fma_f32 v25, v25, v23, -v27
	v_fmac_f32_e32 v24, v26, v23
	v_add_f32_e32 v22, v22, v25
	v_add_f32_e32 v21, v21, v24
.LBB167_468:
	s_or_b64 exec, exec, s[6:7]
	s_barrier
	s_and_saveexec_b64 s[6:7], s[68:69]
	s_cbranch_execz .LBB167_470
; %bb.469:
	v_mov_b32_e32 v23, 0
	ds_read_b64 v[23:24], v23 offset:13000
	s_waitcnt lgkmcnt(0)
	v_mul_f32_e32 v26, v21, v24
	v_mul_f32_e32 v25, v22, v24
	v_fma_f32 v24, v22, v23, -v26
	v_fmac_f32_e32 v25, v21, v23
	v_mov_b32_e32 v22, v24
	v_mov_b32_e32 v21, v25
	ds_write_b64 v13, v[24:25]
.LBB167_470:
	s_or_b64 exec, exec, s[6:7]
	s_waitcnt lgkmcnt(0)
	s_barrier
	s_and_saveexec_b64 s[6:7], s[70:71]
	s_cbranch_execz .LBB167_472
; %bb.471:
	ds_read_b64 v[23:24], v12 offset:12992
	ds_read_b64 v[25:26], v13
	s_waitcnt lgkmcnt(0)
	v_mul_f32_e32 v27, v26, v24
	v_mul_f32_e32 v24, v25, v24
	v_fma_f32 v25, v25, v23, -v27
	v_fmac_f32_e32 v24, v26, v23
	v_add_f32_e32 v22, v22, v25
	v_add_f32_e32 v21, v21, v24
.LBB167_472:
	s_or_b64 exec, exec, s[6:7]
	s_barrier
	;; [unrolled: 32-line block ×6, first 2 shown]
	s_and_saveexec_b64 s[6:7], s[88:89]
	s_cbranch_execz .LBB167_490
; %bb.489:
	v_mov_b32_e32 v23, 0
	ds_read_b64 v[23:24], v23 offset:15600
	s_waitcnt lgkmcnt(0)
	v_mul_f32_e32 v26, v21, v24
	v_mul_f32_e32 v25, v22, v24
	v_fma_f32 v24, v22, v23, -v26
	v_fmac_f32_e32 v25, v21, v23
	v_mov_b32_e32 v22, v24
	v_mov_b32_e32 v21, v25
	ds_write_b64 v13, v[24:25]
.LBB167_490:
	s_or_b64 exec, exec, s[6:7]
	s_waitcnt lgkmcnt(0)
	s_barrier
	s_and_saveexec_b64 s[6:7], s[62:63]
	s_cbranch_execz .LBB167_492
; %bb.491:
	v_mov_b32_e32 v23, 0
	ds_read_b64 v[23:24], v23 offset:15608
	ds_read_b64 v[25:26], v13
	s_waitcnt lgkmcnt(0)
	v_mul_f32_e32 v27, v26, v24
	v_mul_f32_e32 v24, v25, v24
	v_fma_f32 v25, v25, v23, -v27
	v_fmac_f32_e32 v24, v26, v23
	v_add_f32_e32 v22, v22, v25
	v_add_f32_e32 v21, v21, v24
.LBB167_492:
	s_or_b64 exec, exec, s[6:7]
	s_barrier
	s_and_saveexec_b64 s[6:7], s[62:63]
	s_cbranch_execz .LBB167_494
; %bb.493:
	v_mov_b32_e32 v23, 0
	ds_read_b64 v[23:24], v23 offset:16120
	s_waitcnt lgkmcnt(0)
	v_mul_f32_e32 v26, v21, v24
	v_mul_f32_e32 v25, v22, v24
	v_fma_f32 v24, v22, v23, -v26
	v_fmac_f32_e32 v25, v21, v23
	v_mov_b32_e32 v22, v24
	v_mov_b32_e32 v21, v25
	ds_write_b64 v13, v[24:25]
.LBB167_494:
	s_or_b64 exec, exec, s[6:7]
	s_waitcnt lgkmcnt(0)
	s_barrier
	s_barrier
	s_and_saveexec_b64 s[6:7], s[12:13]
; %bb.495:
	v_xor_b32_e32 v23, 0x80000000, v21
	v_xor_b32_e32 v22, 0x80000000, v22
	ds_write_b64 v11, v[22:23] offset:8384
; %bb.496:
	s_or_b64 exec, exec, s[6:7]
	s_waitcnt lgkmcnt(0)
	s_barrier
	s_barrier
	s_and_saveexec_b64 s[6:7], s[90:91]
	s_cbranch_execz .LBB167_498
; %bb.497:
	v_lshlrev_b32_e32 v23, 9, v0
	ds_read_b64 v[21:22], v23 offset:8384
	s_movk_i32 s18, 0xfe08
	v_mad_i32_i24 v24, v0, s18, v23
	s_waitcnt lgkmcnt(0)
	ds_write_b64 v24, v[21:22] offset:12416
	ds_read_b64 v[21:22], v23 offset:8392
	s_waitcnt lgkmcnt(0)
	ds_write_b64 v24, v[21:22] offset:12928
	ds_read_b64 v[21:22], v23 offset:8400
	;; [unrolled: 3-line block ×7, first 2 shown]
	s_waitcnt lgkmcnt(0)
	ds_write_b64 v24, v[21:22] offset:16000
.LBB167_498:
	s_or_b64 exec, exec, s[6:7]
	s_waitcnt lgkmcnt(0)
	s_barrier
	s_and_saveexec_b64 s[6:7], vcc
	s_cbranch_execz .LBB167_500
; %bb.499:
	v_mov_b32_e32 v25, 0
	ds_read_b128 v[21:24], v25 offset:12480
	ds_read_b64 v[25:26], v25 offset:13000
	s_movk_i32 s18, 0x3000
	s_waitcnt lgkmcnt(0)
	v_mul_f32_e32 v27, v26, v22
	v_mul_f32_e32 v28, v25, v22
	v_fma_f32 v25, v25, v21, -v27
	v_fmac_f32_e32 v28, v26, v21
	v_mul_f32_e32 v21, v28, v24
	v_mul_f32_e32 v22, v25, v24
	v_fma_f32 v21, v25, v23, -v21
	v_fmac_f32_e32 v22, v28, v23
	v_add_u32_e64 v23, s18, 0
	ds_write2_b64 v23, v[21:22], v[21:22] offset0:25 offset1:88
.LBB167_500:
	s_or_b64 exec, exec, s[6:7]
	v_mov_b32_e32 v21, 0
	v_mov_b32_e32 v22, 0
	s_waitcnt lgkmcnt(0)
	s_barrier
	s_and_saveexec_b64 s[6:7], s[22:23]
	s_cbranch_execz .LBB167_504
; %bb.501:
	v_mul_u32_u24_e32 v23, 0x208, v5
	ds_read_b64 v[21:22], v3 offset:12496
	ds_read_b64 v[23:24], v23 offset:12480
	v_cmp_gt_u32_e64 s[18:19], 2, v1
	s_waitcnt lgkmcnt(0)
	v_mul_f32_e32 v25, v24, v22
	v_mul_f32_e32 v22, v23, v22
	v_fma_f32 v23, v23, v21, -v25
	v_fmac_f32_e32 v22, v24, v21
	v_add_f32_e32 v21, 0, v23
	v_add_f32_e32 v23, 0, v22
	s_and_saveexec_b64 s[20:21], s[18:19]
	s_cbranch_execz .LBB167_503
; %bb.502:
	v_lshlrev_b32_e32 v22, 3, v0
	v_mov_b32_e32 v26, 0
	ds_read_b64 v[24:25], v22 offset:13008
	ds_read_b64 v[26:27], v26 offset:12488
	s_waitcnt lgkmcnt(0)
	v_mul_f32_e32 v22, v27, v25
	v_mul_f32_e32 v25, v26, v25
	v_fma_f32 v22, v26, v24, -v22
	v_fmac_f32_e32 v25, v27, v24
	v_add_f32_e32 v21, v21, v22
	v_add_f32_e32 v23, v23, v25
.LBB167_503:
	s_or_b64 exec, exec, s[20:21]
	v_xor_b32_e32 v22, 0x80000000, v21
	v_xor_b32_e32 v21, 0x80000000, v23
.LBB167_504:
	s_or_b64 exec, exec, s[6:7]
	s_and_saveexec_b64 s[6:7], s[44:45]
	s_cbranch_execz .LBB167_506
; %bb.505:
	v_mov_b32_e32 v23, 0
	ds_read_b64 v[23:24], v23 offset:13520
	s_waitcnt lgkmcnt(0)
	v_mul_f32_e32 v26, v21, v24
	v_mul_f32_e32 v25, v22, v24
	v_fma_f32 v24, v22, v23, -v26
	v_fmac_f32_e32 v25, v21, v23
	v_mov_b32_e32 v22, v24
	v_mov_b32_e32 v21, v25
	ds_write_b64 v4, v[24:25]
.LBB167_506:
	s_or_b64 exec, exec, s[6:7]
	s_waitcnt lgkmcnt(0)
	s_barrier
	s_and_saveexec_b64 s[6:7], s[42:43]
	s_cbranch_execz .LBB167_508
; %bb.507:
	v_mov_b32_e32 v23, 0
	ds_read_b64 v[23:24], v23 offset:13528
	ds_read_b64 v[25:26], v4
	s_waitcnt lgkmcnt(0)
	v_mul_f32_e32 v27, v26, v24
	v_mul_f32_e32 v24, v25, v24
	v_fma_f32 v25, v25, v23, -v27
	v_fmac_f32_e32 v24, v26, v23
	v_add_f32_e32 v22, v22, v25
	v_add_f32_e32 v21, v21, v24
.LBB167_508:
	s_or_b64 exec, exec, s[6:7]
	s_barrier
	s_and_saveexec_b64 s[6:7], s[42:43]
	s_cbranch_execz .LBB167_510
; %bb.509:
	v_mov_b32_e32 v23, 0
	ds_read_b64 v[23:24], v23 offset:14040
	s_waitcnt lgkmcnt(0)
	v_mul_f32_e32 v26, v21, v24
	v_mul_f32_e32 v25, v22, v24
	v_fma_f32 v24, v22, v23, -v26
	v_fmac_f32_e32 v25, v21, v23
	v_mov_b32_e32 v22, v24
	v_mov_b32_e32 v21, v25
	ds_write_b64 v4, v[24:25]
.LBB167_510:
	s_or_b64 exec, exec, s[6:7]
	s_waitcnt lgkmcnt(0)
	s_barrier
	s_barrier
	s_and_saveexec_b64 s[6:7], s[22:23]
; %bb.511:
	v_xor_b32_e32 v23, 0x80000000, v21
	v_xor_b32_e32 v22, 0x80000000, v22
	ds_write_b64 v3, v[22:23] offset:12496
; %bb.512:
	s_or_b64 exec, exec, s[6:7]
	s_waitcnt lgkmcnt(0)
	s_barrier
	s_barrier
	s_and_saveexec_b64 s[6:7], s[46:47]
	s_cbranch_execz .LBB167_514
; %bb.513:
	v_lshlrev_b32_e32 v23, 3, v0
	s_movk_i32 s18, 0x1f8
	v_mad_u32_u24 v24, v0, s18, v23
	ds_read_b64 v[21:22], v24 offset:12496
	s_waitcnt lgkmcnt(0)
	ds_write_b64 v23, v[21:22] offset:13504
	ds_read_b64 v[21:22], v24 offset:12504
	s_waitcnt lgkmcnt(0)
	ds_write_b64 v23, v[21:22] offset:14016
.LBB167_514:
	s_or_b64 exec, exec, s[6:7]
	s_waitcnt lgkmcnt(0)
	s_barrier
	s_and_saveexec_b64 s[6:7], vcc
	s_cbranch_execz .LBB167_516
; %bb.515:
	v_mov_b32_e32 v25, 0
	ds_read_b128 v[21:24], v25 offset:13520
	ds_read_b64 v[25:26], v25 offset:14040
	s_movk_i32 s18, 0x3000
	s_waitcnt lgkmcnt(0)
	v_mul_f32_e32 v27, v26, v22
	v_mul_f32_e32 v28, v25, v22
	v_fma_f32 v25, v25, v21, -v27
	v_fmac_f32_e32 v28, v26, v21
	v_mul_f32_e32 v21, v28, v24
	v_mul_f32_e32 v22, v25, v24
	v_fma_f32 v21, v25, v23, -v21
	v_fmac_f32_e32 v22, v28, v23
	v_add_u32_e64 v23, s18, 0
	ds_write2_b64 v23, v[21:22], v[21:22] offset0:155 offset1:218
.LBB167_516:
	s_or_b64 exec, exec, s[6:7]
	v_mov_b32_e32 v21, 0
	v_mov_b32_e32 v22, 0
	s_waitcnt lgkmcnt(0)
	s_barrier
	s_and_saveexec_b64 s[6:7], s[10:11]
	s_cbranch_execz .LBB167_522
; %bb.517:
	v_mul_u32_u24_e32 v22, 0x208, v10
	ds_read_b64 v[23:24], v6 offset:12512
	ds_read_b64 v[25:26], v22 offset:12480
	v_cmp_gt_u32_e64 s[18:19], 12, v1
	s_waitcnt lgkmcnt(0)
	v_mul_f32_e32 v21, v26, v24
	v_mul_f32_e32 v24, v25, v24
	v_fma_f32 v21, v25, v23, -v21
	v_fmac_f32_e32 v24, v26, v23
	v_add_f32_e32 v21, 0, v21
	v_add_f32_e32 v23, 0, v24
	s_and_saveexec_b64 s[20:21], s[18:19]
	s_cbranch_execnz .LBB167_1138
; %bb.518:
	s_or_b64 exec, exec, s[20:21]
	v_cmp_gt_u32_e64 s[18:19], 8, v1
	s_and_saveexec_b64 s[20:21], s[18:19]
	s_cbranch_execnz .LBB167_1139
.LBB167_519:
	s_or_b64 exec, exec, s[20:21]
	v_cmp_gt_u32_e64 s[18:19], 4, v1
	s_and_saveexec_b64 s[20:21], s[18:19]
	s_cbranch_execz .LBB167_521
.LBB167_520:
	v_lshlrev_b32_e32 v22, 3, v0
	v_mov_b32_e32 v26, 0
	ds_read_b64 v[24:25], v22 offset:14048
	ds_read_b64 v[26:27], v26 offset:12504
	s_waitcnt lgkmcnt(0)
	v_mul_f32_e32 v22, v27, v25
	v_mul_f32_e32 v25, v26, v25
	v_fma_f32 v22, v26, v24, -v22
	v_fmac_f32_e32 v25, v27, v24
	v_add_f32_e32 v21, v21, v22
	v_add_f32_e32 v23, v23, v25
.LBB167_521:
	s_or_b64 exec, exec, s[20:21]
	v_xor_b32_e32 v22, 0x80000000, v21
	v_xor_b32_e32 v21, 0x80000000, v23
.LBB167_522:
	s_or_b64 exec, exec, s[6:7]
	s_and_saveexec_b64 s[6:7], s[50:51]
	s_cbranch_execz .LBB167_524
; %bb.523:
	v_mov_b32_e32 v23, 0
	ds_read_b64 v[23:24], v23 offset:14560
	s_waitcnt lgkmcnt(0)
	v_mul_f32_e32 v26, v21, v24
	v_mul_f32_e32 v25, v22, v24
	v_fma_f32 v24, v22, v23, -v26
	v_fmac_f32_e32 v25, v21, v23
	v_mov_b32_e32 v22, v24
	v_mov_b32_e32 v21, v25
	ds_write_b64 v8, v[24:25]
.LBB167_524:
	s_or_b64 exec, exec, s[6:7]
	s_waitcnt lgkmcnt(0)
	s_barrier
	s_and_saveexec_b64 s[6:7], s[52:53]
	s_cbranch_execz .LBB167_526
; %bb.525:
	ds_read_b64 v[23:24], v7 offset:14560
	ds_read_b64 v[25:26], v8
	s_waitcnt lgkmcnt(0)
	v_mul_f32_e32 v27, v26, v24
	v_mul_f32_e32 v24, v25, v24
	v_fma_f32 v25, v25, v23, -v27
	v_fmac_f32_e32 v24, v26, v23
	v_add_f32_e32 v22, v22, v25
	v_add_f32_e32 v21, v21, v24
.LBB167_526:
	s_or_b64 exec, exec, s[6:7]
	s_barrier
	s_and_saveexec_b64 s[6:7], s[54:55]
	s_cbranch_execz .LBB167_528
; %bb.527:
	v_mov_b32_e32 v23, 0
	ds_read_b64 v[23:24], v23 offset:15080
	s_waitcnt lgkmcnt(0)
	v_mul_f32_e32 v26, v21, v24
	v_mul_f32_e32 v25, v22, v24
	v_fma_f32 v24, v22, v23, -v26
	v_fmac_f32_e32 v25, v21, v23
	v_mov_b32_e32 v22, v24
	v_mov_b32_e32 v21, v25
	ds_write_b64 v8, v[24:25]
.LBB167_528:
	s_or_b64 exec, exec, s[6:7]
	s_waitcnt lgkmcnt(0)
	s_barrier
	s_and_saveexec_b64 s[6:7], s[56:57]
	s_cbranch_execz .LBB167_530
; %bb.529:
	ds_read_b64 v[23:24], v7 offset:15072
	ds_read_b64 v[25:26], v8
	s_waitcnt lgkmcnt(0)
	v_mul_f32_e32 v27, v26, v24
	v_mul_f32_e32 v24, v25, v24
	v_fma_f32 v25, v25, v23, -v27
	v_fmac_f32_e32 v24, v26, v23
	v_add_f32_e32 v22, v22, v25
	v_add_f32_e32 v21, v21, v24
.LBB167_530:
	s_or_b64 exec, exec, s[6:7]
	s_barrier
	s_and_saveexec_b64 s[6:7], s[58:59]
	s_cbranch_execz .LBB167_532
; %bb.531:
	v_mov_b32_e32 v23, 0
	ds_read_b64 v[23:24], v23 offset:15600
	s_waitcnt lgkmcnt(0)
	v_mul_f32_e32 v26, v21, v24
	v_mul_f32_e32 v25, v22, v24
	v_fma_f32 v24, v22, v23, -v26
	v_fmac_f32_e32 v25, v21, v23
	v_mov_b32_e32 v22, v24
	v_mov_b32_e32 v21, v25
	ds_write_b64 v8, v[24:25]
.LBB167_532:
	s_or_b64 exec, exec, s[6:7]
	s_waitcnt lgkmcnt(0)
	s_barrier
	s_and_saveexec_b64 s[6:7], s[48:49]
	s_cbranch_execz .LBB167_534
; %bb.533:
	v_mov_b32_e32 v23, 0
	ds_read_b64 v[23:24], v23 offset:15608
	ds_read_b64 v[25:26], v8
	s_waitcnt lgkmcnt(0)
	v_mul_f32_e32 v27, v26, v24
	v_mul_f32_e32 v24, v25, v24
	v_fma_f32 v25, v25, v23, -v27
	v_fmac_f32_e32 v24, v26, v23
	v_add_f32_e32 v22, v22, v25
	v_add_f32_e32 v21, v21, v24
.LBB167_534:
	s_or_b64 exec, exec, s[6:7]
	s_barrier
	s_and_saveexec_b64 s[6:7], s[48:49]
	s_cbranch_execz .LBB167_536
; %bb.535:
	v_mov_b32_e32 v23, 0
	ds_read_b64 v[23:24], v23 offset:16120
	s_waitcnt lgkmcnt(0)
	v_mul_f32_e32 v26, v21, v24
	v_mul_f32_e32 v25, v22, v24
	v_fma_f32 v24, v22, v23, -v26
	v_fmac_f32_e32 v25, v21, v23
	v_mov_b32_e32 v22, v24
	v_mov_b32_e32 v21, v25
	ds_write_b64 v8, v[24:25]
.LBB167_536:
	s_or_b64 exec, exec, s[6:7]
	s_waitcnt lgkmcnt(0)
	s_barrier
	s_barrier
	s_and_saveexec_b64 s[6:7], s[10:11]
; %bb.537:
	v_xor_b32_e32 v22, 0x80000000, v22
	v_xor_b32_e32 v23, 0x80000000, v21
	ds_write_b64 v6, v[22:23] offset:12512
; %bb.538:
	s_or_b64 exec, exec, s[6:7]
	s_waitcnt lgkmcnt(0)
	s_barrier
	s_barrier
	s_and_saveexec_b64 s[6:7], s[60:61]
	s_cbranch_execz .LBB167_540
; %bb.539:
	v_lshlrev_b32_e32 v23, 9, v0
	ds_read_b64 v[21:22], v23 offset:12512
	s_movk_i32 s18, 0xfe08
	v_mad_i32_i24 v24, v0, s18, v23
	s_waitcnt lgkmcnt(0)
	ds_write_b64 v24, v[21:22] offset:14528
	ds_read_b64 v[21:22], v23 offset:12520
	s_waitcnt lgkmcnt(0)
	ds_write_b64 v24, v[21:22] offset:15040
	ds_read_b64 v[21:22], v23 offset:12528
	;; [unrolled: 3-line block ×3, first 2 shown]
	s_waitcnt lgkmcnt(0)
	ds_write_b64 v24, v[21:22] offset:16064
.LBB167_540:
	s_or_b64 exec, exec, s[6:7]
	s_waitcnt lgkmcnt(0)
	s_barrier
	s_and_saveexec_b64 s[6:7], vcc
	s_cbranch_execz .LBB167_542
; %bb.541:
	v_mov_b32_e32 v25, 0
	ds_read_b128 v[21:24], v25 offset:14560
	ds_read_b64 v[25:26], v25 offset:15080
	s_movk_i32 s18, 0x3800
	s_waitcnt lgkmcnt(0)
	v_mul_f32_e32 v27, v26, v22
	v_mul_f32_e32 v28, v25, v22
	v_fma_f32 v25, v25, v21, -v27
	v_fmac_f32_e32 v28, v26, v21
	v_mul_f32_e32 v21, v28, v24
	v_mul_f32_e32 v22, v25, v24
	v_fma_f32 v21, v25, v23, -v21
	v_fmac_f32_e32 v22, v28, v23
	v_add_u32_e64 v23, s18, 0
	ds_write2_b64 v23, v[21:22], v[21:22] offset0:29 offset1:92
.LBB167_542:
	s_or_b64 exec, exec, s[6:7]
	v_mov_b32_e32 v21, 0
	v_mov_b32_e32 v22, 0
	s_waitcnt lgkmcnt(0)
	s_barrier
	s_and_saveexec_b64 s[6:7], s[22:23]
	s_cbranch_execz .LBB167_546
; %bb.543:
	v_mul_u32_u24_e32 v23, 0x208, v5
	ds_read_b64 v[21:22], v3 offset:14576
	ds_read_b64 v[23:24], v23 offset:14560
	v_cmp_gt_u32_e64 s[18:19], 2, v1
	s_waitcnt lgkmcnt(0)
	v_mul_f32_e32 v25, v24, v22
	v_mul_f32_e32 v22, v23, v22
	v_fma_f32 v23, v23, v21, -v25
	v_fmac_f32_e32 v22, v24, v21
	v_add_f32_e32 v21, 0, v23
	v_add_f32_e32 v23, 0, v22
	s_and_saveexec_b64 s[20:21], s[18:19]
	s_cbranch_execz .LBB167_545
; %bb.544:
	v_lshlrev_b32_e32 v22, 3, v0
	v_mov_b32_e32 v26, 0
	ds_read_b64 v[24:25], v22 offset:15088
	ds_read_b64 v[26:27], v26 offset:14568
	s_waitcnt lgkmcnt(0)
	v_mul_f32_e32 v22, v27, v25
	v_mul_f32_e32 v25, v26, v25
	v_fma_f32 v22, v26, v24, -v22
	v_fmac_f32_e32 v25, v27, v24
	v_add_f32_e32 v21, v21, v22
	v_add_f32_e32 v23, v23, v25
.LBB167_545:
	s_or_b64 exec, exec, s[20:21]
	v_xor_b32_e32 v22, 0x80000000, v21
	v_xor_b32_e32 v21, 0x80000000, v23
.LBB167_546:
	s_or_b64 exec, exec, s[6:7]
	s_and_saveexec_b64 s[6:7], s[44:45]
	s_cbranch_execz .LBB167_548
; %bb.547:
	v_mov_b32_e32 v23, 0
	ds_read_b64 v[23:24], v23 offset:15600
	s_waitcnt lgkmcnt(0)
	v_mul_f32_e32 v26, v21, v24
	v_mul_f32_e32 v25, v22, v24
	v_fma_f32 v24, v22, v23, -v26
	v_fmac_f32_e32 v25, v21, v23
	v_mov_b32_e32 v22, v24
	v_mov_b32_e32 v21, v25
	ds_write_b64 v4, v[24:25]
.LBB167_548:
	s_or_b64 exec, exec, s[6:7]
	s_waitcnt lgkmcnt(0)
	s_barrier
	s_and_saveexec_b64 s[6:7], s[42:43]
	s_cbranch_execz .LBB167_550
; %bb.549:
	v_mov_b32_e32 v23, 0
	ds_read_b64 v[23:24], v23 offset:15608
	ds_read_b64 v[25:26], v4
	s_waitcnt lgkmcnt(0)
	v_mul_f32_e32 v27, v26, v24
	v_mul_f32_e32 v24, v25, v24
	v_fma_f32 v25, v25, v23, -v27
	v_fmac_f32_e32 v24, v26, v23
	v_add_f32_e32 v22, v22, v25
	v_add_f32_e32 v21, v21, v24
.LBB167_550:
	s_or_b64 exec, exec, s[6:7]
	s_barrier
	s_and_saveexec_b64 s[6:7], s[42:43]
	s_cbranch_execz .LBB167_552
; %bb.551:
	v_mov_b32_e32 v23, 0
	ds_read_b64 v[23:24], v23 offset:16120
	s_waitcnt lgkmcnt(0)
	v_mul_f32_e32 v26, v21, v24
	v_mul_f32_e32 v25, v22, v24
	v_fma_f32 v24, v22, v23, -v26
	v_fmac_f32_e32 v25, v21, v23
	v_mov_b32_e32 v22, v24
	v_mov_b32_e32 v21, v25
	ds_write_b64 v4, v[24:25]
.LBB167_552:
	s_or_b64 exec, exec, s[6:7]
	s_waitcnt lgkmcnt(0)
	s_barrier
	s_barrier
	s_and_saveexec_b64 s[6:7], s[22:23]
; %bb.553:
	v_xor_b32_e32 v23, 0x80000000, v21
	v_xor_b32_e32 v22, 0x80000000, v22
	ds_write_b64 v3, v[22:23] offset:14576
; %bb.554:
	s_or_b64 exec, exec, s[6:7]
	s_waitcnt lgkmcnt(0)
	s_barrier
	s_barrier
	s_and_saveexec_b64 s[6:7], s[46:47]
	s_cbranch_execz .LBB167_556
; %bb.555:
	v_lshlrev_b32_e32 v23, 3, v0
	s_movk_i32 s18, 0x1f8
	v_mad_u32_u24 v24, v0, s18, v23
	ds_read_b64 v[21:22], v24 offset:14576
	s_waitcnt lgkmcnt(0)
	ds_write_b64 v23, v[21:22] offset:15584
	ds_read_b64 v[21:22], v24 offset:14584
	s_waitcnt lgkmcnt(0)
	ds_write_b64 v23, v[21:22] offset:16096
.LBB167_556:
	s_or_b64 exec, exec, s[6:7]
	s_waitcnt lgkmcnt(0)
	s_barrier
	s_and_saveexec_b64 s[6:7], vcc
	s_cbranch_execz .LBB167_558
; %bb.557:
	v_mov_b32_e32 v25, 0
	ds_read_b128 v[21:24], v25 offset:15600
	ds_read_b64 v[25:26], v25 offset:16120
	s_movk_i32 s18, 0x3800
	s_waitcnt lgkmcnt(0)
	v_mul_f32_e32 v27, v26, v22
	v_mul_f32_e32 v28, v25, v22
	v_fma_f32 v25, v25, v21, -v27
	v_fmac_f32_e32 v28, v26, v21
	v_mul_f32_e32 v21, v28, v24
	v_mul_f32_e32 v22, v25, v24
	v_fma_f32 v21, v25, v23, -v21
	v_fmac_f32_e32 v22, v28, v23
	v_add_u32_e64 v23, s18, 0
	ds_write2_b64 v23, v[21:22], v[21:22] offset0:159 offset1:222
.LBB167_558:
	s_or_b64 exec, exec, s[6:7]
	s_movk_i32 s6, 0x3ff
	v_lshrrev_b32_e32 v23, 5, v1
	v_cmp_lt_u32_e64 s[20:21], s6, v1
	s_movk_i32 s6, 0x400
	v_and_b32_e32 v21, 31, v0
	v_cmp_gt_u32_e64 s[18:19], s6, v1
	v_lshlrev_b32_e32 v22, 9, v23
	v_mov_b32_e32 v24, 0
	v_mov_b32_e32 v26, 0
	s_waitcnt lgkmcnt(0)
	s_barrier
	s_and_saveexec_b64 s[6:7], s[18:19]
	s_cbranch_execz .LBB167_620
; %bb.559:
	v_lshlrev_b32_e32 v26, 3, v21
	v_add_u32_e32 v28, v26, v22
	v_mul_u32_u24_e32 v27, 0x208, v23
	ds_read_b64 v[24:25], v28 offset:256
	ds_read_b64 v[29:30], v27
	s_movk_i32 s24, 0x3e0
	v_cmp_gt_u32_e64 s[24:25], s24, v1
	s_waitcnt lgkmcnt(0)
	v_mul_f32_e32 v31, v30, v25
	v_mul_f32_e32 v25, v29, v25
	v_fma_f32 v29, v29, v24, -v31
	v_fmac_f32_e32 v25, v30, v24
	v_add_f32_e32 v24, 0, v29
	v_add_f32_e32 v25, 0, v25
	s_and_saveexec_b64 s[40:41], s[24:25]
	s_cbranch_execz .LBB167_561
; %bb.560:
	ds_read_b64 v[29:30], v28 offset:768
	ds_read_b64 v[31:32], v27 offset:8
	s_waitcnt lgkmcnt(0)
	v_mul_f32_e32 v33, v32, v30
	v_mul_f32_e32 v30, v31, v30
	v_fma_f32 v31, v31, v29, -v33
	v_fmac_f32_e32 v30, v32, v29
	v_add_f32_e32 v24, v24, v31
	v_add_f32_e32 v25, v25, v30
.LBB167_561:
	s_or_b64 exec, exec, s[40:41]
	s_movk_i32 s24, 0x3c0
	v_cmp_gt_u32_e64 s[24:25], s24, v1
	s_and_saveexec_b64 s[40:41], s[24:25]
	s_cbranch_execz .LBB167_563
; %bb.562:
	ds_read_b64 v[29:30], v28 offset:1280
	ds_read_b64 v[31:32], v27 offset:16
	s_waitcnt lgkmcnt(0)
	v_mul_f32_e32 v33, v32, v30
	v_mul_f32_e32 v30, v31, v30
	v_fma_f32 v31, v31, v29, -v33
	v_fmac_f32_e32 v30, v32, v29
	v_add_f32_e32 v24, v24, v31
	v_add_f32_e32 v25, v25, v30
.LBB167_563:
	s_or_b64 exec, exec, s[40:41]
	s_movk_i32 s24, 0x3a0
	v_cmp_gt_u32_e64 s[24:25], s24, v1
	;; [unrolled: 16-line block ×28, first 2 shown]
	s_and_saveexec_b64 s[40:41], s[24:25]
	s_cbranch_execnz .LBB167_1140
; %bb.616:
	s_or_b64 exec, exec, s[40:41]
	v_cmp_gt_u32_e64 s[24:25], 64, v1
	s_and_saveexec_b64 s[40:41], s[24:25]
	s_cbranch_execnz .LBB167_1141
.LBB167_617:
	s_or_b64 exec, exec, s[40:41]
	v_cmp_gt_u32_e64 s[24:25], 32, v1
	s_and_saveexec_b64 s[40:41], s[24:25]
	s_cbranch_execz .LBB167_619
.LBB167_618:
	ds_read_b64 v[28:29], v26 offset:16128
	ds_read_b64 v[26:27], v27 offset:248
	s_waitcnt lgkmcnt(0)
	v_mul_f32_e32 v30, v27, v29
	v_mul_f32_e32 v29, v26, v29
	v_fma_f32 v26, v26, v28, -v30
	v_fmac_f32_e32 v29, v27, v28
	v_add_f32_e32 v24, v24, v26
	v_add_f32_e32 v25, v25, v29
.LBB167_619:
	s_or_b64 exec, exec, s[40:41]
	v_xor_b32_e32 v26, 0x80000000, v24
	v_xor_b32_e32 v24, 0x80000000, v25
.LBB167_620:
	s_or_b64 exec, exec, s[6:7]
	v_mov_b32_e32 v25, 0x8000
	v_lshl_or_b32 v23, v23, 3, v25
	v_mul_u32_u24_e32 v25, 0x208, v21
	v_lshlrev_b32_e32 v27, 9, v21
	v_sub_u32_e32 v27, v25, v27
	v_add_u32_e32 v27, 0x4100, v27
	s_mov_b32 s24, 0
	s_xor_b64 s[6:7], s[20:21], -1
	v_mov_b32_e32 v28, v21
	s_branch .LBB167_622
.LBB167_621:                            ;   in Loop: Header=BB167_622 Depth=1
	s_or_b64 exec, exec, s[20:21]
	s_add_i32 s24, s24, 2
	v_add_u32_e32 v27, 0x400, v27
	s_cmp_eq_u32 s24, 32
	v_add_u32_e32 v28, -2, v28
	s_barrier
	s_cbranch_scc1 .LBB167_630
.LBB167_622:                            ; =>This Inner Loop Header: Depth=1
	v_cmp_eq_u32_e64 s[20:21], 0, v28
	s_and_b64 s[40:41], s[6:7], s[20:21]
	s_and_saveexec_b64 s[20:21], s[40:41]
	s_cbranch_execz .LBB167_624
; %bb.623:                              ;   in Loop: Header=BB167_622 Depth=1
	ds_read_b64 v[29:30], v25 offset:16640
	s_waitcnt lgkmcnt(0)
	v_mul_f32_e32 v32, v24, v30
	v_mul_f32_e32 v31, v26, v30
	v_fma_f32 v30, v26, v29, -v32
	v_fmac_f32_e32 v31, v24, v29
	v_mov_b32_e32 v26, v30
	v_mov_b32_e32 v24, v31
	ds_write_b64 v23, v[30:31]
.LBB167_624:                            ;   in Loop: Header=BB167_622 Depth=1
	s_or_b64 exec, exec, s[20:21]
	v_cmp_lt_u32_e64 s[20:21], s24, v21
	s_and_b64 s[40:41], s[6:7], s[20:21]
	s_waitcnt lgkmcnt(0)
	s_barrier
	s_and_saveexec_b64 s[20:21], s[40:41]
	s_cbranch_execz .LBB167_626
; %bb.625:                              ;   in Loop: Header=BB167_622 Depth=1
	ds_read_b64 v[29:30], v27
	ds_read_b64 v[31:32], v23
	s_waitcnt lgkmcnt(0)
	v_mul_f32_e32 v33, v32, v30
	v_mul_f32_e32 v30, v31, v30
	v_fma_f32 v31, v31, v29, -v33
	v_fmac_f32_e32 v30, v32, v29
	v_add_f32_e32 v26, v26, v31
	v_add_f32_e32 v24, v24, v30
.LBB167_626:                            ;   in Loop: Header=BB167_622 Depth=1
	s_or_b64 exec, exec, s[20:21]
	s_or_b32 s25, s24, 1
	v_cmp_eq_u32_e64 s[20:21], s25, v21
	s_and_b64 s[40:41], s[6:7], s[20:21]
	s_barrier
	s_and_saveexec_b64 s[20:21], s[40:41]
	s_cbranch_execz .LBB167_628
; %bb.627:                              ;   in Loop: Header=BB167_622 Depth=1
	ds_read_b64 v[29:30], v25 offset:16640
	s_waitcnt lgkmcnt(0)
	v_mul_f32_e32 v32, v24, v30
	v_mul_f32_e32 v31, v26, v30
	v_fma_f32 v30, v26, v29, -v32
	v_fmac_f32_e32 v31, v24, v29
	v_mov_b32_e32 v26, v30
	v_mov_b32_e32 v24, v31
	ds_write_b64 v23, v[30:31]
.LBB167_628:                            ;   in Loop: Header=BB167_622 Depth=1
	s_or_b64 exec, exec, s[20:21]
	v_cmp_lt_u32_e64 s[20:21], s25, v21
	s_and_b64 s[40:41], s[6:7], s[20:21]
	s_waitcnt lgkmcnt(0)
	s_barrier
	s_and_saveexec_b64 s[20:21], s[40:41]
	s_cbranch_execz .LBB167_621
; %bb.629:                              ;   in Loop: Header=BB167_622 Depth=1
	ds_read_b64 v[29:30], v27 offset:512
	ds_read_b64 v[31:32], v23
	s_waitcnt lgkmcnt(0)
	v_mul_f32_e32 v33, v32, v30
	v_mul_f32_e32 v30, v31, v30
	v_fma_f32 v31, v31, v29, -v33
	v_fmac_f32_e32 v30, v32, v29
	v_add_f32_e32 v26, v26, v31
	v_add_f32_e32 v24, v24, v30
	s_branch .LBB167_621
.LBB167_630:
	s_and_saveexec_b64 s[6:7], s[18:19]
; %bb.631:
	v_lshl_add_u32 v23, v21, 3, v22
	v_xor_b32_e32 v22, 0x80000000, v24
	v_xor_b32_e32 v21, 0x80000000, v26
	ds_write_b64 v23, v[21:22] offset:256
; %bb.632:
	s_or_b64 exec, exec, s[6:7]
	v_cmp_gt_u32_e64 s[18:19], 32, v0
	s_and_b64 s[16:17], s[16:17], s[18:19]
	s_waitcnt lgkmcnt(0)
	s_barrier
	s_barrier
	s_and_saveexec_b64 s[6:7], s[16:17]
	s_cbranch_execz .LBB167_634
; %bb.633:
	v_lshlrev_b32_e32 v23, 9, v0
	ds_read_b64 v[21:22], v23 offset:256
	s_movk_i32 s16, 0xfe08
	v_mad_i32_i24 v24, v0, s16, v23
	s_waitcnt lgkmcnt(0)
	ds_write_b64 v24, v[21:22] offset:16384
	ds_read_b64 v[21:22], v23 offset:264
	s_waitcnt lgkmcnt(0)
	ds_write_b64 v24, v[21:22] offset:16896
	ds_read_b64 v[21:22], v23 offset:272
	;; [unrolled: 3-line block ×31, first 2 shown]
	s_waitcnt lgkmcnt(0)
	ds_write_b64 v24, v[21:22] offset:32256
.LBB167_634:
	s_or_b64 exec, exec, s[6:7]
	s_waitcnt lgkmcnt(0)
	s_barrier
	s_and_saveexec_b64 s[6:7], vcc
	s_cbranch_execz .LBB167_636
; %bb.635:
	v_mov_b32_e32 v25, 0
	ds_read_b128 v[21:24], v25 offset:16640
	ds_read_b64 v[25:26], v25 offset:17160
	s_movk_i32 s16, 0x4000
	s_waitcnt lgkmcnt(0)
	v_mul_f32_e32 v27, v26, v22
	v_mul_f32_e32 v28, v25, v22
	v_fma_f32 v25, v25, v21, -v27
	v_fmac_f32_e32 v28, v26, v21
	v_mul_f32_e32 v21, v28, v24
	v_mul_f32_e32 v22, v25, v24
	v_fma_f32 v21, v25, v23, -v21
	v_fmac_f32_e32 v22, v28, v23
	v_add_u32_e64 v23, s16, 0
	ds_write2_b64 v23, v[21:22], v[21:22] offset0:33 offset1:96
.LBB167_636:
	s_or_b64 exec, exec, s[6:7]
	v_mov_b32_e32 v21, 0
	v_mov_b32_e32 v22, 0
	s_waitcnt lgkmcnt(0)
	s_barrier
	s_and_saveexec_b64 s[6:7], s[22:23]
	s_cbranch_execz .LBB167_640
; %bb.637:
	v_mul_u32_u24_e32 v23, 0x208, v5
	ds_read_b64 v[21:22], v3 offset:16656
	ds_read_b64 v[23:24], v23 offset:16640
	v_cmp_gt_u32_e64 s[16:17], 2, v1
	s_waitcnt lgkmcnt(0)
	v_mul_f32_e32 v25, v24, v22
	v_mul_f32_e32 v22, v23, v22
	v_fma_f32 v23, v23, v21, -v25
	v_fmac_f32_e32 v22, v24, v21
	v_add_f32_e32 v21, 0, v23
	v_add_f32_e32 v23, 0, v22
	s_and_saveexec_b64 s[18:19], s[16:17]
	s_cbranch_execz .LBB167_639
; %bb.638:
	v_lshlrev_b32_e32 v22, 3, v0
	v_mov_b32_e32 v26, 0
	ds_read_b64 v[24:25], v22 offset:17168
	ds_read_b64 v[26:27], v26 offset:16648
	s_waitcnt lgkmcnt(0)
	v_mul_f32_e32 v22, v27, v25
	v_mul_f32_e32 v25, v26, v25
	v_fma_f32 v22, v26, v24, -v22
	v_fmac_f32_e32 v25, v27, v24
	v_add_f32_e32 v21, v21, v22
	v_add_f32_e32 v23, v23, v25
.LBB167_639:
	s_or_b64 exec, exec, s[18:19]
	v_xor_b32_e32 v22, 0x80000000, v21
	v_xor_b32_e32 v21, 0x80000000, v23
.LBB167_640:
	s_or_b64 exec, exec, s[6:7]
	s_and_saveexec_b64 s[6:7], s[44:45]
	s_cbranch_execz .LBB167_642
; %bb.641:
	v_mov_b32_e32 v23, 0
	ds_read_b64 v[23:24], v23 offset:17680
	s_waitcnt lgkmcnt(0)
	v_mul_f32_e32 v26, v21, v24
	v_mul_f32_e32 v25, v22, v24
	v_fma_f32 v24, v22, v23, -v26
	v_fmac_f32_e32 v25, v21, v23
	v_mov_b32_e32 v22, v24
	v_mov_b32_e32 v21, v25
	ds_write_b64 v4, v[24:25]
.LBB167_642:
	s_or_b64 exec, exec, s[6:7]
	s_waitcnt lgkmcnt(0)
	s_barrier
	s_and_saveexec_b64 s[6:7], s[42:43]
	s_cbranch_execz .LBB167_644
; %bb.643:
	v_mov_b32_e32 v23, 0
	ds_read_b64 v[23:24], v23 offset:17688
	ds_read_b64 v[25:26], v4
	s_waitcnt lgkmcnt(0)
	v_mul_f32_e32 v27, v26, v24
	v_mul_f32_e32 v24, v25, v24
	v_fma_f32 v25, v25, v23, -v27
	v_fmac_f32_e32 v24, v26, v23
	v_add_f32_e32 v22, v22, v25
	v_add_f32_e32 v21, v21, v24
.LBB167_644:
	s_or_b64 exec, exec, s[6:7]
	s_barrier
	s_and_saveexec_b64 s[6:7], s[42:43]
	s_cbranch_execz .LBB167_646
; %bb.645:
	v_mov_b32_e32 v23, 0
	ds_read_b64 v[23:24], v23 offset:18200
	s_waitcnt lgkmcnt(0)
	v_mul_f32_e32 v26, v21, v24
	v_mul_f32_e32 v25, v22, v24
	v_fma_f32 v24, v22, v23, -v26
	v_fmac_f32_e32 v25, v21, v23
	v_mov_b32_e32 v22, v24
	v_mov_b32_e32 v21, v25
	ds_write_b64 v4, v[24:25]
.LBB167_646:
	s_or_b64 exec, exec, s[6:7]
	s_waitcnt lgkmcnt(0)
	s_barrier
	s_barrier
	s_and_saveexec_b64 s[6:7], s[22:23]
; %bb.647:
	v_xor_b32_e32 v23, 0x80000000, v21
	v_xor_b32_e32 v22, 0x80000000, v22
	ds_write_b64 v3, v[22:23] offset:16656
; %bb.648:
	s_or_b64 exec, exec, s[6:7]
	s_waitcnt lgkmcnt(0)
	s_barrier
	s_barrier
	s_and_saveexec_b64 s[6:7], s[46:47]
	s_cbranch_execz .LBB167_650
; %bb.649:
	v_lshlrev_b32_e32 v23, 3, v0
	s_movk_i32 s16, 0x1f8
	v_mad_u32_u24 v24, v0, s16, v23
	ds_read_b64 v[21:22], v24 offset:16656
	s_waitcnt lgkmcnt(0)
	ds_write_b64 v23, v[21:22] offset:17664
	ds_read_b64 v[21:22], v24 offset:16664
	s_waitcnt lgkmcnt(0)
	ds_write_b64 v23, v[21:22] offset:18176
.LBB167_650:
	s_or_b64 exec, exec, s[6:7]
	s_waitcnt lgkmcnt(0)
	s_barrier
	s_and_saveexec_b64 s[6:7], vcc
	s_cbranch_execz .LBB167_652
; %bb.651:
	v_mov_b32_e32 v25, 0
	ds_read_b128 v[21:24], v25 offset:17680
	ds_read_b64 v[25:26], v25 offset:18200
	s_movk_i32 s16, 0x4000
	s_waitcnt lgkmcnt(0)
	v_mul_f32_e32 v27, v26, v22
	v_mul_f32_e32 v28, v25, v22
	v_fma_f32 v25, v25, v21, -v27
	v_fmac_f32_e32 v28, v26, v21
	v_mul_f32_e32 v21, v28, v24
	v_mul_f32_e32 v22, v25, v24
	v_fma_f32 v21, v25, v23, -v21
	v_fmac_f32_e32 v22, v28, v23
	v_add_u32_e64 v23, s16, 0
	ds_write2_b64 v23, v[21:22], v[21:22] offset0:163 offset1:226
.LBB167_652:
	s_or_b64 exec, exec, s[6:7]
	v_mov_b32_e32 v21, 0
	v_mov_b32_e32 v22, 0
	s_waitcnt lgkmcnt(0)
	s_barrier
	s_and_saveexec_b64 s[6:7], s[10:11]
	s_cbranch_execz .LBB167_658
; %bb.653:
	v_mul_u32_u24_e32 v22, 0x208, v10
	ds_read_b64 v[23:24], v6 offset:16672
	ds_read_b64 v[25:26], v22 offset:16640
	v_cmp_gt_u32_e64 s[16:17], 12, v1
	s_waitcnt lgkmcnt(0)
	v_mul_f32_e32 v21, v26, v24
	v_mul_f32_e32 v24, v25, v24
	v_fma_f32 v21, v25, v23, -v21
	v_fmac_f32_e32 v24, v26, v23
	v_add_f32_e32 v21, 0, v21
	v_add_f32_e32 v23, 0, v24
	s_and_saveexec_b64 s[18:19], s[16:17]
	s_cbranch_execnz .LBB167_1142
; %bb.654:
	s_or_b64 exec, exec, s[18:19]
	v_cmp_gt_u32_e64 s[16:17], 8, v1
	s_and_saveexec_b64 s[18:19], s[16:17]
	s_cbranch_execnz .LBB167_1143
.LBB167_655:
	s_or_b64 exec, exec, s[18:19]
	v_cmp_gt_u32_e64 s[16:17], 4, v1
	s_and_saveexec_b64 s[18:19], s[16:17]
	s_cbranch_execz .LBB167_657
.LBB167_656:
	v_lshlrev_b32_e32 v22, 3, v0
	v_mov_b32_e32 v26, 0
	ds_read_b64 v[24:25], v22 offset:18208
	ds_read_b64 v[26:27], v26 offset:16664
	s_waitcnt lgkmcnt(0)
	v_mul_f32_e32 v22, v27, v25
	v_mul_f32_e32 v25, v26, v25
	v_fma_f32 v22, v26, v24, -v22
	v_fmac_f32_e32 v25, v27, v24
	v_add_f32_e32 v21, v21, v22
	v_add_f32_e32 v23, v23, v25
.LBB167_657:
	s_or_b64 exec, exec, s[18:19]
	v_xor_b32_e32 v22, 0x80000000, v21
	v_xor_b32_e32 v21, 0x80000000, v23
.LBB167_658:
	s_or_b64 exec, exec, s[6:7]
	s_and_saveexec_b64 s[6:7], s[50:51]
	s_cbranch_execz .LBB167_660
; %bb.659:
	v_mov_b32_e32 v23, 0
	ds_read_b64 v[23:24], v23 offset:18720
	s_waitcnt lgkmcnt(0)
	v_mul_f32_e32 v26, v21, v24
	v_mul_f32_e32 v25, v22, v24
	v_fma_f32 v24, v22, v23, -v26
	v_fmac_f32_e32 v25, v21, v23
	v_mov_b32_e32 v22, v24
	v_mov_b32_e32 v21, v25
	ds_write_b64 v8, v[24:25]
.LBB167_660:
	s_or_b64 exec, exec, s[6:7]
	s_waitcnt lgkmcnt(0)
	s_barrier
	s_and_saveexec_b64 s[6:7], s[52:53]
	s_cbranch_execz .LBB167_662
; %bb.661:
	ds_read_b64 v[23:24], v7 offset:18720
	ds_read_b64 v[25:26], v8
	s_waitcnt lgkmcnt(0)
	v_mul_f32_e32 v27, v26, v24
	v_mul_f32_e32 v24, v25, v24
	v_fma_f32 v25, v25, v23, -v27
	v_fmac_f32_e32 v24, v26, v23
	v_add_f32_e32 v22, v22, v25
	v_add_f32_e32 v21, v21, v24
.LBB167_662:
	s_or_b64 exec, exec, s[6:7]
	s_barrier
	s_and_saveexec_b64 s[6:7], s[54:55]
	s_cbranch_execz .LBB167_664
; %bb.663:
	v_mov_b32_e32 v23, 0
	ds_read_b64 v[23:24], v23 offset:19240
	s_waitcnt lgkmcnt(0)
	v_mul_f32_e32 v26, v21, v24
	v_mul_f32_e32 v25, v22, v24
	v_fma_f32 v24, v22, v23, -v26
	v_fmac_f32_e32 v25, v21, v23
	v_mov_b32_e32 v22, v24
	v_mov_b32_e32 v21, v25
	ds_write_b64 v8, v[24:25]
.LBB167_664:
	s_or_b64 exec, exec, s[6:7]
	s_waitcnt lgkmcnt(0)
	s_barrier
	s_and_saveexec_b64 s[6:7], s[56:57]
	s_cbranch_execz .LBB167_666
; %bb.665:
	ds_read_b64 v[23:24], v7 offset:19232
	ds_read_b64 v[25:26], v8
	s_waitcnt lgkmcnt(0)
	v_mul_f32_e32 v27, v26, v24
	v_mul_f32_e32 v24, v25, v24
	v_fma_f32 v25, v25, v23, -v27
	v_fmac_f32_e32 v24, v26, v23
	v_add_f32_e32 v22, v22, v25
	v_add_f32_e32 v21, v21, v24
.LBB167_666:
	s_or_b64 exec, exec, s[6:7]
	s_barrier
	s_and_saveexec_b64 s[6:7], s[58:59]
	s_cbranch_execz .LBB167_668
; %bb.667:
	v_mov_b32_e32 v23, 0
	ds_read_b64 v[23:24], v23 offset:19760
	s_waitcnt lgkmcnt(0)
	v_mul_f32_e32 v26, v21, v24
	v_mul_f32_e32 v25, v22, v24
	v_fma_f32 v24, v22, v23, -v26
	v_fmac_f32_e32 v25, v21, v23
	v_mov_b32_e32 v22, v24
	v_mov_b32_e32 v21, v25
	ds_write_b64 v8, v[24:25]
.LBB167_668:
	s_or_b64 exec, exec, s[6:7]
	s_waitcnt lgkmcnt(0)
	s_barrier
	s_and_saveexec_b64 s[6:7], s[48:49]
	s_cbranch_execz .LBB167_670
; %bb.669:
	v_mov_b32_e32 v23, 0
	ds_read_b64 v[23:24], v23 offset:19768
	ds_read_b64 v[25:26], v8
	s_waitcnt lgkmcnt(0)
	v_mul_f32_e32 v27, v26, v24
	v_mul_f32_e32 v24, v25, v24
	v_fma_f32 v25, v25, v23, -v27
	v_fmac_f32_e32 v24, v26, v23
	v_add_f32_e32 v22, v22, v25
	v_add_f32_e32 v21, v21, v24
.LBB167_670:
	s_or_b64 exec, exec, s[6:7]
	s_barrier
	s_and_saveexec_b64 s[6:7], s[48:49]
	s_cbranch_execz .LBB167_672
; %bb.671:
	v_mov_b32_e32 v23, 0
	ds_read_b64 v[23:24], v23 offset:20280
	s_waitcnt lgkmcnt(0)
	v_mul_f32_e32 v26, v21, v24
	v_mul_f32_e32 v25, v22, v24
	v_fma_f32 v24, v22, v23, -v26
	v_fmac_f32_e32 v25, v21, v23
	v_mov_b32_e32 v22, v24
	v_mov_b32_e32 v21, v25
	ds_write_b64 v8, v[24:25]
.LBB167_672:
	s_or_b64 exec, exec, s[6:7]
	s_waitcnt lgkmcnt(0)
	s_barrier
	s_barrier
	s_and_saveexec_b64 s[6:7], s[10:11]
; %bb.673:
	v_xor_b32_e32 v22, 0x80000000, v22
	v_xor_b32_e32 v23, 0x80000000, v21
	ds_write_b64 v6, v[22:23] offset:16672
; %bb.674:
	s_or_b64 exec, exec, s[6:7]
	s_waitcnt lgkmcnt(0)
	s_barrier
	s_barrier
	s_and_saveexec_b64 s[6:7], s[60:61]
	s_cbranch_execz .LBB167_676
; %bb.675:
	v_lshlrev_b32_e32 v23, 9, v0
	ds_read_b64 v[21:22], v23 offset:16672
	s_movk_i32 s16, 0xfe08
	v_mad_i32_i24 v24, v0, s16, v23
	s_waitcnt lgkmcnt(0)
	ds_write_b64 v24, v[21:22] offset:18688
	ds_read_b64 v[21:22], v23 offset:16680
	s_waitcnt lgkmcnt(0)
	ds_write_b64 v24, v[21:22] offset:19200
	ds_read_b64 v[21:22], v23 offset:16688
	;; [unrolled: 3-line block ×3, first 2 shown]
	s_waitcnt lgkmcnt(0)
	ds_write_b64 v24, v[21:22] offset:20224
.LBB167_676:
	s_or_b64 exec, exec, s[6:7]
	s_waitcnt lgkmcnt(0)
	s_barrier
	s_and_saveexec_b64 s[6:7], vcc
	s_cbranch_execz .LBB167_678
; %bb.677:
	v_mov_b32_e32 v25, 0
	ds_read_b128 v[21:24], v25 offset:18720
	ds_read_b64 v[25:26], v25 offset:19240
	s_movk_i32 s16, 0x4800
	s_waitcnt lgkmcnt(0)
	v_mul_f32_e32 v27, v26, v22
	v_mul_f32_e32 v28, v25, v22
	v_fma_f32 v25, v25, v21, -v27
	v_fmac_f32_e32 v28, v26, v21
	v_mul_f32_e32 v21, v28, v24
	v_mul_f32_e32 v22, v25, v24
	v_fma_f32 v21, v25, v23, -v21
	v_fmac_f32_e32 v22, v28, v23
	v_add_u32_e64 v23, s16, 0
	ds_write2_b64 v23, v[21:22], v[21:22] offset0:37 offset1:100
.LBB167_678:
	s_or_b64 exec, exec, s[6:7]
	v_mov_b32_e32 v21, 0
	v_mov_b32_e32 v22, 0
	s_waitcnt lgkmcnt(0)
	s_barrier
	s_and_saveexec_b64 s[6:7], s[22:23]
	s_cbranch_execz .LBB167_682
; %bb.679:
	v_mul_u32_u24_e32 v23, 0x208, v5
	ds_read_b64 v[21:22], v3 offset:18736
	ds_read_b64 v[23:24], v23 offset:18720
	v_cmp_gt_u32_e64 s[16:17], 2, v1
	s_waitcnt lgkmcnt(0)
	v_mul_f32_e32 v25, v24, v22
	v_mul_f32_e32 v22, v23, v22
	v_fma_f32 v23, v23, v21, -v25
	v_fmac_f32_e32 v22, v24, v21
	v_add_f32_e32 v21, 0, v23
	v_add_f32_e32 v23, 0, v22
	s_and_saveexec_b64 s[18:19], s[16:17]
	s_cbranch_execz .LBB167_681
; %bb.680:
	v_lshlrev_b32_e32 v22, 3, v0
	v_mov_b32_e32 v26, 0
	ds_read_b64 v[24:25], v22 offset:19248
	ds_read_b64 v[26:27], v26 offset:18728
	s_waitcnt lgkmcnt(0)
	v_mul_f32_e32 v22, v27, v25
	v_mul_f32_e32 v25, v26, v25
	v_fma_f32 v22, v26, v24, -v22
	v_fmac_f32_e32 v25, v27, v24
	v_add_f32_e32 v21, v21, v22
	v_add_f32_e32 v23, v23, v25
.LBB167_681:
	s_or_b64 exec, exec, s[18:19]
	v_xor_b32_e32 v22, 0x80000000, v21
	v_xor_b32_e32 v21, 0x80000000, v23
.LBB167_682:
	s_or_b64 exec, exec, s[6:7]
	s_and_saveexec_b64 s[6:7], s[44:45]
	s_cbranch_execz .LBB167_684
; %bb.683:
	v_mov_b32_e32 v23, 0
	ds_read_b64 v[23:24], v23 offset:19760
	s_waitcnt lgkmcnt(0)
	v_mul_f32_e32 v26, v21, v24
	v_mul_f32_e32 v25, v22, v24
	v_fma_f32 v24, v22, v23, -v26
	v_fmac_f32_e32 v25, v21, v23
	v_mov_b32_e32 v22, v24
	v_mov_b32_e32 v21, v25
	ds_write_b64 v4, v[24:25]
.LBB167_684:
	s_or_b64 exec, exec, s[6:7]
	s_waitcnt lgkmcnt(0)
	s_barrier
	s_and_saveexec_b64 s[6:7], s[42:43]
	s_cbranch_execz .LBB167_686
; %bb.685:
	v_mov_b32_e32 v23, 0
	ds_read_b64 v[23:24], v23 offset:19768
	ds_read_b64 v[25:26], v4
	s_waitcnt lgkmcnt(0)
	v_mul_f32_e32 v27, v26, v24
	v_mul_f32_e32 v24, v25, v24
	v_fma_f32 v25, v25, v23, -v27
	v_fmac_f32_e32 v24, v26, v23
	v_add_f32_e32 v22, v22, v25
	v_add_f32_e32 v21, v21, v24
.LBB167_686:
	s_or_b64 exec, exec, s[6:7]
	s_barrier
	s_and_saveexec_b64 s[6:7], s[42:43]
	s_cbranch_execz .LBB167_688
; %bb.687:
	v_mov_b32_e32 v23, 0
	ds_read_b64 v[23:24], v23 offset:20280
	s_waitcnt lgkmcnt(0)
	v_mul_f32_e32 v26, v21, v24
	v_mul_f32_e32 v25, v22, v24
	v_fma_f32 v24, v22, v23, -v26
	v_fmac_f32_e32 v25, v21, v23
	v_mov_b32_e32 v22, v24
	v_mov_b32_e32 v21, v25
	ds_write_b64 v4, v[24:25]
.LBB167_688:
	s_or_b64 exec, exec, s[6:7]
	s_waitcnt lgkmcnt(0)
	s_barrier
	s_barrier
	s_and_saveexec_b64 s[6:7], s[22:23]
; %bb.689:
	v_xor_b32_e32 v23, 0x80000000, v21
	v_xor_b32_e32 v22, 0x80000000, v22
	ds_write_b64 v3, v[22:23] offset:18736
; %bb.690:
	s_or_b64 exec, exec, s[6:7]
	s_waitcnt lgkmcnt(0)
	s_barrier
	s_barrier
	s_and_saveexec_b64 s[6:7], s[46:47]
	s_cbranch_execz .LBB167_692
; %bb.691:
	v_lshlrev_b32_e32 v23, 3, v0
	s_movk_i32 s16, 0x1f8
	v_mad_u32_u24 v24, v0, s16, v23
	ds_read_b64 v[21:22], v24 offset:18736
	s_waitcnt lgkmcnt(0)
	ds_write_b64 v23, v[21:22] offset:19744
	ds_read_b64 v[21:22], v24 offset:18744
	s_waitcnt lgkmcnt(0)
	ds_write_b64 v23, v[21:22] offset:20256
.LBB167_692:
	s_or_b64 exec, exec, s[6:7]
	s_waitcnt lgkmcnt(0)
	s_barrier
	s_and_saveexec_b64 s[6:7], vcc
	s_cbranch_execz .LBB167_694
; %bb.693:
	v_mov_b32_e32 v25, 0
	ds_read_b128 v[21:24], v25 offset:19760
	ds_read_b64 v[25:26], v25 offset:20280
	s_movk_i32 s16, 0x4800
	s_waitcnt lgkmcnt(0)
	v_mul_f32_e32 v27, v26, v22
	v_mul_f32_e32 v28, v25, v22
	v_fma_f32 v25, v25, v21, -v27
	v_fmac_f32_e32 v28, v26, v21
	v_mul_f32_e32 v21, v28, v24
	v_mul_f32_e32 v22, v25, v24
	v_fma_f32 v21, v25, v23, -v21
	v_fmac_f32_e32 v22, v28, v23
	v_add_u32_e64 v23, s16, 0
	ds_write2_b64 v23, v[21:22], v[21:22] offset0:167 offset1:230
.LBB167_694:
	s_or_b64 exec, exec, s[6:7]
	v_mov_b32_e32 v21, 0
	v_mov_b32_e32 v22, 0
	s_waitcnt lgkmcnt(0)
	s_barrier
	s_and_saveexec_b64 s[6:7], s[12:13]
	s_cbranch_execz .LBB167_704
; %bb.695:
	v_mul_u32_u24_e32 v22, 0x208, v15
	ds_read_b64 v[23:24], v11 offset:16704
	ds_read_b64 v[25:26], v22 offset:16640
	v_cmp_gt_u32_e64 s[16:17], 56, v1
	s_waitcnt lgkmcnt(0)
	v_mul_f32_e32 v21, v26, v24
	v_mul_f32_e32 v24, v25, v24
	v_fma_f32 v21, v25, v23, -v21
	v_fmac_f32_e32 v24, v26, v23
	v_add_f32_e32 v21, 0, v21
	v_add_f32_e32 v23, 0, v24
	s_and_saveexec_b64 s[18:19], s[16:17]
	s_cbranch_execnz .LBB167_1144
; %bb.696:
	s_or_b64 exec, exec, s[18:19]
	v_cmp_gt_u32_e64 s[16:17], 48, v1
	s_and_saveexec_b64 s[18:19], s[16:17]
	s_cbranch_execnz .LBB167_1145
.LBB167_697:
	s_or_b64 exec, exec, s[18:19]
	v_cmp_gt_u32_e64 s[16:17], 40, v1
	s_and_saveexec_b64 s[18:19], s[16:17]
	s_cbranch_execnz .LBB167_1146
.LBB167_698:
	s_or_b64 exec, exec, s[18:19]
	v_cmp_gt_u32_e64 s[16:17], 32, v1
	s_and_saveexec_b64 s[18:19], s[16:17]
	s_cbranch_execnz .LBB167_1147
.LBB167_699:
	s_or_b64 exec, exec, s[18:19]
	v_cmp_gt_u32_e64 s[16:17], 24, v1
	s_and_saveexec_b64 s[18:19], s[16:17]
	s_cbranch_execnz .LBB167_1148
.LBB167_700:
	s_or_b64 exec, exec, s[18:19]
	v_cmp_gt_u32_e64 s[16:17], 16, v1
	s_and_saveexec_b64 s[18:19], s[16:17]
	s_cbranch_execnz .LBB167_1149
.LBB167_701:
	s_or_b64 exec, exec, s[18:19]
	v_cmp_gt_u32_e64 s[16:17], 8, v1
	s_and_saveexec_b64 s[18:19], s[16:17]
	s_cbranch_execz .LBB167_703
.LBB167_702:
	v_lshlrev_b32_e32 v22, 3, v0
	v_mov_b32_e32 v26, 0
	ds_read_b64 v[24:25], v22 offset:20288
	ds_read_b64 v[26:27], v26 offset:16696
	s_waitcnt lgkmcnt(0)
	v_mul_f32_e32 v22, v27, v25
	v_mul_f32_e32 v25, v26, v25
	v_fma_f32 v22, v26, v24, -v22
	v_fmac_f32_e32 v25, v27, v24
	v_add_f32_e32 v21, v21, v22
	v_add_f32_e32 v23, v23, v25
.LBB167_703:
	s_or_b64 exec, exec, s[18:19]
	v_xor_b32_e32 v22, 0x80000000, v21
	v_xor_b32_e32 v21, 0x80000000, v23
.LBB167_704:
	s_or_b64 exec, exec, s[6:7]
	s_and_saveexec_b64 s[6:7], s[64:65]
	s_cbranch_execz .LBB167_706
; %bb.705:
	v_mov_b32_e32 v23, 0
	ds_read_b64 v[23:24], v23 offset:20800
	s_waitcnt lgkmcnt(0)
	v_mul_f32_e32 v26, v21, v24
	v_mul_f32_e32 v25, v22, v24
	v_fma_f32 v24, v22, v23, -v26
	v_fmac_f32_e32 v25, v21, v23
	v_mov_b32_e32 v22, v24
	v_mov_b32_e32 v21, v25
	ds_write_b64 v13, v[24:25]
.LBB167_706:
	s_or_b64 exec, exec, s[6:7]
	s_waitcnt lgkmcnt(0)
	s_barrier
	s_and_saveexec_b64 s[6:7], s[66:67]
	s_cbranch_execz .LBB167_708
; %bb.707:
	ds_read_b64 v[23:24], v12 offset:20800
	ds_read_b64 v[25:26], v13
	s_waitcnt lgkmcnt(0)
	v_mul_f32_e32 v27, v26, v24
	v_mul_f32_e32 v24, v25, v24
	v_fma_f32 v25, v25, v23, -v27
	v_fmac_f32_e32 v24, v26, v23
	v_add_f32_e32 v22, v22, v25
	v_add_f32_e32 v21, v21, v24
.LBB167_708:
	s_or_b64 exec, exec, s[6:7]
	s_barrier
	s_and_saveexec_b64 s[6:7], s[68:69]
	s_cbranch_execz .LBB167_710
; %bb.709:
	v_mov_b32_e32 v23, 0
	ds_read_b64 v[23:24], v23 offset:21320
	s_waitcnt lgkmcnt(0)
	v_mul_f32_e32 v26, v21, v24
	v_mul_f32_e32 v25, v22, v24
	v_fma_f32 v24, v22, v23, -v26
	v_fmac_f32_e32 v25, v21, v23
	v_mov_b32_e32 v22, v24
	v_mov_b32_e32 v21, v25
	ds_write_b64 v13, v[24:25]
.LBB167_710:
	s_or_b64 exec, exec, s[6:7]
	s_waitcnt lgkmcnt(0)
	s_barrier
	s_and_saveexec_b64 s[6:7], s[70:71]
	s_cbranch_execz .LBB167_712
; %bb.711:
	ds_read_b64 v[23:24], v12 offset:21312
	ds_read_b64 v[25:26], v13
	s_waitcnt lgkmcnt(0)
	v_mul_f32_e32 v27, v26, v24
	v_mul_f32_e32 v24, v25, v24
	v_fma_f32 v25, v25, v23, -v27
	v_fmac_f32_e32 v24, v26, v23
	v_add_f32_e32 v22, v22, v25
	v_add_f32_e32 v21, v21, v24
.LBB167_712:
	s_or_b64 exec, exec, s[6:7]
	s_barrier
	;; [unrolled: 32-line block ×6, first 2 shown]
	s_and_saveexec_b64 s[6:7], s[88:89]
	s_cbranch_execz .LBB167_730
; %bb.729:
	v_mov_b32_e32 v23, 0
	ds_read_b64 v[23:24], v23 offset:23920
	s_waitcnt lgkmcnt(0)
	v_mul_f32_e32 v26, v21, v24
	v_mul_f32_e32 v25, v22, v24
	v_fma_f32 v24, v22, v23, -v26
	v_fmac_f32_e32 v25, v21, v23
	v_mov_b32_e32 v22, v24
	v_mov_b32_e32 v21, v25
	ds_write_b64 v13, v[24:25]
.LBB167_730:
	s_or_b64 exec, exec, s[6:7]
	s_waitcnt lgkmcnt(0)
	s_barrier
	s_and_saveexec_b64 s[6:7], s[62:63]
	s_cbranch_execz .LBB167_732
; %bb.731:
	v_mov_b32_e32 v23, 0
	ds_read_b64 v[23:24], v23 offset:23928
	ds_read_b64 v[25:26], v13
	s_waitcnt lgkmcnt(0)
	v_mul_f32_e32 v27, v26, v24
	v_mul_f32_e32 v24, v25, v24
	v_fma_f32 v25, v25, v23, -v27
	v_fmac_f32_e32 v24, v26, v23
	v_add_f32_e32 v22, v22, v25
	v_add_f32_e32 v21, v21, v24
.LBB167_732:
	s_or_b64 exec, exec, s[6:7]
	s_barrier
	s_and_saveexec_b64 s[6:7], s[62:63]
	s_cbranch_execz .LBB167_734
; %bb.733:
	v_mov_b32_e32 v23, 0
	ds_read_b64 v[23:24], v23 offset:24440
	s_waitcnt lgkmcnt(0)
	v_mul_f32_e32 v26, v21, v24
	v_mul_f32_e32 v25, v22, v24
	v_fma_f32 v24, v22, v23, -v26
	v_fmac_f32_e32 v25, v21, v23
	v_mov_b32_e32 v22, v24
	v_mov_b32_e32 v21, v25
	ds_write_b64 v13, v[24:25]
.LBB167_734:
	s_or_b64 exec, exec, s[6:7]
	s_waitcnt lgkmcnt(0)
	s_barrier
	s_barrier
	s_and_saveexec_b64 s[6:7], s[12:13]
; %bb.735:
	v_xor_b32_e32 v23, 0x80000000, v21
	v_xor_b32_e32 v22, 0x80000000, v22
	ds_write_b64 v11, v[22:23] offset:16704
; %bb.736:
	s_or_b64 exec, exec, s[6:7]
	s_waitcnt lgkmcnt(0)
	s_barrier
	s_barrier
	s_and_saveexec_b64 s[6:7], s[90:91]
	s_cbranch_execz .LBB167_738
; %bb.737:
	v_lshlrev_b32_e32 v23, 9, v0
	ds_read_b64 v[21:22], v23 offset:16704
	s_movk_i32 s16, 0xfe08
	v_mad_i32_i24 v24, v0, s16, v23
	s_waitcnt lgkmcnt(0)
	ds_write_b64 v24, v[21:22] offset:20736
	ds_read_b64 v[21:22], v23 offset:16712
	s_waitcnt lgkmcnt(0)
	ds_write_b64 v24, v[21:22] offset:21248
	ds_read_b64 v[21:22], v23 offset:16720
	;; [unrolled: 3-line block ×7, first 2 shown]
	s_waitcnt lgkmcnt(0)
	ds_write_b64 v24, v[21:22] offset:24320
.LBB167_738:
	s_or_b64 exec, exec, s[6:7]
	s_waitcnt lgkmcnt(0)
	s_barrier
	s_and_saveexec_b64 s[6:7], vcc
	s_cbranch_execz .LBB167_740
; %bb.739:
	v_mov_b32_e32 v25, 0
	ds_read_b128 v[21:24], v25 offset:20800
	ds_read_b64 v[25:26], v25 offset:21320
	s_movk_i32 s16, 0x5000
	s_waitcnt lgkmcnt(0)
	v_mul_f32_e32 v27, v26, v22
	v_mul_f32_e32 v28, v25, v22
	v_fma_f32 v25, v25, v21, -v27
	v_fmac_f32_e32 v28, v26, v21
	v_mul_f32_e32 v21, v28, v24
	v_mul_f32_e32 v22, v25, v24
	v_fma_f32 v21, v25, v23, -v21
	v_fmac_f32_e32 v22, v28, v23
	v_add_u32_e64 v23, s16, 0
	ds_write2_b64 v23, v[21:22], v[21:22] offset0:41 offset1:104
.LBB167_740:
	s_or_b64 exec, exec, s[6:7]
	v_mov_b32_e32 v21, 0
	v_mov_b32_e32 v22, 0
	s_waitcnt lgkmcnt(0)
	s_barrier
	s_and_saveexec_b64 s[6:7], s[22:23]
	s_cbranch_execz .LBB167_744
; %bb.741:
	v_mul_u32_u24_e32 v23, 0x208, v5
	ds_read_b64 v[21:22], v3 offset:20816
	ds_read_b64 v[23:24], v23 offset:20800
	v_cmp_gt_u32_e64 s[16:17], 2, v1
	s_waitcnt lgkmcnt(0)
	v_mul_f32_e32 v25, v24, v22
	v_mul_f32_e32 v22, v23, v22
	v_fma_f32 v23, v23, v21, -v25
	v_fmac_f32_e32 v22, v24, v21
	v_add_f32_e32 v21, 0, v23
	v_add_f32_e32 v23, 0, v22
	s_and_saveexec_b64 s[18:19], s[16:17]
	s_cbranch_execz .LBB167_743
; %bb.742:
	v_lshlrev_b32_e32 v22, 3, v0
	v_mov_b32_e32 v26, 0
	ds_read_b64 v[24:25], v22 offset:21328
	ds_read_b64 v[26:27], v26 offset:20808
	s_waitcnt lgkmcnt(0)
	v_mul_f32_e32 v22, v27, v25
	v_mul_f32_e32 v25, v26, v25
	v_fma_f32 v22, v26, v24, -v22
	v_fmac_f32_e32 v25, v27, v24
	v_add_f32_e32 v21, v21, v22
	v_add_f32_e32 v23, v23, v25
.LBB167_743:
	s_or_b64 exec, exec, s[18:19]
	v_xor_b32_e32 v22, 0x80000000, v21
	v_xor_b32_e32 v21, 0x80000000, v23
.LBB167_744:
	s_or_b64 exec, exec, s[6:7]
	s_and_saveexec_b64 s[6:7], s[44:45]
	s_cbranch_execz .LBB167_746
; %bb.745:
	v_mov_b32_e32 v23, 0
	ds_read_b64 v[23:24], v23 offset:21840
	s_waitcnt lgkmcnt(0)
	v_mul_f32_e32 v26, v21, v24
	v_mul_f32_e32 v25, v22, v24
	v_fma_f32 v24, v22, v23, -v26
	v_fmac_f32_e32 v25, v21, v23
	v_mov_b32_e32 v22, v24
	v_mov_b32_e32 v21, v25
	ds_write_b64 v4, v[24:25]
.LBB167_746:
	s_or_b64 exec, exec, s[6:7]
	s_waitcnt lgkmcnt(0)
	s_barrier
	s_and_saveexec_b64 s[6:7], s[42:43]
	s_cbranch_execz .LBB167_748
; %bb.747:
	v_mov_b32_e32 v23, 0
	ds_read_b64 v[23:24], v23 offset:21848
	ds_read_b64 v[25:26], v4
	s_waitcnt lgkmcnt(0)
	v_mul_f32_e32 v27, v26, v24
	v_mul_f32_e32 v24, v25, v24
	v_fma_f32 v25, v25, v23, -v27
	v_fmac_f32_e32 v24, v26, v23
	v_add_f32_e32 v22, v22, v25
	v_add_f32_e32 v21, v21, v24
.LBB167_748:
	s_or_b64 exec, exec, s[6:7]
	s_barrier
	s_and_saveexec_b64 s[6:7], s[42:43]
	s_cbranch_execz .LBB167_750
; %bb.749:
	v_mov_b32_e32 v23, 0
	ds_read_b64 v[23:24], v23 offset:22360
	s_waitcnt lgkmcnt(0)
	v_mul_f32_e32 v26, v21, v24
	v_mul_f32_e32 v25, v22, v24
	v_fma_f32 v24, v22, v23, -v26
	v_fmac_f32_e32 v25, v21, v23
	v_mov_b32_e32 v22, v24
	v_mov_b32_e32 v21, v25
	ds_write_b64 v4, v[24:25]
.LBB167_750:
	s_or_b64 exec, exec, s[6:7]
	s_waitcnt lgkmcnt(0)
	s_barrier
	s_barrier
	s_and_saveexec_b64 s[6:7], s[22:23]
; %bb.751:
	v_xor_b32_e32 v23, 0x80000000, v21
	v_xor_b32_e32 v22, 0x80000000, v22
	ds_write_b64 v3, v[22:23] offset:20816
; %bb.752:
	s_or_b64 exec, exec, s[6:7]
	s_waitcnt lgkmcnt(0)
	s_barrier
	s_barrier
	s_and_saveexec_b64 s[6:7], s[46:47]
	s_cbranch_execz .LBB167_754
; %bb.753:
	v_lshlrev_b32_e32 v23, 3, v0
	s_movk_i32 s16, 0x1f8
	v_mad_u32_u24 v24, v0, s16, v23
	ds_read_b64 v[21:22], v24 offset:20816
	s_waitcnt lgkmcnt(0)
	ds_write_b64 v23, v[21:22] offset:21824
	ds_read_b64 v[21:22], v24 offset:20824
	s_waitcnt lgkmcnt(0)
	ds_write_b64 v23, v[21:22] offset:22336
.LBB167_754:
	s_or_b64 exec, exec, s[6:7]
	s_waitcnt lgkmcnt(0)
	s_barrier
	s_and_saveexec_b64 s[6:7], vcc
	s_cbranch_execz .LBB167_756
; %bb.755:
	v_mov_b32_e32 v25, 0
	ds_read_b128 v[21:24], v25 offset:21840
	ds_read_b64 v[25:26], v25 offset:22360
	s_movk_i32 s16, 0x5000
	s_waitcnt lgkmcnt(0)
	v_mul_f32_e32 v27, v26, v22
	v_mul_f32_e32 v28, v25, v22
	v_fma_f32 v25, v25, v21, -v27
	v_fmac_f32_e32 v28, v26, v21
	v_mul_f32_e32 v21, v28, v24
	v_mul_f32_e32 v22, v25, v24
	v_fma_f32 v21, v25, v23, -v21
	v_fmac_f32_e32 v22, v28, v23
	v_add_u32_e64 v23, s16, 0
	ds_write2_b64 v23, v[21:22], v[21:22] offset0:171 offset1:234
.LBB167_756:
	s_or_b64 exec, exec, s[6:7]
	v_mov_b32_e32 v21, 0
	v_mov_b32_e32 v22, 0
	s_waitcnt lgkmcnt(0)
	s_barrier
	s_and_saveexec_b64 s[6:7], s[10:11]
	s_cbranch_execz .LBB167_762
; %bb.757:
	v_mul_u32_u24_e32 v22, 0x208, v10
	ds_read_b64 v[23:24], v6 offset:20832
	ds_read_b64 v[25:26], v22 offset:20800
	v_cmp_gt_u32_e64 s[16:17], 12, v1
	s_waitcnt lgkmcnt(0)
	v_mul_f32_e32 v21, v26, v24
	v_mul_f32_e32 v24, v25, v24
	v_fma_f32 v21, v25, v23, -v21
	v_fmac_f32_e32 v24, v26, v23
	v_add_f32_e32 v21, 0, v21
	v_add_f32_e32 v23, 0, v24
	s_and_saveexec_b64 s[18:19], s[16:17]
	s_cbranch_execnz .LBB167_1150
; %bb.758:
	s_or_b64 exec, exec, s[18:19]
	v_cmp_gt_u32_e64 s[16:17], 8, v1
	s_and_saveexec_b64 s[18:19], s[16:17]
	s_cbranch_execnz .LBB167_1151
.LBB167_759:
	s_or_b64 exec, exec, s[18:19]
	v_cmp_gt_u32_e64 s[16:17], 4, v1
	s_and_saveexec_b64 s[18:19], s[16:17]
	s_cbranch_execz .LBB167_761
.LBB167_760:
	v_lshlrev_b32_e32 v22, 3, v0
	v_mov_b32_e32 v26, 0
	ds_read_b64 v[24:25], v22 offset:22368
	ds_read_b64 v[26:27], v26 offset:20824
	s_waitcnt lgkmcnt(0)
	v_mul_f32_e32 v22, v27, v25
	v_mul_f32_e32 v25, v26, v25
	v_fma_f32 v22, v26, v24, -v22
	v_fmac_f32_e32 v25, v27, v24
	v_add_f32_e32 v21, v21, v22
	v_add_f32_e32 v23, v23, v25
.LBB167_761:
	s_or_b64 exec, exec, s[18:19]
	v_xor_b32_e32 v22, 0x80000000, v21
	v_xor_b32_e32 v21, 0x80000000, v23
.LBB167_762:
	s_or_b64 exec, exec, s[6:7]
	s_and_saveexec_b64 s[6:7], s[50:51]
	s_cbranch_execz .LBB167_764
; %bb.763:
	v_mov_b32_e32 v23, 0
	ds_read_b64 v[23:24], v23 offset:22880
	s_waitcnt lgkmcnt(0)
	v_mul_f32_e32 v26, v21, v24
	v_mul_f32_e32 v25, v22, v24
	v_fma_f32 v24, v22, v23, -v26
	v_fmac_f32_e32 v25, v21, v23
	v_mov_b32_e32 v22, v24
	v_mov_b32_e32 v21, v25
	ds_write_b64 v8, v[24:25]
.LBB167_764:
	s_or_b64 exec, exec, s[6:7]
	s_waitcnt lgkmcnt(0)
	s_barrier
	s_and_saveexec_b64 s[6:7], s[52:53]
	s_cbranch_execz .LBB167_766
; %bb.765:
	ds_read_b64 v[23:24], v7 offset:22880
	ds_read_b64 v[25:26], v8
	s_waitcnt lgkmcnt(0)
	v_mul_f32_e32 v27, v26, v24
	v_mul_f32_e32 v24, v25, v24
	v_fma_f32 v25, v25, v23, -v27
	v_fmac_f32_e32 v24, v26, v23
	v_add_f32_e32 v22, v22, v25
	v_add_f32_e32 v21, v21, v24
.LBB167_766:
	s_or_b64 exec, exec, s[6:7]
	s_barrier
	s_and_saveexec_b64 s[6:7], s[54:55]
	s_cbranch_execz .LBB167_768
; %bb.767:
	v_mov_b32_e32 v23, 0
	ds_read_b64 v[23:24], v23 offset:23400
	s_waitcnt lgkmcnt(0)
	v_mul_f32_e32 v26, v21, v24
	v_mul_f32_e32 v25, v22, v24
	v_fma_f32 v24, v22, v23, -v26
	v_fmac_f32_e32 v25, v21, v23
	v_mov_b32_e32 v22, v24
	v_mov_b32_e32 v21, v25
	ds_write_b64 v8, v[24:25]
.LBB167_768:
	s_or_b64 exec, exec, s[6:7]
	s_waitcnt lgkmcnt(0)
	s_barrier
	s_and_saveexec_b64 s[6:7], s[56:57]
	s_cbranch_execz .LBB167_770
; %bb.769:
	ds_read_b64 v[23:24], v7 offset:23392
	ds_read_b64 v[25:26], v8
	s_waitcnt lgkmcnt(0)
	v_mul_f32_e32 v27, v26, v24
	v_mul_f32_e32 v24, v25, v24
	v_fma_f32 v25, v25, v23, -v27
	v_fmac_f32_e32 v24, v26, v23
	v_add_f32_e32 v22, v22, v25
	v_add_f32_e32 v21, v21, v24
.LBB167_770:
	s_or_b64 exec, exec, s[6:7]
	s_barrier
	s_and_saveexec_b64 s[6:7], s[58:59]
	s_cbranch_execz .LBB167_772
; %bb.771:
	v_mov_b32_e32 v23, 0
	ds_read_b64 v[23:24], v23 offset:23920
	s_waitcnt lgkmcnt(0)
	v_mul_f32_e32 v26, v21, v24
	v_mul_f32_e32 v25, v22, v24
	v_fma_f32 v24, v22, v23, -v26
	v_fmac_f32_e32 v25, v21, v23
	v_mov_b32_e32 v22, v24
	v_mov_b32_e32 v21, v25
	ds_write_b64 v8, v[24:25]
.LBB167_772:
	s_or_b64 exec, exec, s[6:7]
	s_waitcnt lgkmcnt(0)
	s_barrier
	s_and_saveexec_b64 s[6:7], s[48:49]
	s_cbranch_execz .LBB167_774
; %bb.773:
	v_mov_b32_e32 v23, 0
	ds_read_b64 v[23:24], v23 offset:23928
	ds_read_b64 v[25:26], v8
	s_waitcnt lgkmcnt(0)
	v_mul_f32_e32 v27, v26, v24
	v_mul_f32_e32 v24, v25, v24
	v_fma_f32 v25, v25, v23, -v27
	v_fmac_f32_e32 v24, v26, v23
	v_add_f32_e32 v22, v22, v25
	v_add_f32_e32 v21, v21, v24
.LBB167_774:
	s_or_b64 exec, exec, s[6:7]
	s_barrier
	s_and_saveexec_b64 s[6:7], s[48:49]
	s_cbranch_execz .LBB167_776
; %bb.775:
	v_mov_b32_e32 v23, 0
	ds_read_b64 v[23:24], v23 offset:24440
	s_waitcnt lgkmcnt(0)
	v_mul_f32_e32 v26, v21, v24
	v_mul_f32_e32 v25, v22, v24
	v_fma_f32 v24, v22, v23, -v26
	v_fmac_f32_e32 v25, v21, v23
	v_mov_b32_e32 v22, v24
	v_mov_b32_e32 v21, v25
	ds_write_b64 v8, v[24:25]
.LBB167_776:
	s_or_b64 exec, exec, s[6:7]
	s_waitcnt lgkmcnt(0)
	s_barrier
	s_barrier
	s_and_saveexec_b64 s[6:7], s[10:11]
; %bb.777:
	v_xor_b32_e32 v22, 0x80000000, v22
	v_xor_b32_e32 v23, 0x80000000, v21
	ds_write_b64 v6, v[22:23] offset:20832
; %bb.778:
	s_or_b64 exec, exec, s[6:7]
	s_waitcnt lgkmcnt(0)
	s_barrier
	s_barrier
	s_and_saveexec_b64 s[6:7], s[60:61]
	s_cbranch_execz .LBB167_780
; %bb.779:
	v_lshlrev_b32_e32 v23, 9, v0
	ds_read_b64 v[21:22], v23 offset:20832
	s_movk_i32 s16, 0xfe08
	v_mad_i32_i24 v24, v0, s16, v23
	s_waitcnt lgkmcnt(0)
	ds_write_b64 v24, v[21:22] offset:22848
	ds_read_b64 v[21:22], v23 offset:20840
	s_waitcnt lgkmcnt(0)
	ds_write_b64 v24, v[21:22] offset:23360
	ds_read_b64 v[21:22], v23 offset:20848
	;; [unrolled: 3-line block ×3, first 2 shown]
	s_waitcnt lgkmcnt(0)
	ds_write_b64 v24, v[21:22] offset:24384
.LBB167_780:
	s_or_b64 exec, exec, s[6:7]
	s_waitcnt lgkmcnt(0)
	s_barrier
	s_and_saveexec_b64 s[6:7], vcc
	s_cbranch_execz .LBB167_782
; %bb.781:
	v_mov_b32_e32 v25, 0
	ds_read_b128 v[21:24], v25 offset:22880
	ds_read_b64 v[25:26], v25 offset:23400
	s_movk_i32 s16, 0x5800
	s_waitcnt lgkmcnt(0)
	v_mul_f32_e32 v27, v26, v22
	v_mul_f32_e32 v28, v25, v22
	v_fma_f32 v25, v25, v21, -v27
	v_fmac_f32_e32 v28, v26, v21
	v_mul_f32_e32 v21, v28, v24
	v_mul_f32_e32 v22, v25, v24
	v_fma_f32 v21, v25, v23, -v21
	v_fmac_f32_e32 v22, v28, v23
	v_add_u32_e64 v23, s16, 0
	ds_write2_b64 v23, v[21:22], v[21:22] offset0:45 offset1:108
.LBB167_782:
	s_or_b64 exec, exec, s[6:7]
	v_mov_b32_e32 v21, 0
	v_mov_b32_e32 v22, 0
	s_waitcnt lgkmcnt(0)
	s_barrier
	s_and_saveexec_b64 s[6:7], s[22:23]
	s_cbranch_execz .LBB167_786
; %bb.783:
	v_mul_u32_u24_e32 v23, 0x208, v5
	ds_read_b64 v[21:22], v3 offset:22896
	ds_read_b64 v[23:24], v23 offset:22880
	v_cmp_gt_u32_e64 s[16:17], 2, v1
	s_waitcnt lgkmcnt(0)
	v_mul_f32_e32 v25, v24, v22
	v_mul_f32_e32 v22, v23, v22
	v_fma_f32 v23, v23, v21, -v25
	v_fmac_f32_e32 v22, v24, v21
	v_add_f32_e32 v21, 0, v23
	v_add_f32_e32 v23, 0, v22
	s_and_saveexec_b64 s[18:19], s[16:17]
	s_cbranch_execz .LBB167_785
; %bb.784:
	v_lshlrev_b32_e32 v22, 3, v0
	v_mov_b32_e32 v26, 0
	ds_read_b64 v[24:25], v22 offset:23408
	ds_read_b64 v[26:27], v26 offset:22888
	s_waitcnt lgkmcnt(0)
	v_mul_f32_e32 v22, v27, v25
	v_mul_f32_e32 v25, v26, v25
	v_fma_f32 v22, v26, v24, -v22
	v_fmac_f32_e32 v25, v27, v24
	v_add_f32_e32 v21, v21, v22
	v_add_f32_e32 v23, v23, v25
.LBB167_785:
	s_or_b64 exec, exec, s[18:19]
	v_xor_b32_e32 v22, 0x80000000, v21
	v_xor_b32_e32 v21, 0x80000000, v23
.LBB167_786:
	s_or_b64 exec, exec, s[6:7]
	s_and_saveexec_b64 s[6:7], s[44:45]
	s_cbranch_execz .LBB167_788
; %bb.787:
	v_mov_b32_e32 v23, 0
	ds_read_b64 v[23:24], v23 offset:23920
	s_waitcnt lgkmcnt(0)
	v_mul_f32_e32 v26, v21, v24
	v_mul_f32_e32 v25, v22, v24
	v_fma_f32 v24, v22, v23, -v26
	v_fmac_f32_e32 v25, v21, v23
	v_mov_b32_e32 v22, v24
	v_mov_b32_e32 v21, v25
	ds_write_b64 v4, v[24:25]
.LBB167_788:
	s_or_b64 exec, exec, s[6:7]
	s_waitcnt lgkmcnt(0)
	s_barrier
	s_and_saveexec_b64 s[6:7], s[42:43]
	s_cbranch_execz .LBB167_790
; %bb.789:
	v_mov_b32_e32 v23, 0
	ds_read_b64 v[23:24], v23 offset:23928
	ds_read_b64 v[25:26], v4
	s_waitcnt lgkmcnt(0)
	v_mul_f32_e32 v27, v26, v24
	v_mul_f32_e32 v24, v25, v24
	v_fma_f32 v25, v25, v23, -v27
	v_fmac_f32_e32 v24, v26, v23
	v_add_f32_e32 v22, v22, v25
	v_add_f32_e32 v21, v21, v24
.LBB167_790:
	s_or_b64 exec, exec, s[6:7]
	s_barrier
	s_and_saveexec_b64 s[6:7], s[42:43]
	s_cbranch_execz .LBB167_792
; %bb.791:
	v_mov_b32_e32 v23, 0
	ds_read_b64 v[23:24], v23 offset:24440
	s_waitcnt lgkmcnt(0)
	v_mul_f32_e32 v26, v21, v24
	v_mul_f32_e32 v25, v22, v24
	v_fma_f32 v24, v22, v23, -v26
	v_fmac_f32_e32 v25, v21, v23
	v_mov_b32_e32 v22, v24
	v_mov_b32_e32 v21, v25
	ds_write_b64 v4, v[24:25]
.LBB167_792:
	s_or_b64 exec, exec, s[6:7]
	s_waitcnt lgkmcnt(0)
	s_barrier
	s_barrier
	s_and_saveexec_b64 s[6:7], s[22:23]
; %bb.793:
	v_xor_b32_e32 v23, 0x80000000, v21
	v_xor_b32_e32 v22, 0x80000000, v22
	ds_write_b64 v3, v[22:23] offset:22896
; %bb.794:
	s_or_b64 exec, exec, s[6:7]
	s_waitcnt lgkmcnt(0)
	s_barrier
	s_barrier
	s_and_saveexec_b64 s[6:7], s[46:47]
	s_cbranch_execz .LBB167_796
; %bb.795:
	v_lshlrev_b32_e32 v23, 3, v0
	s_movk_i32 s16, 0x1f8
	v_mad_u32_u24 v24, v0, s16, v23
	ds_read_b64 v[21:22], v24 offset:22896
	s_waitcnt lgkmcnt(0)
	ds_write_b64 v23, v[21:22] offset:23904
	ds_read_b64 v[21:22], v24 offset:22904
	s_waitcnt lgkmcnt(0)
	ds_write_b64 v23, v[21:22] offset:24416
.LBB167_796:
	s_or_b64 exec, exec, s[6:7]
	s_waitcnt lgkmcnt(0)
	s_barrier
	s_and_saveexec_b64 s[6:7], vcc
	s_cbranch_execz .LBB167_798
; %bb.797:
	v_mov_b32_e32 v25, 0
	ds_read_b128 v[21:24], v25 offset:23920
	ds_read_b64 v[25:26], v25 offset:24440
	s_movk_i32 s16, 0x5800
	s_waitcnt lgkmcnt(0)
	v_mul_f32_e32 v27, v26, v22
	v_mul_f32_e32 v28, v25, v22
	v_fma_f32 v25, v25, v21, -v27
	v_fmac_f32_e32 v28, v26, v21
	v_mul_f32_e32 v21, v28, v24
	v_mul_f32_e32 v22, v25, v24
	v_fma_f32 v21, v25, v23, -v21
	v_fmac_f32_e32 v22, v28, v23
	v_add_u32_e64 v23, s16, 0
	ds_write2_b64 v23, v[21:22], v[21:22] offset0:175 offset1:238
.LBB167_798:
	s_or_b64 exec, exec, s[6:7]
	v_mov_b32_e32 v21, 0
	v_mov_b32_e32 v22, 0
	s_waitcnt lgkmcnt(0)
	s_barrier
	s_and_saveexec_b64 s[6:7], s[14:15]
	s_cbranch_execz .LBB167_826
; %bb.799:
	v_mul_u32_u24_e32 v22, 0x208, v20
	ds_read_b64 v[23:24], v16 offset:16768
	ds_read_b64 v[25:26], v22 offset:16640
	s_movk_i32 s16, 0xf0
	v_cmp_gt_u32_e64 s[16:17], s16, v1
	s_waitcnt lgkmcnt(0)
	v_mul_f32_e32 v21, v26, v24
	v_mul_f32_e32 v24, v25, v24
	v_fma_f32 v21, v25, v23, -v21
	v_fmac_f32_e32 v24, v26, v23
	v_add_f32_e32 v21, 0, v21
	v_add_f32_e32 v23, 0, v24
	s_and_saveexec_b64 s[18:19], s[16:17]
	s_cbranch_execz .LBB167_801
; %bb.800:
	v_lshlrev_b32_e32 v24, 3, v20
	v_sub_u32_e32 v24, v22, v24
	v_lshl_add_u32 v24, v17, 3, v24
	ds_read_b64 v[24:25], v24 offset:17280
	ds_read_b64 v[26:27], v22 offset:16648
	s_waitcnt lgkmcnt(0)
	v_mul_f32_e32 v28, v27, v25
	v_mul_f32_e32 v25, v26, v25
	v_fma_f32 v26, v26, v24, -v28
	v_fmac_f32_e32 v25, v27, v24
	v_add_f32_e32 v21, v21, v26
	v_add_f32_e32 v23, v23, v25
.LBB167_801:
	s_or_b64 exec, exec, s[18:19]
	s_movk_i32 s16, 0xe0
	v_cmp_gt_u32_e64 s[16:17], s16, v1
	s_and_saveexec_b64 s[18:19], s[16:17]
	s_cbranch_execz .LBB167_803
; %bb.802:
	v_lshlrev_b32_e32 v24, 3, v20
	v_sub_u32_e32 v24, v22, v24
	v_lshl_add_u32 v24, v17, 3, v24
	ds_read_b64 v[24:25], v24 offset:17792
	ds_read_b64 v[26:27], v22 offset:16656
	s_waitcnt lgkmcnt(0)
	v_mul_f32_e32 v28, v27, v25
	v_mul_f32_e32 v25, v26, v25
	v_fma_f32 v26, v26, v24, -v28
	v_fmac_f32_e32 v25, v27, v24
	v_add_f32_e32 v21, v21, v26
	v_add_f32_e32 v23, v23, v25
.LBB167_803:
	s_or_b64 exec, exec, s[18:19]
	s_movk_i32 s16, 0xd0
	v_cmp_gt_u32_e64 s[16:17], s16, v1
	;; [unrolled: 19-line block ×6, first 2 shown]
	s_and_saveexec_b64 s[18:19], s[16:17]
	s_cbranch_execz .LBB167_813
; %bb.812:
	v_lshlrev_b32_e32 v20, 3, v17
	v_lshl_add_u32 v20, v19, 3, v20
	ds_read_b64 v[24:25], v20 offset:20352
	ds_read_b64 v[26:27], v22 offset:16696
	s_waitcnt lgkmcnt(0)
	v_mul_f32_e32 v20, v27, v25
	v_mul_f32_e32 v25, v26, v25
	v_fma_f32 v20, v26, v24, -v20
	v_fmac_f32_e32 v25, v27, v24
	v_add_f32_e32 v21, v21, v20
	v_add_f32_e32 v23, v23, v25
.LBB167_813:
	s_or_b64 exec, exec, s[18:19]
	s_movk_i32 s16, 0x80
	v_cmp_gt_u32_e64 s[16:17], s16, v1
	s_and_saveexec_b64 s[18:19], s[16:17]
	s_cbranch_execz .LBB167_815
; %bb.814:
	ds_read_b64 v[24:25], v16 offset:20864
	ds_read_b64 v[26:27], v22 offset:16704
	s_waitcnt lgkmcnt(0)
	v_mul_f32_e32 v20, v27, v25
	v_mul_f32_e32 v25, v26, v25
	v_fma_f32 v20, v26, v24, -v20
	v_fmac_f32_e32 v25, v27, v24
	v_add_f32_e32 v21, v21, v20
	v_add_f32_e32 v23, v23, v25
.LBB167_815:
	s_or_b64 exec, exec, s[18:19]
	s_movk_i32 s16, 0x70
	v_cmp_gt_u32_e64 s[16:17], s16, v1
	s_and_saveexec_b64 s[18:19], s[16:17]
	s_cbranch_execz .LBB167_817
; %bb.816:
	v_lshlrev_b32_e32 v20, 3, v17
	v_lshl_add_u32 v20, v19, 3, v20
	ds_read_b64 v[24:25], v20 offset:21376
	ds_read_b64 v[26:27], v22 offset:16712
	s_waitcnt lgkmcnt(0)
	v_mul_f32_e32 v20, v27, v25
	v_mul_f32_e32 v25, v26, v25
	v_fma_f32 v20, v26, v24, -v20
	v_fmac_f32_e32 v25, v27, v24
	v_add_f32_e32 v21, v21, v20
	v_add_f32_e32 v23, v23, v25
.LBB167_817:
	s_or_b64 exec, exec, s[18:19]
	s_movk_i32 s16, 0x60
	v_cmp_gt_u32_e64 s[16:17], s16, v1
	s_and_saveexec_b64 s[18:19], s[16:17]
	s_cbranch_execz .LBB167_819
; %bb.818:
	v_lshlrev_b32_e32 v20, 3, v17
	v_lshl_add_u32 v20, v19, 3, v20
	ds_read_b64 v[24:25], v20 offset:21888
	ds_read_b64 v[26:27], v22 offset:16720
	s_waitcnt lgkmcnt(0)
	v_mul_f32_e32 v20, v27, v25
	v_mul_f32_e32 v25, v26, v25
	v_fma_f32 v20, v26, v24, -v20
	v_fmac_f32_e32 v25, v27, v24
	v_add_f32_e32 v21, v21, v20
	v_add_f32_e32 v23, v23, v25
.LBB167_819:
	s_or_b64 exec, exec, s[18:19]
	s_movk_i32 s16, 0x50
	v_cmp_gt_u32_e64 s[16:17], s16, v1
	s_and_saveexec_b64 s[18:19], s[16:17]
	s_cbranch_execnz .LBB167_1152
; %bb.820:
	s_or_b64 exec, exec, s[18:19]
	v_cmp_gt_u32_e64 s[16:17], 64, v1
	s_and_saveexec_b64 s[18:19], s[16:17]
	s_cbranch_execnz .LBB167_1153
.LBB167_821:
	s_or_b64 exec, exec, s[18:19]
	v_cmp_gt_u32_e64 s[16:17], 48, v1
	s_and_saveexec_b64 s[18:19], s[16:17]
	s_cbranch_execnz .LBB167_1154
.LBB167_822:
	s_or_b64 exec, exec, s[18:19]
	v_cmp_gt_u32_e64 s[16:17], 32, v1
	s_and_saveexec_b64 s[18:19], s[16:17]
	s_cbranch_execnz .LBB167_1155
.LBB167_823:
	s_or_b64 exec, exec, s[18:19]
	v_cmp_gt_u32_e64 s[16:17], 16, v1
	s_and_saveexec_b64 s[18:19], s[16:17]
	s_cbranch_execz .LBB167_825
.LBB167_824:
	v_lshlrev_b32_e32 v19, 3, v0
	v_mov_b32_e32 v22, 0
	ds_read_b64 v[19:20], v19 offset:24448
	ds_read_b64 v[24:25], v22 offset:16760
	s_waitcnt lgkmcnt(0)
	v_mul_f32_e32 v22, v25, v20
	v_mul_f32_e32 v20, v24, v20
	v_fma_f32 v22, v24, v19, -v22
	v_fmac_f32_e32 v20, v25, v19
	v_add_f32_e32 v21, v21, v22
	v_add_f32_e32 v23, v23, v20
.LBB167_825:
	s_or_b64 exec, exec, s[18:19]
	v_xor_b32_e32 v22, 0x80000000, v21
	v_xor_b32_e32 v21, 0x80000000, v23
.LBB167_826:
	s_or_b64 exec, exec, s[6:7]
	s_mov_b64 s[6:7], exec
	v_readlane_b32 s16, v34, 5
	v_readlane_b32 s17, v34, 6
	s_and_b64 s[16:17], s[6:7], s[16:17]
	s_mov_b64 exec, s[16:17]
	s_cbranch_execz .LBB167_828
; %bb.827:
	v_mov_b32_e32 v19, 0
	ds_read_b64 v[19:20], v19 offset:24960
	s_waitcnt lgkmcnt(0)
	v_mul_f32_e32 v23, v22, v20
	v_mul_f32_e32 v24, v21, v20
	v_fmac_f32_e32 v23, v21, v19
	v_fma_f32 v22, v22, v19, -v24
	v_mov_b32_e32 v21, v23
	ds_write_b64 v18, v[22:23]
.LBB167_828:
	s_or_b64 exec, exec, s[6:7]
	s_waitcnt lgkmcnt(0)
	s_barrier
	s_mov_b64 s[6:7], exec
	v_readlane_b32 s16, v34, 7
	v_readlane_b32 s17, v34, 8
	s_and_b64 s[16:17], s[6:7], s[16:17]
	s_mov_b64 exec, s[16:17]
	s_cbranch_execz .LBB167_830
; %bb.829:
	v_lshlrev_b32_e32 v19, 3, v17
	ds_read_b64 v[19:20], v19 offset:24960
	ds_read_b64 v[23:24], v18
	s_waitcnt lgkmcnt(0)
	v_mul_f32_e32 v25, v24, v20
	v_mul_f32_e32 v20, v23, v20
	v_fma_f32 v23, v23, v19, -v25
	v_fmac_f32_e32 v20, v24, v19
	v_add_f32_e32 v22, v22, v23
	v_add_f32_e32 v21, v21, v20
.LBB167_830:
	s_or_b64 exec, exec, s[6:7]
	s_barrier
	s_mov_b64 s[6:7], exec
	v_readlane_b32 s16, v34, 9
	v_readlane_b32 s17, v34, 10
	s_and_b64 s[16:17], s[6:7], s[16:17]
	s_mov_b64 exec, s[16:17]
	s_cbranch_execz .LBB167_832
; %bb.831:
	v_mov_b32_e32 v19, 0
	ds_read_b64 v[19:20], v19 offset:25480
	s_waitcnt lgkmcnt(0)
	v_mul_f32_e32 v23, v22, v20
	v_mul_f32_e32 v24, v21, v20
	v_fmac_f32_e32 v23, v21, v19
	v_fma_f32 v22, v22, v19, -v24
	v_mov_b32_e32 v21, v23
	ds_write_b64 v18, v[22:23]
.LBB167_832:
	s_or_b64 exec, exec, s[6:7]
	s_waitcnt lgkmcnt(0)
	s_barrier
	s_mov_b64 s[6:7], exec
	v_readlane_b32 s16, v34, 11
	v_readlane_b32 s17, v34, 12
	s_and_b64 s[16:17], s[6:7], s[16:17]
	s_mov_b64 exec, s[16:17]
	s_cbranch_execz .LBB167_834
; %bb.833:
	v_lshlrev_b32_e32 v19, 3, v17
	ds_read_b64 v[19:20], v19 offset:25472
	ds_read_b64 v[23:24], v18
	s_waitcnt lgkmcnt(0)
	v_mul_f32_e32 v25, v24, v20
	v_mul_f32_e32 v20, v23, v20
	v_fma_f32 v23, v23, v19, -v25
	v_fmac_f32_e32 v20, v24, v19
	v_add_f32_e32 v22, v22, v23
	v_add_f32_e32 v21, v21, v20
.LBB167_834:
	s_or_b64 exec, exec, s[6:7]
	s_barrier
	s_mov_b64 s[6:7], exec
	v_readlane_b32 s16, v34, 13
	v_readlane_b32 s17, v34, 14
	s_and_b64 s[16:17], s[6:7], s[16:17]
	s_mov_b64 exec, s[16:17]
	s_cbranch_execz .LBB167_836
; %bb.835:
	v_mov_b32_e32 v19, 0
	ds_read_b64 v[19:20], v19 offset:26000
	s_waitcnt lgkmcnt(0)
	v_mul_f32_e32 v23, v22, v20
	v_mul_f32_e32 v24, v21, v20
	v_fmac_f32_e32 v23, v21, v19
	v_fma_f32 v22, v22, v19, -v24
	v_mov_b32_e32 v21, v23
	ds_write_b64 v18, v[22:23]
.LBB167_836:
	s_or_b64 exec, exec, s[6:7]
	s_waitcnt lgkmcnt(0)
	s_barrier
	s_mov_b64 s[6:7], exec
	v_readlane_b32 s16, v34, 15
	v_readlane_b32 s17, v34, 16
	s_and_b64 s[16:17], s[6:7], s[16:17]
	s_mov_b64 exec, s[16:17]
	s_cbranch_execz .LBB167_838
; %bb.837:
	v_lshlrev_b32_e32 v19, 3, v17
	ds_read_b64 v[19:20], v19 offset:25984
	ds_read_b64 v[23:24], v18
	s_waitcnt lgkmcnt(0)
	v_mul_f32_e32 v25, v24, v20
	v_mul_f32_e32 v20, v23, v20
	v_fma_f32 v23, v23, v19, -v25
	v_fmac_f32_e32 v20, v24, v19
	v_add_f32_e32 v22, v22, v23
	v_add_f32_e32 v21, v21, v20
.LBB167_838:
	s_or_b64 exec, exec, s[6:7]
	s_barrier
	s_mov_b64 s[6:7], exec
	v_readlane_b32 s16, v34, 17
	v_readlane_b32 s17, v34, 18
	s_and_b64 s[16:17], s[6:7], s[16:17]
	s_mov_b64 exec, s[16:17]
	s_cbranch_execz .LBB167_840
; %bb.839:
	v_mov_b32_e32 v19, 0
	ds_read_b64 v[19:20], v19 offset:26520
	s_waitcnt lgkmcnt(0)
	v_mul_f32_e32 v23, v22, v20
	v_mul_f32_e32 v24, v21, v20
	v_fmac_f32_e32 v23, v21, v19
	v_fma_f32 v22, v22, v19, -v24
	v_mov_b32_e32 v21, v23
	ds_write_b64 v18, v[22:23]
.LBB167_840:
	s_or_b64 exec, exec, s[6:7]
	s_waitcnt lgkmcnt(0)
	s_barrier
	s_mov_b64 s[6:7], exec
	v_readlane_b32 s16, v34, 19
	v_readlane_b32 s17, v34, 20
	s_and_b64 s[16:17], s[6:7], s[16:17]
	s_mov_b64 exec, s[16:17]
	s_cbranch_execz .LBB167_842
; %bb.841:
	v_lshlrev_b32_e32 v19, 3, v17
	ds_read_b64 v[19:20], v19 offset:26496
	ds_read_b64 v[23:24], v18
	s_waitcnt lgkmcnt(0)
	v_mul_f32_e32 v25, v24, v20
	v_mul_f32_e32 v20, v23, v20
	v_fma_f32 v23, v23, v19, -v25
	v_fmac_f32_e32 v20, v24, v19
	v_add_f32_e32 v22, v22, v23
	v_add_f32_e32 v21, v21, v20
.LBB167_842:
	s_or_b64 exec, exec, s[6:7]
	s_barrier
	s_mov_b64 s[6:7], exec
	v_readlane_b32 s16, v34, 21
	v_readlane_b32 s17, v34, 22
	s_and_b64 s[16:17], s[6:7], s[16:17]
	s_mov_b64 exec, s[16:17]
	s_cbranch_execz .LBB167_844
; %bb.843:
	v_mov_b32_e32 v19, 0
	ds_read_b64 v[19:20], v19 offset:27040
	s_waitcnt lgkmcnt(0)
	v_mul_f32_e32 v23, v22, v20
	v_mul_f32_e32 v24, v21, v20
	v_fmac_f32_e32 v23, v21, v19
	v_fma_f32 v22, v22, v19, -v24
	v_mov_b32_e32 v21, v23
	ds_write_b64 v18, v[22:23]
.LBB167_844:
	s_or_b64 exec, exec, s[6:7]
	s_waitcnt lgkmcnt(0)
	s_barrier
	s_mov_b64 s[6:7], exec
	v_readlane_b32 s16, v34, 23
	v_readlane_b32 s17, v34, 24
	s_and_b64 s[16:17], s[6:7], s[16:17]
	s_mov_b64 exec, s[16:17]
	s_cbranch_execz .LBB167_846
; %bb.845:
	v_lshlrev_b32_e32 v19, 3, v17
	ds_read_b64 v[19:20], v19 offset:27008
	ds_read_b64 v[23:24], v18
	s_waitcnt lgkmcnt(0)
	v_mul_f32_e32 v25, v24, v20
	v_mul_f32_e32 v20, v23, v20
	v_fma_f32 v23, v23, v19, -v25
	v_fmac_f32_e32 v20, v24, v19
	v_add_f32_e32 v22, v22, v23
	v_add_f32_e32 v21, v21, v20
.LBB167_846:
	s_or_b64 exec, exec, s[6:7]
	s_barrier
	s_mov_b64 s[6:7], exec
	v_readlane_b32 s16, v34, 25
	v_readlane_b32 s17, v34, 26
	s_and_b64 s[16:17], s[6:7], s[16:17]
	s_mov_b64 exec, s[16:17]
	s_cbranch_execz .LBB167_848
; %bb.847:
	v_mov_b32_e32 v19, 0
	ds_read_b64 v[19:20], v19 offset:27560
	s_waitcnt lgkmcnt(0)
	v_mul_f32_e32 v23, v22, v20
	v_mul_f32_e32 v24, v21, v20
	v_fmac_f32_e32 v23, v21, v19
	v_fma_f32 v22, v22, v19, -v24
	v_mov_b32_e32 v21, v23
	ds_write_b64 v18, v[22:23]
.LBB167_848:
	s_or_b64 exec, exec, s[6:7]
	s_waitcnt lgkmcnt(0)
	s_barrier
	s_mov_b64 s[6:7], exec
	v_readlane_b32 s16, v34, 27
	v_readlane_b32 s17, v34, 28
	s_and_b64 s[16:17], s[6:7], s[16:17]
	s_mov_b64 exec, s[16:17]
	s_cbranch_execz .LBB167_850
; %bb.849:
	v_lshlrev_b32_e32 v19, 3, v17
	ds_read_b64 v[19:20], v19 offset:27520
	ds_read_b64 v[23:24], v18
	s_waitcnt lgkmcnt(0)
	v_mul_f32_e32 v25, v24, v20
	v_mul_f32_e32 v20, v23, v20
	v_fma_f32 v23, v23, v19, -v25
	v_fmac_f32_e32 v20, v24, v19
	v_add_f32_e32 v22, v22, v23
	v_add_f32_e32 v21, v21, v20
.LBB167_850:
	s_or_b64 exec, exec, s[6:7]
	s_barrier
	s_mov_b64 s[6:7], exec
	v_readlane_b32 s16, v34, 29
	v_readlane_b32 s17, v34, 30
	s_and_b64 s[16:17], s[6:7], s[16:17]
	s_mov_b64 exec, s[16:17]
	s_cbranch_execz .LBB167_852
; %bb.851:
	v_mov_b32_e32 v19, 0
	ds_read_b64 v[19:20], v19 offset:28080
	s_waitcnt lgkmcnt(0)
	v_mul_f32_e32 v23, v22, v20
	v_mul_f32_e32 v24, v21, v20
	v_fmac_f32_e32 v23, v21, v19
	v_fma_f32 v22, v22, v19, -v24
	v_mov_b32_e32 v21, v23
	ds_write_b64 v18, v[22:23]
.LBB167_852:
	s_or_b64 exec, exec, s[6:7]
	s_waitcnt lgkmcnt(0)
	s_barrier
	s_mov_b64 s[6:7], exec
	v_readlane_b32 s16, v34, 31
	v_readlane_b32 s17, v34, 32
	s_and_b64 s[16:17], s[6:7], s[16:17]
	s_mov_b64 exec, s[16:17]
	s_cbranch_execz .LBB167_854
; %bb.853:
	v_lshlrev_b32_e32 v19, 3, v17
	ds_read_b64 v[19:20], v19 offset:28032
	ds_read_b64 v[23:24], v18
	s_waitcnt lgkmcnt(0)
	v_mul_f32_e32 v25, v24, v20
	v_mul_f32_e32 v20, v23, v20
	v_fma_f32 v23, v23, v19, -v25
	v_fmac_f32_e32 v20, v24, v19
	v_add_f32_e32 v22, v22, v23
	v_add_f32_e32 v21, v21, v20
.LBB167_854:
	s_or_b64 exec, exec, s[6:7]
	s_barrier
	s_mov_b64 s[6:7], exec
	v_readlane_b32 s16, v34, 33
	v_readlane_b32 s17, v34, 34
	s_and_b64 s[16:17], s[6:7], s[16:17]
	s_mov_b64 exec, s[16:17]
	s_cbranch_execz .LBB167_856
; %bb.855:
	v_mov_b32_e32 v19, 0
	ds_read_b64 v[19:20], v19 offset:28600
	s_waitcnt lgkmcnt(0)
	v_mul_f32_e32 v23, v22, v20
	v_mul_f32_e32 v24, v21, v20
	v_fmac_f32_e32 v23, v21, v19
	v_fma_f32 v22, v22, v19, -v24
	v_mov_b32_e32 v21, v23
	ds_write_b64 v18, v[22:23]
.LBB167_856:
	s_or_b64 exec, exec, s[6:7]
	s_waitcnt lgkmcnt(0)
	s_barrier
	s_mov_b64 s[6:7], exec
	v_readlane_b32 s16, v34, 35
	v_readlane_b32 s17, v34, 36
	s_and_b64 s[16:17], s[6:7], s[16:17]
	s_mov_b64 exec, s[16:17]
	s_cbranch_execz .LBB167_858
; %bb.857:
	v_lshlrev_b32_e32 v19, 3, v17
	ds_read_b64 v[19:20], v19 offset:28544
	ds_read_b64 v[23:24], v18
	s_waitcnt lgkmcnt(0)
	v_mul_f32_e32 v25, v24, v20
	v_mul_f32_e32 v20, v23, v20
	v_fma_f32 v23, v23, v19, -v25
	v_fmac_f32_e32 v20, v24, v19
	v_add_f32_e32 v22, v22, v23
	v_add_f32_e32 v21, v21, v20
.LBB167_858:
	s_or_b64 exec, exec, s[6:7]
	s_barrier
	s_mov_b64 s[6:7], exec
	v_readlane_b32 s16, v34, 37
	v_readlane_b32 s17, v34, 38
	s_and_b64 s[16:17], s[6:7], s[16:17]
	s_mov_b64 exec, s[16:17]
	s_cbranch_execz .LBB167_860
; %bb.859:
	v_mov_b32_e32 v19, 0
	ds_read_b64 v[19:20], v19 offset:29120
	s_waitcnt lgkmcnt(0)
	v_mul_f32_e32 v23, v22, v20
	v_mul_f32_e32 v24, v21, v20
	v_fmac_f32_e32 v23, v21, v19
	v_fma_f32 v22, v22, v19, -v24
	v_mov_b32_e32 v21, v23
	ds_write_b64 v18, v[22:23]
.LBB167_860:
	s_or_b64 exec, exec, s[6:7]
	s_waitcnt lgkmcnt(0)
	s_barrier
	s_mov_b64 s[6:7], exec
	v_readlane_b32 s16, v34, 39
	v_readlane_b32 s17, v34, 40
	s_and_b64 s[16:17], s[6:7], s[16:17]
	s_mov_b64 exec, s[16:17]
	s_cbranch_execz .LBB167_862
; %bb.861:
	v_lshlrev_b32_e32 v19, 3, v17
	ds_read_b64 v[19:20], v19 offset:29056
	ds_read_b64 v[23:24], v18
	s_waitcnt lgkmcnt(0)
	v_mul_f32_e32 v25, v24, v20
	v_mul_f32_e32 v20, v23, v20
	v_fma_f32 v23, v23, v19, -v25
	v_fmac_f32_e32 v20, v24, v19
	v_add_f32_e32 v22, v22, v23
	v_add_f32_e32 v21, v21, v20
.LBB167_862:
	s_or_b64 exec, exec, s[6:7]
	s_barrier
	s_mov_b64 s[6:7], exec
	v_readlane_b32 s16, v34, 41
	v_readlane_b32 s17, v34, 42
	s_and_b64 s[16:17], s[6:7], s[16:17]
	s_mov_b64 exec, s[16:17]
	s_cbranch_execz .LBB167_864
; %bb.863:
	v_mov_b32_e32 v19, 0
	ds_read_b64 v[19:20], v19 offset:29640
	s_waitcnt lgkmcnt(0)
	v_mul_f32_e32 v23, v22, v20
	v_mul_f32_e32 v24, v21, v20
	v_fmac_f32_e32 v23, v21, v19
	v_fma_f32 v22, v22, v19, -v24
	v_mov_b32_e32 v21, v23
	ds_write_b64 v18, v[22:23]
.LBB167_864:
	s_or_b64 exec, exec, s[6:7]
	s_waitcnt lgkmcnt(0)
	s_barrier
	s_mov_b64 s[6:7], exec
	v_readlane_b32 s16, v34, 43
	v_readlane_b32 s17, v34, 44
	s_and_b64 s[16:17], s[6:7], s[16:17]
	s_mov_b64 exec, s[16:17]
	s_cbranch_execz .LBB167_866
; %bb.865:
	v_lshlrev_b32_e32 v19, 3, v17
	ds_read_b64 v[19:20], v19 offset:29568
	ds_read_b64 v[23:24], v18
	s_waitcnt lgkmcnt(0)
	v_mul_f32_e32 v25, v24, v20
	v_mul_f32_e32 v20, v23, v20
	v_fma_f32 v23, v23, v19, -v25
	v_fmac_f32_e32 v20, v24, v19
	v_add_f32_e32 v22, v22, v23
	v_add_f32_e32 v21, v21, v20
.LBB167_866:
	s_or_b64 exec, exec, s[6:7]
	s_barrier
	s_mov_b64 s[6:7], exec
	v_readlane_b32 s16, v34, 45
	v_readlane_b32 s17, v34, 46
	s_and_b64 s[16:17], s[6:7], s[16:17]
	s_mov_b64 exec, s[16:17]
	s_cbranch_execz .LBB167_868
; %bb.867:
	v_mov_b32_e32 v19, 0
	ds_read_b64 v[19:20], v19 offset:30160
	s_waitcnt lgkmcnt(0)
	v_mul_f32_e32 v23, v22, v20
	v_mul_f32_e32 v24, v21, v20
	v_fmac_f32_e32 v23, v21, v19
	v_fma_f32 v22, v22, v19, -v24
	v_mov_b32_e32 v21, v23
	ds_write_b64 v18, v[22:23]
.LBB167_868:
	s_or_b64 exec, exec, s[6:7]
	s_waitcnt lgkmcnt(0)
	s_barrier
	s_mov_b64 s[6:7], exec
	v_readlane_b32 s16, v34, 47
	v_readlane_b32 s17, v34, 48
	s_and_b64 s[16:17], s[6:7], s[16:17]
	s_mov_b64 exec, s[16:17]
	s_cbranch_execz .LBB167_870
; %bb.869:
	v_lshlrev_b32_e32 v19, 3, v17
	ds_read_b64 v[19:20], v19 offset:30080
	ds_read_b64 v[23:24], v18
	s_waitcnt lgkmcnt(0)
	v_mul_f32_e32 v25, v24, v20
	v_mul_f32_e32 v20, v23, v20
	v_fma_f32 v23, v23, v19, -v25
	v_fmac_f32_e32 v20, v24, v19
	v_add_f32_e32 v22, v22, v23
	v_add_f32_e32 v21, v21, v20
.LBB167_870:
	s_or_b64 exec, exec, s[6:7]
	s_barrier
	s_mov_b64 s[6:7], exec
	v_readlane_b32 s16, v34, 49
	v_readlane_b32 s17, v34, 50
	s_and_b64 s[16:17], s[6:7], s[16:17]
	s_mov_b64 exec, s[16:17]
	s_cbranch_execz .LBB167_872
; %bb.871:
	v_mov_b32_e32 v19, 0
	ds_read_b64 v[19:20], v19 offset:30680
	s_waitcnt lgkmcnt(0)
	v_mul_f32_e32 v23, v22, v20
	v_mul_f32_e32 v24, v21, v20
	v_fmac_f32_e32 v23, v21, v19
	v_fma_f32 v22, v22, v19, -v24
	v_mov_b32_e32 v21, v23
	ds_write_b64 v18, v[22:23]
.LBB167_872:
	s_or_b64 exec, exec, s[6:7]
	s_waitcnt lgkmcnt(0)
	s_barrier
	s_mov_b64 s[6:7], exec
	v_readlane_b32 s16, v34, 51
	v_readlane_b32 s17, v34, 52
	s_and_b64 s[16:17], s[6:7], s[16:17]
	s_mov_b64 exec, s[16:17]
	s_cbranch_execz .LBB167_874
; %bb.873:
	v_lshlrev_b32_e32 v19, 3, v17
	ds_read_b64 v[19:20], v19 offset:30592
	ds_read_b64 v[23:24], v18
	s_waitcnt lgkmcnt(0)
	v_mul_f32_e32 v25, v24, v20
	v_mul_f32_e32 v20, v23, v20
	v_fma_f32 v23, v23, v19, -v25
	v_fmac_f32_e32 v20, v24, v19
	v_add_f32_e32 v22, v22, v23
	v_add_f32_e32 v21, v21, v20
.LBB167_874:
	s_or_b64 exec, exec, s[6:7]
	s_barrier
	s_mov_b64 s[6:7], exec
	v_readlane_b32 s16, v34, 53
	v_readlane_b32 s17, v34, 54
	s_and_b64 s[16:17], s[6:7], s[16:17]
	s_mov_b64 exec, s[16:17]
	s_cbranch_execz .LBB167_876
; %bb.875:
	v_mov_b32_e32 v19, 0
	ds_read_b64 v[19:20], v19 offset:31200
	s_waitcnt lgkmcnt(0)
	v_mul_f32_e32 v23, v22, v20
	v_mul_f32_e32 v24, v21, v20
	v_fmac_f32_e32 v23, v21, v19
	v_fma_f32 v22, v22, v19, -v24
	v_mov_b32_e32 v21, v23
	ds_write_b64 v18, v[22:23]
.LBB167_876:
	s_or_b64 exec, exec, s[6:7]
	s_waitcnt lgkmcnt(0)
	s_barrier
	s_mov_b64 s[6:7], exec
	v_readlane_b32 s16, v34, 55
	v_readlane_b32 s17, v34, 56
	s_and_b64 s[16:17], s[6:7], s[16:17]
	s_mov_b64 exec, s[16:17]
	s_cbranch_execz .LBB167_878
; %bb.877:
	v_lshlrev_b32_e32 v19, 3, v17
	ds_read_b64 v[19:20], v19 offset:31104
	ds_read_b64 v[23:24], v18
	s_waitcnt lgkmcnt(0)
	v_mul_f32_e32 v25, v24, v20
	v_mul_f32_e32 v20, v23, v20
	v_fma_f32 v23, v23, v19, -v25
	v_fmac_f32_e32 v20, v24, v19
	v_add_f32_e32 v22, v22, v23
	v_add_f32_e32 v21, v21, v20
.LBB167_878:
	s_or_b64 exec, exec, s[6:7]
	s_barrier
	s_mov_b64 s[6:7], exec
	v_readlane_b32 s16, v34, 57
	v_readlane_b32 s17, v34, 58
	s_and_b64 s[16:17], s[6:7], s[16:17]
	s_mov_b64 exec, s[16:17]
	s_cbranch_execz .LBB167_880
; %bb.879:
	v_mov_b32_e32 v19, 0
	ds_read_b64 v[19:20], v19 offset:31720
	s_waitcnt lgkmcnt(0)
	v_mul_f32_e32 v23, v22, v20
	v_mul_f32_e32 v24, v21, v20
	v_fmac_f32_e32 v23, v21, v19
	v_fma_f32 v22, v22, v19, -v24
	v_mov_b32_e32 v21, v23
	ds_write_b64 v18, v[22:23]
.LBB167_880:
	s_or_b64 exec, exec, s[6:7]
	s_waitcnt lgkmcnt(0)
	s_barrier
	s_mov_b64 s[6:7], exec
	v_readlane_b32 s16, v34, 59
	v_readlane_b32 s17, v34, 60
	s_and_b64 s[16:17], s[6:7], s[16:17]
	s_mov_b64 exec, s[16:17]
	s_cbranch_execz .LBB167_882
; %bb.881:
	v_lshlrev_b32_e32 v17, 3, v17
	ds_read_b64 v[19:20], v17 offset:31616
	ds_read_b64 v[23:24], v18
	s_waitcnt lgkmcnt(0)
	v_mul_f32_e32 v17, v24, v20
	v_mul_f32_e32 v20, v23, v20
	v_fma_f32 v17, v23, v19, -v17
	v_fmac_f32_e32 v20, v24, v19
	v_add_f32_e32 v22, v22, v17
	v_add_f32_e32 v21, v21, v20
.LBB167_882:
	s_or_b64 exec, exec, s[6:7]
	s_barrier
	s_and_saveexec_b64 s[6:7], s[96:97]
	s_cbranch_execz .LBB167_884
; %bb.883:
	v_mov_b32_e32 v17, 0
	ds_read_b64 v[19:20], v17 offset:32240
	s_waitcnt lgkmcnt(0)
	v_mul_f32_e32 v23, v22, v20
	v_mul_f32_e32 v17, v21, v20
	v_fmac_f32_e32 v23, v21, v19
	v_fma_f32 v22, v22, v19, -v17
	v_mov_b32_e32 v21, v23
	ds_write_b64 v18, v[22:23]
.LBB167_884:
	s_or_b64 exec, exec, s[6:7]
	s_waitcnt lgkmcnt(0)
	s_barrier
	s_and_saveexec_b64 s[6:7], s[98:99]
	s_cbranch_execz .LBB167_886
; %bb.885:
	v_mov_b32_e32 v17, 0
	ds_read_b64 v[19:20], v17 offset:32248
	ds_read_b64 v[23:24], v18
	s_waitcnt lgkmcnt(0)
	v_mul_f32_e32 v17, v24, v20
	v_mul_f32_e32 v20, v23, v20
	v_fma_f32 v17, v23, v19, -v17
	v_fmac_f32_e32 v20, v24, v19
	v_add_f32_e32 v22, v22, v17
	v_add_f32_e32 v21, v21, v20
.LBB167_886:
	s_or_b64 exec, exec, s[6:7]
	s_barrier
	s_and_saveexec_b64 s[6:7], s[98:99]
	s_cbranch_execz .LBB167_888
; %bb.887:
	v_mov_b32_e32 v17, 0
	ds_read_b64 v[19:20], v17 offset:32760
	s_waitcnt lgkmcnt(0)
	v_mul_f32_e32 v23, v22, v20
	v_mul_f32_e32 v17, v21, v20
	v_fmac_f32_e32 v23, v21, v19
	v_fma_f32 v22, v22, v19, -v17
	v_mov_b32_e32 v21, v23
	ds_write_b64 v18, v[22:23]
.LBB167_888:
	s_or_b64 exec, exec, s[6:7]
	s_waitcnt lgkmcnt(0)
	s_barrier
	s_barrier
	s_and_saveexec_b64 s[6:7], s[14:15]
; %bb.889:
	v_xor_b32_e32 v17, 0x80000000, v22
	v_xor_b32_e32 v18, 0x80000000, v21
	ds_write_b64 v16, v[17:18] offset:16768
; %bb.890:
	s_or_b64 exec, exec, s[6:7]
	s_waitcnt lgkmcnt(0)
	s_barrier
	s_barrier
	s_and_saveexec_b64 s[6:7], s[26:27]
	s_cbranch_execz .LBB167_892
; %bb.891:
	v_lshlrev_b32_e32 v18, 9, v0
	ds_read_b64 v[16:17], v18 offset:16768
	s_movk_i32 s14, 0xfe08
	v_mad_i32_i24 v19, v0, s14, v18
	s_waitcnt lgkmcnt(0)
	ds_write_b64 v19, v[16:17] offset:24832
	ds_read_b64 v[16:17], v18 offset:16776
	s_waitcnt lgkmcnt(0)
	ds_write_b64 v19, v[16:17] offset:25344
	ds_read_b64 v[16:17], v18 offset:16784
	;; [unrolled: 3-line block ×15, first 2 shown]
	s_waitcnt lgkmcnt(0)
	ds_write_b64 v19, v[16:17] offset:32512
.LBB167_892:
	s_or_b64 exec, exec, s[6:7]
	s_waitcnt lgkmcnt(0)
	s_barrier
	s_and_saveexec_b64 s[6:7], vcc
	s_cbranch_execz .LBB167_894
; %bb.893:
	v_mov_b32_e32 v20, 0
	ds_read_b128 v[16:19], v20 offset:24960
	ds_read_b64 v[20:21], v20 offset:25480
	s_movk_i32 s14, 0x6000
	s_waitcnt lgkmcnt(0)
	v_mul_f32_e32 v22, v21, v17
	v_mul_f32_e32 v23, v20, v17
	v_fma_f32 v20, v20, v16, -v22
	v_fmac_f32_e32 v23, v21, v16
	v_mul_f32_e32 v16, v23, v19
	v_mul_f32_e32 v17, v20, v19
	v_fma_f32 v16, v20, v18, -v16
	v_fmac_f32_e32 v17, v23, v18
	v_add_u32_e64 v18, s14, 0
	ds_write2_b64 v18, v[16:17], v[16:17] offset0:49 offset1:112
.LBB167_894:
	s_or_b64 exec, exec, s[6:7]
	v_mov_b32_e32 v16, 0
	v_mov_b32_e32 v17, 0
	s_waitcnt lgkmcnt(0)
	s_barrier
	s_and_saveexec_b64 s[6:7], s[22:23]
	s_cbranch_execz .LBB167_898
; %bb.895:
	v_mul_u32_u24_e32 v18, 0x208, v5
	ds_read_b64 v[16:17], v3 offset:24976
	ds_read_b64 v[18:19], v18 offset:24960
	v_cmp_gt_u32_e64 s[14:15], 2, v1
	s_waitcnt lgkmcnt(0)
	v_mul_f32_e32 v20, v19, v17
	v_mul_f32_e32 v17, v18, v17
	v_fma_f32 v18, v18, v16, -v20
	v_fmac_f32_e32 v17, v19, v16
	v_add_f32_e32 v16, 0, v18
	v_add_f32_e32 v18, 0, v17
	s_and_saveexec_b64 s[16:17], s[14:15]
	s_cbranch_execz .LBB167_897
; %bb.896:
	v_lshlrev_b32_e32 v17, 3, v0
	v_mov_b32_e32 v21, 0
	ds_read_b64 v[19:20], v17 offset:25488
	ds_read_b64 v[21:22], v21 offset:24968
	s_waitcnt lgkmcnt(0)
	v_mul_f32_e32 v17, v22, v20
	v_mul_f32_e32 v20, v21, v20
	v_fma_f32 v17, v21, v19, -v17
	v_fmac_f32_e32 v20, v22, v19
	v_add_f32_e32 v16, v16, v17
	v_add_f32_e32 v18, v18, v20
.LBB167_897:
	s_or_b64 exec, exec, s[16:17]
	v_xor_b32_e32 v17, 0x80000000, v16
	v_xor_b32_e32 v16, 0x80000000, v18
.LBB167_898:
	s_or_b64 exec, exec, s[6:7]
	s_and_saveexec_b64 s[6:7], s[44:45]
	s_cbranch_execz .LBB167_900
; %bb.899:
	v_mov_b32_e32 v18, 0
	ds_read_b64 v[18:19], v18 offset:26000
	s_waitcnt lgkmcnt(0)
	v_mul_f32_e32 v21, v16, v19
	v_mul_f32_e32 v20, v17, v19
	v_fma_f32 v19, v17, v18, -v21
	v_fmac_f32_e32 v20, v16, v18
	v_mov_b32_e32 v17, v19
	v_mov_b32_e32 v16, v20
	ds_write_b64 v4, v[19:20]
.LBB167_900:
	s_or_b64 exec, exec, s[6:7]
	s_waitcnt lgkmcnt(0)
	s_barrier
	s_and_saveexec_b64 s[6:7], s[42:43]
	s_cbranch_execz .LBB167_902
; %bb.901:
	v_mov_b32_e32 v18, 0
	ds_read_b64 v[18:19], v18 offset:26008
	ds_read_b64 v[20:21], v4
	s_waitcnt lgkmcnt(0)
	v_mul_f32_e32 v22, v21, v19
	v_mul_f32_e32 v19, v20, v19
	v_fma_f32 v20, v20, v18, -v22
	v_fmac_f32_e32 v19, v21, v18
	v_add_f32_e32 v17, v17, v20
	v_add_f32_e32 v16, v16, v19
.LBB167_902:
	s_or_b64 exec, exec, s[6:7]
	s_barrier
	s_and_saveexec_b64 s[6:7], s[42:43]
	s_cbranch_execz .LBB167_904
; %bb.903:
	v_mov_b32_e32 v18, 0
	ds_read_b64 v[18:19], v18 offset:26520
	s_waitcnt lgkmcnt(0)
	v_mul_f32_e32 v21, v16, v19
	v_mul_f32_e32 v20, v17, v19
	v_fma_f32 v19, v17, v18, -v21
	v_fmac_f32_e32 v20, v16, v18
	v_mov_b32_e32 v17, v19
	v_mov_b32_e32 v16, v20
	ds_write_b64 v4, v[19:20]
.LBB167_904:
	s_or_b64 exec, exec, s[6:7]
	s_waitcnt lgkmcnt(0)
	s_barrier
	s_barrier
	s_and_saveexec_b64 s[6:7], s[22:23]
; %bb.905:
	v_xor_b32_e32 v18, 0x80000000, v16
	v_xor_b32_e32 v17, 0x80000000, v17
	ds_write_b64 v3, v[17:18] offset:24976
; %bb.906:
	s_or_b64 exec, exec, s[6:7]
	s_waitcnt lgkmcnt(0)
	s_barrier
	s_barrier
	s_and_saveexec_b64 s[6:7], s[46:47]
	s_cbranch_execz .LBB167_908
; %bb.907:
	v_lshlrev_b32_e32 v18, 3, v0
	s_movk_i32 s14, 0x1f8
	v_mad_u32_u24 v19, v0, s14, v18
	ds_read_b64 v[16:17], v19 offset:24976
	s_waitcnt lgkmcnt(0)
	ds_write_b64 v18, v[16:17] offset:25984
	ds_read_b64 v[16:17], v19 offset:24984
	s_waitcnt lgkmcnt(0)
	ds_write_b64 v18, v[16:17] offset:26496
.LBB167_908:
	s_or_b64 exec, exec, s[6:7]
	s_waitcnt lgkmcnt(0)
	s_barrier
	s_and_saveexec_b64 s[6:7], vcc
	s_cbranch_execz .LBB167_910
; %bb.909:
	v_mov_b32_e32 v20, 0
	ds_read_b128 v[16:19], v20 offset:26000
	ds_read_b64 v[20:21], v20 offset:26520
	s_movk_i32 s14, 0x6000
	s_waitcnt lgkmcnt(0)
	v_mul_f32_e32 v22, v21, v17
	v_mul_f32_e32 v23, v20, v17
	v_fma_f32 v20, v20, v16, -v22
	v_fmac_f32_e32 v23, v21, v16
	v_mul_f32_e32 v16, v23, v19
	v_mul_f32_e32 v17, v20, v19
	v_fma_f32 v16, v20, v18, -v16
	v_fmac_f32_e32 v17, v23, v18
	v_add_u32_e64 v18, s14, 0
	ds_write2_b64 v18, v[16:17], v[16:17] offset0:179 offset1:242
.LBB167_910:
	s_or_b64 exec, exec, s[6:7]
	v_mov_b32_e32 v16, 0
	v_mov_b32_e32 v17, 0
	s_waitcnt lgkmcnt(0)
	s_barrier
	s_and_saveexec_b64 s[6:7], s[10:11]
	s_cbranch_execz .LBB167_916
; %bb.911:
	v_mul_u32_u24_e32 v17, 0x208, v10
	ds_read_b64 v[18:19], v6 offset:24992
	ds_read_b64 v[20:21], v17 offset:24960
	v_cmp_gt_u32_e64 s[14:15], 12, v1
	s_waitcnt lgkmcnt(0)
	v_mul_f32_e32 v16, v21, v19
	v_mul_f32_e32 v19, v20, v19
	v_fma_f32 v16, v20, v18, -v16
	v_fmac_f32_e32 v19, v21, v18
	v_add_f32_e32 v16, 0, v16
	v_add_f32_e32 v18, 0, v19
	s_and_saveexec_b64 s[16:17], s[14:15]
	s_cbranch_execnz .LBB167_1156
; %bb.912:
	s_or_b64 exec, exec, s[16:17]
	v_cmp_gt_u32_e64 s[14:15], 8, v1
	s_and_saveexec_b64 s[16:17], s[14:15]
	s_cbranch_execnz .LBB167_1157
.LBB167_913:
	s_or_b64 exec, exec, s[16:17]
	v_cmp_gt_u32_e64 s[14:15], 4, v1
	s_and_saveexec_b64 s[16:17], s[14:15]
	s_cbranch_execz .LBB167_915
.LBB167_914:
	v_lshlrev_b32_e32 v17, 3, v0
	v_mov_b32_e32 v21, 0
	ds_read_b64 v[19:20], v17 offset:26528
	ds_read_b64 v[21:22], v21 offset:24984
	s_waitcnt lgkmcnt(0)
	v_mul_f32_e32 v17, v22, v20
	v_mul_f32_e32 v20, v21, v20
	v_fma_f32 v17, v21, v19, -v17
	v_fmac_f32_e32 v20, v22, v19
	v_add_f32_e32 v16, v16, v17
	v_add_f32_e32 v18, v18, v20
.LBB167_915:
	s_or_b64 exec, exec, s[16:17]
	v_xor_b32_e32 v17, 0x80000000, v16
	v_xor_b32_e32 v16, 0x80000000, v18
.LBB167_916:
	s_or_b64 exec, exec, s[6:7]
	s_and_saveexec_b64 s[6:7], s[50:51]
	s_cbranch_execz .LBB167_918
; %bb.917:
	v_mov_b32_e32 v18, 0
	ds_read_b64 v[18:19], v18 offset:27040
	s_waitcnt lgkmcnt(0)
	v_mul_f32_e32 v21, v16, v19
	v_mul_f32_e32 v20, v17, v19
	v_fma_f32 v19, v17, v18, -v21
	v_fmac_f32_e32 v20, v16, v18
	v_mov_b32_e32 v17, v19
	v_mov_b32_e32 v16, v20
	ds_write_b64 v8, v[19:20]
.LBB167_918:
	s_or_b64 exec, exec, s[6:7]
	s_waitcnt lgkmcnt(0)
	s_barrier
	s_and_saveexec_b64 s[6:7], s[52:53]
	s_cbranch_execz .LBB167_920
; %bb.919:
	ds_read_b64 v[18:19], v7 offset:27040
	ds_read_b64 v[20:21], v8
	s_waitcnt lgkmcnt(0)
	v_mul_f32_e32 v22, v21, v19
	v_mul_f32_e32 v19, v20, v19
	v_fma_f32 v20, v20, v18, -v22
	v_fmac_f32_e32 v19, v21, v18
	v_add_f32_e32 v17, v17, v20
	v_add_f32_e32 v16, v16, v19
.LBB167_920:
	s_or_b64 exec, exec, s[6:7]
	s_barrier
	s_and_saveexec_b64 s[6:7], s[54:55]
	s_cbranch_execz .LBB167_922
; %bb.921:
	v_mov_b32_e32 v18, 0
	ds_read_b64 v[18:19], v18 offset:27560
	s_waitcnt lgkmcnt(0)
	v_mul_f32_e32 v21, v16, v19
	v_mul_f32_e32 v20, v17, v19
	v_fma_f32 v19, v17, v18, -v21
	v_fmac_f32_e32 v20, v16, v18
	v_mov_b32_e32 v17, v19
	v_mov_b32_e32 v16, v20
	ds_write_b64 v8, v[19:20]
.LBB167_922:
	s_or_b64 exec, exec, s[6:7]
	s_waitcnt lgkmcnt(0)
	s_barrier
	s_and_saveexec_b64 s[6:7], s[56:57]
	s_cbranch_execz .LBB167_924
; %bb.923:
	ds_read_b64 v[18:19], v7 offset:27552
	ds_read_b64 v[20:21], v8
	s_waitcnt lgkmcnt(0)
	v_mul_f32_e32 v22, v21, v19
	v_mul_f32_e32 v19, v20, v19
	v_fma_f32 v20, v20, v18, -v22
	v_fmac_f32_e32 v19, v21, v18
	v_add_f32_e32 v17, v17, v20
	v_add_f32_e32 v16, v16, v19
.LBB167_924:
	s_or_b64 exec, exec, s[6:7]
	s_barrier
	s_and_saveexec_b64 s[6:7], s[58:59]
	s_cbranch_execz .LBB167_926
; %bb.925:
	v_mov_b32_e32 v18, 0
	ds_read_b64 v[18:19], v18 offset:28080
	s_waitcnt lgkmcnt(0)
	v_mul_f32_e32 v21, v16, v19
	v_mul_f32_e32 v20, v17, v19
	v_fma_f32 v19, v17, v18, -v21
	v_fmac_f32_e32 v20, v16, v18
	v_mov_b32_e32 v17, v19
	v_mov_b32_e32 v16, v20
	ds_write_b64 v8, v[19:20]
.LBB167_926:
	s_or_b64 exec, exec, s[6:7]
	s_waitcnt lgkmcnt(0)
	s_barrier
	s_and_saveexec_b64 s[6:7], s[48:49]
	s_cbranch_execz .LBB167_928
; %bb.927:
	v_mov_b32_e32 v18, 0
	ds_read_b64 v[18:19], v18 offset:28088
	ds_read_b64 v[20:21], v8
	s_waitcnt lgkmcnt(0)
	v_mul_f32_e32 v22, v21, v19
	v_mul_f32_e32 v19, v20, v19
	v_fma_f32 v20, v20, v18, -v22
	v_fmac_f32_e32 v19, v21, v18
	v_add_f32_e32 v17, v17, v20
	v_add_f32_e32 v16, v16, v19
.LBB167_928:
	s_or_b64 exec, exec, s[6:7]
	s_barrier
	s_and_saveexec_b64 s[6:7], s[48:49]
	s_cbranch_execz .LBB167_930
; %bb.929:
	v_mov_b32_e32 v18, 0
	ds_read_b64 v[18:19], v18 offset:28600
	s_waitcnt lgkmcnt(0)
	v_mul_f32_e32 v21, v16, v19
	v_mul_f32_e32 v20, v17, v19
	v_fma_f32 v19, v17, v18, -v21
	v_fmac_f32_e32 v20, v16, v18
	v_mov_b32_e32 v17, v19
	v_mov_b32_e32 v16, v20
	ds_write_b64 v8, v[19:20]
.LBB167_930:
	s_or_b64 exec, exec, s[6:7]
	s_waitcnt lgkmcnt(0)
	s_barrier
	s_barrier
	s_and_saveexec_b64 s[6:7], s[10:11]
; %bb.931:
	v_xor_b32_e32 v17, 0x80000000, v17
	v_xor_b32_e32 v18, 0x80000000, v16
	ds_write_b64 v6, v[17:18] offset:24992
; %bb.932:
	s_or_b64 exec, exec, s[6:7]
	s_waitcnt lgkmcnt(0)
	s_barrier
	s_barrier
	s_and_saveexec_b64 s[6:7], s[60:61]
	s_cbranch_execz .LBB167_934
; %bb.933:
	v_lshlrev_b32_e32 v18, 9, v0
	ds_read_b64 v[16:17], v18 offset:24992
	s_movk_i32 s14, 0xfe08
	v_mad_i32_i24 v19, v0, s14, v18
	s_waitcnt lgkmcnt(0)
	ds_write_b64 v19, v[16:17] offset:27008
	ds_read_b64 v[16:17], v18 offset:25000
	s_waitcnt lgkmcnt(0)
	ds_write_b64 v19, v[16:17] offset:27520
	ds_read_b64 v[16:17], v18 offset:25008
	;; [unrolled: 3-line block ×3, first 2 shown]
	s_waitcnt lgkmcnt(0)
	ds_write_b64 v19, v[16:17] offset:28544
.LBB167_934:
	s_or_b64 exec, exec, s[6:7]
	s_waitcnt lgkmcnt(0)
	s_barrier
	s_and_saveexec_b64 s[6:7], vcc
	s_cbranch_execz .LBB167_936
; %bb.935:
	v_mov_b32_e32 v20, 0
	ds_read_b128 v[16:19], v20 offset:27040
	ds_read_b64 v[20:21], v20 offset:27560
	s_movk_i32 s14, 0x6800
	s_waitcnt lgkmcnt(0)
	v_mul_f32_e32 v22, v21, v17
	v_mul_f32_e32 v23, v20, v17
	v_fma_f32 v20, v20, v16, -v22
	v_fmac_f32_e32 v23, v21, v16
	v_mul_f32_e32 v16, v23, v19
	v_mul_f32_e32 v17, v20, v19
	v_fma_f32 v16, v20, v18, -v16
	v_fmac_f32_e32 v17, v23, v18
	v_add_u32_e64 v18, s14, 0
	ds_write2_b64 v18, v[16:17], v[16:17] offset0:53 offset1:116
.LBB167_936:
	s_or_b64 exec, exec, s[6:7]
	v_mov_b32_e32 v16, 0
	v_mov_b32_e32 v17, 0
	s_waitcnt lgkmcnt(0)
	s_barrier
	s_and_saveexec_b64 s[6:7], s[22:23]
	s_cbranch_execz .LBB167_940
; %bb.937:
	v_mul_u32_u24_e32 v18, 0x208, v5
	ds_read_b64 v[16:17], v3 offset:27056
	ds_read_b64 v[18:19], v18 offset:27040
	v_cmp_gt_u32_e64 s[14:15], 2, v1
	s_waitcnt lgkmcnt(0)
	v_mul_f32_e32 v20, v19, v17
	v_mul_f32_e32 v17, v18, v17
	v_fma_f32 v18, v18, v16, -v20
	v_fmac_f32_e32 v17, v19, v16
	v_add_f32_e32 v16, 0, v18
	v_add_f32_e32 v18, 0, v17
	s_and_saveexec_b64 s[16:17], s[14:15]
	s_cbranch_execz .LBB167_939
; %bb.938:
	v_lshlrev_b32_e32 v17, 3, v0
	v_mov_b32_e32 v21, 0
	ds_read_b64 v[19:20], v17 offset:27568
	ds_read_b64 v[21:22], v21 offset:27048
	s_waitcnt lgkmcnt(0)
	v_mul_f32_e32 v17, v22, v20
	v_mul_f32_e32 v20, v21, v20
	v_fma_f32 v17, v21, v19, -v17
	v_fmac_f32_e32 v20, v22, v19
	v_add_f32_e32 v16, v16, v17
	v_add_f32_e32 v18, v18, v20
.LBB167_939:
	s_or_b64 exec, exec, s[16:17]
	v_xor_b32_e32 v17, 0x80000000, v16
	v_xor_b32_e32 v16, 0x80000000, v18
.LBB167_940:
	s_or_b64 exec, exec, s[6:7]
	s_and_saveexec_b64 s[6:7], s[44:45]
	s_cbranch_execz .LBB167_942
; %bb.941:
	v_mov_b32_e32 v18, 0
	ds_read_b64 v[18:19], v18 offset:28080
	s_waitcnt lgkmcnt(0)
	v_mul_f32_e32 v21, v16, v19
	v_mul_f32_e32 v20, v17, v19
	v_fma_f32 v19, v17, v18, -v21
	v_fmac_f32_e32 v20, v16, v18
	v_mov_b32_e32 v17, v19
	v_mov_b32_e32 v16, v20
	ds_write_b64 v4, v[19:20]
.LBB167_942:
	s_or_b64 exec, exec, s[6:7]
	s_waitcnt lgkmcnt(0)
	s_barrier
	s_and_saveexec_b64 s[6:7], s[42:43]
	s_cbranch_execz .LBB167_944
; %bb.943:
	v_mov_b32_e32 v18, 0
	ds_read_b64 v[18:19], v18 offset:28088
	ds_read_b64 v[20:21], v4
	s_waitcnt lgkmcnt(0)
	v_mul_f32_e32 v22, v21, v19
	v_mul_f32_e32 v19, v20, v19
	v_fma_f32 v20, v20, v18, -v22
	v_fmac_f32_e32 v19, v21, v18
	v_add_f32_e32 v17, v17, v20
	v_add_f32_e32 v16, v16, v19
.LBB167_944:
	s_or_b64 exec, exec, s[6:7]
	s_barrier
	s_and_saveexec_b64 s[6:7], s[42:43]
	s_cbranch_execz .LBB167_946
; %bb.945:
	v_mov_b32_e32 v18, 0
	ds_read_b64 v[18:19], v18 offset:28600
	s_waitcnt lgkmcnt(0)
	v_mul_f32_e32 v21, v16, v19
	v_mul_f32_e32 v20, v17, v19
	v_fma_f32 v19, v17, v18, -v21
	v_fmac_f32_e32 v20, v16, v18
	v_mov_b32_e32 v17, v19
	v_mov_b32_e32 v16, v20
	ds_write_b64 v4, v[19:20]
.LBB167_946:
	s_or_b64 exec, exec, s[6:7]
	s_waitcnt lgkmcnt(0)
	s_barrier
	s_barrier
	s_and_saveexec_b64 s[6:7], s[22:23]
; %bb.947:
	v_xor_b32_e32 v18, 0x80000000, v16
	v_xor_b32_e32 v17, 0x80000000, v17
	ds_write_b64 v3, v[17:18] offset:27056
; %bb.948:
	s_or_b64 exec, exec, s[6:7]
	s_waitcnt lgkmcnt(0)
	s_barrier
	s_barrier
	s_and_saveexec_b64 s[6:7], s[46:47]
	s_cbranch_execz .LBB167_950
; %bb.949:
	v_lshlrev_b32_e32 v18, 3, v0
	s_movk_i32 s14, 0x1f8
	v_mad_u32_u24 v19, v0, s14, v18
	ds_read_b64 v[16:17], v19 offset:27056
	s_waitcnt lgkmcnt(0)
	ds_write_b64 v18, v[16:17] offset:28064
	ds_read_b64 v[16:17], v19 offset:27064
	s_waitcnt lgkmcnt(0)
	ds_write_b64 v18, v[16:17] offset:28576
.LBB167_950:
	s_or_b64 exec, exec, s[6:7]
	s_waitcnt lgkmcnt(0)
	s_barrier
	s_and_saveexec_b64 s[6:7], vcc
	s_cbranch_execz .LBB167_952
; %bb.951:
	v_mov_b32_e32 v20, 0
	ds_read_b128 v[16:19], v20 offset:28080
	ds_read_b64 v[20:21], v20 offset:28600
	s_movk_i32 s14, 0x6800
	s_waitcnt lgkmcnt(0)
	v_mul_f32_e32 v22, v21, v17
	v_mul_f32_e32 v23, v20, v17
	v_fma_f32 v20, v20, v16, -v22
	v_fmac_f32_e32 v23, v21, v16
	v_mul_f32_e32 v16, v23, v19
	v_mul_f32_e32 v17, v20, v19
	v_fma_f32 v16, v20, v18, -v16
	v_fmac_f32_e32 v17, v23, v18
	v_add_u32_e64 v18, s14, 0
	ds_write2_b64 v18, v[16:17], v[16:17] offset0:183 offset1:246
.LBB167_952:
	s_or_b64 exec, exec, s[6:7]
	v_mov_b32_e32 v16, 0
	v_mov_b32_e32 v17, 0
	s_waitcnt lgkmcnt(0)
	s_barrier
	s_and_saveexec_b64 s[6:7], s[12:13]
	s_cbranch_execz .LBB167_962
; %bb.953:
	v_mul_u32_u24_e32 v17, 0x208, v15
	ds_read_b64 v[18:19], v11 offset:25024
	ds_read_b64 v[20:21], v17 offset:24960
	v_cmp_gt_u32_e64 s[14:15], 56, v1
	s_waitcnt lgkmcnt(0)
	v_mul_f32_e32 v16, v21, v19
	v_mul_f32_e32 v19, v20, v19
	v_fma_f32 v16, v20, v18, -v16
	v_fmac_f32_e32 v19, v21, v18
	v_add_f32_e32 v16, 0, v16
	v_add_f32_e32 v18, 0, v19
	s_and_saveexec_b64 s[16:17], s[14:15]
	s_cbranch_execnz .LBB167_1158
; %bb.954:
	s_or_b64 exec, exec, s[16:17]
	v_cmp_gt_u32_e64 s[14:15], 48, v1
	s_and_saveexec_b64 s[16:17], s[14:15]
	s_cbranch_execnz .LBB167_1159
.LBB167_955:
	s_or_b64 exec, exec, s[16:17]
	v_cmp_gt_u32_e64 s[14:15], 40, v1
	s_and_saveexec_b64 s[16:17], s[14:15]
	s_cbranch_execnz .LBB167_1160
.LBB167_956:
	s_or_b64 exec, exec, s[16:17]
	v_cmp_gt_u32_e64 s[14:15], 32, v1
	s_and_saveexec_b64 s[16:17], s[14:15]
	s_cbranch_execnz .LBB167_1161
.LBB167_957:
	s_or_b64 exec, exec, s[16:17]
	v_cmp_gt_u32_e64 s[14:15], 24, v1
	s_and_saveexec_b64 s[16:17], s[14:15]
	s_cbranch_execnz .LBB167_1162
.LBB167_958:
	s_or_b64 exec, exec, s[16:17]
	v_cmp_gt_u32_e64 s[14:15], 16, v1
	s_and_saveexec_b64 s[16:17], s[14:15]
	s_cbranch_execnz .LBB167_1163
.LBB167_959:
	s_or_b64 exec, exec, s[16:17]
	v_cmp_gt_u32_e64 s[14:15], 8, v1
	s_and_saveexec_b64 s[16:17], s[14:15]
	s_cbranch_execz .LBB167_961
.LBB167_960:
	v_lshlrev_b32_e32 v14, 3, v0
	v_mov_b32_e32 v17, 0
	ds_read_b64 v[14:15], v14 offset:28608
	ds_read_b64 v[19:20], v17 offset:25016
	s_waitcnt lgkmcnt(0)
	v_mul_f32_e32 v17, v20, v15
	v_mul_f32_e32 v15, v19, v15
	v_fma_f32 v17, v19, v14, -v17
	v_fmac_f32_e32 v15, v20, v14
	v_add_f32_e32 v16, v16, v17
	v_add_f32_e32 v18, v18, v15
.LBB167_961:
	s_or_b64 exec, exec, s[16:17]
	v_xor_b32_e32 v17, 0x80000000, v16
	v_xor_b32_e32 v16, 0x80000000, v18
.LBB167_962:
	s_or_b64 exec, exec, s[6:7]
	s_and_saveexec_b64 s[6:7], s[64:65]
	s_cbranch_execz .LBB167_964
; %bb.963:
	v_mov_b32_e32 v14, 0
	ds_read_b64 v[14:15], v14 offset:29120
	s_waitcnt lgkmcnt(0)
	v_mul_f32_e32 v18, v17, v15
	v_mul_f32_e32 v19, v16, v15
	v_fmac_f32_e32 v18, v16, v14
	v_fma_f32 v17, v17, v14, -v19
	v_mov_b32_e32 v16, v18
	ds_write_b64 v13, v[17:18]
.LBB167_964:
	s_or_b64 exec, exec, s[6:7]
	s_waitcnt lgkmcnt(0)
	s_barrier
	s_and_saveexec_b64 s[6:7], s[66:67]
	s_cbranch_execz .LBB167_966
; %bb.965:
	ds_read_b64 v[14:15], v12 offset:29120
	ds_read_b64 v[18:19], v13
	s_waitcnt lgkmcnt(0)
	v_mul_f32_e32 v20, v19, v15
	v_mul_f32_e32 v15, v18, v15
	v_fma_f32 v18, v18, v14, -v20
	v_fmac_f32_e32 v15, v19, v14
	v_add_f32_e32 v17, v17, v18
	v_add_f32_e32 v16, v16, v15
.LBB167_966:
	s_or_b64 exec, exec, s[6:7]
	s_barrier
	s_and_saveexec_b64 s[6:7], s[68:69]
	s_cbranch_execz .LBB167_968
; %bb.967:
	v_mov_b32_e32 v14, 0
	ds_read_b64 v[14:15], v14 offset:29640
	s_waitcnt lgkmcnt(0)
	v_mul_f32_e32 v18, v17, v15
	v_mul_f32_e32 v19, v16, v15
	v_fmac_f32_e32 v18, v16, v14
	v_fma_f32 v17, v17, v14, -v19
	v_mov_b32_e32 v16, v18
	ds_write_b64 v13, v[17:18]
.LBB167_968:
	s_or_b64 exec, exec, s[6:7]
	s_waitcnt lgkmcnt(0)
	s_barrier
	s_and_saveexec_b64 s[6:7], s[70:71]
	s_cbranch_execz .LBB167_970
; %bb.969:
	ds_read_b64 v[14:15], v12 offset:29632
	ds_read_b64 v[18:19], v13
	s_waitcnt lgkmcnt(0)
	v_mul_f32_e32 v20, v19, v15
	v_mul_f32_e32 v15, v18, v15
	v_fma_f32 v18, v18, v14, -v20
	v_fmac_f32_e32 v15, v19, v14
	v_add_f32_e32 v17, v17, v18
	v_add_f32_e32 v16, v16, v15
.LBB167_970:
	s_or_b64 exec, exec, s[6:7]
	s_barrier
	;; [unrolled: 31-line block ×6, first 2 shown]
	s_and_saveexec_b64 s[6:7], s[88:89]
	s_cbranch_execz .LBB167_988
; %bb.987:
	v_mov_b32_e32 v12, 0
	ds_read_b64 v[14:15], v12 offset:32240
	s_waitcnt lgkmcnt(0)
	v_mul_f32_e32 v18, v17, v15
	v_mul_f32_e32 v12, v16, v15
	v_fmac_f32_e32 v18, v16, v14
	v_fma_f32 v17, v17, v14, -v12
	v_mov_b32_e32 v16, v18
	ds_write_b64 v13, v[17:18]
.LBB167_988:
	s_or_b64 exec, exec, s[6:7]
	s_waitcnt lgkmcnt(0)
	s_barrier
	s_and_saveexec_b64 s[6:7], s[62:63]
	s_cbranch_execz .LBB167_990
; %bb.989:
	v_mov_b32_e32 v12, 0
	ds_read_b64 v[14:15], v12 offset:32248
	ds_read_b64 v[18:19], v13
	s_waitcnt lgkmcnt(0)
	v_mul_f32_e32 v12, v19, v15
	v_mul_f32_e32 v15, v18, v15
	v_fma_f32 v12, v18, v14, -v12
	v_fmac_f32_e32 v15, v19, v14
	v_add_f32_e32 v17, v17, v12
	v_add_f32_e32 v16, v16, v15
.LBB167_990:
	s_or_b64 exec, exec, s[6:7]
	s_barrier
	s_and_saveexec_b64 s[6:7], s[62:63]
	s_cbranch_execz .LBB167_992
; %bb.991:
	v_mov_b32_e32 v12, 0
	ds_read_b64 v[14:15], v12 offset:32760
	s_waitcnt lgkmcnt(0)
	v_mul_f32_e32 v18, v17, v15
	v_mul_f32_e32 v12, v16, v15
	v_fmac_f32_e32 v18, v16, v14
	v_fma_f32 v17, v17, v14, -v12
	v_mov_b32_e32 v16, v18
	ds_write_b64 v13, v[17:18]
.LBB167_992:
	s_or_b64 exec, exec, s[6:7]
	s_waitcnt lgkmcnt(0)
	s_barrier
	s_barrier
	s_and_saveexec_b64 s[6:7], s[12:13]
; %bb.993:
	v_xor_b32_e32 v13, 0x80000000, v16
	v_xor_b32_e32 v12, 0x80000000, v17
	ds_write_b64 v11, v[12:13] offset:25024
; %bb.994:
	s_or_b64 exec, exec, s[6:7]
	s_waitcnt lgkmcnt(0)
	s_barrier
	s_barrier
	s_and_saveexec_b64 s[6:7], s[90:91]
	s_cbranch_execz .LBB167_996
; %bb.995:
	v_lshlrev_b32_e32 v13, 9, v0
	ds_read_b64 v[11:12], v13 offset:25024
	s_movk_i32 s12, 0xfe08
	v_mad_i32_i24 v14, v0, s12, v13
	s_waitcnt lgkmcnt(0)
	ds_write_b64 v14, v[11:12] offset:29056
	ds_read_b64 v[11:12], v13 offset:25032
	s_waitcnt lgkmcnt(0)
	ds_write_b64 v14, v[11:12] offset:29568
	ds_read_b64 v[11:12], v13 offset:25040
	;; [unrolled: 3-line block ×7, first 2 shown]
	s_waitcnt lgkmcnt(0)
	ds_write_b64 v14, v[11:12] offset:32640
.LBB167_996:
	s_or_b64 exec, exec, s[6:7]
	s_waitcnt lgkmcnt(0)
	s_barrier
	s_and_saveexec_b64 s[6:7], vcc
	s_cbranch_execz .LBB167_998
; %bb.997:
	v_mov_b32_e32 v15, 0
	ds_read_b128 v[11:14], v15 offset:29120
	ds_read_b64 v[15:16], v15 offset:29640
	s_movk_i32 s12, 0x7000
	s_waitcnt lgkmcnt(0)
	v_mul_f32_e32 v17, v16, v12
	v_mul_f32_e32 v18, v15, v12
	v_fma_f32 v15, v15, v11, -v17
	v_fmac_f32_e32 v18, v16, v11
	v_mul_f32_e32 v11, v18, v14
	v_mul_f32_e32 v12, v15, v14
	v_fma_f32 v11, v15, v13, -v11
	v_fmac_f32_e32 v12, v18, v13
	v_add_u32_e64 v13, s12, 0
	ds_write2_b64 v13, v[11:12], v[11:12] offset0:57 offset1:120
.LBB167_998:
	s_or_b64 exec, exec, s[6:7]
	v_mov_b32_e32 v11, 0
	v_mov_b32_e32 v12, 0
	s_waitcnt lgkmcnt(0)
	s_barrier
	s_and_saveexec_b64 s[6:7], s[22:23]
	s_cbranch_execz .LBB167_1002
; %bb.999:
	v_mul_u32_u24_e32 v13, 0x208, v5
	ds_read_b64 v[11:12], v3 offset:29136
	ds_read_b64 v[13:14], v13 offset:29120
	v_cmp_gt_u32_e64 s[12:13], 2, v1
	s_waitcnt lgkmcnt(0)
	v_mul_f32_e32 v15, v14, v12
	v_mul_f32_e32 v12, v13, v12
	v_fma_f32 v13, v13, v11, -v15
	v_fmac_f32_e32 v12, v14, v11
	v_add_f32_e32 v11, 0, v13
	v_add_f32_e32 v13, 0, v12
	s_and_saveexec_b64 s[14:15], s[12:13]
	s_cbranch_execz .LBB167_1001
; %bb.1000:
	v_lshlrev_b32_e32 v12, 3, v0
	v_mov_b32_e32 v16, 0
	ds_read_b64 v[14:15], v12 offset:29648
	ds_read_b64 v[16:17], v16 offset:29128
	s_waitcnt lgkmcnt(0)
	v_mul_f32_e32 v12, v17, v15
	v_mul_f32_e32 v15, v16, v15
	v_fma_f32 v12, v16, v14, -v12
	v_fmac_f32_e32 v15, v17, v14
	v_add_f32_e32 v11, v11, v12
	v_add_f32_e32 v13, v13, v15
.LBB167_1001:
	s_or_b64 exec, exec, s[14:15]
	v_xor_b32_e32 v12, 0x80000000, v11
	v_xor_b32_e32 v11, 0x80000000, v13
.LBB167_1002:
	s_or_b64 exec, exec, s[6:7]
	s_and_saveexec_b64 s[6:7], s[44:45]
	s_cbranch_execz .LBB167_1004
; %bb.1003:
	v_mov_b32_e32 v13, 0
	ds_read_b64 v[13:14], v13 offset:30160
	s_waitcnt lgkmcnt(0)
	v_mul_f32_e32 v16, v11, v14
	v_mul_f32_e32 v15, v12, v14
	v_fma_f32 v14, v12, v13, -v16
	v_fmac_f32_e32 v15, v11, v13
	v_mov_b32_e32 v12, v14
	v_mov_b32_e32 v11, v15
	ds_write_b64 v4, v[14:15]
.LBB167_1004:
	s_or_b64 exec, exec, s[6:7]
	s_waitcnt lgkmcnt(0)
	s_barrier
	s_and_saveexec_b64 s[6:7], s[42:43]
	s_cbranch_execz .LBB167_1006
; %bb.1005:
	v_mov_b32_e32 v13, 0
	ds_read_b64 v[13:14], v13 offset:30168
	ds_read_b64 v[15:16], v4
	s_waitcnt lgkmcnt(0)
	v_mul_f32_e32 v17, v16, v14
	v_mul_f32_e32 v14, v15, v14
	v_fma_f32 v15, v15, v13, -v17
	v_fmac_f32_e32 v14, v16, v13
	v_add_f32_e32 v12, v12, v15
	v_add_f32_e32 v11, v11, v14
.LBB167_1006:
	s_or_b64 exec, exec, s[6:7]
	s_barrier
	s_and_saveexec_b64 s[6:7], s[42:43]
	s_cbranch_execz .LBB167_1008
; %bb.1007:
	v_mov_b32_e32 v13, 0
	ds_read_b64 v[13:14], v13 offset:30680
	s_waitcnt lgkmcnt(0)
	v_mul_f32_e32 v16, v11, v14
	v_mul_f32_e32 v15, v12, v14
	v_fma_f32 v14, v12, v13, -v16
	v_fmac_f32_e32 v15, v11, v13
	v_mov_b32_e32 v12, v14
	v_mov_b32_e32 v11, v15
	ds_write_b64 v4, v[14:15]
.LBB167_1008:
	s_or_b64 exec, exec, s[6:7]
	s_waitcnt lgkmcnt(0)
	s_barrier
	s_barrier
	s_and_saveexec_b64 s[6:7], s[22:23]
; %bb.1009:
	v_xor_b32_e32 v13, 0x80000000, v11
	v_xor_b32_e32 v12, 0x80000000, v12
	ds_write_b64 v3, v[12:13] offset:29136
; %bb.1010:
	s_or_b64 exec, exec, s[6:7]
	s_waitcnt lgkmcnt(0)
	s_barrier
	s_barrier
	s_and_saveexec_b64 s[6:7], s[46:47]
	s_cbranch_execz .LBB167_1012
; %bb.1011:
	v_lshlrev_b32_e32 v13, 3, v0
	s_movk_i32 s12, 0x1f8
	v_mad_u32_u24 v14, v0, s12, v13
	ds_read_b64 v[11:12], v14 offset:29136
	s_waitcnt lgkmcnt(0)
	ds_write_b64 v13, v[11:12] offset:30144
	ds_read_b64 v[11:12], v14 offset:29144
	s_waitcnt lgkmcnt(0)
	ds_write_b64 v13, v[11:12] offset:30656
.LBB167_1012:
	s_or_b64 exec, exec, s[6:7]
	s_waitcnt lgkmcnt(0)
	s_barrier
	s_and_saveexec_b64 s[6:7], vcc
	s_cbranch_execz .LBB167_1014
; %bb.1013:
	v_mov_b32_e32 v15, 0
	ds_read_b128 v[11:14], v15 offset:30160
	ds_read_b64 v[15:16], v15 offset:30680
	s_movk_i32 s12, 0x7000
	s_waitcnt lgkmcnt(0)
	v_mul_f32_e32 v17, v16, v12
	v_mul_f32_e32 v18, v15, v12
	v_fma_f32 v15, v15, v11, -v17
	v_fmac_f32_e32 v18, v16, v11
	v_mul_f32_e32 v11, v18, v14
	v_mul_f32_e32 v12, v15, v14
	v_fma_f32 v11, v15, v13, -v11
	v_fmac_f32_e32 v12, v18, v13
	v_add_u32_e64 v13, s12, 0
	ds_write2_b64 v13, v[11:12], v[11:12] offset0:187 offset1:250
.LBB167_1014:
	s_or_b64 exec, exec, s[6:7]
	v_mov_b32_e32 v11, 0
	v_mov_b32_e32 v12, 0
	s_waitcnt lgkmcnt(0)
	s_barrier
	s_and_saveexec_b64 s[6:7], s[10:11]
	s_cbranch_execz .LBB167_1020
; %bb.1015:
	v_mul_u32_u24_e32 v12, 0x208, v10
	ds_read_b64 v[13:14], v6 offset:29152
	ds_read_b64 v[15:16], v12 offset:29120
	v_cmp_gt_u32_e64 s[12:13], 12, v1
	s_waitcnt lgkmcnt(0)
	v_mul_f32_e32 v11, v16, v14
	v_mul_f32_e32 v14, v15, v14
	v_fma_f32 v11, v15, v13, -v11
	v_fmac_f32_e32 v14, v16, v13
	v_add_f32_e32 v11, 0, v11
	v_add_f32_e32 v13, 0, v14
	s_and_saveexec_b64 s[14:15], s[12:13]
	s_cbranch_execnz .LBB167_1164
; %bb.1016:
	s_or_b64 exec, exec, s[14:15]
	v_cmp_gt_u32_e64 s[12:13], 8, v1
	s_and_saveexec_b64 s[14:15], s[12:13]
	s_cbranch_execnz .LBB167_1165
.LBB167_1017:
	s_or_b64 exec, exec, s[14:15]
	v_cmp_gt_u32_e64 s[12:13], 4, v1
	s_and_saveexec_b64 s[14:15], s[12:13]
	s_cbranch_execz .LBB167_1019
.LBB167_1018:
	v_lshlrev_b32_e32 v9, 3, v0
	v_mov_b32_e32 v12, 0
	ds_read_b64 v[9:10], v9 offset:30688
	ds_read_b64 v[14:15], v12 offset:29144
	s_waitcnt lgkmcnt(0)
	v_mul_f32_e32 v12, v15, v10
	v_mul_f32_e32 v10, v14, v10
	v_fma_f32 v12, v14, v9, -v12
	v_fmac_f32_e32 v10, v15, v9
	v_add_f32_e32 v11, v11, v12
	v_add_f32_e32 v13, v13, v10
.LBB167_1019:
	s_or_b64 exec, exec, s[14:15]
	v_xor_b32_e32 v12, 0x80000000, v11
	v_xor_b32_e32 v11, 0x80000000, v13
.LBB167_1020:
	s_or_b64 exec, exec, s[6:7]
	s_and_saveexec_b64 s[6:7], s[50:51]
	s_cbranch_execz .LBB167_1022
; %bb.1021:
	v_mov_b32_e32 v9, 0
	ds_read_b64 v[9:10], v9 offset:31200
	s_waitcnt lgkmcnt(0)
	v_mul_f32_e32 v13, v12, v10
	v_mul_f32_e32 v14, v11, v10
	v_fmac_f32_e32 v13, v11, v9
	v_fma_f32 v12, v12, v9, -v14
	v_mov_b32_e32 v11, v13
	ds_write_b64 v8, v[12:13]
.LBB167_1022:
	s_or_b64 exec, exec, s[6:7]
	s_waitcnt lgkmcnt(0)
	s_barrier
	s_and_saveexec_b64 s[6:7], s[52:53]
	v_readlane_b32 s26, v34, 3
	v_readlane_b32 s50, v34, 1
	;; [unrolled: 1-line block ×4, first 2 shown]
	s_cbranch_execz .LBB167_1024
; %bb.1023:
	ds_read_b64 v[9:10], v7 offset:31200
	ds_read_b64 v[13:14], v8
	s_waitcnt lgkmcnt(0)
	v_mul_f32_e32 v15, v14, v10
	v_mul_f32_e32 v10, v13, v10
	v_fma_f32 v13, v13, v9, -v15
	v_fmac_f32_e32 v10, v14, v9
	v_add_f32_e32 v12, v12, v13
	v_add_f32_e32 v11, v11, v10
.LBB167_1024:
	s_or_b64 exec, exec, s[6:7]
	s_barrier
	s_and_saveexec_b64 s[6:7], s[54:55]
	s_cbranch_execz .LBB167_1026
; %bb.1025:
	v_mov_b32_e32 v9, 0
	ds_read_b64 v[9:10], v9 offset:31720
	s_waitcnt lgkmcnt(0)
	v_mul_f32_e32 v13, v12, v10
	v_mul_f32_e32 v14, v11, v10
	v_fmac_f32_e32 v13, v11, v9
	v_fma_f32 v12, v12, v9, -v14
	v_mov_b32_e32 v11, v13
	ds_write_b64 v8, v[12:13]
.LBB167_1026:
	s_or_b64 exec, exec, s[6:7]
	s_waitcnt lgkmcnt(0)
	s_barrier
	s_and_saveexec_b64 s[6:7], s[56:57]
	s_cbranch_execz .LBB167_1028
; %bb.1027:
	ds_read_b64 v[9:10], v7 offset:31712
	ds_read_b64 v[13:14], v8
	s_waitcnt lgkmcnt(0)
	v_mul_f32_e32 v7, v14, v10
	v_mul_f32_e32 v10, v13, v10
	v_fma_f32 v7, v13, v9, -v7
	v_fmac_f32_e32 v10, v14, v9
	v_add_f32_e32 v12, v12, v7
	v_add_f32_e32 v11, v11, v10
.LBB167_1028:
	s_or_b64 exec, exec, s[6:7]
	s_barrier
	s_and_saveexec_b64 s[6:7], s[58:59]
	s_cbranch_execz .LBB167_1030
; %bb.1029:
	v_mov_b32_e32 v7, 0
	ds_read_b64 v[9:10], v7 offset:32240
	s_waitcnt lgkmcnt(0)
	v_mul_f32_e32 v13, v12, v10
	v_mul_f32_e32 v7, v11, v10
	v_fmac_f32_e32 v13, v11, v9
	v_fma_f32 v12, v12, v9, -v7
	v_mov_b32_e32 v11, v13
	ds_write_b64 v8, v[12:13]
.LBB167_1030:
	s_or_b64 exec, exec, s[6:7]
	s_waitcnt lgkmcnt(0)
	s_barrier
	s_and_saveexec_b64 s[6:7], s[48:49]
	s_cbranch_execz .LBB167_1032
; %bb.1031:
	v_mov_b32_e32 v7, 0
	ds_read_b64 v[9:10], v7 offset:32248
	ds_read_b64 v[13:14], v8
	s_waitcnt lgkmcnt(0)
	v_mul_f32_e32 v7, v14, v10
	v_mul_f32_e32 v10, v13, v10
	v_fma_f32 v7, v13, v9, -v7
	v_fmac_f32_e32 v10, v14, v9
	v_add_f32_e32 v12, v12, v7
	v_add_f32_e32 v11, v11, v10
.LBB167_1032:
	s_or_b64 exec, exec, s[6:7]
	s_barrier
	s_and_saveexec_b64 s[6:7], s[48:49]
	s_cbranch_execz .LBB167_1034
; %bb.1033:
	v_mov_b32_e32 v7, 0
	ds_read_b64 v[9:10], v7 offset:32760
	s_waitcnt lgkmcnt(0)
	v_mul_f32_e32 v13, v12, v10
	v_mul_f32_e32 v7, v11, v10
	v_fmac_f32_e32 v13, v11, v9
	v_fma_f32 v12, v12, v9, -v7
	v_mov_b32_e32 v11, v13
	ds_write_b64 v8, v[12:13]
.LBB167_1034:
	s_or_b64 exec, exec, s[6:7]
	s_waitcnt lgkmcnt(0)
	s_barrier
	s_barrier
	s_and_saveexec_b64 s[6:7], s[10:11]
; %bb.1035:
	v_xor_b32_e32 v7, 0x80000000, v12
	v_xor_b32_e32 v8, 0x80000000, v11
	ds_write_b64 v6, v[7:8] offset:29152
; %bb.1036:
	s_or_b64 exec, exec, s[6:7]
	s_waitcnt lgkmcnt(0)
	s_barrier
	s_barrier
	s_and_saveexec_b64 s[6:7], s[60:61]
	s_cbranch_execz .LBB167_1038
; %bb.1037:
	v_lshlrev_b32_e32 v8, 9, v0
	ds_read_b64 v[6:7], v8 offset:29152
	s_movk_i32 s10, 0xfe08
	v_mad_i32_i24 v9, v0, s10, v8
	s_waitcnt lgkmcnt(0)
	ds_write_b64 v9, v[6:7] offset:31168
	ds_read_b64 v[6:7], v8 offset:29160
	s_waitcnt lgkmcnt(0)
	ds_write_b64 v9, v[6:7] offset:31680
	ds_read_b64 v[6:7], v8 offset:29168
	;; [unrolled: 3-line block ×3, first 2 shown]
	s_waitcnt lgkmcnt(0)
	ds_write_b64 v9, v[6:7] offset:32704
.LBB167_1038:
	s_or_b64 exec, exec, s[6:7]
	s_waitcnt lgkmcnt(0)
	s_barrier
	s_and_saveexec_b64 s[6:7], vcc
	s_cbranch_execz .LBB167_1040
; %bb.1039:
	v_mov_b32_e32 v10, 0
	ds_read_b128 v[6:9], v10 offset:31200
	ds_read_b64 v[10:11], v10 offset:31720
	s_movk_i32 s10, 0x7800
	s_waitcnt lgkmcnt(0)
	v_mul_f32_e32 v12, v11, v7
	v_mul_f32_e32 v13, v10, v7
	v_fma_f32 v10, v10, v6, -v12
	v_fmac_f32_e32 v13, v11, v6
	v_mul_f32_e32 v6, v13, v9
	v_mul_f32_e32 v7, v10, v9
	v_fma_f32 v6, v10, v8, -v6
	v_fmac_f32_e32 v7, v13, v8
	v_add_u32_e64 v8, s10, 0
	ds_write2_b64 v8, v[6:7], v[6:7] offset0:61 offset1:124
.LBB167_1040:
	s_or_b64 exec, exec, s[6:7]
	v_mov_b32_e32 v6, 0
	v_mov_b32_e32 v7, 0
	s_waitcnt lgkmcnt(0)
	s_barrier
	s_and_saveexec_b64 s[6:7], s[22:23]
	s_cbranch_execz .LBB167_1044
; %bb.1041:
	v_mul_u32_u24_e32 v7, 0x208, v5
	ds_read_b64 v[5:6], v3 offset:31216
	ds_read_b64 v[7:8], v7 offset:31200
	v_cmp_gt_u32_e64 s[10:11], 2, v1
	s_waitcnt lgkmcnt(0)
	v_mul_f32_e32 v9, v8, v6
	v_mul_f32_e32 v6, v7, v6
	v_fma_f32 v7, v7, v5, -v9
	v_fmac_f32_e32 v6, v8, v5
	v_add_f32_e32 v5, 0, v7
	v_add_f32_e32 v6, 0, v6
	s_and_saveexec_b64 s[12:13], s[10:11]
	s_cbranch_execz .LBB167_1043
; %bb.1042:
	v_lshlrev_b32_e32 v7, 3, v0
	v_mov_b32_e32 v9, 0
	ds_read_b64 v[7:8], v7 offset:31728
	ds_read_b64 v[9:10], v9 offset:31208
	s_waitcnt lgkmcnt(0)
	v_mul_f32_e32 v11, v10, v8
	v_mul_f32_e32 v8, v9, v8
	v_fma_f32 v9, v9, v7, -v11
	v_fmac_f32_e32 v8, v10, v7
	v_add_f32_e32 v5, v5, v9
	v_add_f32_e32 v6, v6, v8
.LBB167_1043:
	s_or_b64 exec, exec, s[12:13]
	v_xor_b32_e32 v7, 0x80000000, v5
	v_xor_b32_e32 v6, 0x80000000, v6
.LBB167_1044:
	s_or_b64 exec, exec, s[6:7]
	s_and_saveexec_b64 s[6:7], s[44:45]
	s_cbranch_execz .LBB167_1046
; %bb.1045:
	v_mov_b32_e32 v5, 0
	ds_read_b64 v[8:9], v5 offset:32240
	s_waitcnt lgkmcnt(0)
	v_mul_f32_e32 v5, v6, v9
	v_mul_f32_e32 v10, v7, v9
	v_fma_f32 v9, v7, v8, -v5
	v_fmac_f32_e32 v10, v6, v8
	v_mov_b32_e32 v7, v9
	v_mov_b32_e32 v6, v10
	ds_write_b64 v4, v[9:10]
.LBB167_1046:
	s_or_b64 exec, exec, s[6:7]
	s_waitcnt lgkmcnt(0)
	s_barrier
	s_and_saveexec_b64 s[6:7], s[42:43]
	s_load_dword s24, s[4:5], 0x6c
	v_readlane_b32 s44, v34, 0
	s_cbranch_execz .LBB167_1048
; %bb.1047:
	v_mov_b32_e32 v5, 0
	ds_read_b64 v[8:9], v5 offset:32248
	ds_read_b64 v[10:11], v4
	s_waitcnt lgkmcnt(0)
	v_mul_f32_e32 v5, v11, v9
	v_mul_f32_e32 v9, v10, v9
	v_fma_f32 v5, v10, v8, -v5
	v_fmac_f32_e32 v9, v11, v8
	v_add_f32_e32 v7, v7, v5
	v_add_f32_e32 v6, v6, v9
.LBB167_1048:
	s_or_b64 exec, exec, s[6:7]
	s_waitcnt lgkmcnt(0)
	s_barrier
	s_and_saveexec_b64 s[6:7], s[42:43]
	s_cbranch_execz .LBB167_1050
; %bb.1049:
	v_mov_b32_e32 v5, 0
	ds_read_b64 v[8:9], v5 offset:32760
	s_waitcnt lgkmcnt(0)
	v_mul_f32_e32 v5, v6, v9
	v_mul_f32_e32 v10, v7, v9
	v_fma_f32 v9, v7, v8, -v5
	v_fmac_f32_e32 v10, v6, v8
	v_mov_b32_e32 v7, v9
	v_mov_b32_e32 v6, v10
	ds_write_b64 v4, v[9:10]
.LBB167_1050:
	s_or_b64 exec, exec, s[6:7]
	s_waitcnt lgkmcnt(0)
	s_barrier
	s_barrier
	s_and_saveexec_b64 s[6:7], s[22:23]
; %bb.1051:
	v_xor_b32_e32 v5, 0x80000000, v6
	v_xor_b32_e32 v4, 0x80000000, v7
	ds_write_b64 v3, v[4:5] offset:31216
; %bb.1052:
	s_or_b64 exec, exec, s[6:7]
	s_waitcnt lgkmcnt(0)
	s_barrier
	s_barrier
	s_and_saveexec_b64 s[6:7], s[46:47]
	s_cbranch_execz .LBB167_1054
; %bb.1053:
	v_lshlrev_b32_e32 v5, 3, v0
	s_movk_i32 s10, 0x1f8
	v_mad_u32_u24 v6, v0, s10, v5
	ds_read_b64 v[3:4], v6 offset:31216
	s_waitcnt lgkmcnt(0)
	ds_write_b64 v5, v[3:4] offset:32224
	ds_read_b64 v[3:4], v6 offset:31224
	s_waitcnt lgkmcnt(0)
	ds_write_b64 v5, v[3:4] offset:32736
.LBB167_1054:
	s_or_b64 exec, exec, s[6:7]
	s_waitcnt lgkmcnt(0)
	s_barrier
	s_and_saveexec_b64 s[6:7], vcc
	s_cbranch_execz .LBB167_1056
; %bb.1055:
	v_mov_b32_e32 v7, 0
	ds_read_b128 v[3:6], v7 offset:32240
	ds_read_b64 v[7:8], v7 offset:32760
	s_movk_i32 s10, 0x7800
	s_waitcnt lgkmcnt(0)
	v_mul_f32_e32 v9, v8, v4
	v_mul_f32_e32 v10, v7, v4
	v_fma_f32 v7, v7, v3, -v9
	v_fmac_f32_e32 v10, v8, v3
	v_mul_f32_e32 v3, v10, v6
	v_mul_f32_e32 v4, v7, v6
	v_fma_f32 v3, v7, v5, -v3
	v_fmac_f32_e32 v4, v10, v5
	v_add_u32_e64 v5, s10, 0
	ds_write2_b64 v5, v[3:4], v[3:4] offset0:191 offset1:254
.LBB167_1056:
	s_or_b64 exec, exec, s[6:7]
.LBB167_1057:
	s_load_dwordx4 s[12:15], s[4:5], 0x30
	v_cmp_le_i32_e32 vcc, s92, v0
	v_cmp_eq_u32_e64 s[16:17], 0, v2
	v_mov_b32_e32 v3, 0
	v_add_u32_e32 v5, s33, v0
	s_waitcnt lgkmcnt(0)
	s_lshl_b64 s[6:7], s[14:15], 3
	s_add_u32 s26, s26, s6
	s_addc_u32 s27, s27, s7
	s_and_b64 s[18:19], vcc, s[36:37]
	s_xor_b64 s[6:7], s[18:19], -1
	s_and_b64 s[10:11], s[16:17], s[6:7]
	v_mov_b32_e32 v4, 0
	s_barrier
	s_and_saveexec_b64 s[6:7], s[10:11]
	s_cbranch_execz .LBB167_1059
; %bb.1058:
	v_ashrrev_i32_e32 v6, 31, v5
	v_mul_lo_u32 v7, s31, v5
	v_mad_u64_u32 v[3:4], s[10:11], s30, v5, 0
	v_mul_lo_u32 v6, s30, v6
	s_load_dwordx2 s[10:11], s[4:5], 0x28
	v_add3_u32 v4, v4, v6, v7
	v_lshlrev_b64 v[3:4], 3, v[3:4]
	v_mov_b32_e32 v6, s27
	v_add_co_u32_e32 v3, vcc, s26, v3
	v_addc_co_u32_e32 v4, vcc, v6, v4, vcc
	flat_load_dwordx2 v[6:7], v[3:4]
	s_waitcnt vmcnt(0) lgkmcnt(0)
	v_mul_f32_e32 v3, s10, v6
	v_mul_f32_e32 v4, s10, v7
	v_fma_f32 v3, s11, v7, -v3
	v_fma_f32 v4, v6, -s11, -v4
.LBB167_1059:
	s_or_b64 exec, exec, s[6:7]
	s_load_dwordx2 s[6:7], s[4:5], 0x50
	s_and_b32 s4, 0xffff, s24
	v_mad_u32_u24 v8, v2, s4, v0
	s_cmp_lt_i32 s8, 1
	v_cmp_eq_u32_e64 s[4:5], 0, v8
	s_cbranch_scc1 .LBB167_1078
; %bb.1060:
	v_ashrrev_i32_e32 v6, 31, v5
	v_mul_lo_u32 v9, s38, v6
	v_mul_lo_u32 v10, s39, v5
	v_mad_u64_u32 v[6:7], s[10:11], s38, v5, 0
	v_cmp_gt_i32_e64 s[12:13], s34, v5
	s_lshl_b64 s[10:11], s[28:29], 2
	v_add3_u32 v7, v7, v9, v10
	v_lshlrev_b64 v[5:6], 3, v[6:7]
	s_mov_b64 s[20:21], src_private_base
	s_waitcnt lgkmcnt(0)
	s_add_u32 s22, s6, s10
	v_mov_b32_e32 v10, 0xa000
	v_mov_b32_e32 v7, s94
	v_add_co_u32_e32 v11, vcc, s93, v5
	s_mov_b32 s20, 0
	s_addc_u32 s23, s7, s11
	v_cmp_gt_u32_e64 s[10:11], 64, v8
	v_lshl_add_u32 v9, v8, 3, v10
	v_lshl_or_b32 v10, v2, 3, v10
	s_add_i32 s95, s95, 1
	v_addc_co_u32_e32 v12, vcc, v7, v6, vcc
	v_mov_b32_e32 v15, -1
	v_mov_b32_e32 v5, 0
	v_mov_b32_e32 v13, 0
	;; [unrolled: 1-line block ×5, first 2 shown]
	s_branch .LBB167_1062
.LBB167_1061:                           ;   in Loop: Header=BB167_1062 Depth=1
	s_or_b64 exec, exec, s[24:25]
	s_add_i32 s20, s20, 1
	s_cmp_eq_u32 s20, s8
	s_cbranch_scc1 .LBB167_1078
.LBB167_1062:                           ; =>This Loop Header: Depth=1
                                        ;     Child Loop BB167_1064 Depth 2
	v_cmp_gt_i32_e32 vcc, s20, v15
	s_and_b64 s[24:25], s[4:5], vcc
	s_and_saveexec_b64 s[14:15], s[24:25]
	s_cbranch_execz .LBB167_1065
; %bb.1063:                             ;   in Loop: Header=BB167_1062 Depth=1
	global_load_dword v15, v5, s[22:23]
	s_waitcnt vmcnt(0)
	v_cmp_le_i32_e32 vcc, s20, v15
	s_cbranch_vccnz .LBB167_1065
.LBB167_1064:                           ;   Parent Loop BB167_1062 Depth=1
                                        ; =>  This Inner Loop Header: Depth=2
	buffer_wbinvl1_vol
	global_load_dword v15, v5, s[22:23]
	s_waitcnt vmcnt(0)
	v_cmp_gt_i32_e32 vcc, s20, v15
	s_cbranch_vccnz .LBB167_1064
.LBB167_1065:                           ;   in Loop: Header=BB167_1062 Depth=1
	s_or_b64 exec, exec, s[14:15]
	s_sub_i32 s38, s9, s20
	s_lshl_b32 s39, s38, 6
	buffer_wbinvl1_vol
	s_barrier
	s_and_saveexec_b64 s[14:15], s[10:11]
	s_cbranch_execz .LBB167_1070
; %bb.1066:                             ;   in Loop: Header=BB167_1062 Depth=1
	s_ashr_i32 s24, s39, 31
	v_mov_b32_e32 v7, s24
	v_or_b32_e32 v6, s39, v8
	v_cmp_le_i64_e32 vcc, s[34:35], v[6:7]
	s_and_saveexec_b64 s[24:25], vcc
	s_xor_b64 s[24:25], exec, s[24:25]
; %bb.1067:                             ;   in Loop: Header=BB167_1062 Depth=1
	v_mov_b32_e32 v6, v5
	ds_write_b64 v9, v[5:6]
                                        ; implicit-def: $vgpr6_vgpr7
; %bb.1068:                             ;   in Loop: Header=BB167_1062 Depth=1
	s_andn2_saveexec_b64 s[24:25], s[24:25]
	s_cbranch_execz .LBB167_1070
; %bb.1069:                             ;   in Loop: Header=BB167_1062 Depth=1
	v_mul_lo_u32 v18, v7, s30
	v_mul_lo_u32 v19, v6, s31
	v_mad_u64_u32 v[6:7], s[24:25], v6, s30, 0
	v_add3_u32 v7, v7, v19, v18
	v_lshlrev_b64 v[6:7], 3, v[6:7]
	v_mov_b32_e32 v18, s27
	v_add_co_u32_e32 v6, vcc, s26, v6
	v_addc_co_u32_e32 v7, vcc, v18, v7, vcc
	flat_load_dwordx2 v[6:7], v[6:7]
	s_waitcnt vmcnt(0) lgkmcnt(0)
	ds_write_b64 v9, v[6:7]
.LBB167_1070:                           ;   in Loop: Header=BB167_1062 Depth=1
	s_or_b64 exec, exec, s[14:15]
	v_add_u32_e32 v6, s39, v2
	v_ashrrev_i32_e32 v7, 31, v6
	v_lshlrev_b64 v[18:19], 3, v[6:7]
	s_cmp_eq_u32 s38, s95
	v_add_co_u32_e32 v18, vcc, v11, v18
	v_addc_co_u32_e32 v7, vcc, v12, v19, vcc
	v_cmp_gt_i32_e32 vcc, s34, v6
	s_cselect_b64 s[14:15], -1, 0
	s_and_b64 s[38:39], vcc, s[12:13]
	s_waitcnt lgkmcnt(0)
	s_barrier
	s_and_saveexec_b64 s[24:25], s[38:39]
	s_cbranch_execz .LBB167_1072
; %bb.1071:                             ;   in Loop: Header=BB167_1062 Depth=1
	v_mov_b32_e32 v19, s21
	v_cndmask_b32_e64 v20, v7, v19, s[14:15]
	v_cndmask_b32_e64 v19, v18, v13, s[14:15]
	flat_load_dwordx2 v[19:20], v[19:20]
	ds_read_b64 v[21:22], v10
	s_waitcnt vmcnt(0) lgkmcnt(0)
	v_mul_f32_e32 v23, v22, v20
	v_mul_f32_e32 v20, v21, v20
	v_fma_f32 v21, v21, v19, -v23
	v_fmac_f32_e32 v20, v22, v19
	v_add_f32_e32 v3, v3, v21
	v_add_f32_e32 v4, v4, v20
.LBB167_1072:                           ;   in Loop: Header=BB167_1062 Depth=1
	s_or_b64 exec, exec, s[24:25]
	v_add_u32_e32 v19, 16, v6
	v_cmp_gt_i32_e32 vcc, s34, v19
	s_and_b64 s[38:39], vcc, s[12:13]
	s_and_saveexec_b64 s[24:25], s[38:39]
	s_cbranch_execz .LBB167_1074
; %bb.1073:                             ;   in Loop: Header=BB167_1062 Depth=1
	v_add_co_u32_e32 v19, vcc, 0x80, v18
	v_addc_co_u32_e32 v20, vcc, 0, v7, vcc
	v_mov_b32_e32 v21, s21
	v_cndmask_b32_e64 v20, v20, v21, s[14:15]
	v_cndmask_b32_e64 v19, v19, v14, s[14:15]
	flat_load_dwordx2 v[19:20], v[19:20]
	ds_read_b64 v[21:22], v10 offset:128
	s_waitcnt vmcnt(0) lgkmcnt(0)
	v_mul_f32_e32 v23, v22, v20
	v_mul_f32_e32 v20, v21, v20
	v_fma_f32 v21, v21, v19, -v23
	v_fmac_f32_e32 v20, v22, v19
	v_add_f32_e32 v3, v3, v21
	v_add_f32_e32 v4, v4, v20
.LBB167_1074:                           ;   in Loop: Header=BB167_1062 Depth=1
	s_or_b64 exec, exec, s[24:25]
	v_add_u32_e32 v19, 32, v6
	v_cmp_gt_i32_e32 vcc, s34, v19
	s_and_b64 s[38:39], vcc, s[12:13]
	s_and_saveexec_b64 s[24:25], s[38:39]
	s_cbranch_execz .LBB167_1076
; %bb.1075:                             ;   in Loop: Header=BB167_1062 Depth=1
	v_add_co_u32_e32 v19, vcc, 0x100, v18
	v_addc_co_u32_e32 v20, vcc, 0, v7, vcc
	v_mov_b32_e32 v21, s21
	v_cndmask_b32_e64 v20, v20, v21, s[14:15]
	v_cndmask_b32_e64 v19, v19, v16, s[14:15]
	flat_load_dwordx2 v[19:20], v[19:20]
	ds_read_b64 v[21:22], v10 offset:256
	s_waitcnt vmcnt(0) lgkmcnt(0)
	v_mul_f32_e32 v23, v22, v20
	v_mul_f32_e32 v20, v21, v20
	v_fma_f32 v21, v21, v19, -v23
	v_fmac_f32_e32 v20, v22, v19
	v_add_f32_e32 v3, v3, v21
	v_add_f32_e32 v4, v4, v20
.LBB167_1076:                           ;   in Loop: Header=BB167_1062 Depth=1
	s_or_b64 exec, exec, s[24:25]
	v_add_u32_e32 v6, 48, v6
	v_cmp_gt_i32_e32 vcc, s34, v6
	s_and_b64 s[38:39], vcc, s[12:13]
	s_and_saveexec_b64 s[24:25], s[38:39]
	s_cbranch_execz .LBB167_1061
; %bb.1077:                             ;   in Loop: Header=BB167_1062 Depth=1
	v_add_co_u32_e32 v6, vcc, 0x180, v18
	v_addc_co_u32_e32 v7, vcc, 0, v7, vcc
	v_mov_b32_e32 v18, s21
	v_cndmask_b32_e64 v7, v7, v18, s[14:15]
	v_cndmask_b32_e64 v6, v6, v17, s[14:15]
	flat_load_dwordx2 v[6:7], v[6:7]
	ds_read_b64 v[18:19], v10 offset:384
	s_waitcnt vmcnt(0) lgkmcnt(0)
	v_mul_f32_e32 v20, v19, v7
	v_mul_f32_e32 v7, v18, v7
	v_fma_f32 v18, v18, v6, -v20
	v_fmac_f32_e32 v7, v19, v6
	v_add_f32_e32 v3, v3, v18
	v_add_f32_e32 v4, v4, v7
	s_branch .LBB167_1061
.LBB167_1078:
	s_xor_b64 s[4:5], s[36:37], -1
	v_lshlrev_b32_e32 v1, 3, v1
	ds_write_b64 v1, v[3:4] offset:32768
	s_waitcnt lgkmcnt(0)
	s_barrier
	s_and_saveexec_b64 s[8:9], s[16:17]
	s_cbranch_execz .LBB167_1080
; %bb.1079:
	v_lshlrev_b32_e32 v7, 3, v0
	ds_read2st64_b64 v[9:12], v7 offset0:65 offset1:66
	ds_read2st64_b64 v[13:16], v7 offset0:67 offset1:68
	ds_read_b64 v[17:18], v7 offset:40448
	s_waitcnt lgkmcnt(2)
	v_add_f32_e32 v3, v3, v9
	v_add_f32_e32 v4, v4, v10
	v_add_f32_e32 v9, v3, v11
	v_add_f32_e32 v10, v4, v12
	ds_read2st64_b64 v[3:6], v7 offset0:69 offset1:70
	s_waitcnt lgkmcnt(2)
	v_add_f32_e32 v9, v9, v13
	v_add_f32_e32 v10, v10, v14
	;; [unrolled: 1-line block ×4, first 2 shown]
	s_waitcnt lgkmcnt(0)
	v_add_f32_e32 v3, v9, v3
	ds_read2st64_b64 v[9:12], v7 offset0:71 offset1:72
	v_add_f32_e32 v4, v13, v4
	v_add_f32_e32 v13, v3, v5
	;; [unrolled: 1-line block ×3, first 2 shown]
	ds_read2st64_b64 v[3:6], v7 offset0:73 offset1:74
	s_waitcnt lgkmcnt(1)
	v_add_f32_e32 v9, v13, v9
	v_add_f32_e32 v10, v14, v10
	;; [unrolled: 1-line block ×4, first 2 shown]
	s_waitcnt lgkmcnt(0)
	v_add_f32_e32 v3, v9, v3
	ds_read2st64_b64 v[9:12], v7 offset0:75 offset1:76
	v_add_f32_e32 v4, v13, v4
	v_add_f32_e32 v13, v3, v5
	;; [unrolled: 1-line block ×3, first 2 shown]
	ds_read2st64_b64 v[3:6], v7 offset0:77 offset1:78
	s_waitcnt lgkmcnt(1)
	v_add_f32_e32 v7, v13, v9
	v_add_f32_e32 v9, v14, v10
	;; [unrolled: 1-line block ×4, first 2 shown]
	s_waitcnt lgkmcnt(0)
	v_add_f32_e32 v3, v7, v3
	v_add_f32_e32 v4, v9, v4
	v_add_f32_e32 v3, v3, v5
	v_add_f32_e32 v4, v4, v6
	v_add_f32_e32 v3, v3, v17
	v_add_f32_e32 v4, v4, v18
	v_cndmask_b32_e64 v3, -v3, 0, s[18:19]
	v_cndmask_b32_e64 v4, -v4, 0, s[18:19]
.LBB167_1080:
	s_or_b64 exec, exec, s[8:9]
	s_and_b64 vcc, exec, s[50:51]
	s_cbranch_vccnz .LBB167_1093
; %bb.1081:
	v_mov_b32_e32 v5, 0xa000
	v_lshl_or_b32 v7, v2, 3, v5
	s_and_saveexec_b64 s[8:9], s[16:17]
; %bb.1082:
	v_lshl_add_u32 v5, v0, 3, v7
	ds_write_b64 v5, v[3:4]
; %bb.1083:
	s_or_b64 exec, exec, s[8:9]
	v_cmp_le_u32_e32 vcc, v0, v2
	v_mov_b32_e32 v5, 0
	v_mov_b32_e32 v6, 0
	s_waitcnt lgkmcnt(0)
	s_barrier
	s_and_saveexec_b64 s[8:9], vcc
	s_cbranch_execz .LBB167_1085
; %bb.1084:
	ds_read_b64 v[5:6], v1
	ds_read_b64 v[9:10], v7
	s_waitcnt lgkmcnt(0)
	v_mul_f32_e32 v11, v10, v6
	v_mul_f32_e32 v6, v9, v6
	v_fma_f32 v9, v9, v5, -v11
	v_fmac_f32_e32 v6, v10, v5
	v_add_f32_e32 v5, 0, v9
	v_add_f32_e32 v6, 0, v6
.LBB167_1085:
	s_or_b64 exec, exec, s[8:9]
	v_add_u32_e32 v9, 16, v2
	v_cmp_le_u32_e32 vcc, v0, v9
	s_and_saveexec_b64 s[8:9], vcc
	s_cbranch_execz .LBB167_1087
; %bb.1086:
	ds_read_b64 v[9:10], v1 offset:8192
	ds_read_b64 v[11:12], v7 offset:128
	s_waitcnt lgkmcnt(0)
	v_mul_f32_e32 v13, v12, v10
	v_mul_f32_e32 v10, v11, v10
	v_fma_f32 v11, v11, v9, -v13
	v_fmac_f32_e32 v10, v12, v9
	v_add_f32_e32 v5, v5, v11
	v_add_f32_e32 v6, v6, v10
.LBB167_1087:
	s_or_b64 exec, exec, s[8:9]
	v_add_u32_e32 v9, 32, v2
	v_cmp_le_u32_e32 vcc, v0, v9
	s_and_saveexec_b64 s[8:9], vcc
	s_cbranch_execz .LBB167_1089
; %bb.1088:
	ds_read_b64 v[9:10], v1 offset:16384
	ds_read_b64 v[11:12], v7 offset:256
	s_waitcnt lgkmcnt(0)
	v_mul_f32_e32 v13, v12, v10
	v_mul_f32_e32 v10, v11, v10
	v_fma_f32 v11, v11, v9, -v13
	v_fmac_f32_e32 v10, v12, v9
	v_add_f32_e32 v5, v5, v11
	v_add_f32_e32 v6, v6, v10
.LBB167_1089:
	s_or_b64 exec, exec, s[8:9]
	v_add_u32_e32 v2, 48, v2
	v_add_u32_e32 v9, 0x8000, v1
	v_cmp_le_u32_e32 vcc, v0, v2
	s_and_saveexec_b64 s[8:9], vcc
	s_cbranch_execz .LBB167_1091
; %bb.1090:
	ds_read_b64 v[1:2], v1 offset:24576
	ds_read_b64 v[10:11], v7 offset:384
	s_waitcnt lgkmcnt(0)
	v_mul_f32_e32 v7, v11, v2
	v_mul_f32_e32 v2, v10, v2
	v_fma_f32 v7, v10, v1, -v7
	v_fmac_f32_e32 v2, v11, v1
	v_add_f32_e32 v5, v5, v7
	v_add_f32_e32 v6, v6, v2
.LBB167_1091:
	s_or_b64 exec, exec, s[8:9]
	s_mov_b64 s[10:11], 0
	s_mov_b64 s[8:9], 0
	ds_write_b64 v9, v[5:6]
	s_waitcnt lgkmcnt(0)
	s_barrier
                                        ; implicit-def: $vgpr1
                                        ; implicit-def: $vgpr2
	s_and_saveexec_b64 s[12:13], s[16:17]
	s_cbranch_execz .LBB167_1112
; %bb.1092:
	v_lshlrev_b32_e32 v1, 3, v0
	ds_read2st64_b64 v[9:12], v1 offset0:65 offset1:66
	ds_read2st64_b64 v[13:16], v1 offset0:67 offset1:68
	ds_read_b64 v[17:18], v1 offset:40448
	s_mov_b64 s[8:9], exec
	s_waitcnt lgkmcnt(2)
	v_add_f32_e32 v2, v5, v9
	v_add_f32_e32 v5, v6, v10
	v_add_f32_e32 v2, v2, v11
	v_add_f32_e32 v5, v5, v12
	ds_read2st64_b64 v[9:12], v1 offset0:69 offset1:70
	s_waitcnt lgkmcnt(2)
	v_add_f32_e32 v2, v2, v13
	v_add_f32_e32 v5, v5, v14
	v_add_f32_e32 v2, v2, v15
	v_add_f32_e32 v5, v5, v16
	ds_read2st64_b64 v[13:16], v1 offset0:71 offset1:72
	;; [unrolled: 6-line block ×5, first 2 shown]
	s_waitcnt lgkmcnt(1)
	v_add_f32_e32 v1, v2, v13
	v_add_f32_e32 v2, v5, v14
	;; [unrolled: 1-line block ×4, first 2 shown]
	s_waitcnt lgkmcnt(0)
	v_add_f32_e32 v1, v1, v9
	v_add_f32_e32 v2, v2, v10
	;; [unrolled: 1-line block ×6, first 2 shown]
	s_or_b64 exec, exec, s[12:13]
	s_and_b64 vcc, exec, s[10:11]
	s_cbranch_vccnz .LBB167_1094
	s_branch .LBB167_1113
.LBB167_1093:
	s_mov_b64 s[8:9], 0
                                        ; implicit-def: $vgpr1
                                        ; implicit-def: $vgpr2
	s_cbranch_execz .LBB167_1113
.LBB167_1094:
	s_movk_i32 s10, 0x208
	v_lshlrev_b32_e32 v2, 9, v0
	v_mov_b32_e32 v5, 0x7c00
	v_mul_u32_u24_e32 v1, 0x208, v0
	v_sub_u32_e32 v2, 0, v2
	v_mad_u32_u24 v5, v0, s10, v5
	s_mov_b32 s12, 63
	s_movk_i32 s13, 0x8200
	v_mov_b32_e32 v6, 0
	s_branch .LBB167_1096
.LBB167_1095:                           ;   in Loop: Header=BB167_1096 Depth=1
	s_or_b64 exec, exec, s[10:11]
	s_add_i32 s12, s12, -2
	s_cmp_lg_u32 s14, 0
	v_add_u32_e32 v2, 0xfffffc00, v2
	s_barrier
	s_cbranch_scc0 .LBB167_1104
.LBB167_1096:                           ; =>This Inner Loop Header: Depth=1
	v_cmp_eq_u32_e32 vcc, s13, v2
	s_and_b64 s[14:15], s[16:17], vcc
	s_and_saveexec_b64 s[10:11], s[14:15]
	s_cbranch_execz .LBB167_1098
; %bb.1097:                             ;   in Loop: Header=BB167_1096 Depth=1
	ds_read_b64 v[9:10], v1
	s_waitcnt lgkmcnt(0)
	v_mul_f32_e32 v7, v4, v10
	v_mul_f32_e32 v11, v3, v10
	v_fma_f32 v10, v3, v9, -v7
	v_fmac_f32_e32 v11, v4, v9
	v_mov_b32_e32 v3, v10
	v_mov_b32_e32 v4, v11
	ds_write_b64 v6, v[10:11] offset:41472
.LBB167_1098:                           ;   in Loop: Header=BB167_1096 Depth=1
	s_or_b64 exec, exec, s[10:11]
	v_cmp_gt_u32_e32 vcc, s12, v0
	s_and_b64 s[14:15], s[16:17], vcc
	v_add_u32_e32 v7, v5, v2
	s_waitcnt lgkmcnt(0)
	s_barrier
	s_and_saveexec_b64 s[10:11], s[14:15]
	s_cbranch_execz .LBB167_1100
; %bb.1099:                             ;   in Loop: Header=BB167_1096 Depth=1
	ds_read_b64 v[9:10], v7 offset:512
	ds_read_b64 v[11:12], v6 offset:41472
	s_waitcnt lgkmcnt(0)
	v_mul_f32_e32 v13, v12, v10
	v_mul_f32_e32 v10, v11, v10
	v_fma_f32 v11, v11, v9, -v13
	v_fmac_f32_e32 v10, v12, v9
	v_add_f32_e32 v3, v3, v11
	v_add_f32_e32 v4, v4, v10
.LBB167_1100:                           ;   in Loop: Header=BB167_1096 Depth=1
	s_or_b64 exec, exec, s[10:11]
	s_add_i32 s14, s12, -1
	v_cmp_eq_u32_e32 vcc, s14, v0
	s_and_b64 s[18:19], s[16:17], vcc
	s_barrier
	s_and_saveexec_b64 s[10:11], s[18:19]
	s_cbranch_execz .LBB167_1102
; %bb.1101:                             ;   in Loop: Header=BB167_1096 Depth=1
	ds_read_b64 v[9:10], v1
	s_waitcnt lgkmcnt(0)
	v_mul_f32_e32 v12, v4, v10
	v_mul_f32_e32 v11, v3, v10
	v_fma_f32 v10, v3, v9, -v12
	v_fmac_f32_e32 v11, v4, v9
	v_mov_b32_e32 v3, v10
	v_mov_b32_e32 v4, v11
	ds_write_b64 v6, v[10:11] offset:41472
.LBB167_1102:                           ;   in Loop: Header=BB167_1096 Depth=1
	s_or_b64 exec, exec, s[10:11]
	v_cmp_gt_u32_e32 vcc, s14, v0
	s_and_b64 s[18:19], s[16:17], vcc
	s_waitcnt lgkmcnt(0)
	s_barrier
	s_and_saveexec_b64 s[10:11], s[18:19]
	s_cbranch_execz .LBB167_1095
; %bb.1103:                             ;   in Loop: Header=BB167_1096 Depth=1
	ds_read_b64 v[9:10], v7
	ds_read_b64 v[11:12], v6 offset:41472
	s_waitcnt lgkmcnt(0)
	v_mul_f32_e32 v7, v12, v10
	v_mul_f32_e32 v10, v11, v10
	v_fma_f32 v7, v11, v9, -v7
	v_fmac_f32_e32 v10, v12, v9
	v_add_f32_e32 v3, v3, v7
	v_add_f32_e32 v4, v4, v10
	s_branch .LBB167_1095
.LBB167_1104:
	s_mov_b64 s[10:11], -1
	s_and_b64 vcc, exec, s[4:5]
	s_cbranch_vccnz .LBB167_1114
; %bb.1105:
	s_andn2_b64 vcc, exec, s[10:11]
	s_cbranch_vccz .LBB167_1115
.LBB167_1106:
	s_and_saveexec_b64 s[4:5], s[8:9]
	s_cbranch_execz .LBB167_1108
.LBB167_1107:
	v_mov_b32_e32 v0, s44
	v_add_co_u32_e32 v1, vcc, s33, v8
	v_addc_co_u32_e32 v0, vcc, 0, v0, vcc
	v_mul_lo_u32 v2, v0, s30
	v_mul_lo_u32 v5, v1, s31
	v_mad_u64_u32 v[0:1], s[8:9], v1, s30, 0
	v_add3_u32 v1, v1, v5, v2
	v_lshlrev_b64 v[0:1], 3, v[0:1]
	v_mov_b32_e32 v2, s27
	v_add_co_u32_e32 v0, vcc, s26, v0
	v_addc_co_u32_e32 v1, vcc, v2, v1, vcc
	flat_store_dwordx2 v[0:1], v[3:4]
.LBB167_1108:
	s_or_b64 exec, exec, s[4:5]
	v_cmp_eq_u32_e32 vcc, 0, v8
	s_waitcnt vmcnt(0) lgkmcnt(0)
	buffer_wbinvl1_vol
	s_barrier
	s_and_saveexec_b64 s[4:5], vcc
	s_cbranch_execz .LBB167_1110
; %bb.1109:
	s_lshl_b64 s[8:9], s[28:29], 2
	s_add_u32 s6, s6, s8
	s_addc_u32 s7, s7, s9
	v_mov_b32_e32 v0, 0
	global_load_dword v1, v0, s[6:7]
	s_waitcnt vmcnt(0)
	v_add_u32_e32 v1, 1, v1
	global_store_dword v0, v1, s[6:7]
.LBB167_1110:
	s_or_b64 exec, exec, s[4:5]
	s_waitcnt vmcnt(0)
	buffer_wbinvl1_vol
	s_endpgm
.LBB167_1111:
                                        ; implicit-def: $sgpr33
	s_cbranch_execnz .LBB167_18
	s_branch .LBB167_19
.LBB167_1112:
	s_or_b64 exec, exec, s[12:13]
	s_and_b64 vcc, exec, s[10:11]
	s_cbranch_vccnz .LBB167_1094
.LBB167_1113:
	v_mov_b32_e32 v4, v1
	v_mov_b32_e32 v3, v2
	s_and_saveexec_b64 s[4:5], s[8:9]
	s_cbranch_execnz .LBB167_1107
	s_branch .LBB167_1108
.LBB167_1114:
	s_andn2_b64 s[4:5], s[8:9], exec
	s_and_b64 s[8:9], s[16:17], exec
	s_or_b64 s[8:9], s[4:5], s[8:9]
	s_cbranch_execnz .LBB167_1106
.LBB167_1115:
	v_cmp_gt_i32_e32 vcc, s92, v0
	s_and_b64 s[4:5], s[16:17], vcc
	s_andn2_b64 s[8:9], s[8:9], exec
	s_and_b64 s[4:5], s[4:5], exec
	s_or_b64 s[8:9], s[8:9], s[4:5]
	s_and_saveexec_b64 s[4:5], s[8:9]
	s_cbranch_execnz .LBB167_1107
	s_branch .LBB167_1108
.LBB167_1116:
	v_lshlrev_b32_e32 v13, 3, v10
	v_sub_u32_e32 v13, v12, v13
	v_lshl_add_u32 v13, v9, 3, v13
	ds_read_b64 v[13:14], v13 offset:544
	ds_read_b64 v[15:16], v12 offset:8
	s_waitcnt lgkmcnt(0)
	v_mul_f32_e32 v17, v16, v14
	v_mul_f32_e32 v14, v15, v14
	v_fma_f32 v15, v15, v13, -v17
	v_fmac_f32_e32 v14, v16, v13
	v_add_f32_e32 v8, v8, v15
	v_add_f32_e32 v11, v11, v14
	s_or_b64 exec, exec, s[18:19]
	v_cmp_gt_u32_e64 s[14:15], 8, v1
	s_and_saveexec_b64 s[18:19], s[14:15]
	s_cbranch_execz .LBB167_157
.LBB167_1117:
	ds_read_b64 v[13:14], v6 offset:1056
	ds_read_b64 v[15:16], v12 offset:16
	s_waitcnt lgkmcnt(0)
	v_mul_f32_e32 v12, v16, v14
	v_mul_f32_e32 v14, v15, v14
	v_fma_f32 v12, v15, v13, -v12
	v_fmac_f32_e32 v14, v16, v13
	v_add_f32_e32 v8, v8, v12
	v_add_f32_e32 v11, v11, v14
	s_or_b64 exec, exec, s[18:19]
	v_cmp_gt_u32_e64 s[14:15], 4, v1
	s_and_saveexec_b64 s[18:19], s[14:15]
	s_cbranch_execnz .LBB167_158
	s_branch .LBB167_159
.LBB167_1118:
	v_lshlrev_b32_e32 v18, 3, v15
	v_sub_u32_e32 v18, v17, v18
	v_lshl_add_u32 v18, v14, 3, v18
	ds_read_b64 v[18:19], v18 offset:576
	ds_read_b64 v[20:21], v17 offset:8
	s_waitcnt lgkmcnt(0)
	v_mul_f32_e32 v22, v21, v19
	v_mul_f32_e32 v19, v20, v19
	v_fma_f32 v20, v20, v18, -v22
	v_fmac_f32_e32 v19, v21, v18
	v_add_f32_e32 v13, v13, v20
	v_add_f32_e32 v16, v16, v19
	s_or_b64 exec, exec, s[20:21]
	v_cmp_gt_u32_e64 s[18:19], 48, v1
	s_and_saveexec_b64 s[20:21], s[18:19]
	s_cbranch_execz .LBB167_199
.LBB167_1119:
	v_lshlrev_b32_e32 v18, 3, v15
	v_sub_u32_e32 v18, v17, v18
	v_lshl_add_u32 v18, v14, 3, v18
	ds_read_b64 v[18:19], v18 offset:1088
	ds_read_b64 v[20:21], v17 offset:16
	s_waitcnt lgkmcnt(0)
	v_mul_f32_e32 v22, v21, v19
	v_mul_f32_e32 v19, v20, v19
	v_fma_f32 v20, v20, v18, -v22
	v_fmac_f32_e32 v19, v21, v18
	v_add_f32_e32 v13, v13, v20
	v_add_f32_e32 v16, v16, v19
	s_or_b64 exec, exec, s[20:21]
	v_cmp_gt_u32_e64 s[18:19], 40, v1
	s_and_saveexec_b64 s[20:21], s[18:19]
	s_cbranch_execz .LBB167_200
.LBB167_1120:
	v_lshlrev_b32_e32 v18, 3, v15
	v_sub_u32_e32 v18, v17, v18
	v_lshl_add_u32 v18, v14, 3, v18
	ds_read_b64 v[18:19], v18 offset:1600
	ds_read_b64 v[20:21], v17 offset:24
	s_waitcnt lgkmcnt(0)
	v_mul_f32_e32 v22, v21, v19
	v_mul_f32_e32 v19, v20, v19
	v_fma_f32 v20, v20, v18, -v22
	v_fmac_f32_e32 v19, v21, v18
	v_add_f32_e32 v13, v13, v20
	v_add_f32_e32 v16, v16, v19
	s_or_b64 exec, exec, s[20:21]
	v_cmp_gt_u32_e64 s[18:19], 32, v1
	s_and_saveexec_b64 s[20:21], s[18:19]
	s_cbranch_execz .LBB167_201
.LBB167_1121:
	ds_read_b64 v[18:19], v11 offset:2112
	ds_read_b64 v[20:21], v17 offset:32
	s_waitcnt lgkmcnt(0)
	v_mul_f32_e32 v22, v21, v19
	v_mul_f32_e32 v19, v20, v19
	v_fma_f32 v20, v20, v18, -v22
	v_fmac_f32_e32 v19, v21, v18
	v_add_f32_e32 v13, v13, v20
	v_add_f32_e32 v16, v16, v19
	s_or_b64 exec, exec, s[20:21]
	v_cmp_gt_u32_e64 s[18:19], 24, v1
	s_and_saveexec_b64 s[20:21], s[18:19]
	s_cbranch_execz .LBB167_202
.LBB167_1122:
	v_lshlrev_b32_e32 v18, 3, v15
	v_sub_u32_e32 v18, v17, v18
	v_lshl_add_u32 v18, v14, 3, v18
	ds_read_b64 v[18:19], v18 offset:2624
	ds_read_b64 v[20:21], v17 offset:40
	s_waitcnt lgkmcnt(0)
	v_mul_f32_e32 v22, v21, v19
	v_mul_f32_e32 v19, v20, v19
	v_fma_f32 v20, v20, v18, -v22
	v_fmac_f32_e32 v19, v21, v18
	v_add_f32_e32 v13, v13, v20
	v_add_f32_e32 v16, v16, v19
	s_or_b64 exec, exec, s[20:21]
	v_cmp_gt_u32_e64 s[18:19], 16, v1
	s_and_saveexec_b64 s[20:21], s[18:19]
	s_cbranch_execz .LBB167_203
.LBB167_1123:
	ds_read_b64 v[18:19], v11 offset:3136
	ds_read_b64 v[20:21], v17 offset:48
	s_waitcnt lgkmcnt(0)
	v_mul_f32_e32 v17, v21, v19
	v_mul_f32_e32 v19, v20, v19
	v_fma_f32 v17, v20, v18, -v17
	v_fmac_f32_e32 v19, v21, v18
	v_add_f32_e32 v13, v13, v17
	v_add_f32_e32 v16, v16, v19
	s_or_b64 exec, exec, s[20:21]
	v_cmp_gt_u32_e64 s[18:19], 8, v1
	s_and_saveexec_b64 s[20:21], s[18:19]
	s_cbranch_execnz .LBB167_204
	s_branch .LBB167_205
.LBB167_1124:
	v_lshlrev_b32_e32 v19, 3, v10
	v_sub_u32_e32 v19, v17, v19
	v_lshl_add_u32 v19, v9, 3, v19
	ds_read_b64 v[19:20], v19 offset:4704
	ds_read_b64 v[21:22], v17 offset:4168
	s_waitcnt lgkmcnt(0)
	v_mul_f32_e32 v23, v22, v20
	v_mul_f32_e32 v20, v21, v20
	v_fma_f32 v21, v21, v19, -v23
	v_fmac_f32_e32 v20, v22, v19
	v_add_f32_e32 v16, v16, v21
	v_add_f32_e32 v18, v18, v20
	s_or_b64 exec, exec, s[18:19]
	v_cmp_gt_u32_e64 s[14:15], 8, v1
	s_and_saveexec_b64 s[18:19], s[14:15]
	s_cbranch_execz .LBB167_261
.LBB167_1125:
	ds_read_b64 v[19:20], v6 offset:5216
	ds_read_b64 v[21:22], v17 offset:4176
	s_waitcnt lgkmcnt(0)
	v_mul_f32_e32 v17, v22, v20
	v_mul_f32_e32 v20, v21, v20
	v_fma_f32 v17, v21, v19, -v17
	v_fmac_f32_e32 v20, v22, v19
	v_add_f32_e32 v16, v16, v17
	v_add_f32_e32 v18, v18, v20
	s_or_b64 exec, exec, s[18:19]
	v_cmp_gt_u32_e64 s[14:15], 4, v1
	s_and_saveexec_b64 s[18:19], s[14:15]
	s_cbranch_execnz .LBB167_262
	s_branch .LBB167_263
.LBB167_1126:
	v_lshlrev_b32_e32 v23, 3, v17
	v_lshl_add_u32 v23, v19, 3, v23
	ds_read_b64 v[23:24], v23 offset:5760
	ds_read_b64 v[25:26], v22 offset:88
	s_waitcnt lgkmcnt(0)
	v_mul_f32_e32 v27, v26, v24
	v_mul_f32_e32 v24, v25, v24
	v_fma_f32 v25, v25, v23, -v27
	v_fmac_f32_e32 v24, v26, v23
	v_add_f32_e32 v18, v18, v25
	v_add_f32_e32 v21, v21, v24
	s_or_b64 exec, exec, s[24:25]
	v_cmp_gt_u32_e64 s[20:21], 64, v1
	s_and_saveexec_b64 s[24:25], s[20:21]
	s_cbranch_execz .LBB167_323
.LBB167_1127:
	ds_read_b64 v[23:24], v16 offset:6272
	ds_read_b64 v[25:26], v22 offset:96
	s_waitcnt lgkmcnt(0)
	v_mul_f32_e32 v27, v26, v24
	v_mul_f32_e32 v24, v25, v24
	v_fma_f32 v25, v25, v23, -v27
	v_fmac_f32_e32 v24, v26, v23
	v_add_f32_e32 v18, v18, v25
	v_add_f32_e32 v21, v21, v24
	s_or_b64 exec, exec, s[24:25]
	v_cmp_gt_u32_e64 s[20:21], 48, v1
	s_and_saveexec_b64 s[24:25], s[20:21]
	s_cbranch_execz .LBB167_324
.LBB167_1128:
	v_lshlrev_b32_e32 v23, 3, v17
	v_lshl_add_u32 v23, v19, 3, v23
	ds_read_b64 v[23:24], v23 offset:6784
	ds_read_b64 v[25:26], v22 offset:104
	s_waitcnt lgkmcnt(0)
	v_mul_f32_e32 v27, v26, v24
	v_mul_f32_e32 v24, v25, v24
	v_fma_f32 v25, v25, v23, -v27
	v_fmac_f32_e32 v24, v26, v23
	v_add_f32_e32 v18, v18, v25
	v_add_f32_e32 v21, v21, v24
	s_or_b64 exec, exec, s[24:25]
	v_cmp_gt_u32_e64 s[20:21], 32, v1
	s_and_saveexec_b64 s[24:25], s[20:21]
	s_cbranch_execz .LBB167_325
.LBB167_1129:
	ds_read_b64 v[23:24], v16 offset:7296
	ds_read_b64 v[25:26], v22 offset:112
	s_waitcnt lgkmcnt(0)
	v_mul_f32_e32 v22, v26, v24
	v_mul_f32_e32 v24, v25, v24
	v_fma_f32 v22, v25, v23, -v22
	v_fmac_f32_e32 v24, v26, v23
	v_add_f32_e32 v18, v18, v22
	v_add_f32_e32 v21, v21, v24
	s_or_b64 exec, exec, s[24:25]
	v_cmp_gt_u32_e64 s[20:21], 16, v1
	s_and_saveexec_b64 s[24:25], s[20:21]
	s_cbranch_execnz .LBB167_326
	s_branch .LBB167_327
.LBB167_1130:
	v_lshlrev_b32_e32 v24, 3, v10
	v_sub_u32_e32 v24, v22, v24
	v_lshl_add_u32 v24, v9, 3, v24
	ds_read_b64 v[24:25], v24 offset:8864
	ds_read_b64 v[26:27], v22 offset:8328
	s_waitcnt lgkmcnt(0)
	v_mul_f32_e32 v28, v27, v25
	v_mul_f32_e32 v25, v26, v25
	v_fma_f32 v26, v26, v24, -v28
	v_fmac_f32_e32 v25, v27, v24
	v_add_f32_e32 v21, v21, v26
	v_add_f32_e32 v23, v23, v25
	s_or_b64 exec, exec, s[20:21]
	v_cmp_gt_u32_e64 s[18:19], 8, v1
	s_and_saveexec_b64 s[20:21], s[18:19]
	s_cbranch_execz .LBB167_415
.LBB167_1131:
	ds_read_b64 v[24:25], v6 offset:9376
	ds_read_b64 v[26:27], v22 offset:8336
	s_waitcnt lgkmcnt(0)
	v_mul_f32_e32 v22, v27, v25
	v_mul_f32_e32 v25, v26, v25
	v_fma_f32 v22, v26, v24, -v22
	v_fmac_f32_e32 v25, v27, v24
	v_add_f32_e32 v21, v21, v22
	v_add_f32_e32 v23, v23, v25
	s_or_b64 exec, exec, s[20:21]
	v_cmp_gt_u32_e64 s[18:19], 4, v1
	s_and_saveexec_b64 s[20:21], s[18:19]
	s_cbranch_execnz .LBB167_416
	s_branch .LBB167_417
.LBB167_1132:
	v_lshlrev_b32_e32 v24, 3, v15
	v_sub_u32_e32 v24, v22, v24
	v_lshl_add_u32 v24, v14, 3, v24
	ds_read_b64 v[24:25], v24 offset:8896
	ds_read_b64 v[26:27], v22 offset:8328
	s_waitcnt lgkmcnt(0)
	v_mul_f32_e32 v28, v27, v25
	v_mul_f32_e32 v25, v26, v25
	v_fma_f32 v26, v26, v24, -v28
	v_fmac_f32_e32 v25, v27, v24
	v_add_f32_e32 v21, v21, v26
	v_add_f32_e32 v23, v23, v25
	s_or_b64 exec, exec, s[20:21]
	v_cmp_gt_u32_e64 s[18:19], 48, v1
	s_and_saveexec_b64 s[20:21], s[18:19]
	s_cbranch_execz .LBB167_457
.LBB167_1133:
	v_lshlrev_b32_e32 v24, 3, v15
	v_sub_u32_e32 v24, v22, v24
	v_lshl_add_u32 v24, v14, 3, v24
	ds_read_b64 v[24:25], v24 offset:9408
	ds_read_b64 v[26:27], v22 offset:8336
	s_waitcnt lgkmcnt(0)
	v_mul_f32_e32 v28, v27, v25
	v_mul_f32_e32 v25, v26, v25
	v_fma_f32 v26, v26, v24, -v28
	v_fmac_f32_e32 v25, v27, v24
	v_add_f32_e32 v21, v21, v26
	v_add_f32_e32 v23, v23, v25
	s_or_b64 exec, exec, s[20:21]
	v_cmp_gt_u32_e64 s[18:19], 40, v1
	s_and_saveexec_b64 s[20:21], s[18:19]
	s_cbranch_execz .LBB167_458
.LBB167_1134:
	v_lshlrev_b32_e32 v24, 3, v15
	v_sub_u32_e32 v24, v22, v24
	v_lshl_add_u32 v24, v14, 3, v24
	ds_read_b64 v[24:25], v24 offset:9920
	ds_read_b64 v[26:27], v22 offset:8344
	s_waitcnt lgkmcnt(0)
	v_mul_f32_e32 v28, v27, v25
	v_mul_f32_e32 v25, v26, v25
	v_fma_f32 v26, v26, v24, -v28
	v_fmac_f32_e32 v25, v27, v24
	v_add_f32_e32 v21, v21, v26
	v_add_f32_e32 v23, v23, v25
	s_or_b64 exec, exec, s[20:21]
	v_cmp_gt_u32_e64 s[18:19], 32, v1
	s_and_saveexec_b64 s[20:21], s[18:19]
	s_cbranch_execz .LBB167_459
.LBB167_1135:
	ds_read_b64 v[24:25], v11 offset:10432
	ds_read_b64 v[26:27], v22 offset:8352
	s_waitcnt lgkmcnt(0)
	v_mul_f32_e32 v28, v27, v25
	v_mul_f32_e32 v25, v26, v25
	v_fma_f32 v26, v26, v24, -v28
	v_fmac_f32_e32 v25, v27, v24
	v_add_f32_e32 v21, v21, v26
	v_add_f32_e32 v23, v23, v25
	s_or_b64 exec, exec, s[20:21]
	v_cmp_gt_u32_e64 s[18:19], 24, v1
	s_and_saveexec_b64 s[20:21], s[18:19]
	s_cbranch_execz .LBB167_460
.LBB167_1136:
	v_lshlrev_b32_e32 v24, 3, v15
	v_sub_u32_e32 v24, v22, v24
	v_lshl_add_u32 v24, v14, 3, v24
	ds_read_b64 v[24:25], v24 offset:10944
	ds_read_b64 v[26:27], v22 offset:8360
	s_waitcnt lgkmcnt(0)
	v_mul_f32_e32 v28, v27, v25
	v_mul_f32_e32 v25, v26, v25
	v_fma_f32 v26, v26, v24, -v28
	v_fmac_f32_e32 v25, v27, v24
	v_add_f32_e32 v21, v21, v26
	v_add_f32_e32 v23, v23, v25
	s_or_b64 exec, exec, s[20:21]
	v_cmp_gt_u32_e64 s[18:19], 16, v1
	s_and_saveexec_b64 s[20:21], s[18:19]
	s_cbranch_execz .LBB167_461
.LBB167_1137:
	ds_read_b64 v[24:25], v11 offset:11456
	ds_read_b64 v[26:27], v22 offset:8368
	s_waitcnt lgkmcnt(0)
	v_mul_f32_e32 v22, v27, v25
	v_mul_f32_e32 v25, v26, v25
	v_fma_f32 v22, v26, v24, -v22
	v_fmac_f32_e32 v25, v27, v24
	v_add_f32_e32 v21, v21, v22
	v_add_f32_e32 v23, v23, v25
	s_or_b64 exec, exec, s[20:21]
	v_cmp_gt_u32_e64 s[18:19], 8, v1
	s_and_saveexec_b64 s[20:21], s[18:19]
	s_cbranch_execnz .LBB167_462
	s_branch .LBB167_463
.LBB167_1138:
	v_lshlrev_b32_e32 v24, 3, v10
	v_sub_u32_e32 v24, v22, v24
	v_lshl_add_u32 v24, v9, 3, v24
	ds_read_b64 v[24:25], v24 offset:13024
	ds_read_b64 v[26:27], v22 offset:12488
	s_waitcnt lgkmcnt(0)
	v_mul_f32_e32 v28, v27, v25
	v_mul_f32_e32 v25, v26, v25
	v_fma_f32 v26, v26, v24, -v28
	v_fmac_f32_e32 v25, v27, v24
	v_add_f32_e32 v21, v21, v26
	v_add_f32_e32 v23, v23, v25
	s_or_b64 exec, exec, s[20:21]
	v_cmp_gt_u32_e64 s[18:19], 8, v1
	s_and_saveexec_b64 s[20:21], s[18:19]
	s_cbranch_execz .LBB167_519
.LBB167_1139:
	ds_read_b64 v[24:25], v6 offset:13536
	ds_read_b64 v[26:27], v22 offset:12496
	s_waitcnt lgkmcnt(0)
	v_mul_f32_e32 v22, v27, v25
	v_mul_f32_e32 v25, v26, v25
	v_fma_f32 v22, v26, v24, -v22
	v_fmac_f32_e32 v25, v27, v24
	v_add_f32_e32 v21, v21, v22
	v_add_f32_e32 v23, v23, v25
	s_or_b64 exec, exec, s[20:21]
	v_cmp_gt_u32_e64 s[18:19], 4, v1
	s_and_saveexec_b64 s[20:21], s[18:19]
	s_cbranch_execnz .LBB167_520
	s_branch .LBB167_521
.LBB167_1140:
	ds_read_b64 v[29:30], v28 offset:15104
	ds_read_b64 v[31:32], v27 offset:232
	s_waitcnt lgkmcnt(0)
	v_mul_f32_e32 v33, v32, v30
	v_mul_f32_e32 v30, v31, v30
	v_fma_f32 v31, v31, v29, -v33
	v_fmac_f32_e32 v30, v32, v29
	v_add_f32_e32 v24, v24, v31
	v_add_f32_e32 v25, v25, v30
	s_or_b64 exec, exec, s[40:41]
	v_cmp_gt_u32_e64 s[24:25], 64, v1
	s_and_saveexec_b64 s[40:41], s[24:25]
	s_cbranch_execz .LBB167_617
.LBB167_1141:
	ds_read_b64 v[28:29], v28 offset:15616
	ds_read_b64 v[30:31], v27 offset:240
	s_waitcnt lgkmcnt(0)
	v_mul_f32_e32 v32, v31, v29
	v_mul_f32_e32 v29, v30, v29
	v_fma_f32 v30, v30, v28, -v32
	v_fmac_f32_e32 v29, v31, v28
	v_add_f32_e32 v24, v24, v30
	v_add_f32_e32 v25, v25, v29
	s_or_b64 exec, exec, s[40:41]
	v_cmp_gt_u32_e64 s[24:25], 32, v1
	s_and_saveexec_b64 s[40:41], s[24:25]
	s_cbranch_execnz .LBB167_618
	s_branch .LBB167_619
.LBB167_1142:
	v_lshlrev_b32_e32 v24, 3, v10
	v_sub_u32_e32 v24, v22, v24
	v_lshl_add_u32 v24, v9, 3, v24
	ds_read_b64 v[24:25], v24 offset:17184
	ds_read_b64 v[26:27], v22 offset:16648
	s_waitcnt lgkmcnt(0)
	v_mul_f32_e32 v28, v27, v25
	v_mul_f32_e32 v25, v26, v25
	v_fma_f32 v26, v26, v24, -v28
	v_fmac_f32_e32 v25, v27, v24
	v_add_f32_e32 v21, v21, v26
	v_add_f32_e32 v23, v23, v25
	s_or_b64 exec, exec, s[18:19]
	v_cmp_gt_u32_e64 s[16:17], 8, v1
	s_and_saveexec_b64 s[18:19], s[16:17]
	s_cbranch_execz .LBB167_655
.LBB167_1143:
	ds_read_b64 v[24:25], v6 offset:17696
	ds_read_b64 v[26:27], v22 offset:16656
	s_waitcnt lgkmcnt(0)
	v_mul_f32_e32 v22, v27, v25
	v_mul_f32_e32 v25, v26, v25
	v_fma_f32 v22, v26, v24, -v22
	v_fmac_f32_e32 v25, v27, v24
	v_add_f32_e32 v21, v21, v22
	v_add_f32_e32 v23, v23, v25
	s_or_b64 exec, exec, s[18:19]
	v_cmp_gt_u32_e64 s[16:17], 4, v1
	s_and_saveexec_b64 s[18:19], s[16:17]
	s_cbranch_execnz .LBB167_656
	s_branch .LBB167_657
.LBB167_1144:
	v_lshlrev_b32_e32 v24, 3, v15
	v_sub_u32_e32 v24, v22, v24
	v_lshl_add_u32 v24, v14, 3, v24
	ds_read_b64 v[24:25], v24 offset:17216
	ds_read_b64 v[26:27], v22 offset:16648
	s_waitcnt lgkmcnt(0)
	v_mul_f32_e32 v28, v27, v25
	v_mul_f32_e32 v25, v26, v25
	v_fma_f32 v26, v26, v24, -v28
	v_fmac_f32_e32 v25, v27, v24
	v_add_f32_e32 v21, v21, v26
	v_add_f32_e32 v23, v23, v25
	s_or_b64 exec, exec, s[18:19]
	v_cmp_gt_u32_e64 s[16:17], 48, v1
	s_and_saveexec_b64 s[18:19], s[16:17]
	s_cbranch_execz .LBB167_697
.LBB167_1145:
	v_lshlrev_b32_e32 v24, 3, v15
	v_sub_u32_e32 v24, v22, v24
	v_lshl_add_u32 v24, v14, 3, v24
	ds_read_b64 v[24:25], v24 offset:17728
	ds_read_b64 v[26:27], v22 offset:16656
	s_waitcnt lgkmcnt(0)
	v_mul_f32_e32 v28, v27, v25
	v_mul_f32_e32 v25, v26, v25
	v_fma_f32 v26, v26, v24, -v28
	v_fmac_f32_e32 v25, v27, v24
	v_add_f32_e32 v21, v21, v26
	v_add_f32_e32 v23, v23, v25
	s_or_b64 exec, exec, s[18:19]
	v_cmp_gt_u32_e64 s[16:17], 40, v1
	s_and_saveexec_b64 s[18:19], s[16:17]
	s_cbranch_execz .LBB167_698
.LBB167_1146:
	v_lshlrev_b32_e32 v24, 3, v15
	v_sub_u32_e32 v24, v22, v24
	v_lshl_add_u32 v24, v14, 3, v24
	ds_read_b64 v[24:25], v24 offset:18240
	ds_read_b64 v[26:27], v22 offset:16664
	s_waitcnt lgkmcnt(0)
	v_mul_f32_e32 v28, v27, v25
	v_mul_f32_e32 v25, v26, v25
	v_fma_f32 v26, v26, v24, -v28
	v_fmac_f32_e32 v25, v27, v24
	v_add_f32_e32 v21, v21, v26
	v_add_f32_e32 v23, v23, v25
	s_or_b64 exec, exec, s[18:19]
	v_cmp_gt_u32_e64 s[16:17], 32, v1
	s_and_saveexec_b64 s[18:19], s[16:17]
	s_cbranch_execz .LBB167_699
.LBB167_1147:
	ds_read_b64 v[24:25], v11 offset:18752
	ds_read_b64 v[26:27], v22 offset:16672
	s_waitcnt lgkmcnt(0)
	v_mul_f32_e32 v28, v27, v25
	v_mul_f32_e32 v25, v26, v25
	v_fma_f32 v26, v26, v24, -v28
	v_fmac_f32_e32 v25, v27, v24
	v_add_f32_e32 v21, v21, v26
	v_add_f32_e32 v23, v23, v25
	s_or_b64 exec, exec, s[18:19]
	v_cmp_gt_u32_e64 s[16:17], 24, v1
	s_and_saveexec_b64 s[18:19], s[16:17]
	s_cbranch_execz .LBB167_700
.LBB167_1148:
	v_lshlrev_b32_e32 v24, 3, v15
	v_sub_u32_e32 v24, v22, v24
	v_lshl_add_u32 v24, v14, 3, v24
	ds_read_b64 v[24:25], v24 offset:19264
	ds_read_b64 v[26:27], v22 offset:16680
	s_waitcnt lgkmcnt(0)
	v_mul_f32_e32 v28, v27, v25
	v_mul_f32_e32 v25, v26, v25
	v_fma_f32 v26, v26, v24, -v28
	v_fmac_f32_e32 v25, v27, v24
	v_add_f32_e32 v21, v21, v26
	v_add_f32_e32 v23, v23, v25
	s_or_b64 exec, exec, s[18:19]
	v_cmp_gt_u32_e64 s[16:17], 16, v1
	s_and_saveexec_b64 s[18:19], s[16:17]
	s_cbranch_execz .LBB167_701
.LBB167_1149:
	ds_read_b64 v[24:25], v11 offset:19776
	ds_read_b64 v[26:27], v22 offset:16688
	s_waitcnt lgkmcnt(0)
	v_mul_f32_e32 v22, v27, v25
	v_mul_f32_e32 v25, v26, v25
	v_fma_f32 v22, v26, v24, -v22
	v_fmac_f32_e32 v25, v27, v24
	v_add_f32_e32 v21, v21, v22
	v_add_f32_e32 v23, v23, v25
	s_or_b64 exec, exec, s[18:19]
	v_cmp_gt_u32_e64 s[16:17], 8, v1
	s_and_saveexec_b64 s[18:19], s[16:17]
	s_cbranch_execnz .LBB167_702
	s_branch .LBB167_703
.LBB167_1150:
	v_lshlrev_b32_e32 v24, 3, v10
	v_sub_u32_e32 v24, v22, v24
	v_lshl_add_u32 v24, v9, 3, v24
	ds_read_b64 v[24:25], v24 offset:21344
	ds_read_b64 v[26:27], v22 offset:20808
	s_waitcnt lgkmcnt(0)
	v_mul_f32_e32 v28, v27, v25
	v_mul_f32_e32 v25, v26, v25
	v_fma_f32 v26, v26, v24, -v28
	v_fmac_f32_e32 v25, v27, v24
	v_add_f32_e32 v21, v21, v26
	v_add_f32_e32 v23, v23, v25
	s_or_b64 exec, exec, s[18:19]
	v_cmp_gt_u32_e64 s[16:17], 8, v1
	s_and_saveexec_b64 s[18:19], s[16:17]
	s_cbranch_execz .LBB167_759
.LBB167_1151:
	ds_read_b64 v[24:25], v6 offset:21856
	ds_read_b64 v[26:27], v22 offset:20816
	s_waitcnt lgkmcnt(0)
	v_mul_f32_e32 v22, v27, v25
	v_mul_f32_e32 v25, v26, v25
	v_fma_f32 v22, v26, v24, -v22
	v_fmac_f32_e32 v25, v27, v24
	v_add_f32_e32 v21, v21, v22
	v_add_f32_e32 v23, v23, v25
	s_or_b64 exec, exec, s[18:19]
	v_cmp_gt_u32_e64 s[16:17], 4, v1
	s_and_saveexec_b64 s[18:19], s[16:17]
	s_cbranch_execnz .LBB167_760
	s_branch .LBB167_761
.LBB167_1152:
	v_lshlrev_b32_e32 v20, 3, v17
	v_lshl_add_u32 v20, v19, 3, v20
	ds_read_b64 v[24:25], v20 offset:22400
	ds_read_b64 v[26:27], v22 offset:16728
	s_waitcnt lgkmcnt(0)
	v_mul_f32_e32 v20, v27, v25
	v_mul_f32_e32 v25, v26, v25
	v_fma_f32 v20, v26, v24, -v20
	v_fmac_f32_e32 v25, v27, v24
	v_add_f32_e32 v21, v21, v20
	v_add_f32_e32 v23, v23, v25
	s_or_b64 exec, exec, s[18:19]
	v_cmp_gt_u32_e64 s[16:17], 64, v1
	s_and_saveexec_b64 s[18:19], s[16:17]
	s_cbranch_execz .LBB167_821
.LBB167_1153:
	ds_read_b64 v[24:25], v16 offset:22912
	ds_read_b64 v[26:27], v22 offset:16736
	s_waitcnt lgkmcnt(0)
	v_mul_f32_e32 v20, v27, v25
	v_mul_f32_e32 v25, v26, v25
	v_fma_f32 v20, v26, v24, -v20
	v_fmac_f32_e32 v25, v27, v24
	v_add_f32_e32 v21, v21, v20
	v_add_f32_e32 v23, v23, v25
	s_or_b64 exec, exec, s[18:19]
	v_cmp_gt_u32_e64 s[16:17], 48, v1
	s_and_saveexec_b64 s[18:19], s[16:17]
	s_cbranch_execz .LBB167_822
.LBB167_1154:
	v_lshlrev_b32_e32 v20, 3, v17
	v_lshl_add_u32 v19, v19, 3, v20
	ds_read_b64 v[19:20], v19 offset:23424
	ds_read_b64 v[24:25], v22 offset:16744
	s_waitcnt lgkmcnt(0)
	v_mul_f32_e32 v26, v25, v20
	v_mul_f32_e32 v20, v24, v20
	v_fma_f32 v24, v24, v19, -v26
	v_fmac_f32_e32 v20, v25, v19
	v_add_f32_e32 v21, v21, v24
	v_add_f32_e32 v23, v23, v20
	s_or_b64 exec, exec, s[18:19]
	v_cmp_gt_u32_e64 s[16:17], 32, v1
	s_and_saveexec_b64 s[18:19], s[16:17]
	s_cbranch_execz .LBB167_823
.LBB167_1155:
	ds_read_b64 v[19:20], v16 offset:23936
	ds_read_b64 v[24:25], v22 offset:16752
	s_waitcnt lgkmcnt(0)
	v_mul_f32_e32 v22, v25, v20
	v_mul_f32_e32 v20, v24, v20
	v_fma_f32 v22, v24, v19, -v22
	v_fmac_f32_e32 v20, v25, v19
	v_add_f32_e32 v21, v21, v22
	v_add_f32_e32 v23, v23, v20
	s_or_b64 exec, exec, s[18:19]
	v_cmp_gt_u32_e64 s[16:17], 16, v1
	s_and_saveexec_b64 s[18:19], s[16:17]
	s_cbranch_execnz .LBB167_824
	s_branch .LBB167_825
.LBB167_1156:
	v_lshlrev_b32_e32 v19, 3, v10
	v_sub_u32_e32 v19, v17, v19
	v_lshl_add_u32 v19, v9, 3, v19
	ds_read_b64 v[19:20], v19 offset:25504
	ds_read_b64 v[21:22], v17 offset:24968
	s_waitcnt lgkmcnt(0)
	v_mul_f32_e32 v23, v22, v20
	v_mul_f32_e32 v20, v21, v20
	v_fma_f32 v21, v21, v19, -v23
	v_fmac_f32_e32 v20, v22, v19
	v_add_f32_e32 v16, v16, v21
	v_add_f32_e32 v18, v18, v20
	s_or_b64 exec, exec, s[16:17]
	v_cmp_gt_u32_e64 s[14:15], 8, v1
	s_and_saveexec_b64 s[16:17], s[14:15]
	s_cbranch_execz .LBB167_913
.LBB167_1157:
	ds_read_b64 v[19:20], v6 offset:26016
	ds_read_b64 v[21:22], v17 offset:24976
	s_waitcnt lgkmcnt(0)
	v_mul_f32_e32 v17, v22, v20
	v_mul_f32_e32 v20, v21, v20
	v_fma_f32 v17, v21, v19, -v17
	v_fmac_f32_e32 v20, v22, v19
	v_add_f32_e32 v16, v16, v17
	v_add_f32_e32 v18, v18, v20
	s_or_b64 exec, exec, s[16:17]
	v_cmp_gt_u32_e64 s[14:15], 4, v1
	s_and_saveexec_b64 s[16:17], s[14:15]
	s_cbranch_execnz .LBB167_914
	s_branch .LBB167_915
.LBB167_1158:
	v_lshlrev_b32_e32 v19, 3, v15
	v_sub_u32_e32 v19, v17, v19
	v_lshl_add_u32 v19, v14, 3, v19
	ds_read_b64 v[19:20], v19 offset:25536
	ds_read_b64 v[21:22], v17 offset:24968
	s_waitcnt lgkmcnt(0)
	v_mul_f32_e32 v23, v22, v20
	v_mul_f32_e32 v20, v21, v20
	v_fma_f32 v21, v21, v19, -v23
	v_fmac_f32_e32 v20, v22, v19
	v_add_f32_e32 v16, v16, v21
	v_add_f32_e32 v18, v18, v20
	s_or_b64 exec, exec, s[16:17]
	v_cmp_gt_u32_e64 s[14:15], 48, v1
	s_and_saveexec_b64 s[16:17], s[14:15]
	s_cbranch_execz .LBB167_955
.LBB167_1159:
	v_lshlrev_b32_e32 v19, 3, v15
	v_sub_u32_e32 v19, v17, v19
	v_lshl_add_u32 v19, v14, 3, v19
	ds_read_b64 v[19:20], v19 offset:26048
	ds_read_b64 v[21:22], v17 offset:24976
	s_waitcnt lgkmcnt(0)
	v_mul_f32_e32 v23, v22, v20
	v_mul_f32_e32 v20, v21, v20
	v_fma_f32 v21, v21, v19, -v23
	v_fmac_f32_e32 v20, v22, v19
	v_add_f32_e32 v16, v16, v21
	v_add_f32_e32 v18, v18, v20
	s_or_b64 exec, exec, s[16:17]
	v_cmp_gt_u32_e64 s[14:15], 40, v1
	s_and_saveexec_b64 s[16:17], s[14:15]
	s_cbranch_execz .LBB167_956
.LBB167_1160:
	v_lshlrev_b32_e32 v19, 3, v15
	v_sub_u32_e32 v19, v17, v19
	v_lshl_add_u32 v19, v14, 3, v19
	ds_read_b64 v[19:20], v19 offset:26560
	ds_read_b64 v[21:22], v17 offset:24984
	s_waitcnt lgkmcnt(0)
	v_mul_f32_e32 v23, v22, v20
	v_mul_f32_e32 v20, v21, v20
	v_fma_f32 v21, v21, v19, -v23
	v_fmac_f32_e32 v20, v22, v19
	v_add_f32_e32 v16, v16, v21
	v_add_f32_e32 v18, v18, v20
	s_or_b64 exec, exec, s[16:17]
	v_cmp_gt_u32_e64 s[14:15], 32, v1
	s_and_saveexec_b64 s[16:17], s[14:15]
	s_cbranch_execz .LBB167_957
.LBB167_1161:
	ds_read_b64 v[19:20], v11 offset:27072
	ds_read_b64 v[21:22], v17 offset:24992
	s_waitcnt lgkmcnt(0)
	v_mul_f32_e32 v23, v22, v20
	v_mul_f32_e32 v20, v21, v20
	v_fma_f32 v21, v21, v19, -v23
	v_fmac_f32_e32 v20, v22, v19
	v_add_f32_e32 v16, v16, v21
	v_add_f32_e32 v18, v18, v20
	s_or_b64 exec, exec, s[16:17]
	v_cmp_gt_u32_e64 s[14:15], 24, v1
	s_and_saveexec_b64 s[16:17], s[14:15]
	s_cbranch_execz .LBB167_958
.LBB167_1162:
	v_lshlrev_b32_e32 v15, 3, v15
	v_sub_u32_e32 v15, v17, v15
	v_lshl_add_u32 v14, v14, 3, v15
	ds_read_b64 v[14:15], v14 offset:27584
	ds_read_b64 v[19:20], v17 offset:25000
	s_waitcnt lgkmcnt(0)
	v_mul_f32_e32 v21, v20, v15
	v_mul_f32_e32 v15, v19, v15
	v_fma_f32 v19, v19, v14, -v21
	v_fmac_f32_e32 v15, v20, v14
	v_add_f32_e32 v16, v16, v19
	v_add_f32_e32 v18, v18, v15
	s_or_b64 exec, exec, s[16:17]
	v_cmp_gt_u32_e64 s[14:15], 16, v1
	s_and_saveexec_b64 s[16:17], s[14:15]
	s_cbranch_execz .LBB167_959
.LBB167_1163:
	ds_read_b64 v[14:15], v11 offset:28096
	ds_read_b64 v[19:20], v17 offset:25008
	s_waitcnt lgkmcnt(0)
	v_mul_f32_e32 v17, v20, v15
	v_mul_f32_e32 v15, v19, v15
	v_fma_f32 v17, v19, v14, -v17
	v_fmac_f32_e32 v15, v20, v14
	v_add_f32_e32 v16, v16, v17
	v_add_f32_e32 v18, v18, v15
	s_or_b64 exec, exec, s[16:17]
	v_cmp_gt_u32_e64 s[14:15], 8, v1
	s_and_saveexec_b64 s[16:17], s[14:15]
	s_cbranch_execnz .LBB167_960
	s_branch .LBB167_961
.LBB167_1164:
	v_lshlrev_b32_e32 v10, 3, v10
	v_sub_u32_e32 v10, v12, v10
	v_lshl_add_u32 v9, v9, 3, v10
	ds_read_b64 v[9:10], v9 offset:29664
	ds_read_b64 v[14:15], v12 offset:29128
	s_waitcnt lgkmcnt(0)
	v_mul_f32_e32 v16, v15, v10
	v_mul_f32_e32 v10, v14, v10
	v_fma_f32 v14, v14, v9, -v16
	v_fmac_f32_e32 v10, v15, v9
	v_add_f32_e32 v11, v11, v14
	v_add_f32_e32 v13, v13, v10
	s_or_b64 exec, exec, s[14:15]
	v_cmp_gt_u32_e64 s[12:13], 8, v1
	s_and_saveexec_b64 s[14:15], s[12:13]
	s_cbranch_execz .LBB167_1017
.LBB167_1165:
	ds_read_b64 v[9:10], v6 offset:30176
	ds_read_b64 v[14:15], v12 offset:29136
	s_waitcnt lgkmcnt(0)
	v_mul_f32_e32 v12, v15, v10
	v_mul_f32_e32 v10, v14, v10
	v_fma_f32 v12, v14, v9, -v12
	v_fmac_f32_e32 v10, v15, v9
	v_add_f32_e32 v11, v11, v12
	v_add_f32_e32 v13, v13, v10
	s_or_b64 exec, exec, s[14:15]
	v_cmp_gt_u32_e64 s[12:13], 4, v1
	s_and_saveexec_b64 s[14:15], s[12:13]
	s_cbranch_execnz .LBB167_1018
	s_branch .LBB167_1019
	.section	.rodata,"a",@progbits
	.p2align	6, 0x0
	.amdhsa_kernel _ZL19rocblas_trsv_deviceILi64ELi16ELb1ELb1ELb0ELb0E19rocblas_complex_numIfES1_PKPKS1_PKPS1_EviT7_lllT6_T8_lllPii
		.amdhsa_group_segment_fixed_size 41480
		.amdhsa_private_segment_fixed_size 48
		.amdhsa_kernarg_size 352
		.amdhsa_user_sgpr_count 8
		.amdhsa_user_sgpr_private_segment_buffer 1
		.amdhsa_user_sgpr_dispatch_ptr 0
		.amdhsa_user_sgpr_queue_ptr 0
		.amdhsa_user_sgpr_kernarg_segment_ptr 1
		.amdhsa_user_sgpr_dispatch_id 0
		.amdhsa_user_sgpr_flat_scratch_init 1
		.amdhsa_user_sgpr_private_segment_size 0
		.amdhsa_uses_dynamic_stack 0
		.amdhsa_system_sgpr_private_segment_wavefront_offset 1
		.amdhsa_system_sgpr_workgroup_id_x 1
		.amdhsa_system_sgpr_workgroup_id_y 0
		.amdhsa_system_sgpr_workgroup_id_z 1
		.amdhsa_system_sgpr_workgroup_info 0
		.amdhsa_system_vgpr_workitem_id 1
		.amdhsa_next_free_vgpr 49
		.amdhsa_next_free_sgpr 100
		.amdhsa_reserve_vcc 1
		.amdhsa_reserve_flat_scratch 1
		.amdhsa_float_round_mode_32 0
		.amdhsa_float_round_mode_16_64 0
		.amdhsa_float_denorm_mode_32 3
		.amdhsa_float_denorm_mode_16_64 3
		.amdhsa_dx10_clamp 1
		.amdhsa_ieee_mode 1
		.amdhsa_fp16_overflow 0
		.amdhsa_exception_fp_ieee_invalid_op 0
		.amdhsa_exception_fp_denorm_src 0
		.amdhsa_exception_fp_ieee_div_zero 0
		.amdhsa_exception_fp_ieee_overflow 0
		.amdhsa_exception_fp_ieee_underflow 0
		.amdhsa_exception_fp_ieee_inexact 0
		.amdhsa_exception_int_div_zero 0
	.end_amdhsa_kernel
	.section	.text._ZL19rocblas_trsv_deviceILi64ELi16ELb1ELb1ELb0ELb0E19rocblas_complex_numIfES1_PKPKS1_PKPS1_EviT7_lllT6_T8_lllPii,"axG",@progbits,_ZL19rocblas_trsv_deviceILi64ELi16ELb1ELb1ELb0ELb0E19rocblas_complex_numIfES1_PKPKS1_PKPS1_EviT7_lllT6_T8_lllPii,comdat
.Lfunc_end167:
	.size	_ZL19rocblas_trsv_deviceILi64ELi16ELb1ELb1ELb0ELb0E19rocblas_complex_numIfES1_PKPKS1_PKPS1_EviT7_lllT6_T8_lllPii, .Lfunc_end167-_ZL19rocblas_trsv_deviceILi64ELi16ELb1ELb1ELb0ELb0E19rocblas_complex_numIfES1_PKPKS1_PKPS1_EviT7_lllT6_T8_lllPii
                                        ; -- End function
	.set _ZL19rocblas_trsv_deviceILi64ELi16ELb1ELb1ELb0ELb0E19rocblas_complex_numIfES1_PKPKS1_PKPS1_EviT7_lllT6_T8_lllPii.num_vgpr, 35
	.set _ZL19rocblas_trsv_deviceILi64ELi16ELb1ELb1ELb0ELb0E19rocblas_complex_numIfES1_PKPKS1_PKPS1_EviT7_lllT6_T8_lllPii.num_agpr, 0
	.set _ZL19rocblas_trsv_deviceILi64ELi16ELb1ELb1ELb0ELb0E19rocblas_complex_numIfES1_PKPKS1_PKPS1_EviT7_lllT6_T8_lllPii.numbered_sgpr, 100
	.set _ZL19rocblas_trsv_deviceILi64ELi16ELb1ELb1ELb0ELb0E19rocblas_complex_numIfES1_PKPKS1_PKPS1_EviT7_lllT6_T8_lllPii.num_named_barrier, 0
	.set _ZL19rocblas_trsv_deviceILi64ELi16ELb1ELb1ELb0ELb0E19rocblas_complex_numIfES1_PKPKS1_PKPS1_EviT7_lllT6_T8_lllPii.private_seg_size, 48
	.set _ZL19rocblas_trsv_deviceILi64ELi16ELb1ELb1ELb0ELb0E19rocblas_complex_numIfES1_PKPKS1_PKPS1_EviT7_lllT6_T8_lllPii.uses_vcc, 1
	.set _ZL19rocblas_trsv_deviceILi64ELi16ELb1ELb1ELb0ELb0E19rocblas_complex_numIfES1_PKPKS1_PKPS1_EviT7_lllT6_T8_lllPii.uses_flat_scratch, 1
	.set _ZL19rocblas_trsv_deviceILi64ELi16ELb1ELb1ELb0ELb0E19rocblas_complex_numIfES1_PKPKS1_PKPS1_EviT7_lllT6_T8_lllPii.has_dyn_sized_stack, 0
	.set _ZL19rocblas_trsv_deviceILi64ELi16ELb1ELb1ELb0ELb0E19rocblas_complex_numIfES1_PKPKS1_PKPS1_EviT7_lllT6_T8_lllPii.has_recursion, 0
	.set _ZL19rocblas_trsv_deviceILi64ELi16ELb1ELb1ELb0ELb0E19rocblas_complex_numIfES1_PKPKS1_PKPS1_EviT7_lllT6_T8_lllPii.has_indirect_call, 0
	.section	.AMDGPU.csdata,"",@progbits
; Kernel info:
; codeLenInByte = 49556
; TotalNumSgprs: 106
; NumVgprs: 35
; ScratchSize: 48
; MemoryBound: 1
; FloatMode: 240
; IeeeMode: 1
; LDSByteSize: 41480 bytes/workgroup (compile time only)
; SGPRBlocks: 13
; VGPRBlocks: 12
; NumSGPRsForWavesPerEU: 106
; NumVGPRsForWavesPerEU: 49
; Occupancy: 4
; WaveLimiterHint : 1
; COMPUTE_PGM_RSRC2:SCRATCH_EN: 1
; COMPUTE_PGM_RSRC2:USER_SGPR: 8
; COMPUTE_PGM_RSRC2:TRAP_HANDLER: 0
; COMPUTE_PGM_RSRC2:TGID_X_EN: 1
; COMPUTE_PGM_RSRC2:TGID_Y_EN: 0
; COMPUTE_PGM_RSRC2:TGID_Z_EN: 1
; COMPUTE_PGM_RSRC2:TIDIG_COMP_CNT: 1
	.section	.text._ZL19rocblas_trsv_deviceILi64ELi16ELb1ELb1ELb1ELb0E19rocblas_complex_numIfES1_PKPKS1_PKPS1_EviT7_lllT6_T8_lllPii,"axG",@progbits,_ZL19rocblas_trsv_deviceILi64ELi16ELb1ELb1ELb1ELb0E19rocblas_complex_numIfES1_PKPKS1_PKPS1_EviT7_lllT6_T8_lllPii,comdat
	.globl	_ZL19rocblas_trsv_deviceILi64ELi16ELb1ELb1ELb1ELb0E19rocblas_complex_numIfES1_PKPKS1_PKPS1_EviT7_lllT6_T8_lllPii ; -- Begin function _ZL19rocblas_trsv_deviceILi64ELi16ELb1ELb1ELb1ELb0E19rocblas_complex_numIfES1_PKPKS1_PKPS1_EviT7_lllT6_T8_lllPii
	.p2align	8
	.type	_ZL19rocblas_trsv_deviceILi64ELi16ELb1ELb1ELb1ELb0E19rocblas_complex_numIfES1_PKPKS1_PKPS1_EviT7_lllT6_T8_lllPii,@function
_ZL19rocblas_trsv_deviceILi64ELi16ELb1ELb1ELb1ELb0E19rocblas_complex_numIfES1_PKPKS1_PKPS1_EviT7_lllT6_T8_lllPii: ; @_ZL19rocblas_trsv_deviceILi64ELi16ELb1ELb1ELb1ELb0E19rocblas_complex_numIfES1_PKPKS1_PKPS1_EviT7_lllT6_T8_lllPii
; %bb.0:
	s_load_dwordx4 s[0:3], s[4:5], 0x8
	s_mov_b32 s24, s7
	s_mov_b32 s25, 0
	s_lshl_b64 s[8:9], s[24:25], 3
	v_mov_b32_e32 v2, v1
	s_waitcnt lgkmcnt(0)
	s_add_u32 s0, s0, s8
	s_addc_u32 s1, s1, s9
	s_load_dwordx2 s[10:11], s[0:1], 0x0
	s_load_dword s28, s[4:5], 0x0
	s_load_dwordx2 s[34:35], s[4:5], 0x18
	s_load_dwordx4 s[12:15], s[4:5], 0x30
	s_lshl_b64 s[0:1], s[2:3], 3
	s_waitcnt lgkmcnt(0)
	s_add_u32 s89, s10, s0
	s_addc_u32 s90, s11, s1
	s_load_dword s7, s[4:5], 0x60
	s_add_u32 s0, s12, s8
	s_addc_u32 s1, s13, s9
	s_load_dwordx2 s[20:21], s[0:1], 0x0
	s_load_dword s22, s[4:5], 0x6c
	s_waitcnt lgkmcnt(0)
	s_add_i32 s7, s7, -1
	s_sub_i32 s91, s7, s6
	s_cmp_lg_u32 s6, 0
	s_cbranch_scc0 .LBB168_1119
; %bb.1:
	s_lshl_b32 s33, s91, 6
	v_add_u32_e32 v1, s33, v0
	v_ashrrev_i32_e32 v3, 31, v1
	v_mul_lo_u32 v5, s34, v3
	v_mul_lo_u32 v6, s35, v1
	v_mad_u64_u32 v[3:4], s[0:1], s34, v1, 0
	v_add3_u32 v7, v2, s33, 64
	v_ashrrev_i32_e32 v8, 31, v7
	v_add3_u32 v4, v4, v5, v6
	v_lshlrev_b64 v[3:4], 3, v[3:4]
	v_cmp_gt_i32_e32 vcc, s28, v1
	v_mov_b32_e32 v1, s90
	v_add_co_u32_e64 v5, s[0:1], s89, v3
	v_addc_co_u32_e64 v1, s[0:1], v1, v4, s[0:1]
	v_lshlrev_b64 v[3:4], 3, v[7:8]
	v_mov_b32_e32 v6, 0
	v_add_co_u32_e64 v11, s[0:1], v5, v3
	v_addc_co_u32_e64 v12, s[0:1], v1, v4, s[0:1]
	v_cmp_gt_i32_e64 s[0:1], s28, v7
	s_and_b64 s[2:3], s[0:1], vcc
	v_mov_b32_e32 v3, 0
	v_mov_b32_e32 v5, 0
	s_barrier
	s_and_saveexec_b64 s[0:1], s[2:3]
	s_cbranch_execz .LBB168_3
; %bb.2:
	flat_load_dwordx2 v[5:6], v[11:12]
.LBB168_3:
	s_or_b64 exec, exec, s[0:1]
	v_add_u32_e32 v1, 16, v7
	v_cmp_gt_i32_e64 s[0:1], s28, v1
	s_and_b64 s[2:3], s[0:1], vcc
	v_mov_b32_e32 v4, 0
	s_waitcnt vmcnt(0) lgkmcnt(0)
	s_barrier
	s_and_saveexec_b64 s[0:1], s[2:3]
	s_cbranch_execz .LBB168_5
; %bb.4:
	flat_load_dwordx2 v[3:4], v[11:12] offset:128
.LBB168_5:
	s_or_b64 exec, exec, s[0:1]
	v_add_u32_e32 v1, 32, v7
	v_cmp_gt_i32_e64 s[0:1], s28, v1
	s_and_b64 s[2:3], s[0:1], vcc
	v_mov_b32_e32 v8, 0
	v_mov_b32_e32 v9, 0
	v_mov_b32_e32 v10, 0
	s_waitcnt vmcnt(0) lgkmcnt(0)
	s_barrier
	s_and_saveexec_b64 s[0:1], s[2:3]
	s_cbranch_execz .LBB168_7
; %bb.6:
	flat_load_dwordx2 v[9:10], v[11:12] offset:256
.LBB168_7:
	s_or_b64 exec, exec, s[0:1]
	v_add_u32_e32 v1, 48, v7
	v_cmp_gt_i32_e64 s[0:1], s28, v1
	s_and_b64 s[2:3], s[0:1], vcc
	v_mov_b32_e32 v7, 0
	s_waitcnt vmcnt(0) lgkmcnt(0)
	s_barrier
	s_and_saveexec_b64 s[0:1], s[2:3]
	s_cbranch_execz .LBB168_9
; %bb.8:
	flat_load_dwordx2 v[7:8], v[11:12] offset:384
.LBB168_9:
	s_or_b64 exec, exec, s[0:1]
	s_branch .LBB168_11
.LBB168_10:
	s_lshl_b32 s33, s91, 6
                                        ; implicit-def: $vgpr5
                                        ; implicit-def: $vgpr3
                                        ; implicit-def: $vgpr9
                                        ; implicit-def: $vgpr7
.LBB168_11:
	s_ashr_i32 s29, s28, 31
	s_lshr_b32 s0, s29, 26
	s_add_i32 s0, s28, s0
	s_andn2_b32 s0, s0, 63
	s_sub_i32 s88, s28, s0
	s_add_i32 s0, s28, -1
	s_ashr_i32 s1, s0, 31
	s_lshr_b32 s1, s1, 26
	s_add_i32 s0, s0, s1
	s_ashr_i32 s0, s0, 6
	s_cmp_eq_u32 s0, s91
	s_cselect_b64 s[0:1], -1, 0
	s_cmp_lg_u32 s88, 0
	s_cselect_b64 s[2:3], -1, 0
	s_and_b64 s[30:31], s[2:3], s[0:1]
	s_cmp_lt_i32 s6, 5
	s_cselect_b64 s[2:3], -1, 0
	s_or_b64 s[0:1], s[2:3], s[30:31]
	s_ashr_i32 s40, s33, 31
	s_add_u32 s10, s34, 1
	v_mov_b32_e32 v1, 0
	v_mov_b32_e32 v11, s33
	s_load_dwordx2 s[26:27], s[4:5], 0x40
	v_mad_u64_u32 v[11:12], s[8:9], s10, v11, v[0:1]
	s_addc_u32 s11, s35, 0
	s_mul_i32 s8, s10, s40
	s_mul_i32 s11, s11, s33
	v_lshlrev_b32_e32 v17, 6, v0
	s_add_i32 s8, s8, s11
	s_mov_b64 s[12:13], -1
	v_add_u32_e32 v12, s8, v12
	s_and_b64 vcc, exec, s[30:31]
	v_add_u32_e32 v18, v2, v17
	v_cmp_le_u32_e64 s[8:9], v0, v2
	v_lshl_add_u32 v1, v2, 6, v0
	s_cbranch_vccnz .LBB168_69
; %bb.12:
	v_mad_u64_u32 v[13:14], s[10:11], s34, v2, v[11:12]
	v_cndmask_b32_e64 v19, v1, v18, s[2:3]
	v_mad_u64_u32 v[14:15], s[10:11], s35, v2, v[14:15]
	s_and_saveexec_b64 s[2:3], s[8:9]
	s_xor_b64 s[2:3], exec, s[2:3]
	s_cbranch_execz .LBB168_24
; %bb.13:
	v_cmp_ne_u32_e32 vcc, v0, v2
	s_and_saveexec_b64 s[8:9], vcc
	s_xor_b64 s[8:9], exec, s[8:9]
	s_cbranch_execz .LBB168_17
; %bb.14:
	v_or_b32_e32 v13, v2, v0
	v_cmp_gt_u32_e32 vcc, 64, v13
	s_and_saveexec_b64 s[10:11], vcc
; %bb.15:
	v_mov_b32_e32 v13, 0
	v_lshlrev_b32_e32 v15, 3, v19
	v_mov_b32_e32 v14, v13
	ds_write_b64 v15, v[13:14]
; %bb.16:
	s_or_b64 exec, exec, s[10:11]
                                        ; implicit-def: $vgpr19
                                        ; implicit-def: $vgpr13_vgpr14
.LBB168_17:
	s_andn2_saveexec_b64 s[8:9], s[8:9]
	s_cbranch_execz .LBB168_23
; %bb.18:
	v_lshlrev_b64 v[13:14], 3, v[13:14]
	v_mov_b32_e32 v15, s90
	v_add_co_u32_e32 v13, vcc, s89, v13
	v_addc_co_u32_e32 v14, vcc, v15, v14, vcc
	flat_load_dwordx2 v[13:14], v[13:14]
                                        ; implicit-def: $vgpr15
	s_waitcnt vmcnt(0) lgkmcnt(0)
	v_cmp_ngt_f32_e64 s[10:11], |v13|, |v14|
	s_and_saveexec_b64 s[12:13], s[10:11]
	s_xor_b64 s[10:11], exec, s[12:13]
	s_cbranch_execz .LBB168_20
; %bb.19:
	v_div_scale_f32 v15, s[12:13], -v14, -v14, v13
	v_div_scale_f32 v16, vcc, v13, -v14, v13
	v_rcp_f32_e32 v20, v15
	v_fma_f32 v21, -v15, v20, 1.0
	v_fmac_f32_e32 v20, v21, v20
	v_mul_f32_e32 v21, v16, v20
	v_fma_f32 v22, -v15, v21, v16
	v_fmac_f32_e32 v21, v22, v20
	v_fma_f32 v15, -v15, v21, v16
	v_div_fmas_f32 v15, v15, v20, v21
	v_div_fixup_f32 v15, v15, -v14, v13
	v_fma_f32 v13, v13, v15, -v14
	v_div_scale_f32 v14, s[12:13], v13, v13, 1.0
	v_div_scale_f32 v16, vcc, 1.0, v13, 1.0
	v_rcp_f32_e32 v20, v14
	v_fma_f32 v21, -v14, v20, 1.0
	v_fmac_f32_e32 v20, v21, v20
	v_mul_f32_e32 v21, v16, v20
	v_fma_f32 v22, -v14, v21, v16
	v_fmac_f32_e32 v21, v22, v20
	v_fma_f32 v14, -v14, v21, v16
	v_div_fmas_f32 v14, v14, v20, v21
	v_div_fixup_f32 v13, v14, v13, 1.0
	v_mul_f32_e32 v15, v15, v13
	v_xor_b32_e32 v16, 0x80000000, v13
                                        ; implicit-def: $vgpr13_vgpr14
.LBB168_20:
	s_andn2_saveexec_b64 s[10:11], s[10:11]
	s_cbranch_execz .LBB168_22
; %bb.21:
	v_div_scale_f32 v15, s[12:13], v13, v13, -v14
	v_div_scale_f32 v16, vcc, -v14, v13, -v14
	v_rcp_f32_e32 v20, v15
	v_fma_f32 v21, -v15, v20, 1.0
	v_fmac_f32_e32 v20, v21, v20
	v_mul_f32_e32 v21, v16, v20
	v_fma_f32 v22, -v15, v21, v16
	v_fmac_f32_e32 v21, v22, v20
	v_fma_f32 v15, -v15, v21, v16
	v_div_fmas_f32 v15, v15, v20, v21
	v_div_fixup_f32 v16, v15, v13, -v14
	v_fma_f32 v13, -v14, v16, v13
	v_div_scale_f32 v14, s[12:13], v13, v13, 1.0
	v_div_scale_f32 v15, vcc, 1.0, v13, 1.0
	v_rcp_f32_e32 v20, v14
	v_fma_f32 v21, -v14, v20, 1.0
	v_fmac_f32_e32 v20, v21, v20
	v_mul_f32_e32 v21, v15, v20
	v_fma_f32 v22, -v14, v21, v15
	v_fmac_f32_e32 v21, v22, v20
	v_fma_f32 v14, -v14, v21, v15
	v_div_fmas_f32 v14, v14, v20, v21
	v_div_fixup_f32 v15, v14, v13, 1.0
	v_mul_f32_e64 v16, v16, -v15
.LBB168_22:
	s_or_b64 exec, exec, s[10:11]
	v_lshlrev_b32_e32 v13, 3, v19
	ds_write_b64 v13, v[15:16]
.LBB168_23:
	s_or_b64 exec, exec, s[8:9]
                                        ; implicit-def: $vgpr13_vgpr14
                                        ; implicit-def: $vgpr19
.LBB168_24:
	s_andn2_saveexec_b64 s[2:3], s[2:3]
	s_cbranch_execz .LBB168_26
; %bb.25:
	v_lshlrev_b64 v[13:14], 3, v[13:14]
	v_mov_b32_e32 v15, s90
	v_add_co_u32_e32 v13, vcc, s89, v13
	v_addc_co_u32_e32 v14, vcc, v15, v14, vcc
	flat_load_dwordx2 v[13:14], v[13:14]
	v_lshlrev_b32_e32 v15, 3, v19
	s_waitcnt vmcnt(0) lgkmcnt(0)
	v_xor_b32_e32 v13, 0x80000000, v13
	ds_write_b64 v15, v[13:14]
.LBB168_26:
	s_or_b64 exec, exec, s[2:3]
	v_add_u32_e32 v15, 16, v2
	v_mad_u64_u32 v[13:14], s[2:3], s34, v15, v[11:12]
	v_lshl_add_u32 v16, v15, 6, v0
	v_cmp_le_u32_e32 vcc, v0, v15
	v_mad_u64_u32 v[20:21], s[2:3], s35, v15, v[14:15]
	v_add_u32_e32 v14, v15, v17
	v_cndmask_b32_e64 v19, v16, v14, s[0:1]
	v_mov_b32_e32 v14, v20
	s_and_saveexec_b64 s[2:3], vcc
	s_xor_b64 s[2:3], exec, s[2:3]
	s_cbranch_execz .LBB168_38
; %bb.27:
	v_cmp_ne_u32_e32 vcc, v0, v15
	s_and_saveexec_b64 s[8:9], vcc
	s_xor_b64 s[8:9], exec, s[8:9]
	s_cbranch_execz .LBB168_31
; %bb.28:
	v_or_b32_e32 v13, v15, v0
	v_cmp_gt_u32_e32 vcc, 64, v13
	s_and_saveexec_b64 s[10:11], vcc
; %bb.29:
	v_mov_b32_e32 v13, 0
	v_lshlrev_b32_e32 v15, 3, v19
	v_mov_b32_e32 v14, v13
	ds_write_b64 v15, v[13:14]
; %bb.30:
	s_or_b64 exec, exec, s[10:11]
                                        ; implicit-def: $vgpr19
                                        ; implicit-def: $vgpr13_vgpr14
.LBB168_31:
	s_andn2_saveexec_b64 s[8:9], s[8:9]
	s_cbranch_execz .LBB168_37
; %bb.32:
	v_lshlrev_b64 v[13:14], 3, v[13:14]
	v_mov_b32_e32 v15, s90
	v_add_co_u32_e32 v13, vcc, s89, v13
	v_addc_co_u32_e32 v14, vcc, v15, v14, vcc
	flat_load_dwordx2 v[13:14], v[13:14]
                                        ; implicit-def: $vgpr15
	s_waitcnt vmcnt(0) lgkmcnt(0)
	v_cmp_ngt_f32_e64 s[10:11], |v13|, |v14|
	s_and_saveexec_b64 s[12:13], s[10:11]
	s_xor_b64 s[10:11], exec, s[12:13]
	s_cbranch_execz .LBB168_34
; %bb.33:
	v_div_scale_f32 v15, s[12:13], -v14, -v14, v13
	v_div_scale_f32 v16, vcc, v13, -v14, v13
	v_rcp_f32_e32 v20, v15
	v_fma_f32 v21, -v15, v20, 1.0
	v_fmac_f32_e32 v20, v21, v20
	v_mul_f32_e32 v21, v16, v20
	v_fma_f32 v22, -v15, v21, v16
	v_fmac_f32_e32 v21, v22, v20
	v_fma_f32 v15, -v15, v21, v16
	v_div_fmas_f32 v15, v15, v20, v21
	v_div_fixup_f32 v15, v15, -v14, v13
	v_fma_f32 v13, v13, v15, -v14
	v_div_scale_f32 v14, s[12:13], v13, v13, 1.0
	v_div_scale_f32 v16, vcc, 1.0, v13, 1.0
	v_rcp_f32_e32 v20, v14
	v_fma_f32 v21, -v14, v20, 1.0
	v_fmac_f32_e32 v20, v21, v20
	v_mul_f32_e32 v21, v16, v20
	v_fma_f32 v22, -v14, v21, v16
	v_fmac_f32_e32 v21, v22, v20
	v_fma_f32 v14, -v14, v21, v16
	v_div_fmas_f32 v14, v14, v20, v21
	v_div_fixup_f32 v13, v14, v13, 1.0
	v_mul_f32_e32 v15, v15, v13
	v_xor_b32_e32 v16, 0x80000000, v13
                                        ; implicit-def: $vgpr13_vgpr14
.LBB168_34:
	s_andn2_saveexec_b64 s[10:11], s[10:11]
	s_cbranch_execz .LBB168_36
; %bb.35:
	v_div_scale_f32 v15, s[12:13], v13, v13, -v14
	v_div_scale_f32 v16, vcc, -v14, v13, -v14
	v_rcp_f32_e32 v20, v15
	v_fma_f32 v21, -v15, v20, 1.0
	v_fmac_f32_e32 v20, v21, v20
	v_mul_f32_e32 v21, v16, v20
	v_fma_f32 v22, -v15, v21, v16
	v_fmac_f32_e32 v21, v22, v20
	v_fma_f32 v15, -v15, v21, v16
	v_div_fmas_f32 v15, v15, v20, v21
	v_div_fixup_f32 v16, v15, v13, -v14
	v_fma_f32 v13, -v14, v16, v13
	v_div_scale_f32 v14, s[12:13], v13, v13, 1.0
	v_div_scale_f32 v15, vcc, 1.0, v13, 1.0
	v_rcp_f32_e32 v20, v14
	v_fma_f32 v21, -v14, v20, 1.0
	v_fmac_f32_e32 v20, v21, v20
	v_mul_f32_e32 v21, v15, v20
	v_fma_f32 v22, -v14, v21, v15
	v_fmac_f32_e32 v21, v22, v20
	v_fma_f32 v14, -v14, v21, v15
	v_div_fmas_f32 v14, v14, v20, v21
	v_div_fixup_f32 v15, v14, v13, 1.0
	v_mul_f32_e64 v16, v16, -v15
.LBB168_36:
	s_or_b64 exec, exec, s[10:11]
	v_lshlrev_b32_e32 v13, 3, v19
	ds_write_b64 v13, v[15:16]
.LBB168_37:
	s_or_b64 exec, exec, s[8:9]
                                        ; implicit-def: $vgpr13_vgpr14
                                        ; implicit-def: $vgpr19
.LBB168_38:
	s_andn2_saveexec_b64 s[2:3], s[2:3]
	s_cbranch_execz .LBB168_40
; %bb.39:
	v_lshlrev_b64 v[13:14], 3, v[13:14]
	v_mov_b32_e32 v15, s90
	v_add_co_u32_e32 v13, vcc, s89, v13
	v_addc_co_u32_e32 v14, vcc, v15, v14, vcc
	flat_load_dwordx2 v[13:14], v[13:14]
	v_lshlrev_b32_e32 v15, 3, v19
	s_waitcnt vmcnt(0) lgkmcnt(0)
	v_xor_b32_e32 v13, 0x80000000, v13
	ds_write_b64 v15, v[13:14]
.LBB168_40:
	s_or_b64 exec, exec, s[2:3]
	v_add_u32_e32 v15, 32, v2
	v_mad_u64_u32 v[13:14], s[2:3], s34, v15, v[11:12]
	v_lshl_add_u32 v16, v15, 6, v0
	v_cmp_le_u32_e32 vcc, v0, v15
	v_mad_u64_u32 v[20:21], s[2:3], s35, v15, v[14:15]
	v_add_u32_e32 v14, v15, v17
	v_cndmask_b32_e64 v19, v16, v14, s[0:1]
	v_mov_b32_e32 v14, v20
	s_and_saveexec_b64 s[2:3], vcc
	s_xor_b64 s[2:3], exec, s[2:3]
	s_cbranch_execz .LBB168_52
; %bb.41:
	v_cmp_ne_u32_e32 vcc, v0, v15
	s_and_saveexec_b64 s[8:9], vcc
	s_xor_b64 s[8:9], exec, s[8:9]
	s_cbranch_execz .LBB168_45
; %bb.42:
	v_or_b32_e32 v13, v15, v0
	v_cmp_gt_u32_e32 vcc, 64, v13
	s_and_saveexec_b64 s[10:11], vcc
; %bb.43:
	v_mov_b32_e32 v13, 0
	v_lshlrev_b32_e32 v15, 3, v19
	v_mov_b32_e32 v14, v13
	ds_write_b64 v15, v[13:14]
; %bb.44:
	s_or_b64 exec, exec, s[10:11]
                                        ; implicit-def: $vgpr19
                                        ; implicit-def: $vgpr13_vgpr14
.LBB168_45:
	s_andn2_saveexec_b64 s[8:9], s[8:9]
	s_cbranch_execz .LBB168_51
; %bb.46:
	v_lshlrev_b64 v[13:14], 3, v[13:14]
	v_mov_b32_e32 v15, s90
	v_add_co_u32_e32 v13, vcc, s89, v13
	v_addc_co_u32_e32 v14, vcc, v15, v14, vcc
	flat_load_dwordx2 v[13:14], v[13:14]
                                        ; implicit-def: $vgpr15
	s_waitcnt vmcnt(0) lgkmcnt(0)
	v_cmp_ngt_f32_e64 s[10:11], |v13|, |v14|
	s_and_saveexec_b64 s[12:13], s[10:11]
	s_xor_b64 s[10:11], exec, s[12:13]
	s_cbranch_execz .LBB168_48
; %bb.47:
	v_div_scale_f32 v15, s[12:13], -v14, -v14, v13
	v_div_scale_f32 v16, vcc, v13, -v14, v13
	v_rcp_f32_e32 v20, v15
	v_fma_f32 v21, -v15, v20, 1.0
	v_fmac_f32_e32 v20, v21, v20
	v_mul_f32_e32 v21, v16, v20
	v_fma_f32 v22, -v15, v21, v16
	v_fmac_f32_e32 v21, v22, v20
	v_fma_f32 v15, -v15, v21, v16
	v_div_fmas_f32 v15, v15, v20, v21
	v_div_fixup_f32 v15, v15, -v14, v13
	v_fma_f32 v13, v13, v15, -v14
	v_div_scale_f32 v14, s[12:13], v13, v13, 1.0
	v_div_scale_f32 v16, vcc, 1.0, v13, 1.0
	v_rcp_f32_e32 v20, v14
	v_fma_f32 v21, -v14, v20, 1.0
	v_fmac_f32_e32 v20, v21, v20
	v_mul_f32_e32 v21, v16, v20
	v_fma_f32 v22, -v14, v21, v16
	v_fmac_f32_e32 v21, v22, v20
	v_fma_f32 v14, -v14, v21, v16
	v_div_fmas_f32 v14, v14, v20, v21
	v_div_fixup_f32 v13, v14, v13, 1.0
	v_mul_f32_e32 v15, v15, v13
	v_xor_b32_e32 v16, 0x80000000, v13
                                        ; implicit-def: $vgpr13_vgpr14
.LBB168_48:
	s_andn2_saveexec_b64 s[10:11], s[10:11]
	s_cbranch_execz .LBB168_50
; %bb.49:
	v_div_scale_f32 v15, s[12:13], v13, v13, -v14
	v_div_scale_f32 v16, vcc, -v14, v13, -v14
	v_rcp_f32_e32 v20, v15
	v_fma_f32 v21, -v15, v20, 1.0
	v_fmac_f32_e32 v20, v21, v20
	v_mul_f32_e32 v21, v16, v20
	v_fma_f32 v22, -v15, v21, v16
	v_fmac_f32_e32 v21, v22, v20
	v_fma_f32 v15, -v15, v21, v16
	v_div_fmas_f32 v15, v15, v20, v21
	v_div_fixup_f32 v16, v15, v13, -v14
	v_fma_f32 v13, -v14, v16, v13
	v_div_scale_f32 v14, s[12:13], v13, v13, 1.0
	v_div_scale_f32 v15, vcc, 1.0, v13, 1.0
	v_rcp_f32_e32 v20, v14
	v_fma_f32 v21, -v14, v20, 1.0
	v_fmac_f32_e32 v20, v21, v20
	v_mul_f32_e32 v21, v15, v20
	v_fma_f32 v22, -v14, v21, v15
	v_fmac_f32_e32 v21, v22, v20
	v_fma_f32 v14, -v14, v21, v15
	v_div_fmas_f32 v14, v14, v20, v21
	v_div_fixup_f32 v15, v14, v13, 1.0
	v_mul_f32_e64 v16, v16, -v15
.LBB168_50:
	s_or_b64 exec, exec, s[10:11]
	v_lshlrev_b32_e32 v13, 3, v19
	ds_write_b64 v13, v[15:16]
.LBB168_51:
	s_or_b64 exec, exec, s[8:9]
                                        ; implicit-def: $vgpr13_vgpr14
                                        ; implicit-def: $vgpr19
.LBB168_52:
	s_andn2_saveexec_b64 s[2:3], s[2:3]
	s_cbranch_execz .LBB168_54
; %bb.53:
	v_lshlrev_b64 v[13:14], 3, v[13:14]
	v_mov_b32_e32 v15, s90
	v_add_co_u32_e32 v13, vcc, s89, v13
	v_addc_co_u32_e32 v14, vcc, v15, v14, vcc
	flat_load_dwordx2 v[13:14], v[13:14]
	v_lshlrev_b32_e32 v15, 3, v19
	s_waitcnt vmcnt(0) lgkmcnt(0)
	v_xor_b32_e32 v13, 0x80000000, v13
	ds_write_b64 v15, v[13:14]
.LBB168_54:
	s_or_b64 exec, exec, s[2:3]
	v_add_u32_e32 v15, 48, v2
	v_mad_u64_u32 v[13:14], s[2:3], s34, v15, v[11:12]
	v_lshl_add_u32 v16, v15, 6, v0
	v_cmp_le_u32_e32 vcc, v0, v15
	v_mad_u64_u32 v[20:21], s[2:3], s35, v15, v[14:15]
	v_add_u32_e32 v14, v15, v17
	v_cndmask_b32_e64 v19, v16, v14, s[0:1]
	v_mov_b32_e32 v14, v20
	s_and_saveexec_b64 s[2:3], vcc
	s_xor_b64 s[2:3], exec, s[2:3]
	s_cbranch_execz .LBB168_66
; %bb.55:
	v_cmp_ne_u32_e32 vcc, v0, v15
	s_and_saveexec_b64 s[8:9], vcc
	s_xor_b64 s[8:9], exec, s[8:9]
	s_cbranch_execz .LBB168_59
; %bb.56:
	v_or_b32_e32 v13, v15, v0
	v_cmp_gt_u32_e32 vcc, 64, v13
	s_and_saveexec_b64 s[10:11], vcc
; %bb.57:
	v_mov_b32_e32 v13, 0
	v_lshlrev_b32_e32 v15, 3, v19
	v_mov_b32_e32 v14, v13
	ds_write_b64 v15, v[13:14]
; %bb.58:
	s_or_b64 exec, exec, s[10:11]
                                        ; implicit-def: $vgpr19
                                        ; implicit-def: $vgpr13_vgpr14
.LBB168_59:
	s_andn2_saveexec_b64 s[8:9], s[8:9]
	s_cbranch_execz .LBB168_65
; %bb.60:
	v_lshlrev_b64 v[13:14], 3, v[13:14]
	v_mov_b32_e32 v15, s90
	v_add_co_u32_e32 v13, vcc, s89, v13
	v_addc_co_u32_e32 v14, vcc, v15, v14, vcc
	flat_load_dwordx2 v[13:14], v[13:14]
                                        ; implicit-def: $vgpr15
	s_waitcnt vmcnt(0) lgkmcnt(0)
	v_cmp_ngt_f32_e64 s[10:11], |v13|, |v14|
	s_and_saveexec_b64 s[12:13], s[10:11]
	s_xor_b64 s[10:11], exec, s[12:13]
	s_cbranch_execz .LBB168_62
; %bb.61:
	v_div_scale_f32 v15, s[12:13], -v14, -v14, v13
	v_div_scale_f32 v16, vcc, v13, -v14, v13
	v_rcp_f32_e32 v20, v15
	v_fma_f32 v21, -v15, v20, 1.0
	v_fmac_f32_e32 v20, v21, v20
	v_mul_f32_e32 v21, v16, v20
	v_fma_f32 v22, -v15, v21, v16
	v_fmac_f32_e32 v21, v22, v20
	v_fma_f32 v15, -v15, v21, v16
	v_div_fmas_f32 v15, v15, v20, v21
	v_div_fixup_f32 v15, v15, -v14, v13
	v_fma_f32 v13, v13, v15, -v14
	v_div_scale_f32 v14, s[12:13], v13, v13, 1.0
	v_div_scale_f32 v16, vcc, 1.0, v13, 1.0
	v_rcp_f32_e32 v20, v14
	v_fma_f32 v21, -v14, v20, 1.0
	v_fmac_f32_e32 v20, v21, v20
	v_mul_f32_e32 v21, v16, v20
	v_fma_f32 v22, -v14, v21, v16
	v_fmac_f32_e32 v21, v22, v20
	v_fma_f32 v14, -v14, v21, v16
	v_div_fmas_f32 v14, v14, v20, v21
	v_div_fixup_f32 v13, v14, v13, 1.0
	v_mul_f32_e32 v15, v15, v13
	v_xor_b32_e32 v16, 0x80000000, v13
                                        ; implicit-def: $vgpr13_vgpr14
.LBB168_62:
	s_andn2_saveexec_b64 s[10:11], s[10:11]
	s_cbranch_execz .LBB168_64
; %bb.63:
	v_div_scale_f32 v15, s[12:13], v13, v13, -v14
	v_div_scale_f32 v16, vcc, -v14, v13, -v14
	v_rcp_f32_e32 v20, v15
	v_fma_f32 v21, -v15, v20, 1.0
	v_fmac_f32_e32 v20, v21, v20
	v_mul_f32_e32 v21, v16, v20
	v_fma_f32 v22, -v15, v21, v16
	v_fmac_f32_e32 v21, v22, v20
	v_fma_f32 v15, -v15, v21, v16
	v_div_fmas_f32 v15, v15, v20, v21
	v_div_fixup_f32 v16, v15, v13, -v14
	v_fma_f32 v13, -v14, v16, v13
	v_div_scale_f32 v14, s[12:13], v13, v13, 1.0
	v_div_scale_f32 v15, vcc, 1.0, v13, 1.0
	v_rcp_f32_e32 v20, v14
	v_fma_f32 v21, -v14, v20, 1.0
	v_fmac_f32_e32 v20, v21, v20
	v_mul_f32_e32 v21, v15, v20
	v_fma_f32 v22, -v14, v21, v15
	v_fmac_f32_e32 v21, v22, v20
	v_fma_f32 v14, -v14, v21, v15
	v_div_fmas_f32 v14, v14, v20, v21
	v_div_fixup_f32 v15, v14, v13, 1.0
	v_mul_f32_e64 v16, v16, -v15
.LBB168_64:
	s_or_b64 exec, exec, s[10:11]
	v_lshlrev_b32_e32 v13, 3, v19
	ds_write_b64 v13, v[15:16]
.LBB168_65:
	s_or_b64 exec, exec, s[8:9]
                                        ; implicit-def: $vgpr13_vgpr14
                                        ; implicit-def: $vgpr19
.LBB168_66:
	s_andn2_saveexec_b64 s[2:3], s[2:3]
	s_cbranch_execz .LBB168_68
; %bb.67:
	v_lshlrev_b64 v[13:14], 3, v[13:14]
	v_mov_b32_e32 v15, s90
	v_add_co_u32_e32 v13, vcc, s89, v13
	v_addc_co_u32_e32 v14, vcc, v15, v14, vcc
	flat_load_dwordx2 v[13:14], v[13:14]
	v_lshlrev_b32_e32 v15, 3, v19
	s_waitcnt vmcnt(0) lgkmcnt(0)
	v_xor_b32_e32 v13, 0x80000000, v13
	ds_write_b64 v15, v[13:14]
.LBB168_68:
	s_or_b64 exec, exec, s[2:3]
	s_mov_b64 s[12:13], 0
.LBB168_69:
	s_xor_b64 s[10:11], s[0:1], -1
	s_and_b64 vcc, exec, s[12:13]
	s_cbranch_vccz .LBB168_127
; %bb.70:
	v_mad_u64_u32 v[13:14], s[2:3], s34, v2, v[11:12]
	v_cmp_le_u32_e32 vcc, v0, v2
	v_cmp_gt_i32_e64 s[2:3], s88, v0
	v_mad_u64_u32 v[14:15], s[8:9], s35, v2, v[14:15]
	v_max_i32_e32 v15, v2, v0
	v_cmp_le_i32_e64 s[8:9], s88, v15
	s_or_b64 s[8:9], s[8:9], vcc
	s_and_saveexec_b64 s[12:13], s[8:9]
	s_xor_b64 s[8:9], exec, s[12:13]
	s_cbranch_execz .LBB168_82
; %bb.71:
	v_cmp_ne_u32_e32 vcc, v0, v2
	s_xor_b64 s[12:13], s[2:3], -1
	s_or_b64 s[12:13], s[12:13], vcc
	s_and_saveexec_b64 s[14:15], s[12:13]
	s_xor_b64 s[12:13], exec, s[14:15]
	s_cbranch_execz .LBB168_75
; %bb.72:
	v_or_b32_e32 v13, v2, v0
	v_cmp_gt_u32_e32 vcc, 64, v13
	s_and_saveexec_b64 s[14:15], vcc
; %bb.73:
	v_mov_b32_e32 v13, 0
	v_lshlrev_b32_e32 v15, 3, v18
	v_mov_b32_e32 v14, v13
	ds_write_b64 v15, v[13:14]
; %bb.74:
	s_or_b64 exec, exec, s[14:15]
                                        ; implicit-def: $vgpr18
                                        ; implicit-def: $vgpr13_vgpr14
.LBB168_75:
	s_andn2_saveexec_b64 s[12:13], s[12:13]
	s_cbranch_execz .LBB168_81
; %bb.76:
	v_lshlrev_b64 v[13:14], 3, v[13:14]
	v_mov_b32_e32 v15, s90
	v_add_co_u32_e32 v13, vcc, s89, v13
	v_addc_co_u32_e32 v14, vcc, v15, v14, vcc
	flat_load_dwordx2 v[13:14], v[13:14]
                                        ; implicit-def: $vgpr15
	s_waitcnt vmcnt(0) lgkmcnt(0)
	v_cmp_ngt_f32_e64 s[14:15], |v13|, |v14|
	s_and_saveexec_b64 s[16:17], s[14:15]
	s_xor_b64 s[14:15], exec, s[16:17]
	s_cbranch_execz .LBB168_78
; %bb.77:
	v_div_scale_f32 v15, s[16:17], -v14, -v14, v13
	v_div_scale_f32 v16, vcc, v13, -v14, v13
	v_rcp_f32_e32 v19, v15
	v_fma_f32 v20, -v15, v19, 1.0
	v_fmac_f32_e32 v19, v20, v19
	v_mul_f32_e32 v20, v16, v19
	v_fma_f32 v21, -v15, v20, v16
	v_fmac_f32_e32 v20, v21, v19
	v_fma_f32 v15, -v15, v20, v16
	v_div_fmas_f32 v15, v15, v19, v20
	v_div_fixup_f32 v15, v15, -v14, v13
	v_fma_f32 v13, v13, v15, -v14
	v_div_scale_f32 v14, s[16:17], v13, v13, 1.0
	v_div_scale_f32 v16, vcc, 1.0, v13, 1.0
	v_rcp_f32_e32 v19, v14
	v_fma_f32 v20, -v14, v19, 1.0
	v_fmac_f32_e32 v19, v20, v19
	v_mul_f32_e32 v20, v16, v19
	v_fma_f32 v21, -v14, v20, v16
	v_fmac_f32_e32 v20, v21, v19
	v_fma_f32 v14, -v14, v20, v16
	v_div_fmas_f32 v14, v14, v19, v20
	v_div_fixup_f32 v13, v14, v13, 1.0
	v_mul_f32_e32 v15, v15, v13
	v_xor_b32_e32 v16, 0x80000000, v13
                                        ; implicit-def: $vgpr13_vgpr14
.LBB168_78:
	s_andn2_saveexec_b64 s[14:15], s[14:15]
	s_cbranch_execz .LBB168_80
; %bb.79:
	v_div_scale_f32 v15, s[16:17], v13, v13, -v14
	v_div_scale_f32 v16, vcc, -v14, v13, -v14
	v_rcp_f32_e32 v19, v15
	v_fma_f32 v20, -v15, v19, 1.0
	v_fmac_f32_e32 v19, v20, v19
	v_mul_f32_e32 v20, v16, v19
	v_fma_f32 v21, -v15, v20, v16
	v_fmac_f32_e32 v20, v21, v19
	v_fma_f32 v15, -v15, v20, v16
	v_div_fmas_f32 v15, v15, v19, v20
	v_div_fixup_f32 v16, v15, v13, -v14
	v_fma_f32 v13, -v14, v16, v13
	v_div_scale_f32 v14, s[16:17], v13, v13, 1.0
	v_div_scale_f32 v15, vcc, 1.0, v13, 1.0
	v_rcp_f32_e32 v19, v14
	v_fma_f32 v20, -v14, v19, 1.0
	v_fmac_f32_e32 v19, v20, v19
	v_mul_f32_e32 v20, v15, v19
	v_fma_f32 v21, -v14, v20, v15
	v_fmac_f32_e32 v20, v21, v19
	v_fma_f32 v14, -v14, v20, v15
	v_div_fmas_f32 v14, v14, v19, v20
	v_div_fixup_f32 v15, v14, v13, 1.0
	v_mul_f32_e64 v16, v16, -v15
.LBB168_80:
	s_or_b64 exec, exec, s[14:15]
	v_lshlrev_b32_e32 v13, 3, v18
	ds_write_b64 v13, v[15:16]
.LBB168_81:
	s_or_b64 exec, exec, s[12:13]
                                        ; implicit-def: $vgpr13_vgpr14
                                        ; implicit-def: $vgpr18
.LBB168_82:
	s_andn2_saveexec_b64 s[8:9], s[8:9]
	s_cbranch_execz .LBB168_84
; %bb.83:
	v_lshlrev_b64 v[13:14], 3, v[13:14]
	v_mov_b32_e32 v15, s90
	v_add_co_u32_e32 v13, vcc, s89, v13
	v_addc_co_u32_e32 v14, vcc, v15, v14, vcc
	flat_load_dwordx2 v[13:14], v[13:14]
	v_lshlrev_b32_e32 v15, 3, v18
	s_waitcnt vmcnt(0) lgkmcnt(0)
	v_xor_b32_e32 v13, 0x80000000, v13
	ds_write_b64 v15, v[13:14]
.LBB168_84:
	s_or_b64 exec, exec, s[8:9]
	v_add_u32_e32 v15, 16, v2
	v_mad_u64_u32 v[13:14], s[8:9], s34, v15, v[11:12]
	v_cmp_gt_u32_e32 vcc, v0, v15
	v_add_u32_e32 v16, v15, v17
	v_mad_u64_u32 v[19:20], s[8:9], s35, v15, v[14:15]
	v_cmp_gt_i32_e64 s[8:9], s88, v15
	s_and_b64 s[8:9], vcc, s[8:9]
	v_lshl_add_u32 v14, v15, 6, v0
	s_and_b64 s[8:9], s[2:3], s[8:9]
	v_cndmask_b32_e64 v18, v14, v16, s[0:1]
	v_mov_b32_e32 v14, v19
	s_xor_b64 s[8:9], s[8:9], -1
	s_and_saveexec_b64 s[12:13], s[8:9]
	s_xor_b64 s[8:9], exec, s[12:13]
	s_cbranch_execz .LBB168_96
; %bb.85:
	v_cmp_ne_u32_e32 vcc, v0, v15
	s_xor_b64 s[12:13], s[2:3], -1
	s_or_b64 s[12:13], s[12:13], vcc
	s_and_saveexec_b64 s[14:15], s[12:13]
	s_xor_b64 s[12:13], exec, s[14:15]
	s_cbranch_execz .LBB168_89
; %bb.86:
	v_or_b32_e32 v13, v15, v0
	v_cmp_gt_u32_e32 vcc, 64, v13
	s_and_saveexec_b64 s[14:15], vcc
; %bb.87:
	v_mov_b32_e32 v13, 0
	v_lshlrev_b32_e32 v15, 3, v18
	v_mov_b32_e32 v14, v13
	ds_write_b64 v15, v[13:14]
; %bb.88:
	s_or_b64 exec, exec, s[14:15]
                                        ; implicit-def: $vgpr18
                                        ; implicit-def: $vgpr13_vgpr14
.LBB168_89:
	s_andn2_saveexec_b64 s[12:13], s[12:13]
	s_cbranch_execz .LBB168_95
; %bb.90:
	v_lshlrev_b64 v[13:14], 3, v[13:14]
	v_mov_b32_e32 v15, s90
	v_add_co_u32_e32 v13, vcc, s89, v13
	v_addc_co_u32_e32 v14, vcc, v15, v14, vcc
	flat_load_dwordx2 v[13:14], v[13:14]
                                        ; implicit-def: $vgpr15
	s_waitcnt vmcnt(0) lgkmcnt(0)
	v_cmp_ngt_f32_e64 s[14:15], |v13|, |v14|
	s_and_saveexec_b64 s[16:17], s[14:15]
	s_xor_b64 s[14:15], exec, s[16:17]
	s_cbranch_execz .LBB168_92
; %bb.91:
	v_div_scale_f32 v15, s[16:17], -v14, -v14, v13
	v_div_scale_f32 v16, vcc, v13, -v14, v13
	v_rcp_f32_e32 v19, v15
	v_fma_f32 v20, -v15, v19, 1.0
	v_fmac_f32_e32 v19, v20, v19
	v_mul_f32_e32 v20, v16, v19
	v_fma_f32 v21, -v15, v20, v16
	v_fmac_f32_e32 v20, v21, v19
	v_fma_f32 v15, -v15, v20, v16
	v_div_fmas_f32 v15, v15, v19, v20
	v_div_fixup_f32 v15, v15, -v14, v13
	v_fma_f32 v13, v13, v15, -v14
	v_div_scale_f32 v14, s[16:17], v13, v13, 1.0
	v_div_scale_f32 v16, vcc, 1.0, v13, 1.0
	v_rcp_f32_e32 v19, v14
	v_fma_f32 v20, -v14, v19, 1.0
	v_fmac_f32_e32 v19, v20, v19
	v_mul_f32_e32 v20, v16, v19
	v_fma_f32 v21, -v14, v20, v16
	v_fmac_f32_e32 v20, v21, v19
	v_fma_f32 v14, -v14, v20, v16
	v_div_fmas_f32 v14, v14, v19, v20
	v_div_fixup_f32 v13, v14, v13, 1.0
	v_mul_f32_e32 v15, v15, v13
	v_xor_b32_e32 v16, 0x80000000, v13
                                        ; implicit-def: $vgpr13_vgpr14
.LBB168_92:
	s_andn2_saveexec_b64 s[14:15], s[14:15]
	s_cbranch_execz .LBB168_94
; %bb.93:
	v_div_scale_f32 v15, s[16:17], v13, v13, -v14
	v_div_scale_f32 v16, vcc, -v14, v13, -v14
	v_rcp_f32_e32 v19, v15
	v_fma_f32 v20, -v15, v19, 1.0
	v_fmac_f32_e32 v19, v20, v19
	v_mul_f32_e32 v20, v16, v19
	v_fma_f32 v21, -v15, v20, v16
	v_fmac_f32_e32 v20, v21, v19
	v_fma_f32 v15, -v15, v20, v16
	v_div_fmas_f32 v15, v15, v19, v20
	v_div_fixup_f32 v16, v15, v13, -v14
	v_fma_f32 v13, -v14, v16, v13
	v_div_scale_f32 v14, s[16:17], v13, v13, 1.0
	v_div_scale_f32 v15, vcc, 1.0, v13, 1.0
	v_rcp_f32_e32 v19, v14
	v_fma_f32 v20, -v14, v19, 1.0
	v_fmac_f32_e32 v19, v20, v19
	v_mul_f32_e32 v20, v15, v19
	v_fma_f32 v21, -v14, v20, v15
	v_fmac_f32_e32 v20, v21, v19
	v_fma_f32 v14, -v14, v20, v15
	v_div_fmas_f32 v14, v14, v19, v20
	v_div_fixup_f32 v15, v14, v13, 1.0
	v_mul_f32_e64 v16, v16, -v15
.LBB168_94:
	s_or_b64 exec, exec, s[14:15]
	v_lshlrev_b32_e32 v13, 3, v18
	ds_write_b64 v13, v[15:16]
.LBB168_95:
	s_or_b64 exec, exec, s[12:13]
                                        ; implicit-def: $vgpr13_vgpr14
                                        ; implicit-def: $vgpr18
.LBB168_96:
	s_andn2_saveexec_b64 s[8:9], s[8:9]
	s_cbranch_execz .LBB168_98
; %bb.97:
	v_lshlrev_b64 v[13:14], 3, v[13:14]
	v_mov_b32_e32 v15, s90
	v_add_co_u32_e32 v13, vcc, s89, v13
	v_addc_co_u32_e32 v14, vcc, v15, v14, vcc
	flat_load_dwordx2 v[13:14], v[13:14]
	v_lshlrev_b32_e32 v15, 3, v18
	s_waitcnt vmcnt(0) lgkmcnt(0)
	v_xor_b32_e32 v13, 0x80000000, v13
	ds_write_b64 v15, v[13:14]
.LBB168_98:
	s_or_b64 exec, exec, s[8:9]
	v_add_u32_e32 v15, 32, v2
	v_mad_u64_u32 v[13:14], s[8:9], s34, v15, v[11:12]
	v_cmp_gt_u32_e32 vcc, v0, v15
	v_add_u32_e32 v16, v15, v17
	v_mad_u64_u32 v[19:20], s[8:9], s35, v15, v[14:15]
	v_cmp_gt_i32_e64 s[8:9], s88, v15
	s_and_b64 s[8:9], vcc, s[8:9]
	v_lshl_add_u32 v14, v15, 6, v0
	s_and_b64 s[8:9], s[2:3], s[8:9]
	v_cndmask_b32_e64 v18, v14, v16, s[0:1]
	v_mov_b32_e32 v14, v19
	s_xor_b64 s[8:9], s[8:9], -1
	s_and_saveexec_b64 s[12:13], s[8:9]
	s_xor_b64 s[8:9], exec, s[12:13]
	s_cbranch_execz .LBB168_110
; %bb.99:
	v_cmp_ne_u32_e32 vcc, v0, v15
	s_xor_b64 s[12:13], s[2:3], -1
	s_or_b64 s[12:13], s[12:13], vcc
	s_and_saveexec_b64 s[14:15], s[12:13]
	s_xor_b64 s[12:13], exec, s[14:15]
	s_cbranch_execz .LBB168_103
; %bb.100:
	v_or_b32_e32 v13, v15, v0
	v_cmp_gt_u32_e32 vcc, 64, v13
	s_and_saveexec_b64 s[14:15], vcc
; %bb.101:
	v_mov_b32_e32 v13, 0
	v_lshlrev_b32_e32 v15, 3, v18
	v_mov_b32_e32 v14, v13
	ds_write_b64 v15, v[13:14]
; %bb.102:
	s_or_b64 exec, exec, s[14:15]
                                        ; implicit-def: $vgpr18
                                        ; implicit-def: $vgpr13_vgpr14
.LBB168_103:
	s_andn2_saveexec_b64 s[12:13], s[12:13]
	s_cbranch_execz .LBB168_109
; %bb.104:
	v_lshlrev_b64 v[13:14], 3, v[13:14]
	v_mov_b32_e32 v15, s90
	v_add_co_u32_e32 v13, vcc, s89, v13
	v_addc_co_u32_e32 v14, vcc, v15, v14, vcc
	flat_load_dwordx2 v[13:14], v[13:14]
                                        ; implicit-def: $vgpr15
	s_waitcnt vmcnt(0) lgkmcnt(0)
	v_cmp_ngt_f32_e64 s[14:15], |v13|, |v14|
	s_and_saveexec_b64 s[16:17], s[14:15]
	s_xor_b64 s[14:15], exec, s[16:17]
	s_cbranch_execz .LBB168_106
; %bb.105:
	v_div_scale_f32 v15, s[16:17], -v14, -v14, v13
	v_div_scale_f32 v16, vcc, v13, -v14, v13
	v_rcp_f32_e32 v19, v15
	v_fma_f32 v20, -v15, v19, 1.0
	v_fmac_f32_e32 v19, v20, v19
	v_mul_f32_e32 v20, v16, v19
	v_fma_f32 v21, -v15, v20, v16
	v_fmac_f32_e32 v20, v21, v19
	v_fma_f32 v15, -v15, v20, v16
	v_div_fmas_f32 v15, v15, v19, v20
	v_div_fixup_f32 v15, v15, -v14, v13
	v_fma_f32 v13, v13, v15, -v14
	v_div_scale_f32 v14, s[16:17], v13, v13, 1.0
	v_div_scale_f32 v16, vcc, 1.0, v13, 1.0
	v_rcp_f32_e32 v19, v14
	v_fma_f32 v20, -v14, v19, 1.0
	v_fmac_f32_e32 v19, v20, v19
	v_mul_f32_e32 v20, v16, v19
	v_fma_f32 v21, -v14, v20, v16
	v_fmac_f32_e32 v20, v21, v19
	v_fma_f32 v14, -v14, v20, v16
	v_div_fmas_f32 v14, v14, v19, v20
	v_div_fixup_f32 v13, v14, v13, 1.0
	v_mul_f32_e32 v15, v15, v13
	v_xor_b32_e32 v16, 0x80000000, v13
                                        ; implicit-def: $vgpr13_vgpr14
.LBB168_106:
	s_andn2_saveexec_b64 s[14:15], s[14:15]
	s_cbranch_execz .LBB168_108
; %bb.107:
	v_div_scale_f32 v15, s[16:17], v13, v13, -v14
	v_div_scale_f32 v16, vcc, -v14, v13, -v14
	v_rcp_f32_e32 v19, v15
	v_fma_f32 v20, -v15, v19, 1.0
	v_fmac_f32_e32 v19, v20, v19
	v_mul_f32_e32 v20, v16, v19
	v_fma_f32 v21, -v15, v20, v16
	v_fmac_f32_e32 v20, v21, v19
	v_fma_f32 v15, -v15, v20, v16
	v_div_fmas_f32 v15, v15, v19, v20
	v_div_fixup_f32 v16, v15, v13, -v14
	v_fma_f32 v13, -v14, v16, v13
	v_div_scale_f32 v14, s[16:17], v13, v13, 1.0
	v_div_scale_f32 v15, vcc, 1.0, v13, 1.0
	v_rcp_f32_e32 v19, v14
	v_fma_f32 v20, -v14, v19, 1.0
	v_fmac_f32_e32 v19, v20, v19
	v_mul_f32_e32 v20, v15, v19
	v_fma_f32 v21, -v14, v20, v15
	v_fmac_f32_e32 v20, v21, v19
	v_fma_f32 v14, -v14, v20, v15
	v_div_fmas_f32 v14, v14, v19, v20
	v_div_fixup_f32 v15, v14, v13, 1.0
	v_mul_f32_e64 v16, v16, -v15
.LBB168_108:
	s_or_b64 exec, exec, s[14:15]
	v_lshlrev_b32_e32 v13, 3, v18
	ds_write_b64 v13, v[15:16]
.LBB168_109:
	s_or_b64 exec, exec, s[12:13]
                                        ; implicit-def: $vgpr13_vgpr14
                                        ; implicit-def: $vgpr18
.LBB168_110:
	s_andn2_saveexec_b64 s[8:9], s[8:9]
	s_cbranch_execz .LBB168_112
; %bb.111:
	v_lshlrev_b64 v[13:14], 3, v[13:14]
	v_mov_b32_e32 v15, s90
	v_add_co_u32_e32 v13, vcc, s89, v13
	v_addc_co_u32_e32 v14, vcc, v15, v14, vcc
	flat_load_dwordx2 v[13:14], v[13:14]
	v_lshlrev_b32_e32 v15, 3, v18
	s_waitcnt vmcnt(0) lgkmcnt(0)
	v_xor_b32_e32 v13, 0x80000000, v13
	ds_write_b64 v15, v[13:14]
.LBB168_112:
	s_or_b64 exec, exec, s[8:9]
	v_add_u32_e32 v13, 48, v2
	v_mad_u64_u32 v[11:12], s[8:9], s34, v13, v[11:12]
	v_add_u32_e32 v16, v13, v17
	v_cmp_gt_u32_e32 vcc, v0, v13
	v_mad_u64_u32 v[14:15], s[8:9], s35, v13, v[12:13]
	v_lshl_add_u32 v12, v13, 6, v0
	v_cndmask_b32_e64 v15, v12, v16, s[0:1]
	v_cmp_gt_i32_e64 s[0:1], s88, v13
	s_and_b64 s[0:1], vcc, s[0:1]
	s_and_b64 s[0:1], s[2:3], s[0:1]
	v_mov_b32_e32 v12, v14
	s_xor_b64 s[0:1], s[0:1], -1
	s_and_saveexec_b64 s[8:9], s[0:1]
	s_xor_b64 s[0:1], exec, s[8:9]
	s_cbranch_execz .LBB168_124
; %bb.113:
	v_cmp_ne_u32_e32 vcc, v0, v13
	s_xor_b64 s[2:3], s[2:3], -1
	s_or_b64 s[2:3], s[2:3], vcc
	s_and_saveexec_b64 s[8:9], s[2:3]
	s_xor_b64 s[2:3], exec, s[8:9]
	s_cbranch_execz .LBB168_117
; %bb.114:
	v_or_b32_e32 v11, v13, v0
	v_cmp_gt_u32_e32 vcc, 64, v11
	s_and_saveexec_b64 s[8:9], vcc
; %bb.115:
	v_mov_b32_e32 v11, 0
	v_lshlrev_b32_e32 v13, 3, v15
	v_mov_b32_e32 v12, v11
	ds_write_b64 v13, v[11:12]
; %bb.116:
	s_or_b64 exec, exec, s[8:9]
                                        ; implicit-def: $vgpr15
                                        ; implicit-def: $vgpr11_vgpr12
.LBB168_117:
	s_andn2_saveexec_b64 s[2:3], s[2:3]
	s_cbranch_execz .LBB168_123
; %bb.118:
	v_lshlrev_b64 v[11:12], 3, v[11:12]
	v_mov_b32_e32 v13, s90
	v_add_co_u32_e32 v11, vcc, s89, v11
	v_addc_co_u32_e32 v12, vcc, v13, v12, vcc
	flat_load_dwordx2 v[11:12], v[11:12]
                                        ; implicit-def: $vgpr13
	s_waitcnt vmcnt(0) lgkmcnt(0)
	v_cmp_ngt_f32_e64 s[8:9], |v11|, |v12|
	s_and_saveexec_b64 s[12:13], s[8:9]
	s_xor_b64 s[8:9], exec, s[12:13]
	s_cbranch_execz .LBB168_120
; %bb.119:
	v_div_scale_f32 v13, s[12:13], -v12, -v12, v11
	v_div_scale_f32 v14, vcc, v11, -v12, v11
	v_rcp_f32_e32 v16, v13
	v_fma_f32 v17, -v13, v16, 1.0
	v_fmac_f32_e32 v16, v17, v16
	v_mul_f32_e32 v17, v14, v16
	v_fma_f32 v18, -v13, v17, v14
	v_fmac_f32_e32 v17, v18, v16
	v_fma_f32 v13, -v13, v17, v14
	v_div_fmas_f32 v13, v13, v16, v17
	v_div_fixup_f32 v13, v13, -v12, v11
	v_fma_f32 v11, v11, v13, -v12
	v_div_scale_f32 v12, s[12:13], v11, v11, 1.0
	v_div_scale_f32 v14, vcc, 1.0, v11, 1.0
	v_rcp_f32_e32 v16, v12
	v_fma_f32 v17, -v12, v16, 1.0
	v_fmac_f32_e32 v16, v17, v16
	v_mul_f32_e32 v17, v14, v16
	v_fma_f32 v18, -v12, v17, v14
	v_fmac_f32_e32 v17, v18, v16
	v_fma_f32 v12, -v12, v17, v14
	v_div_fmas_f32 v12, v12, v16, v17
	v_div_fixup_f32 v11, v12, v11, 1.0
	v_mul_f32_e32 v13, v13, v11
	v_xor_b32_e32 v14, 0x80000000, v11
                                        ; implicit-def: $vgpr11_vgpr12
.LBB168_120:
	s_andn2_saveexec_b64 s[8:9], s[8:9]
	s_cbranch_execz .LBB168_122
; %bb.121:
	v_div_scale_f32 v13, s[12:13], v11, v11, -v12
	v_div_scale_f32 v14, vcc, -v12, v11, -v12
	v_rcp_f32_e32 v16, v13
	v_fma_f32 v17, -v13, v16, 1.0
	v_fmac_f32_e32 v16, v17, v16
	v_mul_f32_e32 v17, v14, v16
	v_fma_f32 v18, -v13, v17, v14
	v_fmac_f32_e32 v17, v18, v16
	v_fma_f32 v13, -v13, v17, v14
	v_div_fmas_f32 v13, v13, v16, v17
	v_div_fixup_f32 v14, v13, v11, -v12
	v_fma_f32 v11, -v12, v14, v11
	v_div_scale_f32 v12, s[12:13], v11, v11, 1.0
	v_div_scale_f32 v13, vcc, 1.0, v11, 1.0
	v_rcp_f32_e32 v16, v12
	v_fma_f32 v17, -v12, v16, 1.0
	v_fmac_f32_e32 v16, v17, v16
	v_mul_f32_e32 v17, v13, v16
	v_fma_f32 v18, -v12, v17, v13
	v_fmac_f32_e32 v17, v18, v16
	v_fma_f32 v12, -v12, v17, v13
	v_div_fmas_f32 v12, v12, v16, v17
	v_div_fixup_f32 v13, v12, v11, 1.0
	v_mul_f32_e64 v14, v14, -v13
.LBB168_122:
	s_or_b64 exec, exec, s[8:9]
	v_lshlrev_b32_e32 v11, 3, v15
	ds_write_b64 v11, v[13:14]
.LBB168_123:
	s_or_b64 exec, exec, s[2:3]
                                        ; implicit-def: $vgpr11_vgpr12
                                        ; implicit-def: $vgpr15
.LBB168_124:
	s_andn2_saveexec_b64 s[0:1], s[0:1]
	s_cbranch_execz .LBB168_126
; %bb.125:
	v_lshlrev_b64 v[11:12], 3, v[11:12]
	v_mov_b32_e32 v13, s90
	v_add_co_u32_e32 v11, vcc, s89, v11
	v_addc_co_u32_e32 v12, vcc, v13, v12, vcc
	flat_load_dwordx2 v[11:12], v[11:12]
	v_lshlrev_b32_e32 v13, 3, v15
	s_waitcnt vmcnt(0) lgkmcnt(0)
	v_xor_b32_e32 v11, 0x80000000, v11
	ds_write_b64 v13, v[11:12]
.LBB168_126:
	s_or_b64 exec, exec, s[0:1]
.LBB168_127:
	v_cndmask_b32_e64 v11, 0, 1, s[10:11]
	v_cmp_ne_u32_e64 s[46:47], 1, v11
	s_andn2_b64 vcc, exec, s[10:11]
	s_waitcnt vmcnt(0) lgkmcnt(0)
	s_barrier
	s_cbranch_vccnz .LBB168_1049
; %bb.128:
	v_or_b32_e32 v11, v0, v2
	v_cmp_eq_u32_e32 vcc, 0, v11
	s_and_saveexec_b64 s[0:1], vcc
	s_cbranch_execz .LBB168_130
; %bb.129:
	v_mov_b32_e32 v17, 0
	ds_read_b128 v[11:14], v17
	ds_read_b64 v[15:16], v17 offset:520
	s_waitcnt lgkmcnt(0)
	v_mul_f32_e32 v18, v16, v12
	v_mul_f32_e32 v19, v15, v12
	v_fma_f32 v15, v15, v11, -v18
	v_fmac_f32_e32 v19, v16, v11
	v_mul_f32_e32 v11, v19, v14
	v_mul_f32_e32 v12, v15, v14
	v_fma_f32 v11, v15, v13, -v11
	v_fmac_f32_e32 v12, v19, v13
	ds_write2_b64 v17, v[11:12], v[11:12] offset0:1 offset1:64
.LBB168_130:
	s_or_b64 exec, exec, s[0:1]
	v_and_b32_e32 v16, 1, v0
	v_lshrrev_b32_e32 v13, 1, v1
	v_lshlrev_b32_e32 v11, 3, v16
	v_cmp_lt_u32_e64 s[8:9], 3, v1
	v_cmp_gt_u32_e64 s[2:3], 4, v1
	v_lshl_or_b32 v11, v13, 9, v11
	v_mov_b32_e32 v14, 0
	v_mov_b32_e32 v15, 0
	s_waitcnt lgkmcnt(0)
	s_barrier
	s_and_saveexec_b64 s[0:1], s[2:3]
	s_cbranch_execz .LBB168_134
; %bb.131:
	v_mul_u32_u24_e32 v12, 0x208, v13
	ds_read_b64 v[14:15], v11 offset:16
	ds_read_b64 v[17:18], v12
	v_cmp_gt_u32_e64 s[10:11], 2, v1
	s_waitcnt lgkmcnt(0)
	v_mul_f32_e32 v12, v18, v15
	v_mul_f32_e32 v15, v17, v15
	v_fma_f32 v12, v17, v14, -v12
	v_fmac_f32_e32 v15, v18, v14
	v_add_f32_e32 v12, 0, v12
	v_add_f32_e32 v14, 0, v15
	s_and_saveexec_b64 s[12:13], s[10:11]
	s_cbranch_execz .LBB168_133
; %bb.132:
	v_lshlrev_b32_e32 v15, 3, v0
	v_mov_b32_e32 v19, 0
	ds_read_b64 v[17:18], v15 offset:528
	ds_read_b64 v[19:20], v19 offset:8
	s_waitcnt lgkmcnt(0)
	v_mul_f32_e32 v15, v20, v18
	v_mul_f32_e32 v18, v19, v18
	v_fma_f32 v15, v19, v17, -v15
	v_fmac_f32_e32 v18, v20, v17
	v_add_f32_e32 v12, v12, v15
	v_add_f32_e32 v14, v14, v18
.LBB168_133:
	s_or_b64 exec, exec, s[12:13]
	v_xor_b32_e32 v15, 0x80000000, v12
	v_xor_b32_e32 v14, 0x80000000, v14
.LBB168_134:
                                        ; implicit-def: $vgpr42 : SGPR spill to VGPR lane
	v_writelane_b32 v42, s40, 0
	s_or_b64 exec, exec, s[0:1]
	v_mov_b32_e32 v12, 0x8000
	v_cmp_eq_u32_e64 s[10:11], 0, v16
	s_xor_b64 s[0:1], s[8:9], -1
	v_lshl_add_u32 v12, v13, 3, v12
	s_and_b64 s[40:41], s[10:11], s[0:1]
	s_and_saveexec_b64 s[8:9], s[40:41]
	s_cbranch_execz .LBB168_136
; %bb.135:
	v_mov_b32_e32 v17, 0
	ds_read_b64 v[17:18], v17 offset:1040
	s_waitcnt lgkmcnt(0)
	v_mul_f32_e32 v20, v14, v18
	v_mul_f32_e32 v19, v15, v18
	v_fma_f32 v18, v15, v17, -v20
	v_fmac_f32_e32 v19, v14, v17
	v_mov_b32_e32 v15, v18
	v_mov_b32_e32 v14, v19
	ds_write_b64 v12, v[18:19]
.LBB168_136:
	s_or_b64 exec, exec, s[8:9]
	v_cmp_ne_u32_e64 s[8:9], 0, v16
	s_and_b64 s[38:39], s[8:9], s[0:1]
	s_waitcnt lgkmcnt(0)
	s_barrier
	s_and_saveexec_b64 s[0:1], s[38:39]
	s_cbranch_execz .LBB168_138
; %bb.137:
	v_mov_b32_e32 v16, 0
	ds_read_b64 v[16:17], v16 offset:1048
	ds_read_b64 v[18:19], v12
	s_waitcnt lgkmcnt(0)
	v_mul_f32_e32 v20, v19, v17
	v_mul_f32_e32 v17, v18, v17
	v_fma_f32 v18, v18, v16, -v20
	v_fmac_f32_e32 v17, v19, v16
	v_add_f32_e32 v15, v15, v18
	v_add_f32_e32 v14, v14, v17
.LBB168_138:
	s_or_b64 exec, exec, s[0:1]
	s_barrier
	s_and_saveexec_b64 s[0:1], s[38:39]
	s_cbranch_execz .LBB168_140
; %bb.139:
	v_mov_b32_e32 v16, 0
	ds_read_b64 v[16:17], v16 offset:1560
	s_waitcnt lgkmcnt(0)
	v_mul_f32_e32 v19, v14, v17
	v_mul_f32_e32 v18, v15, v17
	v_fma_f32 v17, v15, v16, -v19
	v_fmac_f32_e32 v18, v14, v16
	v_mov_b32_e32 v15, v17
	v_mov_b32_e32 v14, v18
	ds_write_b64 v12, v[17:18]
.LBB168_140:
	s_or_b64 exec, exec, s[0:1]
	s_waitcnt lgkmcnt(0)
	s_barrier
	s_barrier
	s_and_saveexec_b64 s[0:1], s[2:3]
; %bb.141:
	v_xor_b32_e32 v16, 0x80000000, v14
	v_xor_b32_e32 v15, 0x80000000, v15
	ds_write_b64 v11, v[15:16] offset:16
; %bb.142:
	s_or_b64 exec, exec, s[0:1]
	v_cmp_eq_u32_e64 s[12:13], 0, v2
	v_cmp_gt_u32_e64 s[8:9], 2, v0
	s_and_b64 s[42:43], s[12:13], s[8:9]
	s_waitcnt lgkmcnt(0)
	s_barrier
	s_barrier
	s_and_saveexec_b64 s[0:1], s[42:43]
	s_cbranch_execz .LBB168_144
; %bb.143:
	v_lshlrev_b32_e32 v16, 3, v0
	s_movk_i32 s8, 0x1f8
	v_mad_u32_u24 v17, v0, s8, v16
	ds_read_b64 v[14:15], v17 offset:16
	s_waitcnt lgkmcnt(0)
	ds_write_b64 v16, v[14:15] offset:1024
	ds_read_b64 v[14:15], v17 offset:24
	s_waitcnt lgkmcnt(0)
	ds_write_b64 v16, v[14:15] offset:1536
.LBB168_144:
	s_or_b64 exec, exec, s[0:1]
	s_waitcnt lgkmcnt(0)
	s_barrier
	s_and_saveexec_b64 s[0:1], vcc
	s_cbranch_execz .LBB168_146
; %bb.145:
	v_mov_b32_e32 v20, 0
	ds_read_b128 v[14:17], v20 offset:1040
	ds_read_b64 v[18:19], v20 offset:1560
	s_waitcnt lgkmcnt(0)
	v_mul_f32_e32 v21, v19, v15
	v_mul_f32_e32 v22, v18, v15
	v_fma_f32 v18, v18, v14, -v21
	v_fmac_f32_e32 v22, v19, v14
	v_mul_f32_e32 v14, v22, v17
	v_mul_f32_e32 v15, v18, v17
	v_fma_f32 v14, v18, v16, -v14
	v_fmac_f32_e32 v15, v22, v16
	ds_write2_b64 v20, v[14:15], v[14:15] offset0:131 offset1:194
.LBB168_146:
	s_or_b64 exec, exec, s[0:1]
	v_and_b32_e32 v17, 3, v0
	v_lshrrev_b32_e32 v18, 2, v1
	v_lshlrev_b32_e32 v15, 3, v17
	v_cmp_lt_u32_e64 s[8:9], 15, v1
	v_cmp_gt_u32_e64 s[18:19], 16, v1
	v_lshl_or_b32 v14, v18, 9, v15
	v_mov_b32_e32 v19, 0
	v_mov_b32_e32 v20, 0
	s_waitcnt lgkmcnt(0)
	s_barrier
	s_and_saveexec_b64 s[0:1], s[18:19]
	s_cbranch_execz .LBB168_152
; %bb.147:
	v_mul_u32_u24_e32 v20, 0x208, v18
	ds_read_b64 v[21:22], v14 offset:32
	ds_read_b64 v[23:24], v20
	v_cmp_gt_u32_e64 s[10:11], 12, v1
	s_waitcnt lgkmcnt(0)
	v_mul_f32_e32 v16, v24, v22
	v_mul_f32_e32 v19, v23, v22
	v_fma_f32 v16, v23, v21, -v16
	v_fmac_f32_e32 v19, v24, v21
	v_add_f32_e32 v16, 0, v16
	v_add_f32_e32 v19, 0, v19
	s_and_saveexec_b64 s[14:15], s[10:11]
	s_cbranch_execnz .LBB168_1124
; %bb.148:
	s_or_b64 exec, exec, s[14:15]
	v_cmp_gt_u32_e64 s[10:11], 8, v1
	s_and_saveexec_b64 s[14:15], s[10:11]
	s_cbranch_execnz .LBB168_1125
.LBB168_149:
	s_or_b64 exec, exec, s[14:15]
	v_cmp_gt_u32_e64 s[10:11], 4, v1
	s_and_saveexec_b64 s[14:15], s[10:11]
	s_cbranch_execz .LBB168_151
.LBB168_150:
	v_lshlrev_b32_e32 v20, 3, v0
	v_mov_b32_e32 v22, 0
	ds_read_b64 v[20:21], v20 offset:1568
	ds_read_b64 v[22:23], v22 offset:24
	s_waitcnt lgkmcnt(0)
	v_mul_f32_e32 v24, v23, v21
	v_mul_f32_e32 v21, v22, v21
	v_fma_f32 v22, v22, v20, -v24
	v_fmac_f32_e32 v21, v23, v20
	v_add_f32_e32 v16, v16, v22
	v_add_f32_e32 v19, v19, v21
.LBB168_151:
	s_or_b64 exec, exec, s[14:15]
	v_xor_b32_e32 v20, 0x80000000, v16
	v_xor_b32_e32 v19, 0x80000000, v19
.LBB168_152:
	v_writelane_b32 v42, s46, 1
	v_writelane_b32 v42, s47, 2
	;; [unrolled: 1-line block ×4, first 2 shown]
	s_or_b64 exec, exec, s[0:1]
	v_mov_b32_e32 v16, 0x8000
	v_cmp_eq_u32_e64 s[10:11], 0, v17
	s_xor_b64 s[0:1], s[8:9], -1
	v_lshl_add_u32 v16, v18, 3, v16
	s_and_b64 s[46:47], s[10:11], s[0:1]
	s_and_saveexec_b64 s[8:9], s[46:47]
	s_cbranch_execz .LBB168_154
; %bb.153:
	v_mov_b32_e32 v21, 0
	ds_read_b64 v[21:22], v21 offset:2080
	s_waitcnt lgkmcnt(0)
	v_mul_f32_e32 v24, v19, v22
	v_mul_f32_e32 v23, v20, v22
	v_fma_f32 v22, v20, v21, -v24
	v_fmac_f32_e32 v23, v19, v21
	v_mov_b32_e32 v20, v22
	v_mov_b32_e32 v19, v23
	ds_write_b64 v16, v[22:23]
.LBB168_154:
	s_or_b64 exec, exec, s[8:9]
	v_cmp_ne_u32_e64 s[8:9], 0, v17
	s_and_b64 s[48:49], s[8:9], s[0:1]
	s_waitcnt lgkmcnt(0)
	s_barrier
	s_and_saveexec_b64 s[8:9], s[48:49]
	s_cbranch_execz .LBB168_156
; %bb.155:
	ds_read_b64 v[21:22], v15 offset:2080
	ds_read_b64 v[23:24], v16
	s_waitcnt lgkmcnt(0)
	v_mul_f32_e32 v25, v24, v22
	v_mul_f32_e32 v22, v23, v22
	v_fma_f32 v23, v23, v21, -v25
	v_fmac_f32_e32 v22, v24, v21
	v_add_f32_e32 v20, v20, v23
	v_add_f32_e32 v19, v19, v22
.LBB168_156:
	s_or_b64 exec, exec, s[8:9]
	v_cmp_eq_u32_e64 s[8:9], 1, v17
	s_and_b64 s[50:51], s[8:9], s[0:1]
	s_barrier
	s_and_saveexec_b64 s[8:9], s[50:51]
	s_cbranch_execz .LBB168_158
; %bb.157:
	v_mov_b32_e32 v21, 0
	ds_read_b64 v[21:22], v21 offset:2600
	s_waitcnt lgkmcnt(0)
	v_mul_f32_e32 v24, v19, v22
	v_mul_f32_e32 v23, v20, v22
	v_fma_f32 v22, v20, v21, -v24
	v_fmac_f32_e32 v23, v19, v21
	v_mov_b32_e32 v20, v22
	v_mov_b32_e32 v19, v23
	ds_write_b64 v16, v[22:23]
.LBB168_158:
	s_or_b64 exec, exec, s[8:9]
	v_cmp_lt_u32_e64 s[8:9], 1, v17
	s_and_b64 s[52:53], s[8:9], s[0:1]
	s_waitcnt lgkmcnt(0)
	s_barrier
	s_and_saveexec_b64 s[8:9], s[52:53]
	s_cbranch_execz .LBB168_160
; %bb.159:
	ds_read_b64 v[21:22], v15 offset:2592
	ds_read_b64 v[23:24], v16
	s_waitcnt lgkmcnt(0)
	v_mul_f32_e32 v25, v24, v22
	v_mul_f32_e32 v22, v23, v22
	v_fma_f32 v23, v23, v21, -v25
	v_fmac_f32_e32 v22, v24, v21
	v_add_f32_e32 v20, v20, v23
	v_add_f32_e32 v19, v19, v22
.LBB168_160:
	s_or_b64 exec, exec, s[8:9]
	v_cmp_eq_u32_e64 s[8:9], 2, v17
	s_and_b64 s[54:55], s[8:9], s[0:1]
	s_barrier
	s_and_saveexec_b64 s[8:9], s[54:55]
	s_cbranch_execz .LBB168_162
; %bb.161:
	v_mov_b32_e32 v21, 0
	ds_read_b64 v[21:22], v21 offset:3120
	s_waitcnt lgkmcnt(0)
	v_mul_f32_e32 v24, v19, v22
	v_mul_f32_e32 v23, v20, v22
	v_fma_f32 v22, v20, v21, -v24
	v_fmac_f32_e32 v23, v19, v21
	v_mov_b32_e32 v20, v22
	v_mov_b32_e32 v19, v23
	ds_write_b64 v16, v[22:23]
.LBB168_162:
	s_or_b64 exec, exec, s[8:9]
	v_cmp_eq_u32_e64 s[8:9], 3, v17
	s_and_b64 s[44:45], s[8:9], s[0:1]
	s_waitcnt lgkmcnt(0)
	s_barrier
	s_and_saveexec_b64 s[0:1], s[44:45]
	s_cbranch_execz .LBB168_164
; %bb.163:
	v_mov_b32_e32 v21, 0
	ds_read_b64 v[21:22], v21 offset:3128
	ds_read_b64 v[23:24], v16
	s_waitcnt lgkmcnt(0)
	v_mul_f32_e32 v25, v24, v22
	v_mul_f32_e32 v22, v23, v22
	v_fma_f32 v23, v23, v21, -v25
	v_fmac_f32_e32 v22, v24, v21
	v_add_f32_e32 v20, v20, v23
	v_add_f32_e32 v19, v19, v22
.LBB168_164:
	s_or_b64 exec, exec, s[0:1]
	s_barrier
	s_and_saveexec_b64 s[0:1], s[44:45]
	s_cbranch_execz .LBB168_166
; %bb.165:
	v_mov_b32_e32 v21, 0
	ds_read_b64 v[21:22], v21 offset:3640
	s_waitcnt lgkmcnt(0)
	v_mul_f32_e32 v24, v19, v22
	v_mul_f32_e32 v23, v20, v22
	v_fma_f32 v22, v20, v21, -v24
	v_fmac_f32_e32 v23, v19, v21
	v_mov_b32_e32 v20, v22
	v_mov_b32_e32 v19, v23
	ds_write_b64 v16, v[22:23]
.LBB168_166:
	s_or_b64 exec, exec, s[0:1]
	s_waitcnt lgkmcnt(0)
	s_barrier
	s_barrier
	s_and_saveexec_b64 s[0:1], s[18:19]
; %bb.167:
	v_xor_b32_e32 v20, 0x80000000, v20
	v_xor_b32_e32 v21, 0x80000000, v19
	ds_write_b64 v14, v[20:21] offset:32
; %bb.168:
	s_or_b64 exec, exec, s[0:1]
	v_cmp_gt_u32_e64 s[8:9], 4, v0
	s_and_b64 s[56:57], s[12:13], s[8:9]
	s_waitcnt lgkmcnt(0)
	s_barrier
	s_barrier
	s_and_saveexec_b64 s[0:1], s[56:57]
	s_cbranch_execz .LBB168_170
; %bb.169:
	v_lshlrev_b32_e32 v21, 9, v0
	ds_read_b64 v[19:20], v21 offset:32
	s_movk_i32 s8, 0xfe08
	v_mad_i32_i24 v22, v0, s8, v21
	s_waitcnt lgkmcnt(0)
	ds_write_b64 v22, v[19:20] offset:2048
	ds_read_b64 v[19:20], v21 offset:40
	s_waitcnt lgkmcnt(0)
	ds_write_b64 v22, v[19:20] offset:2560
	ds_read_b64 v[19:20], v21 offset:48
	s_waitcnt lgkmcnt(0)
	ds_write_b64 v22, v[19:20] offset:3072
	ds_read_b64 v[19:20], v21 offset:56
	s_waitcnt lgkmcnt(0)
	ds_write_b64 v22, v[19:20] offset:3584
.LBB168_170:
	s_or_b64 exec, exec, s[0:1]
	s_waitcnt lgkmcnt(0)
	s_barrier
	s_and_saveexec_b64 s[0:1], vcc
	s_cbranch_execz .LBB168_172
; %bb.171:
	v_mov_b32_e32 v23, 0
	ds_read_b128 v[19:22], v23 offset:2080
	ds_read_b64 v[23:24], v23 offset:2600
	s_movk_i32 s8, 0x800
	s_waitcnt lgkmcnt(0)
	v_mul_f32_e32 v25, v24, v20
	v_mul_f32_e32 v26, v23, v20
	v_fma_f32 v23, v23, v19, -v25
	v_fmac_f32_e32 v26, v24, v19
	v_mul_f32_e32 v19, v26, v22
	v_mul_f32_e32 v20, v23, v22
	v_fma_f32 v19, v23, v21, -v19
	v_fmac_f32_e32 v20, v26, v21
	v_add_u32_e64 v21, s8, 0
	ds_write2_b64 v21, v[19:20], v[19:20] offset0:5 offset1:68
.LBB168_172:
	s_or_b64 exec, exec, s[0:1]
	v_mov_b32_e32 v19, 0
	v_mov_b32_e32 v20, 0
	s_waitcnt lgkmcnt(0)
	s_barrier
	s_and_saveexec_b64 s[0:1], s[2:3]
	s_cbranch_execz .LBB168_176
; %bb.173:
	v_mul_u32_u24_e32 v21, 0x208, v13
	ds_read_b64 v[19:20], v11 offset:2096
	ds_read_b64 v[21:22], v21 offset:2080
	v_cmp_gt_u32_e64 s[8:9], 2, v1
	s_waitcnt lgkmcnt(0)
	v_mul_f32_e32 v23, v22, v20
	v_mul_f32_e32 v20, v21, v20
	v_fma_f32 v21, v21, v19, -v23
	v_fmac_f32_e32 v20, v22, v19
	v_add_f32_e32 v19, 0, v21
	v_add_f32_e32 v21, 0, v20
	s_and_saveexec_b64 s[10:11], s[8:9]
	s_cbranch_execz .LBB168_175
; %bb.174:
	v_lshlrev_b32_e32 v20, 3, v0
	v_mov_b32_e32 v24, 0
	ds_read_b64 v[22:23], v20 offset:2608
	ds_read_b64 v[24:25], v24 offset:2088
	s_waitcnt lgkmcnt(0)
	v_mul_f32_e32 v20, v25, v23
	v_mul_f32_e32 v23, v24, v23
	v_fma_f32 v20, v24, v22, -v20
	v_fmac_f32_e32 v23, v25, v22
	v_add_f32_e32 v19, v19, v20
	v_add_f32_e32 v21, v21, v23
.LBB168_175:
	s_or_b64 exec, exec, s[10:11]
	v_xor_b32_e32 v20, 0x80000000, v19
	v_xor_b32_e32 v19, 0x80000000, v21
.LBB168_176:
	s_or_b64 exec, exec, s[0:1]
	s_and_saveexec_b64 s[0:1], s[40:41]
	s_cbranch_execz .LBB168_178
; %bb.177:
	v_mov_b32_e32 v21, 0
	ds_read_b64 v[21:22], v21 offset:3120
	s_waitcnt lgkmcnt(0)
	v_mul_f32_e32 v24, v19, v22
	v_mul_f32_e32 v23, v20, v22
	v_fma_f32 v22, v20, v21, -v24
	v_fmac_f32_e32 v23, v19, v21
	v_mov_b32_e32 v20, v22
	v_mov_b32_e32 v19, v23
	ds_write_b64 v12, v[22:23]
.LBB168_178:
	s_or_b64 exec, exec, s[0:1]
	s_waitcnt lgkmcnt(0)
	s_barrier
	s_and_saveexec_b64 s[0:1], s[38:39]
	s_cbranch_execz .LBB168_180
; %bb.179:
	v_mov_b32_e32 v21, 0
	ds_read_b64 v[21:22], v21 offset:3128
	ds_read_b64 v[23:24], v12
	s_waitcnt lgkmcnt(0)
	v_mul_f32_e32 v25, v24, v22
	v_mul_f32_e32 v22, v23, v22
	v_fma_f32 v23, v23, v21, -v25
	v_fmac_f32_e32 v22, v24, v21
	v_add_f32_e32 v20, v20, v23
	v_add_f32_e32 v19, v19, v22
.LBB168_180:
	s_or_b64 exec, exec, s[0:1]
	s_barrier
	s_and_saveexec_b64 s[0:1], s[38:39]
	s_cbranch_execz .LBB168_182
; %bb.181:
	v_mov_b32_e32 v21, 0
	ds_read_b64 v[21:22], v21 offset:3640
	s_waitcnt lgkmcnt(0)
	v_mul_f32_e32 v24, v19, v22
	v_mul_f32_e32 v23, v20, v22
	v_fma_f32 v22, v20, v21, -v24
	v_fmac_f32_e32 v23, v19, v21
	v_mov_b32_e32 v20, v22
	v_mov_b32_e32 v19, v23
	ds_write_b64 v12, v[22:23]
.LBB168_182:
	s_or_b64 exec, exec, s[0:1]
	s_waitcnt lgkmcnt(0)
	s_barrier
	s_barrier
	s_and_saveexec_b64 s[0:1], s[2:3]
; %bb.183:
	v_xor_b32_e32 v21, 0x80000000, v19
	v_xor_b32_e32 v20, 0x80000000, v20
	ds_write_b64 v11, v[20:21] offset:2096
; %bb.184:
	s_or_b64 exec, exec, s[0:1]
	s_waitcnt lgkmcnt(0)
	s_barrier
	s_barrier
	s_and_saveexec_b64 s[0:1], s[42:43]
	s_cbranch_execz .LBB168_186
; %bb.185:
	v_lshlrev_b32_e32 v21, 3, v0
	s_movk_i32 s8, 0x1f8
	v_mad_u32_u24 v22, v0, s8, v21
	ds_read_b64 v[19:20], v22 offset:2096
	s_waitcnt lgkmcnt(0)
	ds_write_b64 v21, v[19:20] offset:3104
	ds_read_b64 v[19:20], v22 offset:2104
	s_waitcnt lgkmcnt(0)
	ds_write_b64 v21, v[19:20] offset:3616
.LBB168_186:
	s_or_b64 exec, exec, s[0:1]
	s_waitcnt lgkmcnt(0)
	s_barrier
	s_and_saveexec_b64 s[0:1], vcc
	s_cbranch_execz .LBB168_188
; %bb.187:
	v_mov_b32_e32 v23, 0
	ds_read_b128 v[19:22], v23 offset:3120
	ds_read_b64 v[23:24], v23 offset:3640
	s_movk_i32 s8, 0x800
	s_waitcnt lgkmcnt(0)
	v_mul_f32_e32 v25, v24, v20
	v_mul_f32_e32 v26, v23, v20
	v_fma_f32 v23, v23, v19, -v25
	v_fmac_f32_e32 v26, v24, v19
	v_mul_f32_e32 v19, v26, v22
	v_mul_f32_e32 v20, v23, v22
	v_fma_f32 v19, v23, v21, -v19
	v_fmac_f32_e32 v20, v26, v21
	v_add_u32_e64 v21, s8, 0
	ds_write2_b64 v21, v[19:20], v[19:20] offset0:135 offset1:198
.LBB168_188:
	s_or_b64 exec, exec, s[0:1]
	v_and_b32_e32 v22, 7, v0
	v_lshrrev_b32_e32 v23, 3, v1
	v_lshlrev_b32_e32 v20, 3, v22
	v_cmp_lt_u32_e64 s[10:11], 63, v1
	v_cmp_gt_u32_e64 s[8:9], 64, v1
	v_lshl_or_b32 v19, v23, 9, v20
	v_mov_b32_e32 v24, 0
	v_mov_b32_e32 v25, 0
	s_waitcnt lgkmcnt(0)
	s_barrier
	s_and_saveexec_b64 s[0:1], s[8:9]
	s_cbranch_execz .LBB168_198
; %bb.189:
	v_mul_u32_u24_e32 v25, 0x208, v23
	ds_read_b64 v[26:27], v19 offset:64
	ds_read_b64 v[28:29], v25
	v_cmp_gt_u32_e64 s[14:15], 56, v1
	s_waitcnt lgkmcnt(0)
	v_mul_f32_e32 v21, v29, v27
	v_mul_f32_e32 v24, v28, v27
	v_fma_f32 v21, v28, v26, -v21
	v_fmac_f32_e32 v24, v29, v26
	v_add_f32_e32 v21, 0, v21
	v_add_f32_e32 v24, 0, v24
	s_and_saveexec_b64 s[16:17], s[14:15]
	s_cbranch_execnz .LBB168_1126
; %bb.190:
	s_or_b64 exec, exec, s[16:17]
	v_cmp_gt_u32_e64 s[14:15], 48, v1
	s_and_saveexec_b64 s[16:17], s[14:15]
	s_cbranch_execnz .LBB168_1127
.LBB168_191:
	s_or_b64 exec, exec, s[16:17]
	v_cmp_gt_u32_e64 s[14:15], 40, v1
	s_and_saveexec_b64 s[16:17], s[14:15]
	s_cbranch_execnz .LBB168_1128
.LBB168_192:
	s_or_b64 exec, exec, s[16:17]
	v_cmp_gt_u32_e64 s[14:15], 32, v1
	s_and_saveexec_b64 s[16:17], s[14:15]
	s_cbranch_execnz .LBB168_1129
.LBB168_193:
	s_or_b64 exec, exec, s[16:17]
	v_cmp_gt_u32_e64 s[14:15], 24, v1
	s_and_saveexec_b64 s[16:17], s[14:15]
	s_cbranch_execnz .LBB168_1130
.LBB168_194:
	s_or_b64 exec, exec, s[16:17]
	v_cmp_gt_u32_e64 s[14:15], 16, v1
	s_and_saveexec_b64 s[16:17], s[14:15]
	s_cbranch_execnz .LBB168_1131
.LBB168_195:
	s_or_b64 exec, exec, s[16:17]
	v_cmp_gt_u32_e64 s[14:15], 8, v1
	s_and_saveexec_b64 s[16:17], s[14:15]
	s_cbranch_execz .LBB168_197
.LBB168_196:
	v_lshlrev_b32_e32 v25, 3, v0
	v_mov_b32_e32 v27, 0
	ds_read_b64 v[25:26], v25 offset:3648
	ds_read_b64 v[27:28], v27 offset:56
	s_waitcnt lgkmcnt(0)
	v_mul_f32_e32 v29, v28, v26
	v_mul_f32_e32 v26, v27, v26
	v_fma_f32 v27, v27, v25, -v29
	v_fmac_f32_e32 v26, v28, v25
	v_add_f32_e32 v21, v21, v27
	v_add_f32_e32 v24, v24, v26
.LBB168_197:
	s_or_b64 exec, exec, s[16:17]
	v_xor_b32_e32 v25, 0x80000000, v21
	v_xor_b32_e32 v24, 0x80000000, v24
.LBB168_198:
	s_or_b64 exec, exec, s[0:1]
	v_mov_b32_e32 v21, 0x8000
	v_cmp_eq_u32_e64 s[14:15], 0, v22
	s_xor_b64 s[0:1], s[10:11], -1
	v_lshl_add_u32 v21, v23, 3, v21
	s_and_b64 s[60:61], s[14:15], s[0:1]
	s_and_saveexec_b64 s[10:11], s[60:61]
	s_cbranch_execz .LBB168_200
; %bb.199:
	v_mov_b32_e32 v26, 0
	ds_read_b64 v[26:27], v26 offset:4160
	s_waitcnt lgkmcnt(0)
	v_mul_f32_e32 v29, v24, v27
	v_mul_f32_e32 v28, v25, v27
	v_fma_f32 v27, v25, v26, -v29
	v_fmac_f32_e32 v28, v24, v26
	v_mov_b32_e32 v25, v27
	v_mov_b32_e32 v24, v28
	ds_write_b64 v21, v[27:28]
.LBB168_200:
	s_or_b64 exec, exec, s[10:11]
	v_cmp_ne_u32_e64 s[10:11], 0, v22
	s_and_b64 s[62:63], s[10:11], s[0:1]
	s_waitcnt lgkmcnt(0)
	s_barrier
	s_and_saveexec_b64 s[10:11], s[62:63]
	s_cbranch_execz .LBB168_202
; %bb.201:
	ds_read_b64 v[26:27], v20 offset:4160
	ds_read_b64 v[28:29], v21
	s_waitcnt lgkmcnt(0)
	v_mul_f32_e32 v30, v29, v27
	v_mul_f32_e32 v27, v28, v27
	v_fma_f32 v28, v28, v26, -v30
	v_fmac_f32_e32 v27, v29, v26
	v_add_f32_e32 v25, v25, v28
	v_add_f32_e32 v24, v24, v27
.LBB168_202:
	s_or_b64 exec, exec, s[10:11]
	v_cmp_eq_u32_e64 s[10:11], 1, v22
	s_and_b64 s[64:65], s[10:11], s[0:1]
	s_barrier
	s_and_saveexec_b64 s[10:11], s[64:65]
	s_cbranch_execz .LBB168_204
; %bb.203:
	v_mov_b32_e32 v26, 0
	ds_read_b64 v[26:27], v26 offset:4680
	s_waitcnt lgkmcnt(0)
	v_mul_f32_e32 v29, v24, v27
	v_mul_f32_e32 v28, v25, v27
	v_fma_f32 v27, v25, v26, -v29
	v_fmac_f32_e32 v28, v24, v26
	v_mov_b32_e32 v25, v27
	v_mov_b32_e32 v24, v28
	ds_write_b64 v21, v[27:28]
.LBB168_204:
	s_or_b64 exec, exec, s[10:11]
	v_cmp_lt_u32_e64 s[10:11], 1, v22
	s_and_b64 s[66:67], s[10:11], s[0:1]
	s_waitcnt lgkmcnt(0)
	s_barrier
	s_and_saveexec_b64 s[10:11], s[66:67]
	s_cbranch_execz .LBB168_206
; %bb.205:
	ds_read_b64 v[26:27], v20 offset:4672
	ds_read_b64 v[28:29], v21
	s_waitcnt lgkmcnt(0)
	v_mul_f32_e32 v30, v29, v27
	v_mul_f32_e32 v27, v28, v27
	v_fma_f32 v28, v28, v26, -v30
	v_fmac_f32_e32 v27, v29, v26
	v_add_f32_e32 v25, v25, v28
	v_add_f32_e32 v24, v24, v27
.LBB168_206:
	s_or_b64 exec, exec, s[10:11]
	v_cmp_eq_u32_e64 s[10:11], 2, v22
	s_and_b64 s[68:69], s[10:11], s[0:1]
	s_barrier
	s_and_saveexec_b64 s[10:11], s[68:69]
	s_cbranch_execz .LBB168_208
; %bb.207:
	v_mov_b32_e32 v26, 0
	ds_read_b64 v[26:27], v26 offset:5200
	s_waitcnt lgkmcnt(0)
	v_mul_f32_e32 v29, v24, v27
	v_mul_f32_e32 v28, v25, v27
	v_fma_f32 v27, v25, v26, -v29
	v_fmac_f32_e32 v28, v24, v26
	v_mov_b32_e32 v25, v27
	v_mov_b32_e32 v24, v28
	ds_write_b64 v21, v[27:28]
.LBB168_208:
	s_or_b64 exec, exec, s[10:11]
	v_cmp_lt_u32_e64 s[10:11], 2, v22
	;; [unrolled: 36-line block ×5, first 2 shown]
	s_and_b64 s[82:83], s[10:11], s[0:1]
	s_waitcnt lgkmcnt(0)
	s_barrier
	s_and_saveexec_b64 s[10:11], s[82:83]
	s_cbranch_execz .LBB168_222
; %bb.221:
	ds_read_b64 v[26:27], v20 offset:6720
	ds_read_b64 v[28:29], v21
	s_waitcnt lgkmcnt(0)
	v_mul_f32_e32 v30, v29, v27
	v_mul_f32_e32 v27, v28, v27
	v_fma_f32 v28, v28, v26, -v30
	v_fmac_f32_e32 v27, v29, v26
	v_add_f32_e32 v25, v25, v28
	v_add_f32_e32 v24, v24, v27
.LBB168_222:
	s_or_b64 exec, exec, s[10:11]
	v_cmp_eq_u32_e64 s[10:11], 6, v22
	s_and_b64 s[84:85], s[10:11], s[0:1]
	s_barrier
	s_and_saveexec_b64 s[10:11], s[84:85]
	s_cbranch_execz .LBB168_224
; %bb.223:
	v_mov_b32_e32 v26, 0
	ds_read_b64 v[26:27], v26 offset:7280
	s_waitcnt lgkmcnt(0)
	v_mul_f32_e32 v29, v24, v27
	v_mul_f32_e32 v28, v25, v27
	v_fma_f32 v27, v25, v26, -v29
	v_fmac_f32_e32 v28, v24, v26
	v_mov_b32_e32 v25, v27
	v_mov_b32_e32 v24, v28
	ds_write_b64 v21, v[27:28]
.LBB168_224:
	s_or_b64 exec, exec, s[10:11]
	v_cmp_eq_u32_e64 s[10:11], 7, v22
	s_and_b64 s[58:59], s[10:11], s[0:1]
	s_waitcnt lgkmcnt(0)
	s_barrier
	s_and_saveexec_b64 s[0:1], s[58:59]
	s_cbranch_execz .LBB168_226
; %bb.225:
	v_mov_b32_e32 v26, 0
	ds_read_b64 v[26:27], v26 offset:7288
	ds_read_b64 v[28:29], v21
	s_waitcnt lgkmcnt(0)
	v_mul_f32_e32 v30, v29, v27
	v_mul_f32_e32 v27, v28, v27
	v_fma_f32 v28, v28, v26, -v30
	v_fmac_f32_e32 v27, v29, v26
	v_add_f32_e32 v25, v25, v28
	v_add_f32_e32 v24, v24, v27
.LBB168_226:
	s_or_b64 exec, exec, s[0:1]
	s_barrier
	s_and_saveexec_b64 s[0:1], s[58:59]
	s_cbranch_execz .LBB168_228
; %bb.227:
	v_mov_b32_e32 v26, 0
	ds_read_b64 v[26:27], v26 offset:7800
	s_waitcnt lgkmcnt(0)
	v_mul_f32_e32 v29, v24, v27
	v_mul_f32_e32 v28, v25, v27
	v_fma_f32 v27, v25, v26, -v29
	v_fmac_f32_e32 v28, v24, v26
	v_mov_b32_e32 v25, v27
	v_mov_b32_e32 v24, v28
	ds_write_b64 v21, v[27:28]
.LBB168_228:
	s_or_b64 exec, exec, s[0:1]
	s_waitcnt lgkmcnt(0)
	s_barrier
	s_barrier
	s_and_saveexec_b64 s[0:1], s[8:9]
; %bb.229:
	v_xor_b32_e32 v26, 0x80000000, v24
	v_xor_b32_e32 v25, 0x80000000, v25
	ds_write_b64 v19, v[25:26] offset:64
; %bb.230:
	s_or_b64 exec, exec, s[0:1]
	v_cmp_gt_u32_e64 s[10:11], 8, v0
	s_and_b64 s[86:87], s[12:13], s[10:11]
	s_waitcnt lgkmcnt(0)
	s_barrier
	s_barrier
	s_and_saveexec_b64 s[0:1], s[86:87]
	s_cbranch_execz .LBB168_232
; %bb.231:
	v_lshlrev_b32_e32 v26, 9, v0
	ds_read_b64 v[24:25], v26 offset:64
	s_movk_i32 s10, 0xfe08
	v_mad_i32_i24 v27, v0, s10, v26
	s_waitcnt lgkmcnt(0)
	ds_write_b64 v27, v[24:25] offset:4096
	ds_read_b64 v[24:25], v26 offset:72
	s_waitcnt lgkmcnt(0)
	ds_write_b64 v27, v[24:25] offset:4608
	ds_read_b64 v[24:25], v26 offset:80
	;; [unrolled: 3-line block ×7, first 2 shown]
	s_waitcnt lgkmcnt(0)
	ds_write_b64 v27, v[24:25] offset:7680
.LBB168_232:
	s_or_b64 exec, exec, s[0:1]
	s_waitcnt lgkmcnt(0)
	s_barrier
	s_and_saveexec_b64 s[0:1], vcc
	s_cbranch_execz .LBB168_234
; %bb.233:
	v_mov_b32_e32 v28, 0
	ds_read_b128 v[24:27], v28 offset:4160
	ds_read_b64 v[28:29], v28 offset:4680
	s_movk_i32 s10, 0x1000
	s_waitcnt lgkmcnt(0)
	v_mul_f32_e32 v30, v29, v25
	v_mul_f32_e32 v31, v28, v25
	v_fma_f32 v28, v28, v24, -v30
	v_fmac_f32_e32 v31, v29, v24
	v_mul_f32_e32 v24, v31, v27
	v_mul_f32_e32 v25, v28, v27
	v_fma_f32 v24, v28, v26, -v24
	v_fmac_f32_e32 v25, v31, v26
	v_add_u32_e64 v26, s10, 0
	ds_write2_b64 v26, v[24:25], v[24:25] offset0:9 offset1:72
.LBB168_234:
	s_or_b64 exec, exec, s[0:1]
	v_mov_b32_e32 v24, 0
	v_mov_b32_e32 v25, 0
	s_waitcnt lgkmcnt(0)
	s_barrier
	s_and_saveexec_b64 s[0:1], s[2:3]
	s_cbranch_execz .LBB168_238
; %bb.235:
	v_mul_u32_u24_e32 v26, 0x208, v13
	ds_read_b64 v[24:25], v11 offset:4176
	ds_read_b64 v[26:27], v26 offset:4160
	v_cmp_gt_u32_e64 s[10:11], 2, v1
	s_waitcnt lgkmcnt(0)
	v_mul_f32_e32 v28, v27, v25
	v_mul_f32_e32 v25, v26, v25
	v_fma_f32 v26, v26, v24, -v28
	v_fmac_f32_e32 v25, v27, v24
	v_add_f32_e32 v24, 0, v26
	v_add_f32_e32 v26, 0, v25
	s_and_saveexec_b64 s[14:15], s[10:11]
	s_cbranch_execz .LBB168_237
; %bb.236:
	v_lshlrev_b32_e32 v25, 3, v0
	v_mov_b32_e32 v29, 0
	ds_read_b64 v[27:28], v25 offset:4688
	ds_read_b64 v[29:30], v29 offset:4168
	s_waitcnt lgkmcnt(0)
	v_mul_f32_e32 v25, v30, v28
	v_mul_f32_e32 v28, v29, v28
	v_fma_f32 v25, v29, v27, -v25
	v_fmac_f32_e32 v28, v30, v27
	v_add_f32_e32 v24, v24, v25
	v_add_f32_e32 v26, v26, v28
.LBB168_237:
	s_or_b64 exec, exec, s[14:15]
	v_xor_b32_e32 v25, 0x80000000, v24
	v_xor_b32_e32 v24, 0x80000000, v26
.LBB168_238:
	s_or_b64 exec, exec, s[0:1]
	s_and_saveexec_b64 s[0:1], s[40:41]
	s_cbranch_execz .LBB168_240
; %bb.239:
	v_mov_b32_e32 v26, 0
	ds_read_b64 v[26:27], v26 offset:5200
	s_waitcnt lgkmcnt(0)
	v_mul_f32_e32 v29, v24, v27
	v_mul_f32_e32 v28, v25, v27
	v_fma_f32 v27, v25, v26, -v29
	v_fmac_f32_e32 v28, v24, v26
	v_mov_b32_e32 v25, v27
	v_mov_b32_e32 v24, v28
	ds_write_b64 v12, v[27:28]
.LBB168_240:
	s_or_b64 exec, exec, s[0:1]
	s_waitcnt lgkmcnt(0)
	s_barrier
	s_and_saveexec_b64 s[0:1], s[38:39]
	s_cbranch_execz .LBB168_242
; %bb.241:
	v_mov_b32_e32 v26, 0
	ds_read_b64 v[26:27], v26 offset:5208
	ds_read_b64 v[28:29], v12
	s_waitcnt lgkmcnt(0)
	v_mul_f32_e32 v30, v29, v27
	v_mul_f32_e32 v27, v28, v27
	v_fma_f32 v28, v28, v26, -v30
	v_fmac_f32_e32 v27, v29, v26
	v_add_f32_e32 v25, v25, v28
	v_add_f32_e32 v24, v24, v27
.LBB168_242:
	s_or_b64 exec, exec, s[0:1]
	s_barrier
	s_and_saveexec_b64 s[0:1], s[38:39]
	s_cbranch_execz .LBB168_244
; %bb.243:
	v_mov_b32_e32 v26, 0
	ds_read_b64 v[26:27], v26 offset:5720
	s_waitcnt lgkmcnt(0)
	v_mul_f32_e32 v29, v24, v27
	v_mul_f32_e32 v28, v25, v27
	v_fma_f32 v27, v25, v26, -v29
	v_fmac_f32_e32 v28, v24, v26
	v_mov_b32_e32 v25, v27
	v_mov_b32_e32 v24, v28
	ds_write_b64 v12, v[27:28]
.LBB168_244:
	s_or_b64 exec, exec, s[0:1]
	s_waitcnt lgkmcnt(0)
	s_barrier
	s_barrier
	s_and_saveexec_b64 s[0:1], s[2:3]
; %bb.245:
	v_xor_b32_e32 v26, 0x80000000, v24
	v_xor_b32_e32 v25, 0x80000000, v25
	ds_write_b64 v11, v[25:26] offset:4176
; %bb.246:
	s_or_b64 exec, exec, s[0:1]
	s_waitcnt lgkmcnt(0)
	s_barrier
	s_barrier
	s_and_saveexec_b64 s[0:1], s[42:43]
	s_cbranch_execz .LBB168_248
; %bb.247:
	v_lshlrev_b32_e32 v26, 3, v0
	s_movk_i32 s10, 0x1f8
	v_mad_u32_u24 v27, v0, s10, v26
	ds_read_b64 v[24:25], v27 offset:4176
	s_waitcnt lgkmcnt(0)
	ds_write_b64 v26, v[24:25] offset:5184
	ds_read_b64 v[24:25], v27 offset:4184
	s_waitcnt lgkmcnt(0)
	ds_write_b64 v26, v[24:25] offset:5696
.LBB168_248:
	s_or_b64 exec, exec, s[0:1]
	s_waitcnt lgkmcnt(0)
	s_barrier
	s_and_saveexec_b64 s[0:1], vcc
	s_cbranch_execz .LBB168_250
; %bb.249:
	v_mov_b32_e32 v28, 0
	ds_read_b128 v[24:27], v28 offset:5200
	ds_read_b64 v[28:29], v28 offset:5720
	s_movk_i32 s10, 0x1000
	s_waitcnt lgkmcnt(0)
	v_mul_f32_e32 v30, v29, v25
	v_mul_f32_e32 v31, v28, v25
	v_fma_f32 v28, v28, v24, -v30
	v_fmac_f32_e32 v31, v29, v24
	v_mul_f32_e32 v24, v31, v27
	v_mul_f32_e32 v25, v28, v27
	v_fma_f32 v24, v28, v26, -v24
	v_fmac_f32_e32 v25, v31, v26
	v_add_u32_e64 v26, s10, 0
	ds_write2_b64 v26, v[24:25], v[24:25] offset0:139 offset1:202
.LBB168_250:
	s_or_b64 exec, exec, s[0:1]
	v_mov_b32_e32 v24, 0
	v_mov_b32_e32 v25, 0
	s_waitcnt lgkmcnt(0)
	s_barrier
	s_and_saveexec_b64 s[0:1], s[18:19]
	s_cbranch_execz .LBB168_256
; %bb.251:
	v_mul_u32_u24_e32 v25, 0x208, v18
	ds_read_b64 v[26:27], v14 offset:4192
	ds_read_b64 v[28:29], v25 offset:4160
	v_cmp_gt_u32_e64 s[10:11], 12, v1
	s_waitcnt lgkmcnt(0)
	v_mul_f32_e32 v24, v29, v27
	v_mul_f32_e32 v27, v28, v27
	v_fma_f32 v24, v28, v26, -v24
	v_fmac_f32_e32 v27, v29, v26
	v_add_f32_e32 v24, 0, v24
	v_add_f32_e32 v26, 0, v27
	s_and_saveexec_b64 s[14:15], s[10:11]
	s_cbranch_execnz .LBB168_1132
; %bb.252:
	s_or_b64 exec, exec, s[14:15]
	v_cmp_gt_u32_e64 s[10:11], 8, v1
	s_and_saveexec_b64 s[14:15], s[10:11]
	s_cbranch_execnz .LBB168_1133
.LBB168_253:
	s_or_b64 exec, exec, s[14:15]
	v_cmp_gt_u32_e64 s[10:11], 4, v1
	s_and_saveexec_b64 s[14:15], s[10:11]
	s_cbranch_execz .LBB168_255
.LBB168_254:
	v_lshlrev_b32_e32 v25, 3, v0
	v_mov_b32_e32 v29, 0
	ds_read_b64 v[27:28], v25 offset:5728
	ds_read_b64 v[29:30], v29 offset:4184
	s_waitcnt lgkmcnt(0)
	v_mul_f32_e32 v25, v30, v28
	v_mul_f32_e32 v28, v29, v28
	v_fma_f32 v25, v29, v27, -v25
	v_fmac_f32_e32 v28, v30, v27
	v_add_f32_e32 v24, v24, v25
	v_add_f32_e32 v26, v26, v28
.LBB168_255:
	s_or_b64 exec, exec, s[14:15]
	v_xor_b32_e32 v25, 0x80000000, v24
	v_xor_b32_e32 v24, 0x80000000, v26
.LBB168_256:
	s_or_b64 exec, exec, s[0:1]
	s_and_saveexec_b64 s[0:1], s[46:47]
	s_cbranch_execz .LBB168_258
; %bb.257:
	v_mov_b32_e32 v26, 0
	ds_read_b64 v[26:27], v26 offset:6240
	s_waitcnt lgkmcnt(0)
	v_mul_f32_e32 v29, v24, v27
	v_mul_f32_e32 v28, v25, v27
	v_fma_f32 v27, v25, v26, -v29
	v_fmac_f32_e32 v28, v24, v26
	v_mov_b32_e32 v25, v27
	v_mov_b32_e32 v24, v28
	ds_write_b64 v16, v[27:28]
.LBB168_258:
	s_or_b64 exec, exec, s[0:1]
	s_waitcnt lgkmcnt(0)
	s_barrier
	s_and_saveexec_b64 s[0:1], s[48:49]
	s_cbranch_execz .LBB168_260
; %bb.259:
	ds_read_b64 v[26:27], v15 offset:6240
	ds_read_b64 v[28:29], v16
	s_waitcnt lgkmcnt(0)
	v_mul_f32_e32 v30, v29, v27
	v_mul_f32_e32 v27, v28, v27
	v_fma_f32 v28, v28, v26, -v30
	v_fmac_f32_e32 v27, v29, v26
	v_add_f32_e32 v25, v25, v28
	v_add_f32_e32 v24, v24, v27
.LBB168_260:
	s_or_b64 exec, exec, s[0:1]
	s_barrier
	s_and_saveexec_b64 s[0:1], s[50:51]
	s_cbranch_execz .LBB168_262
; %bb.261:
	v_mov_b32_e32 v26, 0
	ds_read_b64 v[26:27], v26 offset:6760
	s_waitcnt lgkmcnt(0)
	v_mul_f32_e32 v29, v24, v27
	v_mul_f32_e32 v28, v25, v27
	v_fma_f32 v27, v25, v26, -v29
	v_fmac_f32_e32 v28, v24, v26
	v_mov_b32_e32 v25, v27
	v_mov_b32_e32 v24, v28
	ds_write_b64 v16, v[27:28]
.LBB168_262:
	s_or_b64 exec, exec, s[0:1]
	s_waitcnt lgkmcnt(0)
	s_barrier
	s_and_saveexec_b64 s[0:1], s[52:53]
	s_cbranch_execz .LBB168_264
; %bb.263:
	ds_read_b64 v[26:27], v15 offset:6752
	ds_read_b64 v[28:29], v16
	s_waitcnt lgkmcnt(0)
	v_mul_f32_e32 v30, v29, v27
	v_mul_f32_e32 v27, v28, v27
	v_fma_f32 v28, v28, v26, -v30
	v_fmac_f32_e32 v27, v29, v26
	v_add_f32_e32 v25, v25, v28
	v_add_f32_e32 v24, v24, v27
.LBB168_264:
	s_or_b64 exec, exec, s[0:1]
	s_barrier
	s_and_saveexec_b64 s[0:1], s[54:55]
	s_cbranch_execz .LBB168_266
; %bb.265:
	v_mov_b32_e32 v26, 0
	ds_read_b64 v[26:27], v26 offset:7280
	s_waitcnt lgkmcnt(0)
	v_mul_f32_e32 v29, v24, v27
	v_mul_f32_e32 v28, v25, v27
	v_fma_f32 v27, v25, v26, -v29
	v_fmac_f32_e32 v28, v24, v26
	v_mov_b32_e32 v25, v27
	v_mov_b32_e32 v24, v28
	ds_write_b64 v16, v[27:28]
.LBB168_266:
	s_or_b64 exec, exec, s[0:1]
	s_waitcnt lgkmcnt(0)
	s_barrier
	s_and_saveexec_b64 s[0:1], s[44:45]
	s_cbranch_execz .LBB168_268
; %bb.267:
	v_mov_b32_e32 v26, 0
	ds_read_b64 v[26:27], v26 offset:7288
	ds_read_b64 v[28:29], v16
	s_waitcnt lgkmcnt(0)
	v_mul_f32_e32 v30, v29, v27
	v_mul_f32_e32 v27, v28, v27
	v_fma_f32 v28, v28, v26, -v30
	v_fmac_f32_e32 v27, v29, v26
	v_add_f32_e32 v25, v25, v28
	v_add_f32_e32 v24, v24, v27
.LBB168_268:
	s_or_b64 exec, exec, s[0:1]
	s_barrier
	s_and_saveexec_b64 s[0:1], s[44:45]
	s_cbranch_execz .LBB168_270
; %bb.269:
	v_mov_b32_e32 v26, 0
	ds_read_b64 v[26:27], v26 offset:7800
	s_waitcnt lgkmcnt(0)
	v_mul_f32_e32 v29, v24, v27
	v_mul_f32_e32 v28, v25, v27
	v_fma_f32 v27, v25, v26, -v29
	v_fmac_f32_e32 v28, v24, v26
	v_mov_b32_e32 v25, v27
	v_mov_b32_e32 v24, v28
	ds_write_b64 v16, v[27:28]
.LBB168_270:
	s_or_b64 exec, exec, s[0:1]
	s_waitcnt lgkmcnt(0)
	s_barrier
	s_barrier
	s_and_saveexec_b64 s[0:1], s[18:19]
; %bb.271:
	v_xor_b32_e32 v25, 0x80000000, v25
	v_xor_b32_e32 v26, 0x80000000, v24
	ds_write_b64 v14, v[25:26] offset:4192
; %bb.272:
	s_or_b64 exec, exec, s[0:1]
	s_waitcnt lgkmcnt(0)
	s_barrier
	s_barrier
	s_and_saveexec_b64 s[0:1], s[56:57]
	s_cbranch_execz .LBB168_274
; %bb.273:
	v_lshlrev_b32_e32 v26, 9, v0
	ds_read_b64 v[24:25], v26 offset:4192
	s_movk_i32 s10, 0xfe08
	v_mad_i32_i24 v27, v0, s10, v26
	s_waitcnt lgkmcnt(0)
	ds_write_b64 v27, v[24:25] offset:6208
	ds_read_b64 v[24:25], v26 offset:4200
	s_waitcnt lgkmcnt(0)
	ds_write_b64 v27, v[24:25] offset:6720
	ds_read_b64 v[24:25], v26 offset:4208
	;; [unrolled: 3-line block ×3, first 2 shown]
	s_waitcnt lgkmcnt(0)
	ds_write_b64 v27, v[24:25] offset:7744
.LBB168_274:
	s_or_b64 exec, exec, s[0:1]
	s_waitcnt lgkmcnt(0)
	s_barrier
	s_and_saveexec_b64 s[0:1], vcc
	s_cbranch_execz .LBB168_276
; %bb.275:
	v_mov_b32_e32 v28, 0
	ds_read_b128 v[24:27], v28 offset:6240
	ds_read_b64 v[28:29], v28 offset:6760
	s_movk_i32 s10, 0x1800
	s_waitcnt lgkmcnt(0)
	v_mul_f32_e32 v30, v29, v25
	v_mul_f32_e32 v31, v28, v25
	v_fma_f32 v28, v28, v24, -v30
	v_fmac_f32_e32 v31, v29, v24
	v_mul_f32_e32 v24, v31, v27
	v_mul_f32_e32 v25, v28, v27
	v_fma_f32 v24, v28, v26, -v24
	v_fmac_f32_e32 v25, v31, v26
	v_add_u32_e64 v26, s10, 0
	ds_write2_b64 v26, v[24:25], v[24:25] offset0:13 offset1:76
.LBB168_276:
	s_or_b64 exec, exec, s[0:1]
	v_mov_b32_e32 v24, 0
	v_mov_b32_e32 v25, 0
	s_waitcnt lgkmcnt(0)
	s_barrier
	s_and_saveexec_b64 s[0:1], s[2:3]
	s_cbranch_execz .LBB168_280
; %bb.277:
	v_mul_u32_u24_e32 v26, 0x208, v13
	ds_read_b64 v[24:25], v11 offset:6256
	ds_read_b64 v[26:27], v26 offset:6240
	v_cmp_gt_u32_e64 s[10:11], 2, v1
	s_waitcnt lgkmcnt(0)
	v_mul_f32_e32 v28, v27, v25
	v_mul_f32_e32 v25, v26, v25
	v_fma_f32 v26, v26, v24, -v28
	v_fmac_f32_e32 v25, v27, v24
	v_add_f32_e32 v24, 0, v26
	v_add_f32_e32 v26, 0, v25
	s_and_saveexec_b64 s[14:15], s[10:11]
	s_cbranch_execz .LBB168_279
; %bb.278:
	v_lshlrev_b32_e32 v25, 3, v0
	v_mov_b32_e32 v29, 0
	ds_read_b64 v[27:28], v25 offset:6768
	ds_read_b64 v[29:30], v29 offset:6248
	s_waitcnt lgkmcnt(0)
	v_mul_f32_e32 v25, v30, v28
	v_mul_f32_e32 v28, v29, v28
	v_fma_f32 v25, v29, v27, -v25
	v_fmac_f32_e32 v28, v30, v27
	v_add_f32_e32 v24, v24, v25
	v_add_f32_e32 v26, v26, v28
.LBB168_279:
	s_or_b64 exec, exec, s[14:15]
	v_xor_b32_e32 v25, 0x80000000, v24
	v_xor_b32_e32 v24, 0x80000000, v26
.LBB168_280:
	s_or_b64 exec, exec, s[0:1]
	s_and_saveexec_b64 s[0:1], s[40:41]
	s_cbranch_execz .LBB168_282
; %bb.281:
	v_mov_b32_e32 v26, 0
	ds_read_b64 v[26:27], v26 offset:7280
	s_waitcnt lgkmcnt(0)
	v_mul_f32_e32 v29, v24, v27
	v_mul_f32_e32 v28, v25, v27
	v_fma_f32 v27, v25, v26, -v29
	v_fmac_f32_e32 v28, v24, v26
	v_mov_b32_e32 v25, v27
	v_mov_b32_e32 v24, v28
	ds_write_b64 v12, v[27:28]
.LBB168_282:
	s_or_b64 exec, exec, s[0:1]
	s_waitcnt lgkmcnt(0)
	s_barrier
	s_and_saveexec_b64 s[0:1], s[38:39]
	s_cbranch_execz .LBB168_284
; %bb.283:
	v_mov_b32_e32 v26, 0
	ds_read_b64 v[26:27], v26 offset:7288
	ds_read_b64 v[28:29], v12
	s_waitcnt lgkmcnt(0)
	v_mul_f32_e32 v30, v29, v27
	v_mul_f32_e32 v27, v28, v27
	v_fma_f32 v28, v28, v26, -v30
	v_fmac_f32_e32 v27, v29, v26
	v_add_f32_e32 v25, v25, v28
	v_add_f32_e32 v24, v24, v27
.LBB168_284:
	s_or_b64 exec, exec, s[0:1]
	s_barrier
	s_and_saveexec_b64 s[0:1], s[38:39]
	s_cbranch_execz .LBB168_286
; %bb.285:
	v_mov_b32_e32 v26, 0
	ds_read_b64 v[26:27], v26 offset:7800
	s_waitcnt lgkmcnt(0)
	v_mul_f32_e32 v29, v24, v27
	v_mul_f32_e32 v28, v25, v27
	v_fma_f32 v27, v25, v26, -v29
	v_fmac_f32_e32 v28, v24, v26
	v_mov_b32_e32 v25, v27
	v_mov_b32_e32 v24, v28
	ds_write_b64 v12, v[27:28]
.LBB168_286:
	s_or_b64 exec, exec, s[0:1]
	s_waitcnt lgkmcnt(0)
	s_barrier
	s_barrier
	s_and_saveexec_b64 s[0:1], s[2:3]
; %bb.287:
	v_xor_b32_e32 v26, 0x80000000, v24
	v_xor_b32_e32 v25, 0x80000000, v25
	ds_write_b64 v11, v[25:26] offset:6256
; %bb.288:
	s_or_b64 exec, exec, s[0:1]
	s_waitcnt lgkmcnt(0)
	s_barrier
	s_barrier
	s_and_saveexec_b64 s[0:1], s[42:43]
	s_cbranch_execz .LBB168_290
; %bb.289:
	v_lshlrev_b32_e32 v26, 3, v0
	s_movk_i32 s10, 0x1f8
	v_mad_u32_u24 v27, v0, s10, v26
	ds_read_b64 v[24:25], v27 offset:6256
	s_waitcnt lgkmcnt(0)
	ds_write_b64 v26, v[24:25] offset:7264
	ds_read_b64 v[24:25], v27 offset:6264
	s_waitcnt lgkmcnt(0)
	ds_write_b64 v26, v[24:25] offset:7776
.LBB168_290:
	s_or_b64 exec, exec, s[0:1]
	s_waitcnt lgkmcnt(0)
	s_barrier
	s_and_saveexec_b64 s[0:1], vcc
	s_cbranch_execz .LBB168_292
; %bb.291:
	v_mov_b32_e32 v28, 0
	ds_read_b128 v[24:27], v28 offset:7280
	ds_read_b64 v[28:29], v28 offset:7800
	s_movk_i32 s10, 0x1800
	s_waitcnt lgkmcnt(0)
	v_mul_f32_e32 v30, v29, v25
	v_mul_f32_e32 v31, v28, v25
	v_fma_f32 v28, v28, v24, -v30
	v_fmac_f32_e32 v31, v29, v24
	v_mul_f32_e32 v24, v31, v27
	v_mul_f32_e32 v25, v28, v27
	v_fma_f32 v24, v28, v26, -v24
	v_fmac_f32_e32 v25, v31, v26
	v_add_u32_e64 v26, s10, 0
	ds_write2_b64 v26, v[24:25], v[24:25] offset0:143 offset1:206
.LBB168_292:
	s_or_b64 exec, exec, s[0:1]
	v_lshrrev_b32_e32 v28, 4, v1
	v_and_b32_e32 v25, 15, v0
	s_movk_i32 s0, 0xff
	v_lshlrev_b32_e32 v27, 6, v28
	v_cmp_lt_u32_e64 s[14:15], s0, v1
	s_movk_i32 s0, 0x100
	v_or_b32_e32 v24, v27, v25
	v_cmp_gt_u32_e64 s[10:11], s0, v1
	v_lshlrev_b32_e32 v24, 3, v24
	v_mov_b32_e32 v29, 0
	v_mov_b32_e32 v30, 0
	s_waitcnt lgkmcnt(0)
	s_barrier
	s_and_saveexec_b64 s[0:1], s[10:11]
	s_cbranch_execz .LBB168_320
; %bb.293:
	v_mul_u32_u24_e32 v30, 0x208, v28
	ds_read_b64 v[31:32], v24 offset:128
	ds_read_b64 v[33:34], v30
	s_movk_i32 s16, 0xf0
	v_cmp_gt_u32_e64 s[16:17], s16, v1
	s_waitcnt lgkmcnt(0)
	v_mul_f32_e32 v26, v34, v32
	v_mul_f32_e32 v29, v33, v32
	v_fma_f32 v26, v33, v31, -v26
	v_fmac_f32_e32 v29, v34, v31
	v_add_f32_e32 v26, 0, v26
	v_add_f32_e32 v29, 0, v29
	s_and_saveexec_b64 s[20:21], s[16:17]
	s_cbranch_execz .LBB168_295
; %bb.294:
	v_lshlrev_b32_e32 v31, 3, v28
	v_sub_u32_e32 v31, v30, v31
	v_lshl_add_u32 v31, v25, 3, v31
	ds_read_b64 v[31:32], v31 offset:640
	ds_read_b64 v[33:34], v30 offset:8
	s_waitcnt lgkmcnt(0)
	v_mul_f32_e32 v35, v34, v32
	v_mul_f32_e32 v32, v33, v32
	v_fma_f32 v33, v33, v31, -v35
	v_fmac_f32_e32 v32, v34, v31
	v_add_f32_e32 v26, v26, v33
	v_add_f32_e32 v29, v29, v32
.LBB168_295:
	s_or_b64 exec, exec, s[20:21]
	s_movk_i32 s16, 0xe0
	v_cmp_gt_u32_e64 s[16:17], s16, v1
	s_and_saveexec_b64 s[20:21], s[16:17]
	s_cbranch_execz .LBB168_297
; %bb.296:
	v_lshlrev_b32_e32 v31, 3, v28
	v_sub_u32_e32 v31, v30, v31
	v_lshl_add_u32 v31, v25, 3, v31
	ds_read_b64 v[31:32], v31 offset:1152
	ds_read_b64 v[33:34], v30 offset:16
	s_waitcnt lgkmcnt(0)
	v_mul_f32_e32 v35, v34, v32
	v_mul_f32_e32 v32, v33, v32
	v_fma_f32 v33, v33, v31, -v35
	v_fmac_f32_e32 v32, v34, v31
	v_add_f32_e32 v26, v26, v33
	v_add_f32_e32 v29, v29, v32
.LBB168_297:
	s_or_b64 exec, exec, s[20:21]
	s_movk_i32 s16, 0xd0
	v_cmp_gt_u32_e64 s[16:17], s16, v1
	;; [unrolled: 19-line block ×7, first 2 shown]
	s_and_saveexec_b64 s[20:21], s[16:17]
	s_cbranch_execz .LBB168_309
; %bb.308:
	ds_read_b64 v[31:32], v24 offset:4224
	ds_read_b64 v[33:34], v30 offset:64
	s_waitcnt lgkmcnt(0)
	v_mul_f32_e32 v35, v34, v32
	v_mul_f32_e32 v32, v33, v32
	v_fma_f32 v33, v33, v31, -v35
	v_fmac_f32_e32 v32, v34, v31
	v_add_f32_e32 v26, v26, v33
	v_add_f32_e32 v29, v29, v32
.LBB168_309:
	s_or_b64 exec, exec, s[20:21]
	s_movk_i32 s16, 0x70
	v_cmp_gt_u32_e64 s[16:17], s16, v1
	s_and_saveexec_b64 s[20:21], s[16:17]
	s_cbranch_execz .LBB168_311
; %bb.310:
	v_lshlrev_b32_e32 v31, 3, v25
	v_lshl_add_u32 v31, v27, 3, v31
	ds_read_b64 v[31:32], v31 offset:4736
	ds_read_b64 v[33:34], v30 offset:72
	s_waitcnt lgkmcnt(0)
	v_mul_f32_e32 v35, v34, v32
	v_mul_f32_e32 v32, v33, v32
	v_fma_f32 v33, v33, v31, -v35
	v_fmac_f32_e32 v32, v34, v31
	v_add_f32_e32 v26, v26, v33
	v_add_f32_e32 v29, v29, v32
.LBB168_311:
	s_or_b64 exec, exec, s[20:21]
	s_movk_i32 s16, 0x60
	v_cmp_gt_u32_e64 s[16:17], s16, v1
	s_and_saveexec_b64 s[20:21], s[16:17]
	s_cbranch_execz .LBB168_313
; %bb.312:
	v_lshlrev_b32_e32 v31, 3, v25
	v_lshl_add_u32 v31, v27, 3, v31
	ds_read_b64 v[31:32], v31 offset:5248
	ds_read_b64 v[33:34], v30 offset:80
	s_waitcnt lgkmcnt(0)
	v_mul_f32_e32 v35, v34, v32
	v_mul_f32_e32 v32, v33, v32
	v_fma_f32 v33, v33, v31, -v35
	v_fmac_f32_e32 v32, v34, v31
	v_add_f32_e32 v26, v26, v33
	v_add_f32_e32 v29, v29, v32
.LBB168_313:
	s_or_b64 exec, exec, s[20:21]
	s_movk_i32 s16, 0x50
	v_cmp_gt_u32_e64 s[16:17], s16, v1
	s_and_saveexec_b64 s[20:21], s[16:17]
	s_cbranch_execnz .LBB168_1134
; %bb.314:
	s_or_b64 exec, exec, s[20:21]
	v_cmp_gt_u32_e64 s[16:17], 64, v1
	s_and_saveexec_b64 s[20:21], s[16:17]
	s_cbranch_execnz .LBB168_1135
.LBB168_315:
	s_or_b64 exec, exec, s[20:21]
	v_cmp_gt_u32_e64 s[16:17], 48, v1
	s_and_saveexec_b64 s[20:21], s[16:17]
	s_cbranch_execnz .LBB168_1136
.LBB168_316:
	s_or_b64 exec, exec, s[20:21]
	v_cmp_gt_u32_e64 s[16:17], 32, v1
	s_and_saveexec_b64 s[20:21], s[16:17]
	s_cbranch_execnz .LBB168_1137
.LBB168_317:
	s_or_b64 exec, exec, s[20:21]
	v_cmp_gt_u32_e64 s[16:17], 16, v1
	s_and_saveexec_b64 s[20:21], s[16:17]
	s_cbranch_execz .LBB168_319
.LBB168_318:
	v_lshlrev_b32_e32 v30, 3, v0
	v_mov_b32_e32 v32, 0
	ds_read_b64 v[30:31], v30 offset:7808
	ds_read_b64 v[32:33], v32 offset:120
	s_waitcnt lgkmcnt(0)
	v_mul_f32_e32 v34, v33, v31
	v_mul_f32_e32 v31, v32, v31
	v_fma_f32 v32, v32, v30, -v34
	v_fmac_f32_e32 v31, v33, v30
	v_add_f32_e32 v26, v26, v32
	v_add_f32_e32 v29, v29, v31
.LBB168_319:
	s_or_b64 exec, exec, s[20:21]
	v_xor_b32_e32 v30, 0x80000000, v26
	v_xor_b32_e32 v29, 0x80000000, v29
.LBB168_320:
	s_or_b64 exec, exec, s[0:1]
	v_mov_b32_e32 v26, 0x8000
	v_lshl_add_u32 v26, v28, 3, v26
	v_cmp_eq_u32_e64 s[16:17], 0, v25
	s_xor_b64 s[20:21], s[14:15], -1
	s_and_b64 s[14:15], s[16:17], s[20:21]
	s_mov_b64 s[0:1], exec
	v_writelane_b32 v42, s14, 5
	v_writelane_b32 v42, s15, 6
	s_and_b64 s[14:15], s[0:1], s[14:15]
	s_mov_b64 exec, s[14:15]
	s_cbranch_execz .LBB168_322
; %bb.321:
	v_mov_b32_e32 v31, 0
	ds_read_b64 v[31:32], v31 offset:8320
	s_waitcnt lgkmcnt(0)
	v_mul_f32_e32 v34, v29, v32
	v_mul_f32_e32 v33, v30, v32
	v_fma_f32 v32, v30, v31, -v34
	v_fmac_f32_e32 v33, v29, v31
	v_mov_b32_e32 v30, v32
	v_mov_b32_e32 v29, v33
	ds_write_b64 v26, v[32:33]
.LBB168_322:
	s_or_b64 exec, exec, s[0:1]
	v_cmp_ne_u32_e64 s[14:15], 0, v25
	s_waitcnt lgkmcnt(0)
	s_barrier
	s_and_b64 s[14:15], s[14:15], s[20:21]
	s_mov_b64 s[0:1], exec
	v_writelane_b32 v42, s14, 7
	v_writelane_b32 v42, s15, 8
	s_and_b64 s[14:15], s[0:1], s[14:15]
	s_mov_b64 exec, s[14:15]
	s_cbranch_execz .LBB168_324
; %bb.323:
	v_lshlrev_b32_e32 v31, 3, v25
	ds_read_b64 v[31:32], v31 offset:8320
	ds_read_b64 v[33:34], v26
	s_waitcnt lgkmcnt(0)
	v_mul_f32_e32 v35, v34, v32
	v_mul_f32_e32 v32, v33, v32
	v_fma_f32 v33, v33, v31, -v35
	v_fmac_f32_e32 v32, v34, v31
	v_add_f32_e32 v30, v30, v33
	v_add_f32_e32 v29, v29, v32
.LBB168_324:
	s_or_b64 exec, exec, s[0:1]
	v_cmp_eq_u32_e64 s[14:15], 1, v25
	s_barrier
	s_and_b64 s[14:15], s[14:15], s[20:21]
	s_mov_b64 s[0:1], exec
	v_writelane_b32 v42, s14, 9
	v_writelane_b32 v42, s15, 10
	s_and_b64 s[14:15], s[0:1], s[14:15]
	s_mov_b64 exec, s[14:15]
	s_cbranch_execz .LBB168_326
; %bb.325:
	v_mov_b32_e32 v31, 0
	ds_read_b64 v[31:32], v31 offset:8840
	s_waitcnt lgkmcnt(0)
	v_mul_f32_e32 v34, v29, v32
	v_mul_f32_e32 v33, v30, v32
	v_fma_f32 v32, v30, v31, -v34
	v_fmac_f32_e32 v33, v29, v31
	v_mov_b32_e32 v30, v32
	v_mov_b32_e32 v29, v33
	ds_write_b64 v26, v[32:33]
.LBB168_326:
	s_or_b64 exec, exec, s[0:1]
	v_cmp_lt_u32_e64 s[14:15], 1, v25
	s_waitcnt lgkmcnt(0)
	s_barrier
	s_and_b64 s[14:15], s[14:15], s[20:21]
	s_mov_b64 s[0:1], exec
	v_writelane_b32 v42, s14, 11
	v_writelane_b32 v42, s15, 12
	s_and_b64 s[14:15], s[0:1], s[14:15]
	s_mov_b64 exec, s[14:15]
	s_cbranch_execz .LBB168_328
; %bb.327:
	v_lshlrev_b32_e32 v31, 3, v25
	ds_read_b64 v[31:32], v31 offset:8832
	ds_read_b64 v[33:34], v26
	s_waitcnt lgkmcnt(0)
	v_mul_f32_e32 v35, v34, v32
	v_mul_f32_e32 v32, v33, v32
	v_fma_f32 v33, v33, v31, -v35
	v_fmac_f32_e32 v32, v34, v31
	v_add_f32_e32 v30, v30, v33
	v_add_f32_e32 v29, v29, v32
.LBB168_328:
	s_or_b64 exec, exec, s[0:1]
	v_cmp_eq_u32_e64 s[14:15], 2, v25
	s_barrier
	s_and_b64 s[14:15], s[14:15], s[20:21]
	s_mov_b64 s[0:1], exec
	v_writelane_b32 v42, s14, 13
	v_writelane_b32 v42, s15, 14
	s_and_b64 s[14:15], s[0:1], s[14:15]
	s_mov_b64 exec, s[14:15]
	s_cbranch_execz .LBB168_330
; %bb.329:
	v_mov_b32_e32 v31, 0
	ds_read_b64 v[31:32], v31 offset:9360
	s_waitcnt lgkmcnt(0)
	v_mul_f32_e32 v34, v29, v32
	v_mul_f32_e32 v33, v30, v32
	v_fma_f32 v32, v30, v31, -v34
	v_fmac_f32_e32 v33, v29, v31
	v_mov_b32_e32 v30, v32
	v_mov_b32_e32 v29, v33
	ds_write_b64 v26, v[32:33]
.LBB168_330:
	s_or_b64 exec, exec, s[0:1]
	v_cmp_lt_u32_e64 s[14:15], 2, v25
	;; [unrolled: 45-line block ×13, first 2 shown]
	s_waitcnt lgkmcnt(0)
	s_barrier
	s_and_b64 s[14:15], s[14:15], s[20:21]
	s_mov_b64 s[0:1], exec
	v_writelane_b32 v42, s14, 59
	v_writelane_b32 v42, s15, 60
	s_and_b64 s[14:15], s[0:1], s[14:15]
	s_mov_b64 exec, s[14:15]
	s_cbranch_execz .LBB168_376
; %bb.375:
	v_lshlrev_b32_e32 v31, 3, v25
	ds_read_b64 v[31:32], v31 offset:14976
	ds_read_b64 v[33:34], v26
	s_waitcnt lgkmcnt(0)
	v_mul_f32_e32 v35, v34, v32
	v_mul_f32_e32 v32, v33, v32
	v_fma_f32 v33, v33, v31, -v35
	v_fmac_f32_e32 v32, v34, v31
	v_add_f32_e32 v30, v30, v33
	v_add_f32_e32 v29, v29, v32
.LBB168_376:
	s_or_b64 exec, exec, s[0:1]
	v_cmp_eq_u32_e64 s[14:15], 14, v25
	s_and_b64 s[92:93], s[14:15], s[20:21]
	s_barrier
	s_and_saveexec_b64 s[0:1], s[92:93]
	s_cbranch_execz .LBB168_378
; %bb.377:
	v_mov_b32_e32 v31, 0
	ds_read_b64 v[31:32], v31 offset:15600
	s_waitcnt lgkmcnt(0)
	v_mul_f32_e32 v34, v29, v32
	v_mul_f32_e32 v33, v30, v32
	v_fma_f32 v32, v30, v31, -v34
	v_fmac_f32_e32 v33, v29, v31
	v_mov_b32_e32 v30, v32
	v_mov_b32_e32 v29, v33
	ds_write_b64 v26, v[32:33]
.LBB168_378:
	s_or_b64 exec, exec, s[0:1]
	v_cmp_eq_u32_e64 s[14:15], 15, v25
	s_and_b64 s[94:95], s[14:15], s[20:21]
	s_waitcnt lgkmcnt(0)
	s_barrier
	s_and_saveexec_b64 s[0:1], s[94:95]
	s_cbranch_execz .LBB168_380
; %bb.379:
	v_mov_b32_e32 v31, 0
	ds_read_b64 v[31:32], v31 offset:15608
	ds_read_b64 v[33:34], v26
	s_waitcnt lgkmcnt(0)
	v_mul_f32_e32 v35, v34, v32
	v_mul_f32_e32 v32, v33, v32
	v_fma_f32 v33, v33, v31, -v35
	v_fmac_f32_e32 v32, v34, v31
	v_add_f32_e32 v30, v30, v33
	v_add_f32_e32 v29, v29, v32
.LBB168_380:
	s_or_b64 exec, exec, s[0:1]
	s_barrier
	s_and_saveexec_b64 s[0:1], s[94:95]
	s_cbranch_execz .LBB168_382
; %bb.381:
	v_mov_b32_e32 v31, 0
	ds_read_b64 v[31:32], v31 offset:16120
	s_waitcnt lgkmcnt(0)
	v_mul_f32_e32 v34, v29, v32
	v_mul_f32_e32 v33, v30, v32
	v_fma_f32 v32, v30, v31, -v34
	v_fmac_f32_e32 v33, v29, v31
	v_mov_b32_e32 v30, v32
	v_mov_b32_e32 v29, v33
	ds_write_b64 v26, v[32:33]
.LBB168_382:
	s_or_b64 exec, exec, s[0:1]
	s_waitcnt lgkmcnt(0)
	s_barrier
	s_barrier
	s_and_saveexec_b64 s[0:1], s[10:11]
; %bb.383:
	v_xor_b32_e32 v30, 0x80000000, v30
	v_xor_b32_e32 v31, 0x80000000, v29
	ds_write_b64 v24, v[30:31] offset:128
; %bb.384:
	s_or_b64 exec, exec, s[0:1]
	v_cmp_gt_u32_e64 s[14:15], 16, v0
	s_and_b64 s[22:23], s[12:13], s[14:15]
	s_waitcnt lgkmcnt(0)
	s_barrier
	s_barrier
	s_and_saveexec_b64 s[0:1], s[22:23]
	s_cbranch_execz .LBB168_386
; %bb.385:
	v_lshlrev_b32_e32 v31, 9, v0
	ds_read_b64 v[29:30], v31 offset:128
	s_movk_i32 s14, 0xfe08
	v_mad_i32_i24 v32, v0, s14, v31
	s_waitcnt lgkmcnt(0)
	ds_write_b64 v32, v[29:30] offset:8192
	ds_read_b64 v[29:30], v31 offset:136
	s_waitcnt lgkmcnt(0)
	ds_write_b64 v32, v[29:30] offset:8704
	ds_read_b64 v[29:30], v31 offset:144
	;; [unrolled: 3-line block ×15, first 2 shown]
	s_waitcnt lgkmcnt(0)
	ds_write_b64 v32, v[29:30] offset:15872
.LBB168_386:
	s_or_b64 exec, exec, s[0:1]
	s_waitcnt lgkmcnt(0)
	s_barrier
	s_and_saveexec_b64 s[0:1], vcc
	s_cbranch_execz .LBB168_388
; %bb.387:
	v_mov_b32_e32 v33, 0
	ds_read_b128 v[29:32], v33 offset:8320
	ds_read_b64 v[33:34], v33 offset:8840
	s_movk_i32 s14, 0x2000
	s_waitcnt lgkmcnt(0)
	v_mul_f32_e32 v35, v34, v30
	v_mul_f32_e32 v36, v33, v30
	v_fma_f32 v33, v33, v29, -v35
	v_fmac_f32_e32 v36, v34, v29
	v_mul_f32_e32 v29, v36, v32
	v_mul_f32_e32 v30, v33, v32
	v_fma_f32 v29, v33, v31, -v29
	v_fmac_f32_e32 v30, v36, v31
	v_add_u32_e64 v31, s14, 0
	ds_write2_b64 v31, v[29:30], v[29:30] offset0:17 offset1:80
.LBB168_388:
	s_or_b64 exec, exec, s[0:1]
	v_mov_b32_e32 v29, 0
	v_mov_b32_e32 v30, 0
	s_waitcnt lgkmcnt(0)
	s_barrier
	s_and_saveexec_b64 s[0:1], s[2:3]
	s_cbranch_execz .LBB168_392
; %bb.389:
	v_mul_u32_u24_e32 v31, 0x208, v13
	ds_read_b64 v[29:30], v11 offset:8336
	ds_read_b64 v[31:32], v31 offset:8320
	v_cmp_gt_u32_e64 s[14:15], 2, v1
	s_waitcnt lgkmcnt(0)
	v_mul_f32_e32 v33, v32, v30
	v_mul_f32_e32 v30, v31, v30
	v_fma_f32 v31, v31, v29, -v33
	v_fmac_f32_e32 v30, v32, v29
	v_add_f32_e32 v29, 0, v31
	v_add_f32_e32 v31, 0, v30
	s_and_saveexec_b64 s[16:17], s[14:15]
	s_cbranch_execz .LBB168_391
; %bb.390:
	v_lshlrev_b32_e32 v30, 3, v0
	v_mov_b32_e32 v34, 0
	ds_read_b64 v[32:33], v30 offset:8848
	ds_read_b64 v[34:35], v34 offset:8328
	s_waitcnt lgkmcnt(0)
	v_mul_f32_e32 v30, v35, v33
	v_mul_f32_e32 v33, v34, v33
	v_fma_f32 v30, v34, v32, -v30
	v_fmac_f32_e32 v33, v35, v32
	v_add_f32_e32 v29, v29, v30
	v_add_f32_e32 v31, v31, v33
.LBB168_391:
	s_or_b64 exec, exec, s[16:17]
	v_xor_b32_e32 v30, 0x80000000, v29
	v_xor_b32_e32 v29, 0x80000000, v31
.LBB168_392:
	s_or_b64 exec, exec, s[0:1]
	s_and_saveexec_b64 s[0:1], s[40:41]
	s_cbranch_execz .LBB168_394
; %bb.393:
	v_mov_b32_e32 v31, 0
	ds_read_b64 v[31:32], v31 offset:9360
	s_waitcnt lgkmcnt(0)
	v_mul_f32_e32 v34, v29, v32
	v_mul_f32_e32 v33, v30, v32
	v_fma_f32 v32, v30, v31, -v34
	v_fmac_f32_e32 v33, v29, v31
	v_mov_b32_e32 v30, v32
	v_mov_b32_e32 v29, v33
	ds_write_b64 v12, v[32:33]
.LBB168_394:
	s_or_b64 exec, exec, s[0:1]
	s_waitcnt lgkmcnt(0)
	s_barrier
	s_and_saveexec_b64 s[0:1], s[38:39]
	s_cbranch_execz .LBB168_396
; %bb.395:
	v_mov_b32_e32 v31, 0
	ds_read_b64 v[31:32], v31 offset:9368
	ds_read_b64 v[33:34], v12
	s_waitcnt lgkmcnt(0)
	v_mul_f32_e32 v35, v34, v32
	v_mul_f32_e32 v32, v33, v32
	v_fma_f32 v33, v33, v31, -v35
	v_fmac_f32_e32 v32, v34, v31
	v_add_f32_e32 v30, v30, v33
	v_add_f32_e32 v29, v29, v32
.LBB168_396:
	s_or_b64 exec, exec, s[0:1]
	s_barrier
	s_and_saveexec_b64 s[0:1], s[38:39]
	s_cbranch_execz .LBB168_398
; %bb.397:
	v_mov_b32_e32 v31, 0
	ds_read_b64 v[31:32], v31 offset:9880
	s_waitcnt lgkmcnt(0)
	v_mul_f32_e32 v34, v29, v32
	v_mul_f32_e32 v33, v30, v32
	v_fma_f32 v32, v30, v31, -v34
	v_fmac_f32_e32 v33, v29, v31
	v_mov_b32_e32 v30, v32
	v_mov_b32_e32 v29, v33
	ds_write_b64 v12, v[32:33]
.LBB168_398:
	s_or_b64 exec, exec, s[0:1]
	s_waitcnt lgkmcnt(0)
	s_barrier
	s_barrier
	s_and_saveexec_b64 s[0:1], s[2:3]
; %bb.399:
	v_xor_b32_e32 v31, 0x80000000, v29
	v_xor_b32_e32 v30, 0x80000000, v30
	ds_write_b64 v11, v[30:31] offset:8336
; %bb.400:
	s_or_b64 exec, exec, s[0:1]
	s_waitcnt lgkmcnt(0)
	s_barrier
	s_barrier
	s_and_saveexec_b64 s[0:1], s[42:43]
	s_cbranch_execz .LBB168_402
; %bb.401:
	v_lshlrev_b32_e32 v31, 3, v0
	s_movk_i32 s14, 0x1f8
	v_mad_u32_u24 v32, v0, s14, v31
	ds_read_b64 v[29:30], v32 offset:8336
	s_waitcnt lgkmcnt(0)
	ds_write_b64 v31, v[29:30] offset:9344
	ds_read_b64 v[29:30], v32 offset:8344
	s_waitcnt lgkmcnt(0)
	ds_write_b64 v31, v[29:30] offset:9856
.LBB168_402:
	s_or_b64 exec, exec, s[0:1]
	s_waitcnt lgkmcnt(0)
	s_barrier
	s_and_saveexec_b64 s[0:1], vcc
	s_cbranch_execz .LBB168_404
; %bb.403:
	v_mov_b32_e32 v33, 0
	ds_read_b128 v[29:32], v33 offset:9360
	ds_read_b64 v[33:34], v33 offset:9880
	s_movk_i32 s14, 0x2000
	s_waitcnt lgkmcnt(0)
	v_mul_f32_e32 v35, v34, v30
	v_mul_f32_e32 v36, v33, v30
	v_fma_f32 v33, v33, v29, -v35
	v_fmac_f32_e32 v36, v34, v29
	v_mul_f32_e32 v29, v36, v32
	v_mul_f32_e32 v30, v33, v32
	v_fma_f32 v29, v33, v31, -v29
	v_fmac_f32_e32 v30, v36, v31
	v_add_u32_e64 v31, s14, 0
	ds_write2_b64 v31, v[29:30], v[29:30] offset0:147 offset1:210
.LBB168_404:
	s_or_b64 exec, exec, s[0:1]
	v_mov_b32_e32 v29, 0
	v_mov_b32_e32 v30, 0
	s_waitcnt lgkmcnt(0)
	s_barrier
	s_and_saveexec_b64 s[0:1], s[18:19]
	s_cbranch_execz .LBB168_410
; %bb.405:
	v_mul_u32_u24_e32 v30, 0x208, v18
	ds_read_b64 v[31:32], v14 offset:8352
	ds_read_b64 v[33:34], v30 offset:8320
	v_cmp_gt_u32_e64 s[14:15], 12, v1
	s_waitcnt lgkmcnt(0)
	v_mul_f32_e32 v29, v34, v32
	v_mul_f32_e32 v32, v33, v32
	v_fma_f32 v29, v33, v31, -v29
	v_fmac_f32_e32 v32, v34, v31
	v_add_f32_e32 v29, 0, v29
	v_add_f32_e32 v31, 0, v32
	s_and_saveexec_b64 s[16:17], s[14:15]
	s_cbranch_execnz .LBB168_1138
; %bb.406:
	s_or_b64 exec, exec, s[16:17]
	v_cmp_gt_u32_e64 s[14:15], 8, v1
	s_and_saveexec_b64 s[16:17], s[14:15]
	s_cbranch_execnz .LBB168_1139
.LBB168_407:
	s_or_b64 exec, exec, s[16:17]
	v_cmp_gt_u32_e64 s[14:15], 4, v1
	s_and_saveexec_b64 s[16:17], s[14:15]
	s_cbranch_execz .LBB168_409
.LBB168_408:
	v_lshlrev_b32_e32 v30, 3, v0
	v_mov_b32_e32 v34, 0
	ds_read_b64 v[32:33], v30 offset:9888
	ds_read_b64 v[34:35], v34 offset:8344
	s_waitcnt lgkmcnt(0)
	v_mul_f32_e32 v30, v35, v33
	v_mul_f32_e32 v33, v34, v33
	v_fma_f32 v30, v34, v32, -v30
	v_fmac_f32_e32 v33, v35, v32
	v_add_f32_e32 v29, v29, v30
	v_add_f32_e32 v31, v31, v33
.LBB168_409:
	s_or_b64 exec, exec, s[16:17]
	v_xor_b32_e32 v30, 0x80000000, v29
	v_xor_b32_e32 v29, 0x80000000, v31
.LBB168_410:
	s_or_b64 exec, exec, s[0:1]
	s_and_saveexec_b64 s[0:1], s[46:47]
	s_cbranch_execz .LBB168_412
; %bb.411:
	v_mov_b32_e32 v31, 0
	ds_read_b64 v[31:32], v31 offset:10400
	s_waitcnt lgkmcnt(0)
	v_mul_f32_e32 v34, v29, v32
	v_mul_f32_e32 v33, v30, v32
	v_fma_f32 v32, v30, v31, -v34
	v_fmac_f32_e32 v33, v29, v31
	v_mov_b32_e32 v30, v32
	v_mov_b32_e32 v29, v33
	ds_write_b64 v16, v[32:33]
.LBB168_412:
	s_or_b64 exec, exec, s[0:1]
	s_waitcnt lgkmcnt(0)
	s_barrier
	s_and_saveexec_b64 s[0:1], s[48:49]
	s_cbranch_execz .LBB168_414
; %bb.413:
	ds_read_b64 v[31:32], v15 offset:10400
	ds_read_b64 v[33:34], v16
	s_waitcnt lgkmcnt(0)
	v_mul_f32_e32 v35, v34, v32
	v_mul_f32_e32 v32, v33, v32
	v_fma_f32 v33, v33, v31, -v35
	v_fmac_f32_e32 v32, v34, v31
	v_add_f32_e32 v30, v30, v33
	v_add_f32_e32 v29, v29, v32
.LBB168_414:
	s_or_b64 exec, exec, s[0:1]
	s_barrier
	s_and_saveexec_b64 s[0:1], s[50:51]
	s_cbranch_execz .LBB168_416
; %bb.415:
	v_mov_b32_e32 v31, 0
	ds_read_b64 v[31:32], v31 offset:10920
	s_waitcnt lgkmcnt(0)
	v_mul_f32_e32 v34, v29, v32
	v_mul_f32_e32 v33, v30, v32
	v_fma_f32 v32, v30, v31, -v34
	v_fmac_f32_e32 v33, v29, v31
	v_mov_b32_e32 v30, v32
	v_mov_b32_e32 v29, v33
	ds_write_b64 v16, v[32:33]
.LBB168_416:
	s_or_b64 exec, exec, s[0:1]
	s_waitcnt lgkmcnt(0)
	s_barrier
	s_and_saveexec_b64 s[0:1], s[52:53]
	s_cbranch_execz .LBB168_418
; %bb.417:
	ds_read_b64 v[31:32], v15 offset:10912
	ds_read_b64 v[33:34], v16
	s_waitcnt lgkmcnt(0)
	v_mul_f32_e32 v35, v34, v32
	v_mul_f32_e32 v32, v33, v32
	v_fma_f32 v33, v33, v31, -v35
	v_fmac_f32_e32 v32, v34, v31
	v_add_f32_e32 v30, v30, v33
	v_add_f32_e32 v29, v29, v32
.LBB168_418:
	s_or_b64 exec, exec, s[0:1]
	s_barrier
	s_and_saveexec_b64 s[0:1], s[54:55]
	s_cbranch_execz .LBB168_420
; %bb.419:
	v_mov_b32_e32 v31, 0
	ds_read_b64 v[31:32], v31 offset:11440
	s_waitcnt lgkmcnt(0)
	v_mul_f32_e32 v34, v29, v32
	v_mul_f32_e32 v33, v30, v32
	v_fma_f32 v32, v30, v31, -v34
	v_fmac_f32_e32 v33, v29, v31
	v_mov_b32_e32 v30, v32
	v_mov_b32_e32 v29, v33
	ds_write_b64 v16, v[32:33]
.LBB168_420:
	s_or_b64 exec, exec, s[0:1]
	s_waitcnt lgkmcnt(0)
	s_barrier
	s_and_saveexec_b64 s[0:1], s[44:45]
	s_cbranch_execz .LBB168_422
; %bb.421:
	v_mov_b32_e32 v31, 0
	ds_read_b64 v[31:32], v31 offset:11448
	ds_read_b64 v[33:34], v16
	s_waitcnt lgkmcnt(0)
	v_mul_f32_e32 v35, v34, v32
	v_mul_f32_e32 v32, v33, v32
	v_fma_f32 v33, v33, v31, -v35
	v_fmac_f32_e32 v32, v34, v31
	v_add_f32_e32 v30, v30, v33
	v_add_f32_e32 v29, v29, v32
.LBB168_422:
	s_or_b64 exec, exec, s[0:1]
	s_barrier
	s_and_saveexec_b64 s[0:1], s[44:45]
	s_cbranch_execz .LBB168_424
; %bb.423:
	v_mov_b32_e32 v31, 0
	ds_read_b64 v[31:32], v31 offset:11960
	s_waitcnt lgkmcnt(0)
	v_mul_f32_e32 v34, v29, v32
	v_mul_f32_e32 v33, v30, v32
	v_fma_f32 v32, v30, v31, -v34
	v_fmac_f32_e32 v33, v29, v31
	v_mov_b32_e32 v30, v32
	v_mov_b32_e32 v29, v33
	ds_write_b64 v16, v[32:33]
.LBB168_424:
	s_or_b64 exec, exec, s[0:1]
	s_waitcnt lgkmcnt(0)
	s_barrier
	s_barrier
	s_and_saveexec_b64 s[0:1], s[18:19]
; %bb.425:
	v_xor_b32_e32 v30, 0x80000000, v30
	v_xor_b32_e32 v31, 0x80000000, v29
	ds_write_b64 v14, v[30:31] offset:8352
; %bb.426:
	s_or_b64 exec, exec, s[0:1]
	s_waitcnt lgkmcnt(0)
	s_barrier
	s_barrier
	s_and_saveexec_b64 s[0:1], s[56:57]
	s_cbranch_execz .LBB168_428
; %bb.427:
	v_lshlrev_b32_e32 v31, 9, v0
	ds_read_b64 v[29:30], v31 offset:8352
	s_movk_i32 s14, 0xfe08
	v_mad_i32_i24 v32, v0, s14, v31
	s_waitcnt lgkmcnt(0)
	ds_write_b64 v32, v[29:30] offset:10368
	ds_read_b64 v[29:30], v31 offset:8360
	s_waitcnt lgkmcnt(0)
	ds_write_b64 v32, v[29:30] offset:10880
	ds_read_b64 v[29:30], v31 offset:8368
	;; [unrolled: 3-line block ×3, first 2 shown]
	s_waitcnt lgkmcnt(0)
	ds_write_b64 v32, v[29:30] offset:11904
.LBB168_428:
	s_or_b64 exec, exec, s[0:1]
	s_waitcnt lgkmcnt(0)
	s_barrier
	s_and_saveexec_b64 s[0:1], vcc
	s_cbranch_execz .LBB168_430
; %bb.429:
	v_mov_b32_e32 v33, 0
	ds_read_b128 v[29:32], v33 offset:10400
	ds_read_b64 v[33:34], v33 offset:10920
	s_movk_i32 s14, 0x2800
	s_waitcnt lgkmcnt(0)
	v_mul_f32_e32 v35, v34, v30
	v_mul_f32_e32 v36, v33, v30
	v_fma_f32 v33, v33, v29, -v35
	v_fmac_f32_e32 v36, v34, v29
	v_mul_f32_e32 v29, v36, v32
	v_mul_f32_e32 v30, v33, v32
	v_fma_f32 v29, v33, v31, -v29
	v_fmac_f32_e32 v30, v36, v31
	v_add_u32_e64 v31, s14, 0
	ds_write2_b64 v31, v[29:30], v[29:30] offset0:21 offset1:84
.LBB168_430:
	s_or_b64 exec, exec, s[0:1]
	v_mov_b32_e32 v29, 0
	v_mov_b32_e32 v30, 0
	s_waitcnt lgkmcnt(0)
	s_barrier
	s_and_saveexec_b64 s[0:1], s[2:3]
	s_cbranch_execz .LBB168_434
; %bb.431:
	v_mul_u32_u24_e32 v31, 0x208, v13
	ds_read_b64 v[29:30], v11 offset:10416
	ds_read_b64 v[31:32], v31 offset:10400
	v_cmp_gt_u32_e64 s[14:15], 2, v1
	s_waitcnt lgkmcnt(0)
	v_mul_f32_e32 v33, v32, v30
	v_mul_f32_e32 v30, v31, v30
	v_fma_f32 v31, v31, v29, -v33
	v_fmac_f32_e32 v30, v32, v29
	v_add_f32_e32 v29, 0, v31
	v_add_f32_e32 v31, 0, v30
	s_and_saveexec_b64 s[16:17], s[14:15]
	s_cbranch_execz .LBB168_433
; %bb.432:
	v_lshlrev_b32_e32 v30, 3, v0
	v_mov_b32_e32 v34, 0
	ds_read_b64 v[32:33], v30 offset:10928
	ds_read_b64 v[34:35], v34 offset:10408
	s_waitcnt lgkmcnt(0)
	v_mul_f32_e32 v30, v35, v33
	v_mul_f32_e32 v33, v34, v33
	v_fma_f32 v30, v34, v32, -v30
	v_fmac_f32_e32 v33, v35, v32
	v_add_f32_e32 v29, v29, v30
	v_add_f32_e32 v31, v31, v33
.LBB168_433:
	s_or_b64 exec, exec, s[16:17]
	v_xor_b32_e32 v30, 0x80000000, v29
	v_xor_b32_e32 v29, 0x80000000, v31
.LBB168_434:
	s_or_b64 exec, exec, s[0:1]
	s_and_saveexec_b64 s[0:1], s[40:41]
	s_cbranch_execz .LBB168_436
; %bb.435:
	v_mov_b32_e32 v31, 0
	ds_read_b64 v[31:32], v31 offset:11440
	s_waitcnt lgkmcnt(0)
	v_mul_f32_e32 v34, v29, v32
	v_mul_f32_e32 v33, v30, v32
	v_fma_f32 v32, v30, v31, -v34
	v_fmac_f32_e32 v33, v29, v31
	v_mov_b32_e32 v30, v32
	v_mov_b32_e32 v29, v33
	ds_write_b64 v12, v[32:33]
.LBB168_436:
	s_or_b64 exec, exec, s[0:1]
	s_waitcnt lgkmcnt(0)
	s_barrier
	s_and_saveexec_b64 s[0:1], s[38:39]
	s_cbranch_execz .LBB168_438
; %bb.437:
	v_mov_b32_e32 v31, 0
	ds_read_b64 v[31:32], v31 offset:11448
	ds_read_b64 v[33:34], v12
	s_waitcnt lgkmcnt(0)
	v_mul_f32_e32 v35, v34, v32
	v_mul_f32_e32 v32, v33, v32
	v_fma_f32 v33, v33, v31, -v35
	v_fmac_f32_e32 v32, v34, v31
	v_add_f32_e32 v30, v30, v33
	v_add_f32_e32 v29, v29, v32
.LBB168_438:
	s_or_b64 exec, exec, s[0:1]
	s_barrier
	s_and_saveexec_b64 s[0:1], s[38:39]
	s_cbranch_execz .LBB168_440
; %bb.439:
	v_mov_b32_e32 v31, 0
	ds_read_b64 v[31:32], v31 offset:11960
	s_waitcnt lgkmcnt(0)
	v_mul_f32_e32 v34, v29, v32
	v_mul_f32_e32 v33, v30, v32
	v_fma_f32 v32, v30, v31, -v34
	v_fmac_f32_e32 v33, v29, v31
	v_mov_b32_e32 v30, v32
	v_mov_b32_e32 v29, v33
	ds_write_b64 v12, v[32:33]
.LBB168_440:
	s_or_b64 exec, exec, s[0:1]
	s_waitcnt lgkmcnt(0)
	s_barrier
	s_barrier
	s_and_saveexec_b64 s[0:1], s[2:3]
; %bb.441:
	v_xor_b32_e32 v31, 0x80000000, v29
	v_xor_b32_e32 v30, 0x80000000, v30
	ds_write_b64 v11, v[30:31] offset:10416
; %bb.442:
	s_or_b64 exec, exec, s[0:1]
	s_waitcnt lgkmcnt(0)
	s_barrier
	s_barrier
	s_and_saveexec_b64 s[0:1], s[42:43]
	s_cbranch_execz .LBB168_444
; %bb.443:
	v_lshlrev_b32_e32 v31, 3, v0
	s_movk_i32 s14, 0x1f8
	v_mad_u32_u24 v32, v0, s14, v31
	ds_read_b64 v[29:30], v32 offset:10416
	s_waitcnt lgkmcnt(0)
	ds_write_b64 v31, v[29:30] offset:11424
	ds_read_b64 v[29:30], v32 offset:10424
	s_waitcnt lgkmcnt(0)
	ds_write_b64 v31, v[29:30] offset:11936
.LBB168_444:
	s_or_b64 exec, exec, s[0:1]
	s_waitcnt lgkmcnt(0)
	s_barrier
	s_and_saveexec_b64 s[0:1], vcc
	s_cbranch_execz .LBB168_446
; %bb.445:
	v_mov_b32_e32 v33, 0
	ds_read_b128 v[29:32], v33 offset:11440
	ds_read_b64 v[33:34], v33 offset:11960
	s_movk_i32 s14, 0x2800
	s_waitcnt lgkmcnt(0)
	v_mul_f32_e32 v35, v34, v30
	v_mul_f32_e32 v36, v33, v30
	v_fma_f32 v33, v33, v29, -v35
	v_fmac_f32_e32 v36, v34, v29
	v_mul_f32_e32 v29, v36, v32
	v_mul_f32_e32 v30, v33, v32
	v_fma_f32 v29, v33, v31, -v29
	v_fmac_f32_e32 v30, v36, v31
	v_add_u32_e64 v31, s14, 0
	ds_write2_b64 v31, v[29:30], v[29:30] offset0:151 offset1:214
.LBB168_446:
	s_or_b64 exec, exec, s[0:1]
	v_mov_b32_e32 v29, 0
	v_mov_b32_e32 v30, 0
	s_waitcnt lgkmcnt(0)
	s_barrier
	s_and_saveexec_b64 s[0:1], s[8:9]
	s_cbranch_execz .LBB168_456
; %bb.447:
	v_mul_u32_u24_e32 v30, 0x208, v23
	ds_read_b64 v[31:32], v19 offset:8384
	ds_read_b64 v[33:34], v30 offset:8320
	v_cmp_gt_u32_e64 s[14:15], 56, v1
	s_waitcnt lgkmcnt(0)
	v_mul_f32_e32 v29, v34, v32
	v_mul_f32_e32 v32, v33, v32
	v_fma_f32 v29, v33, v31, -v29
	v_fmac_f32_e32 v32, v34, v31
	v_add_f32_e32 v29, 0, v29
	v_add_f32_e32 v31, 0, v32
	s_and_saveexec_b64 s[16:17], s[14:15]
	s_cbranch_execnz .LBB168_1140
; %bb.448:
	s_or_b64 exec, exec, s[16:17]
	v_cmp_gt_u32_e64 s[14:15], 48, v1
	s_and_saveexec_b64 s[16:17], s[14:15]
	s_cbranch_execnz .LBB168_1141
.LBB168_449:
	s_or_b64 exec, exec, s[16:17]
	v_cmp_gt_u32_e64 s[14:15], 40, v1
	s_and_saveexec_b64 s[16:17], s[14:15]
	s_cbranch_execnz .LBB168_1142
.LBB168_450:
	s_or_b64 exec, exec, s[16:17]
	v_cmp_gt_u32_e64 s[14:15], 32, v1
	s_and_saveexec_b64 s[16:17], s[14:15]
	s_cbranch_execnz .LBB168_1143
.LBB168_451:
	s_or_b64 exec, exec, s[16:17]
	v_cmp_gt_u32_e64 s[14:15], 24, v1
	s_and_saveexec_b64 s[16:17], s[14:15]
	s_cbranch_execnz .LBB168_1144
.LBB168_452:
	s_or_b64 exec, exec, s[16:17]
	v_cmp_gt_u32_e64 s[14:15], 16, v1
	s_and_saveexec_b64 s[16:17], s[14:15]
	s_cbranch_execnz .LBB168_1145
.LBB168_453:
	s_or_b64 exec, exec, s[16:17]
	v_cmp_gt_u32_e64 s[14:15], 8, v1
	s_and_saveexec_b64 s[16:17], s[14:15]
	s_cbranch_execz .LBB168_455
.LBB168_454:
	v_lshlrev_b32_e32 v30, 3, v0
	v_mov_b32_e32 v34, 0
	ds_read_b64 v[32:33], v30 offset:11968
	ds_read_b64 v[34:35], v34 offset:8376
	s_waitcnt lgkmcnt(0)
	v_mul_f32_e32 v30, v35, v33
	v_mul_f32_e32 v33, v34, v33
	v_fma_f32 v30, v34, v32, -v30
	v_fmac_f32_e32 v33, v35, v32
	v_add_f32_e32 v29, v29, v30
	v_add_f32_e32 v31, v31, v33
.LBB168_455:
	s_or_b64 exec, exec, s[16:17]
	v_xor_b32_e32 v30, 0x80000000, v29
	v_xor_b32_e32 v29, 0x80000000, v31
.LBB168_456:
	s_or_b64 exec, exec, s[0:1]
	s_and_saveexec_b64 s[0:1], s[60:61]
	s_cbranch_execz .LBB168_458
; %bb.457:
	v_mov_b32_e32 v31, 0
	ds_read_b64 v[31:32], v31 offset:12480
	s_waitcnt lgkmcnt(0)
	v_mul_f32_e32 v34, v29, v32
	v_mul_f32_e32 v33, v30, v32
	v_fma_f32 v32, v30, v31, -v34
	v_fmac_f32_e32 v33, v29, v31
	v_mov_b32_e32 v30, v32
	v_mov_b32_e32 v29, v33
	ds_write_b64 v21, v[32:33]
.LBB168_458:
	s_or_b64 exec, exec, s[0:1]
	s_waitcnt lgkmcnt(0)
	s_barrier
	s_and_saveexec_b64 s[0:1], s[62:63]
	s_cbranch_execz .LBB168_460
; %bb.459:
	ds_read_b64 v[31:32], v20 offset:12480
	ds_read_b64 v[33:34], v21
	s_waitcnt lgkmcnt(0)
	v_mul_f32_e32 v35, v34, v32
	v_mul_f32_e32 v32, v33, v32
	v_fma_f32 v33, v33, v31, -v35
	v_fmac_f32_e32 v32, v34, v31
	v_add_f32_e32 v30, v30, v33
	v_add_f32_e32 v29, v29, v32
.LBB168_460:
	s_or_b64 exec, exec, s[0:1]
	s_barrier
	s_and_saveexec_b64 s[0:1], s[64:65]
	s_cbranch_execz .LBB168_462
; %bb.461:
	v_mov_b32_e32 v31, 0
	ds_read_b64 v[31:32], v31 offset:13000
	s_waitcnt lgkmcnt(0)
	v_mul_f32_e32 v34, v29, v32
	v_mul_f32_e32 v33, v30, v32
	v_fma_f32 v32, v30, v31, -v34
	v_fmac_f32_e32 v33, v29, v31
	v_mov_b32_e32 v30, v32
	v_mov_b32_e32 v29, v33
	ds_write_b64 v21, v[32:33]
.LBB168_462:
	s_or_b64 exec, exec, s[0:1]
	s_waitcnt lgkmcnt(0)
	s_barrier
	s_and_saveexec_b64 s[0:1], s[66:67]
	s_cbranch_execz .LBB168_464
; %bb.463:
	ds_read_b64 v[31:32], v20 offset:12992
	ds_read_b64 v[33:34], v21
	s_waitcnt lgkmcnt(0)
	v_mul_f32_e32 v35, v34, v32
	v_mul_f32_e32 v32, v33, v32
	v_fma_f32 v33, v33, v31, -v35
	v_fmac_f32_e32 v32, v34, v31
	v_add_f32_e32 v30, v30, v33
	v_add_f32_e32 v29, v29, v32
.LBB168_464:
	s_or_b64 exec, exec, s[0:1]
	s_barrier
	;; [unrolled: 32-line block ×6, first 2 shown]
	s_and_saveexec_b64 s[0:1], s[84:85]
	s_cbranch_execz .LBB168_482
; %bb.481:
	v_mov_b32_e32 v31, 0
	ds_read_b64 v[31:32], v31 offset:15600
	s_waitcnt lgkmcnt(0)
	v_mul_f32_e32 v34, v29, v32
	v_mul_f32_e32 v33, v30, v32
	v_fma_f32 v32, v30, v31, -v34
	v_fmac_f32_e32 v33, v29, v31
	v_mov_b32_e32 v30, v32
	v_mov_b32_e32 v29, v33
	ds_write_b64 v21, v[32:33]
.LBB168_482:
	s_or_b64 exec, exec, s[0:1]
	s_waitcnt lgkmcnt(0)
	s_barrier
	s_and_saveexec_b64 s[0:1], s[58:59]
	s_cbranch_execz .LBB168_484
; %bb.483:
	v_mov_b32_e32 v31, 0
	ds_read_b64 v[31:32], v31 offset:15608
	ds_read_b64 v[33:34], v21
	s_waitcnt lgkmcnt(0)
	v_mul_f32_e32 v35, v34, v32
	v_mul_f32_e32 v32, v33, v32
	v_fma_f32 v33, v33, v31, -v35
	v_fmac_f32_e32 v32, v34, v31
	v_add_f32_e32 v30, v30, v33
	v_add_f32_e32 v29, v29, v32
.LBB168_484:
	s_or_b64 exec, exec, s[0:1]
	s_barrier
	s_and_saveexec_b64 s[0:1], s[58:59]
	s_cbranch_execz .LBB168_486
; %bb.485:
	v_mov_b32_e32 v31, 0
	ds_read_b64 v[31:32], v31 offset:16120
	s_waitcnt lgkmcnt(0)
	v_mul_f32_e32 v34, v29, v32
	v_mul_f32_e32 v33, v30, v32
	v_fma_f32 v32, v30, v31, -v34
	v_fmac_f32_e32 v33, v29, v31
	v_mov_b32_e32 v30, v32
	v_mov_b32_e32 v29, v33
	ds_write_b64 v21, v[32:33]
.LBB168_486:
	s_or_b64 exec, exec, s[0:1]
	s_waitcnt lgkmcnt(0)
	s_barrier
	s_barrier
	s_and_saveexec_b64 s[0:1], s[8:9]
; %bb.487:
	v_xor_b32_e32 v31, 0x80000000, v29
	v_xor_b32_e32 v30, 0x80000000, v30
	ds_write_b64 v19, v[30:31] offset:8384
; %bb.488:
	s_or_b64 exec, exec, s[0:1]
	s_waitcnt lgkmcnt(0)
	s_barrier
	s_barrier
	s_and_saveexec_b64 s[0:1], s[86:87]
	s_cbranch_execz .LBB168_490
; %bb.489:
	v_lshlrev_b32_e32 v31, 9, v0
	ds_read_b64 v[29:30], v31 offset:8384
	s_movk_i32 s14, 0xfe08
	v_mad_i32_i24 v32, v0, s14, v31
	s_waitcnt lgkmcnt(0)
	ds_write_b64 v32, v[29:30] offset:12416
	ds_read_b64 v[29:30], v31 offset:8392
	s_waitcnt lgkmcnt(0)
	ds_write_b64 v32, v[29:30] offset:12928
	ds_read_b64 v[29:30], v31 offset:8400
	;; [unrolled: 3-line block ×7, first 2 shown]
	s_waitcnt lgkmcnt(0)
	ds_write_b64 v32, v[29:30] offset:16000
.LBB168_490:
	s_or_b64 exec, exec, s[0:1]
	s_waitcnt lgkmcnt(0)
	s_barrier
	s_and_saveexec_b64 s[0:1], vcc
	s_cbranch_execz .LBB168_492
; %bb.491:
	v_mov_b32_e32 v33, 0
	ds_read_b128 v[29:32], v33 offset:12480
	ds_read_b64 v[33:34], v33 offset:13000
	s_movk_i32 s14, 0x3000
	s_waitcnt lgkmcnt(0)
	v_mul_f32_e32 v35, v34, v30
	v_mul_f32_e32 v36, v33, v30
	v_fma_f32 v33, v33, v29, -v35
	v_fmac_f32_e32 v36, v34, v29
	v_mul_f32_e32 v29, v36, v32
	v_mul_f32_e32 v30, v33, v32
	v_fma_f32 v29, v33, v31, -v29
	v_fmac_f32_e32 v30, v36, v31
	v_add_u32_e64 v31, s14, 0
	ds_write2_b64 v31, v[29:30], v[29:30] offset0:25 offset1:88
.LBB168_492:
	s_or_b64 exec, exec, s[0:1]
	v_mov_b32_e32 v29, 0
	v_mov_b32_e32 v30, 0
	s_waitcnt lgkmcnt(0)
	s_barrier
	s_and_saveexec_b64 s[0:1], s[2:3]
	s_cbranch_execz .LBB168_496
; %bb.493:
	v_mul_u32_u24_e32 v31, 0x208, v13
	ds_read_b64 v[29:30], v11 offset:12496
	ds_read_b64 v[31:32], v31 offset:12480
	v_cmp_gt_u32_e64 s[14:15], 2, v1
	s_waitcnt lgkmcnt(0)
	v_mul_f32_e32 v33, v32, v30
	v_mul_f32_e32 v30, v31, v30
	v_fma_f32 v31, v31, v29, -v33
	v_fmac_f32_e32 v30, v32, v29
	v_add_f32_e32 v29, 0, v31
	v_add_f32_e32 v31, 0, v30
	s_and_saveexec_b64 s[16:17], s[14:15]
	s_cbranch_execz .LBB168_495
; %bb.494:
	v_lshlrev_b32_e32 v30, 3, v0
	v_mov_b32_e32 v34, 0
	ds_read_b64 v[32:33], v30 offset:13008
	ds_read_b64 v[34:35], v34 offset:12488
	s_waitcnt lgkmcnt(0)
	v_mul_f32_e32 v30, v35, v33
	v_mul_f32_e32 v33, v34, v33
	v_fma_f32 v30, v34, v32, -v30
	v_fmac_f32_e32 v33, v35, v32
	v_add_f32_e32 v29, v29, v30
	v_add_f32_e32 v31, v31, v33
.LBB168_495:
	s_or_b64 exec, exec, s[16:17]
	v_xor_b32_e32 v30, 0x80000000, v29
	v_xor_b32_e32 v29, 0x80000000, v31
.LBB168_496:
	s_or_b64 exec, exec, s[0:1]
	s_and_saveexec_b64 s[0:1], s[40:41]
	s_cbranch_execz .LBB168_498
; %bb.497:
	v_mov_b32_e32 v31, 0
	ds_read_b64 v[31:32], v31 offset:13520
	s_waitcnt lgkmcnt(0)
	v_mul_f32_e32 v34, v29, v32
	v_mul_f32_e32 v33, v30, v32
	v_fma_f32 v32, v30, v31, -v34
	v_fmac_f32_e32 v33, v29, v31
	v_mov_b32_e32 v30, v32
	v_mov_b32_e32 v29, v33
	ds_write_b64 v12, v[32:33]
.LBB168_498:
	s_or_b64 exec, exec, s[0:1]
	s_waitcnt lgkmcnt(0)
	s_barrier
	s_and_saveexec_b64 s[0:1], s[38:39]
	s_cbranch_execz .LBB168_500
; %bb.499:
	v_mov_b32_e32 v31, 0
	ds_read_b64 v[31:32], v31 offset:13528
	ds_read_b64 v[33:34], v12
	s_waitcnt lgkmcnt(0)
	v_mul_f32_e32 v35, v34, v32
	v_mul_f32_e32 v32, v33, v32
	v_fma_f32 v33, v33, v31, -v35
	v_fmac_f32_e32 v32, v34, v31
	v_add_f32_e32 v30, v30, v33
	v_add_f32_e32 v29, v29, v32
.LBB168_500:
	s_or_b64 exec, exec, s[0:1]
	s_barrier
	s_and_saveexec_b64 s[0:1], s[38:39]
	s_cbranch_execz .LBB168_502
; %bb.501:
	v_mov_b32_e32 v31, 0
	ds_read_b64 v[31:32], v31 offset:14040
	s_waitcnt lgkmcnt(0)
	v_mul_f32_e32 v34, v29, v32
	v_mul_f32_e32 v33, v30, v32
	v_fma_f32 v32, v30, v31, -v34
	v_fmac_f32_e32 v33, v29, v31
	v_mov_b32_e32 v30, v32
	v_mov_b32_e32 v29, v33
	ds_write_b64 v12, v[32:33]
.LBB168_502:
	s_or_b64 exec, exec, s[0:1]
	s_waitcnt lgkmcnt(0)
	s_barrier
	s_barrier
	s_and_saveexec_b64 s[0:1], s[2:3]
; %bb.503:
	v_xor_b32_e32 v31, 0x80000000, v29
	v_xor_b32_e32 v30, 0x80000000, v30
	ds_write_b64 v11, v[30:31] offset:12496
; %bb.504:
	s_or_b64 exec, exec, s[0:1]
	s_waitcnt lgkmcnt(0)
	s_barrier
	s_barrier
	s_and_saveexec_b64 s[0:1], s[42:43]
	s_cbranch_execz .LBB168_506
; %bb.505:
	v_lshlrev_b32_e32 v31, 3, v0
	s_movk_i32 s14, 0x1f8
	v_mad_u32_u24 v32, v0, s14, v31
	ds_read_b64 v[29:30], v32 offset:12496
	s_waitcnt lgkmcnt(0)
	ds_write_b64 v31, v[29:30] offset:13504
	ds_read_b64 v[29:30], v32 offset:12504
	s_waitcnt lgkmcnt(0)
	ds_write_b64 v31, v[29:30] offset:14016
.LBB168_506:
	s_or_b64 exec, exec, s[0:1]
	s_waitcnt lgkmcnt(0)
	s_barrier
	s_and_saveexec_b64 s[0:1], vcc
	s_cbranch_execz .LBB168_508
; %bb.507:
	v_mov_b32_e32 v33, 0
	ds_read_b128 v[29:32], v33 offset:13520
	ds_read_b64 v[33:34], v33 offset:14040
	s_movk_i32 s14, 0x3000
	s_waitcnt lgkmcnt(0)
	v_mul_f32_e32 v35, v34, v30
	v_mul_f32_e32 v36, v33, v30
	v_fma_f32 v33, v33, v29, -v35
	v_fmac_f32_e32 v36, v34, v29
	v_mul_f32_e32 v29, v36, v32
	v_mul_f32_e32 v30, v33, v32
	v_fma_f32 v29, v33, v31, -v29
	v_fmac_f32_e32 v30, v36, v31
	v_add_u32_e64 v31, s14, 0
	ds_write2_b64 v31, v[29:30], v[29:30] offset0:155 offset1:218
.LBB168_508:
	s_or_b64 exec, exec, s[0:1]
	v_mov_b32_e32 v29, 0
	v_mov_b32_e32 v30, 0
	s_waitcnt lgkmcnt(0)
	s_barrier
	s_and_saveexec_b64 s[0:1], s[18:19]
	s_cbranch_execz .LBB168_514
; %bb.509:
	v_mul_u32_u24_e32 v30, 0x208, v18
	ds_read_b64 v[31:32], v14 offset:12512
	ds_read_b64 v[33:34], v30 offset:12480
	v_cmp_gt_u32_e64 s[14:15], 12, v1
	s_waitcnt lgkmcnt(0)
	v_mul_f32_e32 v29, v34, v32
	v_mul_f32_e32 v32, v33, v32
	v_fma_f32 v29, v33, v31, -v29
	v_fmac_f32_e32 v32, v34, v31
	v_add_f32_e32 v29, 0, v29
	v_add_f32_e32 v31, 0, v32
	s_and_saveexec_b64 s[16:17], s[14:15]
	s_cbranch_execnz .LBB168_1146
; %bb.510:
	s_or_b64 exec, exec, s[16:17]
	v_cmp_gt_u32_e64 s[14:15], 8, v1
	s_and_saveexec_b64 s[16:17], s[14:15]
	s_cbranch_execnz .LBB168_1147
.LBB168_511:
	s_or_b64 exec, exec, s[16:17]
	v_cmp_gt_u32_e64 s[14:15], 4, v1
	s_and_saveexec_b64 s[16:17], s[14:15]
	s_cbranch_execz .LBB168_513
.LBB168_512:
	v_lshlrev_b32_e32 v30, 3, v0
	v_mov_b32_e32 v34, 0
	ds_read_b64 v[32:33], v30 offset:14048
	ds_read_b64 v[34:35], v34 offset:12504
	s_waitcnt lgkmcnt(0)
	v_mul_f32_e32 v30, v35, v33
	v_mul_f32_e32 v33, v34, v33
	v_fma_f32 v30, v34, v32, -v30
	v_fmac_f32_e32 v33, v35, v32
	v_add_f32_e32 v29, v29, v30
	v_add_f32_e32 v31, v31, v33
.LBB168_513:
	s_or_b64 exec, exec, s[16:17]
	v_xor_b32_e32 v30, 0x80000000, v29
	v_xor_b32_e32 v29, 0x80000000, v31
.LBB168_514:
	s_or_b64 exec, exec, s[0:1]
	s_and_saveexec_b64 s[0:1], s[46:47]
	s_cbranch_execz .LBB168_516
; %bb.515:
	v_mov_b32_e32 v31, 0
	ds_read_b64 v[31:32], v31 offset:14560
	s_waitcnt lgkmcnt(0)
	v_mul_f32_e32 v34, v29, v32
	v_mul_f32_e32 v33, v30, v32
	v_fma_f32 v32, v30, v31, -v34
	v_fmac_f32_e32 v33, v29, v31
	v_mov_b32_e32 v30, v32
	v_mov_b32_e32 v29, v33
	ds_write_b64 v16, v[32:33]
.LBB168_516:
	s_or_b64 exec, exec, s[0:1]
	s_waitcnt lgkmcnt(0)
	s_barrier
	s_and_saveexec_b64 s[0:1], s[48:49]
	s_cbranch_execz .LBB168_518
; %bb.517:
	ds_read_b64 v[31:32], v15 offset:14560
	ds_read_b64 v[33:34], v16
	s_waitcnt lgkmcnt(0)
	v_mul_f32_e32 v35, v34, v32
	v_mul_f32_e32 v32, v33, v32
	v_fma_f32 v33, v33, v31, -v35
	v_fmac_f32_e32 v32, v34, v31
	v_add_f32_e32 v30, v30, v33
	v_add_f32_e32 v29, v29, v32
.LBB168_518:
	s_or_b64 exec, exec, s[0:1]
	s_barrier
	s_and_saveexec_b64 s[0:1], s[50:51]
	s_cbranch_execz .LBB168_520
; %bb.519:
	v_mov_b32_e32 v31, 0
	ds_read_b64 v[31:32], v31 offset:15080
	s_waitcnt lgkmcnt(0)
	v_mul_f32_e32 v34, v29, v32
	v_mul_f32_e32 v33, v30, v32
	v_fma_f32 v32, v30, v31, -v34
	v_fmac_f32_e32 v33, v29, v31
	v_mov_b32_e32 v30, v32
	v_mov_b32_e32 v29, v33
	ds_write_b64 v16, v[32:33]
.LBB168_520:
	s_or_b64 exec, exec, s[0:1]
	s_waitcnt lgkmcnt(0)
	s_barrier
	s_and_saveexec_b64 s[0:1], s[52:53]
	s_cbranch_execz .LBB168_522
; %bb.521:
	ds_read_b64 v[31:32], v15 offset:15072
	ds_read_b64 v[33:34], v16
	s_waitcnt lgkmcnt(0)
	v_mul_f32_e32 v35, v34, v32
	v_mul_f32_e32 v32, v33, v32
	v_fma_f32 v33, v33, v31, -v35
	v_fmac_f32_e32 v32, v34, v31
	v_add_f32_e32 v30, v30, v33
	v_add_f32_e32 v29, v29, v32
.LBB168_522:
	s_or_b64 exec, exec, s[0:1]
	s_barrier
	s_and_saveexec_b64 s[0:1], s[54:55]
	s_cbranch_execz .LBB168_524
; %bb.523:
	v_mov_b32_e32 v31, 0
	ds_read_b64 v[31:32], v31 offset:15600
	s_waitcnt lgkmcnt(0)
	v_mul_f32_e32 v34, v29, v32
	v_mul_f32_e32 v33, v30, v32
	v_fma_f32 v32, v30, v31, -v34
	v_fmac_f32_e32 v33, v29, v31
	v_mov_b32_e32 v30, v32
	v_mov_b32_e32 v29, v33
	ds_write_b64 v16, v[32:33]
.LBB168_524:
	s_or_b64 exec, exec, s[0:1]
	s_waitcnt lgkmcnt(0)
	s_barrier
	s_and_saveexec_b64 s[0:1], s[44:45]
	s_cbranch_execz .LBB168_526
; %bb.525:
	v_mov_b32_e32 v31, 0
	ds_read_b64 v[31:32], v31 offset:15608
	ds_read_b64 v[33:34], v16
	s_waitcnt lgkmcnt(0)
	v_mul_f32_e32 v35, v34, v32
	v_mul_f32_e32 v32, v33, v32
	v_fma_f32 v33, v33, v31, -v35
	v_fmac_f32_e32 v32, v34, v31
	v_add_f32_e32 v30, v30, v33
	v_add_f32_e32 v29, v29, v32
.LBB168_526:
	s_or_b64 exec, exec, s[0:1]
	s_barrier
	s_and_saveexec_b64 s[0:1], s[44:45]
	s_cbranch_execz .LBB168_528
; %bb.527:
	v_mov_b32_e32 v31, 0
	ds_read_b64 v[31:32], v31 offset:16120
	s_waitcnt lgkmcnt(0)
	v_mul_f32_e32 v34, v29, v32
	v_mul_f32_e32 v33, v30, v32
	v_fma_f32 v32, v30, v31, -v34
	v_fmac_f32_e32 v33, v29, v31
	v_mov_b32_e32 v30, v32
	v_mov_b32_e32 v29, v33
	ds_write_b64 v16, v[32:33]
.LBB168_528:
	s_or_b64 exec, exec, s[0:1]
	s_waitcnt lgkmcnt(0)
	s_barrier
	s_barrier
	s_and_saveexec_b64 s[0:1], s[18:19]
; %bb.529:
	v_xor_b32_e32 v30, 0x80000000, v30
	v_xor_b32_e32 v31, 0x80000000, v29
	ds_write_b64 v14, v[30:31] offset:12512
; %bb.530:
	s_or_b64 exec, exec, s[0:1]
	s_waitcnt lgkmcnt(0)
	s_barrier
	s_barrier
	s_and_saveexec_b64 s[0:1], s[56:57]
	s_cbranch_execz .LBB168_532
; %bb.531:
	v_lshlrev_b32_e32 v31, 9, v0
	ds_read_b64 v[29:30], v31 offset:12512
	s_movk_i32 s14, 0xfe08
	v_mad_i32_i24 v32, v0, s14, v31
	s_waitcnt lgkmcnt(0)
	ds_write_b64 v32, v[29:30] offset:14528
	ds_read_b64 v[29:30], v31 offset:12520
	s_waitcnt lgkmcnt(0)
	ds_write_b64 v32, v[29:30] offset:15040
	ds_read_b64 v[29:30], v31 offset:12528
	;; [unrolled: 3-line block ×3, first 2 shown]
	s_waitcnt lgkmcnt(0)
	ds_write_b64 v32, v[29:30] offset:16064
.LBB168_532:
	s_or_b64 exec, exec, s[0:1]
	s_waitcnt lgkmcnt(0)
	s_barrier
	s_and_saveexec_b64 s[0:1], vcc
	s_cbranch_execz .LBB168_534
; %bb.533:
	v_mov_b32_e32 v33, 0
	ds_read_b128 v[29:32], v33 offset:14560
	ds_read_b64 v[33:34], v33 offset:15080
	s_movk_i32 s14, 0x3800
	s_waitcnt lgkmcnt(0)
	v_mul_f32_e32 v35, v34, v30
	v_mul_f32_e32 v36, v33, v30
	v_fma_f32 v33, v33, v29, -v35
	v_fmac_f32_e32 v36, v34, v29
	v_mul_f32_e32 v29, v36, v32
	v_mul_f32_e32 v30, v33, v32
	v_fma_f32 v29, v33, v31, -v29
	v_fmac_f32_e32 v30, v36, v31
	v_add_u32_e64 v31, s14, 0
	ds_write2_b64 v31, v[29:30], v[29:30] offset0:29 offset1:92
.LBB168_534:
	s_or_b64 exec, exec, s[0:1]
	v_mov_b32_e32 v29, 0
	v_mov_b32_e32 v30, 0
	s_waitcnt lgkmcnt(0)
	s_barrier
	s_and_saveexec_b64 s[0:1], s[2:3]
	s_cbranch_execz .LBB168_538
; %bb.535:
	v_mul_u32_u24_e32 v31, 0x208, v13
	ds_read_b64 v[29:30], v11 offset:14576
	ds_read_b64 v[31:32], v31 offset:14560
	v_cmp_gt_u32_e64 s[14:15], 2, v1
	s_waitcnt lgkmcnt(0)
	v_mul_f32_e32 v33, v32, v30
	v_mul_f32_e32 v30, v31, v30
	v_fma_f32 v31, v31, v29, -v33
	v_fmac_f32_e32 v30, v32, v29
	v_add_f32_e32 v29, 0, v31
	v_add_f32_e32 v31, 0, v30
	s_and_saveexec_b64 s[16:17], s[14:15]
	s_cbranch_execz .LBB168_537
; %bb.536:
	v_lshlrev_b32_e32 v30, 3, v0
	v_mov_b32_e32 v34, 0
	ds_read_b64 v[32:33], v30 offset:15088
	ds_read_b64 v[34:35], v34 offset:14568
	s_waitcnt lgkmcnt(0)
	v_mul_f32_e32 v30, v35, v33
	v_mul_f32_e32 v33, v34, v33
	v_fma_f32 v30, v34, v32, -v30
	v_fmac_f32_e32 v33, v35, v32
	v_add_f32_e32 v29, v29, v30
	v_add_f32_e32 v31, v31, v33
.LBB168_537:
	s_or_b64 exec, exec, s[16:17]
	v_xor_b32_e32 v30, 0x80000000, v29
	v_xor_b32_e32 v29, 0x80000000, v31
.LBB168_538:
	s_or_b64 exec, exec, s[0:1]
	s_and_saveexec_b64 s[0:1], s[40:41]
	s_cbranch_execz .LBB168_540
; %bb.539:
	v_mov_b32_e32 v31, 0
	ds_read_b64 v[31:32], v31 offset:15600
	s_waitcnt lgkmcnt(0)
	v_mul_f32_e32 v34, v29, v32
	v_mul_f32_e32 v33, v30, v32
	v_fma_f32 v32, v30, v31, -v34
	v_fmac_f32_e32 v33, v29, v31
	v_mov_b32_e32 v30, v32
	v_mov_b32_e32 v29, v33
	ds_write_b64 v12, v[32:33]
.LBB168_540:
	s_or_b64 exec, exec, s[0:1]
	s_waitcnt lgkmcnt(0)
	s_barrier
	s_and_saveexec_b64 s[0:1], s[38:39]
	s_cbranch_execz .LBB168_542
; %bb.541:
	v_mov_b32_e32 v31, 0
	ds_read_b64 v[31:32], v31 offset:15608
	ds_read_b64 v[33:34], v12
	s_waitcnt lgkmcnt(0)
	v_mul_f32_e32 v35, v34, v32
	v_mul_f32_e32 v32, v33, v32
	v_fma_f32 v33, v33, v31, -v35
	v_fmac_f32_e32 v32, v34, v31
	v_add_f32_e32 v30, v30, v33
	v_add_f32_e32 v29, v29, v32
.LBB168_542:
	s_or_b64 exec, exec, s[0:1]
	s_barrier
	s_and_saveexec_b64 s[0:1], s[38:39]
	s_cbranch_execz .LBB168_544
; %bb.543:
	v_mov_b32_e32 v31, 0
	ds_read_b64 v[31:32], v31 offset:16120
	s_waitcnt lgkmcnt(0)
	v_mul_f32_e32 v34, v29, v32
	v_mul_f32_e32 v33, v30, v32
	v_fma_f32 v32, v30, v31, -v34
	v_fmac_f32_e32 v33, v29, v31
	v_mov_b32_e32 v30, v32
	v_mov_b32_e32 v29, v33
	ds_write_b64 v12, v[32:33]
.LBB168_544:
	s_or_b64 exec, exec, s[0:1]
	s_waitcnt lgkmcnt(0)
	s_barrier
	s_barrier
	s_and_saveexec_b64 s[0:1], s[2:3]
; %bb.545:
	v_xor_b32_e32 v31, 0x80000000, v29
	v_xor_b32_e32 v30, 0x80000000, v30
	ds_write_b64 v11, v[30:31] offset:14576
; %bb.546:
	s_or_b64 exec, exec, s[0:1]
	s_waitcnt lgkmcnt(0)
	s_barrier
	s_barrier
	s_and_saveexec_b64 s[0:1], s[42:43]
	s_cbranch_execz .LBB168_548
; %bb.547:
	v_lshlrev_b32_e32 v31, 3, v0
	s_movk_i32 s14, 0x1f8
	v_mad_u32_u24 v32, v0, s14, v31
	ds_read_b64 v[29:30], v32 offset:14576
	s_waitcnt lgkmcnt(0)
	ds_write_b64 v31, v[29:30] offset:15584
	ds_read_b64 v[29:30], v32 offset:14584
	s_waitcnt lgkmcnt(0)
	ds_write_b64 v31, v[29:30] offset:16096
.LBB168_548:
	s_or_b64 exec, exec, s[0:1]
	s_waitcnt lgkmcnt(0)
	s_barrier
	s_and_saveexec_b64 s[0:1], vcc
	s_cbranch_execz .LBB168_550
; %bb.549:
	v_mov_b32_e32 v33, 0
	ds_read_b128 v[29:32], v33 offset:15600
	ds_read_b64 v[33:34], v33 offset:16120
	s_movk_i32 s14, 0x3800
	s_waitcnt lgkmcnt(0)
	v_mul_f32_e32 v35, v34, v30
	v_mul_f32_e32 v36, v33, v30
	v_fma_f32 v33, v33, v29, -v35
	v_fmac_f32_e32 v36, v34, v29
	v_mul_f32_e32 v29, v36, v32
	v_mul_f32_e32 v30, v33, v32
	v_fma_f32 v29, v33, v31, -v29
	v_fmac_f32_e32 v30, v36, v31
	v_add_u32_e64 v31, s14, 0
	ds_write2_b64 v31, v[29:30], v[29:30] offset0:159 offset1:222
.LBB168_550:
	s_or_b64 exec, exec, s[0:1]
	s_movk_i32 s0, 0x3ff
	v_lshrrev_b32_e32 v31, 5, v1
	v_cmp_lt_u32_e64 s[16:17], s0, v1
	s_movk_i32 s0, 0x400
	v_and_b32_e32 v29, 31, v0
	v_cmp_gt_u32_e64 s[14:15], s0, v1
	v_lshlrev_b32_e32 v30, 9, v31
	v_mov_b32_e32 v32, 0
	v_mov_b32_e32 v34, 0
	s_waitcnt lgkmcnt(0)
	s_barrier
	s_and_saveexec_b64 s[0:1], s[14:15]
	s_cbranch_execz .LBB168_612
; %bb.551:
	v_lshlrev_b32_e32 v34, 3, v29
	v_add_u32_e32 v36, v34, v30
	v_mul_u32_u24_e32 v35, 0x208, v31
	ds_read_b64 v[32:33], v36 offset:256
	ds_read_b64 v[37:38], v35
	s_movk_i32 s20, 0x3e0
	v_cmp_gt_u32_e64 s[20:21], s20, v1
	s_waitcnt lgkmcnt(0)
	v_mul_f32_e32 v39, v38, v33
	v_mul_f32_e32 v33, v37, v33
	v_fma_f32 v37, v37, v32, -v39
	v_fmac_f32_e32 v33, v38, v32
	v_add_f32_e32 v32, 0, v37
	v_add_f32_e32 v33, 0, v33
	s_and_saveexec_b64 s[36:37], s[20:21]
	s_cbranch_execz .LBB168_553
; %bb.552:
	ds_read_b64 v[37:38], v36 offset:768
	ds_read_b64 v[39:40], v35 offset:8
	s_waitcnt lgkmcnt(0)
	v_mul_f32_e32 v41, v40, v38
	v_mul_f32_e32 v38, v39, v38
	v_fma_f32 v39, v39, v37, -v41
	v_fmac_f32_e32 v38, v40, v37
	v_add_f32_e32 v32, v32, v39
	v_add_f32_e32 v33, v33, v38
.LBB168_553:
	s_or_b64 exec, exec, s[36:37]
	s_movk_i32 s20, 0x3c0
	v_cmp_gt_u32_e64 s[20:21], s20, v1
	s_and_saveexec_b64 s[36:37], s[20:21]
	s_cbranch_execz .LBB168_555
; %bb.554:
	ds_read_b64 v[37:38], v36 offset:1280
	ds_read_b64 v[39:40], v35 offset:16
	s_waitcnt lgkmcnt(0)
	v_mul_f32_e32 v41, v40, v38
	v_mul_f32_e32 v38, v39, v38
	v_fma_f32 v39, v39, v37, -v41
	v_fmac_f32_e32 v38, v40, v37
	v_add_f32_e32 v32, v32, v39
	v_add_f32_e32 v33, v33, v38
.LBB168_555:
	s_or_b64 exec, exec, s[36:37]
	s_movk_i32 s20, 0x3a0
	v_cmp_gt_u32_e64 s[20:21], s20, v1
	;; [unrolled: 16-line block ×28, first 2 shown]
	s_and_saveexec_b64 s[36:37], s[20:21]
	s_cbranch_execnz .LBB168_1148
; %bb.608:
	s_or_b64 exec, exec, s[36:37]
	v_cmp_gt_u32_e64 s[20:21], 64, v1
	s_and_saveexec_b64 s[36:37], s[20:21]
	s_cbranch_execnz .LBB168_1149
.LBB168_609:
	s_or_b64 exec, exec, s[36:37]
	v_cmp_gt_u32_e64 s[20:21], 32, v1
	s_and_saveexec_b64 s[36:37], s[20:21]
	s_cbranch_execz .LBB168_611
.LBB168_610:
	ds_read_b64 v[36:37], v34 offset:16128
	ds_read_b64 v[34:35], v35 offset:248
	s_waitcnt lgkmcnt(0)
	v_mul_f32_e32 v38, v35, v37
	v_mul_f32_e32 v37, v34, v37
	v_fma_f32 v34, v34, v36, -v38
	v_fmac_f32_e32 v37, v35, v36
	v_add_f32_e32 v32, v32, v34
	v_add_f32_e32 v33, v33, v37
.LBB168_611:
	s_or_b64 exec, exec, s[36:37]
	v_xor_b32_e32 v34, 0x80000000, v32
	v_xor_b32_e32 v32, 0x80000000, v33
.LBB168_612:
	s_or_b64 exec, exec, s[0:1]
	v_mov_b32_e32 v33, 0x8000
	v_lshl_or_b32 v31, v31, 3, v33
	v_mul_u32_u24_e32 v33, 0x208, v29
	v_lshlrev_b32_e32 v35, 9, v29
	v_sub_u32_e32 v35, v33, v35
	v_add_u32_e32 v35, 0x4100, v35
	s_mov_b32 s20, 0
	s_xor_b64 s[0:1], s[16:17], -1
	v_mov_b32_e32 v36, v29
	s_branch .LBB168_614
.LBB168_613:                            ;   in Loop: Header=BB168_614 Depth=1
	s_or_b64 exec, exec, s[16:17]
	s_add_i32 s20, s20, 2
	v_add_u32_e32 v35, 0x400, v35
	s_cmp_eq_u32 s20, 32
	v_add_u32_e32 v36, -2, v36
	s_barrier
	s_cbranch_scc1 .LBB168_622
.LBB168_614:                            ; =>This Inner Loop Header: Depth=1
	v_cmp_eq_u32_e64 s[16:17], 0, v36
	s_and_b64 s[36:37], s[0:1], s[16:17]
	s_and_saveexec_b64 s[16:17], s[36:37]
	s_cbranch_execz .LBB168_616
; %bb.615:                              ;   in Loop: Header=BB168_614 Depth=1
	ds_read_b64 v[37:38], v33 offset:16640
	s_waitcnt lgkmcnt(0)
	v_mul_f32_e32 v40, v32, v38
	v_mul_f32_e32 v39, v34, v38
	v_fma_f32 v38, v34, v37, -v40
	v_fmac_f32_e32 v39, v32, v37
	v_mov_b32_e32 v34, v38
	v_mov_b32_e32 v32, v39
	ds_write_b64 v31, v[38:39]
.LBB168_616:                            ;   in Loop: Header=BB168_614 Depth=1
	s_or_b64 exec, exec, s[16:17]
	v_cmp_lt_u32_e64 s[16:17], s20, v29
	s_and_b64 s[36:37], s[0:1], s[16:17]
	s_waitcnt lgkmcnt(0)
	s_barrier
	s_and_saveexec_b64 s[16:17], s[36:37]
	s_cbranch_execz .LBB168_618
; %bb.617:                              ;   in Loop: Header=BB168_614 Depth=1
	ds_read_b64 v[37:38], v35
	ds_read_b64 v[39:40], v31
	s_waitcnt lgkmcnt(0)
	v_mul_f32_e32 v41, v40, v38
	v_mul_f32_e32 v38, v39, v38
	v_fma_f32 v39, v39, v37, -v41
	v_fmac_f32_e32 v38, v40, v37
	v_add_f32_e32 v34, v34, v39
	v_add_f32_e32 v32, v32, v38
.LBB168_618:                            ;   in Loop: Header=BB168_614 Depth=1
	s_or_b64 exec, exec, s[16:17]
	s_or_b32 s21, s20, 1
	v_cmp_eq_u32_e64 s[16:17], s21, v29
	s_and_b64 s[36:37], s[0:1], s[16:17]
	s_barrier
	s_and_saveexec_b64 s[16:17], s[36:37]
	s_cbranch_execz .LBB168_620
; %bb.619:                              ;   in Loop: Header=BB168_614 Depth=1
	ds_read_b64 v[37:38], v33 offset:16640
	s_waitcnt lgkmcnt(0)
	v_mul_f32_e32 v40, v32, v38
	v_mul_f32_e32 v39, v34, v38
	v_fma_f32 v38, v34, v37, -v40
	v_fmac_f32_e32 v39, v32, v37
	v_mov_b32_e32 v34, v38
	v_mov_b32_e32 v32, v39
	ds_write_b64 v31, v[38:39]
.LBB168_620:                            ;   in Loop: Header=BB168_614 Depth=1
	s_or_b64 exec, exec, s[16:17]
	v_cmp_lt_u32_e64 s[16:17], s21, v29
	s_and_b64 s[36:37], s[0:1], s[16:17]
	s_waitcnt lgkmcnt(0)
	s_barrier
	s_and_saveexec_b64 s[16:17], s[36:37]
	s_cbranch_execz .LBB168_613
; %bb.621:                              ;   in Loop: Header=BB168_614 Depth=1
	ds_read_b64 v[37:38], v35 offset:512
	ds_read_b64 v[39:40], v31
	s_waitcnt lgkmcnt(0)
	v_mul_f32_e32 v41, v40, v38
	v_mul_f32_e32 v38, v39, v38
	v_fma_f32 v39, v39, v37, -v41
	v_fmac_f32_e32 v38, v40, v37
	v_add_f32_e32 v34, v34, v39
	v_add_f32_e32 v32, v32, v38
	s_branch .LBB168_613
.LBB168_622:
	s_and_saveexec_b64 s[0:1], s[14:15]
; %bb.623:
	v_lshl_add_u32 v31, v29, 3, v30
	v_xor_b32_e32 v30, 0x80000000, v32
	v_xor_b32_e32 v29, 0x80000000, v34
	ds_write_b64 v31, v[29:30] offset:256
; %bb.624:
	s_or_b64 exec, exec, s[0:1]
	v_cmp_gt_u32_e64 s[14:15], 32, v0
	s_and_b64 s[12:13], s[12:13], s[14:15]
	s_waitcnt lgkmcnt(0)
	s_barrier
	s_barrier
	s_and_saveexec_b64 s[0:1], s[12:13]
	s_cbranch_execz .LBB168_626
; %bb.625:
	v_lshlrev_b32_e32 v31, 9, v0
	ds_read_b64 v[29:30], v31 offset:256
	s_movk_i32 s12, 0xfe08
	v_mad_i32_i24 v32, v0, s12, v31
	s_waitcnt lgkmcnt(0)
	ds_write_b64 v32, v[29:30] offset:16384
	ds_read_b64 v[29:30], v31 offset:264
	s_waitcnt lgkmcnt(0)
	ds_write_b64 v32, v[29:30] offset:16896
	ds_read_b64 v[29:30], v31 offset:272
	;; [unrolled: 3-line block ×31, first 2 shown]
	s_waitcnt lgkmcnt(0)
	ds_write_b64 v32, v[29:30] offset:32256
.LBB168_626:
	s_or_b64 exec, exec, s[0:1]
	s_waitcnt lgkmcnt(0)
	s_barrier
	s_and_saveexec_b64 s[0:1], vcc
	s_cbranch_execz .LBB168_628
; %bb.627:
	v_mov_b32_e32 v33, 0
	ds_read_b128 v[29:32], v33 offset:16640
	ds_read_b64 v[33:34], v33 offset:17160
	s_movk_i32 s12, 0x4000
	s_waitcnt lgkmcnt(0)
	v_mul_f32_e32 v35, v34, v30
	v_mul_f32_e32 v36, v33, v30
	v_fma_f32 v33, v33, v29, -v35
	v_fmac_f32_e32 v36, v34, v29
	v_mul_f32_e32 v29, v36, v32
	v_mul_f32_e32 v30, v33, v32
	v_fma_f32 v29, v33, v31, -v29
	v_fmac_f32_e32 v30, v36, v31
	v_add_u32_e64 v31, s12, 0
	ds_write2_b64 v31, v[29:30], v[29:30] offset0:33 offset1:96
.LBB168_628:
	s_or_b64 exec, exec, s[0:1]
	v_mov_b32_e32 v29, 0
	v_mov_b32_e32 v30, 0
	s_waitcnt lgkmcnt(0)
	s_barrier
	s_and_saveexec_b64 s[0:1], s[2:3]
	s_cbranch_execz .LBB168_632
; %bb.629:
	v_mul_u32_u24_e32 v31, 0x208, v13
	ds_read_b64 v[29:30], v11 offset:16656
	ds_read_b64 v[31:32], v31 offset:16640
	v_cmp_gt_u32_e64 s[12:13], 2, v1
	s_waitcnt lgkmcnt(0)
	v_mul_f32_e32 v33, v32, v30
	v_mul_f32_e32 v30, v31, v30
	v_fma_f32 v31, v31, v29, -v33
	v_fmac_f32_e32 v30, v32, v29
	v_add_f32_e32 v29, 0, v31
	v_add_f32_e32 v31, 0, v30
	s_and_saveexec_b64 s[14:15], s[12:13]
	s_cbranch_execz .LBB168_631
; %bb.630:
	v_lshlrev_b32_e32 v30, 3, v0
	v_mov_b32_e32 v34, 0
	ds_read_b64 v[32:33], v30 offset:17168
	ds_read_b64 v[34:35], v34 offset:16648
	s_waitcnt lgkmcnt(0)
	v_mul_f32_e32 v30, v35, v33
	v_mul_f32_e32 v33, v34, v33
	v_fma_f32 v30, v34, v32, -v30
	v_fmac_f32_e32 v33, v35, v32
	v_add_f32_e32 v29, v29, v30
	v_add_f32_e32 v31, v31, v33
.LBB168_631:
	s_or_b64 exec, exec, s[14:15]
	v_xor_b32_e32 v30, 0x80000000, v29
	v_xor_b32_e32 v29, 0x80000000, v31
.LBB168_632:
	s_or_b64 exec, exec, s[0:1]
	s_and_saveexec_b64 s[0:1], s[40:41]
	s_cbranch_execz .LBB168_634
; %bb.633:
	v_mov_b32_e32 v31, 0
	ds_read_b64 v[31:32], v31 offset:17680
	s_waitcnt lgkmcnt(0)
	v_mul_f32_e32 v34, v29, v32
	v_mul_f32_e32 v33, v30, v32
	v_fma_f32 v32, v30, v31, -v34
	v_fmac_f32_e32 v33, v29, v31
	v_mov_b32_e32 v30, v32
	v_mov_b32_e32 v29, v33
	ds_write_b64 v12, v[32:33]
.LBB168_634:
	s_or_b64 exec, exec, s[0:1]
	s_waitcnt lgkmcnt(0)
	s_barrier
	s_and_saveexec_b64 s[0:1], s[38:39]
	s_cbranch_execz .LBB168_636
; %bb.635:
	v_mov_b32_e32 v31, 0
	ds_read_b64 v[31:32], v31 offset:17688
	ds_read_b64 v[33:34], v12
	s_waitcnt lgkmcnt(0)
	v_mul_f32_e32 v35, v34, v32
	v_mul_f32_e32 v32, v33, v32
	v_fma_f32 v33, v33, v31, -v35
	v_fmac_f32_e32 v32, v34, v31
	v_add_f32_e32 v30, v30, v33
	v_add_f32_e32 v29, v29, v32
.LBB168_636:
	s_or_b64 exec, exec, s[0:1]
	s_barrier
	s_and_saveexec_b64 s[0:1], s[38:39]
	s_cbranch_execz .LBB168_638
; %bb.637:
	v_mov_b32_e32 v31, 0
	ds_read_b64 v[31:32], v31 offset:18200
	s_waitcnt lgkmcnt(0)
	v_mul_f32_e32 v34, v29, v32
	v_mul_f32_e32 v33, v30, v32
	v_fma_f32 v32, v30, v31, -v34
	v_fmac_f32_e32 v33, v29, v31
	v_mov_b32_e32 v30, v32
	v_mov_b32_e32 v29, v33
	ds_write_b64 v12, v[32:33]
.LBB168_638:
	s_or_b64 exec, exec, s[0:1]
	s_waitcnt lgkmcnt(0)
	s_barrier
	s_barrier
	s_and_saveexec_b64 s[0:1], s[2:3]
; %bb.639:
	v_xor_b32_e32 v31, 0x80000000, v29
	v_xor_b32_e32 v30, 0x80000000, v30
	ds_write_b64 v11, v[30:31] offset:16656
; %bb.640:
	s_or_b64 exec, exec, s[0:1]
	s_waitcnt lgkmcnt(0)
	s_barrier
	s_barrier
	s_and_saveexec_b64 s[0:1], s[42:43]
	s_cbranch_execz .LBB168_642
; %bb.641:
	v_lshlrev_b32_e32 v31, 3, v0
	s_movk_i32 s12, 0x1f8
	v_mad_u32_u24 v32, v0, s12, v31
	ds_read_b64 v[29:30], v32 offset:16656
	s_waitcnt lgkmcnt(0)
	ds_write_b64 v31, v[29:30] offset:17664
	ds_read_b64 v[29:30], v32 offset:16664
	s_waitcnt lgkmcnt(0)
	ds_write_b64 v31, v[29:30] offset:18176
.LBB168_642:
	s_or_b64 exec, exec, s[0:1]
	s_waitcnt lgkmcnt(0)
	s_barrier
	s_and_saveexec_b64 s[0:1], vcc
	s_cbranch_execz .LBB168_644
; %bb.643:
	v_mov_b32_e32 v33, 0
	ds_read_b128 v[29:32], v33 offset:17680
	ds_read_b64 v[33:34], v33 offset:18200
	s_movk_i32 s12, 0x4000
	s_waitcnt lgkmcnt(0)
	v_mul_f32_e32 v35, v34, v30
	v_mul_f32_e32 v36, v33, v30
	v_fma_f32 v33, v33, v29, -v35
	v_fmac_f32_e32 v36, v34, v29
	v_mul_f32_e32 v29, v36, v32
	v_mul_f32_e32 v30, v33, v32
	v_fma_f32 v29, v33, v31, -v29
	v_fmac_f32_e32 v30, v36, v31
	v_add_u32_e64 v31, s12, 0
	ds_write2_b64 v31, v[29:30], v[29:30] offset0:163 offset1:226
.LBB168_644:
	s_or_b64 exec, exec, s[0:1]
	v_mov_b32_e32 v29, 0
	v_mov_b32_e32 v30, 0
	s_waitcnt lgkmcnt(0)
	s_barrier
	s_and_saveexec_b64 s[0:1], s[18:19]
	s_cbranch_execz .LBB168_650
; %bb.645:
	v_mul_u32_u24_e32 v30, 0x208, v18
	ds_read_b64 v[31:32], v14 offset:16672
	ds_read_b64 v[33:34], v30 offset:16640
	v_cmp_gt_u32_e64 s[12:13], 12, v1
	s_waitcnt lgkmcnt(0)
	v_mul_f32_e32 v29, v34, v32
	v_mul_f32_e32 v32, v33, v32
	v_fma_f32 v29, v33, v31, -v29
	v_fmac_f32_e32 v32, v34, v31
	v_add_f32_e32 v29, 0, v29
	v_add_f32_e32 v31, 0, v32
	s_and_saveexec_b64 s[14:15], s[12:13]
	s_cbranch_execnz .LBB168_1150
; %bb.646:
	s_or_b64 exec, exec, s[14:15]
	v_cmp_gt_u32_e64 s[12:13], 8, v1
	s_and_saveexec_b64 s[14:15], s[12:13]
	s_cbranch_execnz .LBB168_1151
.LBB168_647:
	s_or_b64 exec, exec, s[14:15]
	v_cmp_gt_u32_e64 s[12:13], 4, v1
	s_and_saveexec_b64 s[14:15], s[12:13]
	s_cbranch_execz .LBB168_649
.LBB168_648:
	v_lshlrev_b32_e32 v30, 3, v0
	v_mov_b32_e32 v34, 0
	ds_read_b64 v[32:33], v30 offset:18208
	ds_read_b64 v[34:35], v34 offset:16664
	s_waitcnt lgkmcnt(0)
	v_mul_f32_e32 v30, v35, v33
	v_mul_f32_e32 v33, v34, v33
	v_fma_f32 v30, v34, v32, -v30
	v_fmac_f32_e32 v33, v35, v32
	v_add_f32_e32 v29, v29, v30
	v_add_f32_e32 v31, v31, v33
.LBB168_649:
	s_or_b64 exec, exec, s[14:15]
	v_xor_b32_e32 v30, 0x80000000, v29
	v_xor_b32_e32 v29, 0x80000000, v31
.LBB168_650:
	s_or_b64 exec, exec, s[0:1]
	s_and_saveexec_b64 s[0:1], s[46:47]
	s_cbranch_execz .LBB168_652
; %bb.651:
	v_mov_b32_e32 v31, 0
	ds_read_b64 v[31:32], v31 offset:18720
	s_waitcnt lgkmcnt(0)
	v_mul_f32_e32 v34, v29, v32
	v_mul_f32_e32 v33, v30, v32
	v_fma_f32 v32, v30, v31, -v34
	v_fmac_f32_e32 v33, v29, v31
	v_mov_b32_e32 v30, v32
	v_mov_b32_e32 v29, v33
	ds_write_b64 v16, v[32:33]
.LBB168_652:
	s_or_b64 exec, exec, s[0:1]
	s_waitcnt lgkmcnt(0)
	s_barrier
	s_and_saveexec_b64 s[0:1], s[48:49]
	s_cbranch_execz .LBB168_654
; %bb.653:
	ds_read_b64 v[31:32], v15 offset:18720
	ds_read_b64 v[33:34], v16
	s_waitcnt lgkmcnt(0)
	v_mul_f32_e32 v35, v34, v32
	v_mul_f32_e32 v32, v33, v32
	v_fma_f32 v33, v33, v31, -v35
	v_fmac_f32_e32 v32, v34, v31
	v_add_f32_e32 v30, v30, v33
	v_add_f32_e32 v29, v29, v32
.LBB168_654:
	s_or_b64 exec, exec, s[0:1]
	s_barrier
	s_and_saveexec_b64 s[0:1], s[50:51]
	s_cbranch_execz .LBB168_656
; %bb.655:
	v_mov_b32_e32 v31, 0
	ds_read_b64 v[31:32], v31 offset:19240
	s_waitcnt lgkmcnt(0)
	v_mul_f32_e32 v34, v29, v32
	v_mul_f32_e32 v33, v30, v32
	v_fma_f32 v32, v30, v31, -v34
	v_fmac_f32_e32 v33, v29, v31
	v_mov_b32_e32 v30, v32
	v_mov_b32_e32 v29, v33
	ds_write_b64 v16, v[32:33]
.LBB168_656:
	s_or_b64 exec, exec, s[0:1]
	s_waitcnt lgkmcnt(0)
	s_barrier
	s_and_saveexec_b64 s[0:1], s[52:53]
	s_cbranch_execz .LBB168_658
; %bb.657:
	ds_read_b64 v[31:32], v15 offset:19232
	ds_read_b64 v[33:34], v16
	s_waitcnt lgkmcnt(0)
	v_mul_f32_e32 v35, v34, v32
	v_mul_f32_e32 v32, v33, v32
	v_fma_f32 v33, v33, v31, -v35
	v_fmac_f32_e32 v32, v34, v31
	v_add_f32_e32 v30, v30, v33
	v_add_f32_e32 v29, v29, v32
.LBB168_658:
	s_or_b64 exec, exec, s[0:1]
	s_barrier
	s_and_saveexec_b64 s[0:1], s[54:55]
	s_cbranch_execz .LBB168_660
; %bb.659:
	v_mov_b32_e32 v31, 0
	ds_read_b64 v[31:32], v31 offset:19760
	s_waitcnt lgkmcnt(0)
	v_mul_f32_e32 v34, v29, v32
	v_mul_f32_e32 v33, v30, v32
	v_fma_f32 v32, v30, v31, -v34
	v_fmac_f32_e32 v33, v29, v31
	v_mov_b32_e32 v30, v32
	v_mov_b32_e32 v29, v33
	ds_write_b64 v16, v[32:33]
.LBB168_660:
	s_or_b64 exec, exec, s[0:1]
	s_waitcnt lgkmcnt(0)
	s_barrier
	s_and_saveexec_b64 s[0:1], s[44:45]
	s_cbranch_execz .LBB168_662
; %bb.661:
	v_mov_b32_e32 v31, 0
	ds_read_b64 v[31:32], v31 offset:19768
	ds_read_b64 v[33:34], v16
	s_waitcnt lgkmcnt(0)
	v_mul_f32_e32 v35, v34, v32
	v_mul_f32_e32 v32, v33, v32
	v_fma_f32 v33, v33, v31, -v35
	v_fmac_f32_e32 v32, v34, v31
	v_add_f32_e32 v30, v30, v33
	v_add_f32_e32 v29, v29, v32
.LBB168_662:
	s_or_b64 exec, exec, s[0:1]
	s_barrier
	s_and_saveexec_b64 s[0:1], s[44:45]
	s_cbranch_execz .LBB168_664
; %bb.663:
	v_mov_b32_e32 v31, 0
	ds_read_b64 v[31:32], v31 offset:20280
	s_waitcnt lgkmcnt(0)
	v_mul_f32_e32 v34, v29, v32
	v_mul_f32_e32 v33, v30, v32
	v_fma_f32 v32, v30, v31, -v34
	v_fmac_f32_e32 v33, v29, v31
	v_mov_b32_e32 v30, v32
	v_mov_b32_e32 v29, v33
	ds_write_b64 v16, v[32:33]
.LBB168_664:
	s_or_b64 exec, exec, s[0:1]
	s_waitcnt lgkmcnt(0)
	s_barrier
	s_barrier
	s_and_saveexec_b64 s[0:1], s[18:19]
; %bb.665:
	v_xor_b32_e32 v30, 0x80000000, v30
	v_xor_b32_e32 v31, 0x80000000, v29
	ds_write_b64 v14, v[30:31] offset:16672
; %bb.666:
	s_or_b64 exec, exec, s[0:1]
	s_waitcnt lgkmcnt(0)
	s_barrier
	s_barrier
	s_and_saveexec_b64 s[0:1], s[56:57]
	s_cbranch_execz .LBB168_668
; %bb.667:
	v_lshlrev_b32_e32 v31, 9, v0
	ds_read_b64 v[29:30], v31 offset:16672
	s_movk_i32 s12, 0xfe08
	v_mad_i32_i24 v32, v0, s12, v31
	s_waitcnt lgkmcnt(0)
	ds_write_b64 v32, v[29:30] offset:18688
	ds_read_b64 v[29:30], v31 offset:16680
	s_waitcnt lgkmcnt(0)
	ds_write_b64 v32, v[29:30] offset:19200
	ds_read_b64 v[29:30], v31 offset:16688
	;; [unrolled: 3-line block ×3, first 2 shown]
	s_waitcnt lgkmcnt(0)
	ds_write_b64 v32, v[29:30] offset:20224
.LBB168_668:
	s_or_b64 exec, exec, s[0:1]
	s_waitcnt lgkmcnt(0)
	s_barrier
	s_and_saveexec_b64 s[0:1], vcc
	s_cbranch_execz .LBB168_670
; %bb.669:
	v_mov_b32_e32 v33, 0
	ds_read_b128 v[29:32], v33 offset:18720
	ds_read_b64 v[33:34], v33 offset:19240
	s_movk_i32 s12, 0x4800
	s_waitcnt lgkmcnt(0)
	v_mul_f32_e32 v35, v34, v30
	v_mul_f32_e32 v36, v33, v30
	v_fma_f32 v33, v33, v29, -v35
	v_fmac_f32_e32 v36, v34, v29
	v_mul_f32_e32 v29, v36, v32
	v_mul_f32_e32 v30, v33, v32
	v_fma_f32 v29, v33, v31, -v29
	v_fmac_f32_e32 v30, v36, v31
	v_add_u32_e64 v31, s12, 0
	ds_write2_b64 v31, v[29:30], v[29:30] offset0:37 offset1:100
.LBB168_670:
	s_or_b64 exec, exec, s[0:1]
	v_mov_b32_e32 v29, 0
	v_mov_b32_e32 v30, 0
	s_waitcnt lgkmcnt(0)
	s_barrier
	s_and_saveexec_b64 s[0:1], s[2:3]
	s_cbranch_execz .LBB168_674
; %bb.671:
	v_mul_u32_u24_e32 v31, 0x208, v13
	ds_read_b64 v[29:30], v11 offset:18736
	ds_read_b64 v[31:32], v31 offset:18720
	v_cmp_gt_u32_e64 s[12:13], 2, v1
	s_waitcnt lgkmcnt(0)
	v_mul_f32_e32 v33, v32, v30
	v_mul_f32_e32 v30, v31, v30
	v_fma_f32 v31, v31, v29, -v33
	v_fmac_f32_e32 v30, v32, v29
	v_add_f32_e32 v29, 0, v31
	v_add_f32_e32 v31, 0, v30
	s_and_saveexec_b64 s[14:15], s[12:13]
	s_cbranch_execz .LBB168_673
; %bb.672:
	v_lshlrev_b32_e32 v30, 3, v0
	v_mov_b32_e32 v34, 0
	ds_read_b64 v[32:33], v30 offset:19248
	ds_read_b64 v[34:35], v34 offset:18728
	s_waitcnt lgkmcnt(0)
	v_mul_f32_e32 v30, v35, v33
	v_mul_f32_e32 v33, v34, v33
	v_fma_f32 v30, v34, v32, -v30
	v_fmac_f32_e32 v33, v35, v32
	v_add_f32_e32 v29, v29, v30
	v_add_f32_e32 v31, v31, v33
.LBB168_673:
	s_or_b64 exec, exec, s[14:15]
	v_xor_b32_e32 v30, 0x80000000, v29
	v_xor_b32_e32 v29, 0x80000000, v31
.LBB168_674:
	s_or_b64 exec, exec, s[0:1]
	s_and_saveexec_b64 s[0:1], s[40:41]
	s_cbranch_execz .LBB168_676
; %bb.675:
	v_mov_b32_e32 v31, 0
	ds_read_b64 v[31:32], v31 offset:19760
	s_waitcnt lgkmcnt(0)
	v_mul_f32_e32 v34, v29, v32
	v_mul_f32_e32 v33, v30, v32
	v_fma_f32 v32, v30, v31, -v34
	v_fmac_f32_e32 v33, v29, v31
	v_mov_b32_e32 v30, v32
	v_mov_b32_e32 v29, v33
	ds_write_b64 v12, v[32:33]
.LBB168_676:
	s_or_b64 exec, exec, s[0:1]
	s_waitcnt lgkmcnt(0)
	s_barrier
	s_and_saveexec_b64 s[0:1], s[38:39]
	s_cbranch_execz .LBB168_678
; %bb.677:
	v_mov_b32_e32 v31, 0
	ds_read_b64 v[31:32], v31 offset:19768
	ds_read_b64 v[33:34], v12
	s_waitcnt lgkmcnt(0)
	v_mul_f32_e32 v35, v34, v32
	v_mul_f32_e32 v32, v33, v32
	v_fma_f32 v33, v33, v31, -v35
	v_fmac_f32_e32 v32, v34, v31
	v_add_f32_e32 v30, v30, v33
	v_add_f32_e32 v29, v29, v32
.LBB168_678:
	s_or_b64 exec, exec, s[0:1]
	s_barrier
	s_and_saveexec_b64 s[0:1], s[38:39]
	s_cbranch_execz .LBB168_680
; %bb.679:
	v_mov_b32_e32 v31, 0
	ds_read_b64 v[31:32], v31 offset:20280
	s_waitcnt lgkmcnt(0)
	v_mul_f32_e32 v34, v29, v32
	v_mul_f32_e32 v33, v30, v32
	v_fma_f32 v32, v30, v31, -v34
	v_fmac_f32_e32 v33, v29, v31
	v_mov_b32_e32 v30, v32
	v_mov_b32_e32 v29, v33
	ds_write_b64 v12, v[32:33]
.LBB168_680:
	s_or_b64 exec, exec, s[0:1]
	s_waitcnt lgkmcnt(0)
	s_barrier
	s_barrier
	s_and_saveexec_b64 s[0:1], s[2:3]
; %bb.681:
	v_xor_b32_e32 v31, 0x80000000, v29
	v_xor_b32_e32 v30, 0x80000000, v30
	ds_write_b64 v11, v[30:31] offset:18736
; %bb.682:
	s_or_b64 exec, exec, s[0:1]
	s_waitcnt lgkmcnt(0)
	s_barrier
	s_barrier
	s_and_saveexec_b64 s[0:1], s[42:43]
	s_cbranch_execz .LBB168_684
; %bb.683:
	v_lshlrev_b32_e32 v31, 3, v0
	s_movk_i32 s12, 0x1f8
	v_mad_u32_u24 v32, v0, s12, v31
	ds_read_b64 v[29:30], v32 offset:18736
	s_waitcnt lgkmcnt(0)
	ds_write_b64 v31, v[29:30] offset:19744
	ds_read_b64 v[29:30], v32 offset:18744
	s_waitcnt lgkmcnt(0)
	ds_write_b64 v31, v[29:30] offset:20256
.LBB168_684:
	s_or_b64 exec, exec, s[0:1]
	s_waitcnt lgkmcnt(0)
	s_barrier
	s_and_saveexec_b64 s[0:1], vcc
	s_cbranch_execz .LBB168_686
; %bb.685:
	v_mov_b32_e32 v33, 0
	ds_read_b128 v[29:32], v33 offset:19760
	ds_read_b64 v[33:34], v33 offset:20280
	s_movk_i32 s12, 0x4800
	s_waitcnt lgkmcnt(0)
	v_mul_f32_e32 v35, v34, v30
	v_mul_f32_e32 v36, v33, v30
	v_fma_f32 v33, v33, v29, -v35
	v_fmac_f32_e32 v36, v34, v29
	v_mul_f32_e32 v29, v36, v32
	v_mul_f32_e32 v30, v33, v32
	v_fma_f32 v29, v33, v31, -v29
	v_fmac_f32_e32 v30, v36, v31
	v_add_u32_e64 v31, s12, 0
	ds_write2_b64 v31, v[29:30], v[29:30] offset0:167 offset1:230
.LBB168_686:
	s_or_b64 exec, exec, s[0:1]
	v_mov_b32_e32 v29, 0
	v_mov_b32_e32 v30, 0
	s_waitcnt lgkmcnt(0)
	s_barrier
	s_and_saveexec_b64 s[0:1], s[8:9]
	s_cbranch_execz .LBB168_696
; %bb.687:
	v_mul_u32_u24_e32 v30, 0x208, v23
	ds_read_b64 v[31:32], v19 offset:16704
	ds_read_b64 v[33:34], v30 offset:16640
	v_cmp_gt_u32_e64 s[12:13], 56, v1
	s_waitcnt lgkmcnt(0)
	v_mul_f32_e32 v29, v34, v32
	v_mul_f32_e32 v32, v33, v32
	v_fma_f32 v29, v33, v31, -v29
	v_fmac_f32_e32 v32, v34, v31
	v_add_f32_e32 v29, 0, v29
	v_add_f32_e32 v31, 0, v32
	s_and_saveexec_b64 s[14:15], s[12:13]
	s_cbranch_execnz .LBB168_1152
; %bb.688:
	s_or_b64 exec, exec, s[14:15]
	v_cmp_gt_u32_e64 s[12:13], 48, v1
	s_and_saveexec_b64 s[14:15], s[12:13]
	s_cbranch_execnz .LBB168_1153
.LBB168_689:
	s_or_b64 exec, exec, s[14:15]
	v_cmp_gt_u32_e64 s[12:13], 40, v1
	s_and_saveexec_b64 s[14:15], s[12:13]
	s_cbranch_execnz .LBB168_1154
.LBB168_690:
	s_or_b64 exec, exec, s[14:15]
	v_cmp_gt_u32_e64 s[12:13], 32, v1
	s_and_saveexec_b64 s[14:15], s[12:13]
	s_cbranch_execnz .LBB168_1155
.LBB168_691:
	s_or_b64 exec, exec, s[14:15]
	v_cmp_gt_u32_e64 s[12:13], 24, v1
	s_and_saveexec_b64 s[14:15], s[12:13]
	s_cbranch_execnz .LBB168_1156
.LBB168_692:
	s_or_b64 exec, exec, s[14:15]
	v_cmp_gt_u32_e64 s[12:13], 16, v1
	s_and_saveexec_b64 s[14:15], s[12:13]
	s_cbranch_execnz .LBB168_1157
.LBB168_693:
	s_or_b64 exec, exec, s[14:15]
	v_cmp_gt_u32_e64 s[12:13], 8, v1
	s_and_saveexec_b64 s[14:15], s[12:13]
	s_cbranch_execz .LBB168_695
.LBB168_694:
	v_lshlrev_b32_e32 v30, 3, v0
	v_mov_b32_e32 v34, 0
	ds_read_b64 v[32:33], v30 offset:20288
	ds_read_b64 v[34:35], v34 offset:16696
	s_waitcnt lgkmcnt(0)
	v_mul_f32_e32 v30, v35, v33
	v_mul_f32_e32 v33, v34, v33
	v_fma_f32 v30, v34, v32, -v30
	v_fmac_f32_e32 v33, v35, v32
	v_add_f32_e32 v29, v29, v30
	v_add_f32_e32 v31, v31, v33
.LBB168_695:
	s_or_b64 exec, exec, s[14:15]
	v_xor_b32_e32 v30, 0x80000000, v29
	v_xor_b32_e32 v29, 0x80000000, v31
.LBB168_696:
	s_or_b64 exec, exec, s[0:1]
	s_and_saveexec_b64 s[0:1], s[60:61]
	s_cbranch_execz .LBB168_698
; %bb.697:
	v_mov_b32_e32 v31, 0
	ds_read_b64 v[31:32], v31 offset:20800
	s_waitcnt lgkmcnt(0)
	v_mul_f32_e32 v34, v29, v32
	v_mul_f32_e32 v33, v30, v32
	v_fma_f32 v32, v30, v31, -v34
	v_fmac_f32_e32 v33, v29, v31
	v_mov_b32_e32 v30, v32
	v_mov_b32_e32 v29, v33
	ds_write_b64 v21, v[32:33]
.LBB168_698:
	s_or_b64 exec, exec, s[0:1]
	s_waitcnt lgkmcnt(0)
	s_barrier
	s_and_saveexec_b64 s[0:1], s[62:63]
	s_cbranch_execz .LBB168_700
; %bb.699:
	ds_read_b64 v[31:32], v20 offset:20800
	ds_read_b64 v[33:34], v21
	s_waitcnt lgkmcnt(0)
	v_mul_f32_e32 v35, v34, v32
	v_mul_f32_e32 v32, v33, v32
	v_fma_f32 v33, v33, v31, -v35
	v_fmac_f32_e32 v32, v34, v31
	v_add_f32_e32 v30, v30, v33
	v_add_f32_e32 v29, v29, v32
.LBB168_700:
	s_or_b64 exec, exec, s[0:1]
	s_barrier
	s_and_saveexec_b64 s[0:1], s[64:65]
	s_cbranch_execz .LBB168_702
; %bb.701:
	v_mov_b32_e32 v31, 0
	ds_read_b64 v[31:32], v31 offset:21320
	s_waitcnt lgkmcnt(0)
	v_mul_f32_e32 v34, v29, v32
	v_mul_f32_e32 v33, v30, v32
	v_fma_f32 v32, v30, v31, -v34
	v_fmac_f32_e32 v33, v29, v31
	v_mov_b32_e32 v30, v32
	v_mov_b32_e32 v29, v33
	ds_write_b64 v21, v[32:33]
.LBB168_702:
	s_or_b64 exec, exec, s[0:1]
	s_waitcnt lgkmcnt(0)
	s_barrier
	s_and_saveexec_b64 s[0:1], s[66:67]
	s_cbranch_execz .LBB168_704
; %bb.703:
	ds_read_b64 v[31:32], v20 offset:21312
	ds_read_b64 v[33:34], v21
	s_waitcnt lgkmcnt(0)
	v_mul_f32_e32 v35, v34, v32
	v_mul_f32_e32 v32, v33, v32
	v_fma_f32 v33, v33, v31, -v35
	v_fmac_f32_e32 v32, v34, v31
	v_add_f32_e32 v30, v30, v33
	v_add_f32_e32 v29, v29, v32
.LBB168_704:
	s_or_b64 exec, exec, s[0:1]
	s_barrier
	;; [unrolled: 32-line block ×6, first 2 shown]
	s_and_saveexec_b64 s[0:1], s[84:85]
	s_cbranch_execz .LBB168_722
; %bb.721:
	v_mov_b32_e32 v31, 0
	ds_read_b64 v[31:32], v31 offset:23920
	s_waitcnt lgkmcnt(0)
	v_mul_f32_e32 v34, v29, v32
	v_mul_f32_e32 v33, v30, v32
	v_fma_f32 v32, v30, v31, -v34
	v_fmac_f32_e32 v33, v29, v31
	v_mov_b32_e32 v30, v32
	v_mov_b32_e32 v29, v33
	ds_write_b64 v21, v[32:33]
.LBB168_722:
	s_or_b64 exec, exec, s[0:1]
	s_waitcnt lgkmcnt(0)
	s_barrier
	s_and_saveexec_b64 s[0:1], s[58:59]
	s_cbranch_execz .LBB168_724
; %bb.723:
	v_mov_b32_e32 v31, 0
	ds_read_b64 v[31:32], v31 offset:23928
	ds_read_b64 v[33:34], v21
	s_waitcnt lgkmcnt(0)
	v_mul_f32_e32 v35, v34, v32
	v_mul_f32_e32 v32, v33, v32
	v_fma_f32 v33, v33, v31, -v35
	v_fmac_f32_e32 v32, v34, v31
	v_add_f32_e32 v30, v30, v33
	v_add_f32_e32 v29, v29, v32
.LBB168_724:
	s_or_b64 exec, exec, s[0:1]
	s_barrier
	s_and_saveexec_b64 s[0:1], s[58:59]
	s_cbranch_execz .LBB168_726
; %bb.725:
	v_mov_b32_e32 v31, 0
	ds_read_b64 v[31:32], v31 offset:24440
	s_waitcnt lgkmcnt(0)
	v_mul_f32_e32 v34, v29, v32
	v_mul_f32_e32 v33, v30, v32
	v_fma_f32 v32, v30, v31, -v34
	v_fmac_f32_e32 v33, v29, v31
	v_mov_b32_e32 v30, v32
	v_mov_b32_e32 v29, v33
	ds_write_b64 v21, v[32:33]
.LBB168_726:
	s_or_b64 exec, exec, s[0:1]
	s_waitcnt lgkmcnt(0)
	s_barrier
	s_barrier
	s_and_saveexec_b64 s[0:1], s[8:9]
; %bb.727:
	v_xor_b32_e32 v31, 0x80000000, v29
	v_xor_b32_e32 v30, 0x80000000, v30
	ds_write_b64 v19, v[30:31] offset:16704
; %bb.728:
	s_or_b64 exec, exec, s[0:1]
	s_waitcnt lgkmcnt(0)
	s_barrier
	s_barrier
	s_and_saveexec_b64 s[0:1], s[86:87]
	s_cbranch_execz .LBB168_730
; %bb.729:
	v_lshlrev_b32_e32 v31, 9, v0
	ds_read_b64 v[29:30], v31 offset:16704
	s_movk_i32 s12, 0xfe08
	v_mad_i32_i24 v32, v0, s12, v31
	s_waitcnt lgkmcnt(0)
	ds_write_b64 v32, v[29:30] offset:20736
	ds_read_b64 v[29:30], v31 offset:16712
	s_waitcnt lgkmcnt(0)
	ds_write_b64 v32, v[29:30] offset:21248
	ds_read_b64 v[29:30], v31 offset:16720
	s_waitcnt lgkmcnt(0)
	ds_write_b64 v32, v[29:30] offset:21760
	ds_read_b64 v[29:30], v31 offset:16728
	s_waitcnt lgkmcnt(0)
	ds_write_b64 v32, v[29:30] offset:22272
	ds_read_b64 v[29:30], v31 offset:16736
	s_waitcnt lgkmcnt(0)
	ds_write_b64 v32, v[29:30] offset:22784
	ds_read_b64 v[29:30], v31 offset:16744
	s_waitcnt lgkmcnt(0)
	ds_write_b64 v32, v[29:30] offset:23296
	ds_read_b64 v[29:30], v31 offset:16752
	s_waitcnt lgkmcnt(0)
	ds_write_b64 v32, v[29:30] offset:23808
	ds_read_b64 v[29:30], v31 offset:16760
	s_waitcnt lgkmcnt(0)
	ds_write_b64 v32, v[29:30] offset:24320
.LBB168_730:
	s_or_b64 exec, exec, s[0:1]
	s_waitcnt lgkmcnt(0)
	s_barrier
	s_and_saveexec_b64 s[0:1], vcc
	s_cbranch_execz .LBB168_732
; %bb.731:
	v_mov_b32_e32 v33, 0
	ds_read_b128 v[29:32], v33 offset:20800
	ds_read_b64 v[33:34], v33 offset:21320
	s_movk_i32 s12, 0x5000
	s_waitcnt lgkmcnt(0)
	v_mul_f32_e32 v35, v34, v30
	v_mul_f32_e32 v36, v33, v30
	v_fma_f32 v33, v33, v29, -v35
	v_fmac_f32_e32 v36, v34, v29
	v_mul_f32_e32 v29, v36, v32
	v_mul_f32_e32 v30, v33, v32
	v_fma_f32 v29, v33, v31, -v29
	v_fmac_f32_e32 v30, v36, v31
	v_add_u32_e64 v31, s12, 0
	ds_write2_b64 v31, v[29:30], v[29:30] offset0:41 offset1:104
.LBB168_732:
	s_or_b64 exec, exec, s[0:1]
	v_mov_b32_e32 v29, 0
	v_mov_b32_e32 v30, 0
	s_waitcnt lgkmcnt(0)
	s_barrier
	s_and_saveexec_b64 s[0:1], s[2:3]
	s_cbranch_execz .LBB168_736
; %bb.733:
	v_mul_u32_u24_e32 v31, 0x208, v13
	ds_read_b64 v[29:30], v11 offset:20816
	ds_read_b64 v[31:32], v31 offset:20800
	v_cmp_gt_u32_e64 s[12:13], 2, v1
	s_waitcnt lgkmcnt(0)
	v_mul_f32_e32 v33, v32, v30
	v_mul_f32_e32 v30, v31, v30
	v_fma_f32 v31, v31, v29, -v33
	v_fmac_f32_e32 v30, v32, v29
	v_add_f32_e32 v29, 0, v31
	v_add_f32_e32 v31, 0, v30
	s_and_saveexec_b64 s[14:15], s[12:13]
	s_cbranch_execz .LBB168_735
; %bb.734:
	v_lshlrev_b32_e32 v30, 3, v0
	v_mov_b32_e32 v34, 0
	ds_read_b64 v[32:33], v30 offset:21328
	ds_read_b64 v[34:35], v34 offset:20808
	s_waitcnt lgkmcnt(0)
	v_mul_f32_e32 v30, v35, v33
	v_mul_f32_e32 v33, v34, v33
	v_fma_f32 v30, v34, v32, -v30
	v_fmac_f32_e32 v33, v35, v32
	v_add_f32_e32 v29, v29, v30
	v_add_f32_e32 v31, v31, v33
.LBB168_735:
	s_or_b64 exec, exec, s[14:15]
	v_xor_b32_e32 v30, 0x80000000, v29
	v_xor_b32_e32 v29, 0x80000000, v31
.LBB168_736:
	s_or_b64 exec, exec, s[0:1]
	s_and_saveexec_b64 s[0:1], s[40:41]
	s_cbranch_execz .LBB168_738
; %bb.737:
	v_mov_b32_e32 v31, 0
	ds_read_b64 v[31:32], v31 offset:21840
	s_waitcnt lgkmcnt(0)
	v_mul_f32_e32 v34, v29, v32
	v_mul_f32_e32 v33, v30, v32
	v_fma_f32 v32, v30, v31, -v34
	v_fmac_f32_e32 v33, v29, v31
	v_mov_b32_e32 v30, v32
	v_mov_b32_e32 v29, v33
	ds_write_b64 v12, v[32:33]
.LBB168_738:
	s_or_b64 exec, exec, s[0:1]
	s_waitcnt lgkmcnt(0)
	s_barrier
	s_and_saveexec_b64 s[0:1], s[38:39]
	s_cbranch_execz .LBB168_740
; %bb.739:
	v_mov_b32_e32 v31, 0
	ds_read_b64 v[31:32], v31 offset:21848
	ds_read_b64 v[33:34], v12
	s_waitcnt lgkmcnt(0)
	v_mul_f32_e32 v35, v34, v32
	v_mul_f32_e32 v32, v33, v32
	v_fma_f32 v33, v33, v31, -v35
	v_fmac_f32_e32 v32, v34, v31
	v_add_f32_e32 v30, v30, v33
	v_add_f32_e32 v29, v29, v32
.LBB168_740:
	s_or_b64 exec, exec, s[0:1]
	s_barrier
	s_and_saveexec_b64 s[0:1], s[38:39]
	s_cbranch_execz .LBB168_742
; %bb.741:
	v_mov_b32_e32 v31, 0
	ds_read_b64 v[31:32], v31 offset:22360
	s_waitcnt lgkmcnt(0)
	v_mul_f32_e32 v34, v29, v32
	v_mul_f32_e32 v33, v30, v32
	v_fma_f32 v32, v30, v31, -v34
	v_fmac_f32_e32 v33, v29, v31
	v_mov_b32_e32 v30, v32
	v_mov_b32_e32 v29, v33
	ds_write_b64 v12, v[32:33]
.LBB168_742:
	s_or_b64 exec, exec, s[0:1]
	s_waitcnt lgkmcnt(0)
	s_barrier
	s_barrier
	s_and_saveexec_b64 s[0:1], s[2:3]
; %bb.743:
	v_xor_b32_e32 v31, 0x80000000, v29
	v_xor_b32_e32 v30, 0x80000000, v30
	ds_write_b64 v11, v[30:31] offset:20816
; %bb.744:
	s_or_b64 exec, exec, s[0:1]
	s_waitcnt lgkmcnt(0)
	s_barrier
	s_barrier
	s_and_saveexec_b64 s[0:1], s[42:43]
	s_cbranch_execz .LBB168_746
; %bb.745:
	v_lshlrev_b32_e32 v31, 3, v0
	s_movk_i32 s12, 0x1f8
	v_mad_u32_u24 v32, v0, s12, v31
	ds_read_b64 v[29:30], v32 offset:20816
	s_waitcnt lgkmcnt(0)
	ds_write_b64 v31, v[29:30] offset:21824
	ds_read_b64 v[29:30], v32 offset:20824
	s_waitcnt lgkmcnt(0)
	ds_write_b64 v31, v[29:30] offset:22336
.LBB168_746:
	s_or_b64 exec, exec, s[0:1]
	s_waitcnt lgkmcnt(0)
	s_barrier
	s_and_saveexec_b64 s[0:1], vcc
	s_cbranch_execz .LBB168_748
; %bb.747:
	v_mov_b32_e32 v33, 0
	ds_read_b128 v[29:32], v33 offset:21840
	ds_read_b64 v[33:34], v33 offset:22360
	s_movk_i32 s12, 0x5000
	s_waitcnt lgkmcnt(0)
	v_mul_f32_e32 v35, v34, v30
	v_mul_f32_e32 v36, v33, v30
	v_fma_f32 v33, v33, v29, -v35
	v_fmac_f32_e32 v36, v34, v29
	v_mul_f32_e32 v29, v36, v32
	v_mul_f32_e32 v30, v33, v32
	v_fma_f32 v29, v33, v31, -v29
	v_fmac_f32_e32 v30, v36, v31
	v_add_u32_e64 v31, s12, 0
	ds_write2_b64 v31, v[29:30], v[29:30] offset0:171 offset1:234
.LBB168_748:
	s_or_b64 exec, exec, s[0:1]
	v_mov_b32_e32 v29, 0
	v_mov_b32_e32 v30, 0
	s_waitcnt lgkmcnt(0)
	s_barrier
	s_and_saveexec_b64 s[0:1], s[18:19]
	s_cbranch_execz .LBB168_754
; %bb.749:
	v_mul_u32_u24_e32 v30, 0x208, v18
	ds_read_b64 v[31:32], v14 offset:20832
	ds_read_b64 v[33:34], v30 offset:20800
	v_cmp_gt_u32_e64 s[12:13], 12, v1
	s_waitcnt lgkmcnt(0)
	v_mul_f32_e32 v29, v34, v32
	v_mul_f32_e32 v32, v33, v32
	v_fma_f32 v29, v33, v31, -v29
	v_fmac_f32_e32 v32, v34, v31
	v_add_f32_e32 v29, 0, v29
	v_add_f32_e32 v31, 0, v32
	s_and_saveexec_b64 s[14:15], s[12:13]
	s_cbranch_execnz .LBB168_1158
; %bb.750:
	s_or_b64 exec, exec, s[14:15]
	v_cmp_gt_u32_e64 s[12:13], 8, v1
	s_and_saveexec_b64 s[14:15], s[12:13]
	s_cbranch_execnz .LBB168_1159
.LBB168_751:
	s_or_b64 exec, exec, s[14:15]
	v_cmp_gt_u32_e64 s[12:13], 4, v1
	s_and_saveexec_b64 s[14:15], s[12:13]
	s_cbranch_execz .LBB168_753
.LBB168_752:
	v_lshlrev_b32_e32 v30, 3, v0
	v_mov_b32_e32 v34, 0
	ds_read_b64 v[32:33], v30 offset:22368
	ds_read_b64 v[34:35], v34 offset:20824
	s_waitcnt lgkmcnt(0)
	v_mul_f32_e32 v30, v35, v33
	v_mul_f32_e32 v33, v34, v33
	v_fma_f32 v30, v34, v32, -v30
	v_fmac_f32_e32 v33, v35, v32
	v_add_f32_e32 v29, v29, v30
	v_add_f32_e32 v31, v31, v33
.LBB168_753:
	s_or_b64 exec, exec, s[14:15]
	v_xor_b32_e32 v30, 0x80000000, v29
	v_xor_b32_e32 v29, 0x80000000, v31
.LBB168_754:
	s_or_b64 exec, exec, s[0:1]
	s_and_saveexec_b64 s[0:1], s[46:47]
	s_cbranch_execz .LBB168_756
; %bb.755:
	v_mov_b32_e32 v31, 0
	ds_read_b64 v[31:32], v31 offset:22880
	s_waitcnt lgkmcnt(0)
	v_mul_f32_e32 v34, v29, v32
	v_mul_f32_e32 v33, v30, v32
	v_fma_f32 v32, v30, v31, -v34
	v_fmac_f32_e32 v33, v29, v31
	v_mov_b32_e32 v30, v32
	v_mov_b32_e32 v29, v33
	ds_write_b64 v16, v[32:33]
.LBB168_756:
	s_or_b64 exec, exec, s[0:1]
	s_waitcnt lgkmcnt(0)
	s_barrier
	s_and_saveexec_b64 s[0:1], s[48:49]
	s_cbranch_execz .LBB168_758
; %bb.757:
	ds_read_b64 v[31:32], v15 offset:22880
	ds_read_b64 v[33:34], v16
	s_waitcnt lgkmcnt(0)
	v_mul_f32_e32 v35, v34, v32
	v_mul_f32_e32 v32, v33, v32
	v_fma_f32 v33, v33, v31, -v35
	v_fmac_f32_e32 v32, v34, v31
	v_add_f32_e32 v30, v30, v33
	v_add_f32_e32 v29, v29, v32
.LBB168_758:
	s_or_b64 exec, exec, s[0:1]
	s_barrier
	s_and_saveexec_b64 s[0:1], s[50:51]
	s_cbranch_execz .LBB168_760
; %bb.759:
	v_mov_b32_e32 v31, 0
	ds_read_b64 v[31:32], v31 offset:23400
	s_waitcnt lgkmcnt(0)
	v_mul_f32_e32 v34, v29, v32
	v_mul_f32_e32 v33, v30, v32
	v_fma_f32 v32, v30, v31, -v34
	v_fmac_f32_e32 v33, v29, v31
	v_mov_b32_e32 v30, v32
	v_mov_b32_e32 v29, v33
	ds_write_b64 v16, v[32:33]
.LBB168_760:
	s_or_b64 exec, exec, s[0:1]
	s_waitcnt lgkmcnt(0)
	s_barrier
	s_and_saveexec_b64 s[0:1], s[52:53]
	s_cbranch_execz .LBB168_762
; %bb.761:
	ds_read_b64 v[31:32], v15 offset:23392
	ds_read_b64 v[33:34], v16
	s_waitcnt lgkmcnt(0)
	v_mul_f32_e32 v35, v34, v32
	v_mul_f32_e32 v32, v33, v32
	v_fma_f32 v33, v33, v31, -v35
	v_fmac_f32_e32 v32, v34, v31
	v_add_f32_e32 v30, v30, v33
	v_add_f32_e32 v29, v29, v32
.LBB168_762:
	s_or_b64 exec, exec, s[0:1]
	s_barrier
	s_and_saveexec_b64 s[0:1], s[54:55]
	s_cbranch_execz .LBB168_764
; %bb.763:
	v_mov_b32_e32 v31, 0
	ds_read_b64 v[31:32], v31 offset:23920
	s_waitcnt lgkmcnt(0)
	v_mul_f32_e32 v34, v29, v32
	v_mul_f32_e32 v33, v30, v32
	v_fma_f32 v32, v30, v31, -v34
	v_fmac_f32_e32 v33, v29, v31
	v_mov_b32_e32 v30, v32
	v_mov_b32_e32 v29, v33
	ds_write_b64 v16, v[32:33]
.LBB168_764:
	s_or_b64 exec, exec, s[0:1]
	s_waitcnt lgkmcnt(0)
	s_barrier
	s_and_saveexec_b64 s[0:1], s[44:45]
	s_cbranch_execz .LBB168_766
; %bb.765:
	v_mov_b32_e32 v31, 0
	ds_read_b64 v[31:32], v31 offset:23928
	ds_read_b64 v[33:34], v16
	s_waitcnt lgkmcnt(0)
	v_mul_f32_e32 v35, v34, v32
	v_mul_f32_e32 v32, v33, v32
	v_fma_f32 v33, v33, v31, -v35
	v_fmac_f32_e32 v32, v34, v31
	v_add_f32_e32 v30, v30, v33
	v_add_f32_e32 v29, v29, v32
.LBB168_766:
	s_or_b64 exec, exec, s[0:1]
	s_barrier
	s_and_saveexec_b64 s[0:1], s[44:45]
	s_cbranch_execz .LBB168_768
; %bb.767:
	v_mov_b32_e32 v31, 0
	ds_read_b64 v[31:32], v31 offset:24440
	s_waitcnt lgkmcnt(0)
	v_mul_f32_e32 v34, v29, v32
	v_mul_f32_e32 v33, v30, v32
	v_fma_f32 v32, v30, v31, -v34
	v_fmac_f32_e32 v33, v29, v31
	v_mov_b32_e32 v30, v32
	v_mov_b32_e32 v29, v33
	ds_write_b64 v16, v[32:33]
.LBB168_768:
	s_or_b64 exec, exec, s[0:1]
	s_waitcnt lgkmcnt(0)
	s_barrier
	s_barrier
	s_and_saveexec_b64 s[0:1], s[18:19]
; %bb.769:
	v_xor_b32_e32 v30, 0x80000000, v30
	v_xor_b32_e32 v31, 0x80000000, v29
	ds_write_b64 v14, v[30:31] offset:20832
; %bb.770:
	s_or_b64 exec, exec, s[0:1]
	s_waitcnt lgkmcnt(0)
	s_barrier
	s_barrier
	s_and_saveexec_b64 s[0:1], s[56:57]
	s_cbranch_execz .LBB168_772
; %bb.771:
	v_lshlrev_b32_e32 v31, 9, v0
	ds_read_b64 v[29:30], v31 offset:20832
	s_movk_i32 s12, 0xfe08
	v_mad_i32_i24 v32, v0, s12, v31
	s_waitcnt lgkmcnt(0)
	ds_write_b64 v32, v[29:30] offset:22848
	ds_read_b64 v[29:30], v31 offset:20840
	s_waitcnt lgkmcnt(0)
	ds_write_b64 v32, v[29:30] offset:23360
	ds_read_b64 v[29:30], v31 offset:20848
	s_waitcnt lgkmcnt(0)
	ds_write_b64 v32, v[29:30] offset:23872
	ds_read_b64 v[29:30], v31 offset:20856
	s_waitcnt lgkmcnt(0)
	ds_write_b64 v32, v[29:30] offset:24384
.LBB168_772:
	s_or_b64 exec, exec, s[0:1]
	s_waitcnt lgkmcnt(0)
	s_barrier
	s_and_saveexec_b64 s[0:1], vcc
	s_cbranch_execz .LBB168_774
; %bb.773:
	v_mov_b32_e32 v33, 0
	ds_read_b128 v[29:32], v33 offset:22880
	ds_read_b64 v[33:34], v33 offset:23400
	s_movk_i32 s12, 0x5800
	s_waitcnt lgkmcnt(0)
	v_mul_f32_e32 v35, v34, v30
	v_mul_f32_e32 v36, v33, v30
	v_fma_f32 v33, v33, v29, -v35
	v_fmac_f32_e32 v36, v34, v29
	v_mul_f32_e32 v29, v36, v32
	v_mul_f32_e32 v30, v33, v32
	v_fma_f32 v29, v33, v31, -v29
	v_fmac_f32_e32 v30, v36, v31
	v_add_u32_e64 v31, s12, 0
	ds_write2_b64 v31, v[29:30], v[29:30] offset0:45 offset1:108
.LBB168_774:
	s_or_b64 exec, exec, s[0:1]
	v_mov_b32_e32 v29, 0
	v_mov_b32_e32 v30, 0
	s_waitcnt lgkmcnt(0)
	s_barrier
	s_and_saveexec_b64 s[0:1], s[2:3]
	s_cbranch_execz .LBB168_778
; %bb.775:
	v_mul_u32_u24_e32 v31, 0x208, v13
	ds_read_b64 v[29:30], v11 offset:22896
	ds_read_b64 v[31:32], v31 offset:22880
	v_cmp_gt_u32_e64 s[12:13], 2, v1
	s_waitcnt lgkmcnt(0)
	v_mul_f32_e32 v33, v32, v30
	v_mul_f32_e32 v30, v31, v30
	v_fma_f32 v31, v31, v29, -v33
	v_fmac_f32_e32 v30, v32, v29
	v_add_f32_e32 v29, 0, v31
	v_add_f32_e32 v31, 0, v30
	s_and_saveexec_b64 s[14:15], s[12:13]
	s_cbranch_execz .LBB168_777
; %bb.776:
	v_lshlrev_b32_e32 v30, 3, v0
	v_mov_b32_e32 v34, 0
	ds_read_b64 v[32:33], v30 offset:23408
	ds_read_b64 v[34:35], v34 offset:22888
	s_waitcnt lgkmcnt(0)
	v_mul_f32_e32 v30, v35, v33
	v_mul_f32_e32 v33, v34, v33
	v_fma_f32 v30, v34, v32, -v30
	v_fmac_f32_e32 v33, v35, v32
	v_add_f32_e32 v29, v29, v30
	v_add_f32_e32 v31, v31, v33
.LBB168_777:
	s_or_b64 exec, exec, s[14:15]
	v_xor_b32_e32 v30, 0x80000000, v29
	v_xor_b32_e32 v29, 0x80000000, v31
.LBB168_778:
	s_or_b64 exec, exec, s[0:1]
	s_and_saveexec_b64 s[0:1], s[40:41]
	s_cbranch_execz .LBB168_780
; %bb.779:
	v_mov_b32_e32 v31, 0
	ds_read_b64 v[31:32], v31 offset:23920
	s_waitcnt lgkmcnt(0)
	v_mul_f32_e32 v34, v29, v32
	v_mul_f32_e32 v33, v30, v32
	v_fma_f32 v32, v30, v31, -v34
	v_fmac_f32_e32 v33, v29, v31
	v_mov_b32_e32 v30, v32
	v_mov_b32_e32 v29, v33
	ds_write_b64 v12, v[32:33]
.LBB168_780:
	s_or_b64 exec, exec, s[0:1]
	s_waitcnt lgkmcnt(0)
	s_barrier
	s_and_saveexec_b64 s[0:1], s[38:39]
	s_cbranch_execz .LBB168_782
; %bb.781:
	v_mov_b32_e32 v31, 0
	ds_read_b64 v[31:32], v31 offset:23928
	ds_read_b64 v[33:34], v12
	s_waitcnt lgkmcnt(0)
	v_mul_f32_e32 v35, v34, v32
	v_mul_f32_e32 v32, v33, v32
	v_fma_f32 v33, v33, v31, -v35
	v_fmac_f32_e32 v32, v34, v31
	v_add_f32_e32 v30, v30, v33
	v_add_f32_e32 v29, v29, v32
.LBB168_782:
	s_or_b64 exec, exec, s[0:1]
	s_barrier
	s_and_saveexec_b64 s[0:1], s[38:39]
	s_cbranch_execz .LBB168_784
; %bb.783:
	v_mov_b32_e32 v31, 0
	ds_read_b64 v[31:32], v31 offset:24440
	s_waitcnt lgkmcnt(0)
	v_mul_f32_e32 v34, v29, v32
	v_mul_f32_e32 v33, v30, v32
	v_fma_f32 v32, v30, v31, -v34
	v_fmac_f32_e32 v33, v29, v31
	v_mov_b32_e32 v30, v32
	v_mov_b32_e32 v29, v33
	ds_write_b64 v12, v[32:33]
.LBB168_784:
	s_or_b64 exec, exec, s[0:1]
	s_waitcnt lgkmcnt(0)
	s_barrier
	s_barrier
	s_and_saveexec_b64 s[0:1], s[2:3]
; %bb.785:
	v_xor_b32_e32 v31, 0x80000000, v29
	v_xor_b32_e32 v30, 0x80000000, v30
	ds_write_b64 v11, v[30:31] offset:22896
; %bb.786:
	s_or_b64 exec, exec, s[0:1]
	s_waitcnt lgkmcnt(0)
	s_barrier
	s_barrier
	s_and_saveexec_b64 s[0:1], s[42:43]
	s_cbranch_execz .LBB168_788
; %bb.787:
	v_lshlrev_b32_e32 v31, 3, v0
	s_movk_i32 s12, 0x1f8
	v_mad_u32_u24 v32, v0, s12, v31
	ds_read_b64 v[29:30], v32 offset:22896
	s_waitcnt lgkmcnt(0)
	ds_write_b64 v31, v[29:30] offset:23904
	ds_read_b64 v[29:30], v32 offset:22904
	s_waitcnt lgkmcnt(0)
	ds_write_b64 v31, v[29:30] offset:24416
.LBB168_788:
	s_or_b64 exec, exec, s[0:1]
	s_waitcnt lgkmcnt(0)
	s_barrier
	s_and_saveexec_b64 s[0:1], vcc
	s_cbranch_execz .LBB168_790
; %bb.789:
	v_mov_b32_e32 v33, 0
	ds_read_b128 v[29:32], v33 offset:23920
	ds_read_b64 v[33:34], v33 offset:24440
	s_movk_i32 s12, 0x5800
	s_waitcnt lgkmcnt(0)
	v_mul_f32_e32 v35, v34, v30
	v_mul_f32_e32 v36, v33, v30
	v_fma_f32 v33, v33, v29, -v35
	v_fmac_f32_e32 v36, v34, v29
	v_mul_f32_e32 v29, v36, v32
	v_mul_f32_e32 v30, v33, v32
	v_fma_f32 v29, v33, v31, -v29
	v_fmac_f32_e32 v30, v36, v31
	v_add_u32_e64 v31, s12, 0
	ds_write2_b64 v31, v[29:30], v[29:30] offset0:175 offset1:238
.LBB168_790:
	s_or_b64 exec, exec, s[0:1]
	v_mov_b32_e32 v29, 0
	v_mov_b32_e32 v30, 0
	s_waitcnt lgkmcnt(0)
	s_barrier
	s_and_saveexec_b64 s[0:1], s[10:11]
	s_cbranch_execz .LBB168_818
; %bb.791:
	v_mul_u32_u24_e32 v30, 0x208, v28
	ds_read_b64 v[31:32], v24 offset:16768
	ds_read_b64 v[33:34], v30 offset:16640
	s_movk_i32 s12, 0xf0
	v_cmp_gt_u32_e64 s[12:13], s12, v1
	s_waitcnt lgkmcnt(0)
	v_mul_f32_e32 v29, v34, v32
	v_mul_f32_e32 v32, v33, v32
	v_fma_f32 v29, v33, v31, -v29
	v_fmac_f32_e32 v32, v34, v31
	v_add_f32_e32 v29, 0, v29
	v_add_f32_e32 v31, 0, v32
	s_and_saveexec_b64 s[14:15], s[12:13]
	s_cbranch_execz .LBB168_793
; %bb.792:
	v_lshlrev_b32_e32 v32, 3, v28
	v_sub_u32_e32 v32, v30, v32
	v_lshl_add_u32 v32, v25, 3, v32
	ds_read_b64 v[32:33], v32 offset:17280
	ds_read_b64 v[34:35], v30 offset:16648
	s_waitcnt lgkmcnt(0)
	v_mul_f32_e32 v36, v35, v33
	v_mul_f32_e32 v33, v34, v33
	v_fma_f32 v34, v34, v32, -v36
	v_fmac_f32_e32 v33, v35, v32
	v_add_f32_e32 v29, v29, v34
	v_add_f32_e32 v31, v31, v33
.LBB168_793:
	s_or_b64 exec, exec, s[14:15]
	s_movk_i32 s12, 0xe0
	v_cmp_gt_u32_e64 s[12:13], s12, v1
	s_and_saveexec_b64 s[14:15], s[12:13]
	s_cbranch_execz .LBB168_795
; %bb.794:
	v_lshlrev_b32_e32 v32, 3, v28
	v_sub_u32_e32 v32, v30, v32
	v_lshl_add_u32 v32, v25, 3, v32
	ds_read_b64 v[32:33], v32 offset:17792
	ds_read_b64 v[34:35], v30 offset:16656
	s_waitcnt lgkmcnt(0)
	v_mul_f32_e32 v36, v35, v33
	v_mul_f32_e32 v33, v34, v33
	v_fma_f32 v34, v34, v32, -v36
	v_fmac_f32_e32 v33, v35, v32
	v_add_f32_e32 v29, v29, v34
	v_add_f32_e32 v31, v31, v33
.LBB168_795:
	s_or_b64 exec, exec, s[14:15]
	s_movk_i32 s12, 0xd0
	v_cmp_gt_u32_e64 s[12:13], s12, v1
	;; [unrolled: 19-line block ×6, first 2 shown]
	s_and_saveexec_b64 s[14:15], s[12:13]
	s_cbranch_execz .LBB168_805
; %bb.804:
	v_lshlrev_b32_e32 v28, 3, v25
	v_lshl_add_u32 v28, v27, 3, v28
	ds_read_b64 v[32:33], v28 offset:20352
	ds_read_b64 v[34:35], v30 offset:16696
	s_waitcnt lgkmcnt(0)
	v_mul_f32_e32 v28, v35, v33
	v_mul_f32_e32 v33, v34, v33
	v_fma_f32 v28, v34, v32, -v28
	v_fmac_f32_e32 v33, v35, v32
	v_add_f32_e32 v29, v29, v28
	v_add_f32_e32 v31, v31, v33
.LBB168_805:
	s_or_b64 exec, exec, s[14:15]
	s_movk_i32 s12, 0x80
	v_cmp_gt_u32_e64 s[12:13], s12, v1
	s_and_saveexec_b64 s[14:15], s[12:13]
	s_cbranch_execz .LBB168_807
; %bb.806:
	ds_read_b64 v[32:33], v24 offset:20864
	ds_read_b64 v[34:35], v30 offset:16704
	s_waitcnt lgkmcnt(0)
	v_mul_f32_e32 v28, v35, v33
	v_mul_f32_e32 v33, v34, v33
	v_fma_f32 v28, v34, v32, -v28
	v_fmac_f32_e32 v33, v35, v32
	v_add_f32_e32 v29, v29, v28
	v_add_f32_e32 v31, v31, v33
.LBB168_807:
	s_or_b64 exec, exec, s[14:15]
	s_movk_i32 s12, 0x70
	v_cmp_gt_u32_e64 s[12:13], s12, v1
	s_and_saveexec_b64 s[14:15], s[12:13]
	s_cbranch_execz .LBB168_809
; %bb.808:
	v_lshlrev_b32_e32 v28, 3, v25
	v_lshl_add_u32 v28, v27, 3, v28
	ds_read_b64 v[32:33], v28 offset:21376
	ds_read_b64 v[34:35], v30 offset:16712
	s_waitcnt lgkmcnt(0)
	v_mul_f32_e32 v28, v35, v33
	v_mul_f32_e32 v33, v34, v33
	v_fma_f32 v28, v34, v32, -v28
	v_fmac_f32_e32 v33, v35, v32
	v_add_f32_e32 v29, v29, v28
	v_add_f32_e32 v31, v31, v33
.LBB168_809:
	s_or_b64 exec, exec, s[14:15]
	s_movk_i32 s12, 0x60
	v_cmp_gt_u32_e64 s[12:13], s12, v1
	s_and_saveexec_b64 s[14:15], s[12:13]
	s_cbranch_execz .LBB168_811
; %bb.810:
	v_lshlrev_b32_e32 v28, 3, v25
	v_lshl_add_u32 v28, v27, 3, v28
	ds_read_b64 v[32:33], v28 offset:21888
	ds_read_b64 v[34:35], v30 offset:16720
	s_waitcnt lgkmcnt(0)
	v_mul_f32_e32 v28, v35, v33
	v_mul_f32_e32 v33, v34, v33
	v_fma_f32 v28, v34, v32, -v28
	v_fmac_f32_e32 v33, v35, v32
	v_add_f32_e32 v29, v29, v28
	v_add_f32_e32 v31, v31, v33
.LBB168_811:
	s_or_b64 exec, exec, s[14:15]
	s_movk_i32 s12, 0x50
	v_cmp_gt_u32_e64 s[12:13], s12, v1
	s_and_saveexec_b64 s[14:15], s[12:13]
	s_cbranch_execnz .LBB168_1160
; %bb.812:
	s_or_b64 exec, exec, s[14:15]
	v_cmp_gt_u32_e64 s[12:13], 64, v1
	s_and_saveexec_b64 s[14:15], s[12:13]
	s_cbranch_execnz .LBB168_1161
.LBB168_813:
	s_or_b64 exec, exec, s[14:15]
	v_cmp_gt_u32_e64 s[12:13], 48, v1
	s_and_saveexec_b64 s[14:15], s[12:13]
	s_cbranch_execnz .LBB168_1162
.LBB168_814:
	s_or_b64 exec, exec, s[14:15]
	v_cmp_gt_u32_e64 s[12:13], 32, v1
	s_and_saveexec_b64 s[14:15], s[12:13]
	s_cbranch_execnz .LBB168_1163
.LBB168_815:
	s_or_b64 exec, exec, s[14:15]
	v_cmp_gt_u32_e64 s[12:13], 16, v1
	s_and_saveexec_b64 s[14:15], s[12:13]
	s_cbranch_execz .LBB168_817
.LBB168_816:
	v_lshlrev_b32_e32 v27, 3, v0
	v_mov_b32_e32 v30, 0
	ds_read_b64 v[27:28], v27 offset:24448
	ds_read_b64 v[32:33], v30 offset:16760
	s_waitcnt lgkmcnt(0)
	v_mul_f32_e32 v30, v33, v28
	v_mul_f32_e32 v28, v32, v28
	v_fma_f32 v30, v32, v27, -v30
	v_fmac_f32_e32 v28, v33, v27
	v_add_f32_e32 v29, v29, v30
	v_add_f32_e32 v31, v31, v28
.LBB168_817:
	s_or_b64 exec, exec, s[14:15]
	v_xor_b32_e32 v30, 0x80000000, v29
	v_xor_b32_e32 v29, 0x80000000, v31
.LBB168_818:
	s_or_b64 exec, exec, s[0:1]
	s_mov_b64 s[0:1], exec
	v_readlane_b32 s12, v42, 5
	v_readlane_b32 s13, v42, 6
	s_and_b64 s[12:13], s[0:1], s[12:13]
	s_mov_b64 exec, s[12:13]
	s_cbranch_execz .LBB168_820
; %bb.819:
	v_mov_b32_e32 v27, 0
	ds_read_b64 v[27:28], v27 offset:24960
	s_waitcnt lgkmcnt(0)
	v_mul_f32_e32 v31, v30, v28
	v_mul_f32_e32 v32, v29, v28
	v_fmac_f32_e32 v31, v29, v27
	v_fma_f32 v30, v30, v27, -v32
	v_mov_b32_e32 v29, v31
	ds_write_b64 v26, v[30:31]
.LBB168_820:
	s_or_b64 exec, exec, s[0:1]
	s_waitcnt lgkmcnt(0)
	s_barrier
	s_mov_b64 s[0:1], exec
	v_readlane_b32 s12, v42, 7
	v_readlane_b32 s13, v42, 8
	s_and_b64 s[12:13], s[0:1], s[12:13]
	s_mov_b64 exec, s[12:13]
	s_cbranch_execz .LBB168_822
; %bb.821:
	v_lshlrev_b32_e32 v27, 3, v25
	ds_read_b64 v[27:28], v27 offset:24960
	ds_read_b64 v[31:32], v26
	s_waitcnt lgkmcnt(0)
	v_mul_f32_e32 v33, v32, v28
	v_mul_f32_e32 v28, v31, v28
	v_fma_f32 v31, v31, v27, -v33
	v_fmac_f32_e32 v28, v32, v27
	v_add_f32_e32 v30, v30, v31
	v_add_f32_e32 v29, v29, v28
.LBB168_822:
	s_or_b64 exec, exec, s[0:1]
	s_barrier
	s_mov_b64 s[0:1], exec
	v_readlane_b32 s12, v42, 9
	v_readlane_b32 s13, v42, 10
	s_and_b64 s[12:13], s[0:1], s[12:13]
	s_mov_b64 exec, s[12:13]
	s_cbranch_execz .LBB168_824
; %bb.823:
	v_mov_b32_e32 v27, 0
	ds_read_b64 v[27:28], v27 offset:25480
	s_waitcnt lgkmcnt(0)
	v_mul_f32_e32 v31, v30, v28
	v_mul_f32_e32 v32, v29, v28
	v_fmac_f32_e32 v31, v29, v27
	v_fma_f32 v30, v30, v27, -v32
	v_mov_b32_e32 v29, v31
	ds_write_b64 v26, v[30:31]
.LBB168_824:
	s_or_b64 exec, exec, s[0:1]
	s_waitcnt lgkmcnt(0)
	s_barrier
	s_mov_b64 s[0:1], exec
	v_readlane_b32 s12, v42, 11
	v_readlane_b32 s13, v42, 12
	s_and_b64 s[12:13], s[0:1], s[12:13]
	s_mov_b64 exec, s[12:13]
	s_cbranch_execz .LBB168_826
; %bb.825:
	v_lshlrev_b32_e32 v27, 3, v25
	ds_read_b64 v[27:28], v27 offset:25472
	ds_read_b64 v[31:32], v26
	s_waitcnt lgkmcnt(0)
	v_mul_f32_e32 v33, v32, v28
	v_mul_f32_e32 v28, v31, v28
	v_fma_f32 v31, v31, v27, -v33
	v_fmac_f32_e32 v28, v32, v27
	v_add_f32_e32 v30, v30, v31
	v_add_f32_e32 v29, v29, v28
.LBB168_826:
	s_or_b64 exec, exec, s[0:1]
	s_barrier
	;; [unrolled: 40-line block ×14, first 2 shown]
	s_and_saveexec_b64 s[0:1], s[92:93]
	s_cbranch_execz .LBB168_876
; %bb.875:
	v_mov_b32_e32 v25, 0
	ds_read_b64 v[27:28], v25 offset:32240
	s_waitcnt lgkmcnt(0)
	v_mul_f32_e32 v31, v30, v28
	v_mul_f32_e32 v25, v29, v28
	v_fmac_f32_e32 v31, v29, v27
	v_fma_f32 v30, v30, v27, -v25
	v_mov_b32_e32 v29, v31
	ds_write_b64 v26, v[30:31]
.LBB168_876:
	s_or_b64 exec, exec, s[0:1]
	s_waitcnt lgkmcnt(0)
	s_barrier
	s_and_saveexec_b64 s[0:1], s[94:95]
	s_cbranch_execz .LBB168_878
; %bb.877:
	v_mov_b32_e32 v25, 0
	ds_read_b64 v[27:28], v25 offset:32248
	ds_read_b64 v[31:32], v26
	s_waitcnt lgkmcnt(0)
	v_mul_f32_e32 v25, v32, v28
	v_mul_f32_e32 v28, v31, v28
	v_fma_f32 v25, v31, v27, -v25
	v_fmac_f32_e32 v28, v32, v27
	v_add_f32_e32 v30, v30, v25
	v_add_f32_e32 v29, v29, v28
.LBB168_878:
	s_or_b64 exec, exec, s[0:1]
	s_barrier
	s_and_saveexec_b64 s[0:1], s[94:95]
	s_cbranch_execz .LBB168_880
; %bb.879:
	v_mov_b32_e32 v25, 0
	ds_read_b64 v[27:28], v25 offset:32760
	s_waitcnt lgkmcnt(0)
	v_mul_f32_e32 v31, v30, v28
	v_mul_f32_e32 v25, v29, v28
	v_fmac_f32_e32 v31, v29, v27
	v_fma_f32 v30, v30, v27, -v25
	v_mov_b32_e32 v29, v31
	ds_write_b64 v26, v[30:31]
.LBB168_880:
	s_or_b64 exec, exec, s[0:1]
	s_waitcnt lgkmcnt(0)
	s_barrier
	s_barrier
	s_and_saveexec_b64 s[0:1], s[10:11]
; %bb.881:
	v_xor_b32_e32 v25, 0x80000000, v30
	v_xor_b32_e32 v26, 0x80000000, v29
	ds_write_b64 v24, v[25:26] offset:16768
; %bb.882:
	s_or_b64 exec, exec, s[0:1]
	s_waitcnt lgkmcnt(0)
	s_barrier
	s_barrier
	s_and_saveexec_b64 s[0:1], s[22:23]
	s_cbranch_execz .LBB168_884
; %bb.883:
	v_lshlrev_b32_e32 v26, 9, v0
	ds_read_b64 v[24:25], v26 offset:16768
	s_movk_i32 s10, 0xfe08
	v_mad_i32_i24 v27, v0, s10, v26
	s_waitcnt lgkmcnt(0)
	ds_write_b64 v27, v[24:25] offset:24832
	ds_read_b64 v[24:25], v26 offset:16776
	s_waitcnt lgkmcnt(0)
	ds_write_b64 v27, v[24:25] offset:25344
	ds_read_b64 v[24:25], v26 offset:16784
	;; [unrolled: 3-line block ×15, first 2 shown]
	s_waitcnt lgkmcnt(0)
	ds_write_b64 v27, v[24:25] offset:32512
.LBB168_884:
	s_or_b64 exec, exec, s[0:1]
	s_waitcnt lgkmcnt(0)
	s_barrier
	s_and_saveexec_b64 s[0:1], vcc
	s_cbranch_execz .LBB168_886
; %bb.885:
	v_mov_b32_e32 v28, 0
	ds_read_b128 v[24:27], v28 offset:24960
	ds_read_b64 v[28:29], v28 offset:25480
	s_movk_i32 s10, 0x6000
	s_waitcnt lgkmcnt(0)
	v_mul_f32_e32 v30, v29, v25
	v_mul_f32_e32 v31, v28, v25
	v_fma_f32 v28, v28, v24, -v30
	v_fmac_f32_e32 v31, v29, v24
	v_mul_f32_e32 v24, v31, v27
	v_mul_f32_e32 v25, v28, v27
	v_fma_f32 v24, v28, v26, -v24
	v_fmac_f32_e32 v25, v31, v26
	v_add_u32_e64 v26, s10, 0
	ds_write2_b64 v26, v[24:25], v[24:25] offset0:49 offset1:112
.LBB168_886:
	s_or_b64 exec, exec, s[0:1]
	v_mov_b32_e32 v24, 0
	v_mov_b32_e32 v25, 0
	s_waitcnt lgkmcnt(0)
	s_barrier
	s_and_saveexec_b64 s[0:1], s[2:3]
	s_cbranch_execz .LBB168_890
; %bb.887:
	v_mul_u32_u24_e32 v26, 0x208, v13
	ds_read_b64 v[24:25], v11 offset:24976
	ds_read_b64 v[26:27], v26 offset:24960
	v_cmp_gt_u32_e64 s[10:11], 2, v1
	s_waitcnt lgkmcnt(0)
	v_mul_f32_e32 v28, v27, v25
	v_mul_f32_e32 v25, v26, v25
	v_fma_f32 v26, v26, v24, -v28
	v_fmac_f32_e32 v25, v27, v24
	v_add_f32_e32 v24, 0, v26
	v_add_f32_e32 v26, 0, v25
	s_and_saveexec_b64 s[12:13], s[10:11]
	s_cbranch_execz .LBB168_889
; %bb.888:
	v_lshlrev_b32_e32 v25, 3, v0
	v_mov_b32_e32 v29, 0
	ds_read_b64 v[27:28], v25 offset:25488
	ds_read_b64 v[29:30], v29 offset:24968
	s_waitcnt lgkmcnt(0)
	v_mul_f32_e32 v25, v30, v28
	v_mul_f32_e32 v28, v29, v28
	v_fma_f32 v25, v29, v27, -v25
	v_fmac_f32_e32 v28, v30, v27
	v_add_f32_e32 v24, v24, v25
	v_add_f32_e32 v26, v26, v28
.LBB168_889:
	s_or_b64 exec, exec, s[12:13]
	v_xor_b32_e32 v25, 0x80000000, v24
	v_xor_b32_e32 v24, 0x80000000, v26
.LBB168_890:
	s_or_b64 exec, exec, s[0:1]
	s_and_saveexec_b64 s[0:1], s[40:41]
	s_cbranch_execz .LBB168_892
; %bb.891:
	v_mov_b32_e32 v26, 0
	ds_read_b64 v[26:27], v26 offset:26000
	s_waitcnt lgkmcnt(0)
	v_mul_f32_e32 v29, v24, v27
	v_mul_f32_e32 v28, v25, v27
	v_fma_f32 v27, v25, v26, -v29
	v_fmac_f32_e32 v28, v24, v26
	v_mov_b32_e32 v25, v27
	v_mov_b32_e32 v24, v28
	ds_write_b64 v12, v[27:28]
.LBB168_892:
	s_or_b64 exec, exec, s[0:1]
	s_waitcnt lgkmcnt(0)
	s_barrier
	s_and_saveexec_b64 s[0:1], s[38:39]
	s_cbranch_execz .LBB168_894
; %bb.893:
	v_mov_b32_e32 v26, 0
	ds_read_b64 v[26:27], v26 offset:26008
	ds_read_b64 v[28:29], v12
	s_waitcnt lgkmcnt(0)
	v_mul_f32_e32 v30, v29, v27
	v_mul_f32_e32 v27, v28, v27
	v_fma_f32 v28, v28, v26, -v30
	v_fmac_f32_e32 v27, v29, v26
	v_add_f32_e32 v25, v25, v28
	v_add_f32_e32 v24, v24, v27
.LBB168_894:
	s_or_b64 exec, exec, s[0:1]
	s_barrier
	s_and_saveexec_b64 s[0:1], s[38:39]
	s_cbranch_execz .LBB168_896
; %bb.895:
	v_mov_b32_e32 v26, 0
	ds_read_b64 v[26:27], v26 offset:26520
	s_waitcnt lgkmcnt(0)
	v_mul_f32_e32 v29, v24, v27
	v_mul_f32_e32 v28, v25, v27
	v_fma_f32 v27, v25, v26, -v29
	v_fmac_f32_e32 v28, v24, v26
	v_mov_b32_e32 v25, v27
	v_mov_b32_e32 v24, v28
	ds_write_b64 v12, v[27:28]
.LBB168_896:
	s_or_b64 exec, exec, s[0:1]
	s_waitcnt lgkmcnt(0)
	s_barrier
	s_barrier
	s_and_saveexec_b64 s[0:1], s[2:3]
; %bb.897:
	v_xor_b32_e32 v26, 0x80000000, v24
	v_xor_b32_e32 v25, 0x80000000, v25
	ds_write_b64 v11, v[25:26] offset:24976
; %bb.898:
	s_or_b64 exec, exec, s[0:1]
	s_waitcnt lgkmcnt(0)
	s_barrier
	s_barrier
	s_and_saveexec_b64 s[0:1], s[42:43]
	s_cbranch_execz .LBB168_900
; %bb.899:
	v_lshlrev_b32_e32 v26, 3, v0
	s_movk_i32 s10, 0x1f8
	v_mad_u32_u24 v27, v0, s10, v26
	ds_read_b64 v[24:25], v27 offset:24976
	s_waitcnt lgkmcnt(0)
	ds_write_b64 v26, v[24:25] offset:25984
	ds_read_b64 v[24:25], v27 offset:24984
	s_waitcnt lgkmcnt(0)
	ds_write_b64 v26, v[24:25] offset:26496
.LBB168_900:
	s_or_b64 exec, exec, s[0:1]
	s_waitcnt lgkmcnt(0)
	s_barrier
	s_and_saveexec_b64 s[0:1], vcc
	s_cbranch_execz .LBB168_902
; %bb.901:
	v_mov_b32_e32 v28, 0
	ds_read_b128 v[24:27], v28 offset:26000
	ds_read_b64 v[28:29], v28 offset:26520
	s_movk_i32 s10, 0x6000
	s_waitcnt lgkmcnt(0)
	v_mul_f32_e32 v30, v29, v25
	v_mul_f32_e32 v31, v28, v25
	v_fma_f32 v28, v28, v24, -v30
	v_fmac_f32_e32 v31, v29, v24
	v_mul_f32_e32 v24, v31, v27
	v_mul_f32_e32 v25, v28, v27
	v_fma_f32 v24, v28, v26, -v24
	v_fmac_f32_e32 v25, v31, v26
	v_add_u32_e64 v26, s10, 0
	ds_write2_b64 v26, v[24:25], v[24:25] offset0:179 offset1:242
.LBB168_902:
	s_or_b64 exec, exec, s[0:1]
	v_mov_b32_e32 v24, 0
	v_mov_b32_e32 v25, 0
	s_waitcnt lgkmcnt(0)
	s_barrier
	s_and_saveexec_b64 s[0:1], s[18:19]
	s_cbranch_execz .LBB168_908
; %bb.903:
	v_mul_u32_u24_e32 v25, 0x208, v18
	ds_read_b64 v[26:27], v14 offset:24992
	ds_read_b64 v[28:29], v25 offset:24960
	v_cmp_gt_u32_e64 s[10:11], 12, v1
	s_waitcnt lgkmcnt(0)
	v_mul_f32_e32 v24, v29, v27
	v_mul_f32_e32 v27, v28, v27
	v_fma_f32 v24, v28, v26, -v24
	v_fmac_f32_e32 v27, v29, v26
	v_add_f32_e32 v24, 0, v24
	v_add_f32_e32 v26, 0, v27
	s_and_saveexec_b64 s[12:13], s[10:11]
	s_cbranch_execnz .LBB168_1164
; %bb.904:
	s_or_b64 exec, exec, s[12:13]
	v_cmp_gt_u32_e64 s[10:11], 8, v1
	s_and_saveexec_b64 s[12:13], s[10:11]
	s_cbranch_execnz .LBB168_1165
.LBB168_905:
	s_or_b64 exec, exec, s[12:13]
	v_cmp_gt_u32_e64 s[10:11], 4, v1
	s_and_saveexec_b64 s[12:13], s[10:11]
	s_cbranch_execz .LBB168_907
.LBB168_906:
	v_lshlrev_b32_e32 v25, 3, v0
	v_mov_b32_e32 v29, 0
	ds_read_b64 v[27:28], v25 offset:26528
	ds_read_b64 v[29:30], v29 offset:24984
	s_waitcnt lgkmcnt(0)
	v_mul_f32_e32 v25, v30, v28
	v_mul_f32_e32 v28, v29, v28
	v_fma_f32 v25, v29, v27, -v25
	v_fmac_f32_e32 v28, v30, v27
	v_add_f32_e32 v24, v24, v25
	v_add_f32_e32 v26, v26, v28
.LBB168_907:
	s_or_b64 exec, exec, s[12:13]
	v_xor_b32_e32 v25, 0x80000000, v24
	v_xor_b32_e32 v24, 0x80000000, v26
.LBB168_908:
	s_or_b64 exec, exec, s[0:1]
	s_and_saveexec_b64 s[0:1], s[46:47]
	s_cbranch_execz .LBB168_910
; %bb.909:
	v_mov_b32_e32 v26, 0
	ds_read_b64 v[26:27], v26 offset:27040
	s_waitcnt lgkmcnt(0)
	v_mul_f32_e32 v29, v24, v27
	v_mul_f32_e32 v28, v25, v27
	v_fma_f32 v27, v25, v26, -v29
	v_fmac_f32_e32 v28, v24, v26
	v_mov_b32_e32 v25, v27
	v_mov_b32_e32 v24, v28
	ds_write_b64 v16, v[27:28]
.LBB168_910:
	s_or_b64 exec, exec, s[0:1]
	s_waitcnt lgkmcnt(0)
	s_barrier
	s_and_saveexec_b64 s[0:1], s[48:49]
	s_cbranch_execz .LBB168_912
; %bb.911:
	ds_read_b64 v[26:27], v15 offset:27040
	ds_read_b64 v[28:29], v16
	s_waitcnt lgkmcnt(0)
	v_mul_f32_e32 v30, v29, v27
	v_mul_f32_e32 v27, v28, v27
	v_fma_f32 v28, v28, v26, -v30
	v_fmac_f32_e32 v27, v29, v26
	v_add_f32_e32 v25, v25, v28
	v_add_f32_e32 v24, v24, v27
.LBB168_912:
	s_or_b64 exec, exec, s[0:1]
	s_barrier
	s_and_saveexec_b64 s[0:1], s[50:51]
	s_cbranch_execz .LBB168_914
; %bb.913:
	v_mov_b32_e32 v26, 0
	ds_read_b64 v[26:27], v26 offset:27560
	s_waitcnt lgkmcnt(0)
	v_mul_f32_e32 v29, v24, v27
	v_mul_f32_e32 v28, v25, v27
	v_fma_f32 v27, v25, v26, -v29
	v_fmac_f32_e32 v28, v24, v26
	v_mov_b32_e32 v25, v27
	v_mov_b32_e32 v24, v28
	ds_write_b64 v16, v[27:28]
.LBB168_914:
	s_or_b64 exec, exec, s[0:1]
	s_waitcnt lgkmcnt(0)
	s_barrier
	s_and_saveexec_b64 s[0:1], s[52:53]
	s_cbranch_execz .LBB168_916
; %bb.915:
	ds_read_b64 v[26:27], v15 offset:27552
	ds_read_b64 v[28:29], v16
	s_waitcnt lgkmcnt(0)
	v_mul_f32_e32 v30, v29, v27
	v_mul_f32_e32 v27, v28, v27
	v_fma_f32 v28, v28, v26, -v30
	v_fmac_f32_e32 v27, v29, v26
	v_add_f32_e32 v25, v25, v28
	v_add_f32_e32 v24, v24, v27
.LBB168_916:
	s_or_b64 exec, exec, s[0:1]
	s_barrier
	s_and_saveexec_b64 s[0:1], s[54:55]
	s_cbranch_execz .LBB168_918
; %bb.917:
	v_mov_b32_e32 v26, 0
	ds_read_b64 v[26:27], v26 offset:28080
	s_waitcnt lgkmcnt(0)
	v_mul_f32_e32 v29, v24, v27
	v_mul_f32_e32 v28, v25, v27
	v_fma_f32 v27, v25, v26, -v29
	v_fmac_f32_e32 v28, v24, v26
	v_mov_b32_e32 v25, v27
	v_mov_b32_e32 v24, v28
	ds_write_b64 v16, v[27:28]
.LBB168_918:
	s_or_b64 exec, exec, s[0:1]
	s_waitcnt lgkmcnt(0)
	s_barrier
	s_and_saveexec_b64 s[0:1], s[44:45]
	s_cbranch_execz .LBB168_920
; %bb.919:
	v_mov_b32_e32 v26, 0
	ds_read_b64 v[26:27], v26 offset:28088
	ds_read_b64 v[28:29], v16
	s_waitcnt lgkmcnt(0)
	v_mul_f32_e32 v30, v29, v27
	v_mul_f32_e32 v27, v28, v27
	v_fma_f32 v28, v28, v26, -v30
	v_fmac_f32_e32 v27, v29, v26
	v_add_f32_e32 v25, v25, v28
	v_add_f32_e32 v24, v24, v27
.LBB168_920:
	s_or_b64 exec, exec, s[0:1]
	s_barrier
	s_and_saveexec_b64 s[0:1], s[44:45]
	s_cbranch_execz .LBB168_922
; %bb.921:
	v_mov_b32_e32 v26, 0
	ds_read_b64 v[26:27], v26 offset:28600
	s_waitcnt lgkmcnt(0)
	v_mul_f32_e32 v29, v24, v27
	v_mul_f32_e32 v28, v25, v27
	v_fma_f32 v27, v25, v26, -v29
	v_fmac_f32_e32 v28, v24, v26
	v_mov_b32_e32 v25, v27
	v_mov_b32_e32 v24, v28
	ds_write_b64 v16, v[27:28]
.LBB168_922:
	s_or_b64 exec, exec, s[0:1]
	s_waitcnt lgkmcnt(0)
	s_barrier
	s_barrier
	s_and_saveexec_b64 s[0:1], s[18:19]
; %bb.923:
	v_xor_b32_e32 v25, 0x80000000, v25
	v_xor_b32_e32 v26, 0x80000000, v24
	ds_write_b64 v14, v[25:26] offset:24992
; %bb.924:
	s_or_b64 exec, exec, s[0:1]
	s_waitcnt lgkmcnt(0)
	s_barrier
	s_barrier
	s_and_saveexec_b64 s[0:1], s[56:57]
	s_cbranch_execz .LBB168_926
; %bb.925:
	v_lshlrev_b32_e32 v26, 9, v0
	ds_read_b64 v[24:25], v26 offset:24992
	s_movk_i32 s10, 0xfe08
	v_mad_i32_i24 v27, v0, s10, v26
	s_waitcnt lgkmcnt(0)
	ds_write_b64 v27, v[24:25] offset:27008
	ds_read_b64 v[24:25], v26 offset:25000
	s_waitcnt lgkmcnt(0)
	ds_write_b64 v27, v[24:25] offset:27520
	ds_read_b64 v[24:25], v26 offset:25008
	;; [unrolled: 3-line block ×3, first 2 shown]
	s_waitcnt lgkmcnt(0)
	ds_write_b64 v27, v[24:25] offset:28544
.LBB168_926:
	s_or_b64 exec, exec, s[0:1]
	s_waitcnt lgkmcnt(0)
	s_barrier
	s_and_saveexec_b64 s[0:1], vcc
	s_cbranch_execz .LBB168_928
; %bb.927:
	v_mov_b32_e32 v28, 0
	ds_read_b128 v[24:27], v28 offset:27040
	ds_read_b64 v[28:29], v28 offset:27560
	s_movk_i32 s10, 0x6800
	s_waitcnt lgkmcnt(0)
	v_mul_f32_e32 v30, v29, v25
	v_mul_f32_e32 v31, v28, v25
	v_fma_f32 v28, v28, v24, -v30
	v_fmac_f32_e32 v31, v29, v24
	v_mul_f32_e32 v24, v31, v27
	v_mul_f32_e32 v25, v28, v27
	v_fma_f32 v24, v28, v26, -v24
	v_fmac_f32_e32 v25, v31, v26
	v_add_u32_e64 v26, s10, 0
	ds_write2_b64 v26, v[24:25], v[24:25] offset0:53 offset1:116
.LBB168_928:
	s_or_b64 exec, exec, s[0:1]
	v_mov_b32_e32 v24, 0
	v_mov_b32_e32 v25, 0
	s_waitcnt lgkmcnt(0)
	s_barrier
	s_and_saveexec_b64 s[0:1], s[2:3]
	s_cbranch_execz .LBB168_932
; %bb.929:
	v_mul_u32_u24_e32 v26, 0x208, v13
	ds_read_b64 v[24:25], v11 offset:27056
	ds_read_b64 v[26:27], v26 offset:27040
	v_cmp_gt_u32_e64 s[10:11], 2, v1
	s_waitcnt lgkmcnt(0)
	v_mul_f32_e32 v28, v27, v25
	v_mul_f32_e32 v25, v26, v25
	v_fma_f32 v26, v26, v24, -v28
	v_fmac_f32_e32 v25, v27, v24
	v_add_f32_e32 v24, 0, v26
	v_add_f32_e32 v26, 0, v25
	s_and_saveexec_b64 s[12:13], s[10:11]
	s_cbranch_execz .LBB168_931
; %bb.930:
	v_lshlrev_b32_e32 v25, 3, v0
	v_mov_b32_e32 v29, 0
	ds_read_b64 v[27:28], v25 offset:27568
	ds_read_b64 v[29:30], v29 offset:27048
	s_waitcnt lgkmcnt(0)
	v_mul_f32_e32 v25, v30, v28
	v_mul_f32_e32 v28, v29, v28
	v_fma_f32 v25, v29, v27, -v25
	v_fmac_f32_e32 v28, v30, v27
	v_add_f32_e32 v24, v24, v25
	v_add_f32_e32 v26, v26, v28
.LBB168_931:
	s_or_b64 exec, exec, s[12:13]
	v_xor_b32_e32 v25, 0x80000000, v24
	v_xor_b32_e32 v24, 0x80000000, v26
.LBB168_932:
	s_or_b64 exec, exec, s[0:1]
	s_and_saveexec_b64 s[0:1], s[40:41]
	s_cbranch_execz .LBB168_934
; %bb.933:
	v_mov_b32_e32 v26, 0
	ds_read_b64 v[26:27], v26 offset:28080
	s_waitcnt lgkmcnt(0)
	v_mul_f32_e32 v29, v24, v27
	v_mul_f32_e32 v28, v25, v27
	v_fma_f32 v27, v25, v26, -v29
	v_fmac_f32_e32 v28, v24, v26
	v_mov_b32_e32 v25, v27
	v_mov_b32_e32 v24, v28
	ds_write_b64 v12, v[27:28]
.LBB168_934:
	s_or_b64 exec, exec, s[0:1]
	s_waitcnt lgkmcnt(0)
	s_barrier
	s_and_saveexec_b64 s[0:1], s[38:39]
	s_cbranch_execz .LBB168_936
; %bb.935:
	v_mov_b32_e32 v26, 0
	ds_read_b64 v[26:27], v26 offset:28088
	ds_read_b64 v[28:29], v12
	s_waitcnt lgkmcnt(0)
	v_mul_f32_e32 v30, v29, v27
	v_mul_f32_e32 v27, v28, v27
	v_fma_f32 v28, v28, v26, -v30
	v_fmac_f32_e32 v27, v29, v26
	v_add_f32_e32 v25, v25, v28
	v_add_f32_e32 v24, v24, v27
.LBB168_936:
	s_or_b64 exec, exec, s[0:1]
	s_barrier
	s_and_saveexec_b64 s[0:1], s[38:39]
	s_cbranch_execz .LBB168_938
; %bb.937:
	v_mov_b32_e32 v26, 0
	ds_read_b64 v[26:27], v26 offset:28600
	s_waitcnt lgkmcnt(0)
	v_mul_f32_e32 v29, v24, v27
	v_mul_f32_e32 v28, v25, v27
	v_fma_f32 v27, v25, v26, -v29
	v_fmac_f32_e32 v28, v24, v26
	v_mov_b32_e32 v25, v27
	v_mov_b32_e32 v24, v28
	ds_write_b64 v12, v[27:28]
.LBB168_938:
	s_or_b64 exec, exec, s[0:1]
	s_waitcnt lgkmcnt(0)
	s_barrier
	s_barrier
	s_and_saveexec_b64 s[0:1], s[2:3]
; %bb.939:
	v_xor_b32_e32 v26, 0x80000000, v24
	v_xor_b32_e32 v25, 0x80000000, v25
	ds_write_b64 v11, v[25:26] offset:27056
; %bb.940:
	s_or_b64 exec, exec, s[0:1]
	s_waitcnt lgkmcnt(0)
	s_barrier
	s_barrier
	s_and_saveexec_b64 s[0:1], s[42:43]
	s_cbranch_execz .LBB168_942
; %bb.941:
	v_lshlrev_b32_e32 v26, 3, v0
	s_movk_i32 s10, 0x1f8
	v_mad_u32_u24 v27, v0, s10, v26
	ds_read_b64 v[24:25], v27 offset:27056
	s_waitcnt lgkmcnt(0)
	ds_write_b64 v26, v[24:25] offset:28064
	ds_read_b64 v[24:25], v27 offset:27064
	s_waitcnt lgkmcnt(0)
	ds_write_b64 v26, v[24:25] offset:28576
.LBB168_942:
	s_or_b64 exec, exec, s[0:1]
	s_waitcnt lgkmcnt(0)
	s_barrier
	s_and_saveexec_b64 s[0:1], vcc
	s_cbranch_execz .LBB168_944
; %bb.943:
	v_mov_b32_e32 v28, 0
	ds_read_b128 v[24:27], v28 offset:28080
	ds_read_b64 v[28:29], v28 offset:28600
	s_movk_i32 s10, 0x6800
	s_waitcnt lgkmcnt(0)
	v_mul_f32_e32 v30, v29, v25
	v_mul_f32_e32 v31, v28, v25
	v_fma_f32 v28, v28, v24, -v30
	v_fmac_f32_e32 v31, v29, v24
	v_mul_f32_e32 v24, v31, v27
	v_mul_f32_e32 v25, v28, v27
	v_fma_f32 v24, v28, v26, -v24
	v_fmac_f32_e32 v25, v31, v26
	v_add_u32_e64 v26, s10, 0
	ds_write2_b64 v26, v[24:25], v[24:25] offset0:183 offset1:246
.LBB168_944:
	s_or_b64 exec, exec, s[0:1]
	v_mov_b32_e32 v24, 0
	v_mov_b32_e32 v25, 0
	s_waitcnt lgkmcnt(0)
	s_barrier
	s_and_saveexec_b64 s[0:1], s[8:9]
	s_cbranch_execz .LBB168_954
; %bb.945:
	v_mul_u32_u24_e32 v25, 0x208, v23
	ds_read_b64 v[26:27], v19 offset:25024
	ds_read_b64 v[28:29], v25 offset:24960
	v_cmp_gt_u32_e64 s[10:11], 56, v1
	s_waitcnt lgkmcnt(0)
	v_mul_f32_e32 v24, v29, v27
	v_mul_f32_e32 v27, v28, v27
	v_fma_f32 v24, v28, v26, -v24
	v_fmac_f32_e32 v27, v29, v26
	v_add_f32_e32 v24, 0, v24
	v_add_f32_e32 v26, 0, v27
	s_and_saveexec_b64 s[12:13], s[10:11]
	s_cbranch_execnz .LBB168_1166
; %bb.946:
	s_or_b64 exec, exec, s[12:13]
	v_cmp_gt_u32_e64 s[10:11], 48, v1
	s_and_saveexec_b64 s[12:13], s[10:11]
	s_cbranch_execnz .LBB168_1167
.LBB168_947:
	s_or_b64 exec, exec, s[12:13]
	v_cmp_gt_u32_e64 s[10:11], 40, v1
	s_and_saveexec_b64 s[12:13], s[10:11]
	s_cbranch_execnz .LBB168_1168
.LBB168_948:
	s_or_b64 exec, exec, s[12:13]
	v_cmp_gt_u32_e64 s[10:11], 32, v1
	s_and_saveexec_b64 s[12:13], s[10:11]
	s_cbranch_execnz .LBB168_1169
.LBB168_949:
	s_or_b64 exec, exec, s[12:13]
	v_cmp_gt_u32_e64 s[10:11], 24, v1
	s_and_saveexec_b64 s[12:13], s[10:11]
	s_cbranch_execnz .LBB168_1170
.LBB168_950:
	s_or_b64 exec, exec, s[12:13]
	v_cmp_gt_u32_e64 s[10:11], 16, v1
	s_and_saveexec_b64 s[12:13], s[10:11]
	s_cbranch_execnz .LBB168_1171
.LBB168_951:
	s_or_b64 exec, exec, s[12:13]
	v_cmp_gt_u32_e64 s[10:11], 8, v1
	s_and_saveexec_b64 s[12:13], s[10:11]
	s_cbranch_execz .LBB168_953
.LBB168_952:
	v_lshlrev_b32_e32 v22, 3, v0
	v_mov_b32_e32 v25, 0
	ds_read_b64 v[22:23], v22 offset:28608
	ds_read_b64 v[27:28], v25 offset:25016
	s_waitcnt lgkmcnt(0)
	v_mul_f32_e32 v25, v28, v23
	v_mul_f32_e32 v23, v27, v23
	v_fma_f32 v25, v27, v22, -v25
	v_fmac_f32_e32 v23, v28, v22
	v_add_f32_e32 v24, v24, v25
	v_add_f32_e32 v26, v26, v23
.LBB168_953:
	s_or_b64 exec, exec, s[12:13]
	v_xor_b32_e32 v25, 0x80000000, v24
	v_xor_b32_e32 v24, 0x80000000, v26
.LBB168_954:
	s_or_b64 exec, exec, s[0:1]
	s_and_saveexec_b64 s[0:1], s[60:61]
	s_cbranch_execz .LBB168_956
; %bb.955:
	v_mov_b32_e32 v22, 0
	ds_read_b64 v[22:23], v22 offset:29120
	s_waitcnt lgkmcnt(0)
	v_mul_f32_e32 v26, v25, v23
	v_mul_f32_e32 v27, v24, v23
	v_fmac_f32_e32 v26, v24, v22
	v_fma_f32 v25, v25, v22, -v27
	v_mov_b32_e32 v24, v26
	ds_write_b64 v21, v[25:26]
.LBB168_956:
	s_or_b64 exec, exec, s[0:1]
	s_waitcnt lgkmcnt(0)
	s_barrier
	s_and_saveexec_b64 s[0:1], s[62:63]
	s_cbranch_execz .LBB168_958
; %bb.957:
	ds_read_b64 v[22:23], v20 offset:29120
	ds_read_b64 v[26:27], v21
	s_waitcnt lgkmcnt(0)
	v_mul_f32_e32 v28, v27, v23
	v_mul_f32_e32 v23, v26, v23
	v_fma_f32 v26, v26, v22, -v28
	v_fmac_f32_e32 v23, v27, v22
	v_add_f32_e32 v25, v25, v26
	v_add_f32_e32 v24, v24, v23
.LBB168_958:
	s_or_b64 exec, exec, s[0:1]
	s_barrier
	s_and_saveexec_b64 s[0:1], s[64:65]
	s_cbranch_execz .LBB168_960
; %bb.959:
	v_mov_b32_e32 v22, 0
	ds_read_b64 v[22:23], v22 offset:29640
	s_waitcnt lgkmcnt(0)
	v_mul_f32_e32 v26, v25, v23
	v_mul_f32_e32 v27, v24, v23
	v_fmac_f32_e32 v26, v24, v22
	v_fma_f32 v25, v25, v22, -v27
	v_mov_b32_e32 v24, v26
	ds_write_b64 v21, v[25:26]
.LBB168_960:
	s_or_b64 exec, exec, s[0:1]
	s_waitcnt lgkmcnt(0)
	s_barrier
	s_and_saveexec_b64 s[0:1], s[66:67]
	s_cbranch_execz .LBB168_962
; %bb.961:
	ds_read_b64 v[22:23], v20 offset:29632
	ds_read_b64 v[26:27], v21
	s_waitcnt lgkmcnt(0)
	v_mul_f32_e32 v28, v27, v23
	v_mul_f32_e32 v23, v26, v23
	v_fma_f32 v26, v26, v22, -v28
	v_fmac_f32_e32 v23, v27, v22
	v_add_f32_e32 v25, v25, v26
	v_add_f32_e32 v24, v24, v23
.LBB168_962:
	s_or_b64 exec, exec, s[0:1]
	s_barrier
	;; [unrolled: 31-line block ×6, first 2 shown]
	s_and_saveexec_b64 s[0:1], s[84:85]
	s_cbranch_execz .LBB168_980
; %bb.979:
	v_mov_b32_e32 v20, 0
	ds_read_b64 v[22:23], v20 offset:32240
	s_waitcnt lgkmcnt(0)
	v_mul_f32_e32 v26, v25, v23
	v_mul_f32_e32 v20, v24, v23
	v_fmac_f32_e32 v26, v24, v22
	v_fma_f32 v25, v25, v22, -v20
	v_mov_b32_e32 v24, v26
	ds_write_b64 v21, v[25:26]
.LBB168_980:
	s_or_b64 exec, exec, s[0:1]
	s_waitcnt lgkmcnt(0)
	s_barrier
	s_and_saveexec_b64 s[0:1], s[58:59]
	s_cbranch_execz .LBB168_982
; %bb.981:
	v_mov_b32_e32 v20, 0
	ds_read_b64 v[22:23], v20 offset:32248
	ds_read_b64 v[26:27], v21
	s_waitcnt lgkmcnt(0)
	v_mul_f32_e32 v20, v27, v23
	v_mul_f32_e32 v23, v26, v23
	v_fma_f32 v20, v26, v22, -v20
	v_fmac_f32_e32 v23, v27, v22
	v_add_f32_e32 v25, v25, v20
	v_add_f32_e32 v24, v24, v23
.LBB168_982:
	s_or_b64 exec, exec, s[0:1]
	s_barrier
	s_and_saveexec_b64 s[0:1], s[58:59]
	s_cbranch_execz .LBB168_984
; %bb.983:
	v_mov_b32_e32 v20, 0
	ds_read_b64 v[22:23], v20 offset:32760
	s_waitcnt lgkmcnt(0)
	v_mul_f32_e32 v26, v25, v23
	v_mul_f32_e32 v20, v24, v23
	v_fmac_f32_e32 v26, v24, v22
	v_fma_f32 v25, v25, v22, -v20
	v_mov_b32_e32 v24, v26
	ds_write_b64 v21, v[25:26]
.LBB168_984:
	s_or_b64 exec, exec, s[0:1]
	s_waitcnt lgkmcnt(0)
	s_barrier
	s_barrier
	s_and_saveexec_b64 s[0:1], s[8:9]
; %bb.985:
	v_xor_b32_e32 v21, 0x80000000, v24
	v_xor_b32_e32 v20, 0x80000000, v25
	ds_write_b64 v19, v[20:21] offset:25024
; %bb.986:
	s_or_b64 exec, exec, s[0:1]
	s_waitcnt lgkmcnt(0)
	s_barrier
	s_barrier
	s_and_saveexec_b64 s[0:1], s[86:87]
	s_cbranch_execz .LBB168_988
; %bb.987:
	v_lshlrev_b32_e32 v21, 9, v0
	ds_read_b64 v[19:20], v21 offset:25024
	s_movk_i32 s8, 0xfe08
	v_mad_i32_i24 v22, v0, s8, v21
	s_waitcnt lgkmcnt(0)
	ds_write_b64 v22, v[19:20] offset:29056
	ds_read_b64 v[19:20], v21 offset:25032
	s_waitcnt lgkmcnt(0)
	ds_write_b64 v22, v[19:20] offset:29568
	ds_read_b64 v[19:20], v21 offset:25040
	;; [unrolled: 3-line block ×7, first 2 shown]
	s_waitcnt lgkmcnt(0)
	ds_write_b64 v22, v[19:20] offset:32640
.LBB168_988:
	s_or_b64 exec, exec, s[0:1]
	s_waitcnt lgkmcnt(0)
	s_barrier
	s_and_saveexec_b64 s[0:1], vcc
	s_cbranch_execz .LBB168_990
; %bb.989:
	v_mov_b32_e32 v23, 0
	ds_read_b128 v[19:22], v23 offset:29120
	ds_read_b64 v[23:24], v23 offset:29640
	s_movk_i32 s8, 0x7000
	s_waitcnt lgkmcnt(0)
	v_mul_f32_e32 v25, v24, v20
	v_mul_f32_e32 v26, v23, v20
	v_fma_f32 v23, v23, v19, -v25
	v_fmac_f32_e32 v26, v24, v19
	v_mul_f32_e32 v19, v26, v22
	v_mul_f32_e32 v20, v23, v22
	v_fma_f32 v19, v23, v21, -v19
	v_fmac_f32_e32 v20, v26, v21
	v_add_u32_e64 v21, s8, 0
	ds_write2_b64 v21, v[19:20], v[19:20] offset0:57 offset1:120
.LBB168_990:
	s_or_b64 exec, exec, s[0:1]
	v_mov_b32_e32 v19, 0
	v_mov_b32_e32 v20, 0
	s_waitcnt lgkmcnt(0)
	s_barrier
	s_and_saveexec_b64 s[0:1], s[2:3]
	s_cbranch_execz .LBB168_994
; %bb.991:
	v_mul_u32_u24_e32 v21, 0x208, v13
	ds_read_b64 v[19:20], v11 offset:29136
	ds_read_b64 v[21:22], v21 offset:29120
	v_cmp_gt_u32_e64 s[8:9], 2, v1
	s_waitcnt lgkmcnt(0)
	v_mul_f32_e32 v23, v22, v20
	v_mul_f32_e32 v20, v21, v20
	v_fma_f32 v21, v21, v19, -v23
	v_fmac_f32_e32 v20, v22, v19
	v_add_f32_e32 v19, 0, v21
	v_add_f32_e32 v21, 0, v20
	s_and_saveexec_b64 s[10:11], s[8:9]
	s_cbranch_execz .LBB168_993
; %bb.992:
	v_lshlrev_b32_e32 v20, 3, v0
	v_mov_b32_e32 v24, 0
	ds_read_b64 v[22:23], v20 offset:29648
	ds_read_b64 v[24:25], v24 offset:29128
	s_waitcnt lgkmcnt(0)
	v_mul_f32_e32 v20, v25, v23
	v_mul_f32_e32 v23, v24, v23
	v_fma_f32 v20, v24, v22, -v20
	v_fmac_f32_e32 v23, v25, v22
	v_add_f32_e32 v19, v19, v20
	v_add_f32_e32 v21, v21, v23
.LBB168_993:
	s_or_b64 exec, exec, s[10:11]
	v_xor_b32_e32 v20, 0x80000000, v19
	v_xor_b32_e32 v19, 0x80000000, v21
.LBB168_994:
	s_or_b64 exec, exec, s[0:1]
	s_and_saveexec_b64 s[0:1], s[40:41]
	s_cbranch_execz .LBB168_996
; %bb.995:
	v_mov_b32_e32 v21, 0
	ds_read_b64 v[21:22], v21 offset:30160
	s_waitcnt lgkmcnt(0)
	v_mul_f32_e32 v24, v19, v22
	v_mul_f32_e32 v23, v20, v22
	v_fma_f32 v22, v20, v21, -v24
	v_fmac_f32_e32 v23, v19, v21
	v_mov_b32_e32 v20, v22
	v_mov_b32_e32 v19, v23
	ds_write_b64 v12, v[22:23]
.LBB168_996:
	s_or_b64 exec, exec, s[0:1]
	s_waitcnt lgkmcnt(0)
	s_barrier
	s_and_saveexec_b64 s[0:1], s[38:39]
	s_cbranch_execz .LBB168_998
; %bb.997:
	v_mov_b32_e32 v21, 0
	ds_read_b64 v[21:22], v21 offset:30168
	ds_read_b64 v[23:24], v12
	s_waitcnt lgkmcnt(0)
	v_mul_f32_e32 v25, v24, v22
	v_mul_f32_e32 v22, v23, v22
	v_fma_f32 v23, v23, v21, -v25
	v_fmac_f32_e32 v22, v24, v21
	v_add_f32_e32 v20, v20, v23
	v_add_f32_e32 v19, v19, v22
.LBB168_998:
	s_or_b64 exec, exec, s[0:1]
	s_barrier
	s_and_saveexec_b64 s[0:1], s[38:39]
	s_cbranch_execz .LBB168_1000
; %bb.999:
	v_mov_b32_e32 v21, 0
	ds_read_b64 v[21:22], v21 offset:30680
	s_waitcnt lgkmcnt(0)
	v_mul_f32_e32 v24, v19, v22
	v_mul_f32_e32 v23, v20, v22
	v_fma_f32 v22, v20, v21, -v24
	v_fmac_f32_e32 v23, v19, v21
	v_mov_b32_e32 v20, v22
	v_mov_b32_e32 v19, v23
	ds_write_b64 v12, v[22:23]
.LBB168_1000:
	s_or_b64 exec, exec, s[0:1]
	s_waitcnt lgkmcnt(0)
	s_barrier
	s_barrier
	s_and_saveexec_b64 s[0:1], s[2:3]
; %bb.1001:
	v_xor_b32_e32 v21, 0x80000000, v19
	v_xor_b32_e32 v20, 0x80000000, v20
	ds_write_b64 v11, v[20:21] offset:29136
; %bb.1002:
	s_or_b64 exec, exec, s[0:1]
	s_waitcnt lgkmcnt(0)
	s_barrier
	s_barrier
	s_and_saveexec_b64 s[0:1], s[42:43]
	s_cbranch_execz .LBB168_1004
; %bb.1003:
	v_lshlrev_b32_e32 v21, 3, v0
	s_movk_i32 s8, 0x1f8
	v_mad_u32_u24 v22, v0, s8, v21
	ds_read_b64 v[19:20], v22 offset:29136
	s_waitcnt lgkmcnt(0)
	ds_write_b64 v21, v[19:20] offset:30144
	ds_read_b64 v[19:20], v22 offset:29144
	s_waitcnt lgkmcnt(0)
	ds_write_b64 v21, v[19:20] offset:30656
.LBB168_1004:
	s_or_b64 exec, exec, s[0:1]
	s_waitcnt lgkmcnt(0)
	s_barrier
	s_and_saveexec_b64 s[0:1], vcc
	s_cbranch_execz .LBB168_1006
; %bb.1005:
	v_mov_b32_e32 v23, 0
	ds_read_b128 v[19:22], v23 offset:30160
	ds_read_b64 v[23:24], v23 offset:30680
	s_movk_i32 s8, 0x7000
	s_waitcnt lgkmcnt(0)
	v_mul_f32_e32 v25, v24, v20
	v_mul_f32_e32 v26, v23, v20
	v_fma_f32 v23, v23, v19, -v25
	v_fmac_f32_e32 v26, v24, v19
	v_mul_f32_e32 v19, v26, v22
	v_mul_f32_e32 v20, v23, v22
	v_fma_f32 v19, v23, v21, -v19
	v_fmac_f32_e32 v20, v26, v21
	v_add_u32_e64 v21, s8, 0
	ds_write2_b64 v21, v[19:20], v[19:20] offset0:187 offset1:250
.LBB168_1006:
	s_or_b64 exec, exec, s[0:1]
	v_mov_b32_e32 v19, 0
	v_mov_b32_e32 v20, 0
	s_waitcnt lgkmcnt(0)
	s_barrier
	s_and_saveexec_b64 s[0:1], s[18:19]
	s_cbranch_execz .LBB168_1012
; %bb.1007:
	v_mul_u32_u24_e32 v20, 0x208, v18
	ds_read_b64 v[21:22], v14 offset:29152
	ds_read_b64 v[23:24], v20 offset:29120
	v_cmp_gt_u32_e64 s[8:9], 12, v1
	s_waitcnt lgkmcnt(0)
	v_mul_f32_e32 v19, v24, v22
	v_mul_f32_e32 v22, v23, v22
	v_fma_f32 v19, v23, v21, -v19
	v_fmac_f32_e32 v22, v24, v21
	v_add_f32_e32 v19, 0, v19
	v_add_f32_e32 v21, 0, v22
	s_and_saveexec_b64 s[10:11], s[8:9]
	s_cbranch_execnz .LBB168_1172
; %bb.1008:
	s_or_b64 exec, exec, s[10:11]
	v_cmp_gt_u32_e64 s[8:9], 8, v1
	s_and_saveexec_b64 s[10:11], s[8:9]
	s_cbranch_execnz .LBB168_1173
.LBB168_1009:
	s_or_b64 exec, exec, s[10:11]
	v_cmp_gt_u32_e64 s[8:9], 4, v1
	s_and_saveexec_b64 s[10:11], s[8:9]
	s_cbranch_execz .LBB168_1011
.LBB168_1010:
	v_lshlrev_b32_e32 v17, 3, v0
	v_mov_b32_e32 v20, 0
	ds_read_b64 v[17:18], v17 offset:30688
	ds_read_b64 v[22:23], v20 offset:29144
	s_waitcnt lgkmcnt(0)
	v_mul_f32_e32 v20, v23, v18
	v_mul_f32_e32 v18, v22, v18
	v_fma_f32 v20, v22, v17, -v20
	v_fmac_f32_e32 v18, v23, v17
	v_add_f32_e32 v19, v19, v20
	v_add_f32_e32 v21, v21, v18
.LBB168_1011:
	s_or_b64 exec, exec, s[10:11]
	v_xor_b32_e32 v20, 0x80000000, v19
	v_xor_b32_e32 v19, 0x80000000, v21
.LBB168_1012:
	s_or_b64 exec, exec, s[0:1]
	s_and_saveexec_b64 s[0:1], s[46:47]
	s_cbranch_execz .LBB168_1014
; %bb.1013:
	v_mov_b32_e32 v17, 0
	ds_read_b64 v[17:18], v17 offset:31200
	s_waitcnt lgkmcnt(0)
	v_mul_f32_e32 v21, v20, v18
	v_mul_f32_e32 v22, v19, v18
	v_fmac_f32_e32 v21, v19, v17
	v_fma_f32 v20, v20, v17, -v22
	v_mov_b32_e32 v19, v21
	ds_write_b64 v16, v[20:21]
.LBB168_1014:
	s_or_b64 exec, exec, s[0:1]
	s_waitcnt lgkmcnt(0)
	s_barrier
	s_and_saveexec_b64 s[0:1], s[48:49]
	v_readlane_b32 s20, v42, 3
	v_readlane_b32 s46, v42, 1
	;; [unrolled: 1-line block ×4, first 2 shown]
	s_cbranch_execz .LBB168_1016
; %bb.1015:
	ds_read_b64 v[17:18], v15 offset:31200
	ds_read_b64 v[21:22], v16
	s_waitcnt lgkmcnt(0)
	v_mul_f32_e32 v23, v22, v18
	v_mul_f32_e32 v18, v21, v18
	v_fma_f32 v21, v21, v17, -v23
	v_fmac_f32_e32 v18, v22, v17
	v_add_f32_e32 v20, v20, v21
	v_add_f32_e32 v19, v19, v18
.LBB168_1016:
	s_or_b64 exec, exec, s[0:1]
	s_barrier
	s_and_saveexec_b64 s[0:1], s[50:51]
	s_cbranch_execz .LBB168_1018
; %bb.1017:
	v_mov_b32_e32 v17, 0
	ds_read_b64 v[17:18], v17 offset:31720
	s_waitcnt lgkmcnt(0)
	v_mul_f32_e32 v21, v20, v18
	v_mul_f32_e32 v22, v19, v18
	v_fmac_f32_e32 v21, v19, v17
	v_fma_f32 v20, v20, v17, -v22
	v_mov_b32_e32 v19, v21
	ds_write_b64 v16, v[20:21]
.LBB168_1018:
	s_or_b64 exec, exec, s[0:1]
	s_waitcnt lgkmcnt(0)
	s_barrier
	s_and_saveexec_b64 s[0:1], s[52:53]
	s_cbranch_execz .LBB168_1020
; %bb.1019:
	ds_read_b64 v[17:18], v15 offset:31712
	ds_read_b64 v[21:22], v16
	s_waitcnt lgkmcnt(0)
	v_mul_f32_e32 v15, v22, v18
	v_mul_f32_e32 v18, v21, v18
	v_fma_f32 v15, v21, v17, -v15
	v_fmac_f32_e32 v18, v22, v17
	v_add_f32_e32 v20, v20, v15
	v_add_f32_e32 v19, v19, v18
.LBB168_1020:
	s_or_b64 exec, exec, s[0:1]
	s_barrier
	s_and_saveexec_b64 s[0:1], s[54:55]
	s_cbranch_execz .LBB168_1022
; %bb.1021:
	v_mov_b32_e32 v15, 0
	ds_read_b64 v[17:18], v15 offset:32240
	s_waitcnt lgkmcnt(0)
	v_mul_f32_e32 v21, v20, v18
	v_mul_f32_e32 v15, v19, v18
	v_fmac_f32_e32 v21, v19, v17
	v_fma_f32 v20, v20, v17, -v15
	v_mov_b32_e32 v19, v21
	ds_write_b64 v16, v[20:21]
.LBB168_1022:
	s_or_b64 exec, exec, s[0:1]
	s_waitcnt lgkmcnt(0)
	s_barrier
	s_and_saveexec_b64 s[0:1], s[44:45]
	s_cbranch_execz .LBB168_1024
; %bb.1023:
	v_mov_b32_e32 v15, 0
	ds_read_b64 v[17:18], v15 offset:32248
	ds_read_b64 v[21:22], v16
	s_waitcnt lgkmcnt(0)
	v_mul_f32_e32 v15, v22, v18
	v_mul_f32_e32 v18, v21, v18
	v_fma_f32 v15, v21, v17, -v15
	v_fmac_f32_e32 v18, v22, v17
	v_add_f32_e32 v20, v20, v15
	v_add_f32_e32 v19, v19, v18
.LBB168_1024:
	s_or_b64 exec, exec, s[0:1]
	s_barrier
	s_and_saveexec_b64 s[0:1], s[44:45]
	s_cbranch_execz .LBB168_1026
; %bb.1025:
	v_mov_b32_e32 v15, 0
	ds_read_b64 v[17:18], v15 offset:32760
	s_waitcnt lgkmcnt(0)
	v_mul_f32_e32 v21, v20, v18
	v_mul_f32_e32 v15, v19, v18
	v_fmac_f32_e32 v21, v19, v17
	v_fma_f32 v20, v20, v17, -v15
	v_mov_b32_e32 v19, v21
	ds_write_b64 v16, v[20:21]
.LBB168_1026:
	s_or_b64 exec, exec, s[0:1]
	s_waitcnt lgkmcnt(0)
	s_barrier
	s_barrier
	s_and_saveexec_b64 s[0:1], s[18:19]
; %bb.1027:
	v_xor_b32_e32 v15, 0x80000000, v20
	v_xor_b32_e32 v16, 0x80000000, v19
	ds_write_b64 v14, v[15:16] offset:29152
; %bb.1028:
	s_or_b64 exec, exec, s[0:1]
	s_waitcnt lgkmcnt(0)
	s_barrier
	s_barrier
	s_and_saveexec_b64 s[0:1], s[56:57]
	s_cbranch_execz .LBB168_1030
; %bb.1029:
	v_lshlrev_b32_e32 v16, 9, v0
	ds_read_b64 v[14:15], v16 offset:29152
	s_movk_i32 s8, 0xfe08
	v_mad_i32_i24 v17, v0, s8, v16
	s_waitcnt lgkmcnt(0)
	ds_write_b64 v17, v[14:15] offset:31168
	ds_read_b64 v[14:15], v16 offset:29160
	s_waitcnt lgkmcnt(0)
	ds_write_b64 v17, v[14:15] offset:31680
	ds_read_b64 v[14:15], v16 offset:29168
	;; [unrolled: 3-line block ×3, first 2 shown]
	s_waitcnt lgkmcnt(0)
	ds_write_b64 v17, v[14:15] offset:32704
.LBB168_1030:
	s_or_b64 exec, exec, s[0:1]
	s_waitcnt lgkmcnt(0)
	s_barrier
	s_and_saveexec_b64 s[0:1], vcc
	s_cbranch_execz .LBB168_1032
; %bb.1031:
	v_mov_b32_e32 v18, 0
	ds_read_b128 v[14:17], v18 offset:31200
	ds_read_b64 v[18:19], v18 offset:31720
	s_movk_i32 s8, 0x7800
	s_waitcnt lgkmcnt(0)
	v_mul_f32_e32 v20, v19, v15
	v_mul_f32_e32 v21, v18, v15
	v_fma_f32 v18, v18, v14, -v20
	v_fmac_f32_e32 v21, v19, v14
	v_mul_f32_e32 v14, v21, v17
	v_mul_f32_e32 v15, v18, v17
	v_fma_f32 v14, v18, v16, -v14
	v_fmac_f32_e32 v15, v21, v16
	v_add_u32_e64 v16, s8, 0
	ds_write2_b64 v16, v[14:15], v[14:15] offset0:61 offset1:124
.LBB168_1032:
	s_or_b64 exec, exec, s[0:1]
	v_mov_b32_e32 v14, 0
	v_mov_b32_e32 v15, 0
	s_waitcnt lgkmcnt(0)
	s_barrier
	s_and_saveexec_b64 s[0:1], s[2:3]
	s_cbranch_execz .LBB168_1036
; %bb.1033:
	v_mul_u32_u24_e32 v15, 0x208, v13
	ds_read_b64 v[13:14], v11 offset:31216
	ds_read_b64 v[15:16], v15 offset:31200
	v_cmp_gt_u32_e64 s[8:9], 2, v1
	s_waitcnt lgkmcnt(0)
	v_mul_f32_e32 v17, v16, v14
	v_mul_f32_e32 v14, v15, v14
	v_fma_f32 v15, v15, v13, -v17
	v_fmac_f32_e32 v14, v16, v13
	v_add_f32_e32 v13, 0, v15
	v_add_f32_e32 v14, 0, v14
	s_and_saveexec_b64 s[10:11], s[8:9]
	s_cbranch_execz .LBB168_1035
; %bb.1034:
	v_lshlrev_b32_e32 v15, 3, v0
	v_mov_b32_e32 v17, 0
	ds_read_b64 v[15:16], v15 offset:31728
	ds_read_b64 v[17:18], v17 offset:31208
	s_waitcnt lgkmcnt(0)
	v_mul_f32_e32 v19, v18, v16
	v_mul_f32_e32 v16, v17, v16
	v_fma_f32 v17, v17, v15, -v19
	v_fmac_f32_e32 v16, v18, v15
	v_add_f32_e32 v13, v13, v17
	v_add_f32_e32 v14, v14, v16
.LBB168_1035:
	s_or_b64 exec, exec, s[10:11]
	v_xor_b32_e32 v15, 0x80000000, v13
	v_xor_b32_e32 v14, 0x80000000, v14
.LBB168_1036:
	s_or_b64 exec, exec, s[0:1]
	s_and_saveexec_b64 s[0:1], s[40:41]
	s_cbranch_execz .LBB168_1038
; %bb.1037:
	v_mov_b32_e32 v13, 0
	ds_read_b64 v[16:17], v13 offset:32240
	s_waitcnt lgkmcnt(0)
	v_mul_f32_e32 v13, v14, v17
	v_mul_f32_e32 v18, v15, v17
	v_fma_f32 v17, v15, v16, -v13
	v_fmac_f32_e32 v18, v14, v16
	v_mov_b32_e32 v15, v17
	v_mov_b32_e32 v14, v18
	ds_write_b64 v12, v[17:18]
.LBB168_1038:
	s_or_b64 exec, exec, s[0:1]
	s_waitcnt lgkmcnt(0)
	s_barrier
	s_and_saveexec_b64 s[0:1], s[38:39]
	s_load_dword s22, s[4:5], 0x6c
	v_readlane_b32 s40, v42, 0
	s_cbranch_execz .LBB168_1040
; %bb.1039:
	v_mov_b32_e32 v13, 0
	ds_read_b64 v[16:17], v13 offset:32248
	ds_read_b64 v[18:19], v12
	s_waitcnt lgkmcnt(0)
	v_mul_f32_e32 v13, v19, v17
	v_mul_f32_e32 v17, v18, v17
	v_fma_f32 v13, v18, v16, -v13
	v_fmac_f32_e32 v17, v19, v16
	v_add_f32_e32 v15, v15, v13
	v_add_f32_e32 v14, v14, v17
.LBB168_1040:
	s_or_b64 exec, exec, s[0:1]
	s_waitcnt lgkmcnt(0)
	s_barrier
	s_and_saveexec_b64 s[0:1], s[38:39]
	s_cbranch_execz .LBB168_1042
; %bb.1041:
	v_mov_b32_e32 v13, 0
	ds_read_b64 v[16:17], v13 offset:32760
	s_waitcnt lgkmcnt(0)
	v_mul_f32_e32 v13, v14, v17
	v_mul_f32_e32 v18, v15, v17
	v_fma_f32 v17, v15, v16, -v13
	v_fmac_f32_e32 v18, v14, v16
	v_mov_b32_e32 v15, v17
	v_mov_b32_e32 v14, v18
	ds_write_b64 v12, v[17:18]
.LBB168_1042:
	s_or_b64 exec, exec, s[0:1]
	s_waitcnt lgkmcnt(0)
	s_barrier
	s_barrier
	s_and_saveexec_b64 s[0:1], s[2:3]
; %bb.1043:
	v_xor_b32_e32 v13, 0x80000000, v14
	v_xor_b32_e32 v12, 0x80000000, v15
	ds_write_b64 v11, v[12:13] offset:31216
; %bb.1044:
	s_or_b64 exec, exec, s[0:1]
	s_waitcnt lgkmcnt(0)
	s_barrier
	s_barrier
	s_and_saveexec_b64 s[0:1], s[42:43]
	s_cbranch_execz .LBB168_1046
; %bb.1045:
	v_lshlrev_b32_e32 v13, 3, v0
	s_movk_i32 s2, 0x1f8
	v_mad_u32_u24 v14, v0, s2, v13
	ds_read_b64 v[11:12], v14 offset:31216
	s_waitcnt lgkmcnt(0)
	ds_write_b64 v13, v[11:12] offset:32224
	ds_read_b64 v[11:12], v14 offset:31224
	s_waitcnt lgkmcnt(0)
	ds_write_b64 v13, v[11:12] offset:32736
.LBB168_1046:
	s_or_b64 exec, exec, s[0:1]
	s_waitcnt lgkmcnt(0)
	s_barrier
	s_and_saveexec_b64 s[0:1], vcc
	s_cbranch_execz .LBB168_1048
; %bb.1047:
	v_mov_b32_e32 v15, 0
	ds_read_b128 v[11:14], v15 offset:32240
	ds_read_b64 v[15:16], v15 offset:32760
	s_movk_i32 s2, 0x7800
	s_waitcnt lgkmcnt(0)
	v_mul_f32_e32 v17, v16, v12
	v_mul_f32_e32 v18, v15, v12
	v_fma_f32 v15, v15, v11, -v17
	v_fmac_f32_e32 v18, v16, v11
	v_mul_f32_e32 v11, v18, v14
	v_mul_f32_e32 v12, v15, v14
	v_fma_f32 v11, v15, v13, -v11
	v_fmac_f32_e32 v12, v18, v13
	v_add_u32_e64 v13, s2, 0
	ds_write2_b64 v13, v[11:12], v[11:12] offset0:191 offset1:254
.LBB168_1048:
	s_or_b64 exec, exec, s[0:1]
.LBB168_1049:
	s_load_dwordx4 s[0:3], s[4:5], 0x30
	v_cmp_le_i32_e32 vcc, s88, v0
	v_mov_b32_e32 v11, 0
	v_add_u32_e32 v13, s33, v0
	v_mov_b32_e32 v12, 0
	s_waitcnt lgkmcnt(0)
	s_lshl_b64 s[0:1], s[2:3], 3
	s_add_u32 s20, s20, s0
	s_addc_u32 s21, s21, s1
	s_and_b64 s[14:15], vcc, s[30:31]
	v_cmp_eq_u32_e64 s[2:3], 0, v2
	s_xor_b64 s[0:1], s[14:15], -1
	s_and_b64 s[8:9], s[2:3], s[0:1]
	s_barrier
	s_and_saveexec_b64 s[0:1], s[8:9]
	s_cbranch_execz .LBB168_1051
; %bb.1050:
	v_ashrrev_i32_e32 v14, 31, v13
	v_mul_lo_u32 v15, s27, v13
	v_mad_u64_u32 v[11:12], s[8:9], s26, v13, 0
	v_mul_lo_u32 v14, s26, v14
	s_load_dwordx2 s[8:9], s[4:5], 0x28
	v_add3_u32 v12, v12, v14, v15
	v_lshlrev_b64 v[11:12], 3, v[11:12]
	v_mov_b32_e32 v14, s21
	v_add_co_u32_e32 v11, vcc, s20, v11
	v_addc_co_u32_e32 v12, vcc, v14, v12, vcc
	flat_load_dwordx2 v[14:15], v[11:12]
	s_waitcnt vmcnt(0) lgkmcnt(0)
	v_mul_f32_e32 v11, s8, v14
	v_mul_f32_e32 v12, s8, v15
	v_fma_f32 v11, s9, v15, -v11
	v_fma_f32 v12, v14, -s9, -v12
.LBB168_1051:
	s_or_b64 exec, exec, s[0:1]
	s_load_dwordx2 s[0:1], s[4:5], 0x50
	s_and_b32 s4, 0xffff, s22
	v_mad_u32_u24 v18, v2, s4, v0
	s_cmp_lt_i32 s6, 1
	v_cmp_eq_u32_e64 s[4:5], 0, v18
	s_cbranch_scc1 .LBB168_1086
; %bb.1052:
	v_ashrrev_i32_e32 v16, 31, v13
	v_mul_lo_u32 v17, s35, v13
	v_mad_u64_u32 v[14:15], s[8:9], s34, v13, 0
	v_mul_lo_u32 v16, s34, v16
	s_lshl_b64 s[8:9], s[24:25], 2
	s_waitcnt lgkmcnt(0)
	s_add_u32 s16, s0, s8
	s_addc_u32 s17, s1, s9
	v_add3_u32 v15, v15, v16, v17
	v_cmp_gt_i32_e64 s[8:9], s28, v13
	v_lshlrev_b64 v[13:14], 3, v[14:15]
	v_mov_b32_e32 v16, 0xa000
	v_mov_b32_e32 v15, s90
	v_add_co_u32_e32 v21, vcc, s89, v13
	s_mov_b32 s22, 0
	v_cmp_gt_u32_e64 s[12:13], 64, v18
	v_lshl_add_u32 v19, v18, 3, v16
	v_lshl_or_b32 v20, v2, 3, v16
	s_add_i32 s91, s91, 1
	v_addc_co_u32_e32 v22, vcc, v15, v14, vcc
	v_mov_b32_e32 v23, -1
	v_mov_b32_e32 v13, 0
	s_branch .LBB168_1055
.LBB168_1053:                           ;   in Loop: Header=BB168_1055 Depth=1
	ds_read_b64 v[14:15], v20 offset:384
	s_waitcnt vmcnt(0) lgkmcnt(0)
	v_mul_f32_e32 v24, v17, v15
	v_mul_f32_e32 v17, v17, v14
	v_fmac_f32_e32 v24, v16, v14
	v_fma_f32 v14, v16, v15, -v17
	v_add_f32_e32 v11, v11, v24
	v_add_f32_e32 v12, v12, v14
.LBB168_1054:                           ;   in Loop: Header=BB168_1055 Depth=1
	s_or_b64 exec, exec, s[18:19]
	s_add_i32 s22, s22, 1
	s_cmp_eq_u32 s22, s6
	s_cbranch_scc1 .LBB168_1086
.LBB168_1055:                           ; =>This Loop Header: Depth=1
                                        ;     Child Loop BB168_1057 Depth 2
	v_cmp_gt_i32_e32 vcc, s22, v23
	s_and_b64 s[18:19], s[4:5], vcc
	s_and_saveexec_b64 s[10:11], s[18:19]
	s_cbranch_execz .LBB168_1058
; %bb.1056:                             ;   in Loop: Header=BB168_1055 Depth=1
	global_load_dword v23, v13, s[16:17]
	s_waitcnt vmcnt(0)
	v_cmp_le_i32_e32 vcc, s22, v23
	s_cbranch_vccnz .LBB168_1058
.LBB168_1057:                           ;   Parent Loop BB168_1055 Depth=1
                                        ; =>  This Inner Loop Header: Depth=2
	buffer_wbinvl1_vol
	global_load_dword v23, v13, s[16:17]
	s_waitcnt vmcnt(0)
	v_cmp_gt_i32_e32 vcc, s22, v23
	s_cbranch_vccnz .LBB168_1057
.LBB168_1058:                           ;   in Loop: Header=BB168_1055 Depth=1
	s_or_b64 exec, exec, s[10:11]
	s_sub_i32 s23, s7, s22
	s_lshl_b32 s34, s23, 6
	buffer_wbinvl1_vol
	s_barrier
	s_and_saveexec_b64 s[10:11], s[12:13]
	s_cbranch_execz .LBB168_1063
; %bb.1059:                             ;   in Loop: Header=BB168_1055 Depth=1
	s_ashr_i32 s18, s34, 31
	v_mov_b32_e32 v15, s18
	v_or_b32_e32 v14, s34, v18
	v_cmp_le_i64_e32 vcc, s[28:29], v[14:15]
	s_and_saveexec_b64 s[18:19], vcc
	s_xor_b64 s[18:19], exec, s[18:19]
; %bb.1060:                             ;   in Loop: Header=BB168_1055 Depth=1
	v_mov_b32_e32 v14, v13
	ds_write_b64 v19, v[13:14]
                                        ; implicit-def: $vgpr14_vgpr15
; %bb.1061:                             ;   in Loop: Header=BB168_1055 Depth=1
	s_andn2_saveexec_b64 s[18:19], s[18:19]
	s_cbranch_execz .LBB168_1063
; %bb.1062:                             ;   in Loop: Header=BB168_1055 Depth=1
	v_mul_lo_u32 v16, v15, s26
	v_mul_lo_u32 v17, v14, s27
	v_mad_u64_u32 v[14:15], s[18:19], v14, s26, 0
	v_add3_u32 v15, v15, v17, v16
	v_lshlrev_b64 v[14:15], 3, v[14:15]
	v_mov_b32_e32 v16, s21
	v_add_co_u32_e32 v14, vcc, s20, v14
	v_addc_co_u32_e32 v15, vcc, v16, v15, vcc
	flat_load_dwordx2 v[14:15], v[14:15]
	s_waitcnt vmcnt(0) lgkmcnt(0)
	ds_write_b64 v19, v[14:15]
.LBB168_1063:                           ;   in Loop: Header=BB168_1055 Depth=1
	s_or_b64 exec, exec, s[10:11]
	v_add_u32_e32 v16, s34, v2
	v_ashrrev_i32_e32 v17, 31, v16
	v_lshlrev_b64 v[14:15], 3, v[16:17]
	s_cmp_lg_u32 s23, s91
	v_add_co_u32_e32 v14, vcc, v21, v14
	s_cselect_b64 s[10:11], -1, 0
	v_addc_co_u32_e32 v15, vcc, v22, v15, vcc
	v_cmp_gt_i32_e32 vcc, s28, v16
	v_cndmask_b32_e64 v17, 0, 1, s[10:11]
	s_and_b64 s[34:35], vcc, s[8:9]
	v_cmp_ne_u32_e64 s[10:11], 1, v17
	s_waitcnt lgkmcnt(0)
	s_barrier
	s_and_saveexec_b64 s[18:19], s[34:35]
	s_cbranch_execz .LBB168_1069
; %bb.1064:                             ;   in Loop: Header=BB168_1055 Depth=1
	s_and_b64 vcc, exec, s[10:11]
	v_mov_b32_e32 v17, v5
	s_cbranch_vccnz .LBB168_1066
; %bb.1065:                             ;   in Loop: Header=BB168_1055 Depth=1
	flat_load_dword v17, v[14:15]
.LBB168_1066:                           ;   in Loop: Header=BB168_1055 Depth=1
	s_and_b64 vcc, exec, s[10:11]
	v_mov_b32_e32 v24, v6
	s_cbranch_vccnz .LBB168_1068
; %bb.1067:                             ;   in Loop: Header=BB168_1055 Depth=1
	flat_load_dword v24, v[14:15] offset:4
.LBB168_1068:                           ;   in Loop: Header=BB168_1055 Depth=1
	ds_read_b64 v[25:26], v20
	s_waitcnt vmcnt(0) lgkmcnt(0)
	v_mul_f32_e32 v27, v24, v26
	v_mul_f32_e32 v24, v24, v25
	v_fmac_f32_e32 v27, v17, v25
	v_fma_f32 v17, v17, v26, -v24
	v_add_f32_e32 v11, v11, v27
	v_add_f32_e32 v12, v12, v17
.LBB168_1069:                           ;   in Loop: Header=BB168_1055 Depth=1
	s_or_b64 exec, exec, s[18:19]
	v_add_u32_e32 v17, 16, v16
	v_cmp_gt_i32_e32 vcc, s28, v17
	s_and_b64 s[34:35], vcc, s[8:9]
	s_and_saveexec_b64 s[18:19], s[34:35]
	s_cbranch_execz .LBB168_1075
; %bb.1070:                             ;   in Loop: Header=BB168_1055 Depth=1
	s_and_b64 vcc, exec, s[10:11]
	v_mov_b32_e32 v17, v3
	s_cbranch_vccnz .LBB168_1072
; %bb.1071:                             ;   in Loop: Header=BB168_1055 Depth=1
	flat_load_dword v17, v[14:15] offset:128
.LBB168_1072:                           ;   in Loop: Header=BB168_1055 Depth=1
	s_and_b64 vcc, exec, s[10:11]
	v_mov_b32_e32 v24, v4
	s_cbranch_vccnz .LBB168_1074
; %bb.1073:                             ;   in Loop: Header=BB168_1055 Depth=1
	flat_load_dword v24, v[14:15] offset:132
.LBB168_1074:                           ;   in Loop: Header=BB168_1055 Depth=1
	ds_read_b64 v[25:26], v20 offset:128
	s_waitcnt vmcnt(0) lgkmcnt(0)
	v_mul_f32_e32 v27, v24, v26
	v_mul_f32_e32 v24, v24, v25
	v_fmac_f32_e32 v27, v17, v25
	v_fma_f32 v17, v17, v26, -v24
	v_add_f32_e32 v11, v11, v27
	v_add_f32_e32 v12, v12, v17
.LBB168_1075:                           ;   in Loop: Header=BB168_1055 Depth=1
	s_or_b64 exec, exec, s[18:19]
	v_add_u32_e32 v17, 32, v16
	v_cmp_gt_i32_e32 vcc, s28, v17
	s_and_b64 s[34:35], vcc, s[8:9]
	s_and_saveexec_b64 s[18:19], s[34:35]
	s_cbranch_execz .LBB168_1081
; %bb.1076:                             ;   in Loop: Header=BB168_1055 Depth=1
	s_and_b64 vcc, exec, s[10:11]
	v_mov_b32_e32 v17, v9
	s_cbranch_vccnz .LBB168_1078
; %bb.1077:                             ;   in Loop: Header=BB168_1055 Depth=1
	flat_load_dword v17, v[14:15] offset:256
.LBB168_1078:                           ;   in Loop: Header=BB168_1055 Depth=1
	s_and_b64 vcc, exec, s[10:11]
	v_mov_b32_e32 v24, v10
	s_cbranch_vccnz .LBB168_1080
; %bb.1079:                             ;   in Loop: Header=BB168_1055 Depth=1
	flat_load_dword v24, v[14:15] offset:260
.LBB168_1080:                           ;   in Loop: Header=BB168_1055 Depth=1
	ds_read_b64 v[25:26], v20 offset:256
	s_waitcnt vmcnt(0) lgkmcnt(0)
	v_mul_f32_e32 v27, v24, v26
	v_mul_f32_e32 v24, v24, v25
	v_fmac_f32_e32 v27, v17, v25
	v_fma_f32 v17, v17, v26, -v24
	v_add_f32_e32 v11, v11, v27
	v_add_f32_e32 v12, v12, v17
.LBB168_1081:                           ;   in Loop: Header=BB168_1055 Depth=1
	s_or_b64 exec, exec, s[18:19]
	v_add_u32_e32 v16, 48, v16
	v_cmp_gt_i32_e32 vcc, s28, v16
	s_and_b64 s[34:35], vcc, s[8:9]
	s_and_saveexec_b64 s[18:19], s[34:35]
	s_cbranch_execz .LBB168_1054
; %bb.1082:                             ;   in Loop: Header=BB168_1055 Depth=1
	s_and_b64 vcc, exec, s[10:11]
	v_mov_b32_e32 v16, v7
	s_cbranch_vccnz .LBB168_1084
; %bb.1083:                             ;   in Loop: Header=BB168_1055 Depth=1
	flat_load_dword v16, v[14:15] offset:384
.LBB168_1084:                           ;   in Loop: Header=BB168_1055 Depth=1
	s_and_b64 vcc, exec, s[10:11]
	v_mov_b32_e32 v17, v8
	s_cbranch_vccnz .LBB168_1053
; %bb.1085:                             ;   in Loop: Header=BB168_1055 Depth=1
	flat_load_dword v17, v[14:15] offset:388
	s_branch .LBB168_1053
.LBB168_1086:
	s_xor_b64 s[4:5], s[30:31], -1
	v_lshlrev_b32_e32 v1, 3, v1
	ds_write_b64 v1, v[11:12] offset:32768
	s_waitcnt lgkmcnt(0)
	s_barrier
	s_and_saveexec_b64 s[6:7], s[2:3]
	s_cbranch_execz .LBB168_1088
; %bb.1087:
	v_lshlrev_b32_e32 v15, 3, v0
	ds_read2st64_b64 v[3:6], v15 offset0:65 offset1:66
	ds_read2st64_b64 v[7:10], v15 offset0:67 offset1:68
	ds_read_b64 v[13:14], v15 offset:40448
	s_waitcnt lgkmcnt(2)
	v_add_f32_e32 v3, v11, v3
	v_add_f32_e32 v4, v12, v4
	;; [unrolled: 1-line block ×4, first 2 shown]
	ds_read2st64_b64 v[3:6], v15 offset0:69 offset1:70
	s_waitcnt lgkmcnt(2)
	v_add_f32_e32 v7, v11, v7
	v_add_f32_e32 v8, v12, v8
	;; [unrolled: 1-line block ×4, first 2 shown]
	s_waitcnt lgkmcnt(0)
	v_add_f32_e32 v3, v7, v3
	ds_read2st64_b64 v[7:10], v15 offset0:71 offset1:72
	v_add_f32_e32 v4, v11, v4
	v_add_f32_e32 v11, v3, v5
	;; [unrolled: 1-line block ×3, first 2 shown]
	ds_read2st64_b64 v[3:6], v15 offset0:73 offset1:74
	s_waitcnt lgkmcnt(1)
	v_add_f32_e32 v7, v11, v7
	v_add_f32_e32 v8, v12, v8
	;; [unrolled: 1-line block ×4, first 2 shown]
	s_waitcnt lgkmcnt(0)
	v_add_f32_e32 v3, v7, v3
	ds_read2st64_b64 v[7:10], v15 offset0:75 offset1:76
	v_add_f32_e32 v4, v11, v4
	v_add_f32_e32 v11, v3, v5
	;; [unrolled: 1-line block ×3, first 2 shown]
	ds_read2st64_b64 v[3:6], v15 offset0:77 offset1:78
	s_waitcnt lgkmcnt(1)
	v_add_f32_e32 v7, v11, v7
	v_add_f32_e32 v8, v12, v8
	;; [unrolled: 1-line block ×4, first 2 shown]
	s_waitcnt lgkmcnt(0)
	v_add_f32_e32 v3, v7, v3
	v_add_f32_e32 v4, v8, v4
	v_add_f32_e32 v3, v3, v5
	v_add_f32_e32 v4, v4, v6
	v_add_f32_e32 v3, v3, v13
	v_add_f32_e32 v4, v4, v14
	v_cndmask_b32_e64 v11, -v3, 0, s[14:15]
	v_cndmask_b32_e64 v12, -v4, 0, s[14:15]
.LBB168_1088:
	s_or_b64 exec, exec, s[6:7]
	s_and_b64 vcc, exec, s[46:47]
	s_cbranch_vccnz .LBB168_1101
; %bb.1089:
	v_mov_b32_e32 v3, 0xa000
	v_lshl_or_b32 v5, v2, 3, v3
	s_and_saveexec_b64 s[6:7], s[2:3]
; %bb.1090:
	v_lshl_add_u32 v3, v0, 3, v5
	ds_write_b64 v3, v[11:12]
; %bb.1091:
	s_or_b64 exec, exec, s[6:7]
	v_cmp_le_u32_e32 vcc, v0, v2
	v_mov_b32_e32 v3, 0
	v_mov_b32_e32 v4, 0
	s_waitcnt lgkmcnt(0)
	s_barrier
	s_and_saveexec_b64 s[6:7], vcc
	s_cbranch_execz .LBB168_1093
; %bb.1092:
	ds_read_b64 v[3:4], v1
	ds_read_b64 v[6:7], v5
	s_waitcnt lgkmcnt(0)
	v_mul_f32_e32 v8, v7, v4
	v_mul_f32_e32 v4, v6, v4
	v_fma_f32 v6, v6, v3, -v8
	v_fmac_f32_e32 v4, v7, v3
	v_add_f32_e32 v3, 0, v6
	v_add_f32_e32 v4, 0, v4
.LBB168_1093:
	s_or_b64 exec, exec, s[6:7]
	v_add_u32_e32 v6, 16, v2
	v_cmp_le_u32_e32 vcc, v0, v6
	s_and_saveexec_b64 s[6:7], vcc
	s_cbranch_execz .LBB168_1095
; %bb.1094:
	ds_read_b64 v[6:7], v1 offset:8192
	ds_read_b64 v[8:9], v5 offset:128
	s_waitcnt lgkmcnt(0)
	v_mul_f32_e32 v10, v9, v7
	v_mul_f32_e32 v7, v8, v7
	v_fma_f32 v8, v8, v6, -v10
	v_fmac_f32_e32 v7, v9, v6
	v_add_f32_e32 v3, v3, v8
	v_add_f32_e32 v4, v4, v7
.LBB168_1095:
	s_or_b64 exec, exec, s[6:7]
	v_add_u32_e32 v6, 32, v2
	v_cmp_le_u32_e32 vcc, v0, v6
	s_and_saveexec_b64 s[6:7], vcc
	s_cbranch_execz .LBB168_1097
; %bb.1096:
	ds_read_b64 v[6:7], v1 offset:16384
	ds_read_b64 v[8:9], v5 offset:256
	s_waitcnt lgkmcnt(0)
	v_mul_f32_e32 v10, v9, v7
	v_mul_f32_e32 v7, v8, v7
	v_fma_f32 v8, v8, v6, -v10
	v_fmac_f32_e32 v7, v9, v6
	v_add_f32_e32 v3, v3, v8
	v_add_f32_e32 v4, v4, v7
.LBB168_1097:
	s_or_b64 exec, exec, s[6:7]
	v_add_u32_e32 v2, 48, v2
	v_add_u32_e32 v6, 0x8000, v1
	v_cmp_le_u32_e32 vcc, v0, v2
	s_and_saveexec_b64 s[6:7], vcc
	s_cbranch_execz .LBB168_1099
; %bb.1098:
	ds_read_b64 v[1:2], v1 offset:24576
	ds_read_b64 v[7:8], v5 offset:384
	s_waitcnt lgkmcnt(0)
	v_mul_f32_e32 v5, v8, v2
	v_mul_f32_e32 v2, v7, v2
	v_fma_f32 v5, v7, v1, -v5
	v_fmac_f32_e32 v2, v8, v1
	v_add_f32_e32 v3, v3, v5
	v_add_f32_e32 v4, v4, v2
.LBB168_1099:
	s_or_b64 exec, exec, s[6:7]
	s_mov_b64 s[8:9], 0
	s_mov_b64 s[6:7], 0
	ds_write_b64 v6, v[3:4]
	s_waitcnt lgkmcnt(0)
	s_barrier
                                        ; implicit-def: $vgpr1
                                        ; implicit-def: $vgpr2
	s_and_saveexec_b64 s[10:11], s[2:3]
	s_cbranch_execz .LBB168_1120
; %bb.1100:
	v_lshlrev_b32_e32 v17, 3, v0
	ds_read2st64_b64 v[5:8], v17 offset0:65 offset1:66
	ds_read2st64_b64 v[13:16], v17 offset0:67 offset1:68
	ds_read_b64 v[9:10], v17 offset:40448
	s_mov_b64 s[6:7], exec
	s_waitcnt lgkmcnt(2)
	v_add_f32_e32 v1, v3, v5
	v_add_f32_e32 v2, v4, v6
	;; [unrolled: 1-line block ×4, first 2 shown]
	ds_read2st64_b64 v[1:4], v17 offset0:69 offset1:70
	s_waitcnt lgkmcnt(2)
	v_add_f32_e32 v5, v5, v13
	v_add_f32_e32 v6, v6, v14
	;; [unrolled: 1-line block ×4, first 2 shown]
	s_waitcnt lgkmcnt(0)
	v_add_f32_e32 v1, v5, v1
	ds_read2st64_b64 v[5:8], v17 offset0:71 offset1:72
	v_add_f32_e32 v2, v13, v2
	v_add_f32_e32 v13, v1, v3
	;; [unrolled: 1-line block ×3, first 2 shown]
	ds_read2st64_b64 v[1:4], v17 offset0:73 offset1:74
	s_waitcnt lgkmcnt(1)
	v_add_f32_e32 v5, v13, v5
	v_add_f32_e32 v6, v14, v6
	;; [unrolled: 1-line block ×4, first 2 shown]
	s_waitcnt lgkmcnt(0)
	v_add_f32_e32 v1, v5, v1
	ds_read2st64_b64 v[5:8], v17 offset0:75 offset1:76
	v_add_f32_e32 v2, v13, v2
	v_add_f32_e32 v13, v1, v3
	v_add_f32_e32 v14, v2, v4
	ds_read2st64_b64 v[1:4], v17 offset0:77 offset1:78
	s_waitcnt lgkmcnt(1)
	v_add_f32_e32 v5, v13, v5
	v_add_f32_e32 v6, v14, v6
	;; [unrolled: 1-line block ×4, first 2 shown]
	s_waitcnt lgkmcnt(0)
	v_add_f32_e32 v1, v5, v1
	v_add_f32_e32 v2, v6, v2
	;; [unrolled: 1-line block ×6, first 2 shown]
	s_or_b64 exec, exec, s[10:11]
	s_and_b64 vcc, exec, s[8:9]
	s_cbranch_vccnz .LBB168_1102
	s_branch .LBB168_1121
.LBB168_1101:
	s_mov_b64 s[6:7], 0
                                        ; implicit-def: $vgpr1
                                        ; implicit-def: $vgpr2
	s_cbranch_execz .LBB168_1121
.LBB168_1102:
	s_movk_i32 s8, 0x208
	v_lshlrev_b32_e32 v2, 9, v0
	v_mov_b32_e32 v3, 0x7c00
	v_mul_u32_u24_e32 v1, 0x208, v0
	v_sub_u32_e32 v2, 0, v2
	v_mad_u32_u24 v3, v0, s8, v3
	s_mov_b32 s10, 63
	s_movk_i32 s11, 0x8200
	v_mov_b32_e32 v4, 0
	s_branch .LBB168_1104
.LBB168_1103:                           ;   in Loop: Header=BB168_1104 Depth=1
	s_or_b64 exec, exec, s[8:9]
	s_add_i32 s10, s10, -2
	s_cmp_lg_u32 s12, 0
	v_add_u32_e32 v2, 0xfffffc00, v2
	s_barrier
	s_cbranch_scc0 .LBB168_1112
.LBB168_1104:                           ; =>This Inner Loop Header: Depth=1
	v_cmp_eq_u32_e32 vcc, s11, v2
	s_and_b64 s[12:13], s[2:3], vcc
	s_and_saveexec_b64 s[8:9], s[12:13]
	s_cbranch_execz .LBB168_1106
; %bb.1105:                             ;   in Loop: Header=BB168_1104 Depth=1
	ds_read_b64 v[5:6], v1
	s_waitcnt lgkmcnt(0)
	v_mul_f32_e32 v8, v12, v6
	v_mul_f32_e32 v7, v11, v6
	v_fma_f32 v6, v11, v5, -v8
	v_fmac_f32_e32 v7, v12, v5
	v_mov_b32_e32 v11, v6
	v_mov_b32_e32 v12, v7
	ds_write_b64 v4, v[6:7] offset:41472
.LBB168_1106:                           ;   in Loop: Header=BB168_1104 Depth=1
	s_or_b64 exec, exec, s[8:9]
	v_cmp_gt_u32_e32 vcc, s10, v0
	s_and_b64 s[12:13], s[2:3], vcc
	v_add_u32_e32 v5, v3, v2
	s_waitcnt lgkmcnt(0)
	s_barrier
	s_and_saveexec_b64 s[8:9], s[12:13]
	s_cbranch_execz .LBB168_1108
; %bb.1107:                             ;   in Loop: Header=BB168_1104 Depth=1
	ds_read_b64 v[6:7], v5 offset:512
	ds_read_b64 v[8:9], v4 offset:41472
	s_waitcnt lgkmcnt(0)
	v_mul_f32_e32 v10, v9, v7
	v_mul_f32_e32 v7, v8, v7
	v_fma_f32 v8, v8, v6, -v10
	v_fmac_f32_e32 v7, v9, v6
	v_add_f32_e32 v11, v11, v8
	v_add_f32_e32 v12, v12, v7
.LBB168_1108:                           ;   in Loop: Header=BB168_1104 Depth=1
	s_or_b64 exec, exec, s[8:9]
	s_add_i32 s12, s10, -1
	v_cmp_eq_u32_e32 vcc, s12, v0
	s_and_b64 s[14:15], s[2:3], vcc
	s_barrier
	s_and_saveexec_b64 s[8:9], s[14:15]
	s_cbranch_execz .LBB168_1110
; %bb.1109:                             ;   in Loop: Header=BB168_1104 Depth=1
	ds_read_b64 v[6:7], v1
	s_waitcnt lgkmcnt(0)
	v_mul_f32_e32 v9, v12, v7
	v_mul_f32_e32 v8, v11, v7
	v_fma_f32 v7, v11, v6, -v9
	v_fmac_f32_e32 v8, v12, v6
	v_mov_b32_e32 v11, v7
	v_mov_b32_e32 v12, v8
	ds_write_b64 v4, v[7:8] offset:41472
.LBB168_1110:                           ;   in Loop: Header=BB168_1104 Depth=1
	s_or_b64 exec, exec, s[8:9]
	v_cmp_gt_u32_e32 vcc, s12, v0
	s_and_b64 s[14:15], s[2:3], vcc
	s_waitcnt lgkmcnt(0)
	s_barrier
	s_and_saveexec_b64 s[8:9], s[14:15]
	s_cbranch_execz .LBB168_1103
; %bb.1111:                             ;   in Loop: Header=BB168_1104 Depth=1
	ds_read_b64 v[5:6], v5
	ds_read_b64 v[7:8], v4 offset:41472
	s_waitcnt lgkmcnt(0)
	v_mul_f32_e32 v9, v8, v6
	v_mul_f32_e32 v6, v7, v6
	v_fma_f32 v7, v7, v5, -v9
	v_fmac_f32_e32 v6, v8, v5
	v_add_f32_e32 v11, v11, v7
	v_add_f32_e32 v12, v12, v6
	s_branch .LBB168_1103
.LBB168_1112:
	s_mov_b64 s[8:9], -1
	s_and_b64 vcc, exec, s[4:5]
	s_cbranch_vccnz .LBB168_1122
; %bb.1113:
	s_andn2_b64 vcc, exec, s[8:9]
	s_cbranch_vccz .LBB168_1123
.LBB168_1114:
	s_and_saveexec_b64 s[2:3], s[6:7]
	s_cbranch_execz .LBB168_1116
.LBB168_1115:
	v_mov_b32_e32 v0, s40
	v_add_co_u32_e32 v1, vcc, s33, v18
	v_addc_co_u32_e32 v0, vcc, 0, v0, vcc
	v_mul_lo_u32 v2, v0, s26
	v_mul_lo_u32 v3, v1, s27
	v_mad_u64_u32 v[0:1], s[4:5], v1, s26, 0
	v_add3_u32 v1, v1, v3, v2
	v_lshlrev_b64 v[0:1], 3, v[0:1]
	v_mov_b32_e32 v2, s21
	v_add_co_u32_e32 v0, vcc, s20, v0
	v_addc_co_u32_e32 v1, vcc, v2, v1, vcc
	flat_store_dwordx2 v[0:1], v[11:12]
.LBB168_1116:
	s_or_b64 exec, exec, s[2:3]
	v_cmp_eq_u32_e32 vcc, 0, v18
	s_waitcnt vmcnt(0) lgkmcnt(0)
	buffer_wbinvl1_vol
	s_barrier
	s_and_saveexec_b64 s[2:3], vcc
	s_cbranch_execz .LBB168_1118
; %bb.1117:
	s_lshl_b64 s[4:5], s[24:25], 2
	s_add_u32 s0, s0, s4
	s_addc_u32 s1, s1, s5
	v_mov_b32_e32 v0, 0
	global_load_dword v1, v0, s[0:1]
	s_waitcnt vmcnt(0)
	v_add_u32_e32 v1, 1, v1
	global_store_dword v0, v1, s[0:1]
.LBB168_1118:
	s_or_b64 exec, exec, s[2:3]
	s_waitcnt vmcnt(0)
	buffer_wbinvl1_vol
	s_endpgm
.LBB168_1119:
                                        ; implicit-def: $vgpr8
                                        ; implicit-def: $vgpr10
                                        ; implicit-def: $vgpr4
                                        ; implicit-def: $vgpr6
                                        ; implicit-def: $sgpr33
	s_cbranch_execnz .LBB168_10
	s_branch .LBB168_11
.LBB168_1120:
	s_or_b64 exec, exec, s[10:11]
	s_and_b64 vcc, exec, s[8:9]
	s_cbranch_vccnz .LBB168_1102
.LBB168_1121:
	v_mov_b32_e32 v12, v1
	v_mov_b32_e32 v11, v2
	s_and_saveexec_b64 s[2:3], s[6:7]
	s_cbranch_execnz .LBB168_1115
	s_branch .LBB168_1116
.LBB168_1122:
	s_andn2_b64 s[4:5], s[6:7], exec
	s_and_b64 s[6:7], s[2:3], exec
	s_or_b64 s[6:7], s[4:5], s[6:7]
	s_cbranch_execnz .LBB168_1114
.LBB168_1123:
	v_cmp_gt_i32_e32 vcc, s88, v0
	s_and_b64 s[2:3], s[2:3], vcc
	s_andn2_b64 s[4:5], s[6:7], exec
	s_and_b64 s[2:3], s[2:3], exec
	s_or_b64 s[6:7], s[4:5], s[2:3]
	s_and_saveexec_b64 s[2:3], s[6:7]
	s_cbranch_execnz .LBB168_1115
	s_branch .LBB168_1116
.LBB168_1124:
	v_lshlrev_b32_e32 v21, 3, v18
	v_sub_u32_e32 v21, v20, v21
	v_lshl_add_u32 v21, v17, 3, v21
	ds_read_b64 v[21:22], v21 offset:544
	ds_read_b64 v[23:24], v20 offset:8
	s_waitcnt lgkmcnt(0)
	v_mul_f32_e32 v25, v24, v22
	v_mul_f32_e32 v22, v23, v22
	v_fma_f32 v23, v23, v21, -v25
	v_fmac_f32_e32 v22, v24, v21
	v_add_f32_e32 v16, v16, v23
	v_add_f32_e32 v19, v19, v22
	s_or_b64 exec, exec, s[14:15]
	v_cmp_gt_u32_e64 s[10:11], 8, v1
	s_and_saveexec_b64 s[14:15], s[10:11]
	s_cbranch_execz .LBB168_149
.LBB168_1125:
	ds_read_b64 v[21:22], v14 offset:1056
	ds_read_b64 v[23:24], v20 offset:16
	s_waitcnt lgkmcnt(0)
	v_mul_f32_e32 v20, v24, v22
	v_mul_f32_e32 v22, v23, v22
	v_fma_f32 v20, v23, v21, -v20
	v_fmac_f32_e32 v22, v24, v21
	v_add_f32_e32 v16, v16, v20
	v_add_f32_e32 v19, v19, v22
	s_or_b64 exec, exec, s[14:15]
	v_cmp_gt_u32_e64 s[10:11], 4, v1
	s_and_saveexec_b64 s[14:15], s[10:11]
	s_cbranch_execnz .LBB168_150
	s_branch .LBB168_151
.LBB168_1126:
	v_lshlrev_b32_e32 v26, 3, v23
	v_sub_u32_e32 v26, v25, v26
	v_lshl_add_u32 v26, v22, 3, v26
	ds_read_b64 v[26:27], v26 offset:576
	ds_read_b64 v[28:29], v25 offset:8
	s_waitcnt lgkmcnt(0)
	v_mul_f32_e32 v30, v29, v27
	v_mul_f32_e32 v27, v28, v27
	v_fma_f32 v28, v28, v26, -v30
	v_fmac_f32_e32 v27, v29, v26
	v_add_f32_e32 v21, v21, v28
	v_add_f32_e32 v24, v24, v27
	s_or_b64 exec, exec, s[16:17]
	v_cmp_gt_u32_e64 s[14:15], 48, v1
	s_and_saveexec_b64 s[16:17], s[14:15]
	s_cbranch_execz .LBB168_191
.LBB168_1127:
	v_lshlrev_b32_e32 v26, 3, v23
	v_sub_u32_e32 v26, v25, v26
	v_lshl_add_u32 v26, v22, 3, v26
	ds_read_b64 v[26:27], v26 offset:1088
	ds_read_b64 v[28:29], v25 offset:16
	s_waitcnt lgkmcnt(0)
	v_mul_f32_e32 v30, v29, v27
	v_mul_f32_e32 v27, v28, v27
	v_fma_f32 v28, v28, v26, -v30
	v_fmac_f32_e32 v27, v29, v26
	v_add_f32_e32 v21, v21, v28
	v_add_f32_e32 v24, v24, v27
	s_or_b64 exec, exec, s[16:17]
	v_cmp_gt_u32_e64 s[14:15], 40, v1
	s_and_saveexec_b64 s[16:17], s[14:15]
	s_cbranch_execz .LBB168_192
.LBB168_1128:
	v_lshlrev_b32_e32 v26, 3, v23
	v_sub_u32_e32 v26, v25, v26
	v_lshl_add_u32 v26, v22, 3, v26
	ds_read_b64 v[26:27], v26 offset:1600
	ds_read_b64 v[28:29], v25 offset:24
	s_waitcnt lgkmcnt(0)
	v_mul_f32_e32 v30, v29, v27
	v_mul_f32_e32 v27, v28, v27
	v_fma_f32 v28, v28, v26, -v30
	v_fmac_f32_e32 v27, v29, v26
	v_add_f32_e32 v21, v21, v28
	v_add_f32_e32 v24, v24, v27
	s_or_b64 exec, exec, s[16:17]
	v_cmp_gt_u32_e64 s[14:15], 32, v1
	s_and_saveexec_b64 s[16:17], s[14:15]
	s_cbranch_execz .LBB168_193
.LBB168_1129:
	ds_read_b64 v[26:27], v19 offset:2112
	ds_read_b64 v[28:29], v25 offset:32
	s_waitcnt lgkmcnt(0)
	v_mul_f32_e32 v30, v29, v27
	v_mul_f32_e32 v27, v28, v27
	v_fma_f32 v28, v28, v26, -v30
	v_fmac_f32_e32 v27, v29, v26
	v_add_f32_e32 v21, v21, v28
	v_add_f32_e32 v24, v24, v27
	s_or_b64 exec, exec, s[16:17]
	v_cmp_gt_u32_e64 s[14:15], 24, v1
	s_and_saveexec_b64 s[16:17], s[14:15]
	s_cbranch_execz .LBB168_194
.LBB168_1130:
	v_lshlrev_b32_e32 v26, 3, v23
	v_sub_u32_e32 v26, v25, v26
	v_lshl_add_u32 v26, v22, 3, v26
	ds_read_b64 v[26:27], v26 offset:2624
	ds_read_b64 v[28:29], v25 offset:40
	s_waitcnt lgkmcnt(0)
	v_mul_f32_e32 v30, v29, v27
	v_mul_f32_e32 v27, v28, v27
	v_fma_f32 v28, v28, v26, -v30
	v_fmac_f32_e32 v27, v29, v26
	v_add_f32_e32 v21, v21, v28
	v_add_f32_e32 v24, v24, v27
	s_or_b64 exec, exec, s[16:17]
	v_cmp_gt_u32_e64 s[14:15], 16, v1
	s_and_saveexec_b64 s[16:17], s[14:15]
	s_cbranch_execz .LBB168_195
.LBB168_1131:
	ds_read_b64 v[26:27], v19 offset:3136
	ds_read_b64 v[28:29], v25 offset:48
	s_waitcnt lgkmcnt(0)
	v_mul_f32_e32 v25, v29, v27
	v_mul_f32_e32 v27, v28, v27
	v_fma_f32 v25, v28, v26, -v25
	v_fmac_f32_e32 v27, v29, v26
	v_add_f32_e32 v21, v21, v25
	v_add_f32_e32 v24, v24, v27
	s_or_b64 exec, exec, s[16:17]
	v_cmp_gt_u32_e64 s[14:15], 8, v1
	s_and_saveexec_b64 s[16:17], s[14:15]
	s_cbranch_execnz .LBB168_196
	s_branch .LBB168_197
.LBB168_1132:
	v_lshlrev_b32_e32 v27, 3, v18
	v_sub_u32_e32 v27, v25, v27
	v_lshl_add_u32 v27, v17, 3, v27
	ds_read_b64 v[27:28], v27 offset:4704
	ds_read_b64 v[29:30], v25 offset:4168
	s_waitcnt lgkmcnt(0)
	v_mul_f32_e32 v31, v30, v28
	v_mul_f32_e32 v28, v29, v28
	v_fma_f32 v29, v29, v27, -v31
	v_fmac_f32_e32 v28, v30, v27
	v_add_f32_e32 v24, v24, v29
	v_add_f32_e32 v26, v26, v28
	s_or_b64 exec, exec, s[14:15]
	v_cmp_gt_u32_e64 s[10:11], 8, v1
	s_and_saveexec_b64 s[14:15], s[10:11]
	s_cbranch_execz .LBB168_253
.LBB168_1133:
	ds_read_b64 v[27:28], v14 offset:5216
	ds_read_b64 v[29:30], v25 offset:4176
	s_waitcnt lgkmcnt(0)
	v_mul_f32_e32 v25, v30, v28
	v_mul_f32_e32 v28, v29, v28
	v_fma_f32 v25, v29, v27, -v25
	v_fmac_f32_e32 v28, v30, v27
	v_add_f32_e32 v24, v24, v25
	v_add_f32_e32 v26, v26, v28
	s_or_b64 exec, exec, s[14:15]
	v_cmp_gt_u32_e64 s[10:11], 4, v1
	s_and_saveexec_b64 s[14:15], s[10:11]
	s_cbranch_execnz .LBB168_254
	s_branch .LBB168_255
.LBB168_1134:
	v_lshlrev_b32_e32 v31, 3, v25
	v_lshl_add_u32 v31, v27, 3, v31
	ds_read_b64 v[31:32], v31 offset:5760
	ds_read_b64 v[33:34], v30 offset:88
	s_waitcnt lgkmcnt(0)
	v_mul_f32_e32 v35, v34, v32
	v_mul_f32_e32 v32, v33, v32
	v_fma_f32 v33, v33, v31, -v35
	v_fmac_f32_e32 v32, v34, v31
	v_add_f32_e32 v26, v26, v33
	v_add_f32_e32 v29, v29, v32
	s_or_b64 exec, exec, s[20:21]
	v_cmp_gt_u32_e64 s[16:17], 64, v1
	s_and_saveexec_b64 s[20:21], s[16:17]
	s_cbranch_execz .LBB168_315
.LBB168_1135:
	ds_read_b64 v[31:32], v24 offset:6272
	ds_read_b64 v[33:34], v30 offset:96
	s_waitcnt lgkmcnt(0)
	v_mul_f32_e32 v35, v34, v32
	v_mul_f32_e32 v32, v33, v32
	v_fma_f32 v33, v33, v31, -v35
	v_fmac_f32_e32 v32, v34, v31
	v_add_f32_e32 v26, v26, v33
	v_add_f32_e32 v29, v29, v32
	s_or_b64 exec, exec, s[20:21]
	v_cmp_gt_u32_e64 s[16:17], 48, v1
	s_and_saveexec_b64 s[20:21], s[16:17]
	s_cbranch_execz .LBB168_316
.LBB168_1136:
	v_lshlrev_b32_e32 v31, 3, v25
	v_lshl_add_u32 v31, v27, 3, v31
	ds_read_b64 v[31:32], v31 offset:6784
	ds_read_b64 v[33:34], v30 offset:104
	s_waitcnt lgkmcnt(0)
	v_mul_f32_e32 v35, v34, v32
	v_mul_f32_e32 v32, v33, v32
	v_fma_f32 v33, v33, v31, -v35
	v_fmac_f32_e32 v32, v34, v31
	v_add_f32_e32 v26, v26, v33
	v_add_f32_e32 v29, v29, v32
	s_or_b64 exec, exec, s[20:21]
	v_cmp_gt_u32_e64 s[16:17], 32, v1
	s_and_saveexec_b64 s[20:21], s[16:17]
	s_cbranch_execz .LBB168_317
.LBB168_1137:
	ds_read_b64 v[31:32], v24 offset:7296
	ds_read_b64 v[33:34], v30 offset:112
	s_waitcnt lgkmcnt(0)
	v_mul_f32_e32 v30, v34, v32
	v_mul_f32_e32 v32, v33, v32
	v_fma_f32 v30, v33, v31, -v30
	v_fmac_f32_e32 v32, v34, v31
	v_add_f32_e32 v26, v26, v30
	v_add_f32_e32 v29, v29, v32
	s_or_b64 exec, exec, s[20:21]
	v_cmp_gt_u32_e64 s[16:17], 16, v1
	s_and_saveexec_b64 s[20:21], s[16:17]
	s_cbranch_execnz .LBB168_318
	s_branch .LBB168_319
.LBB168_1138:
	v_lshlrev_b32_e32 v32, 3, v18
	v_sub_u32_e32 v32, v30, v32
	v_lshl_add_u32 v32, v17, 3, v32
	ds_read_b64 v[32:33], v32 offset:8864
	ds_read_b64 v[34:35], v30 offset:8328
	s_waitcnt lgkmcnt(0)
	v_mul_f32_e32 v36, v35, v33
	v_mul_f32_e32 v33, v34, v33
	v_fma_f32 v34, v34, v32, -v36
	v_fmac_f32_e32 v33, v35, v32
	v_add_f32_e32 v29, v29, v34
	v_add_f32_e32 v31, v31, v33
	s_or_b64 exec, exec, s[16:17]
	v_cmp_gt_u32_e64 s[14:15], 8, v1
	s_and_saveexec_b64 s[16:17], s[14:15]
	s_cbranch_execz .LBB168_407
.LBB168_1139:
	ds_read_b64 v[32:33], v14 offset:9376
	ds_read_b64 v[34:35], v30 offset:8336
	s_waitcnt lgkmcnt(0)
	v_mul_f32_e32 v30, v35, v33
	v_mul_f32_e32 v33, v34, v33
	v_fma_f32 v30, v34, v32, -v30
	v_fmac_f32_e32 v33, v35, v32
	v_add_f32_e32 v29, v29, v30
	v_add_f32_e32 v31, v31, v33
	s_or_b64 exec, exec, s[16:17]
	v_cmp_gt_u32_e64 s[14:15], 4, v1
	s_and_saveexec_b64 s[16:17], s[14:15]
	s_cbranch_execnz .LBB168_408
	s_branch .LBB168_409
.LBB168_1140:
	v_lshlrev_b32_e32 v32, 3, v23
	v_sub_u32_e32 v32, v30, v32
	v_lshl_add_u32 v32, v22, 3, v32
	ds_read_b64 v[32:33], v32 offset:8896
	ds_read_b64 v[34:35], v30 offset:8328
	s_waitcnt lgkmcnt(0)
	v_mul_f32_e32 v36, v35, v33
	v_mul_f32_e32 v33, v34, v33
	v_fma_f32 v34, v34, v32, -v36
	v_fmac_f32_e32 v33, v35, v32
	v_add_f32_e32 v29, v29, v34
	v_add_f32_e32 v31, v31, v33
	s_or_b64 exec, exec, s[16:17]
	v_cmp_gt_u32_e64 s[14:15], 48, v1
	s_and_saveexec_b64 s[16:17], s[14:15]
	s_cbranch_execz .LBB168_449
.LBB168_1141:
	v_lshlrev_b32_e32 v32, 3, v23
	v_sub_u32_e32 v32, v30, v32
	v_lshl_add_u32 v32, v22, 3, v32
	ds_read_b64 v[32:33], v32 offset:9408
	ds_read_b64 v[34:35], v30 offset:8336
	s_waitcnt lgkmcnt(0)
	v_mul_f32_e32 v36, v35, v33
	v_mul_f32_e32 v33, v34, v33
	v_fma_f32 v34, v34, v32, -v36
	v_fmac_f32_e32 v33, v35, v32
	v_add_f32_e32 v29, v29, v34
	v_add_f32_e32 v31, v31, v33
	s_or_b64 exec, exec, s[16:17]
	v_cmp_gt_u32_e64 s[14:15], 40, v1
	s_and_saveexec_b64 s[16:17], s[14:15]
	s_cbranch_execz .LBB168_450
.LBB168_1142:
	v_lshlrev_b32_e32 v32, 3, v23
	v_sub_u32_e32 v32, v30, v32
	v_lshl_add_u32 v32, v22, 3, v32
	ds_read_b64 v[32:33], v32 offset:9920
	ds_read_b64 v[34:35], v30 offset:8344
	s_waitcnt lgkmcnt(0)
	v_mul_f32_e32 v36, v35, v33
	v_mul_f32_e32 v33, v34, v33
	v_fma_f32 v34, v34, v32, -v36
	v_fmac_f32_e32 v33, v35, v32
	v_add_f32_e32 v29, v29, v34
	v_add_f32_e32 v31, v31, v33
	s_or_b64 exec, exec, s[16:17]
	v_cmp_gt_u32_e64 s[14:15], 32, v1
	s_and_saveexec_b64 s[16:17], s[14:15]
	s_cbranch_execz .LBB168_451
.LBB168_1143:
	ds_read_b64 v[32:33], v19 offset:10432
	ds_read_b64 v[34:35], v30 offset:8352
	s_waitcnt lgkmcnt(0)
	v_mul_f32_e32 v36, v35, v33
	v_mul_f32_e32 v33, v34, v33
	v_fma_f32 v34, v34, v32, -v36
	v_fmac_f32_e32 v33, v35, v32
	v_add_f32_e32 v29, v29, v34
	v_add_f32_e32 v31, v31, v33
	s_or_b64 exec, exec, s[16:17]
	v_cmp_gt_u32_e64 s[14:15], 24, v1
	s_and_saveexec_b64 s[16:17], s[14:15]
	s_cbranch_execz .LBB168_452
.LBB168_1144:
	v_lshlrev_b32_e32 v32, 3, v23
	v_sub_u32_e32 v32, v30, v32
	v_lshl_add_u32 v32, v22, 3, v32
	ds_read_b64 v[32:33], v32 offset:10944
	ds_read_b64 v[34:35], v30 offset:8360
	s_waitcnt lgkmcnt(0)
	v_mul_f32_e32 v36, v35, v33
	v_mul_f32_e32 v33, v34, v33
	v_fma_f32 v34, v34, v32, -v36
	v_fmac_f32_e32 v33, v35, v32
	v_add_f32_e32 v29, v29, v34
	v_add_f32_e32 v31, v31, v33
	s_or_b64 exec, exec, s[16:17]
	v_cmp_gt_u32_e64 s[14:15], 16, v1
	s_and_saveexec_b64 s[16:17], s[14:15]
	s_cbranch_execz .LBB168_453
.LBB168_1145:
	ds_read_b64 v[32:33], v19 offset:11456
	ds_read_b64 v[34:35], v30 offset:8368
	s_waitcnt lgkmcnt(0)
	v_mul_f32_e32 v30, v35, v33
	v_mul_f32_e32 v33, v34, v33
	v_fma_f32 v30, v34, v32, -v30
	v_fmac_f32_e32 v33, v35, v32
	v_add_f32_e32 v29, v29, v30
	v_add_f32_e32 v31, v31, v33
	s_or_b64 exec, exec, s[16:17]
	v_cmp_gt_u32_e64 s[14:15], 8, v1
	s_and_saveexec_b64 s[16:17], s[14:15]
	s_cbranch_execnz .LBB168_454
	s_branch .LBB168_455
.LBB168_1146:
	v_lshlrev_b32_e32 v32, 3, v18
	v_sub_u32_e32 v32, v30, v32
	v_lshl_add_u32 v32, v17, 3, v32
	ds_read_b64 v[32:33], v32 offset:13024
	ds_read_b64 v[34:35], v30 offset:12488
	s_waitcnt lgkmcnt(0)
	v_mul_f32_e32 v36, v35, v33
	v_mul_f32_e32 v33, v34, v33
	v_fma_f32 v34, v34, v32, -v36
	v_fmac_f32_e32 v33, v35, v32
	v_add_f32_e32 v29, v29, v34
	v_add_f32_e32 v31, v31, v33
	s_or_b64 exec, exec, s[16:17]
	v_cmp_gt_u32_e64 s[14:15], 8, v1
	s_and_saveexec_b64 s[16:17], s[14:15]
	s_cbranch_execz .LBB168_511
.LBB168_1147:
	ds_read_b64 v[32:33], v14 offset:13536
	ds_read_b64 v[34:35], v30 offset:12496
	s_waitcnt lgkmcnt(0)
	v_mul_f32_e32 v30, v35, v33
	v_mul_f32_e32 v33, v34, v33
	v_fma_f32 v30, v34, v32, -v30
	v_fmac_f32_e32 v33, v35, v32
	v_add_f32_e32 v29, v29, v30
	v_add_f32_e32 v31, v31, v33
	s_or_b64 exec, exec, s[16:17]
	v_cmp_gt_u32_e64 s[14:15], 4, v1
	s_and_saveexec_b64 s[16:17], s[14:15]
	s_cbranch_execnz .LBB168_512
	s_branch .LBB168_513
.LBB168_1148:
	ds_read_b64 v[37:38], v36 offset:15104
	ds_read_b64 v[39:40], v35 offset:232
	s_waitcnt lgkmcnt(0)
	v_mul_f32_e32 v41, v40, v38
	v_mul_f32_e32 v38, v39, v38
	v_fma_f32 v39, v39, v37, -v41
	v_fmac_f32_e32 v38, v40, v37
	v_add_f32_e32 v32, v32, v39
	v_add_f32_e32 v33, v33, v38
	s_or_b64 exec, exec, s[36:37]
	v_cmp_gt_u32_e64 s[20:21], 64, v1
	s_and_saveexec_b64 s[36:37], s[20:21]
	s_cbranch_execz .LBB168_609
.LBB168_1149:
	ds_read_b64 v[36:37], v36 offset:15616
	ds_read_b64 v[38:39], v35 offset:240
	s_waitcnt lgkmcnt(0)
	v_mul_f32_e32 v40, v39, v37
	v_mul_f32_e32 v37, v38, v37
	v_fma_f32 v38, v38, v36, -v40
	v_fmac_f32_e32 v37, v39, v36
	v_add_f32_e32 v32, v32, v38
	v_add_f32_e32 v33, v33, v37
	s_or_b64 exec, exec, s[36:37]
	v_cmp_gt_u32_e64 s[20:21], 32, v1
	s_and_saveexec_b64 s[36:37], s[20:21]
	s_cbranch_execnz .LBB168_610
	s_branch .LBB168_611
.LBB168_1150:
	v_lshlrev_b32_e32 v32, 3, v18
	v_sub_u32_e32 v32, v30, v32
	v_lshl_add_u32 v32, v17, 3, v32
	ds_read_b64 v[32:33], v32 offset:17184
	ds_read_b64 v[34:35], v30 offset:16648
	s_waitcnt lgkmcnt(0)
	v_mul_f32_e32 v36, v35, v33
	v_mul_f32_e32 v33, v34, v33
	v_fma_f32 v34, v34, v32, -v36
	v_fmac_f32_e32 v33, v35, v32
	v_add_f32_e32 v29, v29, v34
	v_add_f32_e32 v31, v31, v33
	s_or_b64 exec, exec, s[14:15]
	v_cmp_gt_u32_e64 s[12:13], 8, v1
	s_and_saveexec_b64 s[14:15], s[12:13]
	s_cbranch_execz .LBB168_647
.LBB168_1151:
	ds_read_b64 v[32:33], v14 offset:17696
	ds_read_b64 v[34:35], v30 offset:16656
	s_waitcnt lgkmcnt(0)
	v_mul_f32_e32 v30, v35, v33
	v_mul_f32_e32 v33, v34, v33
	v_fma_f32 v30, v34, v32, -v30
	v_fmac_f32_e32 v33, v35, v32
	v_add_f32_e32 v29, v29, v30
	v_add_f32_e32 v31, v31, v33
	s_or_b64 exec, exec, s[14:15]
	v_cmp_gt_u32_e64 s[12:13], 4, v1
	s_and_saveexec_b64 s[14:15], s[12:13]
	s_cbranch_execnz .LBB168_648
	s_branch .LBB168_649
.LBB168_1152:
	v_lshlrev_b32_e32 v32, 3, v23
	v_sub_u32_e32 v32, v30, v32
	v_lshl_add_u32 v32, v22, 3, v32
	ds_read_b64 v[32:33], v32 offset:17216
	ds_read_b64 v[34:35], v30 offset:16648
	s_waitcnt lgkmcnt(0)
	v_mul_f32_e32 v36, v35, v33
	v_mul_f32_e32 v33, v34, v33
	v_fma_f32 v34, v34, v32, -v36
	v_fmac_f32_e32 v33, v35, v32
	v_add_f32_e32 v29, v29, v34
	v_add_f32_e32 v31, v31, v33
	s_or_b64 exec, exec, s[14:15]
	v_cmp_gt_u32_e64 s[12:13], 48, v1
	s_and_saveexec_b64 s[14:15], s[12:13]
	s_cbranch_execz .LBB168_689
.LBB168_1153:
	v_lshlrev_b32_e32 v32, 3, v23
	v_sub_u32_e32 v32, v30, v32
	v_lshl_add_u32 v32, v22, 3, v32
	ds_read_b64 v[32:33], v32 offset:17728
	ds_read_b64 v[34:35], v30 offset:16656
	s_waitcnt lgkmcnt(0)
	v_mul_f32_e32 v36, v35, v33
	v_mul_f32_e32 v33, v34, v33
	v_fma_f32 v34, v34, v32, -v36
	v_fmac_f32_e32 v33, v35, v32
	v_add_f32_e32 v29, v29, v34
	v_add_f32_e32 v31, v31, v33
	s_or_b64 exec, exec, s[14:15]
	v_cmp_gt_u32_e64 s[12:13], 40, v1
	s_and_saveexec_b64 s[14:15], s[12:13]
	s_cbranch_execz .LBB168_690
.LBB168_1154:
	v_lshlrev_b32_e32 v32, 3, v23
	v_sub_u32_e32 v32, v30, v32
	v_lshl_add_u32 v32, v22, 3, v32
	ds_read_b64 v[32:33], v32 offset:18240
	ds_read_b64 v[34:35], v30 offset:16664
	s_waitcnt lgkmcnt(0)
	v_mul_f32_e32 v36, v35, v33
	v_mul_f32_e32 v33, v34, v33
	v_fma_f32 v34, v34, v32, -v36
	v_fmac_f32_e32 v33, v35, v32
	v_add_f32_e32 v29, v29, v34
	v_add_f32_e32 v31, v31, v33
	s_or_b64 exec, exec, s[14:15]
	v_cmp_gt_u32_e64 s[12:13], 32, v1
	s_and_saveexec_b64 s[14:15], s[12:13]
	s_cbranch_execz .LBB168_691
.LBB168_1155:
	ds_read_b64 v[32:33], v19 offset:18752
	ds_read_b64 v[34:35], v30 offset:16672
	s_waitcnt lgkmcnt(0)
	v_mul_f32_e32 v36, v35, v33
	v_mul_f32_e32 v33, v34, v33
	v_fma_f32 v34, v34, v32, -v36
	v_fmac_f32_e32 v33, v35, v32
	v_add_f32_e32 v29, v29, v34
	v_add_f32_e32 v31, v31, v33
	s_or_b64 exec, exec, s[14:15]
	v_cmp_gt_u32_e64 s[12:13], 24, v1
	s_and_saveexec_b64 s[14:15], s[12:13]
	s_cbranch_execz .LBB168_692
.LBB168_1156:
	v_lshlrev_b32_e32 v32, 3, v23
	v_sub_u32_e32 v32, v30, v32
	v_lshl_add_u32 v32, v22, 3, v32
	ds_read_b64 v[32:33], v32 offset:19264
	ds_read_b64 v[34:35], v30 offset:16680
	s_waitcnt lgkmcnt(0)
	v_mul_f32_e32 v36, v35, v33
	v_mul_f32_e32 v33, v34, v33
	v_fma_f32 v34, v34, v32, -v36
	v_fmac_f32_e32 v33, v35, v32
	v_add_f32_e32 v29, v29, v34
	v_add_f32_e32 v31, v31, v33
	s_or_b64 exec, exec, s[14:15]
	v_cmp_gt_u32_e64 s[12:13], 16, v1
	s_and_saveexec_b64 s[14:15], s[12:13]
	s_cbranch_execz .LBB168_693
.LBB168_1157:
	ds_read_b64 v[32:33], v19 offset:19776
	ds_read_b64 v[34:35], v30 offset:16688
	s_waitcnt lgkmcnt(0)
	v_mul_f32_e32 v30, v35, v33
	v_mul_f32_e32 v33, v34, v33
	v_fma_f32 v30, v34, v32, -v30
	v_fmac_f32_e32 v33, v35, v32
	v_add_f32_e32 v29, v29, v30
	v_add_f32_e32 v31, v31, v33
	s_or_b64 exec, exec, s[14:15]
	v_cmp_gt_u32_e64 s[12:13], 8, v1
	s_and_saveexec_b64 s[14:15], s[12:13]
	s_cbranch_execnz .LBB168_694
	s_branch .LBB168_695
.LBB168_1158:
	v_lshlrev_b32_e32 v32, 3, v18
	v_sub_u32_e32 v32, v30, v32
	v_lshl_add_u32 v32, v17, 3, v32
	ds_read_b64 v[32:33], v32 offset:21344
	ds_read_b64 v[34:35], v30 offset:20808
	s_waitcnt lgkmcnt(0)
	v_mul_f32_e32 v36, v35, v33
	v_mul_f32_e32 v33, v34, v33
	v_fma_f32 v34, v34, v32, -v36
	v_fmac_f32_e32 v33, v35, v32
	v_add_f32_e32 v29, v29, v34
	v_add_f32_e32 v31, v31, v33
	s_or_b64 exec, exec, s[14:15]
	v_cmp_gt_u32_e64 s[12:13], 8, v1
	s_and_saveexec_b64 s[14:15], s[12:13]
	s_cbranch_execz .LBB168_751
.LBB168_1159:
	ds_read_b64 v[32:33], v14 offset:21856
	ds_read_b64 v[34:35], v30 offset:20816
	s_waitcnt lgkmcnt(0)
	v_mul_f32_e32 v30, v35, v33
	v_mul_f32_e32 v33, v34, v33
	v_fma_f32 v30, v34, v32, -v30
	v_fmac_f32_e32 v33, v35, v32
	v_add_f32_e32 v29, v29, v30
	v_add_f32_e32 v31, v31, v33
	s_or_b64 exec, exec, s[14:15]
	v_cmp_gt_u32_e64 s[12:13], 4, v1
	s_and_saveexec_b64 s[14:15], s[12:13]
	s_cbranch_execnz .LBB168_752
	s_branch .LBB168_753
.LBB168_1160:
	v_lshlrev_b32_e32 v28, 3, v25
	v_lshl_add_u32 v28, v27, 3, v28
	ds_read_b64 v[32:33], v28 offset:22400
	ds_read_b64 v[34:35], v30 offset:16728
	s_waitcnt lgkmcnt(0)
	v_mul_f32_e32 v28, v35, v33
	v_mul_f32_e32 v33, v34, v33
	v_fma_f32 v28, v34, v32, -v28
	v_fmac_f32_e32 v33, v35, v32
	v_add_f32_e32 v29, v29, v28
	v_add_f32_e32 v31, v31, v33
	s_or_b64 exec, exec, s[14:15]
	v_cmp_gt_u32_e64 s[12:13], 64, v1
	s_and_saveexec_b64 s[14:15], s[12:13]
	s_cbranch_execz .LBB168_813
.LBB168_1161:
	ds_read_b64 v[32:33], v24 offset:22912
	ds_read_b64 v[34:35], v30 offset:16736
	s_waitcnt lgkmcnt(0)
	v_mul_f32_e32 v28, v35, v33
	v_mul_f32_e32 v33, v34, v33
	v_fma_f32 v28, v34, v32, -v28
	v_fmac_f32_e32 v33, v35, v32
	v_add_f32_e32 v29, v29, v28
	v_add_f32_e32 v31, v31, v33
	s_or_b64 exec, exec, s[14:15]
	v_cmp_gt_u32_e64 s[12:13], 48, v1
	s_and_saveexec_b64 s[14:15], s[12:13]
	s_cbranch_execz .LBB168_814
.LBB168_1162:
	v_lshlrev_b32_e32 v28, 3, v25
	v_lshl_add_u32 v27, v27, 3, v28
	ds_read_b64 v[27:28], v27 offset:23424
	ds_read_b64 v[32:33], v30 offset:16744
	s_waitcnt lgkmcnt(0)
	v_mul_f32_e32 v34, v33, v28
	v_mul_f32_e32 v28, v32, v28
	v_fma_f32 v32, v32, v27, -v34
	v_fmac_f32_e32 v28, v33, v27
	v_add_f32_e32 v29, v29, v32
	v_add_f32_e32 v31, v31, v28
	s_or_b64 exec, exec, s[14:15]
	v_cmp_gt_u32_e64 s[12:13], 32, v1
	s_and_saveexec_b64 s[14:15], s[12:13]
	s_cbranch_execz .LBB168_815
.LBB168_1163:
	ds_read_b64 v[27:28], v24 offset:23936
	ds_read_b64 v[32:33], v30 offset:16752
	s_waitcnt lgkmcnt(0)
	v_mul_f32_e32 v30, v33, v28
	v_mul_f32_e32 v28, v32, v28
	v_fma_f32 v30, v32, v27, -v30
	v_fmac_f32_e32 v28, v33, v27
	v_add_f32_e32 v29, v29, v30
	v_add_f32_e32 v31, v31, v28
	s_or_b64 exec, exec, s[14:15]
	v_cmp_gt_u32_e64 s[12:13], 16, v1
	s_and_saveexec_b64 s[14:15], s[12:13]
	s_cbranch_execnz .LBB168_816
	s_branch .LBB168_817
.LBB168_1164:
	v_lshlrev_b32_e32 v27, 3, v18
	v_sub_u32_e32 v27, v25, v27
	v_lshl_add_u32 v27, v17, 3, v27
	ds_read_b64 v[27:28], v27 offset:25504
	ds_read_b64 v[29:30], v25 offset:24968
	s_waitcnt lgkmcnt(0)
	v_mul_f32_e32 v31, v30, v28
	v_mul_f32_e32 v28, v29, v28
	v_fma_f32 v29, v29, v27, -v31
	v_fmac_f32_e32 v28, v30, v27
	v_add_f32_e32 v24, v24, v29
	v_add_f32_e32 v26, v26, v28
	s_or_b64 exec, exec, s[12:13]
	v_cmp_gt_u32_e64 s[10:11], 8, v1
	s_and_saveexec_b64 s[12:13], s[10:11]
	s_cbranch_execz .LBB168_905
.LBB168_1165:
	ds_read_b64 v[27:28], v14 offset:26016
	ds_read_b64 v[29:30], v25 offset:24976
	s_waitcnt lgkmcnt(0)
	v_mul_f32_e32 v25, v30, v28
	v_mul_f32_e32 v28, v29, v28
	v_fma_f32 v25, v29, v27, -v25
	v_fmac_f32_e32 v28, v30, v27
	v_add_f32_e32 v24, v24, v25
	v_add_f32_e32 v26, v26, v28
	s_or_b64 exec, exec, s[12:13]
	v_cmp_gt_u32_e64 s[10:11], 4, v1
	s_and_saveexec_b64 s[12:13], s[10:11]
	s_cbranch_execnz .LBB168_906
	s_branch .LBB168_907
.LBB168_1166:
	v_lshlrev_b32_e32 v27, 3, v23
	v_sub_u32_e32 v27, v25, v27
	v_lshl_add_u32 v27, v22, 3, v27
	ds_read_b64 v[27:28], v27 offset:25536
	ds_read_b64 v[29:30], v25 offset:24968
	s_waitcnt lgkmcnt(0)
	v_mul_f32_e32 v31, v30, v28
	v_mul_f32_e32 v28, v29, v28
	v_fma_f32 v29, v29, v27, -v31
	v_fmac_f32_e32 v28, v30, v27
	v_add_f32_e32 v24, v24, v29
	v_add_f32_e32 v26, v26, v28
	s_or_b64 exec, exec, s[12:13]
	v_cmp_gt_u32_e64 s[10:11], 48, v1
	s_and_saveexec_b64 s[12:13], s[10:11]
	s_cbranch_execz .LBB168_947
.LBB168_1167:
	v_lshlrev_b32_e32 v27, 3, v23
	v_sub_u32_e32 v27, v25, v27
	v_lshl_add_u32 v27, v22, 3, v27
	ds_read_b64 v[27:28], v27 offset:26048
	ds_read_b64 v[29:30], v25 offset:24976
	s_waitcnt lgkmcnt(0)
	v_mul_f32_e32 v31, v30, v28
	v_mul_f32_e32 v28, v29, v28
	v_fma_f32 v29, v29, v27, -v31
	v_fmac_f32_e32 v28, v30, v27
	v_add_f32_e32 v24, v24, v29
	v_add_f32_e32 v26, v26, v28
	s_or_b64 exec, exec, s[12:13]
	v_cmp_gt_u32_e64 s[10:11], 40, v1
	s_and_saveexec_b64 s[12:13], s[10:11]
	s_cbranch_execz .LBB168_948
.LBB168_1168:
	v_lshlrev_b32_e32 v27, 3, v23
	v_sub_u32_e32 v27, v25, v27
	v_lshl_add_u32 v27, v22, 3, v27
	ds_read_b64 v[27:28], v27 offset:26560
	ds_read_b64 v[29:30], v25 offset:24984
	s_waitcnt lgkmcnt(0)
	v_mul_f32_e32 v31, v30, v28
	v_mul_f32_e32 v28, v29, v28
	v_fma_f32 v29, v29, v27, -v31
	v_fmac_f32_e32 v28, v30, v27
	v_add_f32_e32 v24, v24, v29
	v_add_f32_e32 v26, v26, v28
	s_or_b64 exec, exec, s[12:13]
	v_cmp_gt_u32_e64 s[10:11], 32, v1
	s_and_saveexec_b64 s[12:13], s[10:11]
	s_cbranch_execz .LBB168_949
.LBB168_1169:
	ds_read_b64 v[27:28], v19 offset:27072
	ds_read_b64 v[29:30], v25 offset:24992
	s_waitcnt lgkmcnt(0)
	v_mul_f32_e32 v31, v30, v28
	v_mul_f32_e32 v28, v29, v28
	v_fma_f32 v29, v29, v27, -v31
	v_fmac_f32_e32 v28, v30, v27
	v_add_f32_e32 v24, v24, v29
	v_add_f32_e32 v26, v26, v28
	s_or_b64 exec, exec, s[12:13]
	v_cmp_gt_u32_e64 s[10:11], 24, v1
	s_and_saveexec_b64 s[12:13], s[10:11]
	s_cbranch_execz .LBB168_950
.LBB168_1170:
	v_lshlrev_b32_e32 v23, 3, v23
	v_sub_u32_e32 v23, v25, v23
	v_lshl_add_u32 v22, v22, 3, v23
	ds_read_b64 v[22:23], v22 offset:27584
	ds_read_b64 v[27:28], v25 offset:25000
	s_waitcnt lgkmcnt(0)
	v_mul_f32_e32 v29, v28, v23
	v_mul_f32_e32 v23, v27, v23
	v_fma_f32 v27, v27, v22, -v29
	v_fmac_f32_e32 v23, v28, v22
	v_add_f32_e32 v24, v24, v27
	v_add_f32_e32 v26, v26, v23
	s_or_b64 exec, exec, s[12:13]
	v_cmp_gt_u32_e64 s[10:11], 16, v1
	s_and_saveexec_b64 s[12:13], s[10:11]
	s_cbranch_execz .LBB168_951
.LBB168_1171:
	ds_read_b64 v[22:23], v19 offset:28096
	ds_read_b64 v[27:28], v25 offset:25008
	s_waitcnt lgkmcnt(0)
	v_mul_f32_e32 v25, v28, v23
	v_mul_f32_e32 v23, v27, v23
	v_fma_f32 v25, v27, v22, -v25
	v_fmac_f32_e32 v23, v28, v22
	v_add_f32_e32 v24, v24, v25
	v_add_f32_e32 v26, v26, v23
	s_or_b64 exec, exec, s[12:13]
	v_cmp_gt_u32_e64 s[10:11], 8, v1
	s_and_saveexec_b64 s[12:13], s[10:11]
	s_cbranch_execnz .LBB168_952
	s_branch .LBB168_953
.LBB168_1172:
	v_lshlrev_b32_e32 v18, 3, v18
	v_sub_u32_e32 v18, v20, v18
	v_lshl_add_u32 v17, v17, 3, v18
	ds_read_b64 v[17:18], v17 offset:29664
	ds_read_b64 v[22:23], v20 offset:29128
	s_waitcnt lgkmcnt(0)
	v_mul_f32_e32 v24, v23, v18
	v_mul_f32_e32 v18, v22, v18
	v_fma_f32 v22, v22, v17, -v24
	v_fmac_f32_e32 v18, v23, v17
	v_add_f32_e32 v19, v19, v22
	v_add_f32_e32 v21, v21, v18
	s_or_b64 exec, exec, s[10:11]
	v_cmp_gt_u32_e64 s[8:9], 8, v1
	s_and_saveexec_b64 s[10:11], s[8:9]
	s_cbranch_execz .LBB168_1009
.LBB168_1173:
	ds_read_b64 v[17:18], v14 offset:30176
	ds_read_b64 v[22:23], v20 offset:29136
	s_waitcnt lgkmcnt(0)
	v_mul_f32_e32 v20, v23, v18
	v_mul_f32_e32 v18, v22, v18
	v_fma_f32 v20, v22, v17, -v20
	v_fmac_f32_e32 v18, v23, v17
	v_add_f32_e32 v19, v19, v20
	v_add_f32_e32 v21, v21, v18
	s_or_b64 exec, exec, s[10:11]
	v_cmp_gt_u32_e64 s[8:9], 4, v1
	s_and_saveexec_b64 s[10:11], s[8:9]
	s_cbranch_execnz .LBB168_1010
	s_branch .LBB168_1011
	.section	.rodata,"a",@progbits
	.p2align	6, 0x0
	.amdhsa_kernel _ZL19rocblas_trsv_deviceILi64ELi16ELb1ELb1ELb1ELb0E19rocblas_complex_numIfES1_PKPKS1_PKPS1_EviT7_lllT6_T8_lllPii
		.amdhsa_group_segment_fixed_size 41480
		.amdhsa_private_segment_fixed_size 0
		.amdhsa_kernarg_size 352
		.amdhsa_user_sgpr_count 6
		.amdhsa_user_sgpr_private_segment_buffer 1
		.amdhsa_user_sgpr_dispatch_ptr 0
		.amdhsa_user_sgpr_queue_ptr 0
		.amdhsa_user_sgpr_kernarg_segment_ptr 1
		.amdhsa_user_sgpr_dispatch_id 0
		.amdhsa_user_sgpr_flat_scratch_init 0
		.amdhsa_user_sgpr_private_segment_size 0
		.amdhsa_uses_dynamic_stack 0
		.amdhsa_system_sgpr_private_segment_wavefront_offset 0
		.amdhsa_system_sgpr_workgroup_id_x 1
		.amdhsa_system_sgpr_workgroup_id_y 0
		.amdhsa_system_sgpr_workgroup_id_z 1
		.amdhsa_system_sgpr_workgroup_info 0
		.amdhsa_system_vgpr_workitem_id 1
		.amdhsa_next_free_vgpr 49
		.amdhsa_next_free_sgpr 98
		.amdhsa_reserve_vcc 1
		.amdhsa_reserve_flat_scratch 0
		.amdhsa_float_round_mode_32 0
		.amdhsa_float_round_mode_16_64 0
		.amdhsa_float_denorm_mode_32 3
		.amdhsa_float_denorm_mode_16_64 3
		.amdhsa_dx10_clamp 1
		.amdhsa_ieee_mode 1
		.amdhsa_fp16_overflow 0
		.amdhsa_exception_fp_ieee_invalid_op 0
		.amdhsa_exception_fp_denorm_src 0
		.amdhsa_exception_fp_ieee_div_zero 0
		.amdhsa_exception_fp_ieee_overflow 0
		.amdhsa_exception_fp_ieee_underflow 0
		.amdhsa_exception_fp_ieee_inexact 0
		.amdhsa_exception_int_div_zero 0
	.end_amdhsa_kernel
	.section	.text._ZL19rocblas_trsv_deviceILi64ELi16ELb1ELb1ELb1ELb0E19rocblas_complex_numIfES1_PKPKS1_PKPS1_EviT7_lllT6_T8_lllPii,"axG",@progbits,_ZL19rocblas_trsv_deviceILi64ELi16ELb1ELb1ELb1ELb0E19rocblas_complex_numIfES1_PKPKS1_PKPS1_EviT7_lllT6_T8_lllPii,comdat
.Lfunc_end168:
	.size	_ZL19rocblas_trsv_deviceILi64ELi16ELb1ELb1ELb1ELb0E19rocblas_complex_numIfES1_PKPKS1_PKPS1_EviT7_lllT6_T8_lllPii, .Lfunc_end168-_ZL19rocblas_trsv_deviceILi64ELi16ELb1ELb1ELb1ELb0E19rocblas_complex_numIfES1_PKPKS1_PKPS1_EviT7_lllT6_T8_lllPii
                                        ; -- End function
	.set _ZL19rocblas_trsv_deviceILi64ELi16ELb1ELb1ELb1ELb0E19rocblas_complex_numIfES1_PKPKS1_PKPS1_EviT7_lllT6_T8_lllPii.num_vgpr, 43
	.set _ZL19rocblas_trsv_deviceILi64ELi16ELb1ELb1ELb1ELb0E19rocblas_complex_numIfES1_PKPKS1_PKPS1_EviT7_lllT6_T8_lllPii.num_agpr, 0
	.set _ZL19rocblas_trsv_deviceILi64ELi16ELb1ELb1ELb1ELb0E19rocblas_complex_numIfES1_PKPKS1_PKPS1_EviT7_lllT6_T8_lllPii.numbered_sgpr, 96
	.set _ZL19rocblas_trsv_deviceILi64ELi16ELb1ELb1ELb1ELb0E19rocblas_complex_numIfES1_PKPKS1_PKPS1_EviT7_lllT6_T8_lllPii.num_named_barrier, 0
	.set _ZL19rocblas_trsv_deviceILi64ELi16ELb1ELb1ELb1ELb0E19rocblas_complex_numIfES1_PKPKS1_PKPS1_EviT7_lllT6_T8_lllPii.private_seg_size, 0
	.set _ZL19rocblas_trsv_deviceILi64ELi16ELb1ELb1ELb1ELb0E19rocblas_complex_numIfES1_PKPKS1_PKPS1_EviT7_lllT6_T8_lllPii.uses_vcc, 1
	.set _ZL19rocblas_trsv_deviceILi64ELi16ELb1ELb1ELb1ELb0E19rocblas_complex_numIfES1_PKPKS1_PKPS1_EviT7_lllT6_T8_lllPii.uses_flat_scratch, 0
	.set _ZL19rocblas_trsv_deviceILi64ELi16ELb1ELb1ELb1ELb0E19rocblas_complex_numIfES1_PKPKS1_PKPS1_EviT7_lllT6_T8_lllPii.has_dyn_sized_stack, 0
	.set _ZL19rocblas_trsv_deviceILi64ELi16ELb1ELb1ELb1ELb0E19rocblas_complex_numIfES1_PKPKS1_PKPS1_EviT7_lllT6_T8_lllPii.has_recursion, 0
	.set _ZL19rocblas_trsv_deviceILi64ELi16ELb1ELb1ELb1ELb0E19rocblas_complex_numIfES1_PKPKS1_PKPS1_EviT7_lllT6_T8_lllPii.has_indirect_call, 0
	.section	.AMDGPU.csdata,"",@progbits
; Kernel info:
; codeLenInByte = 49376
; TotalNumSgprs: 100
; NumVgprs: 43
; ScratchSize: 0
; MemoryBound: 0
; FloatMode: 240
; IeeeMode: 1
; LDSByteSize: 41480 bytes/workgroup (compile time only)
; SGPRBlocks: 12
; VGPRBlocks: 12
; NumSGPRsForWavesPerEU: 102
; NumVGPRsForWavesPerEU: 49
; Occupancy: 4
; WaveLimiterHint : 1
; COMPUTE_PGM_RSRC2:SCRATCH_EN: 0
; COMPUTE_PGM_RSRC2:USER_SGPR: 6
; COMPUTE_PGM_RSRC2:TRAP_HANDLER: 0
; COMPUTE_PGM_RSRC2:TGID_X_EN: 1
; COMPUTE_PGM_RSRC2:TGID_Y_EN: 0
; COMPUTE_PGM_RSRC2:TGID_Z_EN: 1
; COMPUTE_PGM_RSRC2:TIDIG_COMP_CNT: 1
	.section	.text._ZL19rocblas_trsv_deviceILi32ELi16ELb0ELb0ELb0ELb1E19rocblas_complex_numIdEPKS1_PKS3_PKPS1_EviT7_lllT6_T8_lllPii,"axG",@progbits,_ZL19rocblas_trsv_deviceILi32ELi16ELb0ELb0ELb0ELb1E19rocblas_complex_numIdEPKS1_PKS3_PKPS1_EviT7_lllT6_T8_lllPii,comdat
	.globl	_ZL19rocblas_trsv_deviceILi32ELi16ELb0ELb0ELb0ELb1E19rocblas_complex_numIdEPKS1_PKS3_PKPS1_EviT7_lllT6_T8_lllPii ; -- Begin function _ZL19rocblas_trsv_deviceILi32ELi16ELb0ELb0ELb0ELb1E19rocblas_complex_numIdEPKS1_PKS3_PKPS1_EviT7_lllT6_T8_lllPii
	.p2align	8
	.type	_ZL19rocblas_trsv_deviceILi32ELi16ELb0ELb0ELb0ELb1E19rocblas_complex_numIdEPKS1_PKS3_PKPS1_EviT7_lllT6_T8_lllPii,@function
_ZL19rocblas_trsv_deviceILi32ELi16ELb0ELb0ELb0ELb1E19rocblas_complex_numIdEPKS1_PKS3_PKPS1_EviT7_lllT6_T8_lllPii: ; @_ZL19rocblas_trsv_deviceILi32ELi16ELb0ELb0ELb0ELb1E19rocblas_complex_numIdEPKS1_PKS3_PKPS1_EviT7_lllT6_T8_lllPii
; %bb.0:
	s_load_dwordx4 s[0:3], s[4:5], 0x8
	s_mov_b32 s24, s7
	s_mov_b32 s25, 0
	s_lshl_b64 s[8:9], s[24:25], 3
	s_waitcnt lgkmcnt(0)
	s_add_u32 s0, s0, s8
	s_addc_u32 s1, s1, s9
	s_load_dwordx2 s[10:11], s[0:1], 0x0
	s_load_dword s26, s[4:5], 0x0
	s_load_dwordx8 s[12:19], s[4:5], 0x28
	s_load_dwordx2 s[28:29], s[4:5], 0x18
	s_lshl_b64 s[0:1], s[2:3], 4
	s_waitcnt lgkmcnt(0)
	s_add_u32 s87, s10, s0
	s_addc_u32 s88, s11, s1
	s_add_u32 s0, s14, s8
	s_load_dword s7, s[4:5], 0x60
	s_addc_u32 s1, s15, s9
	s_load_dwordx2 s[34:35], s[0:1], 0x0
	s_load_dwordx4 s[20:23], s[12:13], 0x0
	s_load_dword s89, s[4:5], 0x6c
	s_waitcnt lgkmcnt(0)
	s_add_i32 s7, s7, -1
	s_sub_i32 s33, s7, s6
	s_cmp_eq_u32 s6, 0
	s_cbranch_scc1 .LBB169_6
; %bb.1:
	s_lshl_b32 s2, s33, 5
	v_add3_u32 v6, v1, s2, 32
	v_ashrrev_i32_e32 v2, 31, v6
	v_mul_lo_u32 v7, s28, v2
	v_mul_lo_u32 v8, s29, v6
	v_mad_u64_u32 v[2:3], s[0:1], s28, v6, 0
	v_add_u32_e32 v4, s2, v0
	v_ashrrev_i32_e32 v5, 31, v4
	v_add3_u32 v3, v3, v7, v8
	v_lshlrev_b64 v[2:3], 4, v[2:3]
	v_mov_b32_e32 v7, s88
	v_add_co_u32_e64 v8, s[0:1], s87, v2
	v_addc_co_u32_e64 v7, s[0:1], v7, v3, s[0:1]
	v_lshlrev_b64 v[2:3], 4, v[4:5]
	v_cmp_gt_i32_e32 vcc, s26, v4
	v_add_co_u32_e64 v10, s[0:1], v8, v2
	v_addc_co_u32_e64 v11, s[0:1], v7, v3, s[0:1]
	v_cmp_gt_i32_e64 s[0:1], s26, v6
	v_mov_b32_e32 v8, 0
	v_mov_b32_e32 v2, 0
	;; [unrolled: 1-line block ×6, first 2 shown]
	s_and_b64 s[2:3], vcc, s[0:1]
	s_barrier
	s_and_saveexec_b64 s[0:1], s[2:3]
	s_cbranch_execz .LBB169_3
; %bb.2:
	flat_load_dwordx4 v[2:5], v[10:11]
.LBB169_3:
	s_or_b64 exec, exec, s[0:1]
	v_add_u32_e32 v6, 16, v6
	v_cmp_gt_i32_e64 s[0:1], s26, v6
	v_mov_b32_e32 v6, 0
	v_mov_b32_e32 v7, 0
	s_and_b64 s[2:3], vcc, s[0:1]
	s_waitcnt vmcnt(0) lgkmcnt(0)
	s_barrier
	s_and_saveexec_b64 s[0:1], s[2:3]
	s_cbranch_execz .LBB169_5
; %bb.4:
	s_lshl_b64 s[2:3], s[28:29], 8
	v_mov_b32_e32 v7, s3
	v_add_co_u32_e32 v6, vcc, s2, v10
	v_addc_co_u32_e32 v7, vcc, v11, v7, vcc
	flat_load_dwordx4 v[6:9], v[6:7]
.LBB169_5:
	s_or_b64 exec, exec, s[0:1]
	s_branch .LBB169_7
.LBB169_6:
                                        ; implicit-def: $vgpr8_vgpr9
                                        ; implicit-def: $vgpr4_vgpr5
.LBB169_7:
	s_ashr_i32 s27, s26, 31
	s_lshr_b32 s0, s27, 27
	s_add_i32 s0, s26, s0
	s_andn2_b32 s0, s0, 31
	s_sub_i32 s86, s26, s0
	s_add_i32 s0, s26, -1
	s_ashr_i32 s1, s0, 31
	s_lshr_b32 s1, s1, 27
	s_add_i32 s0, s0, s1
	s_ashr_i32 s0, s0, 5
	s_cmp_eq_u32 s0, s33
	s_cselect_b64 s[0:1], -1, 0
	s_cmp_lg_u32 s86, 0
	s_cselect_b64 s[2:3], -1, 0
	s_and_b64 s[30:31], s[2:3], s[0:1]
	s_mov_b64 s[2:3], -1
	s_and_b64 vcc, exec, s[30:31]
	v_cmp_le_u32_e64 s[0:1], v1, v0
	v_lshl_add_u32 v21, v1, 5, v0
	s_cbranch_vccnz .LBB169_21
; %bb.8:
	s_add_u32 s2, s28, 1
	s_addc_u32 s3, s29, 0
	s_lshl_b32 s8, s33, 5
	s_ashr_i32 s9, s8, 31
	s_mul_hi_u32 s10, s2, s8
	s_mul_i32 s9, s2, s9
	s_add_i32 s9, s10, s9
	s_mul_i32 s3, s3, s8
	s_add_i32 s3, s9, s3
	s_mul_i32 s2, s2, s8
	s_lshl_b64 s[2:3], s[2:3], 4
	s_add_u32 s2, s87, s2
	s_addc_u32 s3, s88, s3
	v_lshlrev_b32_e32 v10, 4, v0
	v_mov_b32_e32 v11, s3
	v_add_co_u32_e32 v10, vcc, s2, v10
	v_addc_co_u32_e32 v11, vcc, 0, v11, vcc
	s_and_saveexec_b64 s[2:3], s[0:1]
	s_xor_b64 s[0:1], exec, s[2:3]
	s_cbranch_execz .LBB169_12
; %bb.9:
	v_or_b32_e32 v12, v1, v0
	v_cmp_gt_u32_e32 vcc, 32, v12
	s_and_saveexec_b64 s[2:3], vcc
	s_cbranch_execz .LBB169_11
; %bb.10:
	v_mov_b32_e32 v12, 0
	v_lshlrev_b32_e32 v16, 4, v21
	v_mov_b32_e32 v13, v12
	v_mov_b32_e32 v14, v12
	;; [unrolled: 1-line block ×3, first 2 shown]
	ds_write_b128 v16, v[12:15]
.LBB169_11:
	s_or_b64 exec, exec, s[2:3]
.LBB169_12:
	s_andn2_saveexec_b64 s[0:1], s[0:1]
	s_cbranch_execz .LBB169_14
; %bb.13:
	v_mad_u64_u32 v[12:13], s[2:3], s28, v1, 0
	v_lshlrev_b32_e32 v16, 4, v21
	v_mad_u64_u32 v[13:14], s[2:3], s29, v1, v[13:14]
	v_lshlrev_b64 v[12:13], 4, v[12:13]
	v_add_co_u32_e32 v12, vcc, v10, v12
	v_addc_co_u32_e32 v13, vcc, v11, v13, vcc
	flat_load_dwordx4 v[12:15], v[12:13]
	s_waitcnt vmcnt(0) lgkmcnt(0)
	v_xor_b32_e32 v13, 0x80000000, v13
	v_xor_b32_e32 v15, 0x80000000, v15
	ds_write_b128 v16, v[12:15]
.LBB169_14:
	s_or_b64 exec, exec, s[0:1]
	v_add_u32_e32 v13, 16, v1
	v_lshl_add_u32 v12, v13, 5, v0
	v_cmp_le_u32_e32 vcc, v13, v0
	s_and_saveexec_b64 s[0:1], vcc
	s_xor_b64 s[0:1], exec, s[0:1]
	s_cbranch_execz .LBB169_18
; %bb.15:
	v_or_b32_e32 v10, v13, v0
	v_cmp_gt_u32_e32 vcc, 32, v10
	s_and_saveexec_b64 s[2:3], vcc
	s_cbranch_execz .LBB169_17
; %bb.16:
	v_mov_b32_e32 v10, 0
	v_lshlrev_b32_e32 v14, 4, v12
	v_mov_b32_e32 v11, v10
	v_mov_b32_e32 v12, v10
	;; [unrolled: 1-line block ×3, first 2 shown]
	ds_write_b128 v14, v[10:13]
.LBB169_17:
	s_or_b64 exec, exec, s[2:3]
                                        ; implicit-def: $vgpr13
                                        ; implicit-def: $vgpr10
                                        ; implicit-def: $vgpr11
                                        ; implicit-def: $vgpr12
.LBB169_18:
	s_andn2_saveexec_b64 s[0:1], s[0:1]
	s_cbranch_execz .LBB169_20
; %bb.19:
	v_mad_u64_u32 v[14:15], s[2:3], s28, v13, 0
	v_mad_u64_u32 v[15:16], s[2:3], s29, v13, v[15:16]
	v_lshlrev_b64 v[13:14], 4, v[14:15]
	v_add_co_u32_e32 v10, vcc, v10, v13
	v_addc_co_u32_e32 v11, vcc, v11, v14, vcc
	flat_load_dwordx4 v[13:16], v[10:11]
	v_lshlrev_b32_e32 v10, 4, v12
	s_waitcnt vmcnt(0) lgkmcnt(0)
	v_xor_b32_e32 v14, 0x80000000, v14
	v_xor_b32_e32 v16, 0x80000000, v16
	ds_write_b128 v10, v[13:16]
.LBB169_20:
	s_or_b64 exec, exec, s[0:1]
	s_mov_b64 s[2:3], 0
.LBB169_21:
	s_and_b64 vcc, exec, s[2:3]
	s_cbranch_vccz .LBB169_35
; %bb.22:
	s_add_u32 s0, s28, 1
	s_addc_u32 s1, s29, 0
	s_lshl_b32 s2, s33, 5
	s_ashr_i32 s3, s2, 31
	s_mul_hi_u32 s8, s0, s2
	s_mul_i32 s3, s0, s3
	s_add_i32 s3, s8, s3
	s_mul_i32 s1, s1, s2
	s_add_i32 s1, s3, s1
	s_mul_i32 s0, s0, s2
	s_lshl_b64 s[0:1], s[0:1], 4
	s_add_u32 s0, s87, s0
	s_addc_u32 s1, s88, s1
	v_lshlrev_b32_e32 v10, 4, v0
	v_mov_b32_e32 v11, s1
	v_add_co_u32_e64 v10, s[0:1], s0, v10
	v_addc_co_u32_e64 v11, s[0:1], 0, v11, s[0:1]
	v_max_i32_e32 v12, v1, v0
	v_cmp_le_u32_e64 s[0:1], v1, v0
	v_cmp_le_i32_e64 s[2:3], s86, v12
	v_cmp_gt_i32_e32 vcc, s86, v0
	s_or_b64 s[0:1], s[2:3], s[0:1]
	s_and_saveexec_b64 s[2:3], s[0:1]
	s_xor_b64 s[2:3], exec, s[2:3]
	s_cbranch_execz .LBB169_26
; %bb.23:
	v_or_b32_e32 v12, v1, v0
	v_cmp_gt_u32_e64 s[0:1], 32, v12
	s_and_saveexec_b64 s[8:9], s[0:1]
	s_cbranch_execz .LBB169_25
; %bb.24:
	v_mov_b32_e32 v12, 0
	v_lshlrev_b32_e32 v16, 4, v21
	v_mov_b32_e32 v13, v12
	v_mov_b32_e32 v14, v12
	;; [unrolled: 1-line block ×3, first 2 shown]
	ds_write_b128 v16, v[12:15]
.LBB169_25:
	s_or_b64 exec, exec, s[8:9]
.LBB169_26:
	s_andn2_saveexec_b64 s[2:3], s[2:3]
	s_cbranch_execz .LBB169_28
; %bb.27:
	v_mad_u64_u32 v[12:13], s[0:1], s28, v1, 0
	v_lshlrev_b32_e32 v16, 4, v21
	v_mad_u64_u32 v[13:14], s[0:1], s29, v1, v[13:14]
	v_lshlrev_b64 v[12:13], 4, v[12:13]
	v_add_co_u32_e64 v12, s[0:1], v10, v12
	v_addc_co_u32_e64 v13, s[0:1], v11, v13, s[0:1]
	flat_load_dwordx4 v[12:15], v[12:13]
	s_waitcnt vmcnt(0) lgkmcnt(0)
	v_xor_b32_e32 v13, 0x80000000, v13
	v_xor_b32_e32 v15, 0x80000000, v15
	ds_write_b128 v16, v[12:15]
.LBB169_28:
	s_or_b64 exec, exec, s[2:3]
	v_add_u32_e32 v13, 16, v1
	v_cmp_gt_u32_e64 s[0:1], v13, v0
	v_cmp_gt_i32_e64 s[2:3], s86, v13
	s_and_b64 s[0:1], s[0:1], s[2:3]
	s_and_b64 s[0:1], s[0:1], vcc
	v_lshl_add_u32 v12, v13, 5, v0
	s_xor_b64 s[0:1], s[0:1], -1
	s_and_saveexec_b64 s[2:3], s[0:1]
	s_xor_b64 s[0:1], exec, s[2:3]
	s_cbranch_execz .LBB169_32
; %bb.29:
	v_or_b32_e32 v10, v13, v0
	v_cmp_gt_u32_e32 vcc, 32, v10
	s_and_saveexec_b64 s[2:3], vcc
	s_cbranch_execz .LBB169_31
; %bb.30:
	v_mov_b32_e32 v10, 0
	v_lshlrev_b32_e32 v14, 4, v12
	v_mov_b32_e32 v11, v10
	v_mov_b32_e32 v12, v10
	;; [unrolled: 1-line block ×3, first 2 shown]
	ds_write_b128 v14, v[10:13]
.LBB169_31:
	s_or_b64 exec, exec, s[2:3]
                                        ; implicit-def: $vgpr13
                                        ; implicit-def: $vgpr10
                                        ; implicit-def: $vgpr11
                                        ; implicit-def: $vgpr12
.LBB169_32:
	s_andn2_saveexec_b64 s[0:1], s[0:1]
	s_cbranch_execz .LBB169_34
; %bb.33:
	v_mad_u64_u32 v[14:15], s[2:3], s28, v13, 0
	v_mad_u64_u32 v[15:16], s[2:3], s29, v13, v[15:16]
	v_lshlrev_b64 v[13:14], 4, v[14:15]
	v_add_co_u32_e32 v10, vcc, v10, v13
	v_addc_co_u32_e32 v11, vcc, v11, v14, vcc
	flat_load_dwordx4 v[13:16], v[10:11]
	v_lshlrev_b32_e32 v10, 4, v12
	s_waitcnt vmcnt(0) lgkmcnt(0)
	v_xor_b32_e32 v14, 0x80000000, v14
	v_xor_b32_e32 v16, 0x80000000, v16
	ds_write_b128 v10, v[13:16]
.LBB169_34:
	s_or_b64 exec, exec, s[0:1]
.LBB169_35:
	s_cmp_lt_i32 s6, 5
	s_cselect_b64 s[0:1], -1, 0
	s_or_b64 s[36:37], s[0:1], s[30:31]
	s_and_b64 vcc, exec, s[36:37]
	s_waitcnt vmcnt(0) lgkmcnt(0)
	s_barrier
	s_cbranch_vccnz .LBB169_429
; %bb.36:
	v_or_b32_e32 v10, v0, v1
	s_mov_b32 s0, 0
	v_cmp_eq_u32_e32 vcc, 0, v10
	s_and_saveexec_b64 s[8:9], vcc
	s_cbranch_execz .LBB169_38
; %bb.37:
	s_mov_b32 s3, s0
	s_mov_b32 s1, 0x3ff00000
	;; [unrolled: 1-line block ×3, first 2 shown]
	v_mov_b32_e32 v13, s3
	v_mov_b32_e32 v14, 0
	;; [unrolled: 1-line block ×5, first 2 shown]
	ds_write_b128 v14, v[10:13] offset:15840
	ds_write_b128 v14, v[10:13] offset:16368
.LBB169_38:
	s_or_b64 exec, exec, s[8:9]
	v_lshlrev_b32_e32 v10, 5, v1
	v_add_u32_e32 v17, v10, v0
	v_add_u16_e32 v10, v10, v0
	v_lshrrev_b16_e32 v16, 1, v10
	v_mov_b32_e32 v10, 0
	v_mov_b32_e32 v12, 0
	v_and_b32_e32 v14, 1, v0
	v_sub_u32_e32 v15, 1, v16
	v_cmp_lt_u32_e64 s[2:3], 3, v17
	v_mov_b32_e32 v11, 0
	v_mov_b32_e32 v13, 0
	v_cmp_gt_u32_e64 s[0:1], 4, v17
	s_waitcnt lgkmcnt(0)
	s_barrier
	buffer_wbinvl1_vol
	s_and_saveexec_b64 s[10:11], s[0:1]
	s_cbranch_execz .LBB169_42
; %bb.39:
	v_lshlrev_b32_e32 v10, 9, v15
	v_lshlrev_b32_e32 v18, 4, v14
	ds_read_b128 v[10:13], v10 offset:15840
	ds_read_b128 v[22:25], v18 offset:15808
	v_cmp_gt_u32_e64 s[8:9], 2, v17
	s_waitcnt lgkmcnt(0)
	v_mul_f64 v[18:19], v[12:13], v[24:25]
	v_mul_f64 v[24:25], v[10:11], v[24:25]
	v_fma_f64 v[10:11], v[10:11], v[22:23], -v[18:19]
	v_fma_f64 v[12:13], v[12:13], v[22:23], v[24:25]
	v_add_f64 v[10:11], v[10:11], 0
	v_add_f64 v[12:13], v[12:13], 0
	s_and_saveexec_b64 s[12:13], s[8:9]
	s_cbranch_execz .LBB169_41
; %bb.40:
	v_mov_b32_e32 v19, 0
	v_lshlrev_b32_e32 v18, 4, v0
	ds_read_b128 v[22:25], v19 offset:16368
	ds_read_b128 v[26:29], v18 offset:16320
	s_waitcnt lgkmcnt(0)
	v_mul_f64 v[18:19], v[24:25], v[28:29]
	v_mul_f64 v[28:29], v[22:23], v[28:29]
	v_fma_f64 v[18:19], v[22:23], v[26:27], -v[18:19]
	v_fma_f64 v[22:23], v[24:25], v[26:27], v[28:29]
	v_add_f64 v[10:11], v[10:11], v[18:19]
	v_add_f64 v[12:13], v[12:13], v[22:23]
.LBB169_41:
	s_or_b64 exec, exec, s[12:13]
.LBB169_42:
	s_or_b64 exec, exec, s[10:11]
	v_mov_b32_e32 v18, 0x4000
	v_cmp_ne_u32_e64 s[8:9], 0, v14
	s_xor_b64 s[10:11], s[2:3], -1
	v_lshl_add_u32 v16, v16, 4, v18
	s_and_b64 s[40:41], s[8:9], s[10:11]
	s_and_saveexec_b64 s[2:3], s[40:41]
; %bb.43:
	v_xor_b32_e32 v23, 0x80000000, v11
	v_xor_b32_e32 v25, 0x80000000, v13
	v_mov_b32_e32 v22, v10
	v_mov_b32_e32 v24, v12
	ds_write_b128 v16, v[22:25]
; %bb.44:
	s_or_b64 exec, exec, s[2:3]
	v_cmp_eq_u32_e64 s[2:3], 0, v14
	s_and_b64 s[38:39], s[2:3], s[10:11]
	s_waitcnt lgkmcnt(0)
	s_barrier
	s_and_saveexec_b64 s[2:3], s[38:39]
	s_cbranch_execz .LBB169_46
; %bb.45:
	v_mov_b32_e32 v18, 0
	ds_read_b128 v[22:25], v16
	ds_read_b128 v[26:29], v18 offset:15296
	s_waitcnt lgkmcnt(0)
	v_mul_f64 v[18:19], v[22:23], v[26:27]
	v_mul_f64 v[22:23], v[22:23], v[28:29]
	v_fma_f64 v[18:19], v[24:25], v[28:29], -v[18:19]
	v_fma_f64 v[22:23], v[24:25], v[26:27], v[22:23]
	v_add_f64 v[10:11], v[10:11], v[18:19]
	v_add_f64 v[12:13], v[12:13], -v[22:23]
.LBB169_46:
	s_or_b64 exec, exec, s[2:3]
	s_barrier
	s_and_saveexec_b64 s[2:3], s[38:39]
; %bb.47:
	v_xor_b32_e32 v23, 0x80000000, v11
	v_xor_b32_e32 v25, 0x80000000, v13
	v_mov_b32_e32 v22, v10
	v_mov_b32_e32 v24, v12
	ds_write_b128 v16, v[22:25]
; %bb.48:
	s_or_b64 exec, exec, s[2:3]
	s_waitcnt lgkmcnt(0)
	s_barrier
	s_barrier
	s_and_saveexec_b64 s[2:3], s[0:1]
; %bb.49:
	v_lshlrev_b32_e32 v18, 4, v14
	v_lshl_or_b32 v18, v15, 9, v18
	ds_write_b128 v18, v[10:13] offset:15808
; %bb.50:
	s_or_b64 exec, exec, s[2:3]
	s_waitcnt lgkmcnt(0)
	s_barrier
	s_barrier
	s_and_saveexec_b64 s[2:3], vcc
	s_cbranch_execz .LBB169_52
; %bb.51:
	s_mov_b32 s8, 0
	s_mov_b32 s11, s8
	;; [unrolled: 1-line block ×4, first 2 shown]
	v_mov_b32_e32 v13, s11
	v_mov_b32_e32 v18, 0
	;; [unrolled: 1-line block ×5, first 2 shown]
	ds_write_b128 v18, v[10:13] offset:14784
	ds_write_b128 v18, v[10:13] offset:15312
.LBB169_52:
	s_or_b64 exec, exec, s[2:3]
	v_lshrrev_b32_e32 v20, 2, v17
	v_mov_b32_e32 v12, 0
	v_mov_b32_e32 v10, 0
	v_and_b32_e32 v18, 3, v0
	v_sub_u32_e32 v19, 3, v20
	v_cmp_lt_u32_e64 s[8:9], 15, v17
	v_mov_b32_e32 v13, 0
	v_mov_b32_e32 v11, 0
	v_cmp_gt_u32_e64 s[2:3], 16, v17
	s_waitcnt lgkmcnt(0)
	s_barrier
	buffer_wbinvl1_vol
	s_and_saveexec_b64 s[12:13], s[2:3]
	s_cbranch_execz .LBB169_58
; %bb.53:
	v_lshlrev_b32_e32 v23, 9, v19
	v_lshlrev_b32_e32 v22, 4, v18
	ds_read_b128 v[10:13], v23 offset:14784
	ds_read_b128 v[24:27], v22 offset:14720
	v_cmp_gt_u32_e64 s[10:11], 12, v17
	s_waitcnt lgkmcnt(0)
	v_mul_f64 v[28:29], v[12:13], v[26:27]
	v_mul_f64 v[26:27], v[10:11], v[26:27]
	v_fma_f64 v[10:11], v[10:11], v[24:25], -v[28:29]
	v_fma_f64 v[12:13], v[12:13], v[24:25], v[26:27]
	v_add_f64 v[10:11], v[10:11], 0
	v_add_f64 v[12:13], v[12:13], 0
	s_and_saveexec_b64 s[14:15], s[10:11]
	s_cbranch_execnz .LBB169_487
; %bb.54:
	s_or_b64 exec, exec, s[14:15]
	v_cmp_gt_u32_e64 s[10:11], 8, v17
	s_and_saveexec_b64 s[14:15], s[10:11]
	s_cbranch_execnz .LBB169_488
.LBB169_55:
	s_or_b64 exec, exec, s[14:15]
	v_cmp_gt_u32_e64 s[10:11], 4, v17
	s_and_saveexec_b64 s[14:15], s[10:11]
	s_cbranch_execz .LBB169_57
.LBB169_56:
	v_lshlrev_b32_e32 v26, 4, v0
	v_mov_b32_e32 v22, 0
	ds_read_b128 v[22:25], v22 offset:16368
	ds_read_b128 v[26:29], v26 offset:16256
	s_waitcnt lgkmcnt(0)
	v_mul_f64 v[30:31], v[24:25], v[28:29]
	v_mul_f64 v[28:29], v[22:23], v[28:29]
	v_fma_f64 v[22:23], v[22:23], v[26:27], -v[30:31]
	v_fma_f64 v[24:25], v[24:25], v[26:27], v[28:29]
	v_add_f64 v[10:11], v[10:11], v[22:23]
	v_add_f64 v[12:13], v[12:13], v[24:25]
.LBB169_57:
	s_or_b64 exec, exec, s[14:15]
.LBB169_58:
	s_or_b64 exec, exec, s[12:13]
	v_mov_b32_e32 v22, 0x4000
	v_cmp_eq_u32_e64 s[10:11], 3, v18
	s_xor_b64 s[12:13], s[8:9], -1
	v_lshl_add_u32 v20, v20, 4, v22
	s_and_b64 s[44:45], s[10:11], s[12:13]
	s_and_saveexec_b64 s[8:9], s[44:45]
; %bb.59:
	v_xor_b32_e32 v25, 0x80000000, v13
	v_xor_b32_e32 v23, 0x80000000, v11
	v_mov_b32_e32 v22, v10
	v_mov_b32_e32 v24, v12
	ds_write_b128 v20, v[22:25]
; %bb.60:
	s_or_b64 exec, exec, s[8:9]
	v_cmp_ne_u32_e64 s[8:9], 3, v18
	s_and_b64 s[46:47], s[8:9], s[12:13]
	s_waitcnt lgkmcnt(0)
	s_barrier
	s_and_saveexec_b64 s[8:9], s[46:47]
	s_cbranch_execz .LBB169_62
; %bb.61:
	v_lshlrev_b32_e32 v26, 4, v18
	ds_read_b128 v[22:25], v20
	ds_read_b128 v[26:29], v26 offset:14208
	s_waitcnt lgkmcnt(0)
	v_mul_f64 v[30:31], v[24:25], v[28:29]
	v_mul_f64 v[28:29], v[22:23], v[28:29]
	v_fma_f64 v[22:23], v[22:23], v[26:27], -v[30:31]
	v_fma_f64 v[24:25], v[24:25], v[26:27], v[28:29]
	v_add_f64 v[10:11], v[10:11], -v[22:23]
	v_add_f64 v[12:13], v[12:13], -v[24:25]
.LBB169_62:
	s_or_b64 exec, exec, s[8:9]
	v_cmp_eq_u32_e64 s[8:9], 2, v18
	s_and_b64 s[48:49], s[8:9], s[12:13]
	s_barrier
	s_and_saveexec_b64 s[8:9], s[48:49]
; %bb.63:
	v_xor_b32_e32 v25, 0x80000000, v13
	v_xor_b32_e32 v23, 0x80000000, v11
	v_mov_b32_e32 v22, v10
	v_mov_b32_e32 v24, v12
	ds_write_b128 v20, v[22:25]
; %bb.64:
	s_or_b64 exec, exec, s[8:9]
	v_cmp_gt_u32_e64 s[8:9], 2, v18
	s_and_b64 s[50:51], s[8:9], s[12:13]
	s_waitcnt lgkmcnt(0)
	s_barrier
	s_and_saveexec_b64 s[8:9], s[50:51]
	s_cbranch_execz .LBB169_66
; %bb.65:
	v_lshlrev_b32_e32 v26, 4, v18
	ds_read_b128 v[22:25], v20
	ds_read_b128 v[26:29], v26 offset:13696
	s_waitcnt lgkmcnt(0)
	v_mul_f64 v[30:31], v[24:25], v[28:29]
	v_mul_f64 v[28:29], v[22:23], v[28:29]
	v_fma_f64 v[22:23], v[22:23], v[26:27], -v[30:31]
	v_fma_f64 v[24:25], v[24:25], v[26:27], v[28:29]
	v_add_f64 v[10:11], v[10:11], -v[22:23]
	v_add_f64 v[12:13], v[12:13], -v[24:25]
.LBB169_66:
	s_or_b64 exec, exec, s[8:9]
	v_cmp_eq_u32_e64 s[8:9], 1, v18
	s_and_b64 s[52:53], s[8:9], s[12:13]
	s_barrier
	s_and_saveexec_b64 s[8:9], s[52:53]
; %bb.67:
	v_xor_b32_e32 v25, 0x80000000, v13
	v_xor_b32_e32 v23, 0x80000000, v11
	v_mov_b32_e32 v22, v10
	v_mov_b32_e32 v24, v12
	ds_write_b128 v20, v[22:25]
; %bb.68:
	s_or_b64 exec, exec, s[8:9]
	v_cmp_eq_u32_e64 s[8:9], 0, v18
	s_and_b64 s[42:43], s[8:9], s[12:13]
	s_waitcnt lgkmcnt(0)
	s_barrier
	s_and_saveexec_b64 s[8:9], s[42:43]
	s_cbranch_execz .LBB169_70
; %bb.69:
	v_mov_b32_e32 v26, 0
	ds_read_b128 v[22:25], v20
	ds_read_b128 v[26:29], v26 offset:13184
	s_waitcnt lgkmcnt(0)
	v_mul_f64 v[30:31], v[24:25], v[28:29]
	v_mul_f64 v[28:29], v[22:23], v[28:29]
	v_fma_f64 v[22:23], v[22:23], v[26:27], -v[30:31]
	v_fma_f64 v[24:25], v[24:25], v[26:27], v[28:29]
	v_add_f64 v[10:11], v[10:11], -v[22:23]
	v_add_f64 v[12:13], v[12:13], -v[24:25]
.LBB169_70:
	s_or_b64 exec, exec, s[8:9]
	s_barrier
	s_and_saveexec_b64 s[8:9], s[42:43]
; %bb.71:
	v_xor_b32_e32 v25, 0x80000000, v13
	v_xor_b32_e32 v23, 0x80000000, v11
	v_mov_b32_e32 v22, v10
	v_mov_b32_e32 v24, v12
	ds_write_b128 v20, v[22:25]
; %bb.72:
	s_or_b64 exec, exec, s[8:9]
	s_waitcnt lgkmcnt(0)
	s_barrier
	s_barrier
	s_and_saveexec_b64 s[8:9], s[2:3]
; %bb.73:
	v_lshlrev_b32_e32 v22, 4, v18
	v_lshl_or_b32 v22, v19, 9, v22
	ds_write_b128 v22, v[10:13] offset:14720
; %bb.74:
	s_or_b64 exec, exec, s[8:9]
	s_waitcnt lgkmcnt(0)
	s_barrier
	s_barrier
	s_and_saveexec_b64 s[8:9], vcc
	s_cbranch_execz .LBB169_76
; %bb.75:
	s_mov_b32 s12, 0
	s_mov_b32 s13, 0x3ff00000
	;; [unrolled: 1-line block ×4, first 2 shown]
	v_mov_b32_e32 v10, s12
	v_mov_b32_e32 v22, 0
	;; [unrolled: 1-line block ×5, first 2 shown]
	ds_write_b128 v22, v[10:13] offset:13728
	ds_write_b128 v22, v[10:13] offset:14256
.LBB169_76:
	s_or_b64 exec, exec, s[8:9]
	v_mov_b32_e32 v10, 0
	v_mov_b32_e32 v12, 0
	v_mov_b32_e32 v11, 0
	v_mov_b32_e32 v13, 0
	s_waitcnt lgkmcnt(0)
	s_barrier
	buffer_wbinvl1_vol
	s_and_saveexec_b64 s[10:11], s[0:1]
	s_cbranch_execz .LBB169_80
; %bb.77:
	v_lshlrev_b32_e32 v22, 4, v14
	v_lshlrev_b32_e32 v10, 9, v15
	ds_read_b128 v[10:13], v10 offset:13728
	ds_read_b128 v[22:25], v22 offset:13696
	v_cmp_gt_u32_e64 s[8:9], 2, v17
	s_waitcnt lgkmcnt(0)
	v_mul_f64 v[26:27], v[12:13], v[24:25]
	v_mul_f64 v[24:25], v[10:11], v[24:25]
	v_fma_f64 v[10:11], v[10:11], v[22:23], -v[26:27]
	v_fma_f64 v[12:13], v[12:13], v[22:23], v[24:25]
	v_add_f64 v[10:11], v[10:11], 0
	v_add_f64 v[12:13], v[12:13], 0
	s_and_saveexec_b64 s[12:13], s[8:9]
	s_cbranch_execz .LBB169_79
; %bb.78:
	v_lshlrev_b32_e32 v26, 4, v0
	v_mov_b32_e32 v22, 0
	ds_read_b128 v[22:25], v22 offset:14256
	ds_read_b128 v[26:29], v26 offset:14208
	s_waitcnt lgkmcnt(0)
	v_mul_f64 v[30:31], v[24:25], v[28:29]
	v_mul_f64 v[28:29], v[22:23], v[28:29]
	v_fma_f64 v[22:23], v[22:23], v[26:27], -v[30:31]
	v_fma_f64 v[24:25], v[24:25], v[26:27], v[28:29]
	v_add_f64 v[10:11], v[10:11], v[22:23]
	v_add_f64 v[12:13], v[12:13], v[24:25]
.LBB169_79:
	s_or_b64 exec, exec, s[12:13]
.LBB169_80:
	s_or_b64 exec, exec, s[10:11]
	s_and_saveexec_b64 s[8:9], s[40:41]
; %bb.81:
	v_xor_b32_e32 v23, 0x80000000, v11
	v_xor_b32_e32 v25, 0x80000000, v13
	v_mov_b32_e32 v22, v10
	v_mov_b32_e32 v24, v12
	ds_write_b128 v16, v[22:25]
; %bb.82:
	s_or_b64 exec, exec, s[8:9]
	s_waitcnt lgkmcnt(0)
	s_barrier
	s_and_saveexec_b64 s[8:9], s[38:39]
	s_cbranch_execz .LBB169_84
; %bb.83:
	v_mov_b32_e32 v26, 0
	ds_read_b128 v[22:25], v16
	ds_read_b128 v[26:29], v26 offset:13184
	s_waitcnt lgkmcnt(0)
	v_mul_f64 v[30:31], v[22:23], v[26:27]
	v_mul_f64 v[22:23], v[22:23], v[28:29]
	v_fma_f64 v[28:29], v[24:25], v[28:29], -v[30:31]
	v_fma_f64 v[22:23], v[24:25], v[26:27], v[22:23]
	v_add_f64 v[10:11], v[10:11], v[28:29]
	v_add_f64 v[12:13], v[12:13], -v[22:23]
.LBB169_84:
	s_or_b64 exec, exec, s[8:9]
	s_barrier
	s_and_saveexec_b64 s[8:9], s[38:39]
; %bb.85:
	v_xor_b32_e32 v23, 0x80000000, v11
	v_xor_b32_e32 v25, 0x80000000, v13
	v_mov_b32_e32 v22, v10
	v_mov_b32_e32 v24, v12
	ds_write_b128 v16, v[22:25]
; %bb.86:
	s_or_b64 exec, exec, s[8:9]
	s_waitcnt lgkmcnt(0)
	s_barrier
	s_barrier
	s_and_saveexec_b64 s[8:9], s[0:1]
; %bb.87:
	v_lshlrev_b32_e32 v22, 4, v14
	v_lshl_or_b32 v22, v15, 9, v22
	ds_write_b128 v22, v[10:13] offset:13696
; %bb.88:
	s_or_b64 exec, exec, s[8:9]
	s_waitcnt lgkmcnt(0)
	s_barrier
	s_barrier
	s_and_saveexec_b64 s[8:9], vcc
	s_cbranch_execz .LBB169_90
; %bb.89:
	s_mov_b32 s12, 0
	s_mov_b32 s13, 0x3ff00000
	;; [unrolled: 1-line block ×4, first 2 shown]
	v_mov_b32_e32 v10, s12
	v_mov_b32_e32 v22, 0
	;; [unrolled: 1-line block ×5, first 2 shown]
	ds_write_b128 v22, v[10:13] offset:12672
	ds_write_b128 v22, v[10:13] offset:13200
.LBB169_90:
	s_or_b64 exec, exec, s[8:9]
	v_lshrrev_b32_e32 v24, 3, v17
	v_mov_b32_e32 v12, 0
	v_mov_b32_e32 v10, 0
	v_and_b32_e32 v22, 7, v0
	v_sub_u32_e32 v23, 7, v24
	v_cmp_lt_u32_e64 s[8:9], 63, v17
	v_mov_b32_e32 v13, 0
	v_mov_b32_e32 v11, 0
	v_cmp_gt_u32_e64 s[12:13], 64, v17
	s_waitcnt lgkmcnt(0)
	s_barrier
	buffer_wbinvl1_vol
	s_and_saveexec_b64 s[14:15], s[12:13]
	s_cbranch_execz .LBB169_100
; %bb.91:
	v_lshlrev_b32_e32 v26, 9, v23
	v_lshlrev_b32_e32 v25, 4, v22
	ds_read_b128 v[10:13], v26 offset:12672
	ds_read_b128 v[27:30], v25 offset:12544
	v_cmp_gt_u32_e64 s[10:11], 56, v17
	s_waitcnt lgkmcnt(0)
	v_mul_f64 v[31:32], v[12:13], v[29:30]
	v_mul_f64 v[29:30], v[10:11], v[29:30]
	v_fma_f64 v[10:11], v[10:11], v[27:28], -v[31:32]
	v_fma_f64 v[12:13], v[12:13], v[27:28], v[29:30]
	v_add_f64 v[10:11], v[10:11], 0
	v_add_f64 v[12:13], v[12:13], 0
	s_and_saveexec_b64 s[54:55], s[10:11]
	s_cbranch_execnz .LBB169_489
; %bb.92:
	s_or_b64 exec, exec, s[54:55]
	v_cmp_gt_u32_e64 s[10:11], 48, v17
	s_and_saveexec_b64 s[54:55], s[10:11]
	s_cbranch_execnz .LBB169_490
.LBB169_93:
	s_or_b64 exec, exec, s[54:55]
	v_cmp_gt_u32_e64 s[10:11], 40, v17
	s_and_saveexec_b64 s[54:55], s[10:11]
	s_cbranch_execnz .LBB169_491
.LBB169_94:
	s_or_b64 exec, exec, s[54:55]
	v_cmp_gt_u32_e64 s[10:11], 32, v17
	s_and_saveexec_b64 s[54:55], s[10:11]
	s_cbranch_execnz .LBB169_492
.LBB169_95:
	s_or_b64 exec, exec, s[54:55]
	v_cmp_gt_u32_e64 s[10:11], 24, v17
	s_and_saveexec_b64 s[54:55], s[10:11]
	s_cbranch_execnz .LBB169_493
.LBB169_96:
	s_or_b64 exec, exec, s[54:55]
	s_and_saveexec_b64 s[10:11], s[2:3]
	s_cbranch_execnz .LBB169_494
.LBB169_97:
	s_or_b64 exec, exec, s[10:11]
	v_cmp_gt_u32_e64 s[10:11], 8, v17
	s_and_saveexec_b64 s[54:55], s[10:11]
	s_cbranch_execz .LBB169_99
.LBB169_98:
	v_lshlrev_b32_e32 v29, 4, v0
	v_mov_b32_e32 v25, 0
	ds_read_b128 v[25:28], v25 offset:16368
	ds_read_b128 v[29:32], v29 offset:16128
	s_waitcnt lgkmcnt(0)
	v_mul_f64 v[33:34], v[27:28], v[31:32]
	v_mul_f64 v[31:32], v[25:26], v[31:32]
	v_fma_f64 v[25:26], v[25:26], v[29:30], -v[33:34]
	v_fma_f64 v[27:28], v[27:28], v[29:30], v[31:32]
	v_add_f64 v[10:11], v[10:11], v[25:26]
	v_add_f64 v[12:13], v[12:13], v[27:28]
.LBB169_99:
	s_or_b64 exec, exec, s[54:55]
.LBB169_100:
	s_or_b64 exec, exec, s[14:15]
	v_mov_b32_e32 v25, 0x4000
	v_cmp_eq_u32_e64 s[10:11], 7, v22
	s_xor_b64 s[14:15], s[8:9], -1
	v_lshl_add_u32 v24, v24, 4, v25
	s_and_b64 s[56:57], s[10:11], s[14:15]
	s_and_saveexec_b64 s[8:9], s[56:57]
; %bb.101:
	v_xor_b32_e32 v26, 0x80000000, v11
	v_xor_b32_e32 v28, 0x80000000, v13
	v_mov_b32_e32 v25, v10
	v_mov_b32_e32 v27, v12
	ds_write_b128 v24, v[25:28]
; %bb.102:
	s_or_b64 exec, exec, s[8:9]
	v_cmp_ne_u32_e64 s[8:9], 7, v22
	s_and_b64 s[58:59], s[8:9], s[14:15]
	s_waitcnt lgkmcnt(0)
	s_barrier
	s_and_saveexec_b64 s[8:9], s[58:59]
	s_cbranch_execz .LBB169_104
; %bb.103:
	v_lshlrev_b32_e32 v29, 4, v22
	ds_read_b128 v[25:28], v24
	ds_read_b128 v[29:32], v29 offset:12032
	s_waitcnt lgkmcnt(0)
	v_mul_f64 v[33:34], v[27:28], v[31:32]
	v_mul_f64 v[31:32], v[25:26], v[31:32]
	v_fma_f64 v[25:26], v[25:26], v[29:30], -v[33:34]
	v_fma_f64 v[27:28], v[27:28], v[29:30], v[31:32]
	v_add_f64 v[10:11], v[10:11], -v[25:26]
	v_add_f64 v[12:13], v[12:13], -v[27:28]
.LBB169_104:
	s_or_b64 exec, exec, s[8:9]
	v_cmp_eq_u32_e64 s[8:9], 6, v22
	s_and_b64 s[60:61], s[8:9], s[14:15]
	s_barrier
	s_and_saveexec_b64 s[8:9], s[60:61]
; %bb.105:
	v_xor_b32_e32 v26, 0x80000000, v11
	v_xor_b32_e32 v28, 0x80000000, v13
	v_mov_b32_e32 v25, v10
	v_mov_b32_e32 v27, v12
	ds_write_b128 v24, v[25:28]
; %bb.106:
	s_or_b64 exec, exec, s[8:9]
	v_cmp_gt_u32_e64 s[8:9], 6, v22
	s_and_b64 s[62:63], s[8:9], s[14:15]
	s_waitcnt lgkmcnt(0)
	s_barrier
	s_and_saveexec_b64 s[8:9], s[62:63]
	s_cbranch_execz .LBB169_108
; %bb.107:
	v_lshlrev_b32_e32 v29, 4, v22
	ds_read_b128 v[25:28], v24
	ds_read_b128 v[29:32], v29 offset:11520
	s_waitcnt lgkmcnt(0)
	v_mul_f64 v[33:34], v[27:28], v[31:32]
	v_mul_f64 v[31:32], v[25:26], v[31:32]
	v_fma_f64 v[25:26], v[25:26], v[29:30], -v[33:34]
	v_fma_f64 v[27:28], v[27:28], v[29:30], v[31:32]
	v_add_f64 v[10:11], v[10:11], -v[25:26]
	v_add_f64 v[12:13], v[12:13], -v[27:28]
.LBB169_108:
	s_or_b64 exec, exec, s[8:9]
	v_cmp_eq_u32_e64 s[8:9], 5, v22
	s_and_b64 s[64:65], s[8:9], s[14:15]
	s_barrier
	s_and_saveexec_b64 s[8:9], s[64:65]
; %bb.109:
	v_xor_b32_e32 v26, 0x80000000, v11
	v_xor_b32_e32 v28, 0x80000000, v13
	v_mov_b32_e32 v25, v10
	v_mov_b32_e32 v27, v12
	ds_write_b128 v24, v[25:28]
; %bb.110:
	s_or_b64 exec, exec, s[8:9]
	v_cmp_gt_u32_e64 s[8:9], 5, v22
	s_and_b64 s[66:67], s[8:9], s[14:15]
	s_waitcnt lgkmcnt(0)
	s_barrier
	s_and_saveexec_b64 s[8:9], s[66:67]
	s_cbranch_execz .LBB169_112
; %bb.111:
	v_lshlrev_b32_e32 v29, 4, v22
	ds_read_b128 v[25:28], v24
	ds_read_b128 v[29:32], v29 offset:11008
	s_waitcnt lgkmcnt(0)
	v_mul_f64 v[33:34], v[27:28], v[31:32]
	v_mul_f64 v[31:32], v[25:26], v[31:32]
	v_fma_f64 v[25:26], v[25:26], v[29:30], -v[33:34]
	v_fma_f64 v[27:28], v[27:28], v[29:30], v[31:32]
	v_add_f64 v[10:11], v[10:11], -v[25:26]
	v_add_f64 v[12:13], v[12:13], -v[27:28]
.LBB169_112:
	s_or_b64 exec, exec, s[8:9]
	v_cmp_eq_u32_e64 s[8:9], 4, v22
	s_and_b64 s[68:69], s[8:9], s[14:15]
	s_barrier
	s_and_saveexec_b64 s[8:9], s[68:69]
; %bb.113:
	v_xor_b32_e32 v26, 0x80000000, v11
	v_xor_b32_e32 v28, 0x80000000, v13
	v_mov_b32_e32 v25, v10
	v_mov_b32_e32 v27, v12
	ds_write_b128 v24, v[25:28]
; %bb.114:
	s_or_b64 exec, exec, s[8:9]
	v_cmp_gt_u32_e64 s[8:9], 4, v22
	s_and_b64 s[70:71], s[8:9], s[14:15]
	s_waitcnt lgkmcnt(0)
	s_barrier
	s_and_saveexec_b64 s[8:9], s[70:71]
	s_cbranch_execz .LBB169_116
; %bb.115:
	v_lshlrev_b32_e32 v29, 4, v22
	ds_read_b128 v[25:28], v24
	ds_read_b128 v[29:32], v29 offset:10496
	s_waitcnt lgkmcnt(0)
	v_mul_f64 v[33:34], v[27:28], v[31:32]
	v_mul_f64 v[31:32], v[25:26], v[31:32]
	v_fma_f64 v[25:26], v[25:26], v[29:30], -v[33:34]
	v_fma_f64 v[27:28], v[27:28], v[29:30], v[31:32]
	v_add_f64 v[10:11], v[10:11], -v[25:26]
	v_add_f64 v[12:13], v[12:13], -v[27:28]
.LBB169_116:
	s_or_b64 exec, exec, s[8:9]
	v_cmp_eq_u32_e64 s[8:9], 3, v22
	s_and_b64 s[72:73], s[8:9], s[14:15]
	s_barrier
	s_and_saveexec_b64 s[8:9], s[72:73]
; %bb.117:
	v_xor_b32_e32 v26, 0x80000000, v11
	v_xor_b32_e32 v28, 0x80000000, v13
	v_mov_b32_e32 v25, v10
	v_mov_b32_e32 v27, v12
	ds_write_b128 v24, v[25:28]
; %bb.118:
	s_or_b64 exec, exec, s[8:9]
	v_cmp_gt_u32_e64 s[8:9], 3, v22
	s_and_b64 s[74:75], s[8:9], s[14:15]
	s_waitcnt lgkmcnt(0)
	s_barrier
	s_and_saveexec_b64 s[8:9], s[74:75]
	s_cbranch_execz .LBB169_120
; %bb.119:
	v_lshlrev_b32_e32 v29, 4, v22
	ds_read_b128 v[25:28], v24
	ds_read_b128 v[29:32], v29 offset:9984
	s_waitcnt lgkmcnt(0)
	v_mul_f64 v[33:34], v[27:28], v[31:32]
	v_mul_f64 v[31:32], v[25:26], v[31:32]
	v_fma_f64 v[25:26], v[25:26], v[29:30], -v[33:34]
	v_fma_f64 v[27:28], v[27:28], v[29:30], v[31:32]
	v_add_f64 v[10:11], v[10:11], -v[25:26]
	v_add_f64 v[12:13], v[12:13], -v[27:28]
.LBB169_120:
	s_or_b64 exec, exec, s[8:9]
	v_cmp_eq_u32_e64 s[8:9], 2, v22
	s_and_b64 s[76:77], s[8:9], s[14:15]
	s_barrier
	s_and_saveexec_b64 s[8:9], s[76:77]
; %bb.121:
	v_xor_b32_e32 v26, 0x80000000, v11
	v_xor_b32_e32 v28, 0x80000000, v13
	v_mov_b32_e32 v25, v10
	v_mov_b32_e32 v27, v12
	ds_write_b128 v24, v[25:28]
; %bb.122:
	s_or_b64 exec, exec, s[8:9]
	v_cmp_gt_u32_e64 s[8:9], 2, v22
	s_and_b64 s[78:79], s[8:9], s[14:15]
	s_waitcnt lgkmcnt(0)
	s_barrier
	s_and_saveexec_b64 s[8:9], s[78:79]
	s_cbranch_execz .LBB169_124
; %bb.123:
	v_lshlrev_b32_e32 v29, 4, v22
	ds_read_b128 v[25:28], v24
	ds_read_b128 v[29:32], v29 offset:9472
	s_waitcnt lgkmcnt(0)
	v_mul_f64 v[33:34], v[27:28], v[31:32]
	v_mul_f64 v[31:32], v[25:26], v[31:32]
	v_fma_f64 v[25:26], v[25:26], v[29:30], -v[33:34]
	v_fma_f64 v[27:28], v[27:28], v[29:30], v[31:32]
	v_add_f64 v[10:11], v[10:11], -v[25:26]
	v_add_f64 v[12:13], v[12:13], -v[27:28]
.LBB169_124:
	s_or_b64 exec, exec, s[8:9]
	v_cmp_eq_u32_e64 s[8:9], 1, v22
	s_and_b64 s[80:81], s[8:9], s[14:15]
	s_barrier
	s_and_saveexec_b64 s[8:9], s[80:81]
; %bb.125:
	v_xor_b32_e32 v26, 0x80000000, v11
	v_xor_b32_e32 v28, 0x80000000, v13
	v_mov_b32_e32 v25, v10
	v_mov_b32_e32 v27, v12
	ds_write_b128 v24, v[25:28]
; %bb.126:
	s_or_b64 exec, exec, s[8:9]
	v_cmp_eq_u32_e64 s[8:9], 0, v22
	s_and_b64 s[54:55], s[8:9], s[14:15]
	s_waitcnt lgkmcnt(0)
	s_barrier
	s_and_saveexec_b64 s[8:9], s[54:55]
	s_cbranch_execz .LBB169_128
; %bb.127:
	v_mov_b32_e32 v29, 0
	ds_read_b128 v[25:28], v24
	ds_read_b128 v[29:32], v29 offset:8960
	s_waitcnt lgkmcnt(0)
	v_mul_f64 v[33:34], v[27:28], v[31:32]
	v_mul_f64 v[31:32], v[25:26], v[31:32]
	v_fma_f64 v[25:26], v[25:26], v[29:30], -v[33:34]
	v_fma_f64 v[27:28], v[27:28], v[29:30], v[31:32]
	v_add_f64 v[10:11], v[10:11], -v[25:26]
	v_add_f64 v[12:13], v[12:13], -v[27:28]
.LBB169_128:
	s_or_b64 exec, exec, s[8:9]
	s_barrier
	s_and_saveexec_b64 s[8:9], s[54:55]
; %bb.129:
	v_xor_b32_e32 v26, 0x80000000, v11
	v_xor_b32_e32 v28, 0x80000000, v13
	v_mov_b32_e32 v25, v10
	v_mov_b32_e32 v27, v12
	ds_write_b128 v24, v[25:28]
; %bb.130:
	s_or_b64 exec, exec, s[8:9]
	s_waitcnt lgkmcnt(0)
	s_barrier
	s_barrier
	s_and_saveexec_b64 s[8:9], s[12:13]
; %bb.131:
	v_lshlrev_b32_e32 v25, 4, v22
	v_lshl_or_b32 v25, v23, 9, v25
	ds_write_b128 v25, v[10:13] offset:12544
; %bb.132:
	s_or_b64 exec, exec, s[8:9]
	s_waitcnt lgkmcnt(0)
	s_barrier
	s_barrier
	s_and_saveexec_b64 s[8:9], vcc
	s_cbranch_execz .LBB169_134
; %bb.133:
	s_mov_b32 s92, 0
	s_mov_b32 s93, 0x3ff00000
	;; [unrolled: 1-line block ×4, first 2 shown]
	v_mov_b32_e32 v10, s92
	v_mov_b32_e32 v25, 0
	;; [unrolled: 1-line block ×5, first 2 shown]
	ds_write_b128 v25, v[10:13] offset:11616
	ds_write_b128 v25, v[10:13] offset:12144
.LBB169_134:
	s_or_b64 exec, exec, s[8:9]
	v_mov_b32_e32 v10, 0
	v_mov_b32_e32 v12, 0
	;; [unrolled: 1-line block ×4, first 2 shown]
	s_waitcnt lgkmcnt(0)
	s_barrier
	buffer_wbinvl1_vol
	s_and_saveexec_b64 s[10:11], s[0:1]
	s_cbranch_execz .LBB169_138
; %bb.135:
	v_lshlrev_b32_e32 v25, 4, v14
	v_lshlrev_b32_e32 v10, 9, v15
	ds_read_b128 v[10:13], v10 offset:11616
	ds_read_b128 v[25:28], v25 offset:11584
	v_cmp_gt_u32_e64 s[8:9], 2, v17
	s_waitcnt lgkmcnt(0)
	v_mul_f64 v[29:30], v[12:13], v[27:28]
	v_mul_f64 v[27:28], v[10:11], v[27:28]
	v_fma_f64 v[10:11], v[10:11], v[25:26], -v[29:30]
	v_fma_f64 v[12:13], v[12:13], v[25:26], v[27:28]
	v_add_f64 v[10:11], v[10:11], 0
	v_add_f64 v[12:13], v[12:13], 0
	s_and_saveexec_b64 s[14:15], s[8:9]
	s_cbranch_execz .LBB169_137
; %bb.136:
	v_lshlrev_b32_e32 v29, 4, v0
	v_mov_b32_e32 v25, 0
	ds_read_b128 v[25:28], v25 offset:12144
	ds_read_b128 v[29:32], v29 offset:12096
	s_waitcnt lgkmcnt(0)
	v_mul_f64 v[33:34], v[27:28], v[31:32]
	v_mul_f64 v[31:32], v[25:26], v[31:32]
	v_fma_f64 v[25:26], v[25:26], v[29:30], -v[33:34]
	v_fma_f64 v[27:28], v[27:28], v[29:30], v[31:32]
	v_add_f64 v[10:11], v[10:11], v[25:26]
	v_add_f64 v[12:13], v[12:13], v[27:28]
.LBB169_137:
	s_or_b64 exec, exec, s[14:15]
.LBB169_138:
	s_or_b64 exec, exec, s[10:11]
	s_and_saveexec_b64 s[8:9], s[40:41]
; %bb.139:
	v_xor_b32_e32 v26, 0x80000000, v11
	v_xor_b32_e32 v28, 0x80000000, v13
	v_mov_b32_e32 v25, v10
	v_mov_b32_e32 v27, v12
	ds_write_b128 v16, v[25:28]
; %bb.140:
	s_or_b64 exec, exec, s[8:9]
	s_waitcnt lgkmcnt(0)
	s_barrier
	s_and_saveexec_b64 s[8:9], s[38:39]
	s_cbranch_execz .LBB169_142
; %bb.141:
	v_mov_b32_e32 v29, 0
	ds_read_b128 v[25:28], v16
	ds_read_b128 v[29:32], v29 offset:11072
	s_waitcnt lgkmcnt(0)
	v_mul_f64 v[33:34], v[25:26], v[29:30]
	v_mul_f64 v[25:26], v[25:26], v[31:32]
	v_fma_f64 v[31:32], v[27:28], v[31:32], -v[33:34]
	v_fma_f64 v[25:26], v[27:28], v[29:30], v[25:26]
	v_add_f64 v[10:11], v[10:11], v[31:32]
	v_add_f64 v[12:13], v[12:13], -v[25:26]
.LBB169_142:
	s_or_b64 exec, exec, s[8:9]
	s_barrier
	s_and_saveexec_b64 s[8:9], s[38:39]
; %bb.143:
	v_xor_b32_e32 v26, 0x80000000, v11
	v_xor_b32_e32 v28, 0x80000000, v13
	v_mov_b32_e32 v25, v10
	v_mov_b32_e32 v27, v12
	ds_write_b128 v16, v[25:28]
; %bb.144:
	s_or_b64 exec, exec, s[8:9]
	s_waitcnt lgkmcnt(0)
	s_barrier
	s_barrier
	s_and_saveexec_b64 s[8:9], s[0:1]
; %bb.145:
	v_lshlrev_b32_e32 v25, 4, v14
	v_lshl_or_b32 v25, v15, 9, v25
	ds_write_b128 v25, v[10:13] offset:11584
; %bb.146:
	s_or_b64 exec, exec, s[8:9]
	s_waitcnt lgkmcnt(0)
	s_barrier
	s_barrier
	s_and_saveexec_b64 s[8:9], vcc
	s_cbranch_execz .LBB169_148
; %bb.147:
	s_mov_b32 s92, 0
	s_mov_b32 s93, 0x3ff00000
	;; [unrolled: 1-line block ×4, first 2 shown]
	v_mov_b32_e32 v10, s92
	v_mov_b32_e32 v25, 0
	;; [unrolled: 1-line block ×5, first 2 shown]
	ds_write_b128 v25, v[10:13] offset:10560
	ds_write_b128 v25, v[10:13] offset:11088
.LBB169_148:
	s_or_b64 exec, exec, s[8:9]
	v_mov_b32_e32 v12, 0
	v_mov_b32_e32 v10, 0
	;; [unrolled: 1-line block ×4, first 2 shown]
	s_waitcnt lgkmcnt(0)
	s_barrier
	buffer_wbinvl1_vol
	s_and_saveexec_b64 s[10:11], s[2:3]
	s_cbranch_execz .LBB169_154
; %bb.149:
	v_lshlrev_b32_e32 v26, 9, v19
	v_lshlrev_b32_e32 v25, 4, v18
	ds_read_b128 v[10:13], v26 offset:10560
	ds_read_b128 v[27:30], v25 offset:10496
	v_cmp_gt_u32_e64 s[8:9], 12, v17
	s_waitcnt lgkmcnt(0)
	v_mul_f64 v[31:32], v[12:13], v[29:30]
	v_mul_f64 v[29:30], v[10:11], v[29:30]
	v_fma_f64 v[10:11], v[10:11], v[27:28], -v[31:32]
	v_fma_f64 v[12:13], v[12:13], v[27:28], v[29:30]
	v_add_f64 v[10:11], v[10:11], 0
	v_add_f64 v[12:13], v[12:13], 0
	s_and_saveexec_b64 s[14:15], s[8:9]
	s_cbranch_execnz .LBB169_495
; %bb.150:
	s_or_b64 exec, exec, s[14:15]
	v_cmp_gt_u32_e64 s[8:9], 8, v17
	s_and_saveexec_b64 s[14:15], s[8:9]
	s_cbranch_execnz .LBB169_496
.LBB169_151:
	s_or_b64 exec, exec, s[14:15]
	v_cmp_gt_u32_e64 s[8:9], 4, v17
	s_and_saveexec_b64 s[14:15], s[8:9]
	s_cbranch_execz .LBB169_153
.LBB169_152:
	v_lshlrev_b32_e32 v29, 4, v0
	v_mov_b32_e32 v25, 0
	ds_read_b128 v[25:28], v25 offset:12144
	ds_read_b128 v[29:32], v29 offset:12032
	s_waitcnt lgkmcnt(0)
	v_mul_f64 v[33:34], v[27:28], v[31:32]
	v_mul_f64 v[31:32], v[25:26], v[31:32]
	v_fma_f64 v[25:26], v[25:26], v[29:30], -v[33:34]
	v_fma_f64 v[27:28], v[27:28], v[29:30], v[31:32]
	v_add_f64 v[10:11], v[10:11], v[25:26]
	v_add_f64 v[12:13], v[12:13], v[27:28]
.LBB169_153:
	s_or_b64 exec, exec, s[14:15]
.LBB169_154:
	s_or_b64 exec, exec, s[10:11]
	s_and_saveexec_b64 s[8:9], s[44:45]
; %bb.155:
	v_xor_b32_e32 v28, 0x80000000, v13
	v_xor_b32_e32 v26, 0x80000000, v11
	v_mov_b32_e32 v25, v10
	v_mov_b32_e32 v27, v12
	ds_write_b128 v20, v[25:28]
; %bb.156:
	s_or_b64 exec, exec, s[8:9]
	s_waitcnt lgkmcnt(0)
	s_barrier
	s_and_saveexec_b64 s[8:9], s[46:47]
	s_cbranch_execz .LBB169_158
; %bb.157:
	v_lshlrev_b32_e32 v29, 4, v18
	ds_read_b128 v[25:28], v20
	ds_read_b128 v[29:32], v29 offset:9984
	s_waitcnt lgkmcnt(0)
	v_mul_f64 v[33:34], v[27:28], v[31:32]
	v_mul_f64 v[31:32], v[25:26], v[31:32]
	v_fma_f64 v[25:26], v[25:26], v[29:30], -v[33:34]
	v_fma_f64 v[27:28], v[27:28], v[29:30], v[31:32]
	v_add_f64 v[10:11], v[10:11], -v[25:26]
	v_add_f64 v[12:13], v[12:13], -v[27:28]
.LBB169_158:
	s_or_b64 exec, exec, s[8:9]
	s_barrier
	s_and_saveexec_b64 s[8:9], s[48:49]
; %bb.159:
	v_xor_b32_e32 v28, 0x80000000, v13
	v_xor_b32_e32 v26, 0x80000000, v11
	v_mov_b32_e32 v25, v10
	v_mov_b32_e32 v27, v12
	ds_write_b128 v20, v[25:28]
; %bb.160:
	s_or_b64 exec, exec, s[8:9]
	s_waitcnt lgkmcnt(0)
	s_barrier
	s_and_saveexec_b64 s[8:9], s[50:51]
	s_cbranch_execz .LBB169_162
; %bb.161:
	v_lshlrev_b32_e32 v29, 4, v18
	ds_read_b128 v[25:28], v20
	ds_read_b128 v[29:32], v29 offset:9472
	s_waitcnt lgkmcnt(0)
	v_mul_f64 v[33:34], v[27:28], v[31:32]
	v_mul_f64 v[31:32], v[25:26], v[31:32]
	v_fma_f64 v[25:26], v[25:26], v[29:30], -v[33:34]
	v_fma_f64 v[27:28], v[27:28], v[29:30], v[31:32]
	v_add_f64 v[10:11], v[10:11], -v[25:26]
	v_add_f64 v[12:13], v[12:13], -v[27:28]
.LBB169_162:
	s_or_b64 exec, exec, s[8:9]
	s_barrier
	s_and_saveexec_b64 s[8:9], s[52:53]
; %bb.163:
	v_xor_b32_e32 v28, 0x80000000, v13
	v_xor_b32_e32 v26, 0x80000000, v11
	v_mov_b32_e32 v25, v10
	v_mov_b32_e32 v27, v12
	ds_write_b128 v20, v[25:28]
; %bb.164:
	s_or_b64 exec, exec, s[8:9]
	s_waitcnt lgkmcnt(0)
	s_barrier
	s_and_saveexec_b64 s[8:9], s[42:43]
	s_cbranch_execz .LBB169_166
; %bb.165:
	v_mov_b32_e32 v29, 0
	ds_read_b128 v[25:28], v20
	ds_read_b128 v[29:32], v29 offset:8960
	s_waitcnt lgkmcnt(0)
	v_mul_f64 v[33:34], v[27:28], v[31:32]
	v_mul_f64 v[31:32], v[25:26], v[31:32]
	v_fma_f64 v[25:26], v[25:26], v[29:30], -v[33:34]
	v_fma_f64 v[27:28], v[27:28], v[29:30], v[31:32]
	v_add_f64 v[10:11], v[10:11], -v[25:26]
	v_add_f64 v[12:13], v[12:13], -v[27:28]
.LBB169_166:
	s_or_b64 exec, exec, s[8:9]
	s_barrier
	s_and_saveexec_b64 s[8:9], s[42:43]
; %bb.167:
	v_xor_b32_e32 v28, 0x80000000, v13
	v_xor_b32_e32 v26, 0x80000000, v11
	v_mov_b32_e32 v25, v10
	v_mov_b32_e32 v27, v12
	ds_write_b128 v20, v[25:28]
; %bb.168:
	s_or_b64 exec, exec, s[8:9]
	s_waitcnt lgkmcnt(0)
	s_barrier
	s_barrier
	s_and_saveexec_b64 s[8:9], s[2:3]
; %bb.169:
	v_lshlrev_b32_e32 v25, 4, v18
	v_lshl_or_b32 v25, v19, 9, v25
	ds_write_b128 v25, v[10:13] offset:10496
; %bb.170:
	s_or_b64 exec, exec, s[8:9]
	s_waitcnt lgkmcnt(0)
	s_barrier
	s_barrier
	s_and_saveexec_b64 s[8:9], vcc
	s_cbranch_execz .LBB169_172
; %bb.171:
	s_mov_b32 s92, 0
	s_mov_b32 s93, 0x3ff00000
	s_mov_b32 s94, s92
	s_mov_b32 s95, s92
	v_mov_b32_e32 v10, s92
	v_mov_b32_e32 v25, 0
	;; [unrolled: 1-line block ×5, first 2 shown]
	ds_write_b128 v25, v[10:13] offset:9504
	ds_write_b128 v25, v[10:13] offset:10032
.LBB169_172:
	s_or_b64 exec, exec, s[8:9]
	v_mov_b32_e32 v10, 0
	v_mov_b32_e32 v12, 0
	;; [unrolled: 1-line block ×4, first 2 shown]
	s_waitcnt lgkmcnt(0)
	s_barrier
	buffer_wbinvl1_vol
	s_and_saveexec_b64 s[10:11], s[0:1]
	s_cbranch_execz .LBB169_176
; %bb.173:
	v_lshlrev_b32_e32 v25, 4, v14
	v_lshlrev_b32_e32 v10, 9, v15
	ds_read_b128 v[10:13], v10 offset:9504
	ds_read_b128 v[25:28], v25 offset:9472
	v_cmp_gt_u32_e64 s[8:9], 2, v17
	s_waitcnt lgkmcnt(0)
	v_mul_f64 v[29:30], v[12:13], v[27:28]
	v_mul_f64 v[27:28], v[10:11], v[27:28]
	v_fma_f64 v[10:11], v[10:11], v[25:26], -v[29:30]
	v_fma_f64 v[12:13], v[12:13], v[25:26], v[27:28]
	v_add_f64 v[10:11], v[10:11], 0
	v_add_f64 v[12:13], v[12:13], 0
	s_and_saveexec_b64 s[14:15], s[8:9]
	s_cbranch_execz .LBB169_175
; %bb.174:
	v_lshlrev_b32_e32 v29, 4, v0
	v_mov_b32_e32 v25, 0
	ds_read_b128 v[25:28], v25 offset:10032
	ds_read_b128 v[29:32], v29 offset:9984
	s_waitcnt lgkmcnt(0)
	v_mul_f64 v[33:34], v[27:28], v[31:32]
	v_mul_f64 v[31:32], v[25:26], v[31:32]
	v_fma_f64 v[25:26], v[25:26], v[29:30], -v[33:34]
	v_fma_f64 v[27:28], v[27:28], v[29:30], v[31:32]
	v_add_f64 v[10:11], v[10:11], v[25:26]
	v_add_f64 v[12:13], v[12:13], v[27:28]
.LBB169_175:
	s_or_b64 exec, exec, s[14:15]
.LBB169_176:
	s_or_b64 exec, exec, s[10:11]
	s_and_saveexec_b64 s[8:9], s[40:41]
; %bb.177:
	v_xor_b32_e32 v26, 0x80000000, v11
	v_xor_b32_e32 v28, 0x80000000, v13
	v_mov_b32_e32 v25, v10
	v_mov_b32_e32 v27, v12
	ds_write_b128 v16, v[25:28]
; %bb.178:
	s_or_b64 exec, exec, s[8:9]
	s_waitcnt lgkmcnt(0)
	s_barrier
	s_and_saveexec_b64 s[8:9], s[38:39]
	s_cbranch_execz .LBB169_180
; %bb.179:
	v_mov_b32_e32 v29, 0
	ds_read_b128 v[25:28], v16
	ds_read_b128 v[29:32], v29 offset:8960
	s_waitcnt lgkmcnt(0)
	v_mul_f64 v[33:34], v[25:26], v[29:30]
	v_mul_f64 v[25:26], v[25:26], v[31:32]
	v_fma_f64 v[31:32], v[27:28], v[31:32], -v[33:34]
	v_fma_f64 v[25:26], v[27:28], v[29:30], v[25:26]
	v_add_f64 v[10:11], v[10:11], v[31:32]
	v_add_f64 v[12:13], v[12:13], -v[25:26]
.LBB169_180:
	s_or_b64 exec, exec, s[8:9]
	s_barrier
	s_and_saveexec_b64 s[8:9], s[38:39]
; %bb.181:
	v_xor_b32_e32 v26, 0x80000000, v11
	v_xor_b32_e32 v28, 0x80000000, v13
	v_mov_b32_e32 v25, v10
	v_mov_b32_e32 v27, v12
	ds_write_b128 v16, v[25:28]
; %bb.182:
	s_or_b64 exec, exec, s[8:9]
	s_waitcnt lgkmcnt(0)
	s_barrier
	s_barrier
	s_and_saveexec_b64 s[8:9], s[0:1]
; %bb.183:
	v_lshlrev_b32_e32 v25, 4, v14
	v_lshl_or_b32 v25, v15, 9, v25
	ds_write_b128 v25, v[10:13] offset:9472
; %bb.184:
	s_or_b64 exec, exec, s[8:9]
	s_waitcnt lgkmcnt(0)
	s_barrier
	s_barrier
	s_and_saveexec_b64 s[8:9], vcc
	s_cbranch_execz .LBB169_186
; %bb.185:
	s_mov_b32 s92, 0
	s_mov_b32 s93, 0x3ff00000
	;; [unrolled: 1-line block ×4, first 2 shown]
	v_mov_b32_e32 v10, s92
	v_mov_b32_e32 v25, 0
	;; [unrolled: 1-line block ×5, first 2 shown]
	ds_write_b128 v25, v[10:13] offset:8448
	ds_write_b128 v25, v[10:13] offset:8976
.LBB169_186:
	s_or_b64 exec, exec, s[8:9]
	s_movk_i32 s8, 0xff
	v_lshrrev_b32_e32 v27, 4, v17
	v_cmp_lt_u32_e64 s[10:11], s8, v17
	s_movk_i32 s8, 0x100
	v_mov_b32_e32 v12, 0
	v_mov_b32_e32 v10, 0
	v_and_b32_e32 v25, 15, v0
	v_sub_u32_e32 v26, 15, v27
	v_mov_b32_e32 v13, 0
	v_mov_b32_e32 v11, 0
	v_cmp_gt_u32_e64 s[8:9], s8, v17
	s_waitcnt lgkmcnt(0)
	s_barrier
	buffer_wbinvl1_vol
	s_and_saveexec_b64 s[82:83], s[8:9]
	s_cbranch_execz .LBB169_214
; %bb.187:
	v_lshlrev_b32_e32 v29, 9, v26
	v_lshlrev_b32_e32 v28, 4, v25
	ds_read_b128 v[10:13], v29 offset:8448
	ds_read_b128 v[30:33], v28 offset:8192
	s_movk_i32 s14, 0xf0
	v_cmp_gt_u32_e64 s[14:15], s14, v17
	s_waitcnt lgkmcnt(0)
	v_mul_f64 v[34:35], v[12:13], v[32:33]
	v_mul_f64 v[32:33], v[10:11], v[32:33]
	v_fma_f64 v[10:11], v[10:11], v[30:31], -v[34:35]
	v_fma_f64 v[12:13], v[12:13], v[30:31], v[32:33]
	v_add_f64 v[10:11], v[10:11], 0
	v_add_f64 v[12:13], v[12:13], 0
	s_and_saveexec_b64 s[84:85], s[14:15]
	s_cbranch_execz .LBB169_189
; %bb.188:
	ds_read_b128 v[30:33], v29 offset:8464
	ds_read_b128 v[34:37], v28 offset:8704
	s_waitcnt lgkmcnt(0)
	v_mul_f64 v[38:39], v[32:33], v[36:37]
	v_mul_f64 v[36:37], v[30:31], v[36:37]
	v_fma_f64 v[30:31], v[30:31], v[34:35], -v[38:39]
	v_fma_f64 v[32:33], v[32:33], v[34:35], v[36:37]
	v_add_f64 v[10:11], v[10:11], v[30:31]
	v_add_f64 v[12:13], v[12:13], v[32:33]
.LBB169_189:
	s_or_b64 exec, exec, s[84:85]
	s_movk_i32 s14, 0xe0
	v_cmp_gt_u32_e64 s[14:15], s14, v17
	s_and_saveexec_b64 s[84:85], s[14:15]
	s_cbranch_execz .LBB169_191
; %bb.190:
	ds_read_b128 v[30:33], v29 offset:8480
	ds_read_b128 v[34:37], v28 offset:9216
	s_waitcnt lgkmcnt(0)
	v_mul_f64 v[38:39], v[32:33], v[36:37]
	v_mul_f64 v[36:37], v[30:31], v[36:37]
	v_fma_f64 v[30:31], v[30:31], v[34:35], -v[38:39]
	v_fma_f64 v[32:33], v[32:33], v[34:35], v[36:37]
	v_add_f64 v[10:11], v[10:11], v[30:31]
	v_add_f64 v[12:13], v[12:13], v[32:33]
.LBB169_191:
	s_or_b64 exec, exec, s[84:85]
	s_movk_i32 s14, 0xd0
	v_cmp_gt_u32_e64 s[14:15], s14, v17
	;; [unrolled: 16-line block ×10, first 2 shown]
	s_and_saveexec_b64 s[84:85], s[14:15]
	s_cbranch_execnz .LBB169_497
; %bb.208:
	s_or_b64 exec, exec, s[84:85]
	s_and_saveexec_b64 s[14:15], s[12:13]
	s_cbranch_execnz .LBB169_498
.LBB169_209:
	s_or_b64 exec, exec, s[14:15]
	v_cmp_gt_u32_e64 s[14:15], 48, v17
	s_and_saveexec_b64 s[84:85], s[14:15]
	s_cbranch_execnz .LBB169_499
.LBB169_210:
	s_or_b64 exec, exec, s[84:85]
	v_cmp_gt_u32_e64 s[14:15], 32, v17
	s_and_saveexec_b64 s[84:85], s[14:15]
	s_cbranch_execnz .LBB169_500
.LBB169_211:
	s_or_b64 exec, exec, s[84:85]
	v_cmp_gt_u32_e64 s[14:15], 16, v17
	s_and_saveexec_b64 s[84:85], s[14:15]
	s_cbranch_execz .LBB169_213
.LBB169_212:
	v_lshlrev_b32_e32 v32, 4, v0
	v_mov_b32_e32 v28, 0
	ds_read_b128 v[28:31], v28 offset:16368
	ds_read_b128 v[32:35], v32 offset:15872
	s_waitcnt lgkmcnt(0)
	v_mul_f64 v[36:37], v[30:31], v[34:35]
	v_mul_f64 v[34:35], v[28:29], v[34:35]
	v_fma_f64 v[28:29], v[28:29], v[32:33], -v[36:37]
	v_fma_f64 v[30:31], v[30:31], v[32:33], v[34:35]
	v_add_f64 v[10:11], v[10:11], v[28:29]
	v_add_f64 v[12:13], v[12:13], v[30:31]
.LBB169_213:
	s_or_b64 exec, exec, s[84:85]
.LBB169_214:
	s_or_b64 exec, exec, s[82:83]
	v_mov_b32_e32 v28, 0x4000
	v_cmp_eq_u32_e64 s[14:15], 15, v25
	s_xor_b64 s[82:83], s[10:11], -1
	v_lshl_add_u32 v27, v27, 4, v28
	s_and_b64 s[14:15], s[14:15], s[82:83]
	s_and_saveexec_b64 s[10:11], s[14:15]
; %bb.215:
	v_xor_b32_e32 v31, 0x80000000, v13
	v_xor_b32_e32 v29, 0x80000000, v11
	v_mov_b32_e32 v28, v10
	v_mov_b32_e32 v30, v12
	ds_write_b128 v27, v[28:31]
; %bb.216:
	s_or_b64 exec, exec, s[10:11]
	v_cmp_ne_u32_e64 s[10:11], 15, v25
	s_and_b64 s[14:15], s[10:11], s[82:83]
	s_waitcnt lgkmcnt(0)
	s_barrier
	s_and_saveexec_b64 s[10:11], s[14:15]
	s_cbranch_execz .LBB169_218
; %bb.217:
	v_lshlrev_b32_e32 v32, 4, v25
	ds_read_b128 v[28:31], v27
	ds_read_b128 v[32:35], v32 offset:7680
	s_waitcnt lgkmcnt(0)
	v_mul_f64 v[36:37], v[30:31], v[34:35]
	v_mul_f64 v[34:35], v[28:29], v[34:35]
	v_fma_f64 v[28:29], v[28:29], v[32:33], -v[36:37]
	v_fma_f64 v[30:31], v[30:31], v[32:33], v[34:35]
	v_add_f64 v[10:11], v[10:11], -v[28:29]
	v_add_f64 v[12:13], v[12:13], -v[30:31]
.LBB169_218:
	s_or_b64 exec, exec, s[10:11]
	v_cmp_eq_u32_e64 s[10:11], 14, v25
	s_and_b64 s[14:15], s[10:11], s[82:83]
	s_barrier
	s_and_saveexec_b64 s[10:11], s[14:15]
; %bb.219:
	v_xor_b32_e32 v31, 0x80000000, v13
	v_xor_b32_e32 v29, 0x80000000, v11
	v_mov_b32_e32 v28, v10
	v_mov_b32_e32 v30, v12
	ds_write_b128 v27, v[28:31]
; %bb.220:
	s_or_b64 exec, exec, s[10:11]
	v_cmp_gt_u32_e64 s[10:11], 14, v25
	s_and_b64 s[14:15], s[10:11], s[82:83]
	s_waitcnt lgkmcnt(0)
	s_barrier
	s_and_saveexec_b64 s[10:11], s[14:15]
	s_cbranch_execz .LBB169_222
; %bb.221:
	v_lshlrev_b32_e32 v32, 4, v25
	ds_read_b128 v[28:31], v27
	ds_read_b128 v[32:35], v32 offset:7168
	s_waitcnt lgkmcnt(0)
	v_mul_f64 v[36:37], v[30:31], v[34:35]
	v_mul_f64 v[34:35], v[28:29], v[34:35]
	v_fma_f64 v[28:29], v[28:29], v[32:33], -v[36:37]
	v_fma_f64 v[30:31], v[30:31], v[32:33], v[34:35]
	v_add_f64 v[10:11], v[10:11], -v[28:29]
	v_add_f64 v[12:13], v[12:13], -v[30:31]
.LBB169_222:
	s_or_b64 exec, exec, s[10:11]
	v_cmp_eq_u32_e64 s[10:11], 13, v25
	s_and_b64 s[14:15], s[10:11], s[82:83]
	s_barrier
	s_and_saveexec_b64 s[10:11], s[14:15]
; %bb.223:
	v_xor_b32_e32 v31, 0x80000000, v13
	v_xor_b32_e32 v29, 0x80000000, v11
	v_mov_b32_e32 v28, v10
	v_mov_b32_e32 v30, v12
	ds_write_b128 v27, v[28:31]
; %bb.224:
	s_or_b64 exec, exec, s[10:11]
	v_cmp_gt_u32_e64 s[10:11], 13, v25
	;; [unrolled: 31-line block ×13, first 2 shown]
	s_and_b64 s[14:15], s[10:11], s[82:83]
	s_waitcnt lgkmcnt(0)
	s_barrier
	s_and_saveexec_b64 s[10:11], s[14:15]
	s_cbranch_execz .LBB169_270
; %bb.269:
	v_lshlrev_b32_e32 v32, 4, v25
	ds_read_b128 v[28:31], v27
	ds_read_b128 v[32:35], v32 offset:1024
	s_waitcnt lgkmcnt(0)
	v_mul_f64 v[36:37], v[30:31], v[34:35]
	v_mul_f64 v[34:35], v[28:29], v[34:35]
	v_fma_f64 v[28:29], v[28:29], v[32:33], -v[36:37]
	v_fma_f64 v[30:31], v[30:31], v[32:33], v[34:35]
	v_add_f64 v[10:11], v[10:11], -v[28:29]
	v_add_f64 v[12:13], v[12:13], -v[30:31]
.LBB169_270:
	s_or_b64 exec, exec, s[10:11]
	v_cmp_eq_u32_e64 s[10:11], 1, v25
	s_and_b64 s[14:15], s[10:11], s[82:83]
	s_barrier
	s_and_saveexec_b64 s[10:11], s[14:15]
; %bb.271:
	v_xor_b32_e32 v31, 0x80000000, v13
	v_xor_b32_e32 v29, 0x80000000, v11
	v_mov_b32_e32 v28, v10
	v_mov_b32_e32 v30, v12
	ds_write_b128 v27, v[28:31]
; %bb.272:
	s_or_b64 exec, exec, s[10:11]
	v_cmp_eq_u32_e64 s[10:11], 0, v25
	s_and_b64 s[10:11], s[10:11], s[82:83]
	s_waitcnt lgkmcnt(0)
	s_barrier
	s_and_saveexec_b64 s[14:15], s[10:11]
	s_cbranch_execz .LBB169_274
; %bb.273:
	v_mov_b32_e32 v32, 0
	ds_read_b128 v[28:31], v27
	ds_read_b128 v[32:35], v32 offset:512
	s_waitcnt lgkmcnt(0)
	v_mul_f64 v[36:37], v[30:31], v[34:35]
	v_mul_f64 v[34:35], v[28:29], v[34:35]
	v_fma_f64 v[28:29], v[28:29], v[32:33], -v[36:37]
	v_fma_f64 v[30:31], v[30:31], v[32:33], v[34:35]
	v_add_f64 v[10:11], v[10:11], -v[28:29]
	v_add_f64 v[12:13], v[12:13], -v[30:31]
.LBB169_274:
	s_or_b64 exec, exec, s[14:15]
	s_barrier
	s_and_saveexec_b64 s[14:15], s[10:11]
; %bb.275:
	v_xor_b32_e32 v31, 0x80000000, v13
	v_xor_b32_e32 v29, 0x80000000, v11
	v_mov_b32_e32 v28, v10
	v_mov_b32_e32 v30, v12
	ds_write_b128 v27, v[28:31]
; %bb.276:
	s_or_b64 exec, exec, s[14:15]
	s_waitcnt lgkmcnt(0)
	s_barrier
	s_barrier
	s_and_saveexec_b64 s[10:11], s[8:9]
; %bb.277:
	v_lshlrev_b32_e32 v25, 4, v25
	v_lshl_or_b32 v25, v26, 9, v25
	ds_write_b128 v25, v[10:13] offset:8192
; %bb.278:
	s_or_b64 exec, exec, s[10:11]
	s_waitcnt lgkmcnt(0)
	s_barrier
	s_barrier
	s_and_saveexec_b64 s[8:9], vcc
	s_cbranch_execz .LBB169_280
; %bb.279:
	s_mov_b32 s92, 0
	s_mov_b32 s93, 0x3ff00000
	;; [unrolled: 1-line block ×4, first 2 shown]
	v_mov_b32_e32 v10, s92
	v_mov_b32_e32 v25, 0
	;; [unrolled: 1-line block ×5, first 2 shown]
	ds_write_b128 v25, v[10:13] offset:7392
	ds_write_b128 v25, v[10:13] offset:7920
.LBB169_280:
	s_or_b64 exec, exec, s[8:9]
	v_mov_b32_e32 v10, 0
	v_mov_b32_e32 v12, 0
	;; [unrolled: 1-line block ×4, first 2 shown]
	s_waitcnt lgkmcnt(0)
	s_barrier
	buffer_wbinvl1_vol
	s_and_saveexec_b64 s[10:11], s[0:1]
	s_cbranch_execz .LBB169_284
; %bb.281:
	v_lshlrev_b32_e32 v25, 4, v14
	v_lshlrev_b32_e32 v10, 9, v15
	ds_read_b128 v[10:13], v10 offset:7392
	ds_read_b128 v[25:28], v25 offset:7360
	v_cmp_gt_u32_e64 s[8:9], 2, v17
	s_waitcnt lgkmcnt(0)
	v_mul_f64 v[29:30], v[12:13], v[27:28]
	v_mul_f64 v[27:28], v[10:11], v[27:28]
	v_fma_f64 v[10:11], v[10:11], v[25:26], -v[29:30]
	v_fma_f64 v[12:13], v[12:13], v[25:26], v[27:28]
	v_add_f64 v[10:11], v[10:11], 0
	v_add_f64 v[12:13], v[12:13], 0
	s_and_saveexec_b64 s[14:15], s[8:9]
	s_cbranch_execz .LBB169_283
; %bb.282:
	v_lshlrev_b32_e32 v29, 4, v0
	v_mov_b32_e32 v25, 0
	ds_read_b128 v[25:28], v25 offset:7920
	ds_read_b128 v[29:32], v29 offset:7872
	s_waitcnt lgkmcnt(0)
	v_mul_f64 v[33:34], v[27:28], v[31:32]
	v_mul_f64 v[31:32], v[25:26], v[31:32]
	v_fma_f64 v[25:26], v[25:26], v[29:30], -v[33:34]
	v_fma_f64 v[27:28], v[27:28], v[29:30], v[31:32]
	v_add_f64 v[10:11], v[10:11], v[25:26]
	v_add_f64 v[12:13], v[12:13], v[27:28]
.LBB169_283:
	s_or_b64 exec, exec, s[14:15]
.LBB169_284:
	s_or_b64 exec, exec, s[10:11]
	s_and_saveexec_b64 s[8:9], s[40:41]
; %bb.285:
	v_xor_b32_e32 v26, 0x80000000, v11
	v_xor_b32_e32 v28, 0x80000000, v13
	v_mov_b32_e32 v25, v10
	v_mov_b32_e32 v27, v12
	ds_write_b128 v16, v[25:28]
; %bb.286:
	s_or_b64 exec, exec, s[8:9]
	s_waitcnt lgkmcnt(0)
	s_barrier
	s_and_saveexec_b64 s[8:9], s[38:39]
	s_cbranch_execz .LBB169_288
; %bb.287:
	v_mov_b32_e32 v29, 0
	ds_read_b128 v[25:28], v16
	ds_read_b128 v[29:32], v29 offset:6848
	s_waitcnt lgkmcnt(0)
	v_mul_f64 v[33:34], v[25:26], v[29:30]
	v_mul_f64 v[25:26], v[25:26], v[31:32]
	v_fma_f64 v[31:32], v[27:28], v[31:32], -v[33:34]
	v_fma_f64 v[25:26], v[27:28], v[29:30], v[25:26]
	v_add_f64 v[10:11], v[10:11], v[31:32]
	v_add_f64 v[12:13], v[12:13], -v[25:26]
.LBB169_288:
	s_or_b64 exec, exec, s[8:9]
	s_barrier
	s_and_saveexec_b64 s[8:9], s[38:39]
; %bb.289:
	v_xor_b32_e32 v26, 0x80000000, v11
	v_xor_b32_e32 v28, 0x80000000, v13
	v_mov_b32_e32 v25, v10
	v_mov_b32_e32 v27, v12
	ds_write_b128 v16, v[25:28]
; %bb.290:
	s_or_b64 exec, exec, s[8:9]
	s_waitcnt lgkmcnt(0)
	s_barrier
	s_barrier
	s_and_saveexec_b64 s[8:9], s[0:1]
; %bb.291:
	v_lshlrev_b32_e32 v25, 4, v14
	v_lshl_or_b32 v25, v15, 9, v25
	ds_write_b128 v25, v[10:13] offset:7360
; %bb.292:
	s_or_b64 exec, exec, s[8:9]
	s_waitcnt lgkmcnt(0)
	s_barrier
	s_barrier
	s_and_saveexec_b64 s[8:9], vcc
	s_cbranch_execz .LBB169_294
; %bb.293:
	s_mov_b32 s92, 0
	s_mov_b32 s93, 0x3ff00000
	;; [unrolled: 1-line block ×4, first 2 shown]
	v_mov_b32_e32 v10, s92
	v_mov_b32_e32 v25, 0
	;; [unrolled: 1-line block ×5, first 2 shown]
	ds_write_b128 v25, v[10:13] offset:6336
	ds_write_b128 v25, v[10:13] offset:6864
.LBB169_294:
	s_or_b64 exec, exec, s[8:9]
	v_mov_b32_e32 v12, 0
	v_mov_b32_e32 v10, 0
	;; [unrolled: 1-line block ×4, first 2 shown]
	s_waitcnt lgkmcnt(0)
	s_barrier
	buffer_wbinvl1_vol
	s_and_saveexec_b64 s[10:11], s[2:3]
	s_cbranch_execz .LBB169_300
; %bb.295:
	v_lshlrev_b32_e32 v26, 9, v19
	v_lshlrev_b32_e32 v25, 4, v18
	ds_read_b128 v[10:13], v26 offset:6336
	ds_read_b128 v[27:30], v25 offset:6272
	v_cmp_gt_u32_e64 s[8:9], 12, v17
	s_waitcnt lgkmcnt(0)
	v_mul_f64 v[31:32], v[12:13], v[29:30]
	v_mul_f64 v[29:30], v[10:11], v[29:30]
	v_fma_f64 v[10:11], v[10:11], v[27:28], -v[31:32]
	v_fma_f64 v[12:13], v[12:13], v[27:28], v[29:30]
	v_add_f64 v[10:11], v[10:11], 0
	v_add_f64 v[12:13], v[12:13], 0
	s_and_saveexec_b64 s[14:15], s[8:9]
	s_cbranch_execnz .LBB169_501
; %bb.296:
	s_or_b64 exec, exec, s[14:15]
	v_cmp_gt_u32_e64 s[8:9], 8, v17
	s_and_saveexec_b64 s[14:15], s[8:9]
	s_cbranch_execnz .LBB169_502
.LBB169_297:
	s_or_b64 exec, exec, s[14:15]
	v_cmp_gt_u32_e64 s[8:9], 4, v17
	s_and_saveexec_b64 s[14:15], s[8:9]
	s_cbranch_execz .LBB169_299
.LBB169_298:
	v_lshlrev_b32_e32 v29, 4, v0
	v_mov_b32_e32 v25, 0
	ds_read_b128 v[25:28], v25 offset:7920
	ds_read_b128 v[29:32], v29 offset:7808
	s_waitcnt lgkmcnt(0)
	v_mul_f64 v[33:34], v[27:28], v[31:32]
	v_mul_f64 v[31:32], v[25:26], v[31:32]
	v_fma_f64 v[25:26], v[25:26], v[29:30], -v[33:34]
	v_fma_f64 v[27:28], v[27:28], v[29:30], v[31:32]
	v_add_f64 v[10:11], v[10:11], v[25:26]
	v_add_f64 v[12:13], v[12:13], v[27:28]
.LBB169_299:
	s_or_b64 exec, exec, s[14:15]
.LBB169_300:
	s_or_b64 exec, exec, s[10:11]
	s_and_saveexec_b64 s[8:9], s[44:45]
; %bb.301:
	v_xor_b32_e32 v28, 0x80000000, v13
	v_xor_b32_e32 v26, 0x80000000, v11
	v_mov_b32_e32 v25, v10
	v_mov_b32_e32 v27, v12
	ds_write_b128 v20, v[25:28]
; %bb.302:
	s_or_b64 exec, exec, s[8:9]
	s_waitcnt lgkmcnt(0)
	s_barrier
	s_and_saveexec_b64 s[8:9], s[46:47]
	s_cbranch_execz .LBB169_304
; %bb.303:
	v_lshlrev_b32_e32 v29, 4, v18
	ds_read_b128 v[25:28], v20
	ds_read_b128 v[29:32], v29 offset:5760
	s_waitcnt lgkmcnt(0)
	v_mul_f64 v[33:34], v[27:28], v[31:32]
	v_mul_f64 v[31:32], v[25:26], v[31:32]
	v_fma_f64 v[25:26], v[25:26], v[29:30], -v[33:34]
	v_fma_f64 v[27:28], v[27:28], v[29:30], v[31:32]
	v_add_f64 v[10:11], v[10:11], -v[25:26]
	v_add_f64 v[12:13], v[12:13], -v[27:28]
.LBB169_304:
	s_or_b64 exec, exec, s[8:9]
	s_barrier
	s_and_saveexec_b64 s[8:9], s[48:49]
; %bb.305:
	v_xor_b32_e32 v28, 0x80000000, v13
	v_xor_b32_e32 v26, 0x80000000, v11
	v_mov_b32_e32 v25, v10
	v_mov_b32_e32 v27, v12
	ds_write_b128 v20, v[25:28]
; %bb.306:
	s_or_b64 exec, exec, s[8:9]
	s_waitcnt lgkmcnt(0)
	s_barrier
	s_and_saveexec_b64 s[8:9], s[50:51]
	s_cbranch_execz .LBB169_308
; %bb.307:
	v_lshlrev_b32_e32 v29, 4, v18
	ds_read_b128 v[25:28], v20
	ds_read_b128 v[29:32], v29 offset:5248
	s_waitcnt lgkmcnt(0)
	v_mul_f64 v[33:34], v[27:28], v[31:32]
	v_mul_f64 v[31:32], v[25:26], v[31:32]
	v_fma_f64 v[25:26], v[25:26], v[29:30], -v[33:34]
	v_fma_f64 v[27:28], v[27:28], v[29:30], v[31:32]
	v_add_f64 v[10:11], v[10:11], -v[25:26]
	v_add_f64 v[12:13], v[12:13], -v[27:28]
.LBB169_308:
	s_or_b64 exec, exec, s[8:9]
	s_barrier
	s_and_saveexec_b64 s[8:9], s[52:53]
; %bb.309:
	v_xor_b32_e32 v28, 0x80000000, v13
	v_xor_b32_e32 v26, 0x80000000, v11
	v_mov_b32_e32 v25, v10
	v_mov_b32_e32 v27, v12
	ds_write_b128 v20, v[25:28]
; %bb.310:
	s_or_b64 exec, exec, s[8:9]
	s_waitcnt lgkmcnt(0)
	s_barrier
	s_and_saveexec_b64 s[8:9], s[42:43]
	s_cbranch_execz .LBB169_312
; %bb.311:
	v_mov_b32_e32 v29, 0
	ds_read_b128 v[25:28], v20
	ds_read_b128 v[29:32], v29 offset:4736
	s_waitcnt lgkmcnt(0)
	v_mul_f64 v[33:34], v[27:28], v[31:32]
	v_mul_f64 v[31:32], v[25:26], v[31:32]
	v_fma_f64 v[25:26], v[25:26], v[29:30], -v[33:34]
	v_fma_f64 v[27:28], v[27:28], v[29:30], v[31:32]
	v_add_f64 v[10:11], v[10:11], -v[25:26]
	v_add_f64 v[12:13], v[12:13], -v[27:28]
.LBB169_312:
	s_or_b64 exec, exec, s[8:9]
	s_barrier
	s_and_saveexec_b64 s[8:9], s[42:43]
; %bb.313:
	v_xor_b32_e32 v28, 0x80000000, v13
	v_xor_b32_e32 v26, 0x80000000, v11
	v_mov_b32_e32 v25, v10
	v_mov_b32_e32 v27, v12
	ds_write_b128 v20, v[25:28]
; %bb.314:
	s_or_b64 exec, exec, s[8:9]
	s_waitcnt lgkmcnt(0)
	s_barrier
	s_barrier
	s_and_saveexec_b64 s[8:9], s[2:3]
; %bb.315:
	v_lshlrev_b32_e32 v25, 4, v18
	v_lshl_or_b32 v25, v19, 9, v25
	ds_write_b128 v25, v[10:13] offset:6272
; %bb.316:
	s_or_b64 exec, exec, s[8:9]
	s_waitcnt lgkmcnt(0)
	s_barrier
	s_barrier
	s_and_saveexec_b64 s[8:9], vcc
	s_cbranch_execz .LBB169_318
; %bb.317:
	s_mov_b32 s92, 0
	s_mov_b32 s93, 0x3ff00000
	;; [unrolled: 1-line block ×4, first 2 shown]
	v_mov_b32_e32 v10, s92
	v_mov_b32_e32 v25, 0
	;; [unrolled: 1-line block ×5, first 2 shown]
	ds_write_b128 v25, v[10:13] offset:5280
	ds_write_b128 v25, v[10:13] offset:5808
.LBB169_318:
	s_or_b64 exec, exec, s[8:9]
	v_mov_b32_e32 v10, 0
	v_mov_b32_e32 v12, 0
	v_mov_b32_e32 v11, 0
	v_mov_b32_e32 v13, 0
	s_waitcnt lgkmcnt(0)
	s_barrier
	buffer_wbinvl1_vol
	s_and_saveexec_b64 s[10:11], s[0:1]
	s_cbranch_execz .LBB169_322
; %bb.319:
	v_lshlrev_b32_e32 v25, 4, v14
	v_lshlrev_b32_e32 v10, 9, v15
	ds_read_b128 v[10:13], v10 offset:5280
	ds_read_b128 v[25:28], v25 offset:5248
	v_cmp_gt_u32_e64 s[8:9], 2, v17
	s_waitcnt lgkmcnt(0)
	v_mul_f64 v[29:30], v[12:13], v[27:28]
	v_mul_f64 v[27:28], v[10:11], v[27:28]
	v_fma_f64 v[10:11], v[10:11], v[25:26], -v[29:30]
	v_fma_f64 v[12:13], v[12:13], v[25:26], v[27:28]
	v_add_f64 v[10:11], v[10:11], 0
	v_add_f64 v[12:13], v[12:13], 0
	s_and_saveexec_b64 s[14:15], s[8:9]
	s_cbranch_execz .LBB169_321
; %bb.320:
	v_lshlrev_b32_e32 v29, 4, v0
	v_mov_b32_e32 v25, 0
	ds_read_b128 v[25:28], v25 offset:5808
	ds_read_b128 v[29:32], v29 offset:5760
	s_waitcnt lgkmcnt(0)
	v_mul_f64 v[33:34], v[27:28], v[31:32]
	v_mul_f64 v[31:32], v[25:26], v[31:32]
	v_fma_f64 v[25:26], v[25:26], v[29:30], -v[33:34]
	v_fma_f64 v[27:28], v[27:28], v[29:30], v[31:32]
	v_add_f64 v[10:11], v[10:11], v[25:26]
	v_add_f64 v[12:13], v[12:13], v[27:28]
.LBB169_321:
	s_or_b64 exec, exec, s[14:15]
.LBB169_322:
	s_or_b64 exec, exec, s[10:11]
	s_and_saveexec_b64 s[8:9], s[40:41]
; %bb.323:
	v_xor_b32_e32 v26, 0x80000000, v11
	v_xor_b32_e32 v28, 0x80000000, v13
	v_mov_b32_e32 v25, v10
	v_mov_b32_e32 v27, v12
	ds_write_b128 v16, v[25:28]
; %bb.324:
	s_or_b64 exec, exec, s[8:9]
	s_waitcnt lgkmcnt(0)
	s_barrier
	s_and_saveexec_b64 s[8:9], s[38:39]
	s_cbranch_execz .LBB169_326
; %bb.325:
	v_mov_b32_e32 v29, 0
	ds_read_b128 v[25:28], v16
	ds_read_b128 v[29:32], v29 offset:4736
	s_waitcnt lgkmcnt(0)
	v_mul_f64 v[33:34], v[25:26], v[29:30]
	v_mul_f64 v[25:26], v[25:26], v[31:32]
	v_fma_f64 v[31:32], v[27:28], v[31:32], -v[33:34]
	v_fma_f64 v[25:26], v[27:28], v[29:30], v[25:26]
	v_add_f64 v[10:11], v[10:11], v[31:32]
	v_add_f64 v[12:13], v[12:13], -v[25:26]
.LBB169_326:
	s_or_b64 exec, exec, s[8:9]
	s_barrier
	s_and_saveexec_b64 s[8:9], s[38:39]
; %bb.327:
	v_xor_b32_e32 v26, 0x80000000, v11
	v_xor_b32_e32 v28, 0x80000000, v13
	v_mov_b32_e32 v25, v10
	v_mov_b32_e32 v27, v12
	ds_write_b128 v16, v[25:28]
; %bb.328:
	s_or_b64 exec, exec, s[8:9]
	s_waitcnt lgkmcnt(0)
	s_barrier
	s_barrier
	s_and_saveexec_b64 s[8:9], s[0:1]
; %bb.329:
	v_lshlrev_b32_e32 v25, 4, v14
	v_lshl_or_b32 v25, v15, 9, v25
	ds_write_b128 v25, v[10:13] offset:5248
; %bb.330:
	s_or_b64 exec, exec, s[8:9]
	s_waitcnt lgkmcnt(0)
	s_barrier
	s_barrier
	s_and_saveexec_b64 s[8:9], vcc
	s_cbranch_execz .LBB169_332
; %bb.331:
	s_mov_b32 s92, 0
	s_mov_b32 s93, 0x3ff00000
	;; [unrolled: 1-line block ×4, first 2 shown]
	v_mov_b32_e32 v10, s92
	v_mov_b32_e32 v25, 0
	;; [unrolled: 1-line block ×5, first 2 shown]
	ds_write_b128 v25, v[10:13] offset:4224
	ds_write_b128 v25, v[10:13] offset:4752
.LBB169_332:
	s_or_b64 exec, exec, s[8:9]
	v_mov_b32_e32 v12, 0
	v_mov_b32_e32 v10, 0
	;; [unrolled: 1-line block ×4, first 2 shown]
	s_waitcnt lgkmcnt(0)
	s_barrier
	buffer_wbinvl1_vol
	s_and_saveexec_b64 s[10:11], s[12:13]
	s_cbranch_execz .LBB169_342
; %bb.333:
	v_lshlrev_b32_e32 v26, 9, v23
	v_lshlrev_b32_e32 v25, 4, v22
	ds_read_b128 v[10:13], v26 offset:4224
	ds_read_b128 v[27:30], v25 offset:4096
	v_cmp_gt_u32_e64 s[8:9], 56, v17
	s_waitcnt lgkmcnt(0)
	v_mul_f64 v[31:32], v[12:13], v[29:30]
	v_mul_f64 v[29:30], v[10:11], v[29:30]
	v_fma_f64 v[10:11], v[10:11], v[27:28], -v[31:32]
	v_fma_f64 v[12:13], v[12:13], v[27:28], v[29:30]
	v_add_f64 v[10:11], v[10:11], 0
	v_add_f64 v[12:13], v[12:13], 0
	s_and_saveexec_b64 s[14:15], s[8:9]
	s_cbranch_execnz .LBB169_503
; %bb.334:
	s_or_b64 exec, exec, s[14:15]
	v_cmp_gt_u32_e64 s[8:9], 48, v17
	s_and_saveexec_b64 s[14:15], s[8:9]
	s_cbranch_execnz .LBB169_504
.LBB169_335:
	s_or_b64 exec, exec, s[14:15]
	v_cmp_gt_u32_e64 s[8:9], 40, v17
	s_and_saveexec_b64 s[14:15], s[8:9]
	s_cbranch_execnz .LBB169_505
.LBB169_336:
	s_or_b64 exec, exec, s[14:15]
	v_cmp_gt_u32_e64 s[8:9], 32, v17
	s_and_saveexec_b64 s[14:15], s[8:9]
	s_cbranch_execnz .LBB169_506
.LBB169_337:
	s_or_b64 exec, exec, s[14:15]
	v_cmp_gt_u32_e64 s[8:9], 24, v17
	s_and_saveexec_b64 s[14:15], s[8:9]
	s_cbranch_execnz .LBB169_507
.LBB169_338:
	s_or_b64 exec, exec, s[14:15]
	s_and_saveexec_b64 s[8:9], s[2:3]
	s_cbranch_execnz .LBB169_508
.LBB169_339:
	s_or_b64 exec, exec, s[8:9]
	v_cmp_gt_u32_e64 s[8:9], 8, v17
	s_and_saveexec_b64 s[14:15], s[8:9]
	s_cbranch_execz .LBB169_341
.LBB169_340:
	v_lshlrev_b32_e32 v29, 4, v0
	v_mov_b32_e32 v25, 0
	ds_read_b128 v[25:28], v25 offset:7920
	ds_read_b128 v[29:32], v29 offset:7680
	s_waitcnt lgkmcnt(0)
	v_mul_f64 v[33:34], v[27:28], v[31:32]
	v_mul_f64 v[31:32], v[25:26], v[31:32]
	v_fma_f64 v[25:26], v[25:26], v[29:30], -v[33:34]
	v_fma_f64 v[27:28], v[27:28], v[29:30], v[31:32]
	v_add_f64 v[10:11], v[10:11], v[25:26]
	v_add_f64 v[12:13], v[12:13], v[27:28]
.LBB169_341:
	s_or_b64 exec, exec, s[14:15]
.LBB169_342:
	s_or_b64 exec, exec, s[10:11]
	s_and_saveexec_b64 s[8:9], s[56:57]
; %bb.343:
	v_xor_b32_e32 v26, 0x80000000, v11
	v_xor_b32_e32 v28, 0x80000000, v13
	v_mov_b32_e32 v25, v10
	v_mov_b32_e32 v27, v12
	ds_write_b128 v24, v[25:28]
; %bb.344:
	s_or_b64 exec, exec, s[8:9]
	s_waitcnt lgkmcnt(0)
	s_barrier
	s_and_saveexec_b64 s[8:9], s[58:59]
	s_cbranch_execz .LBB169_346
; %bb.345:
	v_lshlrev_b32_e32 v29, 4, v22
	ds_read_b128 v[25:28], v24
	ds_read_b128 v[29:32], v29 offset:3584
	s_waitcnt lgkmcnt(0)
	v_mul_f64 v[33:34], v[27:28], v[31:32]
	v_mul_f64 v[31:32], v[25:26], v[31:32]
	v_fma_f64 v[25:26], v[25:26], v[29:30], -v[33:34]
	v_fma_f64 v[27:28], v[27:28], v[29:30], v[31:32]
	v_add_f64 v[10:11], v[10:11], -v[25:26]
	v_add_f64 v[12:13], v[12:13], -v[27:28]
.LBB169_346:
	s_or_b64 exec, exec, s[8:9]
	s_barrier
	s_and_saveexec_b64 s[8:9], s[60:61]
; %bb.347:
	v_xor_b32_e32 v26, 0x80000000, v11
	v_xor_b32_e32 v28, 0x80000000, v13
	v_mov_b32_e32 v25, v10
	v_mov_b32_e32 v27, v12
	ds_write_b128 v24, v[25:28]
; %bb.348:
	s_or_b64 exec, exec, s[8:9]
	s_waitcnt lgkmcnt(0)
	s_barrier
	s_and_saveexec_b64 s[8:9], s[62:63]
	s_cbranch_execz .LBB169_350
; %bb.349:
	v_lshlrev_b32_e32 v29, 4, v22
	ds_read_b128 v[25:28], v24
	ds_read_b128 v[29:32], v29 offset:3072
	s_waitcnt lgkmcnt(0)
	v_mul_f64 v[33:34], v[27:28], v[31:32]
	v_mul_f64 v[31:32], v[25:26], v[31:32]
	v_fma_f64 v[25:26], v[25:26], v[29:30], -v[33:34]
	v_fma_f64 v[27:28], v[27:28], v[29:30], v[31:32]
	v_add_f64 v[10:11], v[10:11], -v[25:26]
	v_add_f64 v[12:13], v[12:13], -v[27:28]
.LBB169_350:
	s_or_b64 exec, exec, s[8:9]
	s_barrier
	;; [unrolled: 27-line block ×6, first 2 shown]
	s_and_saveexec_b64 s[8:9], s[80:81]
; %bb.367:
	v_xor_b32_e32 v26, 0x80000000, v11
	v_xor_b32_e32 v28, 0x80000000, v13
	v_mov_b32_e32 v25, v10
	v_mov_b32_e32 v27, v12
	ds_write_b128 v24, v[25:28]
; %bb.368:
	s_or_b64 exec, exec, s[8:9]
	s_waitcnt lgkmcnt(0)
	s_barrier
	s_and_saveexec_b64 s[8:9], s[54:55]
	s_cbranch_execz .LBB169_370
; %bb.369:
	v_mov_b32_e32 v29, 0
	ds_read_b128 v[25:28], v24
	ds_read_b128 v[29:32], v29 offset:512
	s_waitcnt lgkmcnt(0)
	v_mul_f64 v[33:34], v[27:28], v[31:32]
	v_mul_f64 v[31:32], v[25:26], v[31:32]
	v_fma_f64 v[25:26], v[25:26], v[29:30], -v[33:34]
	v_fma_f64 v[27:28], v[27:28], v[29:30], v[31:32]
	v_add_f64 v[10:11], v[10:11], -v[25:26]
	v_add_f64 v[12:13], v[12:13], -v[27:28]
.LBB169_370:
	s_or_b64 exec, exec, s[8:9]
	s_barrier
	s_and_saveexec_b64 s[8:9], s[54:55]
; %bb.371:
	v_xor_b32_e32 v26, 0x80000000, v11
	v_xor_b32_e32 v28, 0x80000000, v13
	v_mov_b32_e32 v25, v10
	v_mov_b32_e32 v27, v12
	ds_write_b128 v24, v[25:28]
; %bb.372:
	s_or_b64 exec, exec, s[8:9]
	s_waitcnt lgkmcnt(0)
	s_barrier
	s_barrier
	s_and_saveexec_b64 s[8:9], s[12:13]
; %bb.373:
	v_lshlrev_b32_e32 v22, 4, v22
	v_lshl_or_b32 v22, v23, 9, v22
	ds_write_b128 v22, v[10:13] offset:4096
; %bb.374:
	s_or_b64 exec, exec, s[8:9]
	s_waitcnt lgkmcnt(0)
	s_barrier
	s_barrier
	s_and_saveexec_b64 s[8:9], vcc
	s_cbranch_execz .LBB169_376
; %bb.375:
	s_mov_b32 s12, 0
	s_mov_b32 s13, 0x3ff00000
	;; [unrolled: 1-line block ×4, first 2 shown]
	v_mov_b32_e32 v10, s12
	v_mov_b32_e32 v22, 0
	;; [unrolled: 1-line block ×5, first 2 shown]
	ds_write_b128 v22, v[10:13] offset:3168
	ds_write_b128 v22, v[10:13] offset:3696
.LBB169_376:
	s_or_b64 exec, exec, s[8:9]
	v_mov_b32_e32 v10, 0
	v_mov_b32_e32 v12, 0
	;; [unrolled: 1-line block ×4, first 2 shown]
	s_waitcnt lgkmcnt(0)
	s_barrier
	buffer_wbinvl1_vol
	s_and_saveexec_b64 s[10:11], s[0:1]
	s_cbranch_execz .LBB169_380
; %bb.377:
	v_lshlrev_b32_e32 v22, 4, v14
	v_lshlrev_b32_e32 v10, 9, v15
	ds_read_b128 v[10:13], v10 offset:3168
	ds_read_b128 v[22:25], v22 offset:3136
	v_cmp_gt_u32_e64 s[8:9], 2, v17
	s_waitcnt lgkmcnt(0)
	v_mul_f64 v[26:27], v[12:13], v[24:25]
	v_mul_f64 v[24:25], v[10:11], v[24:25]
	v_fma_f64 v[10:11], v[10:11], v[22:23], -v[26:27]
	v_fma_f64 v[12:13], v[12:13], v[22:23], v[24:25]
	v_add_f64 v[10:11], v[10:11], 0
	v_add_f64 v[12:13], v[12:13], 0
	s_and_saveexec_b64 s[12:13], s[8:9]
	s_cbranch_execz .LBB169_379
; %bb.378:
	v_lshlrev_b32_e32 v26, 4, v0
	v_mov_b32_e32 v22, 0
	ds_read_b128 v[22:25], v22 offset:3696
	ds_read_b128 v[26:29], v26 offset:3648
	s_waitcnt lgkmcnt(0)
	v_mul_f64 v[30:31], v[24:25], v[28:29]
	v_mul_f64 v[28:29], v[22:23], v[28:29]
	v_fma_f64 v[22:23], v[22:23], v[26:27], -v[30:31]
	v_fma_f64 v[24:25], v[24:25], v[26:27], v[28:29]
	v_add_f64 v[10:11], v[10:11], v[22:23]
	v_add_f64 v[12:13], v[12:13], v[24:25]
.LBB169_379:
	s_or_b64 exec, exec, s[12:13]
.LBB169_380:
	s_or_b64 exec, exec, s[10:11]
	s_and_saveexec_b64 s[8:9], s[40:41]
; %bb.381:
	v_xor_b32_e32 v23, 0x80000000, v11
	v_xor_b32_e32 v25, 0x80000000, v13
	v_mov_b32_e32 v22, v10
	v_mov_b32_e32 v24, v12
	ds_write_b128 v16, v[22:25]
; %bb.382:
	s_or_b64 exec, exec, s[8:9]
	s_waitcnt lgkmcnt(0)
	s_barrier
	s_and_saveexec_b64 s[8:9], s[38:39]
	s_cbranch_execz .LBB169_384
; %bb.383:
	v_mov_b32_e32 v26, 0
	ds_read_b128 v[22:25], v16
	ds_read_b128 v[26:29], v26 offset:2624
	s_waitcnt lgkmcnt(0)
	v_mul_f64 v[30:31], v[22:23], v[26:27]
	v_mul_f64 v[22:23], v[22:23], v[28:29]
	v_fma_f64 v[28:29], v[24:25], v[28:29], -v[30:31]
	v_fma_f64 v[22:23], v[24:25], v[26:27], v[22:23]
	v_add_f64 v[10:11], v[10:11], v[28:29]
	v_add_f64 v[12:13], v[12:13], -v[22:23]
.LBB169_384:
	s_or_b64 exec, exec, s[8:9]
	s_barrier
	s_and_saveexec_b64 s[8:9], s[38:39]
; %bb.385:
	v_xor_b32_e32 v23, 0x80000000, v11
	v_xor_b32_e32 v25, 0x80000000, v13
	v_mov_b32_e32 v22, v10
	v_mov_b32_e32 v24, v12
	ds_write_b128 v16, v[22:25]
; %bb.386:
	s_or_b64 exec, exec, s[8:9]
	s_waitcnt lgkmcnt(0)
	s_barrier
	s_barrier
	s_and_saveexec_b64 s[8:9], s[0:1]
; %bb.387:
	v_lshlrev_b32_e32 v22, 4, v14
	v_lshl_or_b32 v22, v15, 9, v22
	ds_write_b128 v22, v[10:13] offset:3136
; %bb.388:
	s_or_b64 exec, exec, s[8:9]
	s_waitcnt lgkmcnt(0)
	s_barrier
	s_barrier
	s_and_saveexec_b64 s[8:9], vcc
	s_cbranch_execz .LBB169_390
; %bb.389:
	s_mov_b32 s12, 0
	s_mov_b32 s13, 0x3ff00000
	;; [unrolled: 1-line block ×4, first 2 shown]
	v_mov_b32_e32 v10, s12
	v_mov_b32_e32 v22, 0
	;; [unrolled: 1-line block ×5, first 2 shown]
	ds_write_b128 v22, v[10:13] offset:2112
	ds_write_b128 v22, v[10:13] offset:2640
.LBB169_390:
	s_or_b64 exec, exec, s[8:9]
	v_mov_b32_e32 v12, 0
	v_mov_b32_e32 v10, 0
	;; [unrolled: 1-line block ×4, first 2 shown]
	s_waitcnt lgkmcnt(0)
	s_barrier
	buffer_wbinvl1_vol
	s_and_saveexec_b64 s[10:11], s[2:3]
	s_cbranch_execz .LBB169_396
; %bb.391:
	v_lshlrev_b32_e32 v23, 9, v19
	v_lshlrev_b32_e32 v22, 4, v18
	ds_read_b128 v[10:13], v23 offset:2112
	ds_read_b128 v[24:27], v22 offset:2048
	v_cmp_gt_u32_e64 s[8:9], 12, v17
	s_waitcnt lgkmcnt(0)
	v_mul_f64 v[28:29], v[12:13], v[26:27]
	v_mul_f64 v[26:27], v[10:11], v[26:27]
	v_fma_f64 v[10:11], v[10:11], v[24:25], -v[28:29]
	v_fma_f64 v[12:13], v[12:13], v[24:25], v[26:27]
	v_add_f64 v[10:11], v[10:11], 0
	v_add_f64 v[12:13], v[12:13], 0
	s_and_saveexec_b64 s[12:13], s[8:9]
	s_cbranch_execnz .LBB169_509
; %bb.392:
	s_or_b64 exec, exec, s[12:13]
	v_cmp_gt_u32_e64 s[8:9], 8, v17
	s_and_saveexec_b64 s[12:13], s[8:9]
	s_cbranch_execnz .LBB169_510
.LBB169_393:
	s_or_b64 exec, exec, s[12:13]
	v_cmp_gt_u32_e64 s[8:9], 4, v17
	s_and_saveexec_b64 s[12:13], s[8:9]
	s_cbranch_execz .LBB169_395
.LBB169_394:
	v_lshlrev_b32_e32 v26, 4, v0
	v_mov_b32_e32 v22, 0
	ds_read_b128 v[22:25], v22 offset:3696
	ds_read_b128 v[26:29], v26 offset:3584
	s_waitcnt lgkmcnt(0)
	v_mul_f64 v[30:31], v[24:25], v[28:29]
	v_mul_f64 v[28:29], v[22:23], v[28:29]
	v_fma_f64 v[22:23], v[22:23], v[26:27], -v[30:31]
	v_fma_f64 v[24:25], v[24:25], v[26:27], v[28:29]
	v_add_f64 v[10:11], v[10:11], v[22:23]
	v_add_f64 v[12:13], v[12:13], v[24:25]
.LBB169_395:
	s_or_b64 exec, exec, s[12:13]
.LBB169_396:
	s_or_b64 exec, exec, s[10:11]
	s_and_saveexec_b64 s[8:9], s[44:45]
; %bb.397:
	v_xor_b32_e32 v25, 0x80000000, v13
	v_xor_b32_e32 v23, 0x80000000, v11
	v_mov_b32_e32 v22, v10
	v_mov_b32_e32 v24, v12
	ds_write_b128 v20, v[22:25]
; %bb.398:
	s_or_b64 exec, exec, s[8:9]
	s_waitcnt lgkmcnt(0)
	s_barrier
	s_and_saveexec_b64 s[8:9], s[46:47]
	s_cbranch_execz .LBB169_400
; %bb.399:
	v_lshlrev_b32_e32 v26, 4, v18
	ds_read_b128 v[22:25], v20
	ds_read_b128 v[26:29], v26 offset:1536
	s_waitcnt lgkmcnt(0)
	v_mul_f64 v[30:31], v[24:25], v[28:29]
	v_mul_f64 v[28:29], v[22:23], v[28:29]
	v_fma_f64 v[22:23], v[22:23], v[26:27], -v[30:31]
	v_fma_f64 v[24:25], v[24:25], v[26:27], v[28:29]
	v_add_f64 v[10:11], v[10:11], -v[22:23]
	v_add_f64 v[12:13], v[12:13], -v[24:25]
.LBB169_400:
	s_or_b64 exec, exec, s[8:9]
	s_barrier
	s_and_saveexec_b64 s[8:9], s[48:49]
; %bb.401:
	v_xor_b32_e32 v25, 0x80000000, v13
	v_xor_b32_e32 v23, 0x80000000, v11
	v_mov_b32_e32 v22, v10
	v_mov_b32_e32 v24, v12
	ds_write_b128 v20, v[22:25]
; %bb.402:
	s_or_b64 exec, exec, s[8:9]
	s_waitcnt lgkmcnt(0)
	s_barrier
	s_and_saveexec_b64 s[8:9], s[50:51]
	s_cbranch_execz .LBB169_404
; %bb.403:
	v_lshlrev_b32_e32 v26, 4, v18
	ds_read_b128 v[22:25], v20
	ds_read_b128 v[26:29], v26 offset:1024
	s_waitcnt lgkmcnt(0)
	v_mul_f64 v[30:31], v[24:25], v[28:29]
	v_mul_f64 v[28:29], v[22:23], v[28:29]
	v_fma_f64 v[22:23], v[22:23], v[26:27], -v[30:31]
	v_fma_f64 v[24:25], v[24:25], v[26:27], v[28:29]
	v_add_f64 v[10:11], v[10:11], -v[22:23]
	v_add_f64 v[12:13], v[12:13], -v[24:25]
.LBB169_404:
	s_or_b64 exec, exec, s[8:9]
	s_barrier
	s_and_saveexec_b64 s[8:9], s[52:53]
; %bb.405:
	v_xor_b32_e32 v25, 0x80000000, v13
	v_xor_b32_e32 v23, 0x80000000, v11
	v_mov_b32_e32 v22, v10
	v_mov_b32_e32 v24, v12
	ds_write_b128 v20, v[22:25]
; %bb.406:
	s_or_b64 exec, exec, s[8:9]
	s_waitcnt lgkmcnt(0)
	s_barrier
	s_and_saveexec_b64 s[8:9], s[42:43]
	s_cbranch_execz .LBB169_408
; %bb.407:
	v_mov_b32_e32 v26, 0
	ds_read_b128 v[22:25], v20
	ds_read_b128 v[26:29], v26 offset:512
	s_waitcnt lgkmcnt(0)
	v_mul_f64 v[30:31], v[24:25], v[28:29]
	v_mul_f64 v[28:29], v[22:23], v[28:29]
	v_fma_f64 v[22:23], v[22:23], v[26:27], -v[30:31]
	v_fma_f64 v[24:25], v[24:25], v[26:27], v[28:29]
	v_add_f64 v[10:11], v[10:11], -v[22:23]
	v_add_f64 v[12:13], v[12:13], -v[24:25]
.LBB169_408:
	s_or_b64 exec, exec, s[8:9]
	s_barrier
	s_and_saveexec_b64 s[8:9], s[42:43]
; %bb.409:
	v_xor_b32_e32 v25, 0x80000000, v13
	v_xor_b32_e32 v23, 0x80000000, v11
	v_mov_b32_e32 v22, v10
	v_mov_b32_e32 v24, v12
	ds_write_b128 v20, v[22:25]
; %bb.410:
	s_or_b64 exec, exec, s[8:9]
	s_waitcnt lgkmcnt(0)
	s_barrier
	s_barrier
	s_and_saveexec_b64 s[8:9], s[2:3]
; %bb.411:
	v_lshlrev_b32_e32 v18, 4, v18
	v_lshl_or_b32 v18, v19, 9, v18
	ds_write_b128 v18, v[10:13] offset:2048
; %bb.412:
	s_or_b64 exec, exec, s[8:9]
	s_waitcnt lgkmcnt(0)
	s_barrier
	s_barrier
	s_and_saveexec_b64 s[2:3], vcc
	s_cbranch_execz .LBB169_414
; %bb.413:
	s_mov_b32 s8, 0
	s_mov_b32 s11, s8
	;; [unrolled: 1-line block ×4, first 2 shown]
	v_mov_b32_e32 v13, s11
	v_mov_b32_e32 v18, 0
	;; [unrolled: 1-line block ×5, first 2 shown]
	ds_write_b128 v18, v[10:13] offset:1056
	ds_write_b128 v18, v[10:13] offset:1584
.LBB169_414:
	s_or_b64 exec, exec, s[2:3]
	v_mov_b32_e32 v10, 0
	v_mov_b32_e32 v12, 0
	;; [unrolled: 1-line block ×4, first 2 shown]
	s_waitcnt lgkmcnt(0)
	s_barrier
	buffer_wbinvl1_vol
	s_and_saveexec_b64 s[8:9], s[0:1]
	s_cbranch_execz .LBB169_418
; %bb.415:
	v_lshlrev_b32_e32 v10, 9, v15
	v_lshlrev_b32_e32 v18, 4, v14
	ds_read_b128 v[10:13], v10 offset:1056
	ds_read_b128 v[22:25], v18 offset:1024
	v_cmp_gt_u32_e64 s[2:3], 2, v17
	s_waitcnt lgkmcnt(0)
	v_mul_f64 v[18:19], v[12:13], v[24:25]
	v_mul_f64 v[24:25], v[10:11], v[24:25]
	v_fma_f64 v[10:11], v[10:11], v[22:23], -v[18:19]
	v_fma_f64 v[12:13], v[12:13], v[22:23], v[24:25]
	v_add_f64 v[10:11], v[10:11], 0
	v_add_f64 v[12:13], v[12:13], 0
	s_and_saveexec_b64 s[10:11], s[2:3]
	s_cbranch_execz .LBB169_417
; %bb.416:
	v_lshlrev_b32_e32 v22, 4, v0
	v_mov_b32_e32 v17, 0
	ds_read_b128 v[17:20], v17 offset:1584
	ds_read_b128 v[22:25], v22 offset:1536
	s_waitcnt lgkmcnt(0)
	v_mul_f64 v[26:27], v[19:20], v[24:25]
	v_mul_f64 v[24:25], v[17:18], v[24:25]
	v_fma_f64 v[17:18], v[17:18], v[22:23], -v[26:27]
	v_fma_f64 v[19:20], v[19:20], v[22:23], v[24:25]
	v_add_f64 v[10:11], v[10:11], v[17:18]
	v_add_f64 v[12:13], v[12:13], v[19:20]
.LBB169_417:
	s_or_b64 exec, exec, s[10:11]
.LBB169_418:
	s_or_b64 exec, exec, s[8:9]
	s_and_saveexec_b64 s[2:3], s[40:41]
; %bb.419:
	v_xor_b32_e32 v18, 0x80000000, v11
	v_xor_b32_e32 v20, 0x80000000, v13
	v_mov_b32_e32 v17, v10
	v_mov_b32_e32 v19, v12
	ds_write_b128 v16, v[17:20]
; %bb.420:
	s_or_b64 exec, exec, s[2:3]
	s_waitcnt lgkmcnt(0)
	s_barrier
	s_and_saveexec_b64 s[2:3], s[38:39]
	s_cbranch_execz .LBB169_422
; %bb.421:
	v_mov_b32_e32 v22, 0
	ds_read_b128 v[17:20], v16
	ds_read_b128 v[22:25], v22 offset:512
	s_waitcnt lgkmcnt(0)
	v_mul_f64 v[26:27], v[17:18], v[22:23]
	v_mul_f64 v[17:18], v[17:18], v[24:25]
	v_fma_f64 v[24:25], v[19:20], v[24:25], -v[26:27]
	v_fma_f64 v[17:18], v[19:20], v[22:23], v[17:18]
	v_add_f64 v[10:11], v[10:11], v[24:25]
	v_add_f64 v[12:13], v[12:13], -v[17:18]
.LBB169_422:
	s_or_b64 exec, exec, s[2:3]
	s_barrier
	s_and_saveexec_b64 s[2:3], s[38:39]
; %bb.423:
	v_xor_b32_e32 v18, 0x80000000, v11
	v_xor_b32_e32 v20, 0x80000000, v13
	v_mov_b32_e32 v17, v10
	v_mov_b32_e32 v19, v12
	ds_write_b128 v16, v[17:20]
; %bb.424:
	s_or_b64 exec, exec, s[2:3]
	s_waitcnt lgkmcnt(0)
	s_barrier
	s_barrier
	s_and_saveexec_b64 s[2:3], s[0:1]
; %bb.425:
	v_lshlrev_b32_e32 v14, 4, v14
	v_lshl_or_b32 v14, v15, 9, v14
	ds_write_b128 v14, v[10:13] offset:1024
; %bb.426:
	s_or_b64 exec, exec, s[2:3]
	s_waitcnt lgkmcnt(0)
	s_barrier
	s_barrier
	s_and_saveexec_b64 s[0:1], vcc
	s_cbranch_execz .LBB169_428
; %bb.427:
	s_mov_b32 s8, 0
	s_mov_b32 s11, s8
	;; [unrolled: 1-line block ×4, first 2 shown]
	v_mov_b32_e32 v13, s11
	v_mov_b32_e32 v14, 0
	;; [unrolled: 1-line block ×5, first 2 shown]
	ds_write_b128 v14, v[10:13]
	ds_write_b128 v14, v[10:13] offset:528
.LBB169_428:
	s_or_b64 exec, exec, s[0:1]
.LBB169_429:
	s_lshl_b64 s[0:1], s[16:17], 4
	s_add_u32 s34, s34, s0
	v_cmp_le_i32_e32 vcc, s86, v0
	v_mov_b32_e32 v10, 0
	s_addc_u32 s35, s35, s1
	s_and_b64 s[14:15], vcc, s[30:31]
	v_mov_b32_e32 v11, 0
	v_cmp_eq_u32_e64 s[0:1], 0, v1
	s_xor_b64 s[2:3], s[14:15], -1
	v_mov_b32_e32 v13, v11
	s_and_b64 s[8:9], s[0:1], s[2:3]
	v_lshl_add_u32 v15, s33, 5, v0
	v_mov_b32_e32 v12, v10
	s_waitcnt lgkmcnt(0)
	s_barrier
	s_and_saveexec_b64 s[2:3], s[8:9]
	s_cbranch_execz .LBB169_431
; %bb.430:
	v_ashrrev_i32_e32 v12, 31, v15
	v_mul_lo_u32 v13, s19, v15
	v_mad_u64_u32 v[10:11], s[8:9], s18, v15, 0
	v_mul_lo_u32 v12, s18, v12
	v_add3_u32 v11, v11, v12, v13
	v_lshlrev_b64 v[10:11], 4, v[10:11]
	v_mov_b32_e32 v12, s35
	v_add_co_u32_e32 v10, vcc, s34, v10
	v_addc_co_u32_e32 v11, vcc, v12, v11, vcc
	flat_load_dwordx4 v[16:19], v[10:11]
	s_waitcnt vmcnt(0) lgkmcnt(0)
	v_mul_f64 v[10:11], s[20:21], v[16:17]
	v_mul_f64 v[12:13], s[20:21], v[18:19]
	v_fma_f64 v[10:11], s[22:23], v[18:19], -v[10:11]
	v_fma_f64 v[12:13], v[16:17], -s[22:23], -v[12:13]
.LBB169_431:
	s_or_b64 exec, exec, s[2:3]
	s_load_dwordx2 s[12:13], s[4:5], 0x50
	s_and_b32 s2, 0xffff, s89
	v_mad_u32_u24 v22, v1, s2, v0
	v_mov_b32_e32 v14, 0
	s_cmp_lt_i32 s6, 1
	v_cmp_eq_u32_e64 s[2:3], 0, v22
	s_cbranch_scc1 .LBB169_454
; %bb.432:
	v_ashrrev_i32_e32 v16, 31, v15
	v_cmp_gt_i32_e64 s[10:11], s26, v15
	v_lshlrev_b64 v[15:16], 4, v[15:16]
	s_lshl_b64 s[4:5], s[24:25], 2
	v_mov_b32_e32 v17, 0x6000
	s_waitcnt lgkmcnt(0)
	s_add_u32 s16, s12, s4
	v_lshl_add_u32 v23, v22, 4, v17
	v_lshl_or_b32 v24, v1, 4, v17
	v_mov_b32_e32 v17, s88
	v_add_co_u32_e32 v25, vcc, s87, v15
	s_mov_b32 s38, 0
	s_addc_u32 s17, s13, s5
	v_cmp_gt_u32_e64 s[4:5], 32, v22
	s_add_i32 s39, s33, 1
	v_addc_co_u32_e32 v26, vcc, v17, v16, vcc
	s_lshl_b64 s[20:21], s[28:29], 8
	v_mov_b32_e32 v27, -1
	s_branch .LBB169_435
.LBB169_433:                            ;   in Loop: Header=BB169_435 Depth=1
	ds_read_b128 v[28:31], v24 offset:256
	s_waitcnt vmcnt(0) lgkmcnt(0)
	v_mul_f64 v[17:18], v[19:20], v[30:31]
	v_mul_f64 v[30:31], v[15:16], v[30:31]
	v_fma_f64 v[15:16], v[15:16], v[28:29], -v[17:18]
	v_fma_f64 v[17:18], v[19:20], v[28:29], v[30:31]
	v_add_f64 v[10:11], v[10:11], v[15:16]
	v_add_f64 v[12:13], v[12:13], v[17:18]
.LBB169_434:                            ;   in Loop: Header=BB169_435 Depth=1
	s_or_b64 exec, exec, s[22:23]
	s_add_i32 s38, s38, 1
	s_cmp_eq_u32 s38, s6
	s_cbranch_scc1 .LBB169_454
.LBB169_435:                            ; =>This Loop Header: Depth=1
                                        ;     Child Loop BB169_437 Depth 2
	v_cmp_gt_i32_e32 vcc, s38, v27
	s_and_b64 s[22:23], s[2:3], vcc
	s_and_saveexec_b64 s[8:9], s[22:23]
	s_cbranch_execz .LBB169_438
; %bb.436:                              ;   in Loop: Header=BB169_435 Depth=1
	global_load_dword v27, v14, s[16:17]
	s_waitcnt vmcnt(0)
	v_cmp_le_i32_e32 vcc, s38, v27
	s_cbranch_vccnz .LBB169_438
.LBB169_437:                            ;   Parent Loop BB169_435 Depth=1
                                        ; =>  This Inner Loop Header: Depth=2
	buffer_wbinvl1_vol
	global_load_dword v27, v14, s[16:17]
	s_waitcnt vmcnt(0)
	v_cmp_gt_i32_e32 vcc, s38, v27
	s_cbranch_vccnz .LBB169_437
.LBB169_438:                            ;   in Loop: Header=BB169_435 Depth=1
	s_or_b64 exec, exec, s[8:9]
	s_sub_i32 s40, s7, s38
	s_lshl_b32 s41, s40, 5
	buffer_wbinvl1_vol
	s_barrier
	s_and_saveexec_b64 s[8:9], s[4:5]
	s_cbranch_execz .LBB169_443
; %bb.439:                              ;   in Loop: Header=BB169_435 Depth=1
	s_ashr_i32 s22, s41, 31
	v_mov_b32_e32 v16, s22
	v_or_b32_e32 v15, s41, v22
	v_cmp_le_i64_e32 vcc, s[26:27], v[15:16]
	s_and_saveexec_b64 s[22:23], vcc
	s_xor_b64 s[22:23], exec, s[22:23]
; %bb.440:                              ;   in Loop: Header=BB169_435 Depth=1
	v_mov_b32_e32 v15, v14
	v_mov_b32_e32 v16, v14
	;; [unrolled: 1-line block ×3, first 2 shown]
	ds_write_b128 v23, v[14:17]
                                        ; implicit-def: $vgpr15_vgpr16
; %bb.441:                              ;   in Loop: Header=BB169_435 Depth=1
	s_andn2_saveexec_b64 s[22:23], s[22:23]
	s_cbranch_execz .LBB169_443
; %bb.442:                              ;   in Loop: Header=BB169_435 Depth=1
	v_mul_lo_u32 v17, v16, s18
	v_mul_lo_u32 v18, v15, s19
	v_mad_u64_u32 v[15:16], s[22:23], v15, s18, 0
	v_add3_u32 v16, v16, v18, v17
	v_lshlrev_b64 v[15:16], 4, v[15:16]
	v_mov_b32_e32 v17, s35
	v_add_co_u32_e32 v15, vcc, s34, v15
	v_addc_co_u32_e32 v16, vcc, v17, v16, vcc
	flat_load_dwordx4 v[15:18], v[15:16]
	s_waitcnt vmcnt(0) lgkmcnt(0)
	ds_write2_b64 v23, v[15:16], v[17:18] offset1:1
.LBB169_443:                            ;   in Loop: Header=BB169_435 Depth=1
	s_or_b64 exec, exec, s[8:9]
	v_add_u32_e32 v28, s41, v1
	v_ashrrev_i32_e32 v17, 31, v28
	v_mul_lo_u32 v18, s29, v28
	v_mad_u64_u32 v[15:16], s[8:9], s28, v28, 0
	v_mul_lo_u32 v17, s28, v17
	s_cmp_lg_u32 s40, s39
	s_cselect_b64 s[8:9], -1, 0
	s_waitcnt lgkmcnt(0)
	v_add3_u32 v16, v16, v17, v18
	v_lshlrev_b64 v[15:16], 4, v[15:16]
	v_cndmask_b32_e64 v17, 0, 1, s[8:9]
	v_add_co_u32_e32 v15, vcc, v25, v15
	v_addc_co_u32_e32 v16, vcc, v26, v16, vcc
	v_cmp_gt_i32_e32 vcc, s26, v28
	s_and_b64 s[40:41], s[10:11], vcc
	v_cmp_ne_u32_e64 s[8:9], 1, v17
	s_barrier
	s_and_saveexec_b64 s[22:23], s[40:41]
	s_cbranch_execz .LBB169_449
; %bb.444:                              ;   in Loop: Header=BB169_435 Depth=1
	v_mov_b32_e32 v18, v3
	s_and_b64 vcc, exec, s[8:9]
	v_mov_b32_e32 v17, v2
	s_cbranch_vccnz .LBB169_446
; %bb.445:                              ;   in Loop: Header=BB169_435 Depth=1
	flat_load_dwordx2 v[17:18], v[15:16]
.LBB169_446:                            ;   in Loop: Header=BB169_435 Depth=1
	v_mov_b32_e32 v20, v5
	s_and_b64 vcc, exec, s[8:9]
	v_mov_b32_e32 v19, v4
	s_cbranch_vccnz .LBB169_448
; %bb.447:                              ;   in Loop: Header=BB169_435 Depth=1
	flat_load_dwordx2 v[19:20], v[15:16] offset:8
.LBB169_448:                            ;   in Loop: Header=BB169_435 Depth=1
	ds_read_b128 v[29:32], v24
	s_waitcnt vmcnt(0) lgkmcnt(0)
	v_mul_f64 v[33:34], v[19:20], v[31:32]
	v_mul_f64 v[31:32], v[17:18], v[31:32]
	v_fma_f64 v[17:18], v[17:18], v[29:30], -v[33:34]
	v_fma_f64 v[19:20], v[19:20], v[29:30], v[31:32]
	v_add_f64 v[10:11], v[10:11], v[17:18]
	v_add_f64 v[12:13], v[12:13], v[19:20]
.LBB169_449:                            ;   in Loop: Header=BB169_435 Depth=1
	s_or_b64 exec, exec, s[22:23]
	v_add_u32_e32 v17, 16, v28
	v_cmp_gt_i32_e32 vcc, s26, v17
	s_and_b64 s[40:41], s[10:11], vcc
	s_and_saveexec_b64 s[22:23], s[40:41]
	s_cbranch_execz .LBB169_434
; %bb.450:                              ;   in Loop: Header=BB169_435 Depth=1
	v_mov_b32_e32 v18, s21
	v_add_co_u32_e32 v17, vcc, s20, v15
	v_addc_co_u32_e32 v18, vcc, v16, v18, vcc
	v_mov_b32_e32 v16, v7
	s_and_b64 vcc, exec, s[8:9]
	v_mov_b32_e32 v15, v6
	s_cbranch_vccnz .LBB169_452
; %bb.451:                              ;   in Loop: Header=BB169_435 Depth=1
	flat_load_dwordx2 v[15:16], v[17:18]
.LBB169_452:                            ;   in Loop: Header=BB169_435 Depth=1
	v_mov_b32_e32 v20, v9
	s_and_b64 vcc, exec, s[8:9]
	v_mov_b32_e32 v19, v8
	s_cbranch_vccnz .LBB169_433
; %bb.453:                              ;   in Loop: Header=BB169_435 Depth=1
	flat_load_dwordx2 v[19:20], v[17:18] offset:8
	s_branch .LBB169_433
.LBB169_454:
	s_xor_b64 s[2:3], s[30:31], -1
	s_xor_b64 s[4:5], s[36:37], -1
	v_lshlrev_b32_e32 v6, 4, v21
	ds_write_b128 v6, v[10:13] offset:16384
	s_waitcnt lgkmcnt(0)
	s_barrier
	s_and_saveexec_b64 s[6:7], s[0:1]
	s_cbranch_execz .LBB169_456
; %bb.455:
	v_lshlrev_b32_e32 v18, 4, v0
	ds_read_b128 v[2:5], v18 offset:16896
	ds_read_b128 v[14:17], v18 offset:17408
	s_waitcnt lgkmcnt(1)
	v_add_f64 v[2:3], v[10:11], v[2:3]
	v_add_f64 v[4:5], v[12:13], v[4:5]
	s_waitcnt lgkmcnt(0)
	v_add_f64 v[11:12], v[2:3], v[14:15]
	v_add_f64 v[13:14], v[4:5], v[16:17]
	ds_read_b128 v[2:5], v18 offset:17920
	ds_read_b128 v[7:10], v18 offset:18432
	s_waitcnt lgkmcnt(1)
	v_add_f64 v[2:3], v[11:12], v[2:3]
	v_add_f64 v[4:5], v[13:14], v[4:5]
	s_waitcnt lgkmcnt(0)
	v_add_f64 v[11:12], v[2:3], v[7:8]
	v_add_f64 v[13:14], v[4:5], v[9:10]
	ds_read_b128 v[2:5], v18 offset:18944
	ds_read_b128 v[7:10], v18 offset:19456
	s_waitcnt lgkmcnt(1)
	v_add_f64 v[2:3], v[11:12], v[2:3]
	v_add_f64 v[4:5], v[13:14], v[4:5]
	s_waitcnt lgkmcnt(0)
	v_add_f64 v[11:12], v[2:3], v[7:8]
	v_add_f64 v[13:14], v[4:5], v[9:10]
	ds_read_b128 v[2:5], v18 offset:19968
	ds_read_b128 v[7:10], v18 offset:20480
	s_waitcnt lgkmcnt(1)
	v_add_f64 v[2:3], v[11:12], v[2:3]
	v_add_f64 v[4:5], v[13:14], v[4:5]
	s_waitcnt lgkmcnt(0)
	v_add_f64 v[11:12], v[2:3], v[7:8]
	v_add_f64 v[13:14], v[4:5], v[9:10]
	ds_read_b128 v[2:5], v18 offset:20992
	ds_read_b128 v[7:10], v18 offset:21504
	s_waitcnt lgkmcnt(1)
	v_add_f64 v[2:3], v[11:12], v[2:3]
	v_add_f64 v[4:5], v[13:14], v[4:5]
	s_waitcnt lgkmcnt(0)
	v_add_f64 v[11:12], v[2:3], v[7:8]
	v_add_f64 v[13:14], v[4:5], v[9:10]
	ds_read_b128 v[2:5], v18 offset:22016
	ds_read_b128 v[7:10], v18 offset:22528
	s_waitcnt lgkmcnt(1)
	v_add_f64 v[2:3], v[11:12], v[2:3]
	v_add_f64 v[4:5], v[13:14], v[4:5]
	s_waitcnt lgkmcnt(0)
	v_add_f64 v[11:12], v[2:3], v[7:8]
	v_add_f64 v[13:14], v[4:5], v[9:10]
	ds_read_b128 v[2:5], v18 offset:23040
	ds_read_b128 v[7:10], v18 offset:23552
	s_waitcnt lgkmcnt(1)
	v_add_f64 v[2:3], v[11:12], v[2:3]
	v_add_f64 v[4:5], v[13:14], v[4:5]
	s_waitcnt lgkmcnt(0)
	v_add_f64 v[7:8], v[2:3], v[7:8]
	v_add_f64 v[9:10], v[4:5], v[9:10]
	ds_read_b128 v[2:5], v18 offset:24064
	s_waitcnt lgkmcnt(0)
	v_add_f64 v[2:3], v[7:8], v[2:3]
	v_add_f64 v[4:5], v[9:10], v[4:5]
	v_xor_b32_e32 v3, 0x80000000, v3
	v_xor_b32_e32 v5, 0x80000000, v5
	v_cndmask_b32_e64 v10, v2, 0, s[14:15]
	v_cndmask_b32_e64 v11, v3, 0, s[14:15]
	;; [unrolled: 1-line block ×4, first 2 shown]
.LBB169_456:
	s_or_b64 exec, exec, s[6:7]
	s_andn2_b64 vcc, exec, s[4:5]
	s_cbranch_vccnz .LBB169_465
; %bb.457:
	v_mov_b32_e32 v2, 0x6000
	v_lshl_or_b32 v7, v1, 4, v2
	s_and_saveexec_b64 s[4:5], s[0:1]
; %bb.458:
	v_lshl_add_u32 v2, v0, 4, v7
	ds_write_b128 v2, v[10:13]
; %bb.459:
	s_or_b64 exec, exec, s[4:5]
	v_mov_b32_e32 v2, 0
	v_mov_b32_e32 v4, 0
	;; [unrolled: 1-line block ×4, first 2 shown]
	v_cmp_le_u32_e32 vcc, v0, v1
	s_waitcnt lgkmcnt(0)
	s_barrier
	s_and_saveexec_b64 s[4:5], vcc
	s_cbranch_execz .LBB169_461
; %bb.460:
	ds_read_b128 v[2:5], v7
	ds_read_b128 v[14:17], v6
	s_waitcnt lgkmcnt(0)
	v_mul_f64 v[8:9], v[4:5], v[16:17]
	v_mul_f64 v[16:17], v[2:3], v[16:17]
	v_fma_f64 v[2:3], v[2:3], v[14:15], -v[8:9]
	v_fma_f64 v[4:5], v[4:5], v[14:15], v[16:17]
	v_add_f64 v[2:3], v[2:3], 0
	v_add_f64 v[4:5], v[4:5], 0
.LBB169_461:
	s_or_b64 exec, exec, s[4:5]
	v_add_u32_e32 v1, 16, v1
	v_add_u32_e32 v8, 0x4000, v6
	v_cmp_le_u32_e32 vcc, v0, v1
	s_and_saveexec_b64 s[4:5], vcc
	s_cbranch_execz .LBB169_463
; %bb.462:
	ds_read_b128 v[14:17], v7 offset:256
	ds_read_b128 v[18:21], v6 offset:8192
	s_waitcnt lgkmcnt(0)
	v_mul_f64 v[6:7], v[16:17], v[20:21]
	v_mul_f64 v[20:21], v[14:15], v[20:21]
	v_fma_f64 v[6:7], v[14:15], v[18:19], -v[6:7]
	v_fma_f64 v[14:15], v[16:17], v[18:19], v[20:21]
	v_add_f64 v[2:3], v[2:3], v[6:7]
	v_add_f64 v[4:5], v[4:5], v[14:15]
.LBB169_463:
	s_or_b64 exec, exec, s[4:5]
	s_mov_b64 s[6:7], 0
	s_mov_b64 s[4:5], 0
	ds_write_b128 v8, v[2:5]
	s_waitcnt lgkmcnt(0)
	s_barrier
                                        ; implicit-def: $vgpr6_vgpr7
                                        ; implicit-def: $vgpr8_vgpr9
	s_and_saveexec_b64 s[8:9], s[0:1]
	s_cbranch_execz .LBB169_483
; %bb.464:
	v_lshlrev_b32_e32 v18, 4, v0
	ds_read_b128 v[6:9], v18 offset:16896
	ds_read_b128 v[14:17], v18 offset:17408
	s_mov_b64 s[4:5], exec
	s_waitcnt lgkmcnt(1)
	v_add_f64 v[1:2], v[2:3], v[6:7]
	v_add_f64 v[3:4], v[4:5], v[8:9]
	s_waitcnt lgkmcnt(0)
	v_add_f64 v[14:15], v[1:2], v[14:15]
	v_add_f64 v[16:17], v[3:4], v[16:17]
	ds_read_b128 v[1:4], v18 offset:17920
	ds_read_b128 v[5:8], v18 offset:18432
	s_waitcnt lgkmcnt(1)
	v_add_f64 v[1:2], v[14:15], v[1:2]
	v_add_f64 v[3:4], v[16:17], v[3:4]
	s_waitcnt lgkmcnt(0)
	v_add_f64 v[14:15], v[1:2], v[5:6]
	v_add_f64 v[16:17], v[3:4], v[7:8]
	ds_read_b128 v[1:4], v18 offset:18944
	ds_read_b128 v[5:8], v18 offset:19456
	;; [unrolled: 8-line block ×6, first 2 shown]
	s_waitcnt lgkmcnt(1)
	v_add_f64 v[1:2], v[14:15], v[1:2]
	v_add_f64 v[3:4], v[16:17], v[3:4]
	s_waitcnt lgkmcnt(0)
	v_add_f64 v[5:6], v[1:2], v[5:6]
	v_add_f64 v[14:15], v[3:4], v[7:8]
	ds_read_b128 v[1:4], v18 offset:24064
	s_waitcnt lgkmcnt(0)
	v_add_f64 v[8:9], v[5:6], v[1:2]
	v_add_f64 v[6:7], v[14:15], v[3:4]
	s_or_b64 exec, exec, s[8:9]
	s_and_b64 vcc, exec, s[6:7]
	s_cbranch_vccnz .LBB169_466
	s_branch .LBB169_484
.LBB169_465:
	s_mov_b64 s[4:5], 0
                                        ; implicit-def: $vgpr6_vgpr7
                                        ; implicit-def: $vgpr8_vgpr9
	s_cbranch_execz .LBB169_484
.LBB169_466:
	v_mov_b32_e32 v1, 0x3c00
	v_lshl_add_u32 v1, v0, 4, v1
	v_mov_b32_e32 v3, 31
	v_mov_b32_e32 v2, 0
	s_branch .LBB169_468
.LBB169_467:                            ;   in Loop: Header=BB169_468 Depth=1
	s_or_b64 exec, exec, s[6:7]
	v_subrev_co_u32_e32 v3, vcc, 1, v3
	s_andn2_b64 vcc, exec, vcc
	v_add_u32_e32 v1, 0xfffffc00, v1
	s_barrier
	s_cbranch_vccz .LBB169_476
.LBB169_468:                            ; =>This Inner Loop Header: Depth=1
	v_cmp_eq_u32_e32 vcc, v0, v3
	s_and_b64 s[8:9], s[0:1], vcc
	s_and_saveexec_b64 s[6:7], s[8:9]
; %bb.469:                              ;   in Loop: Header=BB169_468 Depth=1
	ds_write_b128 v2, v[10:13] offset:25088
; %bb.470:                              ;   in Loop: Header=BB169_468 Depth=1
	s_or_b64 exec, exec, s[6:7]
	v_cmp_lt_u32_e32 vcc, v0, v3
	s_and_b64 s[8:9], s[0:1], vcc
	s_waitcnt lgkmcnt(0)
	s_barrier
	s_and_saveexec_b64 s[6:7], s[8:9]
	s_cbranch_execz .LBB169_472
; %bb.471:                              ;   in Loop: Header=BB169_468 Depth=1
	ds_read_b128 v[4:7], v2 offset:25088
	ds_read_b128 v[14:17], v1 offset:512
	s_waitcnt lgkmcnt(0)
	v_mul_f64 v[8:9], v[6:7], v[16:17]
	v_mul_f64 v[16:17], v[4:5], v[16:17]
	v_fma_f64 v[4:5], v[4:5], v[14:15], -v[8:9]
	v_fma_f64 v[6:7], v[6:7], v[14:15], v[16:17]
	v_add_f64 v[10:11], v[10:11], v[4:5]
	v_add_f64 v[12:13], v[12:13], v[6:7]
.LBB169_472:                            ;   in Loop: Header=BB169_468 Depth=1
	s_or_b64 exec, exec, s[6:7]
	v_add_u32_e32 v3, -1, v3
	v_cmp_eq_u32_e32 vcc, v0, v3
	s_and_b64 s[8:9], s[0:1], vcc
	s_barrier
	s_and_saveexec_b64 s[6:7], s[8:9]
; %bb.473:                              ;   in Loop: Header=BB169_468 Depth=1
	ds_write_b128 v2, v[10:13] offset:25088
; %bb.474:                              ;   in Loop: Header=BB169_468 Depth=1
	s_or_b64 exec, exec, s[6:7]
	v_cmp_lt_u32_e32 vcc, v0, v3
	s_and_b64 s[8:9], s[0:1], vcc
	s_waitcnt lgkmcnt(0)
	s_barrier
	s_and_saveexec_b64 s[6:7], s[8:9]
	s_cbranch_execz .LBB169_467
; %bb.475:                              ;   in Loop: Header=BB169_468 Depth=1
	ds_read_b128 v[4:7], v2 offset:25088
	ds_read_b128 v[14:17], v1
	s_waitcnt lgkmcnt(0)
	v_mul_f64 v[8:9], v[6:7], v[16:17]
	v_mul_f64 v[16:17], v[4:5], v[16:17]
	v_fma_f64 v[4:5], v[4:5], v[14:15], -v[8:9]
	v_fma_f64 v[6:7], v[6:7], v[14:15], v[16:17]
	v_add_f64 v[10:11], v[10:11], v[4:5]
	v_add_f64 v[12:13], v[12:13], v[6:7]
	s_branch .LBB169_467
.LBB169_476:
	s_mov_b64 s[6:7], -1
	s_and_b64 vcc, exec, s[2:3]
	s_cbranch_vccnz .LBB169_485
; %bb.477:
	s_andn2_b64 vcc, exec, s[6:7]
	s_cbranch_vccz .LBB169_486
.LBB169_478:
	s_and_saveexec_b64 s[0:1], s[4:5]
	s_cbranch_execz .LBB169_480
.LBB169_479:
	s_lshl_b32 s2, s33, 5
	s_ashr_i32 s3, s2, 31
	v_mov_b32_e32 v0, s3
	v_add_co_u32_e32 v1, vcc, s2, v22
	v_addc_co_u32_e32 v0, vcc, 0, v0, vcc
	v_mul_lo_u32 v2, v0, s18
	v_mul_lo_u32 v3, v1, s19
	v_mad_u64_u32 v[0:1], s[2:3], v1, s18, 0
	v_add3_u32 v1, v1, v3, v2
	v_lshlrev_b64 v[0:1], 4, v[0:1]
	v_mov_b32_e32 v2, s35
	v_add_co_u32_e32 v0, vcc, s34, v0
	v_addc_co_u32_e32 v1, vcc, v2, v1, vcc
	flat_store_dwordx4 v[0:1], v[10:13]
.LBB169_480:
	s_or_b64 exec, exec, s[0:1]
	v_cmp_eq_u32_e32 vcc, 0, v22
	s_waitcnt vmcnt(0) lgkmcnt(0)
	buffer_wbinvl1_vol
	s_barrier
	s_and_saveexec_b64 s[0:1], vcc
	s_cbranch_execz .LBB169_482
; %bb.481:
	s_lshl_b64 s[2:3], s[24:25], 2
	s_add_u32 s2, s12, s2
	s_addc_u32 s3, s13, s3
	v_mov_b32_e32 v0, 0
	global_load_dword v1, v0, s[2:3]
	s_waitcnt vmcnt(0)
	v_add_u32_e32 v1, 1, v1
	global_store_dword v0, v1, s[2:3]
.LBB169_482:
	s_or_b64 exec, exec, s[0:1]
	s_waitcnt vmcnt(0)
	buffer_wbinvl1_vol
	s_endpgm
.LBB169_483:
	s_or_b64 exec, exec, s[8:9]
	s_and_b64 vcc, exec, s[6:7]
	s_cbranch_vccnz .LBB169_466
.LBB169_484:
	v_mov_b32_e32 v13, v7
	v_mov_b32_e32 v11, v9
	;; [unrolled: 1-line block ×4, first 2 shown]
	s_and_saveexec_b64 s[0:1], s[4:5]
	s_cbranch_execnz .LBB169_479
	s_branch .LBB169_480
.LBB169_485:
	s_andn2_b64 s[2:3], s[4:5], exec
	s_and_b64 s[4:5], s[0:1], exec
	s_or_b64 s[4:5], s[2:3], s[4:5]
	s_cbranch_execnz .LBB169_478
.LBB169_486:
	v_cmp_gt_i32_e32 vcc, s86, v0
	s_and_b64 s[0:1], s[0:1], vcc
	s_andn2_b64 s[2:3], s[4:5], exec
	s_and_b64 s[0:1], s[0:1], exec
	s_or_b64 s[4:5], s[2:3], s[0:1]
	s_and_saveexec_b64 s[0:1], s[4:5]
	s_cbranch_execnz .LBB169_479
	s_branch .LBB169_480
.LBB169_487:
	ds_read_b128 v[24:27], v23 offset:14800
	ds_read_b128 v[28:31], v22 offset:15232
	s_waitcnt lgkmcnt(0)
	v_mul_f64 v[32:33], v[26:27], v[30:31]
	v_mul_f64 v[30:31], v[24:25], v[30:31]
	v_fma_f64 v[24:25], v[24:25], v[28:29], -v[32:33]
	v_fma_f64 v[26:27], v[26:27], v[28:29], v[30:31]
	v_add_f64 v[10:11], v[10:11], v[24:25]
	v_add_f64 v[12:13], v[12:13], v[26:27]
	s_or_b64 exec, exec, s[14:15]
	v_cmp_gt_u32_e64 s[10:11], 8, v17
	s_and_saveexec_b64 s[14:15], s[10:11]
	s_cbranch_execz .LBB169_55
.LBB169_488:
	ds_read_b128 v[23:26], v23 offset:14816
	ds_read_b128 v[27:30], v22 offset:15744
	s_waitcnt lgkmcnt(0)
	v_mul_f64 v[31:32], v[25:26], v[29:30]
	v_mul_f64 v[29:30], v[23:24], v[29:30]
	v_fma_f64 v[22:23], v[23:24], v[27:28], -v[31:32]
	v_fma_f64 v[24:25], v[25:26], v[27:28], v[29:30]
	v_add_f64 v[10:11], v[10:11], v[22:23]
	v_add_f64 v[12:13], v[12:13], v[24:25]
	s_or_b64 exec, exec, s[14:15]
	v_cmp_gt_u32_e64 s[10:11], 4, v17
	s_and_saveexec_b64 s[14:15], s[10:11]
	s_cbranch_execnz .LBB169_56
	s_branch .LBB169_57
.LBB169_489:
	ds_read_b128 v[27:30], v26 offset:12688
	ds_read_b128 v[31:34], v25 offset:13056
	s_waitcnt lgkmcnt(0)
	v_mul_f64 v[35:36], v[29:30], v[33:34]
	v_mul_f64 v[33:34], v[27:28], v[33:34]
	v_fma_f64 v[27:28], v[27:28], v[31:32], -v[35:36]
	v_fma_f64 v[29:30], v[29:30], v[31:32], v[33:34]
	v_add_f64 v[10:11], v[10:11], v[27:28]
	v_add_f64 v[12:13], v[12:13], v[29:30]
	s_or_b64 exec, exec, s[54:55]
	v_cmp_gt_u32_e64 s[10:11], 48, v17
	s_and_saveexec_b64 s[54:55], s[10:11]
	s_cbranch_execz .LBB169_93
.LBB169_490:
	ds_read_b128 v[27:30], v26 offset:12704
	ds_read_b128 v[31:34], v25 offset:13568
	s_waitcnt lgkmcnt(0)
	v_mul_f64 v[35:36], v[29:30], v[33:34]
	v_mul_f64 v[33:34], v[27:28], v[33:34]
	v_fma_f64 v[27:28], v[27:28], v[31:32], -v[35:36]
	v_fma_f64 v[29:30], v[29:30], v[31:32], v[33:34]
	v_add_f64 v[10:11], v[10:11], v[27:28]
	v_add_f64 v[12:13], v[12:13], v[29:30]
	s_or_b64 exec, exec, s[54:55]
	v_cmp_gt_u32_e64 s[10:11], 40, v17
	s_and_saveexec_b64 s[54:55], s[10:11]
	s_cbranch_execz .LBB169_94
.LBB169_491:
	ds_read_b128 v[27:30], v26 offset:12720
	ds_read_b128 v[31:34], v25 offset:14080
	s_waitcnt lgkmcnt(0)
	v_mul_f64 v[35:36], v[29:30], v[33:34]
	v_mul_f64 v[33:34], v[27:28], v[33:34]
	v_fma_f64 v[27:28], v[27:28], v[31:32], -v[35:36]
	v_fma_f64 v[29:30], v[29:30], v[31:32], v[33:34]
	v_add_f64 v[10:11], v[10:11], v[27:28]
	v_add_f64 v[12:13], v[12:13], v[29:30]
	s_or_b64 exec, exec, s[54:55]
	v_cmp_gt_u32_e64 s[10:11], 32, v17
	s_and_saveexec_b64 s[54:55], s[10:11]
	s_cbranch_execz .LBB169_95
.LBB169_492:
	ds_read_b128 v[27:30], v26 offset:12736
	ds_read_b128 v[31:34], v25 offset:14592
	s_waitcnt lgkmcnt(0)
	v_mul_f64 v[35:36], v[29:30], v[33:34]
	v_mul_f64 v[33:34], v[27:28], v[33:34]
	v_fma_f64 v[27:28], v[27:28], v[31:32], -v[35:36]
	v_fma_f64 v[29:30], v[29:30], v[31:32], v[33:34]
	v_add_f64 v[10:11], v[10:11], v[27:28]
	v_add_f64 v[12:13], v[12:13], v[29:30]
	s_or_b64 exec, exec, s[54:55]
	v_cmp_gt_u32_e64 s[10:11], 24, v17
	s_and_saveexec_b64 s[54:55], s[10:11]
	s_cbranch_execz .LBB169_96
.LBB169_493:
	ds_read_b128 v[27:30], v26 offset:12752
	ds_read_b128 v[31:34], v25 offset:15104
	s_waitcnt lgkmcnt(0)
	v_mul_f64 v[35:36], v[29:30], v[33:34]
	v_mul_f64 v[33:34], v[27:28], v[33:34]
	v_fma_f64 v[27:28], v[27:28], v[31:32], -v[35:36]
	v_fma_f64 v[29:30], v[29:30], v[31:32], v[33:34]
	v_add_f64 v[10:11], v[10:11], v[27:28]
	v_add_f64 v[12:13], v[12:13], v[29:30]
	s_or_b64 exec, exec, s[54:55]
	s_and_saveexec_b64 s[10:11], s[2:3]
	s_cbranch_execz .LBB169_97
.LBB169_494:
	ds_read_b128 v[26:29], v26 offset:12768
	ds_read_b128 v[30:33], v25 offset:15616
	s_waitcnt lgkmcnt(0)
	v_mul_f64 v[34:35], v[28:29], v[32:33]
	v_mul_f64 v[32:33], v[26:27], v[32:33]
	v_fma_f64 v[25:26], v[26:27], v[30:31], -v[34:35]
	v_fma_f64 v[27:28], v[28:29], v[30:31], v[32:33]
	v_add_f64 v[10:11], v[10:11], v[25:26]
	v_add_f64 v[12:13], v[12:13], v[27:28]
	s_or_b64 exec, exec, s[10:11]
	v_cmp_gt_u32_e64 s[10:11], 8, v17
	s_and_saveexec_b64 s[54:55], s[10:11]
	s_cbranch_execnz .LBB169_98
	s_branch .LBB169_99
.LBB169_495:
	ds_read_b128 v[27:30], v26 offset:10576
	ds_read_b128 v[31:34], v25 offset:11008
	s_waitcnt lgkmcnt(0)
	v_mul_f64 v[35:36], v[29:30], v[33:34]
	v_mul_f64 v[33:34], v[27:28], v[33:34]
	v_fma_f64 v[27:28], v[27:28], v[31:32], -v[35:36]
	v_fma_f64 v[29:30], v[29:30], v[31:32], v[33:34]
	v_add_f64 v[10:11], v[10:11], v[27:28]
	v_add_f64 v[12:13], v[12:13], v[29:30]
	s_or_b64 exec, exec, s[14:15]
	v_cmp_gt_u32_e64 s[8:9], 8, v17
	s_and_saveexec_b64 s[14:15], s[8:9]
	s_cbranch_execz .LBB169_151
.LBB169_496:
	ds_read_b128 v[26:29], v26 offset:10592
	ds_read_b128 v[30:33], v25 offset:11520
	s_waitcnt lgkmcnt(0)
	v_mul_f64 v[34:35], v[28:29], v[32:33]
	v_mul_f64 v[32:33], v[26:27], v[32:33]
	v_fma_f64 v[25:26], v[26:27], v[30:31], -v[34:35]
	v_fma_f64 v[27:28], v[28:29], v[30:31], v[32:33]
	v_add_f64 v[10:11], v[10:11], v[25:26]
	v_add_f64 v[12:13], v[12:13], v[27:28]
	s_or_b64 exec, exec, s[14:15]
	v_cmp_gt_u32_e64 s[8:9], 4, v17
	s_and_saveexec_b64 s[14:15], s[8:9]
	s_cbranch_execnz .LBB169_152
	s_branch .LBB169_153
.LBB169_497:
	ds_read_b128 v[30:33], v29 offset:8624
	ds_read_b128 v[34:37], v28 offset:13824
	s_waitcnt lgkmcnt(0)
	v_mul_f64 v[38:39], v[32:33], v[36:37]
	v_mul_f64 v[36:37], v[30:31], v[36:37]
	v_fma_f64 v[30:31], v[30:31], v[34:35], -v[38:39]
	v_fma_f64 v[32:33], v[32:33], v[34:35], v[36:37]
	v_add_f64 v[10:11], v[10:11], v[30:31]
	v_add_f64 v[12:13], v[12:13], v[32:33]
	s_or_b64 exec, exec, s[84:85]
	s_and_saveexec_b64 s[14:15], s[12:13]
	s_cbranch_execz .LBB169_209
.LBB169_498:
	ds_read_b128 v[30:33], v29 offset:8640
	ds_read_b128 v[34:37], v28 offset:14336
	s_waitcnt lgkmcnt(0)
	v_mul_f64 v[38:39], v[32:33], v[36:37]
	v_mul_f64 v[36:37], v[30:31], v[36:37]
	v_fma_f64 v[30:31], v[30:31], v[34:35], -v[38:39]
	v_fma_f64 v[32:33], v[32:33], v[34:35], v[36:37]
	v_add_f64 v[10:11], v[10:11], v[30:31]
	v_add_f64 v[12:13], v[12:13], v[32:33]
	s_or_b64 exec, exec, s[14:15]
	v_cmp_gt_u32_e64 s[14:15], 48, v17
	s_and_saveexec_b64 s[84:85], s[14:15]
	s_cbranch_execz .LBB169_210
.LBB169_499:
	ds_read_b128 v[30:33], v29 offset:8656
	ds_read_b128 v[34:37], v28 offset:14848
	s_waitcnt lgkmcnt(0)
	v_mul_f64 v[38:39], v[32:33], v[36:37]
	v_mul_f64 v[36:37], v[30:31], v[36:37]
	v_fma_f64 v[30:31], v[30:31], v[34:35], -v[38:39]
	v_fma_f64 v[32:33], v[32:33], v[34:35], v[36:37]
	v_add_f64 v[10:11], v[10:11], v[30:31]
	v_add_f64 v[12:13], v[12:13], v[32:33]
	s_or_b64 exec, exec, s[84:85]
	v_cmp_gt_u32_e64 s[14:15], 32, v17
	s_and_saveexec_b64 s[84:85], s[14:15]
	s_cbranch_execz .LBB169_211
.LBB169_500:
	ds_read_b128 v[29:32], v29 offset:8672
	ds_read_b128 v[33:36], v28 offset:15360
	s_waitcnt lgkmcnt(0)
	v_mul_f64 v[37:38], v[31:32], v[35:36]
	v_mul_f64 v[35:36], v[29:30], v[35:36]
	v_fma_f64 v[28:29], v[29:30], v[33:34], -v[37:38]
	v_fma_f64 v[30:31], v[31:32], v[33:34], v[35:36]
	v_add_f64 v[10:11], v[10:11], v[28:29]
	v_add_f64 v[12:13], v[12:13], v[30:31]
	s_or_b64 exec, exec, s[84:85]
	v_cmp_gt_u32_e64 s[14:15], 16, v17
	s_and_saveexec_b64 s[84:85], s[14:15]
	s_cbranch_execnz .LBB169_212
	s_branch .LBB169_213
.LBB169_501:
	ds_read_b128 v[27:30], v26 offset:6352
	ds_read_b128 v[31:34], v25 offset:6784
	s_waitcnt lgkmcnt(0)
	v_mul_f64 v[35:36], v[29:30], v[33:34]
	v_mul_f64 v[33:34], v[27:28], v[33:34]
	v_fma_f64 v[27:28], v[27:28], v[31:32], -v[35:36]
	v_fma_f64 v[29:30], v[29:30], v[31:32], v[33:34]
	v_add_f64 v[10:11], v[10:11], v[27:28]
	v_add_f64 v[12:13], v[12:13], v[29:30]
	s_or_b64 exec, exec, s[14:15]
	v_cmp_gt_u32_e64 s[8:9], 8, v17
	s_and_saveexec_b64 s[14:15], s[8:9]
	s_cbranch_execz .LBB169_297
.LBB169_502:
	ds_read_b128 v[26:29], v26 offset:6368
	ds_read_b128 v[30:33], v25 offset:7296
	s_waitcnt lgkmcnt(0)
	v_mul_f64 v[34:35], v[28:29], v[32:33]
	v_mul_f64 v[32:33], v[26:27], v[32:33]
	v_fma_f64 v[25:26], v[26:27], v[30:31], -v[34:35]
	v_fma_f64 v[27:28], v[28:29], v[30:31], v[32:33]
	v_add_f64 v[10:11], v[10:11], v[25:26]
	v_add_f64 v[12:13], v[12:13], v[27:28]
	s_or_b64 exec, exec, s[14:15]
	v_cmp_gt_u32_e64 s[8:9], 4, v17
	s_and_saveexec_b64 s[14:15], s[8:9]
	s_cbranch_execnz .LBB169_298
	s_branch .LBB169_299
.LBB169_503:
	ds_read_b128 v[27:30], v26 offset:4240
	ds_read_b128 v[31:34], v25 offset:4608
	s_waitcnt lgkmcnt(0)
	v_mul_f64 v[35:36], v[29:30], v[33:34]
	v_mul_f64 v[33:34], v[27:28], v[33:34]
	v_fma_f64 v[27:28], v[27:28], v[31:32], -v[35:36]
	v_fma_f64 v[29:30], v[29:30], v[31:32], v[33:34]
	v_add_f64 v[10:11], v[10:11], v[27:28]
	v_add_f64 v[12:13], v[12:13], v[29:30]
	s_or_b64 exec, exec, s[14:15]
	v_cmp_gt_u32_e64 s[8:9], 48, v17
	s_and_saveexec_b64 s[14:15], s[8:9]
	s_cbranch_execz .LBB169_335
.LBB169_504:
	ds_read_b128 v[27:30], v26 offset:4256
	ds_read_b128 v[31:34], v25 offset:5120
	s_waitcnt lgkmcnt(0)
	v_mul_f64 v[35:36], v[29:30], v[33:34]
	v_mul_f64 v[33:34], v[27:28], v[33:34]
	v_fma_f64 v[27:28], v[27:28], v[31:32], -v[35:36]
	v_fma_f64 v[29:30], v[29:30], v[31:32], v[33:34]
	v_add_f64 v[10:11], v[10:11], v[27:28]
	v_add_f64 v[12:13], v[12:13], v[29:30]
	s_or_b64 exec, exec, s[14:15]
	v_cmp_gt_u32_e64 s[8:9], 40, v17
	s_and_saveexec_b64 s[14:15], s[8:9]
	s_cbranch_execz .LBB169_336
.LBB169_505:
	ds_read_b128 v[27:30], v26 offset:4272
	ds_read_b128 v[31:34], v25 offset:5632
	s_waitcnt lgkmcnt(0)
	v_mul_f64 v[35:36], v[29:30], v[33:34]
	v_mul_f64 v[33:34], v[27:28], v[33:34]
	v_fma_f64 v[27:28], v[27:28], v[31:32], -v[35:36]
	v_fma_f64 v[29:30], v[29:30], v[31:32], v[33:34]
	v_add_f64 v[10:11], v[10:11], v[27:28]
	v_add_f64 v[12:13], v[12:13], v[29:30]
	s_or_b64 exec, exec, s[14:15]
	v_cmp_gt_u32_e64 s[8:9], 32, v17
	s_and_saveexec_b64 s[14:15], s[8:9]
	s_cbranch_execz .LBB169_337
.LBB169_506:
	ds_read_b128 v[27:30], v26 offset:4288
	ds_read_b128 v[31:34], v25 offset:6144
	s_waitcnt lgkmcnt(0)
	v_mul_f64 v[35:36], v[29:30], v[33:34]
	v_mul_f64 v[33:34], v[27:28], v[33:34]
	v_fma_f64 v[27:28], v[27:28], v[31:32], -v[35:36]
	v_fma_f64 v[29:30], v[29:30], v[31:32], v[33:34]
	v_add_f64 v[10:11], v[10:11], v[27:28]
	v_add_f64 v[12:13], v[12:13], v[29:30]
	s_or_b64 exec, exec, s[14:15]
	v_cmp_gt_u32_e64 s[8:9], 24, v17
	s_and_saveexec_b64 s[14:15], s[8:9]
	s_cbranch_execz .LBB169_338
.LBB169_507:
	ds_read_b128 v[27:30], v26 offset:4304
	ds_read_b128 v[31:34], v25 offset:6656
	s_waitcnt lgkmcnt(0)
	v_mul_f64 v[35:36], v[29:30], v[33:34]
	v_mul_f64 v[33:34], v[27:28], v[33:34]
	v_fma_f64 v[27:28], v[27:28], v[31:32], -v[35:36]
	v_fma_f64 v[29:30], v[29:30], v[31:32], v[33:34]
	v_add_f64 v[10:11], v[10:11], v[27:28]
	v_add_f64 v[12:13], v[12:13], v[29:30]
	s_or_b64 exec, exec, s[14:15]
	s_and_saveexec_b64 s[8:9], s[2:3]
	s_cbranch_execz .LBB169_339
.LBB169_508:
	ds_read_b128 v[26:29], v26 offset:4320
	ds_read_b128 v[30:33], v25 offset:7168
	s_waitcnt lgkmcnt(0)
	v_mul_f64 v[34:35], v[28:29], v[32:33]
	v_mul_f64 v[32:33], v[26:27], v[32:33]
	v_fma_f64 v[25:26], v[26:27], v[30:31], -v[34:35]
	v_fma_f64 v[27:28], v[28:29], v[30:31], v[32:33]
	v_add_f64 v[10:11], v[10:11], v[25:26]
	v_add_f64 v[12:13], v[12:13], v[27:28]
	s_or_b64 exec, exec, s[8:9]
	v_cmp_gt_u32_e64 s[8:9], 8, v17
	s_and_saveexec_b64 s[14:15], s[8:9]
	s_cbranch_execnz .LBB169_340
	s_branch .LBB169_341
.LBB169_509:
	ds_read_b128 v[24:27], v23 offset:2128
	ds_read_b128 v[28:31], v22 offset:2560
	s_waitcnt lgkmcnt(0)
	v_mul_f64 v[32:33], v[26:27], v[30:31]
	v_mul_f64 v[30:31], v[24:25], v[30:31]
	v_fma_f64 v[24:25], v[24:25], v[28:29], -v[32:33]
	v_fma_f64 v[26:27], v[26:27], v[28:29], v[30:31]
	v_add_f64 v[10:11], v[10:11], v[24:25]
	v_add_f64 v[12:13], v[12:13], v[26:27]
	s_or_b64 exec, exec, s[12:13]
	v_cmp_gt_u32_e64 s[8:9], 8, v17
	s_and_saveexec_b64 s[12:13], s[8:9]
	s_cbranch_execz .LBB169_393
.LBB169_510:
	ds_read_b128 v[23:26], v23 offset:2144
	ds_read_b128 v[27:30], v22 offset:3072
	s_waitcnt lgkmcnt(0)
	v_mul_f64 v[31:32], v[25:26], v[29:30]
	v_mul_f64 v[29:30], v[23:24], v[29:30]
	v_fma_f64 v[22:23], v[23:24], v[27:28], -v[31:32]
	v_fma_f64 v[24:25], v[25:26], v[27:28], v[29:30]
	v_add_f64 v[10:11], v[10:11], v[22:23]
	v_add_f64 v[12:13], v[12:13], v[24:25]
	s_or_b64 exec, exec, s[12:13]
	v_cmp_gt_u32_e64 s[8:9], 4, v17
	s_and_saveexec_b64 s[12:13], s[8:9]
	s_cbranch_execnz .LBB169_394
	s_branch .LBB169_395
	.section	.rodata,"a",@progbits
	.p2align	6, 0x0
	.amdhsa_kernel _ZL19rocblas_trsv_deviceILi32ELi16ELb0ELb0ELb0ELb1E19rocblas_complex_numIdEPKS1_PKS3_PKPS1_EviT7_lllT6_T8_lllPii
		.amdhsa_group_segment_fixed_size 25104
		.amdhsa_private_segment_fixed_size 0
		.amdhsa_kernarg_size 352
		.amdhsa_user_sgpr_count 6
		.amdhsa_user_sgpr_private_segment_buffer 1
		.amdhsa_user_sgpr_dispatch_ptr 0
		.amdhsa_user_sgpr_queue_ptr 0
		.amdhsa_user_sgpr_kernarg_segment_ptr 1
		.amdhsa_user_sgpr_dispatch_id 0
		.amdhsa_user_sgpr_flat_scratch_init 0
		.amdhsa_user_sgpr_private_segment_size 0
		.amdhsa_uses_dynamic_stack 0
		.amdhsa_system_sgpr_private_segment_wavefront_offset 0
		.amdhsa_system_sgpr_workgroup_id_x 1
		.amdhsa_system_sgpr_workgroup_id_y 0
		.amdhsa_system_sgpr_workgroup_id_z 1
		.amdhsa_system_sgpr_workgroup_info 0
		.amdhsa_system_vgpr_workitem_id 1
		.amdhsa_next_free_vgpr 49
		.amdhsa_next_free_sgpr 98
		.amdhsa_reserve_vcc 1
		.amdhsa_reserve_flat_scratch 0
		.amdhsa_float_round_mode_32 0
		.amdhsa_float_round_mode_16_64 0
		.amdhsa_float_denorm_mode_32 3
		.amdhsa_float_denorm_mode_16_64 3
		.amdhsa_dx10_clamp 1
		.amdhsa_ieee_mode 1
		.amdhsa_fp16_overflow 0
		.amdhsa_exception_fp_ieee_invalid_op 0
		.amdhsa_exception_fp_denorm_src 0
		.amdhsa_exception_fp_ieee_div_zero 0
		.amdhsa_exception_fp_ieee_overflow 0
		.amdhsa_exception_fp_ieee_underflow 0
		.amdhsa_exception_fp_ieee_inexact 0
		.amdhsa_exception_int_div_zero 0
	.end_amdhsa_kernel
	.section	.text._ZL19rocblas_trsv_deviceILi32ELi16ELb0ELb0ELb0ELb1E19rocblas_complex_numIdEPKS1_PKS3_PKPS1_EviT7_lllT6_T8_lllPii,"axG",@progbits,_ZL19rocblas_trsv_deviceILi32ELi16ELb0ELb0ELb0ELb1E19rocblas_complex_numIdEPKS1_PKS3_PKPS1_EviT7_lllT6_T8_lllPii,comdat
.Lfunc_end169:
	.size	_ZL19rocblas_trsv_deviceILi32ELi16ELb0ELb0ELb0ELb1E19rocblas_complex_numIdEPKS1_PKS3_PKPS1_EviT7_lllT6_T8_lllPii, .Lfunc_end169-_ZL19rocblas_trsv_deviceILi32ELi16ELb0ELb0ELb0ELb1E19rocblas_complex_numIdEPKS1_PKS3_PKPS1_EviT7_lllT6_T8_lllPii
                                        ; -- End function
	.set _ZL19rocblas_trsv_deviceILi32ELi16ELb0ELb0ELb0ELb1E19rocblas_complex_numIdEPKS1_PKS3_PKPS1_EviT7_lllT6_T8_lllPii.num_vgpr, 40
	.set _ZL19rocblas_trsv_deviceILi32ELi16ELb0ELb0ELb0ELb1E19rocblas_complex_numIdEPKS1_PKS3_PKPS1_EviT7_lllT6_T8_lllPii.num_agpr, 0
	.set _ZL19rocblas_trsv_deviceILi32ELi16ELb0ELb0ELb0ELb1E19rocblas_complex_numIdEPKS1_PKS3_PKPS1_EviT7_lllT6_T8_lllPii.numbered_sgpr, 96
	.set _ZL19rocblas_trsv_deviceILi32ELi16ELb0ELb0ELb0ELb1E19rocblas_complex_numIdEPKS1_PKS3_PKPS1_EviT7_lllT6_T8_lllPii.num_named_barrier, 0
	.set _ZL19rocblas_trsv_deviceILi32ELi16ELb0ELb0ELb0ELb1E19rocblas_complex_numIdEPKS1_PKS3_PKPS1_EviT7_lllT6_T8_lllPii.private_seg_size, 0
	.set _ZL19rocblas_trsv_deviceILi32ELi16ELb0ELb0ELb0ELb1E19rocblas_complex_numIdEPKS1_PKS3_PKPS1_EviT7_lllT6_T8_lllPii.uses_vcc, 1
	.set _ZL19rocblas_trsv_deviceILi32ELi16ELb0ELb0ELb0ELb1E19rocblas_complex_numIdEPKS1_PKS3_PKPS1_EviT7_lllT6_T8_lllPii.uses_flat_scratch, 0
	.set _ZL19rocblas_trsv_deviceILi32ELi16ELb0ELb0ELb0ELb1E19rocblas_complex_numIdEPKS1_PKS3_PKPS1_EviT7_lllT6_T8_lllPii.has_dyn_sized_stack, 0
	.set _ZL19rocblas_trsv_deviceILi32ELi16ELb0ELb0ELb0ELb1E19rocblas_complex_numIdEPKS1_PKS3_PKPS1_EviT7_lllT6_T8_lllPii.has_recursion, 0
	.set _ZL19rocblas_trsv_deviceILi32ELi16ELb0ELb0ELb0ELb1E19rocblas_complex_numIdEPKS1_PKS3_PKPS1_EviT7_lllT6_T8_lllPii.has_indirect_call, 0
	.section	.AMDGPU.csdata,"",@progbits
; Kernel info:
; codeLenInByte = 20804
; TotalNumSgprs: 100
; NumVgprs: 40
; ScratchSize: 0
; MemoryBound: 1
; FloatMode: 240
; IeeeMode: 1
; LDSByteSize: 25104 bytes/workgroup (compile time only)
; SGPRBlocks: 12
; VGPRBlocks: 12
; NumSGPRsForWavesPerEU: 102
; NumVGPRsForWavesPerEU: 49
; Occupancy: 4
; WaveLimiterHint : 1
; COMPUTE_PGM_RSRC2:SCRATCH_EN: 0
; COMPUTE_PGM_RSRC2:USER_SGPR: 6
; COMPUTE_PGM_RSRC2:TRAP_HANDLER: 0
; COMPUTE_PGM_RSRC2:TGID_X_EN: 1
; COMPUTE_PGM_RSRC2:TGID_Y_EN: 0
; COMPUTE_PGM_RSRC2:TGID_Z_EN: 1
; COMPUTE_PGM_RSRC2:TIDIG_COMP_CNT: 1
	.section	.text._ZL19rocblas_trsv_deviceILi32ELi16ELb0ELb1ELb0ELb1E19rocblas_complex_numIdEPKS1_PKS3_PKPS1_EviT7_lllT6_T8_lllPii,"axG",@progbits,_ZL19rocblas_trsv_deviceILi32ELi16ELb0ELb1ELb0ELb1E19rocblas_complex_numIdEPKS1_PKS3_PKPS1_EviT7_lllT6_T8_lllPii,comdat
	.globl	_ZL19rocblas_trsv_deviceILi32ELi16ELb0ELb1ELb0ELb1E19rocblas_complex_numIdEPKS1_PKS3_PKPS1_EviT7_lllT6_T8_lllPii ; -- Begin function _ZL19rocblas_trsv_deviceILi32ELi16ELb0ELb1ELb0ELb1E19rocblas_complex_numIdEPKS1_PKS3_PKPS1_EviT7_lllT6_T8_lllPii
	.p2align	8
	.type	_ZL19rocblas_trsv_deviceILi32ELi16ELb0ELb1ELb0ELb1E19rocblas_complex_numIdEPKS1_PKS3_PKPS1_EviT7_lllT6_T8_lllPii,@function
_ZL19rocblas_trsv_deviceILi32ELi16ELb0ELb1ELb0ELb1E19rocblas_complex_numIdEPKS1_PKS3_PKPS1_EviT7_lllT6_T8_lllPii: ; @_ZL19rocblas_trsv_deviceILi32ELi16ELb0ELb1ELb0ELb1E19rocblas_complex_numIdEPKS1_PKS3_PKPS1_EviT7_lllT6_T8_lllPii
; %bb.0:
	s_load_dwordx4 s[0:3], s[4:5], 0x8
	s_mov_b32 s28, s7
	s_mov_b32 s29, 0
	s_lshl_b64 s[8:9], s[28:29], 3
	s_waitcnt lgkmcnt(0)
	s_add_u32 s0, s0, s8
	s_addc_u32 s1, s1, s9
	s_load_dwordx2 s[10:11], s[0:1], 0x0
	s_load_dword s33, s[4:5], 0x0
	s_load_dwordx8 s[16:23], s[4:5], 0x28
	s_load_dwordx2 s[34:35], s[4:5], 0x18
	s_lshl_b64 s[0:1], s[2:3], 4
	s_waitcnt lgkmcnt(0)
	s_add_u32 s92, s10, s0
	s_addc_u32 s93, s11, s1
	s_add_u32 s0, s18, s8
	s_addc_u32 s1, s19, s9
	s_load_dwordx2 s[36:37], s[0:1], 0x0
	s_load_dwordx4 s[24:27], s[16:17], 0x0
	s_load_dword s94, s[4:5], 0x6c
	s_cmp_eq_u32 s6, 0
	s_cbranch_scc1 .LBB170_6
; %bb.1:
	s_lshl_b32 s2, s6, 5
	v_add_u32_e32 v6, s2, v0
	v_ashrrev_i32_e32 v2, 31, v6
	v_mul_lo_u32 v7, s34, v2
	v_mul_lo_u32 v8, s35, v6
	v_mad_u64_u32 v[4:5], s[0:1], s34, v6, 0
	v_add_u32_e32 v2, s2, v1
	v_subrev_u32_e32 v2, 32, v2
	v_add3_u32 v5, v5, v7, v8
	v_lshlrev_b64 v[4:5], 4, v[4:5]
	v_ashrrev_i32_e32 v3, 31, v2
	v_cmp_gt_i32_e32 vcc, s33, v6
	v_mov_b32_e32 v6, s93
	v_add_co_u32_e64 v7, s[0:1], s92, v4
	v_lshlrev_b64 v[3:4], 4, v[2:3]
	v_addc_co_u32_e64 v5, s[0:1], v6, v5, s[0:1]
	v_add_co_u32_e64 v10, s[0:1], v7, v3
	v_addc_co_u32_e64 v11, s[0:1], v5, v4, s[0:1]
	v_cmp_gt_i32_e64 s[0:1], s33, v2
	v_mov_b32_e32 v4, 0
	v_mov_b32_e32 v6, 0
	;; [unrolled: 1-line block ×6, first 2 shown]
	s_and_b64 s[2:3], s[0:1], vcc
	s_waitcnt lgkmcnt(0)
	s_barrier
	s_and_saveexec_b64 s[0:1], s[2:3]
	s_cbranch_execz .LBB170_3
; %bb.2:
	flat_load_dwordx4 v[6:9], v[10:11]
.LBB170_3:
	s_or_b64 exec, exec, s[0:1]
	v_add_u32_e32 v2, 16, v2
	v_cmp_gt_i32_e64 s[0:1], s33, v2
	v_mov_b32_e32 v2, 0
	v_mov_b32_e32 v3, 0
	s_and_b64 s[2:3], s[0:1], vcc
	s_waitcnt vmcnt(0) lgkmcnt(0)
	s_barrier
	s_and_saveexec_b64 s[0:1], s[2:3]
	s_cbranch_execz .LBB170_5
; %bb.4:
	flat_load_dwordx4 v[2:5], v[10:11] offset:256
.LBB170_5:
	s_or_b64 exec, exec, s[0:1]
	s_branch .LBB170_7
.LBB170_6:
                                        ; implicit-def: $vgpr4_vgpr5
                                        ; implicit-def: $vgpr8_vgpr9
.LBB170_7:
	s_ashr_i32 s0, s33, 31
	s_lshr_b32 s0, s0, 27
	s_add_i32 s0, s33, s0
	s_andn2_b32 s0, s0, 31
	s_sub_i32 s7, s33, s0
	s_add_i32 s0, s33, -1
	s_ashr_i32 s1, s0, 31
	s_lshr_b32 s1, s1, 27
	s_add_i32 s0, s0, s1
	s_ashr_i32 s0, s0, 5
	s_cmp_eq_u32 s0, s6
	s_cselect_b64 s[0:1], -1, 0
	s_cmp_lg_u32 s7, 0
	s_cselect_b64 s[2:3], -1, 0
	s_and_b64 s[30:31], s[2:3], s[0:1]
	s_cmp_lt_i32 s6, 5
	s_cselect_b64 s[2:3], -1, 0
	v_lshlrev_b32_e32 v10, 5, v0
	s_mov_b64 s[12:13], -1
	s_or_b64 s[0:1], s[2:3], s[30:31]
	s_and_b64 vcc, exec, s[30:31]
	v_add_u32_e32 v11, v1, v10
	v_cmp_le_u32_e64 s[8:9], v1, v0
	v_lshlrev_b32_e32 v22, 4, v0
	v_lshl_add_u32 v23, v1, 5, v0
	s_cbranch_vccnz .LBB170_21
; %bb.8:
	s_add_u32 s10, s34, 1
	s_addc_u32 s11, s35, 0
	s_lshl_b32 s12, s6, 5
	s_ashr_i32 s13, s12, 31
	s_mul_hi_u32 s14, s10, s12
	s_mul_i32 s13, s10, s13
	s_add_i32 s13, s14, s13
	s_mul_i32 s11, s11, s12
	s_add_i32 s11, s13, s11
	s_mul_i32 s10, s10, s12
	s_lshl_b64 s[10:11], s[10:11], 4
	s_add_u32 s10, s92, s10
	s_addc_u32 s11, s93, s11
	v_lshlrev_b32_e32 v12, 4, v0
	v_mov_b32_e32 v13, s11
	v_add_co_u32_e32 v12, vcc, s10, v12
	v_addc_co_u32_e32 v13, vcc, 0, v13, vcc
	v_cndmask_b32_e64 v14, v23, v11, s[2:3]
	s_and_saveexec_b64 s[2:3], s[8:9]
	s_xor_b64 s[2:3], exec, s[2:3]
	s_cbranch_execz .LBB170_12
; %bb.9:
	v_or_b32_e32 v15, v1, v0
	v_cmp_gt_u32_e32 vcc, 32, v15
	s_and_saveexec_b64 s[8:9], vcc
	s_cbranch_execz .LBB170_11
; %bb.10:
	v_lshlrev_b32_e32 v18, 4, v14
	v_mov_b32_e32 v14, 0
	v_mov_b32_e32 v15, v14
	;; [unrolled: 1-line block ×4, first 2 shown]
	ds_write_b128 v18, v[14:17]
.LBB170_11:
	s_or_b64 exec, exec, s[8:9]
                                        ; implicit-def: $vgpr14
.LBB170_12:
	s_andn2_saveexec_b64 s[2:3], s[2:3]
	s_cbranch_execz .LBB170_14
; %bb.13:
	v_mad_u64_u32 v[15:16], s[8:9], s34, v1, 0
	v_lshlrev_b32_e32 v14, 4, v14
	v_mad_u64_u32 v[16:17], s[8:9], s35, v1, v[16:17]
	v_lshlrev_b64 v[15:16], 4, v[15:16]
	v_add_co_u32_e32 v15, vcc, v12, v15
	v_addc_co_u32_e32 v16, vcc, v13, v16, vcc
	flat_load_dwordx4 v[15:18], v[15:16]
	s_waitcnt vmcnt(0) lgkmcnt(0)
	v_xor_b32_e32 v16, 0x80000000, v16
	v_xor_b32_e32 v18, 0x80000000, v18
	ds_write_b128 v14, v[15:18]
.LBB170_14:
	s_or_b64 exec, exec, s[2:3]
	v_add_u32_e32 v15, 16, v1
	v_add_u32_e32 v14, v15, v10
	v_lshl_add_u32 v16, v15, 5, v0
	v_cndmask_b32_e64 v14, v16, v14, s[0:1]
	v_cmp_le_u32_e32 vcc, v15, v0
	s_and_saveexec_b64 s[2:3], vcc
	s_xor_b64 s[2:3], exec, s[2:3]
	s_cbranch_execz .LBB170_18
; %bb.15:
	v_or_b32_e32 v12, v15, v0
	v_cmp_gt_u32_e32 vcc, 32, v12
	s_and_saveexec_b64 s[8:9], vcc
	s_cbranch_execz .LBB170_17
; %bb.16:
	v_mov_b32_e32 v12, 0
	v_lshlrev_b32_e32 v16, 4, v14
	v_mov_b32_e32 v13, v12
	v_mov_b32_e32 v14, v12
	;; [unrolled: 1-line block ×3, first 2 shown]
	ds_write_b128 v16, v[12:15]
.LBB170_17:
	s_or_b64 exec, exec, s[8:9]
                                        ; implicit-def: $vgpr15
                                        ; implicit-def: $vgpr12
                                        ; implicit-def: $vgpr13
                                        ; implicit-def: $vgpr14
.LBB170_18:
	s_andn2_saveexec_b64 s[2:3], s[2:3]
	s_cbranch_execz .LBB170_20
; %bb.19:
	v_mad_u64_u32 v[16:17], s[8:9], s34, v15, 0
	v_mad_u64_u32 v[17:18], s[8:9], s35, v15, v[17:18]
	v_lshlrev_b64 v[15:16], 4, v[16:17]
	v_add_co_u32_e32 v12, vcc, v12, v15
	v_addc_co_u32_e32 v13, vcc, v13, v16, vcc
	flat_load_dwordx4 v[15:18], v[12:13]
	v_lshlrev_b32_e32 v12, 4, v14
	s_waitcnt vmcnt(0) lgkmcnt(0)
	v_xor_b32_e32 v16, 0x80000000, v16
	v_xor_b32_e32 v18, 0x80000000, v18
	ds_write_b128 v12, v[15:18]
.LBB170_20:
	s_or_b64 exec, exec, s[2:3]
	s_mov_b64 s[12:13], 0
.LBB170_21:
	s_xor_b64 s[10:11], s[0:1], -1
	s_and_b64 vcc, exec, s[12:13]
	s_cbranch_vccz .LBB170_35
; %bb.22:
	s_add_u32 s2, s34, 1
	s_addc_u32 s3, s35, 0
	s_lshl_b32 s8, s6, 5
	s_ashr_i32 s9, s8, 31
	s_mul_hi_u32 s12, s2, s8
	s_mul_i32 s9, s2, s9
	s_add_i32 s9, s12, s9
	s_mul_i32 s3, s3, s8
	s_add_i32 s3, s9, s3
	s_mul_i32 s2, s2, s8
	s_lshl_b64 s[2:3], s[2:3], 4
	s_add_u32 s2, s92, s2
	s_addc_u32 s3, s93, s3
	v_lshlrev_b32_e32 v12, 4, v0
	v_mov_b32_e32 v13, s3
	v_add_co_u32_e64 v12, s[2:3], s2, v12
	v_addc_co_u32_e64 v13, s[2:3], 0, v13, s[2:3]
	v_max_i32_e32 v14, v1, v0
	v_cmp_le_u32_e64 s[2:3], v1, v0
	v_cmp_le_i32_e64 s[8:9], s7, v14
	v_cmp_gt_i32_e32 vcc, s7, v0
	s_or_b64 s[2:3], s[8:9], s[2:3]
	s_and_saveexec_b64 s[8:9], s[2:3]
	s_xor_b64 s[8:9], exec, s[8:9]
	s_cbranch_execz .LBB170_26
; %bb.23:
	v_or_b32_e32 v14, v1, v0
	v_cmp_gt_u32_e64 s[2:3], 32, v14
	s_and_saveexec_b64 s[12:13], s[2:3]
	s_cbranch_execz .LBB170_25
; %bb.24:
	v_mov_b32_e32 v14, 0
	v_lshlrev_b32_e32 v11, 4, v11
	v_mov_b32_e32 v15, v14
	v_mov_b32_e32 v16, v14
	;; [unrolled: 1-line block ×3, first 2 shown]
	ds_write_b128 v11, v[14:17]
.LBB170_25:
	s_or_b64 exec, exec, s[12:13]
                                        ; implicit-def: $vgpr11
.LBB170_26:
	s_andn2_saveexec_b64 s[8:9], s[8:9]
	s_cbranch_execz .LBB170_28
; %bb.27:
	v_mad_u64_u32 v[14:15], s[2:3], s34, v1, 0
	v_lshlrev_b32_e32 v11, 4, v11
	v_mad_u64_u32 v[15:16], s[2:3], s35, v1, v[15:16]
	v_lshlrev_b64 v[14:15], 4, v[14:15]
	v_add_co_u32_e64 v14, s[2:3], v12, v14
	v_addc_co_u32_e64 v15, s[2:3], v13, v15, s[2:3]
	flat_load_dwordx4 v[14:17], v[14:15]
	s_waitcnt vmcnt(0) lgkmcnt(0)
	v_xor_b32_e32 v15, 0x80000000, v15
	v_xor_b32_e32 v17, 0x80000000, v17
	ds_write_b128 v11, v[14:17]
.LBB170_28:
	s_or_b64 exec, exec, s[8:9]
	v_add_u32_e32 v11, 16, v1
	v_add_u32_e32 v10, v11, v10
	v_lshl_add_u32 v14, v11, 5, v0
	v_cndmask_b32_e64 v10, v14, v10, s[0:1]
	v_cmp_gt_u32_e64 s[0:1], v11, v0
	v_cmp_gt_i32_e64 s[2:3], s7, v11
	s_and_b64 s[0:1], s[0:1], s[2:3]
	s_and_b64 s[0:1], s[0:1], vcc
	s_xor_b64 s[0:1], s[0:1], -1
	s_and_saveexec_b64 s[2:3], s[0:1]
	s_xor_b64 s[0:1], exec, s[2:3]
	s_cbranch_execz .LBB170_32
; %bb.29:
	v_or_b32_e32 v11, v11, v0
	v_cmp_gt_u32_e32 vcc, 32, v11
	s_and_saveexec_b64 s[2:3], vcc
	s_cbranch_execz .LBB170_31
; %bb.30:
	v_lshlrev_b32_e32 v14, 4, v10
	v_mov_b32_e32 v10, 0
	v_mov_b32_e32 v11, v10
	;; [unrolled: 1-line block ×4, first 2 shown]
	ds_write_b128 v14, v[10:13]
.LBB170_31:
	s_or_b64 exec, exec, s[2:3]
                                        ; implicit-def: $vgpr11
                                        ; implicit-def: $vgpr12
                                        ; implicit-def: $vgpr13
                                        ; implicit-def: $vgpr10
.LBB170_32:
	s_andn2_saveexec_b64 s[0:1], s[0:1]
	s_cbranch_execz .LBB170_34
; %bb.33:
	v_mad_u64_u32 v[14:15], s[2:3], s34, v11, 0
	v_lshlrev_b32_e32 v10, 4, v10
	v_mad_u64_u32 v[15:16], s[2:3], s35, v11, v[15:16]
	v_lshlrev_b64 v[14:15], 4, v[14:15]
	v_add_co_u32_e32 v11, vcc, v12, v14
	v_addc_co_u32_e32 v12, vcc, v13, v15, vcc
	flat_load_dwordx4 v[11:14], v[11:12]
	s_waitcnt vmcnt(0) lgkmcnt(0)
	v_xor_b32_e32 v12, 0x80000000, v12
	v_xor_b32_e32 v14, 0x80000000, v14
	ds_write_b128 v10, v[11:14]
.LBB170_34:
	s_or_b64 exec, exec, s[0:1]
.LBB170_35:
	v_cndmask_b32_e64 v10, 0, 1, s[10:11]
	v_cmp_ne_u32_e64 s[0:1], 1, v10
	s_andn2_b64 vcc, exec, s[10:11]
	s_waitcnt vmcnt(0) lgkmcnt(0)
	s_barrier
	s_cbranch_vccnz .LBB170_459
; %bb.36:
	v_or_b32_e32 v10, v0, v1
	s_mov_b32 s8, 0
	v_cmp_eq_u32_e32 vcc, 0, v10
	s_and_saveexec_b64 s[2:3], vcc
	s_cbranch_execz .LBB170_38
; %bb.37:
	v_mov_b32_e32 v18, 0
	ds_read_b128 v[10:13], v18 offset:16352
	s_mov_b32 s11, s8
	s_mov_b32 s9, 0x3ff00000
	;; [unrolled: 1-line block ×3, first 2 shown]
	v_mov_b32_e32 v17, s11
	v_mov_b32_e32 v16, s10
	;; [unrolled: 1-line block ×4, first 2 shown]
	ds_write_b128 v18, v[14:17] offset:15840
	ds_write_b128 v18, v[14:17] offset:16368
	s_waitcnt lgkmcnt(2)
	ds_write_b128 v18, v[10:13] offset:15856
.LBB170_38:
	s_or_b64 exec, exec, s[2:3]
	v_lshlrev_b32_e32 v10, 5, v1
	v_add_u32_e32 v17, v10, v0
	v_add_u16_e32 v10, v10, v0
	v_lshrrev_b16_e32 v16, 1, v10
	v_mov_b32_e32 v10, 0
	v_mov_b32_e32 v12, 0
	v_and_b32_e32 v14, 1, v0
	v_sub_u32_e32 v15, 1, v16
	v_cmp_lt_u32_e64 s[8:9], 3, v17
	v_mov_b32_e32 v11, 0
	v_mov_b32_e32 v13, 0
	v_cmp_gt_u32_e64 s[2:3], 4, v17
	s_waitcnt lgkmcnt(0)
	s_barrier
	buffer_wbinvl1_vol
	s_and_saveexec_b64 s[12:13], s[2:3]
	s_cbranch_execz .LBB170_42
; %bb.39:
	v_lshlrev_b32_e32 v18, 4, v14
	v_lshlrev_b32_e32 v10, 9, v15
	ds_read_b128 v[10:13], v10 offset:15840
	ds_read_b128 v[18:21], v18 offset:15808
	v_cmp_gt_u32_e64 s[10:11], 2, v17
	s_waitcnt lgkmcnt(0)
	v_mul_f64 v[24:25], v[12:13], v[20:21]
	v_mul_f64 v[20:21], v[10:11], v[20:21]
	v_fma_f64 v[10:11], v[10:11], v[18:19], -v[24:25]
	v_fma_f64 v[12:13], v[12:13], v[18:19], v[20:21]
	v_add_f64 v[10:11], v[10:11], 0
	v_add_f64 v[12:13], v[12:13], 0
	s_and_saveexec_b64 s[14:15], s[10:11]
	s_cbranch_execz .LBB170_41
; %bb.40:
	v_lshlrev_b32_e32 v24, 4, v0
	v_mov_b32_e32 v18, 0
	ds_read_b128 v[18:21], v18 offset:16368
	ds_read_b128 v[24:27], v24 offset:16320
	s_waitcnt lgkmcnt(0)
	v_mul_f64 v[28:29], v[20:21], v[26:27]
	v_mul_f64 v[26:27], v[18:19], v[26:27]
	v_fma_f64 v[18:19], v[18:19], v[24:25], -v[28:29]
	v_fma_f64 v[20:21], v[20:21], v[24:25], v[26:27]
	v_add_f64 v[10:11], v[10:11], v[18:19]
	v_add_f64 v[12:13], v[12:13], v[20:21]
.LBB170_41:
	s_or_b64 exec, exec, s[14:15]
.LBB170_42:
	s_or_b64 exec, exec, s[12:13]
	v_mov_b32_e32 v18, 0x4000
	v_cmp_ne_u32_e64 s[10:11], 0, v14
	s_xor_b64 s[12:13], s[8:9], -1
	v_lshl_add_u32 v16, v16, 4, v18
	s_and_b64 s[40:41], s[10:11], s[12:13]
	s_and_saveexec_b64 s[8:9], s[40:41]
; %bb.43:
	v_xor_b32_e32 v19, 0x80000000, v11
	v_xor_b32_e32 v21, 0x80000000, v13
	v_mov_b32_e32 v18, v10
	v_mov_b32_e32 v20, v12
	ds_write_b128 v16, v[18:21]
; %bb.44:
	s_or_b64 exec, exec, s[8:9]
	v_cmp_eq_u32_e64 s[8:9], 0, v14
	s_and_b64 s[38:39], s[8:9], s[12:13]
	s_waitcnt lgkmcnt(0)
	s_barrier
	s_and_saveexec_b64 s[8:9], s[38:39]
	s_cbranch_execz .LBB170_46
; %bb.45:
	v_mov_b32_e32 v24, 0
	ds_read_b128 v[18:21], v16
	ds_read_b128 v[24:27], v24 offset:15296
	s_waitcnt lgkmcnt(0)
	v_mul_f64 v[28:29], v[18:19], v[24:25]
	v_mul_f64 v[18:19], v[18:19], v[26:27]
	v_fma_f64 v[26:27], v[20:21], v[26:27], -v[28:29]
	v_fma_f64 v[18:19], v[20:21], v[24:25], v[18:19]
	v_add_f64 v[10:11], v[10:11], v[26:27]
	v_add_f64 v[12:13], v[12:13], -v[18:19]
.LBB170_46:
	s_or_b64 exec, exec, s[8:9]
	s_barrier
	s_and_saveexec_b64 s[8:9], s[38:39]
; %bb.47:
	v_xor_b32_e32 v19, 0x80000000, v11
	v_xor_b32_e32 v21, 0x80000000, v13
	v_mov_b32_e32 v18, v10
	v_mov_b32_e32 v20, v12
	ds_write_b128 v16, v[18:21]
; %bb.48:
	s_or_b64 exec, exec, s[8:9]
	s_waitcnt lgkmcnt(0)
	s_barrier
	s_barrier
	s_and_saveexec_b64 s[8:9], s[2:3]
; %bb.49:
	v_lshlrev_b32_e32 v18, 4, v14
	v_lshl_or_b32 v18, v15, 9, v18
	ds_write_b128 v18, v[10:13] offset:15808
; %bb.50:
	s_or_b64 exec, exec, s[8:9]
	v_cmp_eq_u32_e64 s[10:11], 0, v1
	v_cmp_gt_u32_e64 s[8:9], 2, v0
	s_and_b64 s[42:43], s[10:11], s[8:9]
	s_waitcnt lgkmcnt(0)
	s_barrier
	s_barrier
	s_and_saveexec_b64 s[8:9], s[42:43]
	s_cbranch_execz .LBB170_52
; %bb.51:
	v_lshlrev_b32_e32 v18, 9, v0
	ds_read_b128 v[10:13], v18 offset:15808
	s_movk_i32 s12, 0xfe10
	v_mad_i32_i24 v19, v0, s12, v18
	s_waitcnt lgkmcnt(0)
	ds_write_b128 v19, v[10:13] offset:14816
	ds_read_b128 v[10:13], v18 offset:15824
	s_waitcnt lgkmcnt(0)
	ds_write_b128 v19, v[10:13] offset:15328
.LBB170_52:
	s_or_b64 exec, exec, s[8:9]
	s_waitcnt lgkmcnt(0)
	s_barrier
	s_and_saveexec_b64 s[8:9], vcc
	s_cbranch_execz .LBB170_54
; %bb.53:
	s_mov_b32 s12, 0
	v_mov_b32_e32 v24, 0
	ds_read_b128 v[10:13], v24 offset:15296
	s_mov_b32 s15, s12
	s_mov_b32 s13, 0x3ff00000
	;; [unrolled: 1-line block ×3, first 2 shown]
	v_mov_b32_e32 v21, s15
	v_mov_b32_e32 v20, s14
	;; [unrolled: 1-line block ×4, first 2 shown]
	ds_write_b128 v24, v[18:21] offset:14784
	ds_write_b128 v24, v[18:21] offset:15312
	s_waitcnt lgkmcnt(2)
	ds_write_b128 v24, v[10:13] offset:14800
.LBB170_54:
	s_or_b64 exec, exec, s[8:9]
	v_lshrrev_b32_e32 v20, 2, v17
	v_mov_b32_e32 v12, 0
	v_mov_b32_e32 v10, 0
	v_and_b32_e32 v18, 3, v0
	v_sub_u32_e32 v19, 3, v20
	v_cmp_lt_u32_e64 s[8:9], 15, v17
	v_mov_b32_e32 v13, 0
	v_mov_b32_e32 v11, 0
	v_cmp_gt_u32_e64 s[16:17], 16, v17
	s_waitcnt lgkmcnt(0)
	s_barrier
	buffer_wbinvl1_vol
	s_and_saveexec_b64 s[14:15], s[16:17]
	s_cbranch_execz .LBB170_60
; %bb.55:
	v_lshlrev_b32_e32 v24, 9, v19
	v_lshlrev_b32_e32 v21, 4, v18
	ds_read_b128 v[10:13], v24 offset:14784
	ds_read_b128 v[25:28], v21 offset:14720
	v_cmp_gt_u32_e64 s[12:13], 12, v17
	s_waitcnt lgkmcnt(0)
	v_mul_f64 v[29:30], v[12:13], v[27:28]
	v_mul_f64 v[27:28], v[10:11], v[27:28]
	v_fma_f64 v[10:11], v[10:11], v[25:26], -v[29:30]
	v_fma_f64 v[12:13], v[12:13], v[25:26], v[27:28]
	v_add_f64 v[10:11], v[10:11], 0
	v_add_f64 v[12:13], v[12:13], 0
	s_and_saveexec_b64 s[18:19], s[12:13]
	s_cbranch_execnz .LBB170_519
; %bb.56:
	s_or_b64 exec, exec, s[18:19]
	v_cmp_gt_u32_e64 s[12:13], 8, v17
	s_and_saveexec_b64 s[18:19], s[12:13]
	s_cbranch_execnz .LBB170_520
.LBB170_57:
	s_or_b64 exec, exec, s[18:19]
	v_cmp_gt_u32_e64 s[12:13], 4, v17
	s_and_saveexec_b64 s[18:19], s[12:13]
	s_cbranch_execz .LBB170_59
.LBB170_58:
	v_mov_b32_e32 v24, 0
	v_lshlrev_b32_e32 v21, 4, v0
	ds_read_b128 v[24:27], v24 offset:16368
	ds_read_b128 v[28:31], v21 offset:16256
	s_waitcnt lgkmcnt(0)
	v_mul_f64 v[32:33], v[26:27], v[30:31]
	v_mul_f64 v[30:31], v[24:25], v[30:31]
	v_fma_f64 v[24:25], v[24:25], v[28:29], -v[32:33]
	v_fma_f64 v[26:27], v[26:27], v[28:29], v[30:31]
	v_add_f64 v[10:11], v[10:11], v[24:25]
	v_add_f64 v[12:13], v[12:13], v[26:27]
.LBB170_59:
	s_or_b64 exec, exec, s[18:19]
.LBB170_60:
	s_or_b64 exec, exec, s[14:15]
	v_mov_b32_e32 v21, 0x4000
	v_cmp_eq_u32_e64 s[12:13], 3, v18
	s_xor_b64 s[14:15], s[8:9], -1
	v_lshl_add_u32 v20, v20, 4, v21
	s_and_b64 s[46:47], s[12:13], s[14:15]
	s_and_saveexec_b64 s[8:9], s[46:47]
; %bb.61:
	v_xor_b32_e32 v27, 0x80000000, v13
	v_xor_b32_e32 v25, 0x80000000, v11
	v_mov_b32_e32 v24, v10
	v_mov_b32_e32 v26, v12
	ds_write_b128 v20, v[24:27]
; %bb.62:
	s_or_b64 exec, exec, s[8:9]
	v_cmp_ne_u32_e64 s[8:9], 3, v18
	s_and_b64 s[48:49], s[8:9], s[14:15]
	s_waitcnt lgkmcnt(0)
	s_barrier
	s_and_saveexec_b64 s[8:9], s[48:49]
	s_cbranch_execz .LBB170_64
; %bb.63:
	v_lshlrev_b32_e32 v21, 4, v18
	ds_read_b128 v[24:27], v20
	ds_read_b128 v[28:31], v21 offset:14208
	s_waitcnt lgkmcnt(0)
	v_mul_f64 v[32:33], v[26:27], v[30:31]
	v_mul_f64 v[30:31], v[24:25], v[30:31]
	v_fma_f64 v[24:25], v[24:25], v[28:29], -v[32:33]
	v_fma_f64 v[26:27], v[26:27], v[28:29], v[30:31]
	v_add_f64 v[10:11], v[10:11], -v[24:25]
	v_add_f64 v[12:13], v[12:13], -v[26:27]
.LBB170_64:
	s_or_b64 exec, exec, s[8:9]
	v_cmp_eq_u32_e64 s[8:9], 2, v18
	s_and_b64 s[50:51], s[8:9], s[14:15]
	s_barrier
	s_and_saveexec_b64 s[8:9], s[50:51]
; %bb.65:
	v_xor_b32_e32 v27, 0x80000000, v13
	v_xor_b32_e32 v25, 0x80000000, v11
	v_mov_b32_e32 v24, v10
	v_mov_b32_e32 v26, v12
	ds_write_b128 v20, v[24:27]
; %bb.66:
	s_or_b64 exec, exec, s[8:9]
	v_cmp_gt_u32_e64 s[8:9], 2, v18
	s_and_b64 s[52:53], s[8:9], s[14:15]
	s_waitcnt lgkmcnt(0)
	s_barrier
	s_and_saveexec_b64 s[8:9], s[52:53]
	s_cbranch_execz .LBB170_68
; %bb.67:
	v_lshlrev_b32_e32 v21, 4, v18
	ds_read_b128 v[24:27], v20
	ds_read_b128 v[28:31], v21 offset:13696
	s_waitcnt lgkmcnt(0)
	v_mul_f64 v[32:33], v[26:27], v[30:31]
	v_mul_f64 v[30:31], v[24:25], v[30:31]
	v_fma_f64 v[24:25], v[24:25], v[28:29], -v[32:33]
	v_fma_f64 v[26:27], v[26:27], v[28:29], v[30:31]
	v_add_f64 v[10:11], v[10:11], -v[24:25]
	v_add_f64 v[12:13], v[12:13], -v[26:27]
.LBB170_68:
	s_or_b64 exec, exec, s[8:9]
	v_cmp_eq_u32_e64 s[8:9], 1, v18
	s_and_b64 s[54:55], s[8:9], s[14:15]
	s_barrier
	s_and_saveexec_b64 s[8:9], s[54:55]
; %bb.69:
	v_xor_b32_e32 v27, 0x80000000, v13
	v_xor_b32_e32 v25, 0x80000000, v11
	v_mov_b32_e32 v24, v10
	v_mov_b32_e32 v26, v12
	ds_write_b128 v20, v[24:27]
; %bb.70:
	s_or_b64 exec, exec, s[8:9]
	v_cmp_eq_u32_e64 s[8:9], 0, v18
	s_and_b64 s[44:45], s[8:9], s[14:15]
	s_waitcnt lgkmcnt(0)
	s_barrier
	s_and_saveexec_b64 s[8:9], s[44:45]
	s_cbranch_execz .LBB170_72
; %bb.71:
	v_mov_b32_e32 v21, 0
	ds_read_b128 v[24:27], v20
	ds_read_b128 v[28:31], v21 offset:13184
	s_waitcnt lgkmcnt(0)
	v_mul_f64 v[32:33], v[26:27], v[30:31]
	v_mul_f64 v[30:31], v[24:25], v[30:31]
	v_fma_f64 v[24:25], v[24:25], v[28:29], -v[32:33]
	v_fma_f64 v[26:27], v[26:27], v[28:29], v[30:31]
	v_add_f64 v[10:11], v[10:11], -v[24:25]
	v_add_f64 v[12:13], v[12:13], -v[26:27]
.LBB170_72:
	s_or_b64 exec, exec, s[8:9]
	s_barrier
	s_and_saveexec_b64 s[8:9], s[44:45]
; %bb.73:
	v_xor_b32_e32 v27, 0x80000000, v13
	v_xor_b32_e32 v25, 0x80000000, v11
	v_mov_b32_e32 v24, v10
	v_mov_b32_e32 v26, v12
	ds_write_b128 v20, v[24:27]
; %bb.74:
	s_or_b64 exec, exec, s[8:9]
	s_waitcnt lgkmcnt(0)
	s_barrier
	s_barrier
	s_and_saveexec_b64 s[8:9], s[16:17]
; %bb.75:
	v_lshlrev_b32_e32 v21, 4, v18
	v_lshl_or_b32 v21, v19, 9, v21
	ds_write_b128 v21, v[10:13] offset:14720
; %bb.76:
	s_or_b64 exec, exec, s[8:9]
	v_cmp_gt_u32_e64 s[8:9], 4, v0
	s_and_b64 s[56:57], s[10:11], s[8:9]
	s_waitcnt lgkmcnt(0)
	s_barrier
	s_barrier
	s_and_saveexec_b64 s[8:9], s[56:57]
	s_cbranch_execz .LBB170_78
; %bb.77:
	v_lshlrev_b32_e32 v21, 4, v0
	s_movk_i32 s12, 0x1f0
	v_mad_u32_u24 v24, v0, s12, v21
	ds_read_b128 v[10:13], v24 offset:14720
	s_waitcnt lgkmcnt(0)
	ds_write_b128 v21, v[10:13] offset:12736
	ds_read_b128 v[10:13], v24 offset:14736
	s_waitcnt lgkmcnt(0)
	ds_write_b128 v21, v[10:13] offset:13248
	;; [unrolled: 3-line block ×4, first 2 shown]
.LBB170_78:
	s_or_b64 exec, exec, s[8:9]
	s_waitcnt lgkmcnt(0)
	s_barrier
	s_and_saveexec_b64 s[8:9], vcc
	s_cbranch_execz .LBB170_80
; %bb.79:
	s_mov_b32 s12, 0
	v_mov_b32_e32 v21, 0
	ds_read_b128 v[10:13], v21 offset:14240
	s_mov_b32 s15, s12
	s_mov_b32 s13, 0x3ff00000
	;; [unrolled: 1-line block ×3, first 2 shown]
	v_mov_b32_e32 v27, s15
	v_mov_b32_e32 v26, s14
	;; [unrolled: 1-line block ×4, first 2 shown]
	ds_write_b128 v21, v[24:27] offset:13728
	ds_write_b128 v21, v[24:27] offset:14256
	s_waitcnt lgkmcnt(2)
	ds_write_b128 v21, v[10:13] offset:13744
.LBB170_80:
	s_or_b64 exec, exec, s[8:9]
	v_mov_b32_e32 v10, 0
	v_mov_b32_e32 v12, 0
	;; [unrolled: 1-line block ×4, first 2 shown]
	s_waitcnt lgkmcnt(0)
	s_barrier
	buffer_wbinvl1_vol
	s_and_saveexec_b64 s[12:13], s[2:3]
	s_cbranch_execz .LBB170_84
; %bb.81:
	v_lshlrev_b32_e32 v10, 9, v15
	v_lshlrev_b32_e32 v21, 4, v14
	ds_read_b128 v[10:13], v10 offset:13728
	ds_read_b128 v[24:27], v21 offset:13696
	v_cmp_gt_u32_e64 s[8:9], 2, v17
	s_waitcnt lgkmcnt(0)
	v_mul_f64 v[28:29], v[12:13], v[26:27]
	v_mul_f64 v[26:27], v[10:11], v[26:27]
	v_fma_f64 v[10:11], v[10:11], v[24:25], -v[28:29]
	v_fma_f64 v[12:13], v[12:13], v[24:25], v[26:27]
	v_add_f64 v[10:11], v[10:11], 0
	v_add_f64 v[12:13], v[12:13], 0
	s_and_saveexec_b64 s[14:15], s[8:9]
	s_cbranch_execz .LBB170_83
; %bb.82:
	v_mov_b32_e32 v24, 0
	v_lshlrev_b32_e32 v21, 4, v0
	ds_read_b128 v[24:27], v24 offset:14256
	ds_read_b128 v[28:31], v21 offset:14208
	s_waitcnt lgkmcnt(0)
	v_mul_f64 v[32:33], v[26:27], v[30:31]
	v_mul_f64 v[30:31], v[24:25], v[30:31]
	v_fma_f64 v[24:25], v[24:25], v[28:29], -v[32:33]
	v_fma_f64 v[26:27], v[26:27], v[28:29], v[30:31]
	v_add_f64 v[10:11], v[10:11], v[24:25]
	v_add_f64 v[12:13], v[12:13], v[26:27]
.LBB170_83:
	s_or_b64 exec, exec, s[14:15]
.LBB170_84:
	s_or_b64 exec, exec, s[12:13]
	s_and_saveexec_b64 s[8:9], s[40:41]
; %bb.85:
	v_xor_b32_e32 v25, 0x80000000, v11
	v_xor_b32_e32 v27, 0x80000000, v13
	v_mov_b32_e32 v24, v10
	v_mov_b32_e32 v26, v12
	ds_write_b128 v16, v[24:27]
; %bb.86:
	s_or_b64 exec, exec, s[8:9]
	s_waitcnt lgkmcnt(0)
	s_barrier
	s_and_saveexec_b64 s[8:9], s[38:39]
	s_cbranch_execz .LBB170_88
; %bb.87:
	v_mov_b32_e32 v21, 0
	ds_read_b128 v[24:27], v16
	ds_read_b128 v[28:31], v21 offset:13184
	s_waitcnt lgkmcnt(0)
	v_mul_f64 v[32:33], v[24:25], v[28:29]
	v_mul_f64 v[24:25], v[24:25], v[30:31]
	v_fma_f64 v[30:31], v[26:27], v[30:31], -v[32:33]
	v_fma_f64 v[24:25], v[26:27], v[28:29], v[24:25]
	v_add_f64 v[10:11], v[10:11], v[30:31]
	v_add_f64 v[12:13], v[12:13], -v[24:25]
.LBB170_88:
	s_or_b64 exec, exec, s[8:9]
	s_barrier
	s_and_saveexec_b64 s[8:9], s[38:39]
; %bb.89:
	v_xor_b32_e32 v25, 0x80000000, v11
	v_xor_b32_e32 v27, 0x80000000, v13
	v_mov_b32_e32 v24, v10
	v_mov_b32_e32 v26, v12
	ds_write_b128 v16, v[24:27]
; %bb.90:
	s_or_b64 exec, exec, s[8:9]
	s_waitcnt lgkmcnt(0)
	s_barrier
	s_barrier
	s_and_saveexec_b64 s[8:9], s[2:3]
; %bb.91:
	v_lshlrev_b32_e32 v21, 4, v14
	v_lshl_or_b32 v21, v15, 9, v21
	ds_write_b128 v21, v[10:13] offset:13696
; %bb.92:
	s_or_b64 exec, exec, s[8:9]
	s_waitcnt lgkmcnt(0)
	s_barrier
	s_barrier
	s_and_saveexec_b64 s[8:9], s[42:43]
	s_cbranch_execz .LBB170_94
; %bb.93:
	v_lshlrev_b32_e32 v21, 9, v0
	ds_read_b128 v[10:13], v21 offset:13696
	s_movk_i32 s12, 0xfe10
	v_mad_i32_i24 v24, v0, s12, v21
	s_waitcnt lgkmcnt(0)
	ds_write_b128 v24, v[10:13] offset:12704
	ds_read_b128 v[10:13], v21 offset:13712
	s_waitcnt lgkmcnt(0)
	ds_write_b128 v24, v[10:13] offset:13216
.LBB170_94:
	s_or_b64 exec, exec, s[8:9]
	s_waitcnt lgkmcnt(0)
	s_barrier
	s_and_saveexec_b64 s[8:9], vcc
	s_cbranch_execz .LBB170_96
; %bb.95:
	s_mov_b32 s12, 0
	v_mov_b32_e32 v21, 0
	ds_read_b128 v[10:13], v21 offset:13184
	s_mov_b32 s15, s12
	s_mov_b32 s13, 0x3ff00000
	s_mov_b32 s14, s12
	v_mov_b32_e32 v27, s15
	v_mov_b32_e32 v26, s14
	;; [unrolled: 1-line block ×4, first 2 shown]
	ds_write_b128 v21, v[24:27] offset:12672
	ds_write_b128 v21, v[24:27] offset:13200
	s_waitcnt lgkmcnt(2)
	ds_write_b128 v21, v[10:13] offset:12688
.LBB170_96:
	s_or_b64 exec, exec, s[8:9]
	v_lshrrev_b32_e32 v25, 3, v17
	v_mov_b32_e32 v12, 0
	v_mov_b32_e32 v10, 0
	v_and_b32_e32 v21, 7, v0
	v_sub_u32_e32 v24, 7, v25
	v_cmp_lt_u32_e64 s[12:13], 63, v17
	v_mov_b32_e32 v13, 0
	v_mov_b32_e32 v11, 0
	v_cmp_gt_u32_e64 s[8:9], 64, v17
	s_waitcnt lgkmcnt(0)
	s_barrier
	buffer_wbinvl1_vol
	s_and_saveexec_b64 s[18:19], s[8:9]
	s_cbranch_execz .LBB170_106
; %bb.97:
	v_lshlrev_b32_e32 v27, 9, v24
	v_lshlrev_b32_e32 v26, 4, v21
	ds_read_b128 v[10:13], v27 offset:12672
	ds_read_b128 v[28:31], v26 offset:12544
	v_cmp_gt_u32_e64 s[14:15], 56, v17
	s_waitcnt lgkmcnt(0)
	v_mul_f64 v[32:33], v[12:13], v[30:31]
	v_mul_f64 v[30:31], v[10:11], v[30:31]
	v_fma_f64 v[10:11], v[10:11], v[28:29], -v[32:33]
	v_fma_f64 v[12:13], v[12:13], v[28:29], v[30:31]
	v_add_f64 v[10:11], v[10:11], 0
	v_add_f64 v[12:13], v[12:13], 0
	s_and_saveexec_b64 s[58:59], s[14:15]
	s_cbranch_execnz .LBB170_521
; %bb.98:
	s_or_b64 exec, exec, s[58:59]
	v_cmp_gt_u32_e64 s[14:15], 48, v17
	s_and_saveexec_b64 s[58:59], s[14:15]
	s_cbranch_execnz .LBB170_522
.LBB170_99:
	s_or_b64 exec, exec, s[58:59]
	v_cmp_gt_u32_e64 s[14:15], 40, v17
	s_and_saveexec_b64 s[58:59], s[14:15]
	s_cbranch_execnz .LBB170_523
.LBB170_100:
	s_or_b64 exec, exec, s[58:59]
	v_cmp_gt_u32_e64 s[14:15], 32, v17
	s_and_saveexec_b64 s[58:59], s[14:15]
	s_cbranch_execnz .LBB170_524
.LBB170_101:
	s_or_b64 exec, exec, s[58:59]
	v_cmp_gt_u32_e64 s[14:15], 24, v17
	s_and_saveexec_b64 s[58:59], s[14:15]
	s_cbranch_execnz .LBB170_525
.LBB170_102:
	s_or_b64 exec, exec, s[58:59]
	s_and_saveexec_b64 s[14:15], s[16:17]
	s_cbranch_execnz .LBB170_526
.LBB170_103:
	s_or_b64 exec, exec, s[14:15]
	v_cmp_gt_u32_e64 s[14:15], 8, v17
	s_and_saveexec_b64 s[58:59], s[14:15]
	s_cbranch_execz .LBB170_105
.LBB170_104:
	v_lshlrev_b32_e32 v30, 4, v0
	v_mov_b32_e32 v26, 0
	ds_read_b128 v[26:29], v26 offset:16368
	ds_read_b128 v[30:33], v30 offset:16128
	s_waitcnt lgkmcnt(0)
	v_mul_f64 v[34:35], v[28:29], v[32:33]
	v_mul_f64 v[32:33], v[26:27], v[32:33]
	v_fma_f64 v[26:27], v[26:27], v[30:31], -v[34:35]
	v_fma_f64 v[28:29], v[28:29], v[30:31], v[32:33]
	v_add_f64 v[10:11], v[10:11], v[26:27]
	v_add_f64 v[12:13], v[12:13], v[28:29]
.LBB170_105:
	s_or_b64 exec, exec, s[58:59]
.LBB170_106:
	s_or_b64 exec, exec, s[18:19]
	v_mov_b32_e32 v26, 0x4000
	v_cmp_eq_u32_e64 s[14:15], 7, v21
	s_xor_b64 s[18:19], s[12:13], -1
	v_lshl_add_u32 v25, v25, 4, v26
	s_and_b64 s[60:61], s[14:15], s[18:19]
	s_and_saveexec_b64 s[12:13], s[60:61]
; %bb.107:
	v_xor_b32_e32 v27, 0x80000000, v11
	v_xor_b32_e32 v29, 0x80000000, v13
	v_mov_b32_e32 v26, v10
	v_mov_b32_e32 v28, v12
	ds_write_b128 v25, v[26:29]
; %bb.108:
	s_or_b64 exec, exec, s[12:13]
	v_cmp_ne_u32_e64 s[12:13], 7, v21
	s_and_b64 s[62:63], s[12:13], s[18:19]
	s_waitcnt lgkmcnt(0)
	s_barrier
	s_and_saveexec_b64 s[12:13], s[62:63]
	s_cbranch_execz .LBB170_110
; %bb.109:
	v_lshlrev_b32_e32 v30, 4, v21
	ds_read_b128 v[26:29], v25
	ds_read_b128 v[30:33], v30 offset:12032
	s_waitcnt lgkmcnt(0)
	v_mul_f64 v[34:35], v[28:29], v[32:33]
	v_mul_f64 v[32:33], v[26:27], v[32:33]
	v_fma_f64 v[26:27], v[26:27], v[30:31], -v[34:35]
	v_fma_f64 v[28:29], v[28:29], v[30:31], v[32:33]
	v_add_f64 v[10:11], v[10:11], -v[26:27]
	v_add_f64 v[12:13], v[12:13], -v[28:29]
.LBB170_110:
	s_or_b64 exec, exec, s[12:13]
	v_cmp_eq_u32_e64 s[12:13], 6, v21
	s_and_b64 s[64:65], s[12:13], s[18:19]
	s_barrier
	s_and_saveexec_b64 s[12:13], s[64:65]
; %bb.111:
	v_xor_b32_e32 v27, 0x80000000, v11
	v_xor_b32_e32 v29, 0x80000000, v13
	v_mov_b32_e32 v26, v10
	v_mov_b32_e32 v28, v12
	ds_write_b128 v25, v[26:29]
; %bb.112:
	s_or_b64 exec, exec, s[12:13]
	v_cmp_gt_u32_e64 s[12:13], 6, v21
	s_and_b64 s[66:67], s[12:13], s[18:19]
	s_waitcnt lgkmcnt(0)
	s_barrier
	s_and_saveexec_b64 s[12:13], s[66:67]
	s_cbranch_execz .LBB170_114
; %bb.113:
	v_lshlrev_b32_e32 v30, 4, v21
	ds_read_b128 v[26:29], v25
	ds_read_b128 v[30:33], v30 offset:11520
	s_waitcnt lgkmcnt(0)
	v_mul_f64 v[34:35], v[28:29], v[32:33]
	v_mul_f64 v[32:33], v[26:27], v[32:33]
	v_fma_f64 v[26:27], v[26:27], v[30:31], -v[34:35]
	v_fma_f64 v[28:29], v[28:29], v[30:31], v[32:33]
	v_add_f64 v[10:11], v[10:11], -v[26:27]
	v_add_f64 v[12:13], v[12:13], -v[28:29]
.LBB170_114:
	s_or_b64 exec, exec, s[12:13]
	v_cmp_eq_u32_e64 s[12:13], 5, v21
	s_and_b64 s[68:69], s[12:13], s[18:19]
	s_barrier
	s_and_saveexec_b64 s[12:13], s[68:69]
; %bb.115:
	v_xor_b32_e32 v27, 0x80000000, v11
	v_xor_b32_e32 v29, 0x80000000, v13
	v_mov_b32_e32 v26, v10
	v_mov_b32_e32 v28, v12
	ds_write_b128 v25, v[26:29]
; %bb.116:
	s_or_b64 exec, exec, s[12:13]
	v_cmp_gt_u32_e64 s[12:13], 5, v21
	;; [unrolled: 31-line block ×5, first 2 shown]
	s_and_b64 s[82:83], s[12:13], s[18:19]
	s_waitcnt lgkmcnt(0)
	s_barrier
	s_and_saveexec_b64 s[12:13], s[82:83]
	s_cbranch_execz .LBB170_130
; %bb.129:
	v_lshlrev_b32_e32 v30, 4, v21
	ds_read_b128 v[26:29], v25
	ds_read_b128 v[30:33], v30 offset:9472
	s_waitcnt lgkmcnt(0)
	v_mul_f64 v[34:35], v[28:29], v[32:33]
	v_mul_f64 v[32:33], v[26:27], v[32:33]
	v_fma_f64 v[26:27], v[26:27], v[30:31], -v[34:35]
	v_fma_f64 v[28:29], v[28:29], v[30:31], v[32:33]
	v_add_f64 v[10:11], v[10:11], -v[26:27]
	v_add_f64 v[12:13], v[12:13], -v[28:29]
.LBB170_130:
	s_or_b64 exec, exec, s[12:13]
	v_cmp_eq_u32_e64 s[12:13], 1, v21
	s_and_b64 s[84:85], s[12:13], s[18:19]
	s_barrier
	s_and_saveexec_b64 s[12:13], s[84:85]
; %bb.131:
	v_xor_b32_e32 v27, 0x80000000, v11
	v_xor_b32_e32 v29, 0x80000000, v13
	v_mov_b32_e32 v26, v10
	v_mov_b32_e32 v28, v12
	ds_write_b128 v25, v[26:29]
; %bb.132:
	s_or_b64 exec, exec, s[12:13]
	v_cmp_eq_u32_e64 s[12:13], 0, v21
	s_and_b64 s[58:59], s[12:13], s[18:19]
	s_waitcnt lgkmcnt(0)
	s_barrier
	s_and_saveexec_b64 s[12:13], s[58:59]
	s_cbranch_execz .LBB170_134
; %bb.133:
	v_mov_b32_e32 v30, 0
	ds_read_b128 v[26:29], v25
	ds_read_b128 v[30:33], v30 offset:8960
	s_waitcnt lgkmcnt(0)
	v_mul_f64 v[34:35], v[28:29], v[32:33]
	v_mul_f64 v[32:33], v[26:27], v[32:33]
	v_fma_f64 v[26:27], v[26:27], v[30:31], -v[34:35]
	v_fma_f64 v[28:29], v[28:29], v[30:31], v[32:33]
	v_add_f64 v[10:11], v[10:11], -v[26:27]
	v_add_f64 v[12:13], v[12:13], -v[28:29]
.LBB170_134:
	s_or_b64 exec, exec, s[12:13]
	s_barrier
	s_and_saveexec_b64 s[12:13], s[58:59]
; %bb.135:
	v_xor_b32_e32 v27, 0x80000000, v11
	v_xor_b32_e32 v29, 0x80000000, v13
	v_mov_b32_e32 v26, v10
	v_mov_b32_e32 v28, v12
	ds_write_b128 v25, v[26:29]
; %bb.136:
	s_or_b64 exec, exec, s[12:13]
	s_waitcnt lgkmcnt(0)
	s_barrier
	s_barrier
	s_and_saveexec_b64 s[12:13], s[8:9]
; %bb.137:
	v_lshlrev_b32_e32 v26, 4, v21
	v_lshl_or_b32 v26, v24, 9, v26
	ds_write_b128 v26, v[10:13] offset:12544
; %bb.138:
	s_or_b64 exec, exec, s[12:13]
	v_cmp_gt_u32_e64 s[12:13], 8, v0
	s_and_b64 s[86:87], s[10:11], s[12:13]
	s_waitcnt lgkmcnt(0)
	s_barrier
	s_barrier
	s_and_saveexec_b64 s[12:13], s[86:87]
	s_cbranch_execz .LBB170_140
; %bb.139:
	v_lshlrev_b32_e32 v26, 9, v0
	ds_read_b128 v[10:13], v26 offset:12544
	s_movk_i32 s14, 0xfe10
	v_mad_i32_i24 v27, v0, s14, v26
	s_waitcnt lgkmcnt(0)
	ds_write_b128 v27, v[10:13] offset:8576
	ds_read_b128 v[10:13], v26 offset:12560
	s_waitcnt lgkmcnt(0)
	ds_write_b128 v27, v[10:13] offset:9088
	ds_read_b128 v[10:13], v26 offset:12576
	;; [unrolled: 3-line block ×7, first 2 shown]
	s_waitcnt lgkmcnt(0)
	ds_write_b128 v27, v[10:13] offset:12160
.LBB170_140:
	s_or_b64 exec, exec, s[12:13]
	s_waitcnt lgkmcnt(0)
	s_barrier
	s_and_saveexec_b64 s[12:13], vcc
	s_cbranch_execz .LBB170_142
; %bb.141:
	v_mov_b32_e32 v30, 0
	s_mov_b32 s88, 0
	ds_read_b128 v[10:13], v30 offset:12128
	s_mov_b32 s89, 0x3ff00000
	s_mov_b32 s90, s88
	;; [unrolled: 1-line block ×3, first 2 shown]
	v_mov_b32_e32 v26, s88
	v_mov_b32_e32 v27, s89
	;; [unrolled: 1-line block ×4, first 2 shown]
	ds_write_b128 v30, v[26:29] offset:11616
	ds_write_b128 v30, v[26:29] offset:12144
	s_waitcnt lgkmcnt(2)
	ds_write_b128 v30, v[10:13] offset:11632
.LBB170_142:
	s_or_b64 exec, exec, s[12:13]
	v_mov_b32_e32 v10, 0
	v_mov_b32_e32 v12, 0
	;; [unrolled: 1-line block ×4, first 2 shown]
	s_waitcnt lgkmcnt(0)
	s_barrier
	buffer_wbinvl1_vol
	s_and_saveexec_b64 s[14:15], s[2:3]
	s_cbranch_execz .LBB170_146
; %bb.143:
	v_lshlrev_b32_e32 v26, 4, v14
	v_lshlrev_b32_e32 v10, 9, v15
	ds_read_b128 v[10:13], v10 offset:11616
	ds_read_b128 v[26:29], v26 offset:11584
	v_cmp_gt_u32_e64 s[12:13], 2, v17
	s_waitcnt lgkmcnt(0)
	v_mul_f64 v[30:31], v[12:13], v[28:29]
	v_mul_f64 v[28:29], v[10:11], v[28:29]
	v_fma_f64 v[10:11], v[10:11], v[26:27], -v[30:31]
	v_fma_f64 v[12:13], v[12:13], v[26:27], v[28:29]
	v_add_f64 v[10:11], v[10:11], 0
	v_add_f64 v[12:13], v[12:13], 0
	s_and_saveexec_b64 s[18:19], s[12:13]
	s_cbranch_execz .LBB170_145
; %bb.144:
	v_lshlrev_b32_e32 v30, 4, v0
	v_mov_b32_e32 v26, 0
	ds_read_b128 v[26:29], v26 offset:12144
	ds_read_b128 v[30:33], v30 offset:12096
	s_waitcnt lgkmcnt(0)
	v_mul_f64 v[34:35], v[28:29], v[32:33]
	v_mul_f64 v[32:33], v[26:27], v[32:33]
	v_fma_f64 v[26:27], v[26:27], v[30:31], -v[34:35]
	v_fma_f64 v[28:29], v[28:29], v[30:31], v[32:33]
	v_add_f64 v[10:11], v[10:11], v[26:27]
	v_add_f64 v[12:13], v[12:13], v[28:29]
.LBB170_145:
	s_or_b64 exec, exec, s[18:19]
.LBB170_146:
	s_or_b64 exec, exec, s[14:15]
	s_and_saveexec_b64 s[12:13], s[40:41]
; %bb.147:
	v_xor_b32_e32 v27, 0x80000000, v11
	v_xor_b32_e32 v29, 0x80000000, v13
	v_mov_b32_e32 v26, v10
	v_mov_b32_e32 v28, v12
	ds_write_b128 v16, v[26:29]
; %bb.148:
	s_or_b64 exec, exec, s[12:13]
	s_waitcnt lgkmcnt(0)
	s_barrier
	s_and_saveexec_b64 s[12:13], s[38:39]
	s_cbranch_execz .LBB170_150
; %bb.149:
	v_mov_b32_e32 v30, 0
	ds_read_b128 v[26:29], v16
	ds_read_b128 v[30:33], v30 offset:11072
	s_waitcnt lgkmcnt(0)
	v_mul_f64 v[34:35], v[26:27], v[30:31]
	v_mul_f64 v[26:27], v[26:27], v[32:33]
	v_fma_f64 v[32:33], v[28:29], v[32:33], -v[34:35]
	v_fma_f64 v[26:27], v[28:29], v[30:31], v[26:27]
	v_add_f64 v[10:11], v[10:11], v[32:33]
	v_add_f64 v[12:13], v[12:13], -v[26:27]
.LBB170_150:
	s_or_b64 exec, exec, s[12:13]
	s_barrier
	s_and_saveexec_b64 s[12:13], s[38:39]
; %bb.151:
	v_xor_b32_e32 v27, 0x80000000, v11
	v_xor_b32_e32 v29, 0x80000000, v13
	v_mov_b32_e32 v26, v10
	v_mov_b32_e32 v28, v12
	ds_write_b128 v16, v[26:29]
; %bb.152:
	s_or_b64 exec, exec, s[12:13]
	s_waitcnt lgkmcnt(0)
	s_barrier
	s_barrier
	s_and_saveexec_b64 s[12:13], s[2:3]
; %bb.153:
	v_lshlrev_b32_e32 v26, 4, v14
	v_lshl_or_b32 v26, v15, 9, v26
	ds_write_b128 v26, v[10:13] offset:11584
; %bb.154:
	s_or_b64 exec, exec, s[12:13]
	s_waitcnt lgkmcnt(0)
	s_barrier
	s_barrier
	s_and_saveexec_b64 s[12:13], s[42:43]
	s_cbranch_execz .LBB170_156
; %bb.155:
	v_lshlrev_b32_e32 v26, 9, v0
	ds_read_b128 v[10:13], v26 offset:11584
	s_movk_i32 s14, 0xfe10
	v_mad_i32_i24 v27, v0, s14, v26
	s_waitcnt lgkmcnt(0)
	ds_write_b128 v27, v[10:13] offset:10592
	ds_read_b128 v[10:13], v26 offset:11600
	s_waitcnt lgkmcnt(0)
	ds_write_b128 v27, v[10:13] offset:11104
.LBB170_156:
	s_or_b64 exec, exec, s[12:13]
	s_waitcnt lgkmcnt(0)
	s_barrier
	s_and_saveexec_b64 s[12:13], vcc
	s_cbranch_execz .LBB170_158
; %bb.157:
	v_mov_b32_e32 v30, 0
	s_mov_b32 s88, 0
	ds_read_b128 v[10:13], v30 offset:11072
	s_mov_b32 s89, 0x3ff00000
	s_mov_b32 s90, s88
	;; [unrolled: 1-line block ×3, first 2 shown]
	v_mov_b32_e32 v26, s88
	v_mov_b32_e32 v27, s89
	;; [unrolled: 1-line block ×4, first 2 shown]
	ds_write_b128 v30, v[26:29] offset:10560
	ds_write_b128 v30, v[26:29] offset:11088
	s_waitcnt lgkmcnt(2)
	ds_write_b128 v30, v[10:13] offset:10576
.LBB170_158:
	s_or_b64 exec, exec, s[12:13]
	v_mov_b32_e32 v12, 0
	v_mov_b32_e32 v10, 0
	;; [unrolled: 1-line block ×4, first 2 shown]
	s_waitcnt lgkmcnt(0)
	s_barrier
	buffer_wbinvl1_vol
	s_and_saveexec_b64 s[14:15], s[16:17]
	s_cbranch_execz .LBB170_164
; %bb.159:
	v_lshlrev_b32_e32 v27, 9, v19
	v_lshlrev_b32_e32 v26, 4, v18
	ds_read_b128 v[10:13], v27 offset:10560
	ds_read_b128 v[28:31], v26 offset:10496
	v_cmp_gt_u32_e64 s[12:13], 12, v17
	s_waitcnt lgkmcnt(0)
	v_mul_f64 v[32:33], v[12:13], v[30:31]
	v_mul_f64 v[30:31], v[10:11], v[30:31]
	v_fma_f64 v[10:11], v[10:11], v[28:29], -v[32:33]
	v_fma_f64 v[12:13], v[12:13], v[28:29], v[30:31]
	v_add_f64 v[10:11], v[10:11], 0
	v_add_f64 v[12:13], v[12:13], 0
	s_and_saveexec_b64 s[18:19], s[12:13]
	s_cbranch_execnz .LBB170_527
; %bb.160:
	s_or_b64 exec, exec, s[18:19]
	v_cmp_gt_u32_e64 s[12:13], 8, v17
	s_and_saveexec_b64 s[18:19], s[12:13]
	s_cbranch_execnz .LBB170_528
.LBB170_161:
	s_or_b64 exec, exec, s[18:19]
	v_cmp_gt_u32_e64 s[12:13], 4, v17
	s_and_saveexec_b64 s[18:19], s[12:13]
	s_cbranch_execz .LBB170_163
.LBB170_162:
	v_lshlrev_b32_e32 v30, 4, v0
	v_mov_b32_e32 v26, 0
	ds_read_b128 v[26:29], v26 offset:12144
	ds_read_b128 v[30:33], v30 offset:12032
	s_waitcnt lgkmcnt(0)
	v_mul_f64 v[34:35], v[28:29], v[32:33]
	v_mul_f64 v[32:33], v[26:27], v[32:33]
	v_fma_f64 v[26:27], v[26:27], v[30:31], -v[34:35]
	v_fma_f64 v[28:29], v[28:29], v[30:31], v[32:33]
	v_add_f64 v[10:11], v[10:11], v[26:27]
	v_add_f64 v[12:13], v[12:13], v[28:29]
.LBB170_163:
	s_or_b64 exec, exec, s[18:19]
.LBB170_164:
	s_or_b64 exec, exec, s[14:15]
	s_and_saveexec_b64 s[12:13], s[46:47]
; %bb.165:
	v_xor_b32_e32 v29, 0x80000000, v13
	v_xor_b32_e32 v27, 0x80000000, v11
	v_mov_b32_e32 v26, v10
	v_mov_b32_e32 v28, v12
	ds_write_b128 v20, v[26:29]
; %bb.166:
	s_or_b64 exec, exec, s[12:13]
	s_waitcnt lgkmcnt(0)
	s_barrier
	s_and_saveexec_b64 s[12:13], s[48:49]
	s_cbranch_execz .LBB170_168
; %bb.167:
	v_lshlrev_b32_e32 v30, 4, v18
	ds_read_b128 v[26:29], v20
	ds_read_b128 v[30:33], v30 offset:9984
	s_waitcnt lgkmcnt(0)
	v_mul_f64 v[34:35], v[28:29], v[32:33]
	v_mul_f64 v[32:33], v[26:27], v[32:33]
	v_fma_f64 v[26:27], v[26:27], v[30:31], -v[34:35]
	v_fma_f64 v[28:29], v[28:29], v[30:31], v[32:33]
	v_add_f64 v[10:11], v[10:11], -v[26:27]
	v_add_f64 v[12:13], v[12:13], -v[28:29]
.LBB170_168:
	s_or_b64 exec, exec, s[12:13]
	s_barrier
	s_and_saveexec_b64 s[12:13], s[50:51]
; %bb.169:
	v_xor_b32_e32 v29, 0x80000000, v13
	v_xor_b32_e32 v27, 0x80000000, v11
	v_mov_b32_e32 v26, v10
	v_mov_b32_e32 v28, v12
	ds_write_b128 v20, v[26:29]
; %bb.170:
	s_or_b64 exec, exec, s[12:13]
	s_waitcnt lgkmcnt(0)
	s_barrier
	s_and_saveexec_b64 s[12:13], s[52:53]
	s_cbranch_execz .LBB170_172
; %bb.171:
	v_lshlrev_b32_e32 v30, 4, v18
	ds_read_b128 v[26:29], v20
	ds_read_b128 v[30:33], v30 offset:9472
	s_waitcnt lgkmcnt(0)
	v_mul_f64 v[34:35], v[28:29], v[32:33]
	v_mul_f64 v[32:33], v[26:27], v[32:33]
	v_fma_f64 v[26:27], v[26:27], v[30:31], -v[34:35]
	v_fma_f64 v[28:29], v[28:29], v[30:31], v[32:33]
	v_add_f64 v[10:11], v[10:11], -v[26:27]
	v_add_f64 v[12:13], v[12:13], -v[28:29]
.LBB170_172:
	s_or_b64 exec, exec, s[12:13]
	s_barrier
	s_and_saveexec_b64 s[12:13], s[54:55]
; %bb.173:
	v_xor_b32_e32 v29, 0x80000000, v13
	v_xor_b32_e32 v27, 0x80000000, v11
	v_mov_b32_e32 v26, v10
	v_mov_b32_e32 v28, v12
	ds_write_b128 v20, v[26:29]
; %bb.174:
	s_or_b64 exec, exec, s[12:13]
	s_waitcnt lgkmcnt(0)
	s_barrier
	s_and_saveexec_b64 s[12:13], s[44:45]
	s_cbranch_execz .LBB170_176
; %bb.175:
	v_mov_b32_e32 v30, 0
	ds_read_b128 v[26:29], v20
	ds_read_b128 v[30:33], v30 offset:8960
	s_waitcnt lgkmcnt(0)
	v_mul_f64 v[34:35], v[28:29], v[32:33]
	v_mul_f64 v[32:33], v[26:27], v[32:33]
	v_fma_f64 v[26:27], v[26:27], v[30:31], -v[34:35]
	v_fma_f64 v[28:29], v[28:29], v[30:31], v[32:33]
	v_add_f64 v[10:11], v[10:11], -v[26:27]
	v_add_f64 v[12:13], v[12:13], -v[28:29]
.LBB170_176:
	s_or_b64 exec, exec, s[12:13]
	s_barrier
	s_and_saveexec_b64 s[12:13], s[44:45]
; %bb.177:
	v_xor_b32_e32 v29, 0x80000000, v13
	v_xor_b32_e32 v27, 0x80000000, v11
	v_mov_b32_e32 v26, v10
	v_mov_b32_e32 v28, v12
	ds_write_b128 v20, v[26:29]
; %bb.178:
	s_or_b64 exec, exec, s[12:13]
	s_waitcnt lgkmcnt(0)
	s_barrier
	s_barrier
	s_and_saveexec_b64 s[12:13], s[16:17]
; %bb.179:
	v_lshlrev_b32_e32 v26, 4, v18
	v_lshl_or_b32 v26, v19, 9, v26
	ds_write_b128 v26, v[10:13] offset:10496
; %bb.180:
	s_or_b64 exec, exec, s[12:13]
	s_waitcnt lgkmcnt(0)
	s_barrier
	s_barrier
	s_and_saveexec_b64 s[12:13], s[56:57]
	s_cbranch_execz .LBB170_182
; %bb.181:
	v_lshlrev_b32_e32 v26, 4, v0
	s_movk_i32 s14, 0x1f0
	v_mad_u32_u24 v27, v0, s14, v26
	ds_read_b128 v[10:13], v27 offset:10496
	s_waitcnt lgkmcnt(0)
	ds_write_b128 v26, v[10:13] offset:8512
	ds_read_b128 v[10:13], v27 offset:10512
	s_waitcnt lgkmcnt(0)
	ds_write_b128 v26, v[10:13] offset:9024
	;; [unrolled: 3-line block ×4, first 2 shown]
.LBB170_182:
	s_or_b64 exec, exec, s[12:13]
	s_waitcnt lgkmcnt(0)
	s_barrier
	s_and_saveexec_b64 s[12:13], vcc
	s_cbranch_execz .LBB170_184
; %bb.183:
	v_mov_b32_e32 v30, 0
	s_mov_b32 s88, 0
	ds_read_b128 v[10:13], v30 offset:10016
	s_mov_b32 s89, 0x3ff00000
	s_mov_b32 s90, s88
	;; [unrolled: 1-line block ×3, first 2 shown]
	v_mov_b32_e32 v26, s88
	v_mov_b32_e32 v27, s89
	;; [unrolled: 1-line block ×4, first 2 shown]
	ds_write_b128 v30, v[26:29] offset:9504
	ds_write_b128 v30, v[26:29] offset:10032
	s_waitcnt lgkmcnt(2)
	ds_write_b128 v30, v[10:13] offset:9520
.LBB170_184:
	s_or_b64 exec, exec, s[12:13]
	v_mov_b32_e32 v10, 0
	v_mov_b32_e32 v12, 0
	;; [unrolled: 1-line block ×4, first 2 shown]
	s_waitcnt lgkmcnt(0)
	s_barrier
	buffer_wbinvl1_vol
	s_and_saveexec_b64 s[14:15], s[2:3]
	s_cbranch_execz .LBB170_188
; %bb.185:
	v_lshlrev_b32_e32 v26, 4, v14
	v_lshlrev_b32_e32 v10, 9, v15
	ds_read_b128 v[10:13], v10 offset:9504
	ds_read_b128 v[26:29], v26 offset:9472
	v_cmp_gt_u32_e64 s[12:13], 2, v17
	s_waitcnt lgkmcnt(0)
	v_mul_f64 v[30:31], v[12:13], v[28:29]
	v_mul_f64 v[28:29], v[10:11], v[28:29]
	v_fma_f64 v[10:11], v[10:11], v[26:27], -v[30:31]
	v_fma_f64 v[12:13], v[12:13], v[26:27], v[28:29]
	v_add_f64 v[10:11], v[10:11], 0
	v_add_f64 v[12:13], v[12:13], 0
	s_and_saveexec_b64 s[18:19], s[12:13]
	s_cbranch_execz .LBB170_187
; %bb.186:
	v_lshlrev_b32_e32 v30, 4, v0
	v_mov_b32_e32 v26, 0
	ds_read_b128 v[26:29], v26 offset:10032
	ds_read_b128 v[30:33], v30 offset:9984
	s_waitcnt lgkmcnt(0)
	v_mul_f64 v[34:35], v[28:29], v[32:33]
	v_mul_f64 v[32:33], v[26:27], v[32:33]
	v_fma_f64 v[26:27], v[26:27], v[30:31], -v[34:35]
	v_fma_f64 v[28:29], v[28:29], v[30:31], v[32:33]
	v_add_f64 v[10:11], v[10:11], v[26:27]
	v_add_f64 v[12:13], v[12:13], v[28:29]
.LBB170_187:
	s_or_b64 exec, exec, s[18:19]
.LBB170_188:
	s_or_b64 exec, exec, s[14:15]
	s_and_saveexec_b64 s[12:13], s[40:41]
; %bb.189:
	v_xor_b32_e32 v27, 0x80000000, v11
	v_xor_b32_e32 v29, 0x80000000, v13
	v_mov_b32_e32 v26, v10
	v_mov_b32_e32 v28, v12
	ds_write_b128 v16, v[26:29]
; %bb.190:
	s_or_b64 exec, exec, s[12:13]
	s_waitcnt lgkmcnt(0)
	s_barrier
	s_and_saveexec_b64 s[12:13], s[38:39]
	s_cbranch_execz .LBB170_192
; %bb.191:
	v_mov_b32_e32 v30, 0
	ds_read_b128 v[26:29], v16
	ds_read_b128 v[30:33], v30 offset:8960
	s_waitcnt lgkmcnt(0)
	v_mul_f64 v[34:35], v[26:27], v[30:31]
	v_mul_f64 v[26:27], v[26:27], v[32:33]
	v_fma_f64 v[32:33], v[28:29], v[32:33], -v[34:35]
	v_fma_f64 v[26:27], v[28:29], v[30:31], v[26:27]
	v_add_f64 v[10:11], v[10:11], v[32:33]
	v_add_f64 v[12:13], v[12:13], -v[26:27]
.LBB170_192:
	s_or_b64 exec, exec, s[12:13]
	s_barrier
	s_and_saveexec_b64 s[12:13], s[38:39]
; %bb.193:
	v_xor_b32_e32 v27, 0x80000000, v11
	v_xor_b32_e32 v29, 0x80000000, v13
	v_mov_b32_e32 v26, v10
	v_mov_b32_e32 v28, v12
	ds_write_b128 v16, v[26:29]
; %bb.194:
	s_or_b64 exec, exec, s[12:13]
	s_waitcnt lgkmcnt(0)
	s_barrier
	s_barrier
	s_and_saveexec_b64 s[12:13], s[2:3]
; %bb.195:
	v_lshlrev_b32_e32 v26, 4, v14
	v_lshl_or_b32 v26, v15, 9, v26
	ds_write_b128 v26, v[10:13] offset:9472
; %bb.196:
	s_or_b64 exec, exec, s[12:13]
	s_waitcnt lgkmcnt(0)
	s_barrier
	s_barrier
	s_and_saveexec_b64 s[12:13], s[42:43]
	s_cbranch_execz .LBB170_198
; %bb.197:
	v_lshlrev_b32_e32 v26, 9, v0
	ds_read_b128 v[10:13], v26 offset:9472
	s_movk_i32 s14, 0xfe10
	v_mad_i32_i24 v27, v0, s14, v26
	s_waitcnt lgkmcnt(0)
	ds_write_b128 v27, v[10:13] offset:8480
	ds_read_b128 v[10:13], v26 offset:9488
	s_waitcnt lgkmcnt(0)
	ds_write_b128 v27, v[10:13] offset:8992
.LBB170_198:
	s_or_b64 exec, exec, s[12:13]
	s_waitcnt lgkmcnt(0)
	s_barrier
	s_and_saveexec_b64 s[12:13], vcc
	s_cbranch_execz .LBB170_200
; %bb.199:
	v_mov_b32_e32 v30, 0
	s_mov_b32 s88, 0
	ds_read_b128 v[10:13], v30 offset:8960
	s_mov_b32 s89, 0x3ff00000
	s_mov_b32 s90, s88
	s_mov_b32 s91, s88
	v_mov_b32_e32 v26, s88
	v_mov_b32_e32 v27, s89
	;; [unrolled: 1-line block ×4, first 2 shown]
	ds_write_b128 v30, v[26:29] offset:8448
	ds_write_b128 v30, v[26:29] offset:8976
	s_waitcnt lgkmcnt(2)
	ds_write_b128 v30, v[10:13] offset:8464
.LBB170_200:
	s_or_b64 exec, exec, s[12:13]
	s_movk_i32 s12, 0xff
	v_lshrrev_b32_e32 v28, 4, v17
	v_cmp_lt_u32_e64 s[14:15], s12, v17
	s_movk_i32 s12, 0x100
	v_mov_b32_e32 v12, 0
	v_mov_b32_e32 v10, 0
	v_and_b32_e32 v26, 15, v0
	v_sub_u32_e32 v27, 15, v28
	v_mov_b32_e32 v13, 0
	v_mov_b32_e32 v11, 0
	v_cmp_gt_u32_e64 s[12:13], s12, v17
	s_waitcnt lgkmcnt(0)
	s_barrier
	buffer_wbinvl1_vol
	s_and_saveexec_b64 s[88:89], s[12:13]
	s_cbranch_execz .LBB170_228
; %bb.201:
	v_lshlrev_b32_e32 v30, 9, v27
	v_lshlrev_b32_e32 v29, 4, v26
	ds_read_b128 v[10:13], v30 offset:8448
	ds_read_b128 v[31:34], v29 offset:8192
	s_movk_i32 s18, 0xf0
	v_cmp_gt_u32_e64 s[18:19], s18, v17
	s_waitcnt lgkmcnt(0)
	v_mul_f64 v[35:36], v[12:13], v[33:34]
	v_mul_f64 v[33:34], v[10:11], v[33:34]
	v_fma_f64 v[10:11], v[10:11], v[31:32], -v[35:36]
	v_fma_f64 v[12:13], v[12:13], v[31:32], v[33:34]
	v_add_f64 v[10:11], v[10:11], 0
	v_add_f64 v[12:13], v[12:13], 0
	s_and_saveexec_b64 s[90:91], s[18:19]
	s_cbranch_execz .LBB170_203
; %bb.202:
	ds_read_b128 v[31:34], v30 offset:8464
	ds_read_b128 v[35:38], v29 offset:8704
	s_waitcnt lgkmcnt(0)
	v_mul_f64 v[39:40], v[33:34], v[37:38]
	v_mul_f64 v[37:38], v[31:32], v[37:38]
	v_fma_f64 v[31:32], v[31:32], v[35:36], -v[39:40]
	v_fma_f64 v[33:34], v[33:34], v[35:36], v[37:38]
	v_add_f64 v[10:11], v[10:11], v[31:32]
	v_add_f64 v[12:13], v[12:13], v[33:34]
.LBB170_203:
	s_or_b64 exec, exec, s[90:91]
	s_movk_i32 s18, 0xe0
	v_cmp_gt_u32_e64 s[18:19], s18, v17
	s_and_saveexec_b64 s[90:91], s[18:19]
	s_cbranch_execz .LBB170_205
; %bb.204:
	ds_read_b128 v[31:34], v30 offset:8480
	ds_read_b128 v[35:38], v29 offset:9216
	s_waitcnt lgkmcnt(0)
	v_mul_f64 v[39:40], v[33:34], v[37:38]
	v_mul_f64 v[37:38], v[31:32], v[37:38]
	v_fma_f64 v[31:32], v[31:32], v[35:36], -v[39:40]
	v_fma_f64 v[33:34], v[33:34], v[35:36], v[37:38]
	v_add_f64 v[10:11], v[10:11], v[31:32]
	v_add_f64 v[12:13], v[12:13], v[33:34]
.LBB170_205:
	s_or_b64 exec, exec, s[90:91]
	s_movk_i32 s18, 0xd0
	v_cmp_gt_u32_e64 s[18:19], s18, v17
	;; [unrolled: 16-line block ×10, first 2 shown]
	s_and_saveexec_b64 s[90:91], s[18:19]
	s_cbranch_execnz .LBB170_529
; %bb.222:
	s_or_b64 exec, exec, s[90:91]
	s_and_saveexec_b64 s[18:19], s[8:9]
	s_cbranch_execnz .LBB170_530
.LBB170_223:
	s_or_b64 exec, exec, s[18:19]
	v_cmp_gt_u32_e64 s[18:19], 48, v17
	s_and_saveexec_b64 s[90:91], s[18:19]
	s_cbranch_execnz .LBB170_531
.LBB170_224:
	s_or_b64 exec, exec, s[90:91]
	v_cmp_gt_u32_e64 s[18:19], 32, v17
	s_and_saveexec_b64 s[90:91], s[18:19]
	s_cbranch_execnz .LBB170_532
.LBB170_225:
	s_or_b64 exec, exec, s[90:91]
	v_cmp_gt_u32_e64 s[18:19], 16, v17
	s_and_saveexec_b64 s[90:91], s[18:19]
	s_cbranch_execz .LBB170_227
.LBB170_226:
	v_lshlrev_b32_e32 v33, 4, v0
	v_mov_b32_e32 v29, 0
	ds_read_b128 v[29:32], v29 offset:16368
	ds_read_b128 v[33:36], v33 offset:15872
	s_waitcnt lgkmcnt(0)
	v_mul_f64 v[37:38], v[31:32], v[35:36]
	v_mul_f64 v[35:36], v[29:30], v[35:36]
	v_fma_f64 v[29:30], v[29:30], v[33:34], -v[37:38]
	v_fma_f64 v[31:32], v[31:32], v[33:34], v[35:36]
	v_add_f64 v[10:11], v[10:11], v[29:30]
	v_add_f64 v[12:13], v[12:13], v[31:32]
.LBB170_227:
	s_or_b64 exec, exec, s[90:91]
.LBB170_228:
	s_or_b64 exec, exec, s[88:89]
	v_mov_b32_e32 v29, 0x4000
	v_cmp_eq_u32_e64 s[18:19], 15, v26
	s_xor_b64 s[88:89], s[14:15], -1
	v_lshl_add_u32 v28, v28, 4, v29
	s_and_b64 s[18:19], s[18:19], s[88:89]
	s_and_saveexec_b64 s[14:15], s[18:19]
; %bb.229:
	v_xor_b32_e32 v32, 0x80000000, v13
	v_xor_b32_e32 v30, 0x80000000, v11
	v_mov_b32_e32 v29, v10
	v_mov_b32_e32 v31, v12
	ds_write_b128 v28, v[29:32]
; %bb.230:
	s_or_b64 exec, exec, s[14:15]
	v_cmp_ne_u32_e64 s[14:15], 15, v26
	s_and_b64 s[18:19], s[14:15], s[88:89]
	s_waitcnt lgkmcnt(0)
	s_barrier
	s_and_saveexec_b64 s[14:15], s[18:19]
	s_cbranch_execz .LBB170_232
; %bb.231:
	v_lshlrev_b32_e32 v33, 4, v26
	ds_read_b128 v[29:32], v28
	ds_read_b128 v[33:36], v33 offset:7680
	s_waitcnt lgkmcnt(0)
	v_mul_f64 v[37:38], v[31:32], v[35:36]
	v_mul_f64 v[35:36], v[29:30], v[35:36]
	v_fma_f64 v[29:30], v[29:30], v[33:34], -v[37:38]
	v_fma_f64 v[31:32], v[31:32], v[33:34], v[35:36]
	v_add_f64 v[10:11], v[10:11], -v[29:30]
	v_add_f64 v[12:13], v[12:13], -v[31:32]
.LBB170_232:
	s_or_b64 exec, exec, s[14:15]
	v_cmp_eq_u32_e64 s[14:15], 14, v26
	s_and_b64 s[18:19], s[14:15], s[88:89]
	s_barrier
	s_and_saveexec_b64 s[14:15], s[18:19]
; %bb.233:
	v_xor_b32_e32 v32, 0x80000000, v13
	v_xor_b32_e32 v30, 0x80000000, v11
	v_mov_b32_e32 v29, v10
	v_mov_b32_e32 v31, v12
	ds_write_b128 v28, v[29:32]
; %bb.234:
	s_or_b64 exec, exec, s[14:15]
	v_cmp_gt_u32_e64 s[14:15], 14, v26
	s_and_b64 s[18:19], s[14:15], s[88:89]
	s_waitcnt lgkmcnt(0)
	s_barrier
	s_and_saveexec_b64 s[14:15], s[18:19]
	s_cbranch_execz .LBB170_236
; %bb.235:
	v_lshlrev_b32_e32 v33, 4, v26
	ds_read_b128 v[29:32], v28
	ds_read_b128 v[33:36], v33 offset:7168
	s_waitcnt lgkmcnt(0)
	v_mul_f64 v[37:38], v[31:32], v[35:36]
	v_mul_f64 v[35:36], v[29:30], v[35:36]
	v_fma_f64 v[29:30], v[29:30], v[33:34], -v[37:38]
	v_fma_f64 v[31:32], v[31:32], v[33:34], v[35:36]
	v_add_f64 v[10:11], v[10:11], -v[29:30]
	v_add_f64 v[12:13], v[12:13], -v[31:32]
.LBB170_236:
	s_or_b64 exec, exec, s[14:15]
	v_cmp_eq_u32_e64 s[14:15], 13, v26
	s_and_b64 s[18:19], s[14:15], s[88:89]
	s_barrier
	s_and_saveexec_b64 s[14:15], s[18:19]
; %bb.237:
	v_xor_b32_e32 v32, 0x80000000, v13
	v_xor_b32_e32 v30, 0x80000000, v11
	v_mov_b32_e32 v29, v10
	v_mov_b32_e32 v31, v12
	ds_write_b128 v28, v[29:32]
; %bb.238:
	s_or_b64 exec, exec, s[14:15]
	v_cmp_gt_u32_e64 s[14:15], 13, v26
	;; [unrolled: 31-line block ×13, first 2 shown]
	s_and_b64 s[18:19], s[14:15], s[88:89]
	s_waitcnt lgkmcnt(0)
	s_barrier
	s_and_saveexec_b64 s[14:15], s[18:19]
	s_cbranch_execz .LBB170_284
; %bb.283:
	v_lshlrev_b32_e32 v33, 4, v26
	ds_read_b128 v[29:32], v28
	ds_read_b128 v[33:36], v33 offset:1024
	s_waitcnt lgkmcnt(0)
	v_mul_f64 v[37:38], v[31:32], v[35:36]
	v_mul_f64 v[35:36], v[29:30], v[35:36]
	v_fma_f64 v[29:30], v[29:30], v[33:34], -v[37:38]
	v_fma_f64 v[31:32], v[31:32], v[33:34], v[35:36]
	v_add_f64 v[10:11], v[10:11], -v[29:30]
	v_add_f64 v[12:13], v[12:13], -v[31:32]
.LBB170_284:
	s_or_b64 exec, exec, s[14:15]
	v_cmp_eq_u32_e64 s[14:15], 1, v26
	s_and_b64 s[18:19], s[14:15], s[88:89]
	s_barrier
	s_and_saveexec_b64 s[14:15], s[18:19]
; %bb.285:
	v_xor_b32_e32 v32, 0x80000000, v13
	v_xor_b32_e32 v30, 0x80000000, v11
	v_mov_b32_e32 v29, v10
	v_mov_b32_e32 v31, v12
	ds_write_b128 v28, v[29:32]
; %bb.286:
	s_or_b64 exec, exec, s[14:15]
	v_cmp_eq_u32_e64 s[14:15], 0, v26
	s_and_b64 s[14:15], s[14:15], s[88:89]
	s_waitcnt lgkmcnt(0)
	s_barrier
	s_and_saveexec_b64 s[18:19], s[14:15]
	s_cbranch_execz .LBB170_288
; %bb.287:
	v_mov_b32_e32 v33, 0
	ds_read_b128 v[29:32], v28
	ds_read_b128 v[33:36], v33 offset:512
	s_waitcnt lgkmcnt(0)
	v_mul_f64 v[37:38], v[31:32], v[35:36]
	v_mul_f64 v[35:36], v[29:30], v[35:36]
	v_fma_f64 v[29:30], v[29:30], v[33:34], -v[37:38]
	v_fma_f64 v[31:32], v[31:32], v[33:34], v[35:36]
	v_add_f64 v[10:11], v[10:11], -v[29:30]
	v_add_f64 v[12:13], v[12:13], -v[31:32]
.LBB170_288:
	s_or_b64 exec, exec, s[18:19]
	s_barrier
	s_and_saveexec_b64 s[18:19], s[14:15]
; %bb.289:
	v_xor_b32_e32 v32, 0x80000000, v13
	v_xor_b32_e32 v30, 0x80000000, v11
	v_mov_b32_e32 v29, v10
	v_mov_b32_e32 v31, v12
	ds_write_b128 v28, v[29:32]
; %bb.290:
	s_or_b64 exec, exec, s[18:19]
	s_waitcnt lgkmcnt(0)
	s_barrier
	s_barrier
	s_and_saveexec_b64 s[14:15], s[12:13]
; %bb.291:
	v_lshlrev_b32_e32 v26, 4, v26
	v_lshl_or_b32 v26, v27, 9, v26
	ds_write_b128 v26, v[10:13] offset:8192
; %bb.292:
	s_or_b64 exec, exec, s[14:15]
	v_cmp_gt_u32_e64 s[12:13], 16, v0
	s_and_b64 s[12:13], s[10:11], s[12:13]
	s_waitcnt lgkmcnt(0)
	s_barrier
	s_barrier
	s_and_saveexec_b64 s[10:11], s[12:13]
	s_cbranch_execz .LBB170_294
; %bb.293:
	v_lshlrev_b32_e32 v26, 9, v0
	ds_read_b128 v[10:13], v26 offset:8192
	s_movk_i32 s12, 0xfe10
	v_mad_i32_i24 v27, v0, s12, v26
	s_waitcnt lgkmcnt(0)
	ds_write_b128 v27, v[10:13] offset:256
	ds_read_b128 v[10:13], v26 offset:8208
	s_waitcnt lgkmcnt(0)
	ds_write_b128 v27, v[10:13] offset:768
	ds_read_b128 v[10:13], v26 offset:8224
	;; [unrolled: 3-line block ×15, first 2 shown]
	s_waitcnt lgkmcnt(0)
	ds_write_b128 v27, v[10:13] offset:7936
.LBB170_294:
	s_or_b64 exec, exec, s[10:11]
	s_waitcnt lgkmcnt(0)
	s_barrier
	s_and_saveexec_b64 s[10:11], vcc
	s_cbranch_execz .LBB170_296
; %bb.295:
	s_mov_b32 s12, 0
	v_mov_b32_e32 v30, 0
	ds_read_b128 v[10:13], v30 offset:7904
	s_mov_b32 s15, s12
	s_mov_b32 s13, 0x3ff00000
	;; [unrolled: 1-line block ×3, first 2 shown]
	v_mov_b32_e32 v29, s15
	v_mov_b32_e32 v28, s14
	;; [unrolled: 1-line block ×4, first 2 shown]
	ds_write_b128 v30, v[26:29] offset:7392
	ds_write_b128 v30, v[26:29] offset:7920
	s_waitcnt lgkmcnt(2)
	ds_write_b128 v30, v[10:13] offset:7408
.LBB170_296:
	s_or_b64 exec, exec, s[10:11]
	v_mov_b32_e32 v10, 0
	v_mov_b32_e32 v12, 0
	;; [unrolled: 1-line block ×4, first 2 shown]
	s_waitcnt lgkmcnt(0)
	s_barrier
	buffer_wbinvl1_vol
	s_and_saveexec_b64 s[12:13], s[2:3]
	s_cbranch_execz .LBB170_300
; %bb.297:
	v_lshlrev_b32_e32 v26, 4, v14
	v_lshlrev_b32_e32 v10, 9, v15
	ds_read_b128 v[10:13], v10 offset:7392
	ds_read_b128 v[26:29], v26 offset:7360
	v_cmp_gt_u32_e64 s[10:11], 2, v17
	s_waitcnt lgkmcnt(0)
	v_mul_f64 v[30:31], v[12:13], v[28:29]
	v_mul_f64 v[28:29], v[10:11], v[28:29]
	v_fma_f64 v[10:11], v[10:11], v[26:27], -v[30:31]
	v_fma_f64 v[12:13], v[12:13], v[26:27], v[28:29]
	v_add_f64 v[10:11], v[10:11], 0
	v_add_f64 v[12:13], v[12:13], 0
	s_and_saveexec_b64 s[14:15], s[10:11]
	s_cbranch_execz .LBB170_299
; %bb.298:
	v_lshlrev_b32_e32 v30, 4, v0
	v_mov_b32_e32 v26, 0
	ds_read_b128 v[26:29], v26 offset:7920
	ds_read_b128 v[30:33], v30 offset:7872
	s_waitcnt lgkmcnt(0)
	v_mul_f64 v[34:35], v[28:29], v[32:33]
	v_mul_f64 v[32:33], v[26:27], v[32:33]
	v_fma_f64 v[26:27], v[26:27], v[30:31], -v[34:35]
	v_fma_f64 v[28:29], v[28:29], v[30:31], v[32:33]
	v_add_f64 v[10:11], v[10:11], v[26:27]
	v_add_f64 v[12:13], v[12:13], v[28:29]
.LBB170_299:
	s_or_b64 exec, exec, s[14:15]
.LBB170_300:
	s_or_b64 exec, exec, s[12:13]
	s_and_saveexec_b64 s[10:11], s[40:41]
; %bb.301:
	v_xor_b32_e32 v27, 0x80000000, v11
	v_xor_b32_e32 v29, 0x80000000, v13
	v_mov_b32_e32 v26, v10
	v_mov_b32_e32 v28, v12
	ds_write_b128 v16, v[26:29]
; %bb.302:
	s_or_b64 exec, exec, s[10:11]
	s_waitcnt lgkmcnt(0)
	s_barrier
	s_and_saveexec_b64 s[10:11], s[38:39]
	s_cbranch_execz .LBB170_304
; %bb.303:
	v_mov_b32_e32 v30, 0
	ds_read_b128 v[26:29], v16
	ds_read_b128 v[30:33], v30 offset:6848
	s_waitcnt lgkmcnt(0)
	v_mul_f64 v[34:35], v[26:27], v[30:31]
	v_mul_f64 v[26:27], v[26:27], v[32:33]
	v_fma_f64 v[32:33], v[28:29], v[32:33], -v[34:35]
	v_fma_f64 v[26:27], v[28:29], v[30:31], v[26:27]
	v_add_f64 v[10:11], v[10:11], v[32:33]
	v_add_f64 v[12:13], v[12:13], -v[26:27]
.LBB170_304:
	s_or_b64 exec, exec, s[10:11]
	s_barrier
	s_and_saveexec_b64 s[10:11], s[38:39]
; %bb.305:
	v_xor_b32_e32 v27, 0x80000000, v11
	v_xor_b32_e32 v29, 0x80000000, v13
	v_mov_b32_e32 v26, v10
	v_mov_b32_e32 v28, v12
	ds_write_b128 v16, v[26:29]
; %bb.306:
	s_or_b64 exec, exec, s[10:11]
	s_waitcnt lgkmcnt(0)
	s_barrier
	s_barrier
	s_and_saveexec_b64 s[10:11], s[2:3]
; %bb.307:
	v_lshlrev_b32_e32 v26, 4, v14
	v_lshl_or_b32 v26, v15, 9, v26
	ds_write_b128 v26, v[10:13] offset:7360
; %bb.308:
	s_or_b64 exec, exec, s[10:11]
	s_waitcnt lgkmcnt(0)
	s_barrier
	s_barrier
	s_and_saveexec_b64 s[10:11], s[42:43]
	s_cbranch_execz .LBB170_310
; %bb.309:
	v_lshlrev_b32_e32 v26, 9, v0
	ds_read_b128 v[10:13], v26 offset:7360
	s_movk_i32 s12, 0xfe10
	v_mad_i32_i24 v27, v0, s12, v26
	s_waitcnt lgkmcnt(0)
	ds_write_b128 v27, v[10:13] offset:6368
	ds_read_b128 v[10:13], v26 offset:7376
	s_waitcnt lgkmcnt(0)
	ds_write_b128 v27, v[10:13] offset:6880
.LBB170_310:
	s_or_b64 exec, exec, s[10:11]
	s_waitcnt lgkmcnt(0)
	s_barrier
	s_and_saveexec_b64 s[10:11], vcc
	s_cbranch_execz .LBB170_312
; %bb.311:
	s_mov_b32 s12, 0
	v_mov_b32_e32 v30, 0
	ds_read_b128 v[10:13], v30 offset:6848
	s_mov_b32 s15, s12
	s_mov_b32 s13, 0x3ff00000
	;; [unrolled: 1-line block ×3, first 2 shown]
	v_mov_b32_e32 v29, s15
	v_mov_b32_e32 v28, s14
	;; [unrolled: 1-line block ×4, first 2 shown]
	ds_write_b128 v30, v[26:29] offset:6336
	ds_write_b128 v30, v[26:29] offset:6864
	s_waitcnt lgkmcnt(2)
	ds_write_b128 v30, v[10:13] offset:6352
.LBB170_312:
	s_or_b64 exec, exec, s[10:11]
	v_mov_b32_e32 v12, 0
	v_mov_b32_e32 v10, 0
	;; [unrolled: 1-line block ×4, first 2 shown]
	s_waitcnt lgkmcnt(0)
	s_barrier
	buffer_wbinvl1_vol
	s_and_saveexec_b64 s[12:13], s[16:17]
	s_cbranch_execz .LBB170_318
; %bb.313:
	v_lshlrev_b32_e32 v27, 9, v19
	v_lshlrev_b32_e32 v26, 4, v18
	ds_read_b128 v[10:13], v27 offset:6336
	ds_read_b128 v[28:31], v26 offset:6272
	v_cmp_gt_u32_e64 s[10:11], 12, v17
	s_waitcnt lgkmcnt(0)
	v_mul_f64 v[32:33], v[12:13], v[30:31]
	v_mul_f64 v[30:31], v[10:11], v[30:31]
	v_fma_f64 v[10:11], v[10:11], v[28:29], -v[32:33]
	v_fma_f64 v[12:13], v[12:13], v[28:29], v[30:31]
	v_add_f64 v[10:11], v[10:11], 0
	v_add_f64 v[12:13], v[12:13], 0
	s_and_saveexec_b64 s[14:15], s[10:11]
	s_cbranch_execnz .LBB170_533
; %bb.314:
	s_or_b64 exec, exec, s[14:15]
	v_cmp_gt_u32_e64 s[10:11], 8, v17
	s_and_saveexec_b64 s[14:15], s[10:11]
	s_cbranch_execnz .LBB170_534
.LBB170_315:
	s_or_b64 exec, exec, s[14:15]
	v_cmp_gt_u32_e64 s[10:11], 4, v17
	s_and_saveexec_b64 s[14:15], s[10:11]
	s_cbranch_execz .LBB170_317
.LBB170_316:
	v_lshlrev_b32_e32 v30, 4, v0
	v_mov_b32_e32 v26, 0
	ds_read_b128 v[26:29], v26 offset:7920
	ds_read_b128 v[30:33], v30 offset:7808
	s_waitcnt lgkmcnt(0)
	v_mul_f64 v[34:35], v[28:29], v[32:33]
	v_mul_f64 v[32:33], v[26:27], v[32:33]
	v_fma_f64 v[26:27], v[26:27], v[30:31], -v[34:35]
	v_fma_f64 v[28:29], v[28:29], v[30:31], v[32:33]
	v_add_f64 v[10:11], v[10:11], v[26:27]
	v_add_f64 v[12:13], v[12:13], v[28:29]
.LBB170_317:
	s_or_b64 exec, exec, s[14:15]
.LBB170_318:
	s_or_b64 exec, exec, s[12:13]
	s_and_saveexec_b64 s[10:11], s[46:47]
; %bb.319:
	v_xor_b32_e32 v29, 0x80000000, v13
	v_xor_b32_e32 v27, 0x80000000, v11
	v_mov_b32_e32 v26, v10
	v_mov_b32_e32 v28, v12
	ds_write_b128 v20, v[26:29]
; %bb.320:
	s_or_b64 exec, exec, s[10:11]
	s_waitcnt lgkmcnt(0)
	s_barrier
	s_and_saveexec_b64 s[10:11], s[48:49]
	s_cbranch_execz .LBB170_322
; %bb.321:
	v_lshlrev_b32_e32 v30, 4, v18
	ds_read_b128 v[26:29], v20
	ds_read_b128 v[30:33], v30 offset:5760
	s_waitcnt lgkmcnt(0)
	v_mul_f64 v[34:35], v[28:29], v[32:33]
	v_mul_f64 v[32:33], v[26:27], v[32:33]
	v_fma_f64 v[26:27], v[26:27], v[30:31], -v[34:35]
	v_fma_f64 v[28:29], v[28:29], v[30:31], v[32:33]
	v_add_f64 v[10:11], v[10:11], -v[26:27]
	v_add_f64 v[12:13], v[12:13], -v[28:29]
.LBB170_322:
	s_or_b64 exec, exec, s[10:11]
	s_barrier
	s_and_saveexec_b64 s[10:11], s[50:51]
; %bb.323:
	v_xor_b32_e32 v29, 0x80000000, v13
	v_xor_b32_e32 v27, 0x80000000, v11
	v_mov_b32_e32 v26, v10
	v_mov_b32_e32 v28, v12
	ds_write_b128 v20, v[26:29]
; %bb.324:
	s_or_b64 exec, exec, s[10:11]
	s_waitcnt lgkmcnt(0)
	s_barrier
	s_and_saveexec_b64 s[10:11], s[52:53]
	s_cbranch_execz .LBB170_326
; %bb.325:
	v_lshlrev_b32_e32 v30, 4, v18
	ds_read_b128 v[26:29], v20
	ds_read_b128 v[30:33], v30 offset:5248
	s_waitcnt lgkmcnt(0)
	v_mul_f64 v[34:35], v[28:29], v[32:33]
	v_mul_f64 v[32:33], v[26:27], v[32:33]
	v_fma_f64 v[26:27], v[26:27], v[30:31], -v[34:35]
	v_fma_f64 v[28:29], v[28:29], v[30:31], v[32:33]
	v_add_f64 v[10:11], v[10:11], -v[26:27]
	v_add_f64 v[12:13], v[12:13], -v[28:29]
.LBB170_326:
	s_or_b64 exec, exec, s[10:11]
	s_barrier
	s_and_saveexec_b64 s[10:11], s[54:55]
; %bb.327:
	v_xor_b32_e32 v29, 0x80000000, v13
	v_xor_b32_e32 v27, 0x80000000, v11
	v_mov_b32_e32 v26, v10
	v_mov_b32_e32 v28, v12
	ds_write_b128 v20, v[26:29]
; %bb.328:
	s_or_b64 exec, exec, s[10:11]
	s_waitcnt lgkmcnt(0)
	s_barrier
	s_and_saveexec_b64 s[10:11], s[44:45]
	s_cbranch_execz .LBB170_330
; %bb.329:
	v_mov_b32_e32 v30, 0
	ds_read_b128 v[26:29], v20
	ds_read_b128 v[30:33], v30 offset:4736
	s_waitcnt lgkmcnt(0)
	v_mul_f64 v[34:35], v[28:29], v[32:33]
	v_mul_f64 v[32:33], v[26:27], v[32:33]
	v_fma_f64 v[26:27], v[26:27], v[30:31], -v[34:35]
	v_fma_f64 v[28:29], v[28:29], v[30:31], v[32:33]
	v_add_f64 v[10:11], v[10:11], -v[26:27]
	v_add_f64 v[12:13], v[12:13], -v[28:29]
.LBB170_330:
	s_or_b64 exec, exec, s[10:11]
	s_barrier
	s_and_saveexec_b64 s[10:11], s[44:45]
; %bb.331:
	v_xor_b32_e32 v29, 0x80000000, v13
	v_xor_b32_e32 v27, 0x80000000, v11
	v_mov_b32_e32 v26, v10
	v_mov_b32_e32 v28, v12
	ds_write_b128 v20, v[26:29]
; %bb.332:
	s_or_b64 exec, exec, s[10:11]
	s_waitcnt lgkmcnt(0)
	s_barrier
	s_barrier
	s_and_saveexec_b64 s[10:11], s[16:17]
; %bb.333:
	v_lshlrev_b32_e32 v26, 4, v18
	v_lshl_or_b32 v26, v19, 9, v26
	ds_write_b128 v26, v[10:13] offset:6272
; %bb.334:
	s_or_b64 exec, exec, s[10:11]
	s_waitcnt lgkmcnt(0)
	s_barrier
	s_barrier
	s_and_saveexec_b64 s[10:11], s[56:57]
	s_cbranch_execz .LBB170_336
; %bb.335:
	v_lshlrev_b32_e32 v26, 4, v0
	s_movk_i32 s12, 0x1f0
	v_mad_u32_u24 v27, v0, s12, v26
	ds_read_b128 v[10:13], v27 offset:6272
	s_waitcnt lgkmcnt(0)
	ds_write_b128 v26, v[10:13] offset:4288
	ds_read_b128 v[10:13], v27 offset:6288
	s_waitcnt lgkmcnt(0)
	ds_write_b128 v26, v[10:13] offset:4800
	;; [unrolled: 3-line block ×4, first 2 shown]
.LBB170_336:
	s_or_b64 exec, exec, s[10:11]
	s_waitcnt lgkmcnt(0)
	s_barrier
	s_and_saveexec_b64 s[10:11], vcc
	s_cbranch_execz .LBB170_338
; %bb.337:
	s_mov_b32 s12, 0
	v_mov_b32_e32 v30, 0
	ds_read_b128 v[10:13], v30 offset:5792
	s_mov_b32 s15, s12
	s_mov_b32 s13, 0x3ff00000
	;; [unrolled: 1-line block ×3, first 2 shown]
	v_mov_b32_e32 v29, s15
	v_mov_b32_e32 v28, s14
	;; [unrolled: 1-line block ×4, first 2 shown]
	ds_write_b128 v30, v[26:29] offset:5280
	ds_write_b128 v30, v[26:29] offset:5808
	s_waitcnt lgkmcnt(2)
	ds_write_b128 v30, v[10:13] offset:5296
.LBB170_338:
	s_or_b64 exec, exec, s[10:11]
	v_mov_b32_e32 v10, 0
	v_mov_b32_e32 v12, 0
	v_mov_b32_e32 v11, 0
	v_mov_b32_e32 v13, 0
	s_waitcnt lgkmcnt(0)
	s_barrier
	buffer_wbinvl1_vol
	s_and_saveexec_b64 s[12:13], s[2:3]
	s_cbranch_execz .LBB170_342
; %bb.339:
	v_lshlrev_b32_e32 v26, 4, v14
	v_lshlrev_b32_e32 v10, 9, v15
	ds_read_b128 v[10:13], v10 offset:5280
	ds_read_b128 v[26:29], v26 offset:5248
	v_cmp_gt_u32_e64 s[10:11], 2, v17
	s_waitcnt lgkmcnt(0)
	v_mul_f64 v[30:31], v[12:13], v[28:29]
	v_mul_f64 v[28:29], v[10:11], v[28:29]
	v_fma_f64 v[10:11], v[10:11], v[26:27], -v[30:31]
	v_fma_f64 v[12:13], v[12:13], v[26:27], v[28:29]
	v_add_f64 v[10:11], v[10:11], 0
	v_add_f64 v[12:13], v[12:13], 0
	s_and_saveexec_b64 s[14:15], s[10:11]
	s_cbranch_execz .LBB170_341
; %bb.340:
	v_lshlrev_b32_e32 v30, 4, v0
	v_mov_b32_e32 v26, 0
	ds_read_b128 v[26:29], v26 offset:5808
	ds_read_b128 v[30:33], v30 offset:5760
	s_waitcnt lgkmcnt(0)
	v_mul_f64 v[34:35], v[28:29], v[32:33]
	v_mul_f64 v[32:33], v[26:27], v[32:33]
	v_fma_f64 v[26:27], v[26:27], v[30:31], -v[34:35]
	v_fma_f64 v[28:29], v[28:29], v[30:31], v[32:33]
	v_add_f64 v[10:11], v[10:11], v[26:27]
	v_add_f64 v[12:13], v[12:13], v[28:29]
.LBB170_341:
	s_or_b64 exec, exec, s[14:15]
.LBB170_342:
	s_or_b64 exec, exec, s[12:13]
	s_and_saveexec_b64 s[10:11], s[40:41]
; %bb.343:
	v_xor_b32_e32 v27, 0x80000000, v11
	v_xor_b32_e32 v29, 0x80000000, v13
	v_mov_b32_e32 v26, v10
	v_mov_b32_e32 v28, v12
	ds_write_b128 v16, v[26:29]
; %bb.344:
	s_or_b64 exec, exec, s[10:11]
	s_waitcnt lgkmcnt(0)
	s_barrier
	s_and_saveexec_b64 s[10:11], s[38:39]
	s_cbranch_execz .LBB170_346
; %bb.345:
	v_mov_b32_e32 v30, 0
	ds_read_b128 v[26:29], v16
	ds_read_b128 v[30:33], v30 offset:4736
	s_waitcnt lgkmcnt(0)
	v_mul_f64 v[34:35], v[26:27], v[30:31]
	v_mul_f64 v[26:27], v[26:27], v[32:33]
	v_fma_f64 v[32:33], v[28:29], v[32:33], -v[34:35]
	v_fma_f64 v[26:27], v[28:29], v[30:31], v[26:27]
	v_add_f64 v[10:11], v[10:11], v[32:33]
	v_add_f64 v[12:13], v[12:13], -v[26:27]
.LBB170_346:
	s_or_b64 exec, exec, s[10:11]
	s_barrier
	s_and_saveexec_b64 s[10:11], s[38:39]
; %bb.347:
	v_xor_b32_e32 v27, 0x80000000, v11
	v_xor_b32_e32 v29, 0x80000000, v13
	v_mov_b32_e32 v26, v10
	v_mov_b32_e32 v28, v12
	ds_write_b128 v16, v[26:29]
; %bb.348:
	s_or_b64 exec, exec, s[10:11]
	s_waitcnt lgkmcnt(0)
	s_barrier
	s_barrier
	s_and_saveexec_b64 s[10:11], s[2:3]
; %bb.349:
	v_lshlrev_b32_e32 v26, 4, v14
	v_lshl_or_b32 v26, v15, 9, v26
	ds_write_b128 v26, v[10:13] offset:5248
; %bb.350:
	s_or_b64 exec, exec, s[10:11]
	s_waitcnt lgkmcnt(0)
	s_barrier
	s_barrier
	s_and_saveexec_b64 s[10:11], s[42:43]
	s_cbranch_execz .LBB170_352
; %bb.351:
	v_lshlrev_b32_e32 v26, 9, v0
	ds_read_b128 v[10:13], v26 offset:5248
	s_movk_i32 s12, 0xfe10
	v_mad_i32_i24 v27, v0, s12, v26
	s_waitcnt lgkmcnt(0)
	ds_write_b128 v27, v[10:13] offset:4256
	ds_read_b128 v[10:13], v26 offset:5264
	s_waitcnt lgkmcnt(0)
	ds_write_b128 v27, v[10:13] offset:4768
.LBB170_352:
	s_or_b64 exec, exec, s[10:11]
	s_waitcnt lgkmcnt(0)
	s_barrier
	s_and_saveexec_b64 s[10:11], vcc
	s_cbranch_execz .LBB170_354
; %bb.353:
	s_mov_b32 s12, 0
	v_mov_b32_e32 v30, 0
	ds_read_b128 v[10:13], v30 offset:4736
	s_mov_b32 s15, s12
	s_mov_b32 s13, 0x3ff00000
	;; [unrolled: 1-line block ×3, first 2 shown]
	v_mov_b32_e32 v29, s15
	v_mov_b32_e32 v28, s14
	;; [unrolled: 1-line block ×4, first 2 shown]
	ds_write_b128 v30, v[26:29] offset:4224
	ds_write_b128 v30, v[26:29] offset:4752
	s_waitcnt lgkmcnt(2)
	ds_write_b128 v30, v[10:13] offset:4240
.LBB170_354:
	s_or_b64 exec, exec, s[10:11]
	v_mov_b32_e32 v12, 0
	v_mov_b32_e32 v10, 0
	;; [unrolled: 1-line block ×4, first 2 shown]
	s_waitcnt lgkmcnt(0)
	s_barrier
	buffer_wbinvl1_vol
	s_and_saveexec_b64 s[12:13], s[8:9]
	s_cbranch_execz .LBB170_364
; %bb.355:
	v_lshlrev_b32_e32 v27, 9, v24
	v_lshlrev_b32_e32 v26, 4, v21
	ds_read_b128 v[10:13], v27 offset:4224
	ds_read_b128 v[28:31], v26 offset:4096
	v_cmp_gt_u32_e64 s[10:11], 56, v17
	s_waitcnt lgkmcnt(0)
	v_mul_f64 v[32:33], v[12:13], v[30:31]
	v_mul_f64 v[30:31], v[10:11], v[30:31]
	v_fma_f64 v[10:11], v[10:11], v[28:29], -v[32:33]
	v_fma_f64 v[12:13], v[12:13], v[28:29], v[30:31]
	v_add_f64 v[10:11], v[10:11], 0
	v_add_f64 v[12:13], v[12:13], 0
	s_and_saveexec_b64 s[14:15], s[10:11]
	s_cbranch_execnz .LBB170_535
; %bb.356:
	s_or_b64 exec, exec, s[14:15]
	v_cmp_gt_u32_e64 s[10:11], 48, v17
	s_and_saveexec_b64 s[14:15], s[10:11]
	s_cbranch_execnz .LBB170_536
.LBB170_357:
	s_or_b64 exec, exec, s[14:15]
	v_cmp_gt_u32_e64 s[10:11], 40, v17
	s_and_saveexec_b64 s[14:15], s[10:11]
	s_cbranch_execnz .LBB170_537
.LBB170_358:
	s_or_b64 exec, exec, s[14:15]
	v_cmp_gt_u32_e64 s[10:11], 32, v17
	s_and_saveexec_b64 s[14:15], s[10:11]
	s_cbranch_execnz .LBB170_538
.LBB170_359:
	s_or_b64 exec, exec, s[14:15]
	v_cmp_gt_u32_e64 s[10:11], 24, v17
	s_and_saveexec_b64 s[14:15], s[10:11]
	s_cbranch_execnz .LBB170_539
.LBB170_360:
	s_or_b64 exec, exec, s[14:15]
	s_and_saveexec_b64 s[10:11], s[16:17]
	s_cbranch_execnz .LBB170_540
.LBB170_361:
	s_or_b64 exec, exec, s[10:11]
	v_cmp_gt_u32_e64 s[10:11], 8, v17
	s_and_saveexec_b64 s[14:15], s[10:11]
	s_cbranch_execz .LBB170_363
.LBB170_362:
	v_lshlrev_b32_e32 v30, 4, v0
	v_mov_b32_e32 v26, 0
	ds_read_b128 v[26:29], v26 offset:7920
	ds_read_b128 v[30:33], v30 offset:7680
	s_waitcnt lgkmcnt(0)
	v_mul_f64 v[34:35], v[28:29], v[32:33]
	v_mul_f64 v[32:33], v[26:27], v[32:33]
	v_fma_f64 v[26:27], v[26:27], v[30:31], -v[34:35]
	v_fma_f64 v[28:29], v[28:29], v[30:31], v[32:33]
	v_add_f64 v[10:11], v[10:11], v[26:27]
	v_add_f64 v[12:13], v[12:13], v[28:29]
.LBB170_363:
	s_or_b64 exec, exec, s[14:15]
.LBB170_364:
	s_or_b64 exec, exec, s[12:13]
	s_and_saveexec_b64 s[10:11], s[60:61]
; %bb.365:
	v_xor_b32_e32 v27, 0x80000000, v11
	v_xor_b32_e32 v29, 0x80000000, v13
	v_mov_b32_e32 v26, v10
	v_mov_b32_e32 v28, v12
	ds_write_b128 v25, v[26:29]
; %bb.366:
	s_or_b64 exec, exec, s[10:11]
	s_waitcnt lgkmcnt(0)
	s_barrier
	s_and_saveexec_b64 s[10:11], s[62:63]
	s_cbranch_execz .LBB170_368
; %bb.367:
	v_lshlrev_b32_e32 v30, 4, v21
	ds_read_b128 v[26:29], v25
	ds_read_b128 v[30:33], v30 offset:3584
	s_waitcnt lgkmcnt(0)
	v_mul_f64 v[34:35], v[28:29], v[32:33]
	v_mul_f64 v[32:33], v[26:27], v[32:33]
	v_fma_f64 v[26:27], v[26:27], v[30:31], -v[34:35]
	v_fma_f64 v[28:29], v[28:29], v[30:31], v[32:33]
	v_add_f64 v[10:11], v[10:11], -v[26:27]
	v_add_f64 v[12:13], v[12:13], -v[28:29]
.LBB170_368:
	s_or_b64 exec, exec, s[10:11]
	s_barrier
	s_and_saveexec_b64 s[10:11], s[64:65]
; %bb.369:
	v_xor_b32_e32 v27, 0x80000000, v11
	v_xor_b32_e32 v29, 0x80000000, v13
	v_mov_b32_e32 v26, v10
	v_mov_b32_e32 v28, v12
	ds_write_b128 v25, v[26:29]
; %bb.370:
	s_or_b64 exec, exec, s[10:11]
	s_waitcnt lgkmcnt(0)
	s_barrier
	s_and_saveexec_b64 s[10:11], s[66:67]
	s_cbranch_execz .LBB170_372
; %bb.371:
	v_lshlrev_b32_e32 v30, 4, v21
	ds_read_b128 v[26:29], v25
	ds_read_b128 v[30:33], v30 offset:3072
	s_waitcnt lgkmcnt(0)
	v_mul_f64 v[34:35], v[28:29], v[32:33]
	v_mul_f64 v[32:33], v[26:27], v[32:33]
	v_fma_f64 v[26:27], v[26:27], v[30:31], -v[34:35]
	v_fma_f64 v[28:29], v[28:29], v[30:31], v[32:33]
	v_add_f64 v[10:11], v[10:11], -v[26:27]
	v_add_f64 v[12:13], v[12:13], -v[28:29]
.LBB170_372:
	s_or_b64 exec, exec, s[10:11]
	s_barrier
	;; [unrolled: 27-line block ×6, first 2 shown]
	s_and_saveexec_b64 s[10:11], s[84:85]
; %bb.389:
	v_xor_b32_e32 v27, 0x80000000, v11
	v_xor_b32_e32 v29, 0x80000000, v13
	v_mov_b32_e32 v26, v10
	v_mov_b32_e32 v28, v12
	ds_write_b128 v25, v[26:29]
; %bb.390:
	s_or_b64 exec, exec, s[10:11]
	s_waitcnt lgkmcnt(0)
	s_barrier
	s_and_saveexec_b64 s[10:11], s[58:59]
	s_cbranch_execz .LBB170_392
; %bb.391:
	v_mov_b32_e32 v30, 0
	ds_read_b128 v[26:29], v25
	ds_read_b128 v[30:33], v30 offset:512
	s_waitcnt lgkmcnt(0)
	v_mul_f64 v[34:35], v[28:29], v[32:33]
	v_mul_f64 v[32:33], v[26:27], v[32:33]
	v_fma_f64 v[26:27], v[26:27], v[30:31], -v[34:35]
	v_fma_f64 v[28:29], v[28:29], v[30:31], v[32:33]
	v_add_f64 v[10:11], v[10:11], -v[26:27]
	v_add_f64 v[12:13], v[12:13], -v[28:29]
.LBB170_392:
	s_or_b64 exec, exec, s[10:11]
	s_barrier
	s_and_saveexec_b64 s[10:11], s[58:59]
; %bb.393:
	v_xor_b32_e32 v27, 0x80000000, v11
	v_xor_b32_e32 v29, 0x80000000, v13
	v_mov_b32_e32 v26, v10
	v_mov_b32_e32 v28, v12
	ds_write_b128 v25, v[26:29]
; %bb.394:
	s_or_b64 exec, exec, s[10:11]
	s_waitcnt lgkmcnt(0)
	s_barrier
	s_barrier
	s_and_saveexec_b64 s[10:11], s[8:9]
; %bb.395:
	v_lshlrev_b32_e32 v21, 4, v21
	v_lshl_or_b32 v21, v24, 9, v21
	ds_write_b128 v21, v[10:13] offset:4096
; %bb.396:
	s_or_b64 exec, exec, s[10:11]
	s_waitcnt lgkmcnt(0)
	s_barrier
	s_barrier
	s_and_saveexec_b64 s[8:9], s[86:87]
	s_cbranch_execz .LBB170_398
; %bb.397:
	v_lshlrev_b32_e32 v21, 9, v0
	ds_read_b128 v[10:13], v21 offset:4096
	s_movk_i32 s10, 0xfe10
	v_mad_i32_i24 v24, v0, s10, v21
	s_waitcnt lgkmcnt(0)
	ds_write_b128 v24, v[10:13] offset:128
	ds_read_b128 v[10:13], v21 offset:4112
	s_waitcnt lgkmcnt(0)
	ds_write_b128 v24, v[10:13] offset:640
	ds_read_b128 v[10:13], v21 offset:4128
	;; [unrolled: 3-line block ×7, first 2 shown]
	s_waitcnt lgkmcnt(0)
	ds_write_b128 v24, v[10:13] offset:3712
.LBB170_398:
	s_or_b64 exec, exec, s[8:9]
	s_waitcnt lgkmcnt(0)
	s_barrier
	s_and_saveexec_b64 s[8:9], vcc
	s_cbranch_execz .LBB170_400
; %bb.399:
	s_mov_b32 s12, 0
	v_mov_b32_e32 v21, 0
	ds_read_b128 v[10:13], v21 offset:3680
	s_mov_b32 s15, s12
	s_mov_b32 s13, 0x3ff00000
	;; [unrolled: 1-line block ×3, first 2 shown]
	v_mov_b32_e32 v27, s15
	v_mov_b32_e32 v26, s14
	;; [unrolled: 1-line block ×4, first 2 shown]
	ds_write_b128 v21, v[24:27] offset:3168
	ds_write_b128 v21, v[24:27] offset:3696
	s_waitcnt lgkmcnt(2)
	ds_write_b128 v21, v[10:13] offset:3184
.LBB170_400:
	s_or_b64 exec, exec, s[8:9]
	v_mov_b32_e32 v10, 0
	v_mov_b32_e32 v12, 0
	;; [unrolled: 1-line block ×4, first 2 shown]
	s_waitcnt lgkmcnt(0)
	s_barrier
	buffer_wbinvl1_vol
	s_and_saveexec_b64 s[10:11], s[2:3]
	s_cbranch_execz .LBB170_404
; %bb.401:
	v_lshlrev_b32_e32 v10, 9, v15
	v_lshlrev_b32_e32 v21, 4, v14
	ds_read_b128 v[10:13], v10 offset:3168
	ds_read_b128 v[24:27], v21 offset:3136
	v_cmp_gt_u32_e64 s[8:9], 2, v17
	s_waitcnt lgkmcnt(0)
	v_mul_f64 v[28:29], v[12:13], v[26:27]
	v_mul_f64 v[26:27], v[10:11], v[26:27]
	v_fma_f64 v[10:11], v[10:11], v[24:25], -v[28:29]
	v_fma_f64 v[12:13], v[12:13], v[24:25], v[26:27]
	v_add_f64 v[10:11], v[10:11], 0
	v_add_f64 v[12:13], v[12:13], 0
	s_and_saveexec_b64 s[12:13], s[8:9]
	s_cbranch_execz .LBB170_403
; %bb.402:
	v_mov_b32_e32 v24, 0
	v_lshlrev_b32_e32 v21, 4, v0
	ds_read_b128 v[24:27], v24 offset:3696
	ds_read_b128 v[28:31], v21 offset:3648
	s_waitcnt lgkmcnt(0)
	v_mul_f64 v[32:33], v[26:27], v[30:31]
	v_mul_f64 v[30:31], v[24:25], v[30:31]
	v_fma_f64 v[24:25], v[24:25], v[28:29], -v[32:33]
	v_fma_f64 v[26:27], v[26:27], v[28:29], v[30:31]
	v_add_f64 v[10:11], v[10:11], v[24:25]
	v_add_f64 v[12:13], v[12:13], v[26:27]
.LBB170_403:
	s_or_b64 exec, exec, s[12:13]
.LBB170_404:
	s_or_b64 exec, exec, s[10:11]
	s_and_saveexec_b64 s[8:9], s[40:41]
; %bb.405:
	v_xor_b32_e32 v25, 0x80000000, v11
	v_xor_b32_e32 v27, 0x80000000, v13
	v_mov_b32_e32 v24, v10
	v_mov_b32_e32 v26, v12
	ds_write_b128 v16, v[24:27]
; %bb.406:
	s_or_b64 exec, exec, s[8:9]
	s_waitcnt lgkmcnt(0)
	s_barrier
	s_and_saveexec_b64 s[8:9], s[38:39]
	s_cbranch_execz .LBB170_408
; %bb.407:
	v_mov_b32_e32 v21, 0
	ds_read_b128 v[24:27], v16
	ds_read_b128 v[28:31], v21 offset:2624
	s_waitcnt lgkmcnt(0)
	v_mul_f64 v[32:33], v[24:25], v[28:29]
	v_mul_f64 v[24:25], v[24:25], v[30:31]
	v_fma_f64 v[30:31], v[26:27], v[30:31], -v[32:33]
	v_fma_f64 v[24:25], v[26:27], v[28:29], v[24:25]
	v_add_f64 v[10:11], v[10:11], v[30:31]
	v_add_f64 v[12:13], v[12:13], -v[24:25]
.LBB170_408:
	s_or_b64 exec, exec, s[8:9]
	s_barrier
	s_and_saveexec_b64 s[8:9], s[38:39]
; %bb.409:
	v_xor_b32_e32 v25, 0x80000000, v11
	v_xor_b32_e32 v27, 0x80000000, v13
	v_mov_b32_e32 v24, v10
	v_mov_b32_e32 v26, v12
	ds_write_b128 v16, v[24:27]
; %bb.410:
	s_or_b64 exec, exec, s[8:9]
	s_waitcnt lgkmcnt(0)
	s_barrier
	s_barrier
	s_and_saveexec_b64 s[8:9], s[2:3]
; %bb.411:
	v_lshlrev_b32_e32 v21, 4, v14
	v_lshl_or_b32 v21, v15, 9, v21
	ds_write_b128 v21, v[10:13] offset:3136
; %bb.412:
	s_or_b64 exec, exec, s[8:9]
	s_waitcnt lgkmcnt(0)
	s_barrier
	s_barrier
	s_and_saveexec_b64 s[8:9], s[42:43]
	s_cbranch_execz .LBB170_414
; %bb.413:
	v_lshlrev_b32_e32 v21, 9, v0
	ds_read_b128 v[10:13], v21 offset:3136
	s_movk_i32 s10, 0xfe10
	v_mad_i32_i24 v24, v0, s10, v21
	s_waitcnt lgkmcnt(0)
	ds_write_b128 v24, v[10:13] offset:2144
	ds_read_b128 v[10:13], v21 offset:3152
	s_waitcnt lgkmcnt(0)
	ds_write_b128 v24, v[10:13] offset:2656
.LBB170_414:
	s_or_b64 exec, exec, s[8:9]
	s_waitcnt lgkmcnt(0)
	s_barrier
	s_and_saveexec_b64 s[8:9], vcc
	s_cbranch_execz .LBB170_416
; %bb.415:
	s_mov_b32 s12, 0
	v_mov_b32_e32 v21, 0
	ds_read_b128 v[10:13], v21 offset:2624
	s_mov_b32 s15, s12
	s_mov_b32 s13, 0x3ff00000
	;; [unrolled: 1-line block ×3, first 2 shown]
	v_mov_b32_e32 v27, s15
	v_mov_b32_e32 v26, s14
	;; [unrolled: 1-line block ×4, first 2 shown]
	ds_write_b128 v21, v[24:27] offset:2112
	ds_write_b128 v21, v[24:27] offset:2640
	s_waitcnt lgkmcnt(2)
	ds_write_b128 v21, v[10:13] offset:2128
.LBB170_416:
	s_or_b64 exec, exec, s[8:9]
	v_mov_b32_e32 v12, 0
	v_mov_b32_e32 v10, 0
	v_mov_b32_e32 v13, 0
	v_mov_b32_e32 v11, 0
	s_waitcnt lgkmcnt(0)
	s_barrier
	buffer_wbinvl1_vol
	s_and_saveexec_b64 s[10:11], s[16:17]
	s_cbranch_execz .LBB170_422
; %bb.417:
	v_lshlrev_b32_e32 v24, 9, v19
	v_lshlrev_b32_e32 v21, 4, v18
	ds_read_b128 v[10:13], v24 offset:2112
	ds_read_b128 v[25:28], v21 offset:2048
	v_cmp_gt_u32_e64 s[8:9], 12, v17
	s_waitcnt lgkmcnt(0)
	v_mul_f64 v[29:30], v[12:13], v[27:28]
	v_mul_f64 v[27:28], v[10:11], v[27:28]
	v_fma_f64 v[10:11], v[10:11], v[25:26], -v[29:30]
	v_fma_f64 v[12:13], v[12:13], v[25:26], v[27:28]
	v_add_f64 v[10:11], v[10:11], 0
	v_add_f64 v[12:13], v[12:13], 0
	s_and_saveexec_b64 s[12:13], s[8:9]
	s_cbranch_execnz .LBB170_541
; %bb.418:
	s_or_b64 exec, exec, s[12:13]
	v_cmp_gt_u32_e64 s[8:9], 8, v17
	s_and_saveexec_b64 s[12:13], s[8:9]
	s_cbranch_execnz .LBB170_542
.LBB170_419:
	s_or_b64 exec, exec, s[12:13]
	v_cmp_gt_u32_e64 s[8:9], 4, v17
	s_and_saveexec_b64 s[12:13], s[8:9]
	s_cbranch_execz .LBB170_421
.LBB170_420:
	v_mov_b32_e32 v24, 0
	v_lshlrev_b32_e32 v21, 4, v0
	ds_read_b128 v[24:27], v24 offset:3696
	ds_read_b128 v[28:31], v21 offset:3584
	s_waitcnt lgkmcnt(0)
	v_mul_f64 v[32:33], v[26:27], v[30:31]
	v_mul_f64 v[30:31], v[24:25], v[30:31]
	v_fma_f64 v[24:25], v[24:25], v[28:29], -v[32:33]
	v_fma_f64 v[26:27], v[26:27], v[28:29], v[30:31]
	v_add_f64 v[10:11], v[10:11], v[24:25]
	v_add_f64 v[12:13], v[12:13], v[26:27]
.LBB170_421:
	s_or_b64 exec, exec, s[12:13]
.LBB170_422:
	s_or_b64 exec, exec, s[10:11]
	s_and_saveexec_b64 s[8:9], s[46:47]
; %bb.423:
	v_xor_b32_e32 v27, 0x80000000, v13
	v_xor_b32_e32 v25, 0x80000000, v11
	v_mov_b32_e32 v24, v10
	v_mov_b32_e32 v26, v12
	ds_write_b128 v20, v[24:27]
; %bb.424:
	s_or_b64 exec, exec, s[8:9]
	s_waitcnt lgkmcnt(0)
	s_barrier
	s_and_saveexec_b64 s[8:9], s[48:49]
	s_cbranch_execz .LBB170_426
; %bb.425:
	v_lshlrev_b32_e32 v21, 4, v18
	ds_read_b128 v[24:27], v20
	ds_read_b128 v[28:31], v21 offset:1536
	s_waitcnt lgkmcnt(0)
	v_mul_f64 v[32:33], v[26:27], v[30:31]
	v_mul_f64 v[30:31], v[24:25], v[30:31]
	v_fma_f64 v[24:25], v[24:25], v[28:29], -v[32:33]
	v_fma_f64 v[26:27], v[26:27], v[28:29], v[30:31]
	v_add_f64 v[10:11], v[10:11], -v[24:25]
	v_add_f64 v[12:13], v[12:13], -v[26:27]
.LBB170_426:
	s_or_b64 exec, exec, s[8:9]
	s_barrier
	s_and_saveexec_b64 s[8:9], s[50:51]
; %bb.427:
	v_xor_b32_e32 v27, 0x80000000, v13
	v_xor_b32_e32 v25, 0x80000000, v11
	v_mov_b32_e32 v24, v10
	v_mov_b32_e32 v26, v12
	ds_write_b128 v20, v[24:27]
; %bb.428:
	s_or_b64 exec, exec, s[8:9]
	s_waitcnt lgkmcnt(0)
	s_barrier
	s_and_saveexec_b64 s[8:9], s[52:53]
	s_cbranch_execz .LBB170_430
; %bb.429:
	v_lshlrev_b32_e32 v21, 4, v18
	ds_read_b128 v[24:27], v20
	ds_read_b128 v[28:31], v21 offset:1024
	s_waitcnt lgkmcnt(0)
	v_mul_f64 v[32:33], v[26:27], v[30:31]
	v_mul_f64 v[30:31], v[24:25], v[30:31]
	v_fma_f64 v[24:25], v[24:25], v[28:29], -v[32:33]
	v_fma_f64 v[26:27], v[26:27], v[28:29], v[30:31]
	v_add_f64 v[10:11], v[10:11], -v[24:25]
	v_add_f64 v[12:13], v[12:13], -v[26:27]
.LBB170_430:
	s_or_b64 exec, exec, s[8:9]
	s_barrier
	s_and_saveexec_b64 s[8:9], s[54:55]
; %bb.431:
	v_xor_b32_e32 v27, 0x80000000, v13
	v_xor_b32_e32 v25, 0x80000000, v11
	v_mov_b32_e32 v24, v10
	v_mov_b32_e32 v26, v12
	ds_write_b128 v20, v[24:27]
; %bb.432:
	s_or_b64 exec, exec, s[8:9]
	s_waitcnt lgkmcnt(0)
	s_barrier
	s_and_saveexec_b64 s[8:9], s[44:45]
	s_cbranch_execz .LBB170_434
; %bb.433:
	v_mov_b32_e32 v21, 0
	ds_read_b128 v[24:27], v20
	ds_read_b128 v[28:31], v21 offset:512
	s_waitcnt lgkmcnt(0)
	v_mul_f64 v[32:33], v[26:27], v[30:31]
	v_mul_f64 v[30:31], v[24:25], v[30:31]
	v_fma_f64 v[24:25], v[24:25], v[28:29], -v[32:33]
	v_fma_f64 v[26:27], v[26:27], v[28:29], v[30:31]
	v_add_f64 v[10:11], v[10:11], -v[24:25]
	v_add_f64 v[12:13], v[12:13], -v[26:27]
.LBB170_434:
	s_or_b64 exec, exec, s[8:9]
	s_barrier
	s_and_saveexec_b64 s[8:9], s[44:45]
; %bb.435:
	v_xor_b32_e32 v27, 0x80000000, v13
	v_xor_b32_e32 v25, 0x80000000, v11
	v_mov_b32_e32 v24, v10
	v_mov_b32_e32 v26, v12
	ds_write_b128 v20, v[24:27]
; %bb.436:
	s_or_b64 exec, exec, s[8:9]
	s_waitcnt lgkmcnt(0)
	s_barrier
	s_barrier
	s_and_saveexec_b64 s[8:9], s[16:17]
; %bb.437:
	v_lshlrev_b32_e32 v18, 4, v18
	v_lshl_or_b32 v18, v19, 9, v18
	ds_write_b128 v18, v[10:13] offset:2048
; %bb.438:
	s_or_b64 exec, exec, s[8:9]
	s_waitcnt lgkmcnt(0)
	s_barrier
	s_barrier
	s_and_saveexec_b64 s[8:9], s[56:57]
	s_cbranch_execz .LBB170_440
; %bb.439:
	v_lshlrev_b32_e32 v18, 4, v0
	s_movk_i32 s10, 0x1f0
	v_mad_u32_u24 v19, v0, s10, v18
	ds_read_b128 v[10:13], v19 offset:2048
	s_waitcnt lgkmcnt(0)
	ds_write_b128 v18, v[10:13] offset:64
	ds_read_b128 v[10:13], v19 offset:2064
	s_waitcnt lgkmcnt(0)
	ds_write_b128 v18, v[10:13] offset:576
	;; [unrolled: 3-line block ×4, first 2 shown]
.LBB170_440:
	s_or_b64 exec, exec, s[8:9]
	s_waitcnt lgkmcnt(0)
	s_barrier
	s_and_saveexec_b64 s[8:9], vcc
	s_cbranch_execz .LBB170_442
; %bb.441:
	s_mov_b32 s12, 0
	v_mov_b32_e32 v24, 0
	ds_read_b128 v[10:13], v24 offset:1568
	s_mov_b32 s15, s12
	s_mov_b32 s13, 0x3ff00000
	;; [unrolled: 1-line block ×3, first 2 shown]
	v_mov_b32_e32 v21, s15
	v_mov_b32_e32 v20, s14
	;; [unrolled: 1-line block ×4, first 2 shown]
	ds_write_b128 v24, v[18:21] offset:1056
	ds_write_b128 v24, v[18:21] offset:1584
	s_waitcnt lgkmcnt(2)
	ds_write_b128 v24, v[10:13] offset:1072
.LBB170_442:
	s_or_b64 exec, exec, s[8:9]
	v_mov_b32_e32 v10, 0
	v_mov_b32_e32 v12, 0
	v_mov_b32_e32 v11, 0
	v_mov_b32_e32 v13, 0
	s_waitcnt lgkmcnt(0)
	s_barrier
	buffer_wbinvl1_vol
	s_and_saveexec_b64 s[10:11], s[2:3]
	s_cbranch_execz .LBB170_446
; %bb.443:
	v_lshlrev_b32_e32 v18, 4, v14
	v_lshlrev_b32_e32 v10, 9, v15
	ds_read_b128 v[10:13], v10 offset:1056
	ds_read_b128 v[18:21], v18 offset:1024
	v_cmp_gt_u32_e64 s[8:9], 2, v17
	s_waitcnt lgkmcnt(0)
	v_mul_f64 v[24:25], v[12:13], v[20:21]
	v_mul_f64 v[20:21], v[10:11], v[20:21]
	v_fma_f64 v[10:11], v[10:11], v[18:19], -v[24:25]
	v_fma_f64 v[12:13], v[12:13], v[18:19], v[20:21]
	v_add_f64 v[10:11], v[10:11], 0
	v_add_f64 v[12:13], v[12:13], 0
	s_and_saveexec_b64 s[12:13], s[8:9]
	s_cbranch_execz .LBB170_445
; %bb.444:
	v_mov_b32_e32 v17, 0
	v_lshlrev_b32_e32 v21, 4, v0
	ds_read_b128 v[17:20], v17 offset:1584
	ds_read_b128 v[24:27], v21 offset:1536
	s_waitcnt lgkmcnt(0)
	v_mul_f64 v[28:29], v[19:20], v[26:27]
	v_mul_f64 v[26:27], v[17:18], v[26:27]
	v_fma_f64 v[17:18], v[17:18], v[24:25], -v[28:29]
	v_fma_f64 v[19:20], v[19:20], v[24:25], v[26:27]
	v_add_f64 v[10:11], v[10:11], v[17:18]
	v_add_f64 v[12:13], v[12:13], v[19:20]
.LBB170_445:
	s_or_b64 exec, exec, s[12:13]
.LBB170_446:
	s_or_b64 exec, exec, s[10:11]
	s_and_saveexec_b64 s[8:9], s[40:41]
; %bb.447:
	v_xor_b32_e32 v18, 0x80000000, v11
	v_xor_b32_e32 v20, 0x80000000, v13
	v_mov_b32_e32 v17, v10
	v_mov_b32_e32 v19, v12
	ds_write_b128 v16, v[17:20]
; %bb.448:
	s_or_b64 exec, exec, s[8:9]
	s_waitcnt lgkmcnt(0)
	s_barrier
	s_and_saveexec_b64 s[8:9], s[38:39]
	s_cbranch_execz .LBB170_450
; %bb.449:
	v_mov_b32_e32 v21, 0
	ds_read_b128 v[17:20], v16
	ds_read_b128 v[24:27], v21 offset:512
	s_waitcnt lgkmcnt(0)
	v_mul_f64 v[28:29], v[17:18], v[24:25]
	v_mul_f64 v[17:18], v[17:18], v[26:27]
	v_fma_f64 v[26:27], v[19:20], v[26:27], -v[28:29]
	v_fma_f64 v[17:18], v[19:20], v[24:25], v[17:18]
	v_add_f64 v[10:11], v[10:11], v[26:27]
	v_add_f64 v[12:13], v[12:13], -v[17:18]
.LBB170_450:
	s_or_b64 exec, exec, s[8:9]
	s_barrier
	s_and_saveexec_b64 s[8:9], s[38:39]
; %bb.451:
	v_xor_b32_e32 v18, 0x80000000, v11
	v_xor_b32_e32 v20, 0x80000000, v13
	v_mov_b32_e32 v17, v10
	v_mov_b32_e32 v19, v12
	ds_write_b128 v16, v[17:20]
; %bb.452:
	s_or_b64 exec, exec, s[8:9]
	s_waitcnt lgkmcnt(0)
	s_barrier
	s_barrier
	s_and_saveexec_b64 s[8:9], s[2:3]
; %bb.453:
	v_lshlrev_b32_e32 v14, 4, v14
	v_lshl_or_b32 v14, v15, 9, v14
	ds_write_b128 v14, v[10:13] offset:1024
; %bb.454:
	s_or_b64 exec, exec, s[8:9]
	s_waitcnt lgkmcnt(0)
	s_barrier
	s_barrier
	s_and_saveexec_b64 s[2:3], s[42:43]
	s_cbranch_execz .LBB170_456
; %bb.455:
	v_lshlrev_b32_e32 v14, 9, v0
	ds_read_b128 v[10:13], v14 offset:1024
	s_movk_i32 s8, 0xfe10
	v_mad_i32_i24 v15, v0, s8, v14
	s_waitcnt lgkmcnt(0)
	ds_write_b128 v15, v[10:13] offset:32
	ds_read_b128 v[10:13], v14 offset:1040
	s_waitcnt lgkmcnt(0)
	ds_write_b128 v15, v[10:13] offset:544
.LBB170_456:
	s_or_b64 exec, exec, s[2:3]
	s_waitcnt lgkmcnt(0)
	s_barrier
	s_and_saveexec_b64 s[2:3], vcc
	s_cbranch_execz .LBB170_458
; %bb.457:
	s_mov_b32 s8, 0
	v_mov_b32_e32 v18, 0
	ds_read_b128 v[10:13], v18 offset:512
	s_mov_b32 s11, s8
	s_mov_b32 s9, 0x3ff00000
	;; [unrolled: 1-line block ×3, first 2 shown]
	v_mov_b32_e32 v17, s11
	v_mov_b32_e32 v16, s10
	;; [unrolled: 1-line block ×4, first 2 shown]
	ds_write_b128 v18, v[14:17]
	ds_write_b128 v18, v[14:17] offset:528
	s_waitcnt lgkmcnt(2)
	ds_write_b128 v18, v[10:13] offset:16
.LBB170_458:
	s_or_b64 exec, exec, s[2:3]
.LBB170_459:
	s_lshl_b64 s[2:3], s[20:21], 4
	s_add_u32 s36, s36, s2
	v_cmp_le_i32_e32 vcc, s7, v0
	v_mov_b32_e32 v10, 0
	s_addc_u32 s37, s37, s3
	s_and_b64 s[16:17], vcc, s[30:31]
	v_mov_b32_e32 v11, 0
	v_cmp_eq_u32_e64 s[2:3], 0, v1
	s_xor_b64 s[8:9], s[16:17], -1
	v_mov_b32_e32 v13, v11
	s_and_b64 s[10:11], s[2:3], s[8:9]
	v_lshl_add_u32 v14, s6, 5, v0
	v_mov_b32_e32 v12, v10
	s_waitcnt lgkmcnt(0)
	s_barrier
	s_and_saveexec_b64 s[8:9], s[10:11]
	s_cbranch_execz .LBB170_461
; %bb.460:
	v_ashrrev_i32_e32 v12, 31, v14
	v_mul_lo_u32 v13, s23, v14
	v_mad_u64_u32 v[10:11], s[10:11], s22, v14, 0
	v_mul_lo_u32 v12, s22, v12
	v_add3_u32 v11, v11, v12, v13
	v_lshlrev_b64 v[10:11], 4, v[10:11]
	v_mov_b32_e32 v12, s37
	v_add_co_u32_e32 v10, vcc, s36, v10
	v_addc_co_u32_e32 v11, vcc, v12, v11, vcc
	flat_load_dwordx4 v[15:18], v[10:11]
	s_waitcnt vmcnt(0) lgkmcnt(0)
	v_mul_f64 v[10:11], s[24:25], v[15:16]
	v_mul_f64 v[12:13], s[24:25], v[17:18]
	v_fma_f64 v[10:11], s[26:27], v[17:18], -v[10:11]
	v_fma_f64 v[12:13], v[15:16], -s[26:27], -v[12:13]
.LBB170_461:
	s_or_b64 exec, exec, s[8:9]
	s_load_dwordx2 s[14:15], s[4:5], 0x50
	s_and_b32 s4, 0xffff, s94
	v_mad_u32_u24 v24, v1, s4, v0
	v_mov_b32_e32 v15, 0
	s_cmp_lt_i32 s6, 1
	v_cmp_eq_u32_e64 s[4:5], 0, v24
	s_cbranch_scc1 .LBB170_484
; %bb.462:
	v_mad_u64_u32 v[16:17], s[8:9], s34, v14, 0
	s_mov_b32 s24, 0
	v_cmp_gt_u32_e64 s[12:13], 32, v24
	v_mad_u64_u32 v[17:18], s[8:9], s35, v14, v[17:18]
	s_lshl_b64 s[8:9], s[28:29], 2
	s_waitcnt lgkmcnt(0)
	s_add_u32 s18, s14, s8
	v_lshlrev_b64 v[16:17], 4, v[16:17]
	s_addc_u32 s19, s15, s9
	v_mov_b32_e32 v18, 0x6000
	v_cmp_gt_i32_e64 s[8:9], s33, v14
	v_mov_b32_e32 v14, s93
	v_add_co_u32_e32 v27, vcc, s92, v16
	v_lshl_add_u32 v25, v24, 4, v18
	v_lshl_or_b32 v26, v1, 4, v18
	s_add_i32 s25, s6, -1
	v_addc_co_u32_e32 v28, vcc, v14, v17, vcc
	v_mov_b32_e32 v29, -1
	s_branch .LBB170_465
.LBB170_463:                            ;   in Loop: Header=BB170_465 Depth=1
	ds_read_b128 v[30:33], v26 offset:256
	s_waitcnt vmcnt(0) lgkmcnt(0)
	v_mul_f64 v[16:17], v[20:21], v[32:33]
	v_mul_f64 v[32:33], v[18:19], v[32:33]
	v_fma_f64 v[16:17], v[18:19], v[30:31], -v[16:17]
	v_fma_f64 v[18:19], v[20:21], v[30:31], v[32:33]
	v_add_f64 v[10:11], v[10:11], v[16:17]
	v_add_f64 v[12:13], v[12:13], v[18:19]
.LBB170_464:                            ;   in Loop: Header=BB170_465 Depth=1
	s_or_b64 exec, exec, s[20:21]
	s_add_i32 s24, s24, 1
	s_cmp_eq_u32 s24, s6
	s_cbranch_scc1 .LBB170_484
.LBB170_465:                            ; =>This Loop Header: Depth=1
                                        ;     Child Loop BB170_467 Depth 2
	v_cmp_gt_i32_e32 vcc, s24, v29
	s_and_b64 s[20:21], s[4:5], vcc
	s_and_saveexec_b64 s[10:11], s[20:21]
	s_cbranch_execz .LBB170_468
; %bb.466:                              ;   in Loop: Header=BB170_465 Depth=1
	global_load_dword v29, v15, s[18:19]
	s_waitcnt vmcnt(0)
	v_cmp_le_i32_e32 vcc, s24, v29
	s_cbranch_vccnz .LBB170_468
.LBB170_467:                            ;   Parent Loop BB170_465 Depth=1
                                        ; =>  This Inner Loop Header: Depth=2
	buffer_wbinvl1_vol
	global_load_dword v29, v15, s[18:19]
	s_waitcnt vmcnt(0)
	v_cmp_gt_i32_e32 vcc, s24, v29
	s_cbranch_vccnz .LBB170_467
.LBB170_468:                            ;   in Loop: Header=BB170_465 Depth=1
	s_or_b64 exec, exec, s[10:11]
	s_lshl_b32 s26, s24, 5
	buffer_wbinvl1_vol
	s_barrier
	s_and_saveexec_b64 s[10:11], s[12:13]
	s_cbranch_execz .LBB170_473
; %bb.469:                              ;   in Loop: Header=BB170_465 Depth=1
	v_or_b32_e32 v14, s26, v24
	v_cmp_le_i32_e32 vcc, s33, v14
	s_and_saveexec_b64 s[20:21], vcc
	s_xor_b64 s[20:21], exec, s[20:21]
; %bb.470:                              ;   in Loop: Header=BB170_465 Depth=1
	v_mov_b32_e32 v14, v15
	v_mov_b32_e32 v16, v15
	;; [unrolled: 1-line block ×3, first 2 shown]
	ds_write_b128 v25, v[14:17]
                                        ; implicit-def: $vgpr14
; %bb.471:                              ;   in Loop: Header=BB170_465 Depth=1
	s_andn2_saveexec_b64 s[20:21], s[20:21]
	s_cbranch_execz .LBB170_473
; %bb.472:                              ;   in Loop: Header=BB170_465 Depth=1
	v_mad_u64_u32 v[16:17], s[20:21], s22, v14, 0
	v_mad_u64_u32 v[17:18], s[20:21], s23, v14, v[17:18]
	v_mov_b32_e32 v14, s37
	v_lshlrev_b64 v[16:17], 4, v[16:17]
	v_add_co_u32_e32 v16, vcc, s36, v16
	v_addc_co_u32_e32 v17, vcc, v14, v17, vcc
	flat_load_dwordx4 v[16:19], v[16:17]
	s_waitcnt vmcnt(0) lgkmcnt(0)
	ds_write2_b64 v25, v[16:17], v[18:19] offset1:1
.LBB170_473:                            ;   in Loop: Header=BB170_465 Depth=1
	s_or_b64 exec, exec, s[10:11]
	v_add_u32_e32 v14, s26, v1
	v_lshlrev_b64 v[16:17], 4, v[14:15]
	s_cmp_lg_u32 s24, s25
	v_add_co_u32_e32 v16, vcc, v27, v16
	s_cselect_b64 s[10:11], -1, 0
	v_addc_co_u32_e32 v17, vcc, v28, v17, vcc
	v_cmp_gt_i32_e32 vcc, s33, v14
	v_cndmask_b32_e64 v18, 0, 1, s[10:11]
	s_and_b64 s[26:27], vcc, s[8:9]
	v_cmp_ne_u32_e64 s[10:11], 1, v18
	s_waitcnt lgkmcnt(0)
	s_barrier
	s_and_saveexec_b64 s[20:21], s[26:27]
	s_cbranch_execz .LBB170_479
; %bb.474:                              ;   in Loop: Header=BB170_465 Depth=1
	v_mov_b32_e32 v19, v7
	s_and_b64 vcc, exec, s[10:11]
	v_mov_b32_e32 v18, v6
	s_cbranch_vccnz .LBB170_476
; %bb.475:                              ;   in Loop: Header=BB170_465 Depth=1
	flat_load_dwordx2 v[18:19], v[16:17]
.LBB170_476:                            ;   in Loop: Header=BB170_465 Depth=1
	v_mov_b32_e32 v21, v9
	s_and_b64 vcc, exec, s[10:11]
	v_mov_b32_e32 v20, v8
	s_cbranch_vccnz .LBB170_478
; %bb.477:                              ;   in Loop: Header=BB170_465 Depth=1
	flat_load_dwordx2 v[20:21], v[16:17] offset:8
.LBB170_478:                            ;   in Loop: Header=BB170_465 Depth=1
	ds_read_b128 v[30:33], v26
	s_waitcnt vmcnt(0) lgkmcnt(0)
	v_mul_f64 v[34:35], v[20:21], v[32:33]
	v_mul_f64 v[32:33], v[18:19], v[32:33]
	v_fma_f64 v[18:19], v[18:19], v[30:31], -v[34:35]
	v_fma_f64 v[20:21], v[20:21], v[30:31], v[32:33]
	v_add_f64 v[10:11], v[10:11], v[18:19]
	v_add_f64 v[12:13], v[12:13], v[20:21]
.LBB170_479:                            ;   in Loop: Header=BB170_465 Depth=1
	s_or_b64 exec, exec, s[20:21]
	v_add_u32_e32 v14, 16, v14
	v_cmp_gt_i32_e32 vcc, s33, v14
	s_and_b64 s[26:27], vcc, s[8:9]
	s_and_saveexec_b64 s[20:21], s[26:27]
	s_cbranch_execz .LBB170_464
; %bb.480:                              ;   in Loop: Header=BB170_465 Depth=1
	v_mov_b32_e32 v19, v3
	s_and_b64 vcc, exec, s[10:11]
	v_mov_b32_e32 v18, v2
	s_cbranch_vccnz .LBB170_482
; %bb.481:                              ;   in Loop: Header=BB170_465 Depth=1
	flat_load_dwordx2 v[18:19], v[16:17] offset:256
.LBB170_482:                            ;   in Loop: Header=BB170_465 Depth=1
	v_mov_b32_e32 v21, v5
	s_and_b64 vcc, exec, s[10:11]
	v_mov_b32_e32 v20, v4
	s_cbranch_vccnz .LBB170_463
; %bb.483:                              ;   in Loop: Header=BB170_465 Depth=1
	flat_load_dwordx2 v[20:21], v[16:17] offset:264
	s_branch .LBB170_463
.LBB170_484:
	s_xor_b64 s[4:5], s[30:31], -1
	v_lshlrev_b32_e32 v6, 4, v23
	ds_write_b128 v6, v[10:13] offset:16384
	s_waitcnt lgkmcnt(0)
	s_barrier
	s_and_saveexec_b64 s[8:9], s[2:3]
	s_cbranch_execz .LBB170_486
; %bb.485:
	v_lshlrev_b32_e32 v18, 4, v0
	ds_read_b128 v[2:5], v18 offset:16896
	ds_read_b128 v[14:17], v18 offset:17408
	s_waitcnt lgkmcnt(1)
	v_add_f64 v[2:3], v[10:11], v[2:3]
	v_add_f64 v[4:5], v[12:13], v[4:5]
	s_waitcnt lgkmcnt(0)
	v_add_f64 v[11:12], v[2:3], v[14:15]
	v_add_f64 v[13:14], v[4:5], v[16:17]
	ds_read_b128 v[2:5], v18 offset:17920
	ds_read_b128 v[7:10], v18 offset:18432
	s_waitcnt lgkmcnt(1)
	v_add_f64 v[2:3], v[11:12], v[2:3]
	v_add_f64 v[4:5], v[13:14], v[4:5]
	s_waitcnt lgkmcnt(0)
	v_add_f64 v[11:12], v[2:3], v[7:8]
	v_add_f64 v[13:14], v[4:5], v[9:10]
	;; [unrolled: 8-line block ×7, first 2 shown]
	ds_read_b128 v[2:5], v18 offset:24064
	s_waitcnt lgkmcnt(0)
	v_add_f64 v[2:3], v[7:8], v[2:3]
	v_add_f64 v[4:5], v[9:10], v[4:5]
	v_xor_b32_e32 v3, 0x80000000, v3
	v_xor_b32_e32 v5, 0x80000000, v5
	v_cndmask_b32_e64 v10, v2, 0, s[16:17]
	v_cndmask_b32_e64 v11, v3, 0, s[16:17]
	;; [unrolled: 1-line block ×4, first 2 shown]
.LBB170_486:
	s_or_b64 exec, exec, s[8:9]
	s_and_b64 vcc, exec, s[0:1]
	s_cbranch_vccnz .LBB170_495
; %bb.487:
	v_mov_b32_e32 v2, 0x6000
	v_lshl_or_b32 v7, v1, 4, v2
	s_and_saveexec_b64 s[0:1], s[2:3]
; %bb.488:
	v_lshl_add_u32 v2, v0, 4, v7
	ds_write_b128 v2, v[10:13]
; %bb.489:
	s_or_b64 exec, exec, s[0:1]
	v_mov_b32_e32 v2, 0
	v_mov_b32_e32 v4, 0
	;; [unrolled: 1-line block ×4, first 2 shown]
	v_cmp_le_u32_e32 vcc, v1, v0
	s_waitcnt lgkmcnt(0)
	s_barrier
	s_and_saveexec_b64 s[0:1], vcc
	s_cbranch_execz .LBB170_491
; %bb.490:
	ds_read_b128 v[2:5], v7
	ds_read_b128 v[14:17], v6
	s_waitcnt lgkmcnt(0)
	v_mul_f64 v[8:9], v[4:5], v[16:17]
	v_mul_f64 v[16:17], v[2:3], v[16:17]
	v_fma_f64 v[2:3], v[2:3], v[14:15], -v[8:9]
	v_fma_f64 v[4:5], v[4:5], v[14:15], v[16:17]
	v_add_f64 v[2:3], v[2:3], 0
	v_add_f64 v[4:5], v[4:5], 0
.LBB170_491:
	s_or_b64 exec, exec, s[0:1]
	v_add_u32_e32 v1, 16, v1
	v_add_u32_e32 v8, 0x4000, v6
	v_cmp_ge_u32_e32 vcc, v0, v1
	s_and_saveexec_b64 s[0:1], vcc
	s_cbranch_execz .LBB170_493
; %bb.492:
	ds_read_b128 v[14:17], v7 offset:256
	ds_read_b128 v[18:21], v6 offset:8192
	s_waitcnt lgkmcnt(0)
	v_mul_f64 v[6:7], v[16:17], v[20:21]
	v_mul_f64 v[20:21], v[14:15], v[20:21]
	v_fma_f64 v[6:7], v[14:15], v[18:19], -v[6:7]
	v_fma_f64 v[14:15], v[16:17], v[18:19], v[20:21]
	v_add_f64 v[2:3], v[2:3], v[6:7]
	v_add_f64 v[4:5], v[4:5], v[14:15]
.LBB170_493:
	s_or_b64 exec, exec, s[0:1]
	s_mov_b64 s[8:9], 0
	s_mov_b64 s[0:1], 0
	ds_write_b128 v8, v[2:5]
	s_waitcnt lgkmcnt(0)
	s_barrier
                                        ; implicit-def: $vgpr8_vgpr9
                                        ; implicit-def: $vgpr14_vgpr15
                                        ; implicit-def: $vgpr6_vgpr7
	s_and_saveexec_b64 s[10:11], s[2:3]
	s_cbranch_execz .LBB170_508
; %bb.494:
	v_lshlrev_b32_e32 v18, 4, v0
	ds_read_b128 v[6:9], v18 offset:16896
	ds_read_b128 v[14:17], v18 offset:17408
	s_mov_b64 s[0:1], exec
	s_waitcnt lgkmcnt(1)
	v_add_f64 v[1:2], v[2:3], v[6:7]
	v_add_f64 v[3:4], v[4:5], v[8:9]
	s_waitcnt lgkmcnt(0)
	v_add_f64 v[14:15], v[1:2], v[14:15]
	v_add_f64 v[16:17], v[3:4], v[16:17]
	ds_read_b128 v[1:4], v18 offset:17920
	ds_read_b128 v[5:8], v18 offset:18432
	s_waitcnt lgkmcnt(1)
	v_add_f64 v[1:2], v[14:15], v[1:2]
	v_add_f64 v[3:4], v[16:17], v[3:4]
	s_waitcnt lgkmcnt(0)
	v_add_f64 v[14:15], v[1:2], v[5:6]
	v_add_f64 v[16:17], v[3:4], v[7:8]
	ds_read_b128 v[1:4], v18 offset:18944
	ds_read_b128 v[5:8], v18 offset:19456
	;; [unrolled: 8-line block ×6, first 2 shown]
	s_waitcnt lgkmcnt(1)
	v_add_f64 v[1:2], v[14:15], v[1:2]
	v_add_f64 v[3:4], v[16:17], v[3:4]
	s_waitcnt lgkmcnt(0)
	v_add_f64 v[14:15], v[1:2], v[5:6]
	v_add_f64 v[8:9], v[3:4], v[7:8]
	ds_read_b128 v[1:4], v18 offset:24064
	v_lshl_add_u32 v5, s6, 5, v24
	v_mad_u64_u32 v[6:7], s[12:13], s22, v5, 0
	s_waitcnt lgkmcnt(0)
	v_add_f64 v[14:15], v[14:15], v[1:2]
	v_add_f64 v[8:9], v[8:9], v[3:4]
	v_mov_b32_e32 v1, v7
	v_mad_u64_u32 v[1:2], s[12:13], s23, v5, v[1:2]
	v_mov_b32_e32 v7, v1
	s_or_b64 exec, exec, s[10:11]
	s_and_b64 vcc, exec, s[8:9]
	s_cbranch_vccnz .LBB170_496
	s_branch .LBB170_509
.LBB170_495:
	s_mov_b64 s[0:1], 0
                                        ; implicit-def: $vgpr8_vgpr9
                                        ; implicit-def: $vgpr14_vgpr15
                                        ; implicit-def: $vgpr6_vgpr7
	s_cbranch_execz .LBB170_509
.LBB170_496:
	s_mov_b32 s10, 0
	v_mov_b32_e32 v1, 0
	v_mov_b32_e32 v2, v0
	s_branch .LBB170_498
.LBB170_497:                            ;   in Loop: Header=BB170_498 Depth=1
	s_or_b64 exec, exec, s[8:9]
	s_add_i32 s10, s10, 2
	v_add_u32_e32 v22, 0x400, v22
	s_cmp_lg_u32 s10, 32
	v_add_u32_e32 v2, -2, v2
	s_barrier
	s_cbranch_scc0 .LBB170_506
.LBB170_498:                            ; =>This Inner Loop Header: Depth=1
	v_cmp_eq_u32_e32 vcc, 0, v2
	s_and_b64 s[12:13], s[2:3], vcc
	s_and_saveexec_b64 s[8:9], s[12:13]
; %bb.499:                              ;   in Loop: Header=BB170_498 Depth=1
	ds_write_b128 v1, v[10:13] offset:25088
; %bb.500:                              ;   in Loop: Header=BB170_498 Depth=1
	s_or_b64 exec, exec, s[8:9]
	v_cmp_lt_u32_e32 vcc, s10, v0
	s_and_b64 s[12:13], s[2:3], vcc
	s_waitcnt lgkmcnt(0)
	s_barrier
	s_and_saveexec_b64 s[8:9], s[12:13]
	s_cbranch_execz .LBB170_502
; %bb.501:                              ;   in Loop: Header=BB170_498 Depth=1
	ds_read_b128 v[3:6], v1 offset:25088
	ds_read_b128 v[14:17], v22
	s_waitcnt lgkmcnt(0)
	v_mul_f64 v[7:8], v[5:6], v[16:17]
	v_mul_f64 v[16:17], v[3:4], v[16:17]
	v_fma_f64 v[3:4], v[3:4], v[14:15], -v[7:8]
	v_fma_f64 v[5:6], v[5:6], v[14:15], v[16:17]
	v_add_f64 v[10:11], v[10:11], v[3:4]
	v_add_f64 v[12:13], v[12:13], v[5:6]
.LBB170_502:                            ;   in Loop: Header=BB170_498 Depth=1
	s_or_b64 exec, exec, s[8:9]
	s_or_b32 s11, s10, 1
	v_cmp_eq_u32_e32 vcc, s11, v0
	s_and_b64 s[12:13], s[2:3], vcc
	s_barrier
	s_and_saveexec_b64 s[8:9], s[12:13]
; %bb.503:                              ;   in Loop: Header=BB170_498 Depth=1
	ds_write_b128 v1, v[10:13] offset:25088
; %bb.504:                              ;   in Loop: Header=BB170_498 Depth=1
	s_or_b64 exec, exec, s[8:9]
	v_cmp_lt_u32_e32 vcc, s11, v0
	s_and_b64 s[12:13], s[2:3], vcc
	s_waitcnt lgkmcnt(0)
	s_barrier
	s_and_saveexec_b64 s[8:9], s[12:13]
	s_cbranch_execz .LBB170_497
; %bb.505:                              ;   in Loop: Header=BB170_498 Depth=1
	ds_read_b128 v[3:6], v1 offset:25088
	ds_read_b128 v[14:17], v22 offset:512
	s_waitcnt lgkmcnt(0)
	v_mul_f64 v[7:8], v[5:6], v[16:17]
	v_mul_f64 v[16:17], v[3:4], v[16:17]
	v_fma_f64 v[3:4], v[3:4], v[14:15], -v[7:8]
	v_fma_f64 v[5:6], v[5:6], v[14:15], v[16:17]
	v_add_f64 v[10:11], v[10:11], v[3:4]
	v_add_f64 v[12:13], v[12:13], v[5:6]
	s_branch .LBB170_497
.LBB170_506:
	s_and_b64 vcc, exec, s[4:5]
	s_cbranch_vccz .LBB170_510
; %bb.507:
	s_and_b64 s[4:5], s[2:3], exec
	s_cbranch_execz .LBB170_511
	s_branch .LBB170_512
.LBB170_508:
	s_or_b64 exec, exec, s[10:11]
	s_and_b64 vcc, exec, s[8:9]
	s_cbranch_vccnz .LBB170_496
.LBB170_509:
	v_mov_b32_e32 v13, v9
	v_mov_b32_e32 v10, v14
	;; [unrolled: 1-line block ×4, first 2 shown]
	s_and_saveexec_b64 s[2:3], s[0:1]
	s_cbranch_execnz .LBB170_515
	s_branch .LBB170_516
.LBB170_510:
	s_mov_b64 s[4:5], 0
.LBB170_511:
	v_cmp_gt_i32_e32 vcc, s7, v0
	s_and_b64 s[2:3], s[2:3], vcc
	s_andn2_b64 s[4:5], s[4:5], exec
	s_and_b64 s[2:3], s[2:3], exec
	s_or_b64 s[4:5], s[4:5], s[2:3]
.LBB170_512:
                                        ; implicit-def: $vgpr6_vgpr7
	s_and_saveexec_b64 s[2:3], s[4:5]
	s_cbranch_execz .LBB170_514
; %bb.513:
	s_lshl_b32 s4, s6, 5
	s_ashr_i32 s5, s4, 31
	v_mov_b32_e32 v0, s5
	v_add_co_u32_e32 v1, vcc, s4, v24
	v_addc_co_u32_e32 v0, vcc, 0, v0, vcc
	v_mul_lo_u32 v0, v0, s22
	v_mul_lo_u32 v2, v1, s23
	v_mad_u64_u32 v[6:7], s[4:5], v1, s22, 0
	s_or_b64 s[0:1], s[0:1], exec
	v_add3_u32 v7, v7, v2, v0
.LBB170_514:
	s_or_b64 exec, exec, s[2:3]
	s_and_saveexec_b64 s[2:3], s[0:1]
	s_cbranch_execz .LBB170_516
.LBB170_515:
	v_lshlrev_b64 v[0:1], 4, v[6:7]
	v_mov_b32_e32 v2, s37
	v_add_co_u32_e32 v0, vcc, s36, v0
	v_addc_co_u32_e32 v1, vcc, v2, v1, vcc
	flat_store_dwordx4 v[0:1], v[10:13]
.LBB170_516:
	s_or_b64 exec, exec, s[2:3]
	v_cmp_eq_u32_e32 vcc, 0, v24
	s_waitcnt vmcnt(0) lgkmcnt(0)
	buffer_wbinvl1_vol
	s_barrier
	s_and_saveexec_b64 s[0:1], vcc
	s_cbranch_execz .LBB170_518
; %bb.517:
	s_lshl_b64 s[2:3], s[28:29], 2
	s_add_u32 s2, s14, s2
	s_addc_u32 s3, s15, s3
	v_mov_b32_e32 v0, 0
	global_load_dword v1, v0, s[2:3]
	s_waitcnt vmcnt(0)
	v_add_u32_e32 v1, 1, v1
	global_store_dword v0, v1, s[2:3]
.LBB170_518:
	s_or_b64 exec, exec, s[0:1]
	s_waitcnt vmcnt(0)
	buffer_wbinvl1_vol
	s_endpgm
.LBB170_519:
	ds_read_b128 v[25:28], v24 offset:14800
	ds_read_b128 v[29:32], v21 offset:15232
	s_waitcnt lgkmcnt(0)
	v_mul_f64 v[33:34], v[27:28], v[31:32]
	v_mul_f64 v[31:32], v[25:26], v[31:32]
	v_fma_f64 v[25:26], v[25:26], v[29:30], -v[33:34]
	v_fma_f64 v[27:28], v[27:28], v[29:30], v[31:32]
	v_add_f64 v[10:11], v[10:11], v[25:26]
	v_add_f64 v[12:13], v[12:13], v[27:28]
	s_or_b64 exec, exec, s[18:19]
	v_cmp_gt_u32_e64 s[12:13], 8, v17
	s_and_saveexec_b64 s[18:19], s[12:13]
	s_cbranch_execz .LBB170_57
.LBB170_520:
	ds_read_b128 v[24:27], v24 offset:14816
	ds_read_b128 v[28:31], v21 offset:15744
	s_waitcnt lgkmcnt(0)
	v_mul_f64 v[32:33], v[26:27], v[30:31]
	v_mul_f64 v[30:31], v[24:25], v[30:31]
	v_fma_f64 v[24:25], v[24:25], v[28:29], -v[32:33]
	v_fma_f64 v[26:27], v[26:27], v[28:29], v[30:31]
	v_add_f64 v[10:11], v[10:11], v[24:25]
	v_add_f64 v[12:13], v[12:13], v[26:27]
	s_or_b64 exec, exec, s[18:19]
	v_cmp_gt_u32_e64 s[12:13], 4, v17
	s_and_saveexec_b64 s[18:19], s[12:13]
	s_cbranch_execnz .LBB170_58
	s_branch .LBB170_59
.LBB170_521:
	ds_read_b128 v[28:31], v27 offset:12688
	ds_read_b128 v[32:35], v26 offset:13056
	s_waitcnt lgkmcnt(0)
	v_mul_f64 v[36:37], v[30:31], v[34:35]
	v_mul_f64 v[34:35], v[28:29], v[34:35]
	v_fma_f64 v[28:29], v[28:29], v[32:33], -v[36:37]
	v_fma_f64 v[30:31], v[30:31], v[32:33], v[34:35]
	v_add_f64 v[10:11], v[10:11], v[28:29]
	v_add_f64 v[12:13], v[12:13], v[30:31]
	s_or_b64 exec, exec, s[58:59]
	v_cmp_gt_u32_e64 s[14:15], 48, v17
	s_and_saveexec_b64 s[58:59], s[14:15]
	s_cbranch_execz .LBB170_99
.LBB170_522:
	ds_read_b128 v[28:31], v27 offset:12704
	ds_read_b128 v[32:35], v26 offset:13568
	s_waitcnt lgkmcnt(0)
	v_mul_f64 v[36:37], v[30:31], v[34:35]
	v_mul_f64 v[34:35], v[28:29], v[34:35]
	v_fma_f64 v[28:29], v[28:29], v[32:33], -v[36:37]
	v_fma_f64 v[30:31], v[30:31], v[32:33], v[34:35]
	v_add_f64 v[10:11], v[10:11], v[28:29]
	v_add_f64 v[12:13], v[12:13], v[30:31]
	s_or_b64 exec, exec, s[58:59]
	v_cmp_gt_u32_e64 s[14:15], 40, v17
	s_and_saveexec_b64 s[58:59], s[14:15]
	s_cbranch_execz .LBB170_100
.LBB170_523:
	ds_read_b128 v[28:31], v27 offset:12720
	ds_read_b128 v[32:35], v26 offset:14080
	s_waitcnt lgkmcnt(0)
	v_mul_f64 v[36:37], v[30:31], v[34:35]
	v_mul_f64 v[34:35], v[28:29], v[34:35]
	v_fma_f64 v[28:29], v[28:29], v[32:33], -v[36:37]
	v_fma_f64 v[30:31], v[30:31], v[32:33], v[34:35]
	v_add_f64 v[10:11], v[10:11], v[28:29]
	v_add_f64 v[12:13], v[12:13], v[30:31]
	s_or_b64 exec, exec, s[58:59]
	v_cmp_gt_u32_e64 s[14:15], 32, v17
	s_and_saveexec_b64 s[58:59], s[14:15]
	s_cbranch_execz .LBB170_101
.LBB170_524:
	ds_read_b128 v[28:31], v27 offset:12736
	ds_read_b128 v[32:35], v26 offset:14592
	s_waitcnt lgkmcnt(0)
	v_mul_f64 v[36:37], v[30:31], v[34:35]
	v_mul_f64 v[34:35], v[28:29], v[34:35]
	v_fma_f64 v[28:29], v[28:29], v[32:33], -v[36:37]
	v_fma_f64 v[30:31], v[30:31], v[32:33], v[34:35]
	v_add_f64 v[10:11], v[10:11], v[28:29]
	v_add_f64 v[12:13], v[12:13], v[30:31]
	s_or_b64 exec, exec, s[58:59]
	v_cmp_gt_u32_e64 s[14:15], 24, v17
	s_and_saveexec_b64 s[58:59], s[14:15]
	s_cbranch_execz .LBB170_102
.LBB170_525:
	ds_read_b128 v[28:31], v27 offset:12752
	ds_read_b128 v[32:35], v26 offset:15104
	s_waitcnt lgkmcnt(0)
	v_mul_f64 v[36:37], v[30:31], v[34:35]
	v_mul_f64 v[34:35], v[28:29], v[34:35]
	v_fma_f64 v[28:29], v[28:29], v[32:33], -v[36:37]
	v_fma_f64 v[30:31], v[30:31], v[32:33], v[34:35]
	v_add_f64 v[10:11], v[10:11], v[28:29]
	v_add_f64 v[12:13], v[12:13], v[30:31]
	s_or_b64 exec, exec, s[58:59]
	s_and_saveexec_b64 s[14:15], s[16:17]
	s_cbranch_execz .LBB170_103
.LBB170_526:
	ds_read_b128 v[27:30], v27 offset:12768
	ds_read_b128 v[31:34], v26 offset:15616
	s_waitcnt lgkmcnt(0)
	v_mul_f64 v[35:36], v[29:30], v[33:34]
	v_mul_f64 v[33:34], v[27:28], v[33:34]
	v_fma_f64 v[26:27], v[27:28], v[31:32], -v[35:36]
	v_fma_f64 v[28:29], v[29:30], v[31:32], v[33:34]
	v_add_f64 v[10:11], v[10:11], v[26:27]
	v_add_f64 v[12:13], v[12:13], v[28:29]
	s_or_b64 exec, exec, s[14:15]
	v_cmp_gt_u32_e64 s[14:15], 8, v17
	s_and_saveexec_b64 s[58:59], s[14:15]
	s_cbranch_execnz .LBB170_104
	s_branch .LBB170_105
.LBB170_527:
	ds_read_b128 v[28:31], v27 offset:10576
	ds_read_b128 v[32:35], v26 offset:11008
	s_waitcnt lgkmcnt(0)
	v_mul_f64 v[36:37], v[30:31], v[34:35]
	v_mul_f64 v[34:35], v[28:29], v[34:35]
	v_fma_f64 v[28:29], v[28:29], v[32:33], -v[36:37]
	v_fma_f64 v[30:31], v[30:31], v[32:33], v[34:35]
	v_add_f64 v[10:11], v[10:11], v[28:29]
	v_add_f64 v[12:13], v[12:13], v[30:31]
	s_or_b64 exec, exec, s[18:19]
	v_cmp_gt_u32_e64 s[12:13], 8, v17
	s_and_saveexec_b64 s[18:19], s[12:13]
	s_cbranch_execz .LBB170_161
.LBB170_528:
	ds_read_b128 v[27:30], v27 offset:10592
	ds_read_b128 v[31:34], v26 offset:11520
	s_waitcnt lgkmcnt(0)
	v_mul_f64 v[35:36], v[29:30], v[33:34]
	v_mul_f64 v[33:34], v[27:28], v[33:34]
	v_fma_f64 v[26:27], v[27:28], v[31:32], -v[35:36]
	v_fma_f64 v[28:29], v[29:30], v[31:32], v[33:34]
	v_add_f64 v[10:11], v[10:11], v[26:27]
	v_add_f64 v[12:13], v[12:13], v[28:29]
	s_or_b64 exec, exec, s[18:19]
	v_cmp_gt_u32_e64 s[12:13], 4, v17
	s_and_saveexec_b64 s[18:19], s[12:13]
	s_cbranch_execnz .LBB170_162
	s_branch .LBB170_163
.LBB170_529:
	ds_read_b128 v[31:34], v30 offset:8624
	ds_read_b128 v[35:38], v29 offset:13824
	s_waitcnt lgkmcnt(0)
	v_mul_f64 v[39:40], v[33:34], v[37:38]
	v_mul_f64 v[37:38], v[31:32], v[37:38]
	v_fma_f64 v[31:32], v[31:32], v[35:36], -v[39:40]
	v_fma_f64 v[33:34], v[33:34], v[35:36], v[37:38]
	v_add_f64 v[10:11], v[10:11], v[31:32]
	v_add_f64 v[12:13], v[12:13], v[33:34]
	s_or_b64 exec, exec, s[90:91]
	s_and_saveexec_b64 s[18:19], s[8:9]
	s_cbranch_execz .LBB170_223
.LBB170_530:
	ds_read_b128 v[31:34], v30 offset:8640
	ds_read_b128 v[35:38], v29 offset:14336
	s_waitcnt lgkmcnt(0)
	v_mul_f64 v[39:40], v[33:34], v[37:38]
	v_mul_f64 v[37:38], v[31:32], v[37:38]
	v_fma_f64 v[31:32], v[31:32], v[35:36], -v[39:40]
	v_fma_f64 v[33:34], v[33:34], v[35:36], v[37:38]
	v_add_f64 v[10:11], v[10:11], v[31:32]
	v_add_f64 v[12:13], v[12:13], v[33:34]
	s_or_b64 exec, exec, s[18:19]
	v_cmp_gt_u32_e64 s[18:19], 48, v17
	s_and_saveexec_b64 s[90:91], s[18:19]
	s_cbranch_execz .LBB170_224
.LBB170_531:
	ds_read_b128 v[31:34], v30 offset:8656
	ds_read_b128 v[35:38], v29 offset:14848
	s_waitcnt lgkmcnt(0)
	v_mul_f64 v[39:40], v[33:34], v[37:38]
	v_mul_f64 v[37:38], v[31:32], v[37:38]
	v_fma_f64 v[31:32], v[31:32], v[35:36], -v[39:40]
	v_fma_f64 v[33:34], v[33:34], v[35:36], v[37:38]
	v_add_f64 v[10:11], v[10:11], v[31:32]
	v_add_f64 v[12:13], v[12:13], v[33:34]
	s_or_b64 exec, exec, s[90:91]
	v_cmp_gt_u32_e64 s[18:19], 32, v17
	s_and_saveexec_b64 s[90:91], s[18:19]
	s_cbranch_execz .LBB170_225
.LBB170_532:
	ds_read_b128 v[30:33], v30 offset:8672
	ds_read_b128 v[34:37], v29 offset:15360
	s_waitcnt lgkmcnt(0)
	v_mul_f64 v[38:39], v[32:33], v[36:37]
	v_mul_f64 v[36:37], v[30:31], v[36:37]
	v_fma_f64 v[29:30], v[30:31], v[34:35], -v[38:39]
	v_fma_f64 v[31:32], v[32:33], v[34:35], v[36:37]
	v_add_f64 v[10:11], v[10:11], v[29:30]
	v_add_f64 v[12:13], v[12:13], v[31:32]
	s_or_b64 exec, exec, s[90:91]
	v_cmp_gt_u32_e64 s[18:19], 16, v17
	s_and_saveexec_b64 s[90:91], s[18:19]
	s_cbranch_execnz .LBB170_226
	s_branch .LBB170_227
.LBB170_533:
	ds_read_b128 v[28:31], v27 offset:6352
	ds_read_b128 v[32:35], v26 offset:6784
	s_waitcnt lgkmcnt(0)
	v_mul_f64 v[36:37], v[30:31], v[34:35]
	v_mul_f64 v[34:35], v[28:29], v[34:35]
	v_fma_f64 v[28:29], v[28:29], v[32:33], -v[36:37]
	v_fma_f64 v[30:31], v[30:31], v[32:33], v[34:35]
	v_add_f64 v[10:11], v[10:11], v[28:29]
	v_add_f64 v[12:13], v[12:13], v[30:31]
	s_or_b64 exec, exec, s[14:15]
	v_cmp_gt_u32_e64 s[10:11], 8, v17
	s_and_saveexec_b64 s[14:15], s[10:11]
	s_cbranch_execz .LBB170_315
.LBB170_534:
	ds_read_b128 v[27:30], v27 offset:6368
	ds_read_b128 v[31:34], v26 offset:7296
	s_waitcnt lgkmcnt(0)
	v_mul_f64 v[35:36], v[29:30], v[33:34]
	v_mul_f64 v[33:34], v[27:28], v[33:34]
	v_fma_f64 v[26:27], v[27:28], v[31:32], -v[35:36]
	v_fma_f64 v[28:29], v[29:30], v[31:32], v[33:34]
	v_add_f64 v[10:11], v[10:11], v[26:27]
	v_add_f64 v[12:13], v[12:13], v[28:29]
	s_or_b64 exec, exec, s[14:15]
	v_cmp_gt_u32_e64 s[10:11], 4, v17
	s_and_saveexec_b64 s[14:15], s[10:11]
	s_cbranch_execnz .LBB170_316
	s_branch .LBB170_317
.LBB170_535:
	ds_read_b128 v[28:31], v27 offset:4240
	ds_read_b128 v[32:35], v26 offset:4608
	s_waitcnt lgkmcnt(0)
	v_mul_f64 v[36:37], v[30:31], v[34:35]
	v_mul_f64 v[34:35], v[28:29], v[34:35]
	v_fma_f64 v[28:29], v[28:29], v[32:33], -v[36:37]
	v_fma_f64 v[30:31], v[30:31], v[32:33], v[34:35]
	v_add_f64 v[10:11], v[10:11], v[28:29]
	v_add_f64 v[12:13], v[12:13], v[30:31]
	s_or_b64 exec, exec, s[14:15]
	v_cmp_gt_u32_e64 s[10:11], 48, v17
	s_and_saveexec_b64 s[14:15], s[10:11]
	s_cbranch_execz .LBB170_357
.LBB170_536:
	ds_read_b128 v[28:31], v27 offset:4256
	ds_read_b128 v[32:35], v26 offset:5120
	s_waitcnt lgkmcnt(0)
	v_mul_f64 v[36:37], v[30:31], v[34:35]
	v_mul_f64 v[34:35], v[28:29], v[34:35]
	v_fma_f64 v[28:29], v[28:29], v[32:33], -v[36:37]
	v_fma_f64 v[30:31], v[30:31], v[32:33], v[34:35]
	v_add_f64 v[10:11], v[10:11], v[28:29]
	v_add_f64 v[12:13], v[12:13], v[30:31]
	s_or_b64 exec, exec, s[14:15]
	v_cmp_gt_u32_e64 s[10:11], 40, v17
	s_and_saveexec_b64 s[14:15], s[10:11]
	s_cbranch_execz .LBB170_358
.LBB170_537:
	ds_read_b128 v[28:31], v27 offset:4272
	ds_read_b128 v[32:35], v26 offset:5632
	s_waitcnt lgkmcnt(0)
	v_mul_f64 v[36:37], v[30:31], v[34:35]
	v_mul_f64 v[34:35], v[28:29], v[34:35]
	v_fma_f64 v[28:29], v[28:29], v[32:33], -v[36:37]
	v_fma_f64 v[30:31], v[30:31], v[32:33], v[34:35]
	v_add_f64 v[10:11], v[10:11], v[28:29]
	v_add_f64 v[12:13], v[12:13], v[30:31]
	s_or_b64 exec, exec, s[14:15]
	v_cmp_gt_u32_e64 s[10:11], 32, v17
	s_and_saveexec_b64 s[14:15], s[10:11]
	s_cbranch_execz .LBB170_359
.LBB170_538:
	ds_read_b128 v[28:31], v27 offset:4288
	ds_read_b128 v[32:35], v26 offset:6144
	s_waitcnt lgkmcnt(0)
	v_mul_f64 v[36:37], v[30:31], v[34:35]
	v_mul_f64 v[34:35], v[28:29], v[34:35]
	v_fma_f64 v[28:29], v[28:29], v[32:33], -v[36:37]
	v_fma_f64 v[30:31], v[30:31], v[32:33], v[34:35]
	v_add_f64 v[10:11], v[10:11], v[28:29]
	v_add_f64 v[12:13], v[12:13], v[30:31]
	s_or_b64 exec, exec, s[14:15]
	v_cmp_gt_u32_e64 s[10:11], 24, v17
	s_and_saveexec_b64 s[14:15], s[10:11]
	s_cbranch_execz .LBB170_360
.LBB170_539:
	ds_read_b128 v[28:31], v27 offset:4304
	ds_read_b128 v[32:35], v26 offset:6656
	s_waitcnt lgkmcnt(0)
	v_mul_f64 v[36:37], v[30:31], v[34:35]
	v_mul_f64 v[34:35], v[28:29], v[34:35]
	v_fma_f64 v[28:29], v[28:29], v[32:33], -v[36:37]
	v_fma_f64 v[30:31], v[30:31], v[32:33], v[34:35]
	v_add_f64 v[10:11], v[10:11], v[28:29]
	v_add_f64 v[12:13], v[12:13], v[30:31]
	s_or_b64 exec, exec, s[14:15]
	s_and_saveexec_b64 s[10:11], s[16:17]
	s_cbranch_execz .LBB170_361
.LBB170_540:
	ds_read_b128 v[27:30], v27 offset:4320
	ds_read_b128 v[31:34], v26 offset:7168
	s_waitcnt lgkmcnt(0)
	v_mul_f64 v[35:36], v[29:30], v[33:34]
	v_mul_f64 v[33:34], v[27:28], v[33:34]
	v_fma_f64 v[26:27], v[27:28], v[31:32], -v[35:36]
	v_fma_f64 v[28:29], v[29:30], v[31:32], v[33:34]
	v_add_f64 v[10:11], v[10:11], v[26:27]
	v_add_f64 v[12:13], v[12:13], v[28:29]
	s_or_b64 exec, exec, s[10:11]
	v_cmp_gt_u32_e64 s[10:11], 8, v17
	s_and_saveexec_b64 s[14:15], s[10:11]
	s_cbranch_execnz .LBB170_362
	s_branch .LBB170_363
.LBB170_541:
	ds_read_b128 v[25:28], v24 offset:2128
	ds_read_b128 v[29:32], v21 offset:2560
	s_waitcnt lgkmcnt(0)
	v_mul_f64 v[33:34], v[27:28], v[31:32]
	v_mul_f64 v[31:32], v[25:26], v[31:32]
	v_fma_f64 v[25:26], v[25:26], v[29:30], -v[33:34]
	v_fma_f64 v[27:28], v[27:28], v[29:30], v[31:32]
	v_add_f64 v[10:11], v[10:11], v[25:26]
	v_add_f64 v[12:13], v[12:13], v[27:28]
	s_or_b64 exec, exec, s[12:13]
	v_cmp_gt_u32_e64 s[8:9], 8, v17
	s_and_saveexec_b64 s[12:13], s[8:9]
	s_cbranch_execz .LBB170_419
.LBB170_542:
	ds_read_b128 v[24:27], v24 offset:2144
	ds_read_b128 v[28:31], v21 offset:3072
	s_waitcnt lgkmcnt(0)
	v_mul_f64 v[32:33], v[26:27], v[30:31]
	v_mul_f64 v[30:31], v[24:25], v[30:31]
	v_fma_f64 v[24:25], v[24:25], v[28:29], -v[32:33]
	v_fma_f64 v[26:27], v[26:27], v[28:29], v[30:31]
	v_add_f64 v[10:11], v[10:11], v[24:25]
	v_add_f64 v[12:13], v[12:13], v[26:27]
	s_or_b64 exec, exec, s[12:13]
	v_cmp_gt_u32_e64 s[8:9], 4, v17
	s_and_saveexec_b64 s[12:13], s[8:9]
	s_cbranch_execnz .LBB170_420
	s_branch .LBB170_421
	.section	.rodata,"a",@progbits
	.p2align	6, 0x0
	.amdhsa_kernel _ZL19rocblas_trsv_deviceILi32ELi16ELb0ELb1ELb0ELb1E19rocblas_complex_numIdEPKS1_PKS3_PKPS1_EviT7_lllT6_T8_lllPii
		.amdhsa_group_segment_fixed_size 25104
		.amdhsa_private_segment_fixed_size 0
		.amdhsa_kernarg_size 352
		.amdhsa_user_sgpr_count 6
		.amdhsa_user_sgpr_private_segment_buffer 1
		.amdhsa_user_sgpr_dispatch_ptr 0
		.amdhsa_user_sgpr_queue_ptr 0
		.amdhsa_user_sgpr_kernarg_segment_ptr 1
		.amdhsa_user_sgpr_dispatch_id 0
		.amdhsa_user_sgpr_flat_scratch_init 0
		.amdhsa_user_sgpr_private_segment_size 0
		.amdhsa_uses_dynamic_stack 0
		.amdhsa_system_sgpr_private_segment_wavefront_offset 0
		.amdhsa_system_sgpr_workgroup_id_x 1
		.amdhsa_system_sgpr_workgroup_id_y 0
		.amdhsa_system_sgpr_workgroup_id_z 1
		.amdhsa_system_sgpr_workgroup_info 0
		.amdhsa_system_vgpr_workitem_id 1
		.amdhsa_next_free_vgpr 49
		.amdhsa_next_free_sgpr 98
		.amdhsa_reserve_vcc 1
		.amdhsa_reserve_flat_scratch 0
		.amdhsa_float_round_mode_32 0
		.amdhsa_float_round_mode_16_64 0
		.amdhsa_float_denorm_mode_32 3
		.amdhsa_float_denorm_mode_16_64 3
		.amdhsa_dx10_clamp 1
		.amdhsa_ieee_mode 1
		.amdhsa_fp16_overflow 0
		.amdhsa_exception_fp_ieee_invalid_op 0
		.amdhsa_exception_fp_denorm_src 0
		.amdhsa_exception_fp_ieee_div_zero 0
		.amdhsa_exception_fp_ieee_overflow 0
		.amdhsa_exception_fp_ieee_underflow 0
		.amdhsa_exception_fp_ieee_inexact 0
		.amdhsa_exception_int_div_zero 0
	.end_amdhsa_kernel
	.section	.text._ZL19rocblas_trsv_deviceILi32ELi16ELb0ELb1ELb0ELb1E19rocblas_complex_numIdEPKS1_PKS3_PKPS1_EviT7_lllT6_T8_lllPii,"axG",@progbits,_ZL19rocblas_trsv_deviceILi32ELi16ELb0ELb1ELb0ELb1E19rocblas_complex_numIdEPKS1_PKS3_PKPS1_EviT7_lllT6_T8_lllPii,comdat
.Lfunc_end170:
	.size	_ZL19rocblas_trsv_deviceILi32ELi16ELb0ELb1ELb0ELb1E19rocblas_complex_numIdEPKS1_PKS3_PKPS1_EviT7_lllT6_T8_lllPii, .Lfunc_end170-_ZL19rocblas_trsv_deviceILi32ELi16ELb0ELb1ELb0ELb1E19rocblas_complex_numIdEPKS1_PKS3_PKPS1_EviT7_lllT6_T8_lllPii
                                        ; -- End function
	.set _ZL19rocblas_trsv_deviceILi32ELi16ELb0ELb1ELb0ELb1E19rocblas_complex_numIdEPKS1_PKS3_PKPS1_EviT7_lllT6_T8_lllPii.num_vgpr, 41
	.set _ZL19rocblas_trsv_deviceILi32ELi16ELb0ELb1ELb0ELb1E19rocblas_complex_numIdEPKS1_PKS3_PKPS1_EviT7_lllT6_T8_lllPii.num_agpr, 0
	.set _ZL19rocblas_trsv_deviceILi32ELi16ELb0ELb1ELb0ELb1E19rocblas_complex_numIdEPKS1_PKS3_PKPS1_EviT7_lllT6_T8_lllPii.numbered_sgpr, 95
	.set _ZL19rocblas_trsv_deviceILi32ELi16ELb0ELb1ELb0ELb1E19rocblas_complex_numIdEPKS1_PKS3_PKPS1_EviT7_lllT6_T8_lllPii.num_named_barrier, 0
	.set _ZL19rocblas_trsv_deviceILi32ELi16ELb0ELb1ELb0ELb1E19rocblas_complex_numIdEPKS1_PKS3_PKPS1_EviT7_lllT6_T8_lllPii.private_seg_size, 0
	.set _ZL19rocblas_trsv_deviceILi32ELi16ELb0ELb1ELb0ELb1E19rocblas_complex_numIdEPKS1_PKS3_PKPS1_EviT7_lllT6_T8_lllPii.uses_vcc, 1
	.set _ZL19rocblas_trsv_deviceILi32ELi16ELb0ELb1ELb0ELb1E19rocblas_complex_numIdEPKS1_PKS3_PKPS1_EviT7_lllT6_T8_lllPii.uses_flat_scratch, 0
	.set _ZL19rocblas_trsv_deviceILi32ELi16ELb0ELb1ELb0ELb1E19rocblas_complex_numIdEPKS1_PKS3_PKPS1_EviT7_lllT6_T8_lllPii.has_dyn_sized_stack, 0
	.set _ZL19rocblas_trsv_deviceILi32ELi16ELb0ELb1ELb0ELb1E19rocblas_complex_numIdEPKS1_PKS3_PKPS1_EviT7_lllT6_T8_lllPii.has_recursion, 0
	.set _ZL19rocblas_trsv_deviceILi32ELi16ELb0ELb1ELb0ELb1E19rocblas_complex_numIdEPKS1_PKS3_PKPS1_EviT7_lllT6_T8_lllPii.has_indirect_call, 0
	.section	.AMDGPU.csdata,"",@progbits
; Kernel info:
; codeLenInByte = 22976
; TotalNumSgprs: 99
; NumVgprs: 41
; ScratchSize: 0
; MemoryBound: 1
; FloatMode: 240
; IeeeMode: 1
; LDSByteSize: 25104 bytes/workgroup (compile time only)
; SGPRBlocks: 12
; VGPRBlocks: 12
; NumSGPRsForWavesPerEU: 102
; NumVGPRsForWavesPerEU: 49
; Occupancy: 4
; WaveLimiterHint : 1
; COMPUTE_PGM_RSRC2:SCRATCH_EN: 0
; COMPUTE_PGM_RSRC2:USER_SGPR: 6
; COMPUTE_PGM_RSRC2:TRAP_HANDLER: 0
; COMPUTE_PGM_RSRC2:TGID_X_EN: 1
; COMPUTE_PGM_RSRC2:TGID_Y_EN: 0
; COMPUTE_PGM_RSRC2:TGID_Z_EN: 1
; COMPUTE_PGM_RSRC2:TIDIG_COMP_CNT: 1
	.section	.text._ZL19rocblas_trsv_deviceILi32ELi16ELb0ELb1ELb1ELb1E19rocblas_complex_numIdEPKS1_PKS3_PKPS1_EviT7_lllT6_T8_lllPii,"axG",@progbits,_ZL19rocblas_trsv_deviceILi32ELi16ELb0ELb1ELb1ELb1E19rocblas_complex_numIdEPKS1_PKS3_PKPS1_EviT7_lllT6_T8_lllPii,comdat
	.globl	_ZL19rocblas_trsv_deviceILi32ELi16ELb0ELb1ELb1ELb1E19rocblas_complex_numIdEPKS1_PKS3_PKPS1_EviT7_lllT6_T8_lllPii ; -- Begin function _ZL19rocblas_trsv_deviceILi32ELi16ELb0ELb1ELb1ELb1E19rocblas_complex_numIdEPKS1_PKS3_PKPS1_EviT7_lllT6_T8_lllPii
	.p2align	8
	.type	_ZL19rocblas_trsv_deviceILi32ELi16ELb0ELb1ELb1ELb1E19rocblas_complex_numIdEPKS1_PKS3_PKPS1_EviT7_lllT6_T8_lllPii,@function
_ZL19rocblas_trsv_deviceILi32ELi16ELb0ELb1ELb1ELb1E19rocblas_complex_numIdEPKS1_PKS3_PKPS1_EviT7_lllT6_T8_lllPii: ; @_ZL19rocblas_trsv_deviceILi32ELi16ELb0ELb1ELb1ELb1E19rocblas_complex_numIdEPKS1_PKS3_PKPS1_EviT7_lllT6_T8_lllPii
; %bb.0:
	s_load_dwordx4 s[0:3], s[4:5], 0x8
	s_mov_b32 s28, s7
	s_mov_b32 s29, 0
	s_lshl_b64 s[8:9], s[28:29], 3
	s_waitcnt lgkmcnt(0)
	s_add_u32 s0, s0, s8
	s_addc_u32 s1, s1, s9
	s_load_dwordx2 s[10:11], s[0:1], 0x0
	s_load_dword s33, s[4:5], 0x0
	s_load_dwordx8 s[16:23], s[4:5], 0x28
	s_load_dwordx2 s[34:35], s[4:5], 0x18
	s_lshl_b64 s[0:1], s[2:3], 4
	s_waitcnt lgkmcnt(0)
	s_add_u32 s92, s10, s0
	s_addc_u32 s93, s11, s1
	s_add_u32 s0, s18, s8
	s_addc_u32 s1, s19, s9
	s_load_dwordx2 s[36:37], s[0:1], 0x0
	s_load_dwordx4 s[24:27], s[16:17], 0x0
	s_load_dword s94, s[4:5], 0x6c
	s_cmp_eq_u32 s6, 0
	s_cbranch_scc1 .LBB171_6
; %bb.1:
	s_lshl_b32 s2, s6, 5
	v_add_u32_e32 v6, s2, v0
	v_ashrrev_i32_e32 v2, 31, v6
	v_mul_lo_u32 v7, s34, v2
	v_mul_lo_u32 v8, s35, v6
	v_mad_u64_u32 v[4:5], s[0:1], s34, v6, 0
	v_add_u32_e32 v2, s2, v1
	v_subrev_u32_e32 v2, 32, v2
	v_add3_u32 v5, v5, v7, v8
	v_lshlrev_b64 v[4:5], 4, v[4:5]
	v_ashrrev_i32_e32 v3, 31, v2
	v_cmp_gt_i32_e32 vcc, s33, v6
	v_mov_b32_e32 v6, s93
	v_add_co_u32_e64 v7, s[0:1], s92, v4
	v_lshlrev_b64 v[3:4], 4, v[2:3]
	v_addc_co_u32_e64 v5, s[0:1], v6, v5, s[0:1]
	v_add_co_u32_e64 v10, s[0:1], v7, v3
	v_addc_co_u32_e64 v11, s[0:1], v5, v4, s[0:1]
	v_cmp_gt_i32_e64 s[0:1], s33, v2
	v_mov_b32_e32 v4, 0
	v_mov_b32_e32 v6, 0
	;; [unrolled: 1-line block ×6, first 2 shown]
	s_and_b64 s[2:3], s[0:1], vcc
	s_waitcnt lgkmcnt(0)
	s_barrier
	s_and_saveexec_b64 s[0:1], s[2:3]
	s_cbranch_execz .LBB171_3
; %bb.2:
	flat_load_dwordx4 v[6:9], v[10:11]
.LBB171_3:
	s_or_b64 exec, exec, s[0:1]
	v_add_u32_e32 v2, 16, v2
	v_cmp_gt_i32_e64 s[0:1], s33, v2
	v_mov_b32_e32 v2, 0
	v_mov_b32_e32 v3, 0
	s_and_b64 s[2:3], s[0:1], vcc
	s_waitcnt vmcnt(0) lgkmcnt(0)
	s_barrier
	s_and_saveexec_b64 s[0:1], s[2:3]
	s_cbranch_execz .LBB171_5
; %bb.4:
	flat_load_dwordx4 v[2:5], v[10:11] offset:256
.LBB171_5:
	s_or_b64 exec, exec, s[0:1]
	s_branch .LBB171_7
.LBB171_6:
                                        ; implicit-def: $vgpr4_vgpr5
                                        ; implicit-def: $vgpr8_vgpr9
.LBB171_7:
	s_ashr_i32 s0, s33, 31
	s_lshr_b32 s0, s0, 27
	s_add_i32 s0, s33, s0
	s_andn2_b32 s0, s0, 31
	s_sub_i32 s7, s33, s0
	s_add_i32 s0, s33, -1
	s_ashr_i32 s1, s0, 31
	s_lshr_b32 s1, s1, 27
	s_add_i32 s0, s0, s1
	s_ashr_i32 s0, s0, 5
	s_cmp_eq_u32 s0, s6
	s_cselect_b64 s[0:1], -1, 0
	s_cmp_lg_u32 s7, 0
	s_cselect_b64 s[2:3], -1, 0
	s_and_b64 s[30:31], s[2:3], s[0:1]
	s_cmp_lt_i32 s6, 5
	s_cselect_b64 s[2:3], -1, 0
	v_lshlrev_b32_e32 v10, 5, v0
	s_mov_b64 s[12:13], -1
	s_or_b64 s[0:1], s[2:3], s[30:31]
	s_and_b64 vcc, exec, s[30:31]
	v_add_u32_e32 v11, v1, v10
	v_cmp_le_u32_e64 s[8:9], v1, v0
	v_lshlrev_b32_e32 v22, 4, v0
	v_lshl_add_u32 v23, v1, 5, v0
	s_cbranch_vccnz .LBB171_21
; %bb.8:
	s_add_u32 s10, s34, 1
	s_addc_u32 s11, s35, 0
	s_lshl_b32 s12, s6, 5
	s_ashr_i32 s13, s12, 31
	s_mul_hi_u32 s14, s10, s12
	s_mul_i32 s13, s10, s13
	s_add_i32 s13, s14, s13
	s_mul_i32 s11, s11, s12
	s_add_i32 s11, s13, s11
	s_mul_i32 s10, s10, s12
	s_lshl_b64 s[10:11], s[10:11], 4
	s_add_u32 s10, s92, s10
	s_addc_u32 s11, s93, s11
	v_lshlrev_b32_e32 v12, 4, v0
	v_mov_b32_e32 v13, s11
	v_add_co_u32_e32 v12, vcc, s10, v12
	v_addc_co_u32_e32 v13, vcc, 0, v13, vcc
	v_cndmask_b32_e64 v14, v23, v11, s[2:3]
	s_and_saveexec_b64 s[2:3], s[8:9]
	s_xor_b64 s[2:3], exec, s[2:3]
	s_cbranch_execz .LBB171_12
; %bb.9:
	v_or_b32_e32 v15, v1, v0
	v_cmp_gt_u32_e32 vcc, 32, v15
	s_and_saveexec_b64 s[8:9], vcc
	s_cbranch_execz .LBB171_11
; %bb.10:
	v_lshlrev_b32_e32 v18, 4, v14
	v_mov_b32_e32 v14, 0
	v_mov_b32_e32 v15, v14
	;; [unrolled: 1-line block ×4, first 2 shown]
	ds_write_b128 v18, v[14:17]
.LBB171_11:
	s_or_b64 exec, exec, s[8:9]
                                        ; implicit-def: $vgpr14
.LBB171_12:
	s_andn2_saveexec_b64 s[2:3], s[2:3]
	s_cbranch_execz .LBB171_14
; %bb.13:
	v_mad_u64_u32 v[15:16], s[8:9], s34, v1, 0
	v_lshlrev_b32_e32 v14, 4, v14
	v_mad_u64_u32 v[16:17], s[8:9], s35, v1, v[16:17]
	v_lshlrev_b64 v[15:16], 4, v[15:16]
	v_add_co_u32_e32 v15, vcc, v12, v15
	v_addc_co_u32_e32 v16, vcc, v13, v16, vcc
	flat_load_dwordx4 v[15:18], v[15:16]
	s_waitcnt vmcnt(0) lgkmcnt(0)
	v_xor_b32_e32 v16, 0x80000000, v16
	ds_write_b128 v14, v[15:18]
.LBB171_14:
	s_or_b64 exec, exec, s[2:3]
	v_add_u32_e32 v15, 16, v1
	v_add_u32_e32 v14, v15, v10
	v_lshl_add_u32 v16, v15, 5, v0
	v_cndmask_b32_e64 v14, v16, v14, s[0:1]
	v_cmp_le_u32_e32 vcc, v15, v0
	s_and_saveexec_b64 s[2:3], vcc
	s_xor_b64 s[2:3], exec, s[2:3]
	s_cbranch_execz .LBB171_18
; %bb.15:
	v_or_b32_e32 v12, v15, v0
	v_cmp_gt_u32_e32 vcc, 32, v12
	s_and_saveexec_b64 s[8:9], vcc
	s_cbranch_execz .LBB171_17
; %bb.16:
	v_mov_b32_e32 v12, 0
	v_lshlrev_b32_e32 v16, 4, v14
	v_mov_b32_e32 v13, v12
	v_mov_b32_e32 v14, v12
	;; [unrolled: 1-line block ×3, first 2 shown]
	ds_write_b128 v16, v[12:15]
.LBB171_17:
	s_or_b64 exec, exec, s[8:9]
                                        ; implicit-def: $vgpr15
                                        ; implicit-def: $vgpr12
                                        ; implicit-def: $vgpr13
                                        ; implicit-def: $vgpr14
.LBB171_18:
	s_andn2_saveexec_b64 s[2:3], s[2:3]
	s_cbranch_execz .LBB171_20
; %bb.19:
	v_mad_u64_u32 v[16:17], s[8:9], s34, v15, 0
	v_mad_u64_u32 v[17:18], s[8:9], s35, v15, v[17:18]
	v_lshlrev_b64 v[15:16], 4, v[16:17]
	v_add_co_u32_e32 v12, vcc, v12, v15
	v_addc_co_u32_e32 v13, vcc, v13, v16, vcc
	flat_load_dwordx4 v[15:18], v[12:13]
	v_lshlrev_b32_e32 v12, 4, v14
	s_waitcnt vmcnt(0) lgkmcnt(0)
	v_xor_b32_e32 v16, 0x80000000, v16
	ds_write_b128 v12, v[15:18]
.LBB171_20:
	s_or_b64 exec, exec, s[2:3]
	s_mov_b64 s[12:13], 0
.LBB171_21:
	s_xor_b64 s[10:11], s[0:1], -1
	s_and_b64 vcc, exec, s[12:13]
	s_cbranch_vccz .LBB171_35
; %bb.22:
	s_add_u32 s2, s34, 1
	s_addc_u32 s3, s35, 0
	s_lshl_b32 s8, s6, 5
	s_ashr_i32 s9, s8, 31
	s_mul_hi_u32 s12, s2, s8
	s_mul_i32 s9, s2, s9
	s_add_i32 s9, s12, s9
	s_mul_i32 s3, s3, s8
	s_add_i32 s3, s9, s3
	s_mul_i32 s2, s2, s8
	s_lshl_b64 s[2:3], s[2:3], 4
	s_add_u32 s2, s92, s2
	s_addc_u32 s3, s93, s3
	v_lshlrev_b32_e32 v12, 4, v0
	v_mov_b32_e32 v13, s3
	v_add_co_u32_e64 v12, s[2:3], s2, v12
	v_addc_co_u32_e64 v13, s[2:3], 0, v13, s[2:3]
	v_max_i32_e32 v14, v1, v0
	v_cmp_le_u32_e64 s[2:3], v1, v0
	v_cmp_le_i32_e64 s[8:9], s7, v14
	v_cmp_gt_i32_e32 vcc, s7, v0
	s_or_b64 s[2:3], s[8:9], s[2:3]
	s_and_saveexec_b64 s[8:9], s[2:3]
	s_xor_b64 s[8:9], exec, s[8:9]
	s_cbranch_execz .LBB171_26
; %bb.23:
	v_or_b32_e32 v14, v1, v0
	v_cmp_gt_u32_e64 s[2:3], 32, v14
	s_and_saveexec_b64 s[12:13], s[2:3]
	s_cbranch_execz .LBB171_25
; %bb.24:
	v_mov_b32_e32 v14, 0
	v_lshlrev_b32_e32 v11, 4, v11
	v_mov_b32_e32 v15, v14
	v_mov_b32_e32 v16, v14
	;; [unrolled: 1-line block ×3, first 2 shown]
	ds_write_b128 v11, v[14:17]
.LBB171_25:
	s_or_b64 exec, exec, s[12:13]
                                        ; implicit-def: $vgpr11
.LBB171_26:
	s_andn2_saveexec_b64 s[8:9], s[8:9]
	s_cbranch_execz .LBB171_28
; %bb.27:
	v_mad_u64_u32 v[14:15], s[2:3], s34, v1, 0
	v_lshlrev_b32_e32 v11, 4, v11
	v_mad_u64_u32 v[15:16], s[2:3], s35, v1, v[15:16]
	v_lshlrev_b64 v[14:15], 4, v[14:15]
	v_add_co_u32_e64 v14, s[2:3], v12, v14
	v_addc_co_u32_e64 v15, s[2:3], v13, v15, s[2:3]
	flat_load_dwordx4 v[14:17], v[14:15]
	s_waitcnt vmcnt(0) lgkmcnt(0)
	v_xor_b32_e32 v15, 0x80000000, v15
	ds_write_b128 v11, v[14:17]
.LBB171_28:
	s_or_b64 exec, exec, s[8:9]
	v_add_u32_e32 v11, 16, v1
	v_add_u32_e32 v10, v11, v10
	v_lshl_add_u32 v14, v11, 5, v0
	v_cndmask_b32_e64 v10, v14, v10, s[0:1]
	v_cmp_gt_u32_e64 s[0:1], v11, v0
	v_cmp_gt_i32_e64 s[2:3], s7, v11
	s_and_b64 s[0:1], s[0:1], s[2:3]
	s_and_b64 s[0:1], s[0:1], vcc
	s_xor_b64 s[0:1], s[0:1], -1
	s_and_saveexec_b64 s[2:3], s[0:1]
	s_xor_b64 s[0:1], exec, s[2:3]
	s_cbranch_execz .LBB171_32
; %bb.29:
	v_or_b32_e32 v11, v11, v0
	v_cmp_gt_u32_e32 vcc, 32, v11
	s_and_saveexec_b64 s[2:3], vcc
	s_cbranch_execz .LBB171_31
; %bb.30:
	v_lshlrev_b32_e32 v14, 4, v10
	v_mov_b32_e32 v10, 0
	v_mov_b32_e32 v11, v10
	;; [unrolled: 1-line block ×4, first 2 shown]
	ds_write_b128 v14, v[10:13]
.LBB171_31:
	s_or_b64 exec, exec, s[2:3]
                                        ; implicit-def: $vgpr11
                                        ; implicit-def: $vgpr12
                                        ; implicit-def: $vgpr13
                                        ; implicit-def: $vgpr10
.LBB171_32:
	s_andn2_saveexec_b64 s[0:1], s[0:1]
	s_cbranch_execz .LBB171_34
; %bb.33:
	v_mad_u64_u32 v[14:15], s[2:3], s34, v11, 0
	v_lshlrev_b32_e32 v10, 4, v10
	v_mad_u64_u32 v[15:16], s[2:3], s35, v11, v[15:16]
	v_lshlrev_b64 v[14:15], 4, v[14:15]
	v_add_co_u32_e32 v11, vcc, v12, v14
	v_addc_co_u32_e32 v12, vcc, v13, v15, vcc
	flat_load_dwordx4 v[11:14], v[11:12]
	s_waitcnt vmcnt(0) lgkmcnt(0)
	v_xor_b32_e32 v12, 0x80000000, v12
	ds_write_b128 v10, v[11:14]
.LBB171_34:
	s_or_b64 exec, exec, s[0:1]
.LBB171_35:
	v_cndmask_b32_e64 v10, 0, 1, s[10:11]
	v_cmp_ne_u32_e64 s[0:1], 1, v10
	s_andn2_b64 vcc, exec, s[10:11]
	s_waitcnt vmcnt(0) lgkmcnt(0)
	s_barrier
	s_cbranch_vccnz .LBB171_459
; %bb.36:
	v_or_b32_e32 v10, v0, v1
	s_mov_b32 s8, 0
	v_cmp_eq_u32_e32 vcc, 0, v10
	s_and_saveexec_b64 s[2:3], vcc
	s_cbranch_execz .LBB171_38
; %bb.37:
	v_mov_b32_e32 v18, 0
	ds_read_b128 v[10:13], v18 offset:16352
	s_mov_b32 s11, s8
	s_mov_b32 s9, 0x3ff00000
	;; [unrolled: 1-line block ×3, first 2 shown]
	v_mov_b32_e32 v17, s11
	v_mov_b32_e32 v16, s10
	;; [unrolled: 1-line block ×4, first 2 shown]
	ds_write_b128 v18, v[14:17] offset:15840
	ds_write_b128 v18, v[14:17] offset:16368
	s_waitcnt lgkmcnt(2)
	ds_write_b128 v18, v[10:13] offset:15856
.LBB171_38:
	s_or_b64 exec, exec, s[2:3]
	v_lshlrev_b32_e32 v10, 5, v1
	v_add_u32_e32 v17, v10, v0
	v_add_u16_e32 v10, v10, v0
	v_lshrrev_b16_e32 v16, 1, v10
	v_mov_b32_e32 v10, 0
	v_mov_b32_e32 v12, 0
	v_and_b32_e32 v14, 1, v0
	v_sub_u32_e32 v15, 1, v16
	v_cmp_lt_u32_e64 s[8:9], 3, v17
	v_mov_b32_e32 v11, 0
	v_mov_b32_e32 v13, 0
	v_cmp_gt_u32_e64 s[2:3], 4, v17
	s_waitcnt lgkmcnt(0)
	s_barrier
	buffer_wbinvl1_vol
	s_and_saveexec_b64 s[12:13], s[2:3]
	s_cbranch_execz .LBB171_42
; %bb.39:
	v_lshlrev_b32_e32 v18, 4, v14
	v_lshlrev_b32_e32 v10, 9, v15
	ds_read_b128 v[10:13], v10 offset:15840
	ds_read_b128 v[18:21], v18 offset:15808
	v_cmp_gt_u32_e64 s[10:11], 2, v17
	s_waitcnt lgkmcnt(0)
	v_mul_f64 v[24:25], v[12:13], v[20:21]
	v_mul_f64 v[20:21], v[10:11], v[20:21]
	v_fma_f64 v[10:11], v[10:11], v[18:19], -v[24:25]
	v_fma_f64 v[12:13], v[12:13], v[18:19], v[20:21]
	v_add_f64 v[10:11], v[10:11], 0
	v_add_f64 v[12:13], v[12:13], 0
	s_and_saveexec_b64 s[14:15], s[10:11]
	s_cbranch_execz .LBB171_41
; %bb.40:
	v_lshlrev_b32_e32 v24, 4, v0
	v_mov_b32_e32 v18, 0
	ds_read_b128 v[18:21], v18 offset:16368
	ds_read_b128 v[24:27], v24 offset:16320
	s_waitcnt lgkmcnt(0)
	v_mul_f64 v[28:29], v[20:21], v[26:27]
	v_mul_f64 v[26:27], v[18:19], v[26:27]
	v_fma_f64 v[18:19], v[18:19], v[24:25], -v[28:29]
	v_fma_f64 v[20:21], v[20:21], v[24:25], v[26:27]
	v_add_f64 v[10:11], v[10:11], v[18:19]
	v_add_f64 v[12:13], v[12:13], v[20:21]
.LBB171_41:
	s_or_b64 exec, exec, s[14:15]
.LBB171_42:
	s_or_b64 exec, exec, s[12:13]
	v_mov_b32_e32 v18, 0x4000
	v_cmp_ne_u32_e64 s[10:11], 0, v14
	s_xor_b64 s[12:13], s[8:9], -1
	v_lshl_add_u32 v16, v16, 4, v18
	s_and_b64 s[40:41], s[10:11], s[12:13]
	s_and_saveexec_b64 s[8:9], s[40:41]
; %bb.43:
	v_xor_b32_e32 v19, 0x80000000, v11
	v_xor_b32_e32 v21, 0x80000000, v13
	v_mov_b32_e32 v18, v10
	v_mov_b32_e32 v20, v12
	ds_write_b128 v16, v[18:21]
; %bb.44:
	s_or_b64 exec, exec, s[8:9]
	v_cmp_eq_u32_e64 s[8:9], 0, v14
	s_and_b64 s[38:39], s[8:9], s[12:13]
	s_waitcnt lgkmcnt(0)
	s_barrier
	s_and_saveexec_b64 s[8:9], s[38:39]
	s_cbranch_execz .LBB171_46
; %bb.45:
	v_mov_b32_e32 v24, 0
	ds_read_b128 v[18:21], v16
	ds_read_b128 v[24:27], v24 offset:15296
	s_waitcnt lgkmcnt(0)
	v_mul_f64 v[28:29], v[18:19], v[24:25]
	v_mul_f64 v[18:19], v[18:19], v[26:27]
	v_fma_f64 v[26:27], v[20:21], v[26:27], -v[28:29]
	v_fma_f64 v[18:19], v[20:21], v[24:25], v[18:19]
	v_add_f64 v[10:11], v[10:11], v[26:27]
	v_add_f64 v[12:13], v[12:13], -v[18:19]
.LBB171_46:
	s_or_b64 exec, exec, s[8:9]
	s_barrier
	s_and_saveexec_b64 s[8:9], s[38:39]
; %bb.47:
	v_xor_b32_e32 v19, 0x80000000, v11
	v_xor_b32_e32 v21, 0x80000000, v13
	v_mov_b32_e32 v18, v10
	v_mov_b32_e32 v20, v12
	ds_write_b128 v16, v[18:21]
; %bb.48:
	s_or_b64 exec, exec, s[8:9]
	s_waitcnt lgkmcnt(0)
	s_barrier
	s_barrier
	s_and_saveexec_b64 s[8:9], s[2:3]
; %bb.49:
	v_lshlrev_b32_e32 v18, 4, v14
	v_lshl_or_b32 v18, v15, 9, v18
	ds_write_b128 v18, v[10:13] offset:15808
; %bb.50:
	s_or_b64 exec, exec, s[8:9]
	v_cmp_eq_u32_e64 s[10:11], 0, v1
	v_cmp_gt_u32_e64 s[8:9], 2, v0
	s_and_b64 s[42:43], s[10:11], s[8:9]
	s_waitcnt lgkmcnt(0)
	s_barrier
	s_barrier
	s_and_saveexec_b64 s[8:9], s[42:43]
	s_cbranch_execz .LBB171_52
; %bb.51:
	v_lshlrev_b32_e32 v18, 9, v0
	ds_read_b128 v[10:13], v18 offset:15808
	s_movk_i32 s12, 0xfe10
	v_mad_i32_i24 v19, v0, s12, v18
	s_waitcnt lgkmcnt(0)
	ds_write_b128 v19, v[10:13] offset:14816
	ds_read_b128 v[10:13], v18 offset:15824
	s_waitcnt lgkmcnt(0)
	ds_write_b128 v19, v[10:13] offset:15328
.LBB171_52:
	s_or_b64 exec, exec, s[8:9]
	s_waitcnt lgkmcnt(0)
	s_barrier
	s_and_saveexec_b64 s[8:9], vcc
	s_cbranch_execz .LBB171_54
; %bb.53:
	s_mov_b32 s12, 0
	v_mov_b32_e32 v24, 0
	ds_read_b128 v[10:13], v24 offset:15296
	s_mov_b32 s15, s12
	s_mov_b32 s13, 0x3ff00000
	;; [unrolled: 1-line block ×3, first 2 shown]
	v_mov_b32_e32 v21, s15
	v_mov_b32_e32 v20, s14
	;; [unrolled: 1-line block ×4, first 2 shown]
	ds_write_b128 v24, v[18:21] offset:14784
	ds_write_b128 v24, v[18:21] offset:15312
	s_waitcnt lgkmcnt(2)
	ds_write_b128 v24, v[10:13] offset:14800
.LBB171_54:
	s_or_b64 exec, exec, s[8:9]
	v_lshrrev_b32_e32 v20, 2, v17
	v_mov_b32_e32 v12, 0
	v_mov_b32_e32 v10, 0
	v_and_b32_e32 v18, 3, v0
	v_sub_u32_e32 v19, 3, v20
	v_cmp_lt_u32_e64 s[8:9], 15, v17
	v_mov_b32_e32 v13, 0
	v_mov_b32_e32 v11, 0
	v_cmp_gt_u32_e64 s[16:17], 16, v17
	s_waitcnt lgkmcnt(0)
	s_barrier
	buffer_wbinvl1_vol
	s_and_saveexec_b64 s[14:15], s[16:17]
	s_cbranch_execz .LBB171_60
; %bb.55:
	v_lshlrev_b32_e32 v24, 9, v19
	v_lshlrev_b32_e32 v21, 4, v18
	ds_read_b128 v[10:13], v24 offset:14784
	ds_read_b128 v[25:28], v21 offset:14720
	v_cmp_gt_u32_e64 s[12:13], 12, v17
	s_waitcnt lgkmcnt(0)
	v_mul_f64 v[29:30], v[12:13], v[27:28]
	v_mul_f64 v[27:28], v[10:11], v[27:28]
	v_fma_f64 v[10:11], v[10:11], v[25:26], -v[29:30]
	v_fma_f64 v[12:13], v[12:13], v[25:26], v[27:28]
	v_add_f64 v[10:11], v[10:11], 0
	v_add_f64 v[12:13], v[12:13], 0
	s_and_saveexec_b64 s[18:19], s[12:13]
	s_cbranch_execnz .LBB171_519
; %bb.56:
	s_or_b64 exec, exec, s[18:19]
	v_cmp_gt_u32_e64 s[12:13], 8, v17
	s_and_saveexec_b64 s[18:19], s[12:13]
	s_cbranch_execnz .LBB171_520
.LBB171_57:
	s_or_b64 exec, exec, s[18:19]
	v_cmp_gt_u32_e64 s[12:13], 4, v17
	s_and_saveexec_b64 s[18:19], s[12:13]
	s_cbranch_execz .LBB171_59
.LBB171_58:
	v_mov_b32_e32 v24, 0
	v_lshlrev_b32_e32 v21, 4, v0
	ds_read_b128 v[24:27], v24 offset:16368
	ds_read_b128 v[28:31], v21 offset:16256
	s_waitcnt lgkmcnt(0)
	v_mul_f64 v[32:33], v[26:27], v[30:31]
	v_mul_f64 v[30:31], v[24:25], v[30:31]
	v_fma_f64 v[24:25], v[24:25], v[28:29], -v[32:33]
	v_fma_f64 v[26:27], v[26:27], v[28:29], v[30:31]
	v_add_f64 v[10:11], v[10:11], v[24:25]
	v_add_f64 v[12:13], v[12:13], v[26:27]
.LBB171_59:
	s_or_b64 exec, exec, s[18:19]
.LBB171_60:
	s_or_b64 exec, exec, s[14:15]
	v_mov_b32_e32 v21, 0x4000
	v_cmp_eq_u32_e64 s[12:13], 3, v18
	s_xor_b64 s[14:15], s[8:9], -1
	v_lshl_add_u32 v20, v20, 4, v21
	s_and_b64 s[46:47], s[12:13], s[14:15]
	s_and_saveexec_b64 s[8:9], s[46:47]
; %bb.61:
	v_xor_b32_e32 v27, 0x80000000, v13
	v_xor_b32_e32 v25, 0x80000000, v11
	v_mov_b32_e32 v24, v10
	v_mov_b32_e32 v26, v12
	ds_write_b128 v20, v[24:27]
; %bb.62:
	s_or_b64 exec, exec, s[8:9]
	v_cmp_ne_u32_e64 s[8:9], 3, v18
	s_and_b64 s[48:49], s[8:9], s[14:15]
	s_waitcnt lgkmcnt(0)
	s_barrier
	s_and_saveexec_b64 s[8:9], s[48:49]
	s_cbranch_execz .LBB171_64
; %bb.63:
	v_lshlrev_b32_e32 v21, 4, v18
	ds_read_b128 v[24:27], v20
	ds_read_b128 v[28:31], v21 offset:14208
	s_waitcnt lgkmcnt(0)
	v_mul_f64 v[32:33], v[26:27], v[30:31]
	v_mul_f64 v[30:31], v[24:25], v[30:31]
	v_fma_f64 v[24:25], v[24:25], v[28:29], -v[32:33]
	v_fma_f64 v[26:27], v[26:27], v[28:29], v[30:31]
	v_add_f64 v[10:11], v[10:11], -v[24:25]
	v_add_f64 v[12:13], v[12:13], -v[26:27]
.LBB171_64:
	s_or_b64 exec, exec, s[8:9]
	v_cmp_eq_u32_e64 s[8:9], 2, v18
	s_and_b64 s[50:51], s[8:9], s[14:15]
	s_barrier
	s_and_saveexec_b64 s[8:9], s[50:51]
; %bb.65:
	v_xor_b32_e32 v27, 0x80000000, v13
	v_xor_b32_e32 v25, 0x80000000, v11
	v_mov_b32_e32 v24, v10
	v_mov_b32_e32 v26, v12
	ds_write_b128 v20, v[24:27]
; %bb.66:
	s_or_b64 exec, exec, s[8:9]
	v_cmp_gt_u32_e64 s[8:9], 2, v18
	s_and_b64 s[52:53], s[8:9], s[14:15]
	s_waitcnt lgkmcnt(0)
	s_barrier
	s_and_saveexec_b64 s[8:9], s[52:53]
	s_cbranch_execz .LBB171_68
; %bb.67:
	v_lshlrev_b32_e32 v21, 4, v18
	ds_read_b128 v[24:27], v20
	ds_read_b128 v[28:31], v21 offset:13696
	s_waitcnt lgkmcnt(0)
	v_mul_f64 v[32:33], v[26:27], v[30:31]
	v_mul_f64 v[30:31], v[24:25], v[30:31]
	v_fma_f64 v[24:25], v[24:25], v[28:29], -v[32:33]
	v_fma_f64 v[26:27], v[26:27], v[28:29], v[30:31]
	v_add_f64 v[10:11], v[10:11], -v[24:25]
	v_add_f64 v[12:13], v[12:13], -v[26:27]
.LBB171_68:
	s_or_b64 exec, exec, s[8:9]
	v_cmp_eq_u32_e64 s[8:9], 1, v18
	s_and_b64 s[54:55], s[8:9], s[14:15]
	s_barrier
	s_and_saveexec_b64 s[8:9], s[54:55]
; %bb.69:
	v_xor_b32_e32 v27, 0x80000000, v13
	v_xor_b32_e32 v25, 0x80000000, v11
	v_mov_b32_e32 v24, v10
	v_mov_b32_e32 v26, v12
	ds_write_b128 v20, v[24:27]
; %bb.70:
	s_or_b64 exec, exec, s[8:9]
	v_cmp_eq_u32_e64 s[8:9], 0, v18
	s_and_b64 s[44:45], s[8:9], s[14:15]
	s_waitcnt lgkmcnt(0)
	s_barrier
	s_and_saveexec_b64 s[8:9], s[44:45]
	s_cbranch_execz .LBB171_72
; %bb.71:
	v_mov_b32_e32 v21, 0
	ds_read_b128 v[24:27], v20
	ds_read_b128 v[28:31], v21 offset:13184
	s_waitcnt lgkmcnt(0)
	v_mul_f64 v[32:33], v[26:27], v[30:31]
	v_mul_f64 v[30:31], v[24:25], v[30:31]
	v_fma_f64 v[24:25], v[24:25], v[28:29], -v[32:33]
	v_fma_f64 v[26:27], v[26:27], v[28:29], v[30:31]
	v_add_f64 v[10:11], v[10:11], -v[24:25]
	v_add_f64 v[12:13], v[12:13], -v[26:27]
.LBB171_72:
	s_or_b64 exec, exec, s[8:9]
	s_barrier
	s_and_saveexec_b64 s[8:9], s[44:45]
; %bb.73:
	v_xor_b32_e32 v27, 0x80000000, v13
	v_xor_b32_e32 v25, 0x80000000, v11
	v_mov_b32_e32 v24, v10
	v_mov_b32_e32 v26, v12
	ds_write_b128 v20, v[24:27]
; %bb.74:
	s_or_b64 exec, exec, s[8:9]
	s_waitcnt lgkmcnt(0)
	s_barrier
	s_barrier
	s_and_saveexec_b64 s[8:9], s[16:17]
; %bb.75:
	v_lshlrev_b32_e32 v21, 4, v18
	v_lshl_or_b32 v21, v19, 9, v21
	ds_write_b128 v21, v[10:13] offset:14720
; %bb.76:
	s_or_b64 exec, exec, s[8:9]
	v_cmp_gt_u32_e64 s[8:9], 4, v0
	s_and_b64 s[56:57], s[10:11], s[8:9]
	s_waitcnt lgkmcnt(0)
	s_barrier
	s_barrier
	s_and_saveexec_b64 s[8:9], s[56:57]
	s_cbranch_execz .LBB171_78
; %bb.77:
	v_lshlrev_b32_e32 v21, 4, v0
	s_movk_i32 s12, 0x1f0
	v_mad_u32_u24 v24, v0, s12, v21
	ds_read_b128 v[10:13], v24 offset:14720
	s_waitcnt lgkmcnt(0)
	ds_write_b128 v21, v[10:13] offset:12736
	ds_read_b128 v[10:13], v24 offset:14736
	s_waitcnt lgkmcnt(0)
	ds_write_b128 v21, v[10:13] offset:13248
	;; [unrolled: 3-line block ×4, first 2 shown]
.LBB171_78:
	s_or_b64 exec, exec, s[8:9]
	s_waitcnt lgkmcnt(0)
	s_barrier
	s_and_saveexec_b64 s[8:9], vcc
	s_cbranch_execz .LBB171_80
; %bb.79:
	s_mov_b32 s12, 0
	v_mov_b32_e32 v21, 0
	ds_read_b128 v[10:13], v21 offset:14240
	s_mov_b32 s15, s12
	s_mov_b32 s13, 0x3ff00000
	s_mov_b32 s14, s12
	v_mov_b32_e32 v27, s15
	v_mov_b32_e32 v26, s14
	;; [unrolled: 1-line block ×4, first 2 shown]
	ds_write_b128 v21, v[24:27] offset:13728
	ds_write_b128 v21, v[24:27] offset:14256
	s_waitcnt lgkmcnt(2)
	ds_write_b128 v21, v[10:13] offset:13744
.LBB171_80:
	s_or_b64 exec, exec, s[8:9]
	v_mov_b32_e32 v10, 0
	v_mov_b32_e32 v12, 0
	;; [unrolled: 1-line block ×4, first 2 shown]
	s_waitcnt lgkmcnt(0)
	s_barrier
	buffer_wbinvl1_vol
	s_and_saveexec_b64 s[12:13], s[2:3]
	s_cbranch_execz .LBB171_84
; %bb.81:
	v_lshlrev_b32_e32 v10, 9, v15
	v_lshlrev_b32_e32 v21, 4, v14
	ds_read_b128 v[10:13], v10 offset:13728
	ds_read_b128 v[24:27], v21 offset:13696
	v_cmp_gt_u32_e64 s[8:9], 2, v17
	s_waitcnt lgkmcnt(0)
	v_mul_f64 v[28:29], v[12:13], v[26:27]
	v_mul_f64 v[26:27], v[10:11], v[26:27]
	v_fma_f64 v[10:11], v[10:11], v[24:25], -v[28:29]
	v_fma_f64 v[12:13], v[12:13], v[24:25], v[26:27]
	v_add_f64 v[10:11], v[10:11], 0
	v_add_f64 v[12:13], v[12:13], 0
	s_and_saveexec_b64 s[14:15], s[8:9]
	s_cbranch_execz .LBB171_83
; %bb.82:
	v_mov_b32_e32 v24, 0
	v_lshlrev_b32_e32 v21, 4, v0
	ds_read_b128 v[24:27], v24 offset:14256
	ds_read_b128 v[28:31], v21 offset:14208
	s_waitcnt lgkmcnt(0)
	v_mul_f64 v[32:33], v[26:27], v[30:31]
	v_mul_f64 v[30:31], v[24:25], v[30:31]
	v_fma_f64 v[24:25], v[24:25], v[28:29], -v[32:33]
	v_fma_f64 v[26:27], v[26:27], v[28:29], v[30:31]
	v_add_f64 v[10:11], v[10:11], v[24:25]
	v_add_f64 v[12:13], v[12:13], v[26:27]
.LBB171_83:
	s_or_b64 exec, exec, s[14:15]
.LBB171_84:
	s_or_b64 exec, exec, s[12:13]
	s_and_saveexec_b64 s[8:9], s[40:41]
; %bb.85:
	v_xor_b32_e32 v25, 0x80000000, v11
	v_xor_b32_e32 v27, 0x80000000, v13
	v_mov_b32_e32 v24, v10
	v_mov_b32_e32 v26, v12
	ds_write_b128 v16, v[24:27]
; %bb.86:
	s_or_b64 exec, exec, s[8:9]
	s_waitcnt lgkmcnt(0)
	s_barrier
	s_and_saveexec_b64 s[8:9], s[38:39]
	s_cbranch_execz .LBB171_88
; %bb.87:
	v_mov_b32_e32 v21, 0
	ds_read_b128 v[24:27], v16
	ds_read_b128 v[28:31], v21 offset:13184
	s_waitcnt lgkmcnt(0)
	v_mul_f64 v[32:33], v[24:25], v[28:29]
	v_mul_f64 v[24:25], v[24:25], v[30:31]
	v_fma_f64 v[30:31], v[26:27], v[30:31], -v[32:33]
	v_fma_f64 v[24:25], v[26:27], v[28:29], v[24:25]
	v_add_f64 v[10:11], v[10:11], v[30:31]
	v_add_f64 v[12:13], v[12:13], -v[24:25]
.LBB171_88:
	s_or_b64 exec, exec, s[8:9]
	s_barrier
	s_and_saveexec_b64 s[8:9], s[38:39]
; %bb.89:
	v_xor_b32_e32 v25, 0x80000000, v11
	v_xor_b32_e32 v27, 0x80000000, v13
	v_mov_b32_e32 v24, v10
	v_mov_b32_e32 v26, v12
	ds_write_b128 v16, v[24:27]
; %bb.90:
	s_or_b64 exec, exec, s[8:9]
	s_waitcnt lgkmcnt(0)
	s_barrier
	s_barrier
	s_and_saveexec_b64 s[8:9], s[2:3]
; %bb.91:
	v_lshlrev_b32_e32 v21, 4, v14
	v_lshl_or_b32 v21, v15, 9, v21
	ds_write_b128 v21, v[10:13] offset:13696
; %bb.92:
	s_or_b64 exec, exec, s[8:9]
	s_waitcnt lgkmcnt(0)
	s_barrier
	s_barrier
	s_and_saveexec_b64 s[8:9], s[42:43]
	s_cbranch_execz .LBB171_94
; %bb.93:
	v_lshlrev_b32_e32 v21, 9, v0
	ds_read_b128 v[10:13], v21 offset:13696
	s_movk_i32 s12, 0xfe10
	v_mad_i32_i24 v24, v0, s12, v21
	s_waitcnt lgkmcnt(0)
	ds_write_b128 v24, v[10:13] offset:12704
	ds_read_b128 v[10:13], v21 offset:13712
	s_waitcnt lgkmcnt(0)
	ds_write_b128 v24, v[10:13] offset:13216
.LBB171_94:
	s_or_b64 exec, exec, s[8:9]
	s_waitcnt lgkmcnt(0)
	s_barrier
	s_and_saveexec_b64 s[8:9], vcc
	s_cbranch_execz .LBB171_96
; %bb.95:
	s_mov_b32 s12, 0
	v_mov_b32_e32 v21, 0
	ds_read_b128 v[10:13], v21 offset:13184
	s_mov_b32 s15, s12
	s_mov_b32 s13, 0x3ff00000
	s_mov_b32 s14, s12
	v_mov_b32_e32 v27, s15
	v_mov_b32_e32 v26, s14
	;; [unrolled: 1-line block ×4, first 2 shown]
	ds_write_b128 v21, v[24:27] offset:12672
	ds_write_b128 v21, v[24:27] offset:13200
	s_waitcnt lgkmcnt(2)
	ds_write_b128 v21, v[10:13] offset:12688
.LBB171_96:
	s_or_b64 exec, exec, s[8:9]
	v_lshrrev_b32_e32 v25, 3, v17
	v_mov_b32_e32 v12, 0
	v_mov_b32_e32 v10, 0
	v_and_b32_e32 v21, 7, v0
	v_sub_u32_e32 v24, 7, v25
	v_cmp_lt_u32_e64 s[12:13], 63, v17
	v_mov_b32_e32 v13, 0
	v_mov_b32_e32 v11, 0
	v_cmp_gt_u32_e64 s[8:9], 64, v17
	s_waitcnt lgkmcnt(0)
	s_barrier
	buffer_wbinvl1_vol
	s_and_saveexec_b64 s[18:19], s[8:9]
	s_cbranch_execz .LBB171_106
; %bb.97:
	v_lshlrev_b32_e32 v27, 9, v24
	v_lshlrev_b32_e32 v26, 4, v21
	ds_read_b128 v[10:13], v27 offset:12672
	ds_read_b128 v[28:31], v26 offset:12544
	v_cmp_gt_u32_e64 s[14:15], 56, v17
	s_waitcnt lgkmcnt(0)
	v_mul_f64 v[32:33], v[12:13], v[30:31]
	v_mul_f64 v[30:31], v[10:11], v[30:31]
	v_fma_f64 v[10:11], v[10:11], v[28:29], -v[32:33]
	v_fma_f64 v[12:13], v[12:13], v[28:29], v[30:31]
	v_add_f64 v[10:11], v[10:11], 0
	v_add_f64 v[12:13], v[12:13], 0
	s_and_saveexec_b64 s[58:59], s[14:15]
	s_cbranch_execnz .LBB171_521
; %bb.98:
	s_or_b64 exec, exec, s[58:59]
	v_cmp_gt_u32_e64 s[14:15], 48, v17
	s_and_saveexec_b64 s[58:59], s[14:15]
	s_cbranch_execnz .LBB171_522
.LBB171_99:
	s_or_b64 exec, exec, s[58:59]
	v_cmp_gt_u32_e64 s[14:15], 40, v17
	s_and_saveexec_b64 s[58:59], s[14:15]
	s_cbranch_execnz .LBB171_523
.LBB171_100:
	s_or_b64 exec, exec, s[58:59]
	v_cmp_gt_u32_e64 s[14:15], 32, v17
	s_and_saveexec_b64 s[58:59], s[14:15]
	s_cbranch_execnz .LBB171_524
.LBB171_101:
	s_or_b64 exec, exec, s[58:59]
	v_cmp_gt_u32_e64 s[14:15], 24, v17
	s_and_saveexec_b64 s[58:59], s[14:15]
	s_cbranch_execnz .LBB171_525
.LBB171_102:
	s_or_b64 exec, exec, s[58:59]
	s_and_saveexec_b64 s[14:15], s[16:17]
	s_cbranch_execnz .LBB171_526
.LBB171_103:
	s_or_b64 exec, exec, s[14:15]
	v_cmp_gt_u32_e64 s[14:15], 8, v17
	s_and_saveexec_b64 s[58:59], s[14:15]
	s_cbranch_execz .LBB171_105
.LBB171_104:
	v_lshlrev_b32_e32 v30, 4, v0
	v_mov_b32_e32 v26, 0
	ds_read_b128 v[26:29], v26 offset:16368
	ds_read_b128 v[30:33], v30 offset:16128
	s_waitcnt lgkmcnt(0)
	v_mul_f64 v[34:35], v[28:29], v[32:33]
	v_mul_f64 v[32:33], v[26:27], v[32:33]
	v_fma_f64 v[26:27], v[26:27], v[30:31], -v[34:35]
	v_fma_f64 v[28:29], v[28:29], v[30:31], v[32:33]
	v_add_f64 v[10:11], v[10:11], v[26:27]
	v_add_f64 v[12:13], v[12:13], v[28:29]
.LBB171_105:
	s_or_b64 exec, exec, s[58:59]
.LBB171_106:
	s_or_b64 exec, exec, s[18:19]
	v_mov_b32_e32 v26, 0x4000
	v_cmp_eq_u32_e64 s[14:15], 7, v21
	s_xor_b64 s[18:19], s[12:13], -1
	v_lshl_add_u32 v25, v25, 4, v26
	s_and_b64 s[60:61], s[14:15], s[18:19]
	s_and_saveexec_b64 s[12:13], s[60:61]
; %bb.107:
	v_xor_b32_e32 v27, 0x80000000, v11
	v_xor_b32_e32 v29, 0x80000000, v13
	v_mov_b32_e32 v26, v10
	v_mov_b32_e32 v28, v12
	ds_write_b128 v25, v[26:29]
; %bb.108:
	s_or_b64 exec, exec, s[12:13]
	v_cmp_ne_u32_e64 s[12:13], 7, v21
	s_and_b64 s[62:63], s[12:13], s[18:19]
	s_waitcnt lgkmcnt(0)
	s_barrier
	s_and_saveexec_b64 s[12:13], s[62:63]
	s_cbranch_execz .LBB171_110
; %bb.109:
	v_lshlrev_b32_e32 v30, 4, v21
	ds_read_b128 v[26:29], v25
	ds_read_b128 v[30:33], v30 offset:12032
	s_waitcnt lgkmcnt(0)
	v_mul_f64 v[34:35], v[28:29], v[32:33]
	v_mul_f64 v[32:33], v[26:27], v[32:33]
	v_fma_f64 v[26:27], v[26:27], v[30:31], -v[34:35]
	v_fma_f64 v[28:29], v[28:29], v[30:31], v[32:33]
	v_add_f64 v[10:11], v[10:11], -v[26:27]
	v_add_f64 v[12:13], v[12:13], -v[28:29]
.LBB171_110:
	s_or_b64 exec, exec, s[12:13]
	v_cmp_eq_u32_e64 s[12:13], 6, v21
	s_and_b64 s[64:65], s[12:13], s[18:19]
	s_barrier
	s_and_saveexec_b64 s[12:13], s[64:65]
; %bb.111:
	v_xor_b32_e32 v27, 0x80000000, v11
	v_xor_b32_e32 v29, 0x80000000, v13
	v_mov_b32_e32 v26, v10
	v_mov_b32_e32 v28, v12
	ds_write_b128 v25, v[26:29]
; %bb.112:
	s_or_b64 exec, exec, s[12:13]
	v_cmp_gt_u32_e64 s[12:13], 6, v21
	s_and_b64 s[66:67], s[12:13], s[18:19]
	s_waitcnt lgkmcnt(0)
	s_barrier
	s_and_saveexec_b64 s[12:13], s[66:67]
	s_cbranch_execz .LBB171_114
; %bb.113:
	v_lshlrev_b32_e32 v30, 4, v21
	ds_read_b128 v[26:29], v25
	ds_read_b128 v[30:33], v30 offset:11520
	s_waitcnt lgkmcnt(0)
	v_mul_f64 v[34:35], v[28:29], v[32:33]
	v_mul_f64 v[32:33], v[26:27], v[32:33]
	v_fma_f64 v[26:27], v[26:27], v[30:31], -v[34:35]
	v_fma_f64 v[28:29], v[28:29], v[30:31], v[32:33]
	v_add_f64 v[10:11], v[10:11], -v[26:27]
	v_add_f64 v[12:13], v[12:13], -v[28:29]
.LBB171_114:
	s_or_b64 exec, exec, s[12:13]
	v_cmp_eq_u32_e64 s[12:13], 5, v21
	s_and_b64 s[68:69], s[12:13], s[18:19]
	s_barrier
	s_and_saveexec_b64 s[12:13], s[68:69]
; %bb.115:
	v_xor_b32_e32 v27, 0x80000000, v11
	v_xor_b32_e32 v29, 0x80000000, v13
	v_mov_b32_e32 v26, v10
	v_mov_b32_e32 v28, v12
	ds_write_b128 v25, v[26:29]
; %bb.116:
	s_or_b64 exec, exec, s[12:13]
	v_cmp_gt_u32_e64 s[12:13], 5, v21
	;; [unrolled: 31-line block ×5, first 2 shown]
	s_and_b64 s[82:83], s[12:13], s[18:19]
	s_waitcnt lgkmcnt(0)
	s_barrier
	s_and_saveexec_b64 s[12:13], s[82:83]
	s_cbranch_execz .LBB171_130
; %bb.129:
	v_lshlrev_b32_e32 v30, 4, v21
	ds_read_b128 v[26:29], v25
	ds_read_b128 v[30:33], v30 offset:9472
	s_waitcnt lgkmcnt(0)
	v_mul_f64 v[34:35], v[28:29], v[32:33]
	v_mul_f64 v[32:33], v[26:27], v[32:33]
	v_fma_f64 v[26:27], v[26:27], v[30:31], -v[34:35]
	v_fma_f64 v[28:29], v[28:29], v[30:31], v[32:33]
	v_add_f64 v[10:11], v[10:11], -v[26:27]
	v_add_f64 v[12:13], v[12:13], -v[28:29]
.LBB171_130:
	s_or_b64 exec, exec, s[12:13]
	v_cmp_eq_u32_e64 s[12:13], 1, v21
	s_and_b64 s[84:85], s[12:13], s[18:19]
	s_barrier
	s_and_saveexec_b64 s[12:13], s[84:85]
; %bb.131:
	v_xor_b32_e32 v27, 0x80000000, v11
	v_xor_b32_e32 v29, 0x80000000, v13
	v_mov_b32_e32 v26, v10
	v_mov_b32_e32 v28, v12
	ds_write_b128 v25, v[26:29]
; %bb.132:
	s_or_b64 exec, exec, s[12:13]
	v_cmp_eq_u32_e64 s[12:13], 0, v21
	s_and_b64 s[58:59], s[12:13], s[18:19]
	s_waitcnt lgkmcnt(0)
	s_barrier
	s_and_saveexec_b64 s[12:13], s[58:59]
	s_cbranch_execz .LBB171_134
; %bb.133:
	v_mov_b32_e32 v30, 0
	ds_read_b128 v[26:29], v25
	ds_read_b128 v[30:33], v30 offset:8960
	s_waitcnt lgkmcnt(0)
	v_mul_f64 v[34:35], v[28:29], v[32:33]
	v_mul_f64 v[32:33], v[26:27], v[32:33]
	v_fma_f64 v[26:27], v[26:27], v[30:31], -v[34:35]
	v_fma_f64 v[28:29], v[28:29], v[30:31], v[32:33]
	v_add_f64 v[10:11], v[10:11], -v[26:27]
	v_add_f64 v[12:13], v[12:13], -v[28:29]
.LBB171_134:
	s_or_b64 exec, exec, s[12:13]
	s_barrier
	s_and_saveexec_b64 s[12:13], s[58:59]
; %bb.135:
	v_xor_b32_e32 v27, 0x80000000, v11
	v_xor_b32_e32 v29, 0x80000000, v13
	v_mov_b32_e32 v26, v10
	v_mov_b32_e32 v28, v12
	ds_write_b128 v25, v[26:29]
; %bb.136:
	s_or_b64 exec, exec, s[12:13]
	s_waitcnt lgkmcnt(0)
	s_barrier
	s_barrier
	s_and_saveexec_b64 s[12:13], s[8:9]
; %bb.137:
	v_lshlrev_b32_e32 v26, 4, v21
	v_lshl_or_b32 v26, v24, 9, v26
	ds_write_b128 v26, v[10:13] offset:12544
; %bb.138:
	s_or_b64 exec, exec, s[12:13]
	v_cmp_gt_u32_e64 s[12:13], 8, v0
	s_and_b64 s[86:87], s[10:11], s[12:13]
	s_waitcnt lgkmcnt(0)
	s_barrier
	s_barrier
	s_and_saveexec_b64 s[12:13], s[86:87]
	s_cbranch_execz .LBB171_140
; %bb.139:
	v_lshlrev_b32_e32 v26, 9, v0
	ds_read_b128 v[10:13], v26 offset:12544
	s_movk_i32 s14, 0xfe10
	v_mad_i32_i24 v27, v0, s14, v26
	s_waitcnt lgkmcnt(0)
	ds_write_b128 v27, v[10:13] offset:8576
	ds_read_b128 v[10:13], v26 offset:12560
	s_waitcnt lgkmcnt(0)
	ds_write_b128 v27, v[10:13] offset:9088
	ds_read_b128 v[10:13], v26 offset:12576
	;; [unrolled: 3-line block ×7, first 2 shown]
	s_waitcnt lgkmcnt(0)
	ds_write_b128 v27, v[10:13] offset:12160
.LBB171_140:
	s_or_b64 exec, exec, s[12:13]
	s_waitcnt lgkmcnt(0)
	s_barrier
	s_and_saveexec_b64 s[12:13], vcc
	s_cbranch_execz .LBB171_142
; %bb.141:
	v_mov_b32_e32 v30, 0
	s_mov_b32 s88, 0
	ds_read_b128 v[10:13], v30 offset:12128
	s_mov_b32 s89, 0x3ff00000
	s_mov_b32 s90, s88
	;; [unrolled: 1-line block ×3, first 2 shown]
	v_mov_b32_e32 v26, s88
	v_mov_b32_e32 v27, s89
	;; [unrolled: 1-line block ×4, first 2 shown]
	ds_write_b128 v30, v[26:29] offset:11616
	ds_write_b128 v30, v[26:29] offset:12144
	s_waitcnt lgkmcnt(2)
	ds_write_b128 v30, v[10:13] offset:11632
.LBB171_142:
	s_or_b64 exec, exec, s[12:13]
	v_mov_b32_e32 v10, 0
	v_mov_b32_e32 v12, 0
	;; [unrolled: 1-line block ×4, first 2 shown]
	s_waitcnt lgkmcnt(0)
	s_barrier
	buffer_wbinvl1_vol
	s_and_saveexec_b64 s[14:15], s[2:3]
	s_cbranch_execz .LBB171_146
; %bb.143:
	v_lshlrev_b32_e32 v26, 4, v14
	v_lshlrev_b32_e32 v10, 9, v15
	ds_read_b128 v[10:13], v10 offset:11616
	ds_read_b128 v[26:29], v26 offset:11584
	v_cmp_gt_u32_e64 s[12:13], 2, v17
	s_waitcnt lgkmcnt(0)
	v_mul_f64 v[30:31], v[12:13], v[28:29]
	v_mul_f64 v[28:29], v[10:11], v[28:29]
	v_fma_f64 v[10:11], v[10:11], v[26:27], -v[30:31]
	v_fma_f64 v[12:13], v[12:13], v[26:27], v[28:29]
	v_add_f64 v[10:11], v[10:11], 0
	v_add_f64 v[12:13], v[12:13], 0
	s_and_saveexec_b64 s[18:19], s[12:13]
	s_cbranch_execz .LBB171_145
; %bb.144:
	v_lshlrev_b32_e32 v30, 4, v0
	v_mov_b32_e32 v26, 0
	ds_read_b128 v[26:29], v26 offset:12144
	ds_read_b128 v[30:33], v30 offset:12096
	s_waitcnt lgkmcnt(0)
	v_mul_f64 v[34:35], v[28:29], v[32:33]
	v_mul_f64 v[32:33], v[26:27], v[32:33]
	v_fma_f64 v[26:27], v[26:27], v[30:31], -v[34:35]
	v_fma_f64 v[28:29], v[28:29], v[30:31], v[32:33]
	v_add_f64 v[10:11], v[10:11], v[26:27]
	v_add_f64 v[12:13], v[12:13], v[28:29]
.LBB171_145:
	s_or_b64 exec, exec, s[18:19]
.LBB171_146:
	s_or_b64 exec, exec, s[14:15]
	s_and_saveexec_b64 s[12:13], s[40:41]
; %bb.147:
	v_xor_b32_e32 v27, 0x80000000, v11
	v_xor_b32_e32 v29, 0x80000000, v13
	v_mov_b32_e32 v26, v10
	v_mov_b32_e32 v28, v12
	ds_write_b128 v16, v[26:29]
; %bb.148:
	s_or_b64 exec, exec, s[12:13]
	s_waitcnt lgkmcnt(0)
	s_barrier
	s_and_saveexec_b64 s[12:13], s[38:39]
	s_cbranch_execz .LBB171_150
; %bb.149:
	v_mov_b32_e32 v30, 0
	ds_read_b128 v[26:29], v16
	ds_read_b128 v[30:33], v30 offset:11072
	s_waitcnt lgkmcnt(0)
	v_mul_f64 v[34:35], v[26:27], v[30:31]
	v_mul_f64 v[26:27], v[26:27], v[32:33]
	v_fma_f64 v[32:33], v[28:29], v[32:33], -v[34:35]
	v_fma_f64 v[26:27], v[28:29], v[30:31], v[26:27]
	v_add_f64 v[10:11], v[10:11], v[32:33]
	v_add_f64 v[12:13], v[12:13], -v[26:27]
.LBB171_150:
	s_or_b64 exec, exec, s[12:13]
	s_barrier
	s_and_saveexec_b64 s[12:13], s[38:39]
; %bb.151:
	v_xor_b32_e32 v27, 0x80000000, v11
	v_xor_b32_e32 v29, 0x80000000, v13
	v_mov_b32_e32 v26, v10
	v_mov_b32_e32 v28, v12
	ds_write_b128 v16, v[26:29]
; %bb.152:
	s_or_b64 exec, exec, s[12:13]
	s_waitcnt lgkmcnt(0)
	s_barrier
	s_barrier
	s_and_saveexec_b64 s[12:13], s[2:3]
; %bb.153:
	v_lshlrev_b32_e32 v26, 4, v14
	v_lshl_or_b32 v26, v15, 9, v26
	ds_write_b128 v26, v[10:13] offset:11584
; %bb.154:
	s_or_b64 exec, exec, s[12:13]
	s_waitcnt lgkmcnt(0)
	s_barrier
	s_barrier
	s_and_saveexec_b64 s[12:13], s[42:43]
	s_cbranch_execz .LBB171_156
; %bb.155:
	v_lshlrev_b32_e32 v26, 9, v0
	ds_read_b128 v[10:13], v26 offset:11584
	s_movk_i32 s14, 0xfe10
	v_mad_i32_i24 v27, v0, s14, v26
	s_waitcnt lgkmcnt(0)
	ds_write_b128 v27, v[10:13] offset:10592
	ds_read_b128 v[10:13], v26 offset:11600
	s_waitcnt lgkmcnt(0)
	ds_write_b128 v27, v[10:13] offset:11104
.LBB171_156:
	s_or_b64 exec, exec, s[12:13]
	s_waitcnt lgkmcnt(0)
	s_barrier
	s_and_saveexec_b64 s[12:13], vcc
	s_cbranch_execz .LBB171_158
; %bb.157:
	v_mov_b32_e32 v30, 0
	s_mov_b32 s88, 0
	ds_read_b128 v[10:13], v30 offset:11072
	s_mov_b32 s89, 0x3ff00000
	s_mov_b32 s90, s88
	s_mov_b32 s91, s88
	v_mov_b32_e32 v26, s88
	v_mov_b32_e32 v27, s89
	;; [unrolled: 1-line block ×4, first 2 shown]
	ds_write_b128 v30, v[26:29] offset:10560
	ds_write_b128 v30, v[26:29] offset:11088
	s_waitcnt lgkmcnt(2)
	ds_write_b128 v30, v[10:13] offset:10576
.LBB171_158:
	s_or_b64 exec, exec, s[12:13]
	v_mov_b32_e32 v12, 0
	v_mov_b32_e32 v10, 0
	;; [unrolled: 1-line block ×4, first 2 shown]
	s_waitcnt lgkmcnt(0)
	s_barrier
	buffer_wbinvl1_vol
	s_and_saveexec_b64 s[14:15], s[16:17]
	s_cbranch_execz .LBB171_164
; %bb.159:
	v_lshlrev_b32_e32 v27, 9, v19
	v_lshlrev_b32_e32 v26, 4, v18
	ds_read_b128 v[10:13], v27 offset:10560
	ds_read_b128 v[28:31], v26 offset:10496
	v_cmp_gt_u32_e64 s[12:13], 12, v17
	s_waitcnt lgkmcnt(0)
	v_mul_f64 v[32:33], v[12:13], v[30:31]
	v_mul_f64 v[30:31], v[10:11], v[30:31]
	v_fma_f64 v[10:11], v[10:11], v[28:29], -v[32:33]
	v_fma_f64 v[12:13], v[12:13], v[28:29], v[30:31]
	v_add_f64 v[10:11], v[10:11], 0
	v_add_f64 v[12:13], v[12:13], 0
	s_and_saveexec_b64 s[18:19], s[12:13]
	s_cbranch_execnz .LBB171_527
; %bb.160:
	s_or_b64 exec, exec, s[18:19]
	v_cmp_gt_u32_e64 s[12:13], 8, v17
	s_and_saveexec_b64 s[18:19], s[12:13]
	s_cbranch_execnz .LBB171_528
.LBB171_161:
	s_or_b64 exec, exec, s[18:19]
	v_cmp_gt_u32_e64 s[12:13], 4, v17
	s_and_saveexec_b64 s[18:19], s[12:13]
	s_cbranch_execz .LBB171_163
.LBB171_162:
	v_lshlrev_b32_e32 v30, 4, v0
	v_mov_b32_e32 v26, 0
	ds_read_b128 v[26:29], v26 offset:12144
	ds_read_b128 v[30:33], v30 offset:12032
	s_waitcnt lgkmcnt(0)
	v_mul_f64 v[34:35], v[28:29], v[32:33]
	v_mul_f64 v[32:33], v[26:27], v[32:33]
	v_fma_f64 v[26:27], v[26:27], v[30:31], -v[34:35]
	v_fma_f64 v[28:29], v[28:29], v[30:31], v[32:33]
	v_add_f64 v[10:11], v[10:11], v[26:27]
	v_add_f64 v[12:13], v[12:13], v[28:29]
.LBB171_163:
	s_or_b64 exec, exec, s[18:19]
.LBB171_164:
	s_or_b64 exec, exec, s[14:15]
	s_and_saveexec_b64 s[12:13], s[46:47]
; %bb.165:
	v_xor_b32_e32 v29, 0x80000000, v13
	v_xor_b32_e32 v27, 0x80000000, v11
	v_mov_b32_e32 v26, v10
	v_mov_b32_e32 v28, v12
	ds_write_b128 v20, v[26:29]
; %bb.166:
	s_or_b64 exec, exec, s[12:13]
	s_waitcnt lgkmcnt(0)
	s_barrier
	s_and_saveexec_b64 s[12:13], s[48:49]
	s_cbranch_execz .LBB171_168
; %bb.167:
	v_lshlrev_b32_e32 v30, 4, v18
	ds_read_b128 v[26:29], v20
	ds_read_b128 v[30:33], v30 offset:9984
	s_waitcnt lgkmcnt(0)
	v_mul_f64 v[34:35], v[28:29], v[32:33]
	v_mul_f64 v[32:33], v[26:27], v[32:33]
	v_fma_f64 v[26:27], v[26:27], v[30:31], -v[34:35]
	v_fma_f64 v[28:29], v[28:29], v[30:31], v[32:33]
	v_add_f64 v[10:11], v[10:11], -v[26:27]
	v_add_f64 v[12:13], v[12:13], -v[28:29]
.LBB171_168:
	s_or_b64 exec, exec, s[12:13]
	s_barrier
	s_and_saveexec_b64 s[12:13], s[50:51]
; %bb.169:
	v_xor_b32_e32 v29, 0x80000000, v13
	v_xor_b32_e32 v27, 0x80000000, v11
	v_mov_b32_e32 v26, v10
	v_mov_b32_e32 v28, v12
	ds_write_b128 v20, v[26:29]
; %bb.170:
	s_or_b64 exec, exec, s[12:13]
	s_waitcnt lgkmcnt(0)
	s_barrier
	s_and_saveexec_b64 s[12:13], s[52:53]
	s_cbranch_execz .LBB171_172
; %bb.171:
	v_lshlrev_b32_e32 v30, 4, v18
	ds_read_b128 v[26:29], v20
	ds_read_b128 v[30:33], v30 offset:9472
	s_waitcnt lgkmcnt(0)
	v_mul_f64 v[34:35], v[28:29], v[32:33]
	v_mul_f64 v[32:33], v[26:27], v[32:33]
	v_fma_f64 v[26:27], v[26:27], v[30:31], -v[34:35]
	v_fma_f64 v[28:29], v[28:29], v[30:31], v[32:33]
	v_add_f64 v[10:11], v[10:11], -v[26:27]
	v_add_f64 v[12:13], v[12:13], -v[28:29]
.LBB171_172:
	s_or_b64 exec, exec, s[12:13]
	s_barrier
	s_and_saveexec_b64 s[12:13], s[54:55]
; %bb.173:
	v_xor_b32_e32 v29, 0x80000000, v13
	v_xor_b32_e32 v27, 0x80000000, v11
	v_mov_b32_e32 v26, v10
	v_mov_b32_e32 v28, v12
	ds_write_b128 v20, v[26:29]
; %bb.174:
	s_or_b64 exec, exec, s[12:13]
	s_waitcnt lgkmcnt(0)
	s_barrier
	s_and_saveexec_b64 s[12:13], s[44:45]
	s_cbranch_execz .LBB171_176
; %bb.175:
	v_mov_b32_e32 v30, 0
	ds_read_b128 v[26:29], v20
	ds_read_b128 v[30:33], v30 offset:8960
	s_waitcnt lgkmcnt(0)
	v_mul_f64 v[34:35], v[28:29], v[32:33]
	v_mul_f64 v[32:33], v[26:27], v[32:33]
	v_fma_f64 v[26:27], v[26:27], v[30:31], -v[34:35]
	v_fma_f64 v[28:29], v[28:29], v[30:31], v[32:33]
	v_add_f64 v[10:11], v[10:11], -v[26:27]
	v_add_f64 v[12:13], v[12:13], -v[28:29]
.LBB171_176:
	s_or_b64 exec, exec, s[12:13]
	s_barrier
	s_and_saveexec_b64 s[12:13], s[44:45]
; %bb.177:
	v_xor_b32_e32 v29, 0x80000000, v13
	v_xor_b32_e32 v27, 0x80000000, v11
	v_mov_b32_e32 v26, v10
	v_mov_b32_e32 v28, v12
	ds_write_b128 v20, v[26:29]
; %bb.178:
	s_or_b64 exec, exec, s[12:13]
	s_waitcnt lgkmcnt(0)
	s_barrier
	s_barrier
	s_and_saveexec_b64 s[12:13], s[16:17]
; %bb.179:
	v_lshlrev_b32_e32 v26, 4, v18
	v_lshl_or_b32 v26, v19, 9, v26
	ds_write_b128 v26, v[10:13] offset:10496
; %bb.180:
	s_or_b64 exec, exec, s[12:13]
	s_waitcnt lgkmcnt(0)
	s_barrier
	s_barrier
	s_and_saveexec_b64 s[12:13], s[56:57]
	s_cbranch_execz .LBB171_182
; %bb.181:
	v_lshlrev_b32_e32 v26, 4, v0
	s_movk_i32 s14, 0x1f0
	v_mad_u32_u24 v27, v0, s14, v26
	ds_read_b128 v[10:13], v27 offset:10496
	s_waitcnt lgkmcnt(0)
	ds_write_b128 v26, v[10:13] offset:8512
	ds_read_b128 v[10:13], v27 offset:10512
	s_waitcnt lgkmcnt(0)
	ds_write_b128 v26, v[10:13] offset:9024
	;; [unrolled: 3-line block ×4, first 2 shown]
.LBB171_182:
	s_or_b64 exec, exec, s[12:13]
	s_waitcnt lgkmcnt(0)
	s_barrier
	s_and_saveexec_b64 s[12:13], vcc
	s_cbranch_execz .LBB171_184
; %bb.183:
	v_mov_b32_e32 v30, 0
	s_mov_b32 s88, 0
	ds_read_b128 v[10:13], v30 offset:10016
	s_mov_b32 s89, 0x3ff00000
	s_mov_b32 s90, s88
	;; [unrolled: 1-line block ×3, first 2 shown]
	v_mov_b32_e32 v26, s88
	v_mov_b32_e32 v27, s89
	;; [unrolled: 1-line block ×4, first 2 shown]
	ds_write_b128 v30, v[26:29] offset:9504
	ds_write_b128 v30, v[26:29] offset:10032
	s_waitcnt lgkmcnt(2)
	ds_write_b128 v30, v[10:13] offset:9520
.LBB171_184:
	s_or_b64 exec, exec, s[12:13]
	v_mov_b32_e32 v10, 0
	v_mov_b32_e32 v12, 0
	;; [unrolled: 1-line block ×4, first 2 shown]
	s_waitcnt lgkmcnt(0)
	s_barrier
	buffer_wbinvl1_vol
	s_and_saveexec_b64 s[14:15], s[2:3]
	s_cbranch_execz .LBB171_188
; %bb.185:
	v_lshlrev_b32_e32 v26, 4, v14
	v_lshlrev_b32_e32 v10, 9, v15
	ds_read_b128 v[10:13], v10 offset:9504
	ds_read_b128 v[26:29], v26 offset:9472
	v_cmp_gt_u32_e64 s[12:13], 2, v17
	s_waitcnt lgkmcnt(0)
	v_mul_f64 v[30:31], v[12:13], v[28:29]
	v_mul_f64 v[28:29], v[10:11], v[28:29]
	v_fma_f64 v[10:11], v[10:11], v[26:27], -v[30:31]
	v_fma_f64 v[12:13], v[12:13], v[26:27], v[28:29]
	v_add_f64 v[10:11], v[10:11], 0
	v_add_f64 v[12:13], v[12:13], 0
	s_and_saveexec_b64 s[18:19], s[12:13]
	s_cbranch_execz .LBB171_187
; %bb.186:
	v_lshlrev_b32_e32 v30, 4, v0
	v_mov_b32_e32 v26, 0
	ds_read_b128 v[26:29], v26 offset:10032
	ds_read_b128 v[30:33], v30 offset:9984
	s_waitcnt lgkmcnt(0)
	v_mul_f64 v[34:35], v[28:29], v[32:33]
	v_mul_f64 v[32:33], v[26:27], v[32:33]
	v_fma_f64 v[26:27], v[26:27], v[30:31], -v[34:35]
	v_fma_f64 v[28:29], v[28:29], v[30:31], v[32:33]
	v_add_f64 v[10:11], v[10:11], v[26:27]
	v_add_f64 v[12:13], v[12:13], v[28:29]
.LBB171_187:
	s_or_b64 exec, exec, s[18:19]
.LBB171_188:
	s_or_b64 exec, exec, s[14:15]
	s_and_saveexec_b64 s[12:13], s[40:41]
; %bb.189:
	v_xor_b32_e32 v27, 0x80000000, v11
	v_xor_b32_e32 v29, 0x80000000, v13
	v_mov_b32_e32 v26, v10
	v_mov_b32_e32 v28, v12
	ds_write_b128 v16, v[26:29]
; %bb.190:
	s_or_b64 exec, exec, s[12:13]
	s_waitcnt lgkmcnt(0)
	s_barrier
	s_and_saveexec_b64 s[12:13], s[38:39]
	s_cbranch_execz .LBB171_192
; %bb.191:
	v_mov_b32_e32 v30, 0
	ds_read_b128 v[26:29], v16
	ds_read_b128 v[30:33], v30 offset:8960
	s_waitcnt lgkmcnt(0)
	v_mul_f64 v[34:35], v[26:27], v[30:31]
	v_mul_f64 v[26:27], v[26:27], v[32:33]
	v_fma_f64 v[32:33], v[28:29], v[32:33], -v[34:35]
	v_fma_f64 v[26:27], v[28:29], v[30:31], v[26:27]
	v_add_f64 v[10:11], v[10:11], v[32:33]
	v_add_f64 v[12:13], v[12:13], -v[26:27]
.LBB171_192:
	s_or_b64 exec, exec, s[12:13]
	s_barrier
	s_and_saveexec_b64 s[12:13], s[38:39]
; %bb.193:
	v_xor_b32_e32 v27, 0x80000000, v11
	v_xor_b32_e32 v29, 0x80000000, v13
	v_mov_b32_e32 v26, v10
	v_mov_b32_e32 v28, v12
	ds_write_b128 v16, v[26:29]
; %bb.194:
	s_or_b64 exec, exec, s[12:13]
	s_waitcnt lgkmcnt(0)
	s_barrier
	s_barrier
	s_and_saveexec_b64 s[12:13], s[2:3]
; %bb.195:
	v_lshlrev_b32_e32 v26, 4, v14
	v_lshl_or_b32 v26, v15, 9, v26
	ds_write_b128 v26, v[10:13] offset:9472
; %bb.196:
	s_or_b64 exec, exec, s[12:13]
	s_waitcnt lgkmcnt(0)
	s_barrier
	s_barrier
	s_and_saveexec_b64 s[12:13], s[42:43]
	s_cbranch_execz .LBB171_198
; %bb.197:
	v_lshlrev_b32_e32 v26, 9, v0
	ds_read_b128 v[10:13], v26 offset:9472
	s_movk_i32 s14, 0xfe10
	v_mad_i32_i24 v27, v0, s14, v26
	s_waitcnt lgkmcnt(0)
	ds_write_b128 v27, v[10:13] offset:8480
	ds_read_b128 v[10:13], v26 offset:9488
	s_waitcnt lgkmcnt(0)
	ds_write_b128 v27, v[10:13] offset:8992
.LBB171_198:
	s_or_b64 exec, exec, s[12:13]
	s_waitcnt lgkmcnt(0)
	s_barrier
	s_and_saveexec_b64 s[12:13], vcc
	s_cbranch_execz .LBB171_200
; %bb.199:
	v_mov_b32_e32 v30, 0
	s_mov_b32 s88, 0
	ds_read_b128 v[10:13], v30 offset:8960
	s_mov_b32 s89, 0x3ff00000
	s_mov_b32 s90, s88
	;; [unrolled: 1-line block ×3, first 2 shown]
	v_mov_b32_e32 v26, s88
	v_mov_b32_e32 v27, s89
	v_mov_b32_e32 v28, s90
	v_mov_b32_e32 v29, s91
	ds_write_b128 v30, v[26:29] offset:8448
	ds_write_b128 v30, v[26:29] offset:8976
	s_waitcnt lgkmcnt(2)
	ds_write_b128 v30, v[10:13] offset:8464
.LBB171_200:
	s_or_b64 exec, exec, s[12:13]
	s_movk_i32 s12, 0xff
	v_lshrrev_b32_e32 v28, 4, v17
	v_cmp_lt_u32_e64 s[14:15], s12, v17
	s_movk_i32 s12, 0x100
	v_mov_b32_e32 v12, 0
	v_mov_b32_e32 v10, 0
	v_and_b32_e32 v26, 15, v0
	v_sub_u32_e32 v27, 15, v28
	v_mov_b32_e32 v13, 0
	v_mov_b32_e32 v11, 0
	v_cmp_gt_u32_e64 s[12:13], s12, v17
	s_waitcnt lgkmcnt(0)
	s_barrier
	buffer_wbinvl1_vol
	s_and_saveexec_b64 s[88:89], s[12:13]
	s_cbranch_execz .LBB171_228
; %bb.201:
	v_lshlrev_b32_e32 v30, 9, v27
	v_lshlrev_b32_e32 v29, 4, v26
	ds_read_b128 v[10:13], v30 offset:8448
	ds_read_b128 v[31:34], v29 offset:8192
	s_movk_i32 s18, 0xf0
	v_cmp_gt_u32_e64 s[18:19], s18, v17
	s_waitcnt lgkmcnt(0)
	v_mul_f64 v[35:36], v[12:13], v[33:34]
	v_mul_f64 v[33:34], v[10:11], v[33:34]
	v_fma_f64 v[10:11], v[10:11], v[31:32], -v[35:36]
	v_fma_f64 v[12:13], v[12:13], v[31:32], v[33:34]
	v_add_f64 v[10:11], v[10:11], 0
	v_add_f64 v[12:13], v[12:13], 0
	s_and_saveexec_b64 s[90:91], s[18:19]
	s_cbranch_execz .LBB171_203
; %bb.202:
	ds_read_b128 v[31:34], v30 offset:8464
	ds_read_b128 v[35:38], v29 offset:8704
	s_waitcnt lgkmcnt(0)
	v_mul_f64 v[39:40], v[33:34], v[37:38]
	v_mul_f64 v[37:38], v[31:32], v[37:38]
	v_fma_f64 v[31:32], v[31:32], v[35:36], -v[39:40]
	v_fma_f64 v[33:34], v[33:34], v[35:36], v[37:38]
	v_add_f64 v[10:11], v[10:11], v[31:32]
	v_add_f64 v[12:13], v[12:13], v[33:34]
.LBB171_203:
	s_or_b64 exec, exec, s[90:91]
	s_movk_i32 s18, 0xe0
	v_cmp_gt_u32_e64 s[18:19], s18, v17
	s_and_saveexec_b64 s[90:91], s[18:19]
	s_cbranch_execz .LBB171_205
; %bb.204:
	ds_read_b128 v[31:34], v30 offset:8480
	ds_read_b128 v[35:38], v29 offset:9216
	s_waitcnt lgkmcnt(0)
	v_mul_f64 v[39:40], v[33:34], v[37:38]
	v_mul_f64 v[37:38], v[31:32], v[37:38]
	v_fma_f64 v[31:32], v[31:32], v[35:36], -v[39:40]
	v_fma_f64 v[33:34], v[33:34], v[35:36], v[37:38]
	v_add_f64 v[10:11], v[10:11], v[31:32]
	v_add_f64 v[12:13], v[12:13], v[33:34]
.LBB171_205:
	s_or_b64 exec, exec, s[90:91]
	s_movk_i32 s18, 0xd0
	v_cmp_gt_u32_e64 s[18:19], s18, v17
	;; [unrolled: 16-line block ×10, first 2 shown]
	s_and_saveexec_b64 s[90:91], s[18:19]
	s_cbranch_execnz .LBB171_529
; %bb.222:
	s_or_b64 exec, exec, s[90:91]
	s_and_saveexec_b64 s[18:19], s[8:9]
	s_cbranch_execnz .LBB171_530
.LBB171_223:
	s_or_b64 exec, exec, s[18:19]
	v_cmp_gt_u32_e64 s[18:19], 48, v17
	s_and_saveexec_b64 s[90:91], s[18:19]
	s_cbranch_execnz .LBB171_531
.LBB171_224:
	s_or_b64 exec, exec, s[90:91]
	v_cmp_gt_u32_e64 s[18:19], 32, v17
	s_and_saveexec_b64 s[90:91], s[18:19]
	s_cbranch_execnz .LBB171_532
.LBB171_225:
	s_or_b64 exec, exec, s[90:91]
	v_cmp_gt_u32_e64 s[18:19], 16, v17
	s_and_saveexec_b64 s[90:91], s[18:19]
	s_cbranch_execz .LBB171_227
.LBB171_226:
	v_lshlrev_b32_e32 v33, 4, v0
	v_mov_b32_e32 v29, 0
	ds_read_b128 v[29:32], v29 offset:16368
	ds_read_b128 v[33:36], v33 offset:15872
	s_waitcnt lgkmcnt(0)
	v_mul_f64 v[37:38], v[31:32], v[35:36]
	v_mul_f64 v[35:36], v[29:30], v[35:36]
	v_fma_f64 v[29:30], v[29:30], v[33:34], -v[37:38]
	v_fma_f64 v[31:32], v[31:32], v[33:34], v[35:36]
	v_add_f64 v[10:11], v[10:11], v[29:30]
	v_add_f64 v[12:13], v[12:13], v[31:32]
.LBB171_227:
	s_or_b64 exec, exec, s[90:91]
.LBB171_228:
	s_or_b64 exec, exec, s[88:89]
	v_mov_b32_e32 v29, 0x4000
	v_cmp_eq_u32_e64 s[18:19], 15, v26
	s_xor_b64 s[88:89], s[14:15], -1
	v_lshl_add_u32 v28, v28, 4, v29
	s_and_b64 s[18:19], s[18:19], s[88:89]
	s_and_saveexec_b64 s[14:15], s[18:19]
; %bb.229:
	v_xor_b32_e32 v32, 0x80000000, v13
	v_xor_b32_e32 v30, 0x80000000, v11
	v_mov_b32_e32 v29, v10
	v_mov_b32_e32 v31, v12
	ds_write_b128 v28, v[29:32]
; %bb.230:
	s_or_b64 exec, exec, s[14:15]
	v_cmp_ne_u32_e64 s[14:15], 15, v26
	s_and_b64 s[18:19], s[14:15], s[88:89]
	s_waitcnt lgkmcnt(0)
	s_barrier
	s_and_saveexec_b64 s[14:15], s[18:19]
	s_cbranch_execz .LBB171_232
; %bb.231:
	v_lshlrev_b32_e32 v33, 4, v26
	ds_read_b128 v[29:32], v28
	ds_read_b128 v[33:36], v33 offset:7680
	s_waitcnt lgkmcnt(0)
	v_mul_f64 v[37:38], v[31:32], v[35:36]
	v_mul_f64 v[35:36], v[29:30], v[35:36]
	v_fma_f64 v[29:30], v[29:30], v[33:34], -v[37:38]
	v_fma_f64 v[31:32], v[31:32], v[33:34], v[35:36]
	v_add_f64 v[10:11], v[10:11], -v[29:30]
	v_add_f64 v[12:13], v[12:13], -v[31:32]
.LBB171_232:
	s_or_b64 exec, exec, s[14:15]
	v_cmp_eq_u32_e64 s[14:15], 14, v26
	s_and_b64 s[18:19], s[14:15], s[88:89]
	s_barrier
	s_and_saveexec_b64 s[14:15], s[18:19]
; %bb.233:
	v_xor_b32_e32 v32, 0x80000000, v13
	v_xor_b32_e32 v30, 0x80000000, v11
	v_mov_b32_e32 v29, v10
	v_mov_b32_e32 v31, v12
	ds_write_b128 v28, v[29:32]
; %bb.234:
	s_or_b64 exec, exec, s[14:15]
	v_cmp_gt_u32_e64 s[14:15], 14, v26
	s_and_b64 s[18:19], s[14:15], s[88:89]
	s_waitcnt lgkmcnt(0)
	s_barrier
	s_and_saveexec_b64 s[14:15], s[18:19]
	s_cbranch_execz .LBB171_236
; %bb.235:
	v_lshlrev_b32_e32 v33, 4, v26
	ds_read_b128 v[29:32], v28
	ds_read_b128 v[33:36], v33 offset:7168
	s_waitcnt lgkmcnt(0)
	v_mul_f64 v[37:38], v[31:32], v[35:36]
	v_mul_f64 v[35:36], v[29:30], v[35:36]
	v_fma_f64 v[29:30], v[29:30], v[33:34], -v[37:38]
	v_fma_f64 v[31:32], v[31:32], v[33:34], v[35:36]
	v_add_f64 v[10:11], v[10:11], -v[29:30]
	v_add_f64 v[12:13], v[12:13], -v[31:32]
.LBB171_236:
	s_or_b64 exec, exec, s[14:15]
	v_cmp_eq_u32_e64 s[14:15], 13, v26
	s_and_b64 s[18:19], s[14:15], s[88:89]
	s_barrier
	s_and_saveexec_b64 s[14:15], s[18:19]
; %bb.237:
	v_xor_b32_e32 v32, 0x80000000, v13
	v_xor_b32_e32 v30, 0x80000000, v11
	v_mov_b32_e32 v29, v10
	v_mov_b32_e32 v31, v12
	ds_write_b128 v28, v[29:32]
; %bb.238:
	s_or_b64 exec, exec, s[14:15]
	v_cmp_gt_u32_e64 s[14:15], 13, v26
	;; [unrolled: 31-line block ×13, first 2 shown]
	s_and_b64 s[18:19], s[14:15], s[88:89]
	s_waitcnt lgkmcnt(0)
	s_barrier
	s_and_saveexec_b64 s[14:15], s[18:19]
	s_cbranch_execz .LBB171_284
; %bb.283:
	v_lshlrev_b32_e32 v33, 4, v26
	ds_read_b128 v[29:32], v28
	ds_read_b128 v[33:36], v33 offset:1024
	s_waitcnt lgkmcnt(0)
	v_mul_f64 v[37:38], v[31:32], v[35:36]
	v_mul_f64 v[35:36], v[29:30], v[35:36]
	v_fma_f64 v[29:30], v[29:30], v[33:34], -v[37:38]
	v_fma_f64 v[31:32], v[31:32], v[33:34], v[35:36]
	v_add_f64 v[10:11], v[10:11], -v[29:30]
	v_add_f64 v[12:13], v[12:13], -v[31:32]
.LBB171_284:
	s_or_b64 exec, exec, s[14:15]
	v_cmp_eq_u32_e64 s[14:15], 1, v26
	s_and_b64 s[18:19], s[14:15], s[88:89]
	s_barrier
	s_and_saveexec_b64 s[14:15], s[18:19]
; %bb.285:
	v_xor_b32_e32 v32, 0x80000000, v13
	v_xor_b32_e32 v30, 0x80000000, v11
	v_mov_b32_e32 v29, v10
	v_mov_b32_e32 v31, v12
	ds_write_b128 v28, v[29:32]
; %bb.286:
	s_or_b64 exec, exec, s[14:15]
	v_cmp_eq_u32_e64 s[14:15], 0, v26
	s_and_b64 s[14:15], s[14:15], s[88:89]
	s_waitcnt lgkmcnt(0)
	s_barrier
	s_and_saveexec_b64 s[18:19], s[14:15]
	s_cbranch_execz .LBB171_288
; %bb.287:
	v_mov_b32_e32 v33, 0
	ds_read_b128 v[29:32], v28
	ds_read_b128 v[33:36], v33 offset:512
	s_waitcnt lgkmcnt(0)
	v_mul_f64 v[37:38], v[31:32], v[35:36]
	v_mul_f64 v[35:36], v[29:30], v[35:36]
	v_fma_f64 v[29:30], v[29:30], v[33:34], -v[37:38]
	v_fma_f64 v[31:32], v[31:32], v[33:34], v[35:36]
	v_add_f64 v[10:11], v[10:11], -v[29:30]
	v_add_f64 v[12:13], v[12:13], -v[31:32]
.LBB171_288:
	s_or_b64 exec, exec, s[18:19]
	s_barrier
	s_and_saveexec_b64 s[18:19], s[14:15]
; %bb.289:
	v_xor_b32_e32 v32, 0x80000000, v13
	v_xor_b32_e32 v30, 0x80000000, v11
	v_mov_b32_e32 v29, v10
	v_mov_b32_e32 v31, v12
	ds_write_b128 v28, v[29:32]
; %bb.290:
	s_or_b64 exec, exec, s[18:19]
	s_waitcnt lgkmcnt(0)
	s_barrier
	s_barrier
	s_and_saveexec_b64 s[14:15], s[12:13]
; %bb.291:
	v_lshlrev_b32_e32 v26, 4, v26
	v_lshl_or_b32 v26, v27, 9, v26
	ds_write_b128 v26, v[10:13] offset:8192
; %bb.292:
	s_or_b64 exec, exec, s[14:15]
	v_cmp_gt_u32_e64 s[12:13], 16, v0
	s_and_b64 s[12:13], s[10:11], s[12:13]
	s_waitcnt lgkmcnt(0)
	s_barrier
	s_barrier
	s_and_saveexec_b64 s[10:11], s[12:13]
	s_cbranch_execz .LBB171_294
; %bb.293:
	v_lshlrev_b32_e32 v26, 9, v0
	ds_read_b128 v[10:13], v26 offset:8192
	s_movk_i32 s12, 0xfe10
	v_mad_i32_i24 v27, v0, s12, v26
	s_waitcnt lgkmcnt(0)
	ds_write_b128 v27, v[10:13] offset:256
	ds_read_b128 v[10:13], v26 offset:8208
	s_waitcnt lgkmcnt(0)
	ds_write_b128 v27, v[10:13] offset:768
	ds_read_b128 v[10:13], v26 offset:8224
	;; [unrolled: 3-line block ×15, first 2 shown]
	s_waitcnt lgkmcnt(0)
	ds_write_b128 v27, v[10:13] offset:7936
.LBB171_294:
	s_or_b64 exec, exec, s[10:11]
	s_waitcnt lgkmcnt(0)
	s_barrier
	s_and_saveexec_b64 s[10:11], vcc
	s_cbranch_execz .LBB171_296
; %bb.295:
	s_mov_b32 s12, 0
	v_mov_b32_e32 v30, 0
	ds_read_b128 v[10:13], v30 offset:7904
	s_mov_b32 s15, s12
	s_mov_b32 s13, 0x3ff00000
	;; [unrolled: 1-line block ×3, first 2 shown]
	v_mov_b32_e32 v29, s15
	v_mov_b32_e32 v28, s14
	;; [unrolled: 1-line block ×4, first 2 shown]
	ds_write_b128 v30, v[26:29] offset:7392
	ds_write_b128 v30, v[26:29] offset:7920
	s_waitcnt lgkmcnt(2)
	ds_write_b128 v30, v[10:13] offset:7408
.LBB171_296:
	s_or_b64 exec, exec, s[10:11]
	v_mov_b32_e32 v10, 0
	v_mov_b32_e32 v12, 0
	;; [unrolled: 1-line block ×4, first 2 shown]
	s_waitcnt lgkmcnt(0)
	s_barrier
	buffer_wbinvl1_vol
	s_and_saveexec_b64 s[12:13], s[2:3]
	s_cbranch_execz .LBB171_300
; %bb.297:
	v_lshlrev_b32_e32 v26, 4, v14
	v_lshlrev_b32_e32 v10, 9, v15
	ds_read_b128 v[10:13], v10 offset:7392
	ds_read_b128 v[26:29], v26 offset:7360
	v_cmp_gt_u32_e64 s[10:11], 2, v17
	s_waitcnt lgkmcnt(0)
	v_mul_f64 v[30:31], v[12:13], v[28:29]
	v_mul_f64 v[28:29], v[10:11], v[28:29]
	v_fma_f64 v[10:11], v[10:11], v[26:27], -v[30:31]
	v_fma_f64 v[12:13], v[12:13], v[26:27], v[28:29]
	v_add_f64 v[10:11], v[10:11], 0
	v_add_f64 v[12:13], v[12:13], 0
	s_and_saveexec_b64 s[14:15], s[10:11]
	s_cbranch_execz .LBB171_299
; %bb.298:
	v_lshlrev_b32_e32 v30, 4, v0
	v_mov_b32_e32 v26, 0
	ds_read_b128 v[26:29], v26 offset:7920
	ds_read_b128 v[30:33], v30 offset:7872
	s_waitcnt lgkmcnt(0)
	v_mul_f64 v[34:35], v[28:29], v[32:33]
	v_mul_f64 v[32:33], v[26:27], v[32:33]
	v_fma_f64 v[26:27], v[26:27], v[30:31], -v[34:35]
	v_fma_f64 v[28:29], v[28:29], v[30:31], v[32:33]
	v_add_f64 v[10:11], v[10:11], v[26:27]
	v_add_f64 v[12:13], v[12:13], v[28:29]
.LBB171_299:
	s_or_b64 exec, exec, s[14:15]
.LBB171_300:
	s_or_b64 exec, exec, s[12:13]
	s_and_saveexec_b64 s[10:11], s[40:41]
; %bb.301:
	v_xor_b32_e32 v27, 0x80000000, v11
	v_xor_b32_e32 v29, 0x80000000, v13
	v_mov_b32_e32 v26, v10
	v_mov_b32_e32 v28, v12
	ds_write_b128 v16, v[26:29]
; %bb.302:
	s_or_b64 exec, exec, s[10:11]
	s_waitcnt lgkmcnt(0)
	s_barrier
	s_and_saveexec_b64 s[10:11], s[38:39]
	s_cbranch_execz .LBB171_304
; %bb.303:
	v_mov_b32_e32 v30, 0
	ds_read_b128 v[26:29], v16
	ds_read_b128 v[30:33], v30 offset:6848
	s_waitcnt lgkmcnt(0)
	v_mul_f64 v[34:35], v[26:27], v[30:31]
	v_mul_f64 v[26:27], v[26:27], v[32:33]
	v_fma_f64 v[32:33], v[28:29], v[32:33], -v[34:35]
	v_fma_f64 v[26:27], v[28:29], v[30:31], v[26:27]
	v_add_f64 v[10:11], v[10:11], v[32:33]
	v_add_f64 v[12:13], v[12:13], -v[26:27]
.LBB171_304:
	s_or_b64 exec, exec, s[10:11]
	s_barrier
	s_and_saveexec_b64 s[10:11], s[38:39]
; %bb.305:
	v_xor_b32_e32 v27, 0x80000000, v11
	v_xor_b32_e32 v29, 0x80000000, v13
	v_mov_b32_e32 v26, v10
	v_mov_b32_e32 v28, v12
	ds_write_b128 v16, v[26:29]
; %bb.306:
	s_or_b64 exec, exec, s[10:11]
	s_waitcnt lgkmcnt(0)
	s_barrier
	s_barrier
	s_and_saveexec_b64 s[10:11], s[2:3]
; %bb.307:
	v_lshlrev_b32_e32 v26, 4, v14
	v_lshl_or_b32 v26, v15, 9, v26
	ds_write_b128 v26, v[10:13] offset:7360
; %bb.308:
	s_or_b64 exec, exec, s[10:11]
	s_waitcnt lgkmcnt(0)
	s_barrier
	s_barrier
	s_and_saveexec_b64 s[10:11], s[42:43]
	s_cbranch_execz .LBB171_310
; %bb.309:
	v_lshlrev_b32_e32 v26, 9, v0
	ds_read_b128 v[10:13], v26 offset:7360
	s_movk_i32 s12, 0xfe10
	v_mad_i32_i24 v27, v0, s12, v26
	s_waitcnt lgkmcnt(0)
	ds_write_b128 v27, v[10:13] offset:6368
	ds_read_b128 v[10:13], v26 offset:7376
	s_waitcnt lgkmcnt(0)
	ds_write_b128 v27, v[10:13] offset:6880
.LBB171_310:
	s_or_b64 exec, exec, s[10:11]
	s_waitcnt lgkmcnt(0)
	s_barrier
	s_and_saveexec_b64 s[10:11], vcc
	s_cbranch_execz .LBB171_312
; %bb.311:
	s_mov_b32 s12, 0
	v_mov_b32_e32 v30, 0
	ds_read_b128 v[10:13], v30 offset:6848
	s_mov_b32 s15, s12
	s_mov_b32 s13, 0x3ff00000
	s_mov_b32 s14, s12
	v_mov_b32_e32 v29, s15
	v_mov_b32_e32 v28, s14
	;; [unrolled: 1-line block ×4, first 2 shown]
	ds_write_b128 v30, v[26:29] offset:6336
	ds_write_b128 v30, v[26:29] offset:6864
	s_waitcnt lgkmcnt(2)
	ds_write_b128 v30, v[10:13] offset:6352
.LBB171_312:
	s_or_b64 exec, exec, s[10:11]
	v_mov_b32_e32 v12, 0
	v_mov_b32_e32 v10, 0
	;; [unrolled: 1-line block ×4, first 2 shown]
	s_waitcnt lgkmcnt(0)
	s_barrier
	buffer_wbinvl1_vol
	s_and_saveexec_b64 s[12:13], s[16:17]
	s_cbranch_execz .LBB171_318
; %bb.313:
	v_lshlrev_b32_e32 v27, 9, v19
	v_lshlrev_b32_e32 v26, 4, v18
	ds_read_b128 v[10:13], v27 offset:6336
	ds_read_b128 v[28:31], v26 offset:6272
	v_cmp_gt_u32_e64 s[10:11], 12, v17
	s_waitcnt lgkmcnt(0)
	v_mul_f64 v[32:33], v[12:13], v[30:31]
	v_mul_f64 v[30:31], v[10:11], v[30:31]
	v_fma_f64 v[10:11], v[10:11], v[28:29], -v[32:33]
	v_fma_f64 v[12:13], v[12:13], v[28:29], v[30:31]
	v_add_f64 v[10:11], v[10:11], 0
	v_add_f64 v[12:13], v[12:13], 0
	s_and_saveexec_b64 s[14:15], s[10:11]
	s_cbranch_execnz .LBB171_533
; %bb.314:
	s_or_b64 exec, exec, s[14:15]
	v_cmp_gt_u32_e64 s[10:11], 8, v17
	s_and_saveexec_b64 s[14:15], s[10:11]
	s_cbranch_execnz .LBB171_534
.LBB171_315:
	s_or_b64 exec, exec, s[14:15]
	v_cmp_gt_u32_e64 s[10:11], 4, v17
	s_and_saveexec_b64 s[14:15], s[10:11]
	s_cbranch_execz .LBB171_317
.LBB171_316:
	v_lshlrev_b32_e32 v30, 4, v0
	v_mov_b32_e32 v26, 0
	ds_read_b128 v[26:29], v26 offset:7920
	ds_read_b128 v[30:33], v30 offset:7808
	s_waitcnt lgkmcnt(0)
	v_mul_f64 v[34:35], v[28:29], v[32:33]
	v_mul_f64 v[32:33], v[26:27], v[32:33]
	v_fma_f64 v[26:27], v[26:27], v[30:31], -v[34:35]
	v_fma_f64 v[28:29], v[28:29], v[30:31], v[32:33]
	v_add_f64 v[10:11], v[10:11], v[26:27]
	v_add_f64 v[12:13], v[12:13], v[28:29]
.LBB171_317:
	s_or_b64 exec, exec, s[14:15]
.LBB171_318:
	s_or_b64 exec, exec, s[12:13]
	s_and_saveexec_b64 s[10:11], s[46:47]
; %bb.319:
	v_xor_b32_e32 v29, 0x80000000, v13
	v_xor_b32_e32 v27, 0x80000000, v11
	v_mov_b32_e32 v26, v10
	v_mov_b32_e32 v28, v12
	ds_write_b128 v20, v[26:29]
; %bb.320:
	s_or_b64 exec, exec, s[10:11]
	s_waitcnt lgkmcnt(0)
	s_barrier
	s_and_saveexec_b64 s[10:11], s[48:49]
	s_cbranch_execz .LBB171_322
; %bb.321:
	v_lshlrev_b32_e32 v30, 4, v18
	ds_read_b128 v[26:29], v20
	ds_read_b128 v[30:33], v30 offset:5760
	s_waitcnt lgkmcnt(0)
	v_mul_f64 v[34:35], v[28:29], v[32:33]
	v_mul_f64 v[32:33], v[26:27], v[32:33]
	v_fma_f64 v[26:27], v[26:27], v[30:31], -v[34:35]
	v_fma_f64 v[28:29], v[28:29], v[30:31], v[32:33]
	v_add_f64 v[10:11], v[10:11], -v[26:27]
	v_add_f64 v[12:13], v[12:13], -v[28:29]
.LBB171_322:
	s_or_b64 exec, exec, s[10:11]
	s_barrier
	s_and_saveexec_b64 s[10:11], s[50:51]
; %bb.323:
	v_xor_b32_e32 v29, 0x80000000, v13
	v_xor_b32_e32 v27, 0x80000000, v11
	v_mov_b32_e32 v26, v10
	v_mov_b32_e32 v28, v12
	ds_write_b128 v20, v[26:29]
; %bb.324:
	s_or_b64 exec, exec, s[10:11]
	s_waitcnt lgkmcnt(0)
	s_barrier
	s_and_saveexec_b64 s[10:11], s[52:53]
	s_cbranch_execz .LBB171_326
; %bb.325:
	v_lshlrev_b32_e32 v30, 4, v18
	ds_read_b128 v[26:29], v20
	ds_read_b128 v[30:33], v30 offset:5248
	s_waitcnt lgkmcnt(0)
	v_mul_f64 v[34:35], v[28:29], v[32:33]
	v_mul_f64 v[32:33], v[26:27], v[32:33]
	v_fma_f64 v[26:27], v[26:27], v[30:31], -v[34:35]
	v_fma_f64 v[28:29], v[28:29], v[30:31], v[32:33]
	v_add_f64 v[10:11], v[10:11], -v[26:27]
	v_add_f64 v[12:13], v[12:13], -v[28:29]
.LBB171_326:
	s_or_b64 exec, exec, s[10:11]
	s_barrier
	s_and_saveexec_b64 s[10:11], s[54:55]
; %bb.327:
	v_xor_b32_e32 v29, 0x80000000, v13
	v_xor_b32_e32 v27, 0x80000000, v11
	v_mov_b32_e32 v26, v10
	v_mov_b32_e32 v28, v12
	ds_write_b128 v20, v[26:29]
; %bb.328:
	s_or_b64 exec, exec, s[10:11]
	s_waitcnt lgkmcnt(0)
	s_barrier
	s_and_saveexec_b64 s[10:11], s[44:45]
	s_cbranch_execz .LBB171_330
; %bb.329:
	v_mov_b32_e32 v30, 0
	ds_read_b128 v[26:29], v20
	ds_read_b128 v[30:33], v30 offset:4736
	s_waitcnt lgkmcnt(0)
	v_mul_f64 v[34:35], v[28:29], v[32:33]
	v_mul_f64 v[32:33], v[26:27], v[32:33]
	v_fma_f64 v[26:27], v[26:27], v[30:31], -v[34:35]
	v_fma_f64 v[28:29], v[28:29], v[30:31], v[32:33]
	v_add_f64 v[10:11], v[10:11], -v[26:27]
	v_add_f64 v[12:13], v[12:13], -v[28:29]
.LBB171_330:
	s_or_b64 exec, exec, s[10:11]
	s_barrier
	s_and_saveexec_b64 s[10:11], s[44:45]
; %bb.331:
	v_xor_b32_e32 v29, 0x80000000, v13
	v_xor_b32_e32 v27, 0x80000000, v11
	v_mov_b32_e32 v26, v10
	v_mov_b32_e32 v28, v12
	ds_write_b128 v20, v[26:29]
; %bb.332:
	s_or_b64 exec, exec, s[10:11]
	s_waitcnt lgkmcnt(0)
	s_barrier
	s_barrier
	s_and_saveexec_b64 s[10:11], s[16:17]
; %bb.333:
	v_lshlrev_b32_e32 v26, 4, v18
	v_lshl_or_b32 v26, v19, 9, v26
	ds_write_b128 v26, v[10:13] offset:6272
; %bb.334:
	s_or_b64 exec, exec, s[10:11]
	s_waitcnt lgkmcnt(0)
	s_barrier
	s_barrier
	s_and_saveexec_b64 s[10:11], s[56:57]
	s_cbranch_execz .LBB171_336
; %bb.335:
	v_lshlrev_b32_e32 v26, 4, v0
	s_movk_i32 s12, 0x1f0
	v_mad_u32_u24 v27, v0, s12, v26
	ds_read_b128 v[10:13], v27 offset:6272
	s_waitcnt lgkmcnt(0)
	ds_write_b128 v26, v[10:13] offset:4288
	ds_read_b128 v[10:13], v27 offset:6288
	s_waitcnt lgkmcnt(0)
	ds_write_b128 v26, v[10:13] offset:4800
	;; [unrolled: 3-line block ×4, first 2 shown]
.LBB171_336:
	s_or_b64 exec, exec, s[10:11]
	s_waitcnt lgkmcnt(0)
	s_barrier
	s_and_saveexec_b64 s[10:11], vcc
	s_cbranch_execz .LBB171_338
; %bb.337:
	s_mov_b32 s12, 0
	v_mov_b32_e32 v30, 0
	ds_read_b128 v[10:13], v30 offset:5792
	s_mov_b32 s15, s12
	s_mov_b32 s13, 0x3ff00000
	;; [unrolled: 1-line block ×3, first 2 shown]
	v_mov_b32_e32 v29, s15
	v_mov_b32_e32 v28, s14
	;; [unrolled: 1-line block ×4, first 2 shown]
	ds_write_b128 v30, v[26:29] offset:5280
	ds_write_b128 v30, v[26:29] offset:5808
	s_waitcnt lgkmcnt(2)
	ds_write_b128 v30, v[10:13] offset:5296
.LBB171_338:
	s_or_b64 exec, exec, s[10:11]
	v_mov_b32_e32 v10, 0
	v_mov_b32_e32 v12, 0
	;; [unrolled: 1-line block ×4, first 2 shown]
	s_waitcnt lgkmcnt(0)
	s_barrier
	buffer_wbinvl1_vol
	s_and_saveexec_b64 s[12:13], s[2:3]
	s_cbranch_execz .LBB171_342
; %bb.339:
	v_lshlrev_b32_e32 v26, 4, v14
	v_lshlrev_b32_e32 v10, 9, v15
	ds_read_b128 v[10:13], v10 offset:5280
	ds_read_b128 v[26:29], v26 offset:5248
	v_cmp_gt_u32_e64 s[10:11], 2, v17
	s_waitcnt lgkmcnt(0)
	v_mul_f64 v[30:31], v[12:13], v[28:29]
	v_mul_f64 v[28:29], v[10:11], v[28:29]
	v_fma_f64 v[10:11], v[10:11], v[26:27], -v[30:31]
	v_fma_f64 v[12:13], v[12:13], v[26:27], v[28:29]
	v_add_f64 v[10:11], v[10:11], 0
	v_add_f64 v[12:13], v[12:13], 0
	s_and_saveexec_b64 s[14:15], s[10:11]
	s_cbranch_execz .LBB171_341
; %bb.340:
	v_lshlrev_b32_e32 v30, 4, v0
	v_mov_b32_e32 v26, 0
	ds_read_b128 v[26:29], v26 offset:5808
	ds_read_b128 v[30:33], v30 offset:5760
	s_waitcnt lgkmcnt(0)
	v_mul_f64 v[34:35], v[28:29], v[32:33]
	v_mul_f64 v[32:33], v[26:27], v[32:33]
	v_fma_f64 v[26:27], v[26:27], v[30:31], -v[34:35]
	v_fma_f64 v[28:29], v[28:29], v[30:31], v[32:33]
	v_add_f64 v[10:11], v[10:11], v[26:27]
	v_add_f64 v[12:13], v[12:13], v[28:29]
.LBB171_341:
	s_or_b64 exec, exec, s[14:15]
.LBB171_342:
	s_or_b64 exec, exec, s[12:13]
	s_and_saveexec_b64 s[10:11], s[40:41]
; %bb.343:
	v_xor_b32_e32 v27, 0x80000000, v11
	v_xor_b32_e32 v29, 0x80000000, v13
	v_mov_b32_e32 v26, v10
	v_mov_b32_e32 v28, v12
	ds_write_b128 v16, v[26:29]
; %bb.344:
	s_or_b64 exec, exec, s[10:11]
	s_waitcnt lgkmcnt(0)
	s_barrier
	s_and_saveexec_b64 s[10:11], s[38:39]
	s_cbranch_execz .LBB171_346
; %bb.345:
	v_mov_b32_e32 v30, 0
	ds_read_b128 v[26:29], v16
	ds_read_b128 v[30:33], v30 offset:4736
	s_waitcnt lgkmcnt(0)
	v_mul_f64 v[34:35], v[26:27], v[30:31]
	v_mul_f64 v[26:27], v[26:27], v[32:33]
	v_fma_f64 v[32:33], v[28:29], v[32:33], -v[34:35]
	v_fma_f64 v[26:27], v[28:29], v[30:31], v[26:27]
	v_add_f64 v[10:11], v[10:11], v[32:33]
	v_add_f64 v[12:13], v[12:13], -v[26:27]
.LBB171_346:
	s_or_b64 exec, exec, s[10:11]
	s_barrier
	s_and_saveexec_b64 s[10:11], s[38:39]
; %bb.347:
	v_xor_b32_e32 v27, 0x80000000, v11
	v_xor_b32_e32 v29, 0x80000000, v13
	v_mov_b32_e32 v26, v10
	v_mov_b32_e32 v28, v12
	ds_write_b128 v16, v[26:29]
; %bb.348:
	s_or_b64 exec, exec, s[10:11]
	s_waitcnt lgkmcnt(0)
	s_barrier
	s_barrier
	s_and_saveexec_b64 s[10:11], s[2:3]
; %bb.349:
	v_lshlrev_b32_e32 v26, 4, v14
	v_lshl_or_b32 v26, v15, 9, v26
	ds_write_b128 v26, v[10:13] offset:5248
; %bb.350:
	s_or_b64 exec, exec, s[10:11]
	s_waitcnt lgkmcnt(0)
	s_barrier
	s_barrier
	s_and_saveexec_b64 s[10:11], s[42:43]
	s_cbranch_execz .LBB171_352
; %bb.351:
	v_lshlrev_b32_e32 v26, 9, v0
	ds_read_b128 v[10:13], v26 offset:5248
	s_movk_i32 s12, 0xfe10
	v_mad_i32_i24 v27, v0, s12, v26
	s_waitcnt lgkmcnt(0)
	ds_write_b128 v27, v[10:13] offset:4256
	ds_read_b128 v[10:13], v26 offset:5264
	s_waitcnt lgkmcnt(0)
	ds_write_b128 v27, v[10:13] offset:4768
.LBB171_352:
	s_or_b64 exec, exec, s[10:11]
	s_waitcnt lgkmcnt(0)
	s_barrier
	s_and_saveexec_b64 s[10:11], vcc
	s_cbranch_execz .LBB171_354
; %bb.353:
	s_mov_b32 s12, 0
	v_mov_b32_e32 v30, 0
	ds_read_b128 v[10:13], v30 offset:4736
	s_mov_b32 s15, s12
	s_mov_b32 s13, 0x3ff00000
	;; [unrolled: 1-line block ×3, first 2 shown]
	v_mov_b32_e32 v29, s15
	v_mov_b32_e32 v28, s14
	v_mov_b32_e32 v27, s13
	v_mov_b32_e32 v26, s12
	ds_write_b128 v30, v[26:29] offset:4224
	ds_write_b128 v30, v[26:29] offset:4752
	s_waitcnt lgkmcnt(2)
	ds_write_b128 v30, v[10:13] offset:4240
.LBB171_354:
	s_or_b64 exec, exec, s[10:11]
	v_mov_b32_e32 v12, 0
	v_mov_b32_e32 v10, 0
	;; [unrolled: 1-line block ×4, first 2 shown]
	s_waitcnt lgkmcnt(0)
	s_barrier
	buffer_wbinvl1_vol
	s_and_saveexec_b64 s[12:13], s[8:9]
	s_cbranch_execz .LBB171_364
; %bb.355:
	v_lshlrev_b32_e32 v27, 9, v24
	v_lshlrev_b32_e32 v26, 4, v21
	ds_read_b128 v[10:13], v27 offset:4224
	ds_read_b128 v[28:31], v26 offset:4096
	v_cmp_gt_u32_e64 s[10:11], 56, v17
	s_waitcnt lgkmcnt(0)
	v_mul_f64 v[32:33], v[12:13], v[30:31]
	v_mul_f64 v[30:31], v[10:11], v[30:31]
	v_fma_f64 v[10:11], v[10:11], v[28:29], -v[32:33]
	v_fma_f64 v[12:13], v[12:13], v[28:29], v[30:31]
	v_add_f64 v[10:11], v[10:11], 0
	v_add_f64 v[12:13], v[12:13], 0
	s_and_saveexec_b64 s[14:15], s[10:11]
	s_cbranch_execnz .LBB171_535
; %bb.356:
	s_or_b64 exec, exec, s[14:15]
	v_cmp_gt_u32_e64 s[10:11], 48, v17
	s_and_saveexec_b64 s[14:15], s[10:11]
	s_cbranch_execnz .LBB171_536
.LBB171_357:
	s_or_b64 exec, exec, s[14:15]
	v_cmp_gt_u32_e64 s[10:11], 40, v17
	s_and_saveexec_b64 s[14:15], s[10:11]
	s_cbranch_execnz .LBB171_537
.LBB171_358:
	s_or_b64 exec, exec, s[14:15]
	v_cmp_gt_u32_e64 s[10:11], 32, v17
	s_and_saveexec_b64 s[14:15], s[10:11]
	s_cbranch_execnz .LBB171_538
.LBB171_359:
	s_or_b64 exec, exec, s[14:15]
	v_cmp_gt_u32_e64 s[10:11], 24, v17
	s_and_saveexec_b64 s[14:15], s[10:11]
	s_cbranch_execnz .LBB171_539
.LBB171_360:
	s_or_b64 exec, exec, s[14:15]
	s_and_saveexec_b64 s[10:11], s[16:17]
	s_cbranch_execnz .LBB171_540
.LBB171_361:
	s_or_b64 exec, exec, s[10:11]
	v_cmp_gt_u32_e64 s[10:11], 8, v17
	s_and_saveexec_b64 s[14:15], s[10:11]
	s_cbranch_execz .LBB171_363
.LBB171_362:
	v_lshlrev_b32_e32 v30, 4, v0
	v_mov_b32_e32 v26, 0
	ds_read_b128 v[26:29], v26 offset:7920
	ds_read_b128 v[30:33], v30 offset:7680
	s_waitcnt lgkmcnt(0)
	v_mul_f64 v[34:35], v[28:29], v[32:33]
	v_mul_f64 v[32:33], v[26:27], v[32:33]
	v_fma_f64 v[26:27], v[26:27], v[30:31], -v[34:35]
	v_fma_f64 v[28:29], v[28:29], v[30:31], v[32:33]
	v_add_f64 v[10:11], v[10:11], v[26:27]
	v_add_f64 v[12:13], v[12:13], v[28:29]
.LBB171_363:
	s_or_b64 exec, exec, s[14:15]
.LBB171_364:
	s_or_b64 exec, exec, s[12:13]
	s_and_saveexec_b64 s[10:11], s[60:61]
; %bb.365:
	v_xor_b32_e32 v27, 0x80000000, v11
	v_xor_b32_e32 v29, 0x80000000, v13
	v_mov_b32_e32 v26, v10
	v_mov_b32_e32 v28, v12
	ds_write_b128 v25, v[26:29]
; %bb.366:
	s_or_b64 exec, exec, s[10:11]
	s_waitcnt lgkmcnt(0)
	s_barrier
	s_and_saveexec_b64 s[10:11], s[62:63]
	s_cbranch_execz .LBB171_368
; %bb.367:
	v_lshlrev_b32_e32 v30, 4, v21
	ds_read_b128 v[26:29], v25
	ds_read_b128 v[30:33], v30 offset:3584
	s_waitcnt lgkmcnt(0)
	v_mul_f64 v[34:35], v[28:29], v[32:33]
	v_mul_f64 v[32:33], v[26:27], v[32:33]
	v_fma_f64 v[26:27], v[26:27], v[30:31], -v[34:35]
	v_fma_f64 v[28:29], v[28:29], v[30:31], v[32:33]
	v_add_f64 v[10:11], v[10:11], -v[26:27]
	v_add_f64 v[12:13], v[12:13], -v[28:29]
.LBB171_368:
	s_or_b64 exec, exec, s[10:11]
	s_barrier
	s_and_saveexec_b64 s[10:11], s[64:65]
; %bb.369:
	v_xor_b32_e32 v27, 0x80000000, v11
	v_xor_b32_e32 v29, 0x80000000, v13
	v_mov_b32_e32 v26, v10
	v_mov_b32_e32 v28, v12
	ds_write_b128 v25, v[26:29]
; %bb.370:
	s_or_b64 exec, exec, s[10:11]
	s_waitcnt lgkmcnt(0)
	s_barrier
	s_and_saveexec_b64 s[10:11], s[66:67]
	s_cbranch_execz .LBB171_372
; %bb.371:
	v_lshlrev_b32_e32 v30, 4, v21
	ds_read_b128 v[26:29], v25
	ds_read_b128 v[30:33], v30 offset:3072
	s_waitcnt lgkmcnt(0)
	v_mul_f64 v[34:35], v[28:29], v[32:33]
	v_mul_f64 v[32:33], v[26:27], v[32:33]
	v_fma_f64 v[26:27], v[26:27], v[30:31], -v[34:35]
	v_fma_f64 v[28:29], v[28:29], v[30:31], v[32:33]
	v_add_f64 v[10:11], v[10:11], -v[26:27]
	v_add_f64 v[12:13], v[12:13], -v[28:29]
.LBB171_372:
	s_or_b64 exec, exec, s[10:11]
	s_barrier
	;; [unrolled: 27-line block ×6, first 2 shown]
	s_and_saveexec_b64 s[10:11], s[84:85]
; %bb.389:
	v_xor_b32_e32 v27, 0x80000000, v11
	v_xor_b32_e32 v29, 0x80000000, v13
	v_mov_b32_e32 v26, v10
	v_mov_b32_e32 v28, v12
	ds_write_b128 v25, v[26:29]
; %bb.390:
	s_or_b64 exec, exec, s[10:11]
	s_waitcnt lgkmcnt(0)
	s_barrier
	s_and_saveexec_b64 s[10:11], s[58:59]
	s_cbranch_execz .LBB171_392
; %bb.391:
	v_mov_b32_e32 v30, 0
	ds_read_b128 v[26:29], v25
	ds_read_b128 v[30:33], v30 offset:512
	s_waitcnt lgkmcnt(0)
	v_mul_f64 v[34:35], v[28:29], v[32:33]
	v_mul_f64 v[32:33], v[26:27], v[32:33]
	v_fma_f64 v[26:27], v[26:27], v[30:31], -v[34:35]
	v_fma_f64 v[28:29], v[28:29], v[30:31], v[32:33]
	v_add_f64 v[10:11], v[10:11], -v[26:27]
	v_add_f64 v[12:13], v[12:13], -v[28:29]
.LBB171_392:
	s_or_b64 exec, exec, s[10:11]
	s_barrier
	s_and_saveexec_b64 s[10:11], s[58:59]
; %bb.393:
	v_xor_b32_e32 v27, 0x80000000, v11
	v_xor_b32_e32 v29, 0x80000000, v13
	v_mov_b32_e32 v26, v10
	v_mov_b32_e32 v28, v12
	ds_write_b128 v25, v[26:29]
; %bb.394:
	s_or_b64 exec, exec, s[10:11]
	s_waitcnt lgkmcnt(0)
	s_barrier
	s_barrier
	s_and_saveexec_b64 s[10:11], s[8:9]
; %bb.395:
	v_lshlrev_b32_e32 v21, 4, v21
	v_lshl_or_b32 v21, v24, 9, v21
	ds_write_b128 v21, v[10:13] offset:4096
; %bb.396:
	s_or_b64 exec, exec, s[10:11]
	s_waitcnt lgkmcnt(0)
	s_barrier
	s_barrier
	s_and_saveexec_b64 s[8:9], s[86:87]
	s_cbranch_execz .LBB171_398
; %bb.397:
	v_lshlrev_b32_e32 v21, 9, v0
	ds_read_b128 v[10:13], v21 offset:4096
	s_movk_i32 s10, 0xfe10
	v_mad_i32_i24 v24, v0, s10, v21
	s_waitcnt lgkmcnt(0)
	ds_write_b128 v24, v[10:13] offset:128
	ds_read_b128 v[10:13], v21 offset:4112
	s_waitcnt lgkmcnt(0)
	ds_write_b128 v24, v[10:13] offset:640
	ds_read_b128 v[10:13], v21 offset:4128
	s_waitcnt lgkmcnt(0)
	ds_write_b128 v24, v[10:13] offset:1152
	ds_read_b128 v[10:13], v21 offset:4144
	s_waitcnt lgkmcnt(0)
	ds_write_b128 v24, v[10:13] offset:1664
	ds_read_b128 v[10:13], v21 offset:4160
	s_waitcnt lgkmcnt(0)
	ds_write_b128 v24, v[10:13] offset:2176
	ds_read_b128 v[10:13], v21 offset:4176
	s_waitcnt lgkmcnt(0)
	ds_write_b128 v24, v[10:13] offset:2688
	ds_read_b128 v[10:13], v21 offset:4192
	s_waitcnt lgkmcnt(0)
	ds_write_b128 v24, v[10:13] offset:3200
	ds_read_b128 v[10:13], v21 offset:4208
	s_waitcnt lgkmcnt(0)
	ds_write_b128 v24, v[10:13] offset:3712
.LBB171_398:
	s_or_b64 exec, exec, s[8:9]
	s_waitcnt lgkmcnt(0)
	s_barrier
	s_and_saveexec_b64 s[8:9], vcc
	s_cbranch_execz .LBB171_400
; %bb.399:
	s_mov_b32 s12, 0
	v_mov_b32_e32 v21, 0
	ds_read_b128 v[10:13], v21 offset:3680
	s_mov_b32 s15, s12
	s_mov_b32 s13, 0x3ff00000
	;; [unrolled: 1-line block ×3, first 2 shown]
	v_mov_b32_e32 v27, s15
	v_mov_b32_e32 v26, s14
	v_mov_b32_e32 v25, s13
	v_mov_b32_e32 v24, s12
	ds_write_b128 v21, v[24:27] offset:3168
	ds_write_b128 v21, v[24:27] offset:3696
	s_waitcnt lgkmcnt(2)
	ds_write_b128 v21, v[10:13] offset:3184
.LBB171_400:
	s_or_b64 exec, exec, s[8:9]
	v_mov_b32_e32 v10, 0
	v_mov_b32_e32 v12, 0
	;; [unrolled: 1-line block ×4, first 2 shown]
	s_waitcnt lgkmcnt(0)
	s_barrier
	buffer_wbinvl1_vol
	s_and_saveexec_b64 s[10:11], s[2:3]
	s_cbranch_execz .LBB171_404
; %bb.401:
	v_lshlrev_b32_e32 v10, 9, v15
	v_lshlrev_b32_e32 v21, 4, v14
	ds_read_b128 v[10:13], v10 offset:3168
	ds_read_b128 v[24:27], v21 offset:3136
	v_cmp_gt_u32_e64 s[8:9], 2, v17
	s_waitcnt lgkmcnt(0)
	v_mul_f64 v[28:29], v[12:13], v[26:27]
	v_mul_f64 v[26:27], v[10:11], v[26:27]
	v_fma_f64 v[10:11], v[10:11], v[24:25], -v[28:29]
	v_fma_f64 v[12:13], v[12:13], v[24:25], v[26:27]
	v_add_f64 v[10:11], v[10:11], 0
	v_add_f64 v[12:13], v[12:13], 0
	s_and_saveexec_b64 s[12:13], s[8:9]
	s_cbranch_execz .LBB171_403
; %bb.402:
	v_mov_b32_e32 v24, 0
	v_lshlrev_b32_e32 v21, 4, v0
	ds_read_b128 v[24:27], v24 offset:3696
	ds_read_b128 v[28:31], v21 offset:3648
	s_waitcnt lgkmcnt(0)
	v_mul_f64 v[32:33], v[26:27], v[30:31]
	v_mul_f64 v[30:31], v[24:25], v[30:31]
	v_fma_f64 v[24:25], v[24:25], v[28:29], -v[32:33]
	v_fma_f64 v[26:27], v[26:27], v[28:29], v[30:31]
	v_add_f64 v[10:11], v[10:11], v[24:25]
	v_add_f64 v[12:13], v[12:13], v[26:27]
.LBB171_403:
	s_or_b64 exec, exec, s[12:13]
.LBB171_404:
	s_or_b64 exec, exec, s[10:11]
	s_and_saveexec_b64 s[8:9], s[40:41]
; %bb.405:
	v_xor_b32_e32 v25, 0x80000000, v11
	v_xor_b32_e32 v27, 0x80000000, v13
	v_mov_b32_e32 v24, v10
	v_mov_b32_e32 v26, v12
	ds_write_b128 v16, v[24:27]
; %bb.406:
	s_or_b64 exec, exec, s[8:9]
	s_waitcnt lgkmcnt(0)
	s_barrier
	s_and_saveexec_b64 s[8:9], s[38:39]
	s_cbranch_execz .LBB171_408
; %bb.407:
	v_mov_b32_e32 v21, 0
	ds_read_b128 v[24:27], v16
	ds_read_b128 v[28:31], v21 offset:2624
	s_waitcnt lgkmcnt(0)
	v_mul_f64 v[32:33], v[24:25], v[28:29]
	v_mul_f64 v[24:25], v[24:25], v[30:31]
	v_fma_f64 v[30:31], v[26:27], v[30:31], -v[32:33]
	v_fma_f64 v[24:25], v[26:27], v[28:29], v[24:25]
	v_add_f64 v[10:11], v[10:11], v[30:31]
	v_add_f64 v[12:13], v[12:13], -v[24:25]
.LBB171_408:
	s_or_b64 exec, exec, s[8:9]
	s_barrier
	s_and_saveexec_b64 s[8:9], s[38:39]
; %bb.409:
	v_xor_b32_e32 v25, 0x80000000, v11
	v_xor_b32_e32 v27, 0x80000000, v13
	v_mov_b32_e32 v24, v10
	v_mov_b32_e32 v26, v12
	ds_write_b128 v16, v[24:27]
; %bb.410:
	s_or_b64 exec, exec, s[8:9]
	s_waitcnt lgkmcnt(0)
	s_barrier
	s_barrier
	s_and_saveexec_b64 s[8:9], s[2:3]
; %bb.411:
	v_lshlrev_b32_e32 v21, 4, v14
	v_lshl_or_b32 v21, v15, 9, v21
	ds_write_b128 v21, v[10:13] offset:3136
; %bb.412:
	s_or_b64 exec, exec, s[8:9]
	s_waitcnt lgkmcnt(0)
	s_barrier
	s_barrier
	s_and_saveexec_b64 s[8:9], s[42:43]
	s_cbranch_execz .LBB171_414
; %bb.413:
	v_lshlrev_b32_e32 v21, 9, v0
	ds_read_b128 v[10:13], v21 offset:3136
	s_movk_i32 s10, 0xfe10
	v_mad_i32_i24 v24, v0, s10, v21
	s_waitcnt lgkmcnt(0)
	ds_write_b128 v24, v[10:13] offset:2144
	ds_read_b128 v[10:13], v21 offset:3152
	s_waitcnt lgkmcnt(0)
	ds_write_b128 v24, v[10:13] offset:2656
.LBB171_414:
	s_or_b64 exec, exec, s[8:9]
	s_waitcnt lgkmcnt(0)
	s_barrier
	s_and_saveexec_b64 s[8:9], vcc
	s_cbranch_execz .LBB171_416
; %bb.415:
	s_mov_b32 s12, 0
	v_mov_b32_e32 v21, 0
	ds_read_b128 v[10:13], v21 offset:2624
	s_mov_b32 s15, s12
	s_mov_b32 s13, 0x3ff00000
	;; [unrolled: 1-line block ×3, first 2 shown]
	v_mov_b32_e32 v27, s15
	v_mov_b32_e32 v26, s14
	;; [unrolled: 1-line block ×4, first 2 shown]
	ds_write_b128 v21, v[24:27] offset:2112
	ds_write_b128 v21, v[24:27] offset:2640
	s_waitcnt lgkmcnt(2)
	ds_write_b128 v21, v[10:13] offset:2128
.LBB171_416:
	s_or_b64 exec, exec, s[8:9]
	v_mov_b32_e32 v12, 0
	v_mov_b32_e32 v10, 0
	v_mov_b32_e32 v13, 0
	v_mov_b32_e32 v11, 0
	s_waitcnt lgkmcnt(0)
	s_barrier
	buffer_wbinvl1_vol
	s_and_saveexec_b64 s[10:11], s[16:17]
	s_cbranch_execz .LBB171_422
; %bb.417:
	v_lshlrev_b32_e32 v24, 9, v19
	v_lshlrev_b32_e32 v21, 4, v18
	ds_read_b128 v[10:13], v24 offset:2112
	ds_read_b128 v[25:28], v21 offset:2048
	v_cmp_gt_u32_e64 s[8:9], 12, v17
	s_waitcnt lgkmcnt(0)
	v_mul_f64 v[29:30], v[12:13], v[27:28]
	v_mul_f64 v[27:28], v[10:11], v[27:28]
	v_fma_f64 v[10:11], v[10:11], v[25:26], -v[29:30]
	v_fma_f64 v[12:13], v[12:13], v[25:26], v[27:28]
	v_add_f64 v[10:11], v[10:11], 0
	v_add_f64 v[12:13], v[12:13], 0
	s_and_saveexec_b64 s[12:13], s[8:9]
	s_cbranch_execnz .LBB171_541
; %bb.418:
	s_or_b64 exec, exec, s[12:13]
	v_cmp_gt_u32_e64 s[8:9], 8, v17
	s_and_saveexec_b64 s[12:13], s[8:9]
	s_cbranch_execnz .LBB171_542
.LBB171_419:
	s_or_b64 exec, exec, s[12:13]
	v_cmp_gt_u32_e64 s[8:9], 4, v17
	s_and_saveexec_b64 s[12:13], s[8:9]
	s_cbranch_execz .LBB171_421
.LBB171_420:
	v_mov_b32_e32 v24, 0
	v_lshlrev_b32_e32 v21, 4, v0
	ds_read_b128 v[24:27], v24 offset:3696
	ds_read_b128 v[28:31], v21 offset:3584
	s_waitcnt lgkmcnt(0)
	v_mul_f64 v[32:33], v[26:27], v[30:31]
	v_mul_f64 v[30:31], v[24:25], v[30:31]
	v_fma_f64 v[24:25], v[24:25], v[28:29], -v[32:33]
	v_fma_f64 v[26:27], v[26:27], v[28:29], v[30:31]
	v_add_f64 v[10:11], v[10:11], v[24:25]
	v_add_f64 v[12:13], v[12:13], v[26:27]
.LBB171_421:
	s_or_b64 exec, exec, s[12:13]
.LBB171_422:
	s_or_b64 exec, exec, s[10:11]
	s_and_saveexec_b64 s[8:9], s[46:47]
; %bb.423:
	v_xor_b32_e32 v27, 0x80000000, v13
	v_xor_b32_e32 v25, 0x80000000, v11
	v_mov_b32_e32 v24, v10
	v_mov_b32_e32 v26, v12
	ds_write_b128 v20, v[24:27]
; %bb.424:
	s_or_b64 exec, exec, s[8:9]
	s_waitcnt lgkmcnt(0)
	s_barrier
	s_and_saveexec_b64 s[8:9], s[48:49]
	s_cbranch_execz .LBB171_426
; %bb.425:
	v_lshlrev_b32_e32 v21, 4, v18
	ds_read_b128 v[24:27], v20
	ds_read_b128 v[28:31], v21 offset:1536
	s_waitcnt lgkmcnt(0)
	v_mul_f64 v[32:33], v[26:27], v[30:31]
	v_mul_f64 v[30:31], v[24:25], v[30:31]
	v_fma_f64 v[24:25], v[24:25], v[28:29], -v[32:33]
	v_fma_f64 v[26:27], v[26:27], v[28:29], v[30:31]
	v_add_f64 v[10:11], v[10:11], -v[24:25]
	v_add_f64 v[12:13], v[12:13], -v[26:27]
.LBB171_426:
	s_or_b64 exec, exec, s[8:9]
	s_barrier
	s_and_saveexec_b64 s[8:9], s[50:51]
; %bb.427:
	v_xor_b32_e32 v27, 0x80000000, v13
	v_xor_b32_e32 v25, 0x80000000, v11
	v_mov_b32_e32 v24, v10
	v_mov_b32_e32 v26, v12
	ds_write_b128 v20, v[24:27]
; %bb.428:
	s_or_b64 exec, exec, s[8:9]
	s_waitcnt lgkmcnt(0)
	s_barrier
	s_and_saveexec_b64 s[8:9], s[52:53]
	s_cbranch_execz .LBB171_430
; %bb.429:
	v_lshlrev_b32_e32 v21, 4, v18
	ds_read_b128 v[24:27], v20
	ds_read_b128 v[28:31], v21 offset:1024
	s_waitcnt lgkmcnt(0)
	v_mul_f64 v[32:33], v[26:27], v[30:31]
	v_mul_f64 v[30:31], v[24:25], v[30:31]
	v_fma_f64 v[24:25], v[24:25], v[28:29], -v[32:33]
	v_fma_f64 v[26:27], v[26:27], v[28:29], v[30:31]
	v_add_f64 v[10:11], v[10:11], -v[24:25]
	v_add_f64 v[12:13], v[12:13], -v[26:27]
.LBB171_430:
	s_or_b64 exec, exec, s[8:9]
	s_barrier
	s_and_saveexec_b64 s[8:9], s[54:55]
; %bb.431:
	v_xor_b32_e32 v27, 0x80000000, v13
	v_xor_b32_e32 v25, 0x80000000, v11
	v_mov_b32_e32 v24, v10
	v_mov_b32_e32 v26, v12
	ds_write_b128 v20, v[24:27]
; %bb.432:
	s_or_b64 exec, exec, s[8:9]
	s_waitcnt lgkmcnt(0)
	s_barrier
	s_and_saveexec_b64 s[8:9], s[44:45]
	s_cbranch_execz .LBB171_434
; %bb.433:
	v_mov_b32_e32 v21, 0
	ds_read_b128 v[24:27], v20
	ds_read_b128 v[28:31], v21 offset:512
	s_waitcnt lgkmcnt(0)
	v_mul_f64 v[32:33], v[26:27], v[30:31]
	v_mul_f64 v[30:31], v[24:25], v[30:31]
	v_fma_f64 v[24:25], v[24:25], v[28:29], -v[32:33]
	v_fma_f64 v[26:27], v[26:27], v[28:29], v[30:31]
	v_add_f64 v[10:11], v[10:11], -v[24:25]
	v_add_f64 v[12:13], v[12:13], -v[26:27]
.LBB171_434:
	s_or_b64 exec, exec, s[8:9]
	s_barrier
	s_and_saveexec_b64 s[8:9], s[44:45]
; %bb.435:
	v_xor_b32_e32 v27, 0x80000000, v13
	v_xor_b32_e32 v25, 0x80000000, v11
	v_mov_b32_e32 v24, v10
	v_mov_b32_e32 v26, v12
	ds_write_b128 v20, v[24:27]
; %bb.436:
	s_or_b64 exec, exec, s[8:9]
	s_waitcnt lgkmcnt(0)
	s_barrier
	s_barrier
	s_and_saveexec_b64 s[8:9], s[16:17]
; %bb.437:
	v_lshlrev_b32_e32 v18, 4, v18
	v_lshl_or_b32 v18, v19, 9, v18
	ds_write_b128 v18, v[10:13] offset:2048
; %bb.438:
	s_or_b64 exec, exec, s[8:9]
	s_waitcnt lgkmcnt(0)
	s_barrier
	s_barrier
	s_and_saveexec_b64 s[8:9], s[56:57]
	s_cbranch_execz .LBB171_440
; %bb.439:
	v_lshlrev_b32_e32 v18, 4, v0
	s_movk_i32 s10, 0x1f0
	v_mad_u32_u24 v19, v0, s10, v18
	ds_read_b128 v[10:13], v19 offset:2048
	s_waitcnt lgkmcnt(0)
	ds_write_b128 v18, v[10:13] offset:64
	ds_read_b128 v[10:13], v19 offset:2064
	s_waitcnt lgkmcnt(0)
	ds_write_b128 v18, v[10:13] offset:576
	;; [unrolled: 3-line block ×4, first 2 shown]
.LBB171_440:
	s_or_b64 exec, exec, s[8:9]
	s_waitcnt lgkmcnt(0)
	s_barrier
	s_and_saveexec_b64 s[8:9], vcc
	s_cbranch_execz .LBB171_442
; %bb.441:
	s_mov_b32 s12, 0
	v_mov_b32_e32 v24, 0
	ds_read_b128 v[10:13], v24 offset:1568
	s_mov_b32 s15, s12
	s_mov_b32 s13, 0x3ff00000
	;; [unrolled: 1-line block ×3, first 2 shown]
	v_mov_b32_e32 v21, s15
	v_mov_b32_e32 v20, s14
	;; [unrolled: 1-line block ×4, first 2 shown]
	ds_write_b128 v24, v[18:21] offset:1056
	ds_write_b128 v24, v[18:21] offset:1584
	s_waitcnt lgkmcnt(2)
	ds_write_b128 v24, v[10:13] offset:1072
.LBB171_442:
	s_or_b64 exec, exec, s[8:9]
	v_mov_b32_e32 v10, 0
	v_mov_b32_e32 v12, 0
	;; [unrolled: 1-line block ×4, first 2 shown]
	s_waitcnt lgkmcnt(0)
	s_barrier
	buffer_wbinvl1_vol
	s_and_saveexec_b64 s[10:11], s[2:3]
	s_cbranch_execz .LBB171_446
; %bb.443:
	v_lshlrev_b32_e32 v18, 4, v14
	v_lshlrev_b32_e32 v10, 9, v15
	ds_read_b128 v[10:13], v10 offset:1056
	ds_read_b128 v[18:21], v18 offset:1024
	v_cmp_gt_u32_e64 s[8:9], 2, v17
	s_waitcnt lgkmcnt(0)
	v_mul_f64 v[24:25], v[12:13], v[20:21]
	v_mul_f64 v[20:21], v[10:11], v[20:21]
	v_fma_f64 v[10:11], v[10:11], v[18:19], -v[24:25]
	v_fma_f64 v[12:13], v[12:13], v[18:19], v[20:21]
	v_add_f64 v[10:11], v[10:11], 0
	v_add_f64 v[12:13], v[12:13], 0
	s_and_saveexec_b64 s[12:13], s[8:9]
	s_cbranch_execz .LBB171_445
; %bb.444:
	v_mov_b32_e32 v17, 0
	v_lshlrev_b32_e32 v21, 4, v0
	ds_read_b128 v[17:20], v17 offset:1584
	ds_read_b128 v[24:27], v21 offset:1536
	s_waitcnt lgkmcnt(0)
	v_mul_f64 v[28:29], v[19:20], v[26:27]
	v_mul_f64 v[26:27], v[17:18], v[26:27]
	v_fma_f64 v[17:18], v[17:18], v[24:25], -v[28:29]
	v_fma_f64 v[19:20], v[19:20], v[24:25], v[26:27]
	v_add_f64 v[10:11], v[10:11], v[17:18]
	v_add_f64 v[12:13], v[12:13], v[19:20]
.LBB171_445:
	s_or_b64 exec, exec, s[12:13]
.LBB171_446:
	s_or_b64 exec, exec, s[10:11]
	s_and_saveexec_b64 s[8:9], s[40:41]
; %bb.447:
	v_xor_b32_e32 v18, 0x80000000, v11
	v_xor_b32_e32 v20, 0x80000000, v13
	v_mov_b32_e32 v17, v10
	v_mov_b32_e32 v19, v12
	ds_write_b128 v16, v[17:20]
; %bb.448:
	s_or_b64 exec, exec, s[8:9]
	s_waitcnt lgkmcnt(0)
	s_barrier
	s_and_saveexec_b64 s[8:9], s[38:39]
	s_cbranch_execz .LBB171_450
; %bb.449:
	v_mov_b32_e32 v21, 0
	ds_read_b128 v[17:20], v16
	ds_read_b128 v[24:27], v21 offset:512
	s_waitcnt lgkmcnt(0)
	v_mul_f64 v[28:29], v[17:18], v[24:25]
	v_mul_f64 v[17:18], v[17:18], v[26:27]
	v_fma_f64 v[26:27], v[19:20], v[26:27], -v[28:29]
	v_fma_f64 v[17:18], v[19:20], v[24:25], v[17:18]
	v_add_f64 v[10:11], v[10:11], v[26:27]
	v_add_f64 v[12:13], v[12:13], -v[17:18]
.LBB171_450:
	s_or_b64 exec, exec, s[8:9]
	s_barrier
	s_and_saveexec_b64 s[8:9], s[38:39]
; %bb.451:
	v_xor_b32_e32 v18, 0x80000000, v11
	v_xor_b32_e32 v20, 0x80000000, v13
	v_mov_b32_e32 v17, v10
	v_mov_b32_e32 v19, v12
	ds_write_b128 v16, v[17:20]
; %bb.452:
	s_or_b64 exec, exec, s[8:9]
	s_waitcnt lgkmcnt(0)
	s_barrier
	s_barrier
	s_and_saveexec_b64 s[8:9], s[2:3]
; %bb.453:
	v_lshlrev_b32_e32 v14, 4, v14
	v_lshl_or_b32 v14, v15, 9, v14
	ds_write_b128 v14, v[10:13] offset:1024
; %bb.454:
	s_or_b64 exec, exec, s[8:9]
	s_waitcnt lgkmcnt(0)
	s_barrier
	s_barrier
	s_and_saveexec_b64 s[2:3], s[42:43]
	s_cbranch_execz .LBB171_456
; %bb.455:
	v_lshlrev_b32_e32 v14, 9, v0
	ds_read_b128 v[10:13], v14 offset:1024
	s_movk_i32 s8, 0xfe10
	v_mad_i32_i24 v15, v0, s8, v14
	s_waitcnt lgkmcnt(0)
	ds_write_b128 v15, v[10:13] offset:32
	ds_read_b128 v[10:13], v14 offset:1040
	s_waitcnt lgkmcnt(0)
	ds_write_b128 v15, v[10:13] offset:544
.LBB171_456:
	s_or_b64 exec, exec, s[2:3]
	s_waitcnt lgkmcnt(0)
	s_barrier
	s_and_saveexec_b64 s[2:3], vcc
	s_cbranch_execz .LBB171_458
; %bb.457:
	s_mov_b32 s8, 0
	v_mov_b32_e32 v18, 0
	ds_read_b128 v[10:13], v18 offset:512
	s_mov_b32 s11, s8
	s_mov_b32 s9, 0x3ff00000
	;; [unrolled: 1-line block ×3, first 2 shown]
	v_mov_b32_e32 v17, s11
	v_mov_b32_e32 v16, s10
	;; [unrolled: 1-line block ×4, first 2 shown]
	ds_write_b128 v18, v[14:17]
	ds_write_b128 v18, v[14:17] offset:528
	s_waitcnt lgkmcnt(2)
	ds_write_b128 v18, v[10:13] offset:16
.LBB171_458:
	s_or_b64 exec, exec, s[2:3]
.LBB171_459:
	s_lshl_b64 s[2:3], s[20:21], 4
	s_add_u32 s36, s36, s2
	v_cmp_le_i32_e32 vcc, s7, v0
	v_mov_b32_e32 v10, 0
	s_addc_u32 s37, s37, s3
	s_and_b64 s[16:17], vcc, s[30:31]
	v_mov_b32_e32 v11, 0
	v_cmp_eq_u32_e64 s[2:3], 0, v1
	s_xor_b64 s[8:9], s[16:17], -1
	v_mov_b32_e32 v13, v11
	s_and_b64 s[10:11], s[2:3], s[8:9]
	v_lshl_add_u32 v14, s6, 5, v0
	v_mov_b32_e32 v12, v10
	s_waitcnt lgkmcnt(0)
	s_barrier
	s_and_saveexec_b64 s[8:9], s[10:11]
	s_cbranch_execz .LBB171_461
; %bb.460:
	v_ashrrev_i32_e32 v12, 31, v14
	v_mul_lo_u32 v13, s23, v14
	v_mad_u64_u32 v[10:11], s[10:11], s22, v14, 0
	v_mul_lo_u32 v12, s22, v12
	v_add3_u32 v11, v11, v12, v13
	v_lshlrev_b64 v[10:11], 4, v[10:11]
	v_mov_b32_e32 v12, s37
	v_add_co_u32_e32 v10, vcc, s36, v10
	v_addc_co_u32_e32 v11, vcc, v12, v11, vcc
	flat_load_dwordx4 v[15:18], v[10:11]
	s_waitcnt vmcnt(0) lgkmcnt(0)
	v_mul_f64 v[10:11], s[24:25], v[15:16]
	v_mul_f64 v[12:13], s[24:25], v[17:18]
	v_fma_f64 v[10:11], s[26:27], v[17:18], -v[10:11]
	v_fma_f64 v[12:13], v[15:16], -s[26:27], -v[12:13]
.LBB171_461:
	s_or_b64 exec, exec, s[8:9]
	s_load_dwordx2 s[14:15], s[4:5], 0x50
	s_and_b32 s4, 0xffff, s94
	v_mad_u32_u24 v24, v1, s4, v0
	v_mov_b32_e32 v15, 0
	s_cmp_lt_i32 s6, 1
	v_cmp_eq_u32_e64 s[4:5], 0, v24
	s_cbranch_scc1 .LBB171_484
; %bb.462:
	v_mad_u64_u32 v[16:17], s[8:9], s34, v14, 0
	s_mov_b32 s24, 0
	v_cmp_gt_u32_e64 s[12:13], 32, v24
	v_mad_u64_u32 v[17:18], s[8:9], s35, v14, v[17:18]
	s_lshl_b64 s[8:9], s[28:29], 2
	s_waitcnt lgkmcnt(0)
	s_add_u32 s18, s14, s8
	v_lshlrev_b64 v[16:17], 4, v[16:17]
	s_addc_u32 s19, s15, s9
	v_mov_b32_e32 v18, 0x6000
	v_cmp_gt_i32_e64 s[8:9], s33, v14
	v_mov_b32_e32 v14, s93
	v_add_co_u32_e32 v27, vcc, s92, v16
	v_lshl_add_u32 v25, v24, 4, v18
	v_lshl_or_b32 v26, v1, 4, v18
	s_add_i32 s25, s6, -1
	v_addc_co_u32_e32 v28, vcc, v14, v17, vcc
	v_mov_b32_e32 v29, -1
	s_branch .LBB171_465
.LBB171_463:                            ;   in Loop: Header=BB171_465 Depth=1
	ds_read_b128 v[30:33], v26 offset:256
	s_waitcnt vmcnt(0) lgkmcnt(0)
	v_mul_f64 v[16:17], v[20:21], v[32:33]
	v_mul_f64 v[20:21], v[20:21], v[30:31]
	v_fma_f64 v[16:17], v[18:19], v[30:31], v[16:17]
	v_fma_f64 v[18:19], v[18:19], v[32:33], -v[20:21]
	v_add_f64 v[10:11], v[10:11], v[16:17]
	v_add_f64 v[12:13], v[12:13], v[18:19]
.LBB171_464:                            ;   in Loop: Header=BB171_465 Depth=1
	s_or_b64 exec, exec, s[20:21]
	s_add_i32 s24, s24, 1
	s_cmp_eq_u32 s24, s6
	s_cbranch_scc1 .LBB171_484
.LBB171_465:                            ; =>This Loop Header: Depth=1
                                        ;     Child Loop BB171_467 Depth 2
	v_cmp_gt_i32_e32 vcc, s24, v29
	s_and_b64 s[20:21], s[4:5], vcc
	s_and_saveexec_b64 s[10:11], s[20:21]
	s_cbranch_execz .LBB171_468
; %bb.466:                              ;   in Loop: Header=BB171_465 Depth=1
	global_load_dword v29, v15, s[18:19]
	s_waitcnt vmcnt(0)
	v_cmp_le_i32_e32 vcc, s24, v29
	s_cbranch_vccnz .LBB171_468
.LBB171_467:                            ;   Parent Loop BB171_465 Depth=1
                                        ; =>  This Inner Loop Header: Depth=2
	buffer_wbinvl1_vol
	global_load_dword v29, v15, s[18:19]
	s_waitcnt vmcnt(0)
	v_cmp_gt_i32_e32 vcc, s24, v29
	s_cbranch_vccnz .LBB171_467
.LBB171_468:                            ;   in Loop: Header=BB171_465 Depth=1
	s_or_b64 exec, exec, s[10:11]
	s_lshl_b32 s26, s24, 5
	buffer_wbinvl1_vol
	s_barrier
	s_and_saveexec_b64 s[10:11], s[12:13]
	s_cbranch_execz .LBB171_473
; %bb.469:                              ;   in Loop: Header=BB171_465 Depth=1
	v_or_b32_e32 v14, s26, v24
	v_cmp_le_i32_e32 vcc, s33, v14
	s_and_saveexec_b64 s[20:21], vcc
	s_xor_b64 s[20:21], exec, s[20:21]
; %bb.470:                              ;   in Loop: Header=BB171_465 Depth=1
	v_mov_b32_e32 v14, v15
	v_mov_b32_e32 v16, v15
	;; [unrolled: 1-line block ×3, first 2 shown]
	ds_write_b128 v25, v[14:17]
                                        ; implicit-def: $vgpr14
; %bb.471:                              ;   in Loop: Header=BB171_465 Depth=1
	s_andn2_saveexec_b64 s[20:21], s[20:21]
	s_cbranch_execz .LBB171_473
; %bb.472:                              ;   in Loop: Header=BB171_465 Depth=1
	v_mad_u64_u32 v[16:17], s[20:21], s22, v14, 0
	v_mad_u64_u32 v[17:18], s[20:21], s23, v14, v[17:18]
	v_mov_b32_e32 v14, s37
	v_lshlrev_b64 v[16:17], 4, v[16:17]
	v_add_co_u32_e32 v16, vcc, s36, v16
	v_addc_co_u32_e32 v17, vcc, v14, v17, vcc
	flat_load_dwordx4 v[16:19], v[16:17]
	s_waitcnt vmcnt(0) lgkmcnt(0)
	ds_write2_b64 v25, v[16:17], v[18:19] offset1:1
.LBB171_473:                            ;   in Loop: Header=BB171_465 Depth=1
	s_or_b64 exec, exec, s[10:11]
	v_add_u32_e32 v14, s26, v1
	v_lshlrev_b64 v[16:17], 4, v[14:15]
	s_cmp_lg_u32 s24, s25
	v_add_co_u32_e32 v16, vcc, v27, v16
	s_cselect_b64 s[10:11], -1, 0
	v_addc_co_u32_e32 v17, vcc, v28, v17, vcc
	v_cmp_gt_i32_e32 vcc, s33, v14
	v_cndmask_b32_e64 v18, 0, 1, s[10:11]
	s_and_b64 s[26:27], vcc, s[8:9]
	v_cmp_ne_u32_e64 s[10:11], 1, v18
	s_waitcnt lgkmcnt(0)
	s_barrier
	s_and_saveexec_b64 s[20:21], s[26:27]
	s_cbranch_execz .LBB171_479
; %bb.474:                              ;   in Loop: Header=BB171_465 Depth=1
	v_mov_b32_e32 v19, v7
	s_and_b64 vcc, exec, s[10:11]
	v_mov_b32_e32 v18, v6
	s_cbranch_vccnz .LBB171_476
; %bb.475:                              ;   in Loop: Header=BB171_465 Depth=1
	flat_load_dwordx2 v[18:19], v[16:17]
.LBB171_476:                            ;   in Loop: Header=BB171_465 Depth=1
	v_mov_b32_e32 v21, v9
	s_and_b64 vcc, exec, s[10:11]
	v_mov_b32_e32 v20, v8
	s_cbranch_vccnz .LBB171_478
; %bb.477:                              ;   in Loop: Header=BB171_465 Depth=1
	flat_load_dwordx2 v[20:21], v[16:17] offset:8
.LBB171_478:                            ;   in Loop: Header=BB171_465 Depth=1
	ds_read_b128 v[30:33], v26
	s_waitcnt vmcnt(0) lgkmcnt(0)
	v_mul_f64 v[34:35], v[20:21], v[32:33]
	v_mul_f64 v[20:21], v[20:21], v[30:31]
	v_fma_f64 v[30:31], v[18:19], v[30:31], v[34:35]
	v_fma_f64 v[18:19], v[18:19], v[32:33], -v[20:21]
	v_add_f64 v[10:11], v[10:11], v[30:31]
	v_add_f64 v[12:13], v[12:13], v[18:19]
.LBB171_479:                            ;   in Loop: Header=BB171_465 Depth=1
	s_or_b64 exec, exec, s[20:21]
	v_add_u32_e32 v14, 16, v14
	v_cmp_gt_i32_e32 vcc, s33, v14
	s_and_b64 s[26:27], vcc, s[8:9]
	s_and_saveexec_b64 s[20:21], s[26:27]
	s_cbranch_execz .LBB171_464
; %bb.480:                              ;   in Loop: Header=BB171_465 Depth=1
	v_mov_b32_e32 v19, v3
	s_and_b64 vcc, exec, s[10:11]
	v_mov_b32_e32 v18, v2
	s_cbranch_vccnz .LBB171_482
; %bb.481:                              ;   in Loop: Header=BB171_465 Depth=1
	flat_load_dwordx2 v[18:19], v[16:17] offset:256
.LBB171_482:                            ;   in Loop: Header=BB171_465 Depth=1
	v_mov_b32_e32 v21, v5
	s_and_b64 vcc, exec, s[10:11]
	v_mov_b32_e32 v20, v4
	s_cbranch_vccnz .LBB171_463
; %bb.483:                              ;   in Loop: Header=BB171_465 Depth=1
	flat_load_dwordx2 v[20:21], v[16:17] offset:264
	s_branch .LBB171_463
.LBB171_484:
	s_xor_b64 s[4:5], s[30:31], -1
	v_lshlrev_b32_e32 v6, 4, v23
	ds_write_b128 v6, v[10:13] offset:16384
	s_waitcnt lgkmcnt(0)
	s_barrier
	s_and_saveexec_b64 s[8:9], s[2:3]
	s_cbranch_execz .LBB171_486
; %bb.485:
	v_lshlrev_b32_e32 v18, 4, v0
	ds_read_b128 v[2:5], v18 offset:16896
	ds_read_b128 v[14:17], v18 offset:17408
	s_waitcnt lgkmcnt(1)
	v_add_f64 v[2:3], v[10:11], v[2:3]
	v_add_f64 v[4:5], v[12:13], v[4:5]
	s_waitcnt lgkmcnt(0)
	v_add_f64 v[11:12], v[2:3], v[14:15]
	v_add_f64 v[13:14], v[4:5], v[16:17]
	ds_read_b128 v[2:5], v18 offset:17920
	ds_read_b128 v[7:10], v18 offset:18432
	s_waitcnt lgkmcnt(1)
	v_add_f64 v[2:3], v[11:12], v[2:3]
	v_add_f64 v[4:5], v[13:14], v[4:5]
	s_waitcnt lgkmcnt(0)
	v_add_f64 v[11:12], v[2:3], v[7:8]
	v_add_f64 v[13:14], v[4:5], v[9:10]
	;; [unrolled: 8-line block ×7, first 2 shown]
	ds_read_b128 v[2:5], v18 offset:24064
	s_waitcnt lgkmcnt(0)
	v_add_f64 v[2:3], v[7:8], v[2:3]
	v_add_f64 v[4:5], v[9:10], v[4:5]
	v_xor_b32_e32 v3, 0x80000000, v3
	v_xor_b32_e32 v5, 0x80000000, v5
	v_cndmask_b32_e64 v10, v2, 0, s[16:17]
	v_cndmask_b32_e64 v11, v3, 0, s[16:17]
	;; [unrolled: 1-line block ×4, first 2 shown]
.LBB171_486:
	s_or_b64 exec, exec, s[8:9]
	s_and_b64 vcc, exec, s[0:1]
	s_cbranch_vccnz .LBB171_495
; %bb.487:
	v_mov_b32_e32 v2, 0x6000
	v_lshl_or_b32 v7, v1, 4, v2
	s_and_saveexec_b64 s[0:1], s[2:3]
; %bb.488:
	v_lshl_add_u32 v2, v0, 4, v7
	ds_write_b128 v2, v[10:13]
; %bb.489:
	s_or_b64 exec, exec, s[0:1]
	v_mov_b32_e32 v2, 0
	v_mov_b32_e32 v4, 0
	;; [unrolled: 1-line block ×4, first 2 shown]
	v_cmp_le_u32_e32 vcc, v1, v0
	s_waitcnt lgkmcnt(0)
	s_barrier
	s_and_saveexec_b64 s[0:1], vcc
	s_cbranch_execz .LBB171_491
; %bb.490:
	ds_read_b128 v[2:5], v7
	ds_read_b128 v[14:17], v6
	s_waitcnt lgkmcnt(0)
	v_mul_f64 v[8:9], v[4:5], v[16:17]
	v_mul_f64 v[16:17], v[2:3], v[16:17]
	v_fma_f64 v[2:3], v[2:3], v[14:15], -v[8:9]
	v_fma_f64 v[4:5], v[4:5], v[14:15], v[16:17]
	v_add_f64 v[2:3], v[2:3], 0
	v_add_f64 v[4:5], v[4:5], 0
.LBB171_491:
	s_or_b64 exec, exec, s[0:1]
	v_add_u32_e32 v1, 16, v1
	v_add_u32_e32 v8, 0x4000, v6
	v_cmp_ge_u32_e32 vcc, v0, v1
	s_and_saveexec_b64 s[0:1], vcc
	s_cbranch_execz .LBB171_493
; %bb.492:
	ds_read_b128 v[14:17], v7 offset:256
	ds_read_b128 v[18:21], v6 offset:8192
	s_waitcnt lgkmcnt(0)
	v_mul_f64 v[6:7], v[16:17], v[20:21]
	v_mul_f64 v[20:21], v[14:15], v[20:21]
	v_fma_f64 v[6:7], v[14:15], v[18:19], -v[6:7]
	v_fma_f64 v[14:15], v[16:17], v[18:19], v[20:21]
	v_add_f64 v[2:3], v[2:3], v[6:7]
	v_add_f64 v[4:5], v[4:5], v[14:15]
.LBB171_493:
	s_or_b64 exec, exec, s[0:1]
	s_mov_b64 s[8:9], 0
	s_mov_b64 s[0:1], 0
	ds_write_b128 v8, v[2:5]
	s_waitcnt lgkmcnt(0)
	s_barrier
                                        ; implicit-def: $vgpr8_vgpr9
                                        ; implicit-def: $vgpr14_vgpr15
                                        ; implicit-def: $vgpr6_vgpr7
	s_and_saveexec_b64 s[10:11], s[2:3]
	s_cbranch_execz .LBB171_508
; %bb.494:
	v_lshlrev_b32_e32 v18, 4, v0
	ds_read_b128 v[6:9], v18 offset:16896
	ds_read_b128 v[14:17], v18 offset:17408
	s_mov_b64 s[0:1], exec
	s_waitcnt lgkmcnt(1)
	v_add_f64 v[1:2], v[2:3], v[6:7]
	v_add_f64 v[3:4], v[4:5], v[8:9]
	s_waitcnt lgkmcnt(0)
	v_add_f64 v[14:15], v[1:2], v[14:15]
	v_add_f64 v[16:17], v[3:4], v[16:17]
	ds_read_b128 v[1:4], v18 offset:17920
	ds_read_b128 v[5:8], v18 offset:18432
	s_waitcnt lgkmcnt(1)
	v_add_f64 v[1:2], v[14:15], v[1:2]
	v_add_f64 v[3:4], v[16:17], v[3:4]
	s_waitcnt lgkmcnt(0)
	v_add_f64 v[14:15], v[1:2], v[5:6]
	v_add_f64 v[16:17], v[3:4], v[7:8]
	ds_read_b128 v[1:4], v18 offset:18944
	ds_read_b128 v[5:8], v18 offset:19456
	;; [unrolled: 8-line block ×6, first 2 shown]
	s_waitcnt lgkmcnt(1)
	v_add_f64 v[1:2], v[14:15], v[1:2]
	v_add_f64 v[3:4], v[16:17], v[3:4]
	s_waitcnt lgkmcnt(0)
	v_add_f64 v[14:15], v[1:2], v[5:6]
	v_add_f64 v[8:9], v[3:4], v[7:8]
	ds_read_b128 v[1:4], v18 offset:24064
	v_lshl_add_u32 v5, s6, 5, v24
	v_mad_u64_u32 v[6:7], s[12:13], s22, v5, 0
	s_waitcnt lgkmcnt(0)
	v_add_f64 v[14:15], v[14:15], v[1:2]
	v_add_f64 v[8:9], v[8:9], v[3:4]
	v_mov_b32_e32 v1, v7
	v_mad_u64_u32 v[1:2], s[12:13], s23, v5, v[1:2]
	v_mov_b32_e32 v7, v1
	s_or_b64 exec, exec, s[10:11]
	s_and_b64 vcc, exec, s[8:9]
	s_cbranch_vccnz .LBB171_496
	s_branch .LBB171_509
.LBB171_495:
	s_mov_b64 s[0:1], 0
                                        ; implicit-def: $vgpr8_vgpr9
                                        ; implicit-def: $vgpr14_vgpr15
                                        ; implicit-def: $vgpr6_vgpr7
	s_cbranch_execz .LBB171_509
.LBB171_496:
	s_mov_b32 s10, 0
	v_mov_b32_e32 v1, 0
	v_mov_b32_e32 v2, v0
	s_branch .LBB171_498
.LBB171_497:                            ;   in Loop: Header=BB171_498 Depth=1
	s_or_b64 exec, exec, s[8:9]
	s_add_i32 s10, s10, 2
	v_add_u32_e32 v22, 0x400, v22
	s_cmp_lg_u32 s10, 32
	v_add_u32_e32 v2, -2, v2
	s_barrier
	s_cbranch_scc0 .LBB171_506
.LBB171_498:                            ; =>This Inner Loop Header: Depth=1
	v_cmp_eq_u32_e32 vcc, 0, v2
	s_and_b64 s[12:13], s[2:3], vcc
	s_and_saveexec_b64 s[8:9], s[12:13]
; %bb.499:                              ;   in Loop: Header=BB171_498 Depth=1
	ds_write_b128 v1, v[10:13] offset:25088
; %bb.500:                              ;   in Loop: Header=BB171_498 Depth=1
	s_or_b64 exec, exec, s[8:9]
	v_cmp_lt_u32_e32 vcc, s10, v0
	s_and_b64 s[12:13], s[2:3], vcc
	s_waitcnt lgkmcnt(0)
	s_barrier
	s_and_saveexec_b64 s[8:9], s[12:13]
	s_cbranch_execz .LBB171_502
; %bb.501:                              ;   in Loop: Header=BB171_498 Depth=1
	ds_read_b128 v[3:6], v1 offset:25088
	ds_read_b128 v[14:17], v22
	s_waitcnt lgkmcnt(0)
	v_mul_f64 v[7:8], v[5:6], v[16:17]
	v_mul_f64 v[16:17], v[3:4], v[16:17]
	v_fma_f64 v[3:4], v[3:4], v[14:15], -v[7:8]
	v_fma_f64 v[5:6], v[5:6], v[14:15], v[16:17]
	v_add_f64 v[10:11], v[10:11], v[3:4]
	v_add_f64 v[12:13], v[12:13], v[5:6]
.LBB171_502:                            ;   in Loop: Header=BB171_498 Depth=1
	s_or_b64 exec, exec, s[8:9]
	s_or_b32 s11, s10, 1
	v_cmp_eq_u32_e32 vcc, s11, v0
	s_and_b64 s[12:13], s[2:3], vcc
	s_barrier
	s_and_saveexec_b64 s[8:9], s[12:13]
; %bb.503:                              ;   in Loop: Header=BB171_498 Depth=1
	ds_write_b128 v1, v[10:13] offset:25088
; %bb.504:                              ;   in Loop: Header=BB171_498 Depth=1
	s_or_b64 exec, exec, s[8:9]
	v_cmp_lt_u32_e32 vcc, s11, v0
	s_and_b64 s[12:13], s[2:3], vcc
	s_waitcnt lgkmcnt(0)
	s_barrier
	s_and_saveexec_b64 s[8:9], s[12:13]
	s_cbranch_execz .LBB171_497
; %bb.505:                              ;   in Loop: Header=BB171_498 Depth=1
	ds_read_b128 v[3:6], v1 offset:25088
	ds_read_b128 v[14:17], v22 offset:512
	s_waitcnt lgkmcnt(0)
	v_mul_f64 v[7:8], v[5:6], v[16:17]
	v_mul_f64 v[16:17], v[3:4], v[16:17]
	v_fma_f64 v[3:4], v[3:4], v[14:15], -v[7:8]
	v_fma_f64 v[5:6], v[5:6], v[14:15], v[16:17]
	v_add_f64 v[10:11], v[10:11], v[3:4]
	v_add_f64 v[12:13], v[12:13], v[5:6]
	s_branch .LBB171_497
.LBB171_506:
	s_and_b64 vcc, exec, s[4:5]
	s_cbranch_vccz .LBB171_510
; %bb.507:
	s_and_b64 s[4:5], s[2:3], exec
	s_cbranch_execz .LBB171_511
	s_branch .LBB171_512
.LBB171_508:
	s_or_b64 exec, exec, s[10:11]
	s_and_b64 vcc, exec, s[8:9]
	s_cbranch_vccnz .LBB171_496
.LBB171_509:
	v_mov_b32_e32 v13, v9
	v_mov_b32_e32 v10, v14
	v_mov_b32_e32 v12, v8
	v_mov_b32_e32 v11, v15
	s_and_saveexec_b64 s[2:3], s[0:1]
	s_cbranch_execnz .LBB171_515
	s_branch .LBB171_516
.LBB171_510:
	s_mov_b64 s[4:5], 0
.LBB171_511:
	v_cmp_gt_i32_e32 vcc, s7, v0
	s_and_b64 s[2:3], s[2:3], vcc
	s_andn2_b64 s[4:5], s[4:5], exec
	s_and_b64 s[2:3], s[2:3], exec
	s_or_b64 s[4:5], s[4:5], s[2:3]
.LBB171_512:
                                        ; implicit-def: $vgpr6_vgpr7
	s_and_saveexec_b64 s[2:3], s[4:5]
	s_cbranch_execz .LBB171_514
; %bb.513:
	s_lshl_b32 s4, s6, 5
	s_ashr_i32 s5, s4, 31
	v_mov_b32_e32 v0, s5
	v_add_co_u32_e32 v1, vcc, s4, v24
	v_addc_co_u32_e32 v0, vcc, 0, v0, vcc
	v_mul_lo_u32 v0, v0, s22
	v_mul_lo_u32 v2, v1, s23
	v_mad_u64_u32 v[6:7], s[4:5], v1, s22, 0
	s_or_b64 s[0:1], s[0:1], exec
	v_add3_u32 v7, v7, v2, v0
.LBB171_514:
	s_or_b64 exec, exec, s[2:3]
	s_and_saveexec_b64 s[2:3], s[0:1]
	s_cbranch_execz .LBB171_516
.LBB171_515:
	v_lshlrev_b64 v[0:1], 4, v[6:7]
	v_mov_b32_e32 v2, s37
	v_add_co_u32_e32 v0, vcc, s36, v0
	v_addc_co_u32_e32 v1, vcc, v2, v1, vcc
	flat_store_dwordx4 v[0:1], v[10:13]
.LBB171_516:
	s_or_b64 exec, exec, s[2:3]
	v_cmp_eq_u32_e32 vcc, 0, v24
	s_waitcnt vmcnt(0) lgkmcnt(0)
	buffer_wbinvl1_vol
	s_barrier
	s_and_saveexec_b64 s[0:1], vcc
	s_cbranch_execz .LBB171_518
; %bb.517:
	s_lshl_b64 s[2:3], s[28:29], 2
	s_add_u32 s2, s14, s2
	s_addc_u32 s3, s15, s3
	v_mov_b32_e32 v0, 0
	global_load_dword v1, v0, s[2:3]
	s_waitcnt vmcnt(0)
	v_add_u32_e32 v1, 1, v1
	global_store_dword v0, v1, s[2:3]
.LBB171_518:
	s_or_b64 exec, exec, s[0:1]
	s_waitcnt vmcnt(0)
	buffer_wbinvl1_vol
	s_endpgm
.LBB171_519:
	ds_read_b128 v[25:28], v24 offset:14800
	ds_read_b128 v[29:32], v21 offset:15232
	s_waitcnt lgkmcnt(0)
	v_mul_f64 v[33:34], v[27:28], v[31:32]
	v_mul_f64 v[31:32], v[25:26], v[31:32]
	v_fma_f64 v[25:26], v[25:26], v[29:30], -v[33:34]
	v_fma_f64 v[27:28], v[27:28], v[29:30], v[31:32]
	v_add_f64 v[10:11], v[10:11], v[25:26]
	v_add_f64 v[12:13], v[12:13], v[27:28]
	s_or_b64 exec, exec, s[18:19]
	v_cmp_gt_u32_e64 s[12:13], 8, v17
	s_and_saveexec_b64 s[18:19], s[12:13]
	s_cbranch_execz .LBB171_57
.LBB171_520:
	ds_read_b128 v[24:27], v24 offset:14816
	ds_read_b128 v[28:31], v21 offset:15744
	s_waitcnt lgkmcnt(0)
	v_mul_f64 v[32:33], v[26:27], v[30:31]
	v_mul_f64 v[30:31], v[24:25], v[30:31]
	v_fma_f64 v[24:25], v[24:25], v[28:29], -v[32:33]
	v_fma_f64 v[26:27], v[26:27], v[28:29], v[30:31]
	v_add_f64 v[10:11], v[10:11], v[24:25]
	v_add_f64 v[12:13], v[12:13], v[26:27]
	s_or_b64 exec, exec, s[18:19]
	v_cmp_gt_u32_e64 s[12:13], 4, v17
	s_and_saveexec_b64 s[18:19], s[12:13]
	s_cbranch_execnz .LBB171_58
	s_branch .LBB171_59
.LBB171_521:
	ds_read_b128 v[28:31], v27 offset:12688
	ds_read_b128 v[32:35], v26 offset:13056
	s_waitcnt lgkmcnt(0)
	v_mul_f64 v[36:37], v[30:31], v[34:35]
	v_mul_f64 v[34:35], v[28:29], v[34:35]
	v_fma_f64 v[28:29], v[28:29], v[32:33], -v[36:37]
	v_fma_f64 v[30:31], v[30:31], v[32:33], v[34:35]
	v_add_f64 v[10:11], v[10:11], v[28:29]
	v_add_f64 v[12:13], v[12:13], v[30:31]
	s_or_b64 exec, exec, s[58:59]
	v_cmp_gt_u32_e64 s[14:15], 48, v17
	s_and_saveexec_b64 s[58:59], s[14:15]
	s_cbranch_execz .LBB171_99
.LBB171_522:
	ds_read_b128 v[28:31], v27 offset:12704
	ds_read_b128 v[32:35], v26 offset:13568
	s_waitcnt lgkmcnt(0)
	v_mul_f64 v[36:37], v[30:31], v[34:35]
	v_mul_f64 v[34:35], v[28:29], v[34:35]
	v_fma_f64 v[28:29], v[28:29], v[32:33], -v[36:37]
	v_fma_f64 v[30:31], v[30:31], v[32:33], v[34:35]
	v_add_f64 v[10:11], v[10:11], v[28:29]
	v_add_f64 v[12:13], v[12:13], v[30:31]
	s_or_b64 exec, exec, s[58:59]
	v_cmp_gt_u32_e64 s[14:15], 40, v17
	s_and_saveexec_b64 s[58:59], s[14:15]
	s_cbranch_execz .LBB171_100
.LBB171_523:
	ds_read_b128 v[28:31], v27 offset:12720
	ds_read_b128 v[32:35], v26 offset:14080
	s_waitcnt lgkmcnt(0)
	v_mul_f64 v[36:37], v[30:31], v[34:35]
	v_mul_f64 v[34:35], v[28:29], v[34:35]
	v_fma_f64 v[28:29], v[28:29], v[32:33], -v[36:37]
	v_fma_f64 v[30:31], v[30:31], v[32:33], v[34:35]
	v_add_f64 v[10:11], v[10:11], v[28:29]
	v_add_f64 v[12:13], v[12:13], v[30:31]
	s_or_b64 exec, exec, s[58:59]
	v_cmp_gt_u32_e64 s[14:15], 32, v17
	s_and_saveexec_b64 s[58:59], s[14:15]
	s_cbranch_execz .LBB171_101
.LBB171_524:
	ds_read_b128 v[28:31], v27 offset:12736
	ds_read_b128 v[32:35], v26 offset:14592
	s_waitcnt lgkmcnt(0)
	v_mul_f64 v[36:37], v[30:31], v[34:35]
	v_mul_f64 v[34:35], v[28:29], v[34:35]
	v_fma_f64 v[28:29], v[28:29], v[32:33], -v[36:37]
	v_fma_f64 v[30:31], v[30:31], v[32:33], v[34:35]
	v_add_f64 v[10:11], v[10:11], v[28:29]
	v_add_f64 v[12:13], v[12:13], v[30:31]
	s_or_b64 exec, exec, s[58:59]
	v_cmp_gt_u32_e64 s[14:15], 24, v17
	s_and_saveexec_b64 s[58:59], s[14:15]
	s_cbranch_execz .LBB171_102
.LBB171_525:
	ds_read_b128 v[28:31], v27 offset:12752
	ds_read_b128 v[32:35], v26 offset:15104
	s_waitcnt lgkmcnt(0)
	v_mul_f64 v[36:37], v[30:31], v[34:35]
	v_mul_f64 v[34:35], v[28:29], v[34:35]
	v_fma_f64 v[28:29], v[28:29], v[32:33], -v[36:37]
	v_fma_f64 v[30:31], v[30:31], v[32:33], v[34:35]
	v_add_f64 v[10:11], v[10:11], v[28:29]
	v_add_f64 v[12:13], v[12:13], v[30:31]
	s_or_b64 exec, exec, s[58:59]
	s_and_saveexec_b64 s[14:15], s[16:17]
	s_cbranch_execz .LBB171_103
.LBB171_526:
	ds_read_b128 v[27:30], v27 offset:12768
	ds_read_b128 v[31:34], v26 offset:15616
	s_waitcnt lgkmcnt(0)
	v_mul_f64 v[35:36], v[29:30], v[33:34]
	v_mul_f64 v[33:34], v[27:28], v[33:34]
	v_fma_f64 v[26:27], v[27:28], v[31:32], -v[35:36]
	v_fma_f64 v[28:29], v[29:30], v[31:32], v[33:34]
	v_add_f64 v[10:11], v[10:11], v[26:27]
	v_add_f64 v[12:13], v[12:13], v[28:29]
	s_or_b64 exec, exec, s[14:15]
	v_cmp_gt_u32_e64 s[14:15], 8, v17
	s_and_saveexec_b64 s[58:59], s[14:15]
	s_cbranch_execnz .LBB171_104
	s_branch .LBB171_105
.LBB171_527:
	ds_read_b128 v[28:31], v27 offset:10576
	ds_read_b128 v[32:35], v26 offset:11008
	s_waitcnt lgkmcnt(0)
	v_mul_f64 v[36:37], v[30:31], v[34:35]
	v_mul_f64 v[34:35], v[28:29], v[34:35]
	v_fma_f64 v[28:29], v[28:29], v[32:33], -v[36:37]
	v_fma_f64 v[30:31], v[30:31], v[32:33], v[34:35]
	v_add_f64 v[10:11], v[10:11], v[28:29]
	v_add_f64 v[12:13], v[12:13], v[30:31]
	s_or_b64 exec, exec, s[18:19]
	v_cmp_gt_u32_e64 s[12:13], 8, v17
	s_and_saveexec_b64 s[18:19], s[12:13]
	s_cbranch_execz .LBB171_161
.LBB171_528:
	ds_read_b128 v[27:30], v27 offset:10592
	ds_read_b128 v[31:34], v26 offset:11520
	s_waitcnt lgkmcnt(0)
	v_mul_f64 v[35:36], v[29:30], v[33:34]
	v_mul_f64 v[33:34], v[27:28], v[33:34]
	v_fma_f64 v[26:27], v[27:28], v[31:32], -v[35:36]
	v_fma_f64 v[28:29], v[29:30], v[31:32], v[33:34]
	v_add_f64 v[10:11], v[10:11], v[26:27]
	v_add_f64 v[12:13], v[12:13], v[28:29]
	s_or_b64 exec, exec, s[18:19]
	v_cmp_gt_u32_e64 s[12:13], 4, v17
	s_and_saveexec_b64 s[18:19], s[12:13]
	s_cbranch_execnz .LBB171_162
	s_branch .LBB171_163
.LBB171_529:
	ds_read_b128 v[31:34], v30 offset:8624
	ds_read_b128 v[35:38], v29 offset:13824
	s_waitcnt lgkmcnt(0)
	v_mul_f64 v[39:40], v[33:34], v[37:38]
	v_mul_f64 v[37:38], v[31:32], v[37:38]
	v_fma_f64 v[31:32], v[31:32], v[35:36], -v[39:40]
	v_fma_f64 v[33:34], v[33:34], v[35:36], v[37:38]
	v_add_f64 v[10:11], v[10:11], v[31:32]
	v_add_f64 v[12:13], v[12:13], v[33:34]
	s_or_b64 exec, exec, s[90:91]
	s_and_saveexec_b64 s[18:19], s[8:9]
	s_cbranch_execz .LBB171_223
.LBB171_530:
	ds_read_b128 v[31:34], v30 offset:8640
	ds_read_b128 v[35:38], v29 offset:14336
	s_waitcnt lgkmcnt(0)
	v_mul_f64 v[39:40], v[33:34], v[37:38]
	v_mul_f64 v[37:38], v[31:32], v[37:38]
	v_fma_f64 v[31:32], v[31:32], v[35:36], -v[39:40]
	v_fma_f64 v[33:34], v[33:34], v[35:36], v[37:38]
	v_add_f64 v[10:11], v[10:11], v[31:32]
	v_add_f64 v[12:13], v[12:13], v[33:34]
	s_or_b64 exec, exec, s[18:19]
	v_cmp_gt_u32_e64 s[18:19], 48, v17
	s_and_saveexec_b64 s[90:91], s[18:19]
	s_cbranch_execz .LBB171_224
.LBB171_531:
	ds_read_b128 v[31:34], v30 offset:8656
	ds_read_b128 v[35:38], v29 offset:14848
	s_waitcnt lgkmcnt(0)
	v_mul_f64 v[39:40], v[33:34], v[37:38]
	v_mul_f64 v[37:38], v[31:32], v[37:38]
	v_fma_f64 v[31:32], v[31:32], v[35:36], -v[39:40]
	v_fma_f64 v[33:34], v[33:34], v[35:36], v[37:38]
	v_add_f64 v[10:11], v[10:11], v[31:32]
	v_add_f64 v[12:13], v[12:13], v[33:34]
	s_or_b64 exec, exec, s[90:91]
	v_cmp_gt_u32_e64 s[18:19], 32, v17
	s_and_saveexec_b64 s[90:91], s[18:19]
	s_cbranch_execz .LBB171_225
.LBB171_532:
	ds_read_b128 v[30:33], v30 offset:8672
	ds_read_b128 v[34:37], v29 offset:15360
	s_waitcnt lgkmcnt(0)
	v_mul_f64 v[38:39], v[32:33], v[36:37]
	v_mul_f64 v[36:37], v[30:31], v[36:37]
	v_fma_f64 v[29:30], v[30:31], v[34:35], -v[38:39]
	v_fma_f64 v[31:32], v[32:33], v[34:35], v[36:37]
	v_add_f64 v[10:11], v[10:11], v[29:30]
	v_add_f64 v[12:13], v[12:13], v[31:32]
	s_or_b64 exec, exec, s[90:91]
	v_cmp_gt_u32_e64 s[18:19], 16, v17
	s_and_saveexec_b64 s[90:91], s[18:19]
	s_cbranch_execnz .LBB171_226
	s_branch .LBB171_227
.LBB171_533:
	ds_read_b128 v[28:31], v27 offset:6352
	ds_read_b128 v[32:35], v26 offset:6784
	s_waitcnt lgkmcnt(0)
	v_mul_f64 v[36:37], v[30:31], v[34:35]
	v_mul_f64 v[34:35], v[28:29], v[34:35]
	v_fma_f64 v[28:29], v[28:29], v[32:33], -v[36:37]
	v_fma_f64 v[30:31], v[30:31], v[32:33], v[34:35]
	v_add_f64 v[10:11], v[10:11], v[28:29]
	v_add_f64 v[12:13], v[12:13], v[30:31]
	s_or_b64 exec, exec, s[14:15]
	v_cmp_gt_u32_e64 s[10:11], 8, v17
	s_and_saveexec_b64 s[14:15], s[10:11]
	s_cbranch_execz .LBB171_315
.LBB171_534:
	ds_read_b128 v[27:30], v27 offset:6368
	ds_read_b128 v[31:34], v26 offset:7296
	s_waitcnt lgkmcnt(0)
	v_mul_f64 v[35:36], v[29:30], v[33:34]
	v_mul_f64 v[33:34], v[27:28], v[33:34]
	v_fma_f64 v[26:27], v[27:28], v[31:32], -v[35:36]
	v_fma_f64 v[28:29], v[29:30], v[31:32], v[33:34]
	v_add_f64 v[10:11], v[10:11], v[26:27]
	v_add_f64 v[12:13], v[12:13], v[28:29]
	s_or_b64 exec, exec, s[14:15]
	v_cmp_gt_u32_e64 s[10:11], 4, v17
	s_and_saveexec_b64 s[14:15], s[10:11]
	s_cbranch_execnz .LBB171_316
	s_branch .LBB171_317
.LBB171_535:
	ds_read_b128 v[28:31], v27 offset:4240
	ds_read_b128 v[32:35], v26 offset:4608
	s_waitcnt lgkmcnt(0)
	v_mul_f64 v[36:37], v[30:31], v[34:35]
	v_mul_f64 v[34:35], v[28:29], v[34:35]
	v_fma_f64 v[28:29], v[28:29], v[32:33], -v[36:37]
	v_fma_f64 v[30:31], v[30:31], v[32:33], v[34:35]
	v_add_f64 v[10:11], v[10:11], v[28:29]
	v_add_f64 v[12:13], v[12:13], v[30:31]
	s_or_b64 exec, exec, s[14:15]
	v_cmp_gt_u32_e64 s[10:11], 48, v17
	s_and_saveexec_b64 s[14:15], s[10:11]
	s_cbranch_execz .LBB171_357
.LBB171_536:
	ds_read_b128 v[28:31], v27 offset:4256
	ds_read_b128 v[32:35], v26 offset:5120
	s_waitcnt lgkmcnt(0)
	v_mul_f64 v[36:37], v[30:31], v[34:35]
	v_mul_f64 v[34:35], v[28:29], v[34:35]
	v_fma_f64 v[28:29], v[28:29], v[32:33], -v[36:37]
	v_fma_f64 v[30:31], v[30:31], v[32:33], v[34:35]
	v_add_f64 v[10:11], v[10:11], v[28:29]
	v_add_f64 v[12:13], v[12:13], v[30:31]
	s_or_b64 exec, exec, s[14:15]
	v_cmp_gt_u32_e64 s[10:11], 40, v17
	s_and_saveexec_b64 s[14:15], s[10:11]
	s_cbranch_execz .LBB171_358
.LBB171_537:
	ds_read_b128 v[28:31], v27 offset:4272
	ds_read_b128 v[32:35], v26 offset:5632
	s_waitcnt lgkmcnt(0)
	v_mul_f64 v[36:37], v[30:31], v[34:35]
	v_mul_f64 v[34:35], v[28:29], v[34:35]
	v_fma_f64 v[28:29], v[28:29], v[32:33], -v[36:37]
	v_fma_f64 v[30:31], v[30:31], v[32:33], v[34:35]
	v_add_f64 v[10:11], v[10:11], v[28:29]
	v_add_f64 v[12:13], v[12:13], v[30:31]
	s_or_b64 exec, exec, s[14:15]
	v_cmp_gt_u32_e64 s[10:11], 32, v17
	s_and_saveexec_b64 s[14:15], s[10:11]
	s_cbranch_execz .LBB171_359
.LBB171_538:
	ds_read_b128 v[28:31], v27 offset:4288
	ds_read_b128 v[32:35], v26 offset:6144
	s_waitcnt lgkmcnt(0)
	v_mul_f64 v[36:37], v[30:31], v[34:35]
	v_mul_f64 v[34:35], v[28:29], v[34:35]
	v_fma_f64 v[28:29], v[28:29], v[32:33], -v[36:37]
	v_fma_f64 v[30:31], v[30:31], v[32:33], v[34:35]
	v_add_f64 v[10:11], v[10:11], v[28:29]
	v_add_f64 v[12:13], v[12:13], v[30:31]
	s_or_b64 exec, exec, s[14:15]
	v_cmp_gt_u32_e64 s[10:11], 24, v17
	s_and_saveexec_b64 s[14:15], s[10:11]
	s_cbranch_execz .LBB171_360
.LBB171_539:
	ds_read_b128 v[28:31], v27 offset:4304
	ds_read_b128 v[32:35], v26 offset:6656
	s_waitcnt lgkmcnt(0)
	v_mul_f64 v[36:37], v[30:31], v[34:35]
	v_mul_f64 v[34:35], v[28:29], v[34:35]
	v_fma_f64 v[28:29], v[28:29], v[32:33], -v[36:37]
	v_fma_f64 v[30:31], v[30:31], v[32:33], v[34:35]
	v_add_f64 v[10:11], v[10:11], v[28:29]
	v_add_f64 v[12:13], v[12:13], v[30:31]
	s_or_b64 exec, exec, s[14:15]
	s_and_saveexec_b64 s[10:11], s[16:17]
	s_cbranch_execz .LBB171_361
.LBB171_540:
	ds_read_b128 v[27:30], v27 offset:4320
	ds_read_b128 v[31:34], v26 offset:7168
	s_waitcnt lgkmcnt(0)
	v_mul_f64 v[35:36], v[29:30], v[33:34]
	v_mul_f64 v[33:34], v[27:28], v[33:34]
	v_fma_f64 v[26:27], v[27:28], v[31:32], -v[35:36]
	v_fma_f64 v[28:29], v[29:30], v[31:32], v[33:34]
	v_add_f64 v[10:11], v[10:11], v[26:27]
	v_add_f64 v[12:13], v[12:13], v[28:29]
	s_or_b64 exec, exec, s[10:11]
	v_cmp_gt_u32_e64 s[10:11], 8, v17
	s_and_saveexec_b64 s[14:15], s[10:11]
	s_cbranch_execnz .LBB171_362
	s_branch .LBB171_363
.LBB171_541:
	ds_read_b128 v[25:28], v24 offset:2128
	ds_read_b128 v[29:32], v21 offset:2560
	s_waitcnt lgkmcnt(0)
	v_mul_f64 v[33:34], v[27:28], v[31:32]
	v_mul_f64 v[31:32], v[25:26], v[31:32]
	v_fma_f64 v[25:26], v[25:26], v[29:30], -v[33:34]
	v_fma_f64 v[27:28], v[27:28], v[29:30], v[31:32]
	v_add_f64 v[10:11], v[10:11], v[25:26]
	v_add_f64 v[12:13], v[12:13], v[27:28]
	s_or_b64 exec, exec, s[12:13]
	v_cmp_gt_u32_e64 s[8:9], 8, v17
	s_and_saveexec_b64 s[12:13], s[8:9]
	s_cbranch_execz .LBB171_419
.LBB171_542:
	ds_read_b128 v[24:27], v24 offset:2144
	ds_read_b128 v[28:31], v21 offset:3072
	s_waitcnt lgkmcnt(0)
	v_mul_f64 v[32:33], v[26:27], v[30:31]
	v_mul_f64 v[30:31], v[24:25], v[30:31]
	v_fma_f64 v[24:25], v[24:25], v[28:29], -v[32:33]
	v_fma_f64 v[26:27], v[26:27], v[28:29], v[30:31]
	v_add_f64 v[10:11], v[10:11], v[24:25]
	v_add_f64 v[12:13], v[12:13], v[26:27]
	s_or_b64 exec, exec, s[12:13]
	v_cmp_gt_u32_e64 s[8:9], 4, v17
	s_and_saveexec_b64 s[12:13], s[8:9]
	s_cbranch_execnz .LBB171_420
	s_branch .LBB171_421
	.section	.rodata,"a",@progbits
	.p2align	6, 0x0
	.amdhsa_kernel _ZL19rocblas_trsv_deviceILi32ELi16ELb0ELb1ELb1ELb1E19rocblas_complex_numIdEPKS1_PKS3_PKPS1_EviT7_lllT6_T8_lllPii
		.amdhsa_group_segment_fixed_size 25104
		.amdhsa_private_segment_fixed_size 0
		.amdhsa_kernarg_size 352
		.amdhsa_user_sgpr_count 6
		.amdhsa_user_sgpr_private_segment_buffer 1
		.amdhsa_user_sgpr_dispatch_ptr 0
		.amdhsa_user_sgpr_queue_ptr 0
		.amdhsa_user_sgpr_kernarg_segment_ptr 1
		.amdhsa_user_sgpr_dispatch_id 0
		.amdhsa_user_sgpr_flat_scratch_init 0
		.amdhsa_user_sgpr_private_segment_size 0
		.amdhsa_uses_dynamic_stack 0
		.amdhsa_system_sgpr_private_segment_wavefront_offset 0
		.amdhsa_system_sgpr_workgroup_id_x 1
		.amdhsa_system_sgpr_workgroup_id_y 0
		.amdhsa_system_sgpr_workgroup_id_z 1
		.amdhsa_system_sgpr_workgroup_info 0
		.amdhsa_system_vgpr_workitem_id 1
		.amdhsa_next_free_vgpr 49
		.amdhsa_next_free_sgpr 98
		.amdhsa_reserve_vcc 1
		.amdhsa_reserve_flat_scratch 0
		.amdhsa_float_round_mode_32 0
		.amdhsa_float_round_mode_16_64 0
		.amdhsa_float_denorm_mode_32 3
		.amdhsa_float_denorm_mode_16_64 3
		.amdhsa_dx10_clamp 1
		.amdhsa_ieee_mode 1
		.amdhsa_fp16_overflow 0
		.amdhsa_exception_fp_ieee_invalid_op 0
		.amdhsa_exception_fp_denorm_src 0
		.amdhsa_exception_fp_ieee_div_zero 0
		.amdhsa_exception_fp_ieee_overflow 0
		.amdhsa_exception_fp_ieee_underflow 0
		.amdhsa_exception_fp_ieee_inexact 0
		.amdhsa_exception_int_div_zero 0
	.end_amdhsa_kernel
	.section	.text._ZL19rocblas_trsv_deviceILi32ELi16ELb0ELb1ELb1ELb1E19rocblas_complex_numIdEPKS1_PKS3_PKPS1_EviT7_lllT6_T8_lllPii,"axG",@progbits,_ZL19rocblas_trsv_deviceILi32ELi16ELb0ELb1ELb1ELb1E19rocblas_complex_numIdEPKS1_PKS3_PKPS1_EviT7_lllT6_T8_lllPii,comdat
.Lfunc_end171:
	.size	_ZL19rocblas_trsv_deviceILi32ELi16ELb0ELb1ELb1ELb1E19rocblas_complex_numIdEPKS1_PKS3_PKPS1_EviT7_lllT6_T8_lllPii, .Lfunc_end171-_ZL19rocblas_trsv_deviceILi32ELi16ELb0ELb1ELb1ELb1E19rocblas_complex_numIdEPKS1_PKS3_PKPS1_EviT7_lllT6_T8_lllPii
                                        ; -- End function
	.set _ZL19rocblas_trsv_deviceILi32ELi16ELb0ELb1ELb1ELb1E19rocblas_complex_numIdEPKS1_PKS3_PKPS1_EviT7_lllT6_T8_lllPii.num_vgpr, 41
	.set _ZL19rocblas_trsv_deviceILi32ELi16ELb0ELb1ELb1ELb1E19rocblas_complex_numIdEPKS1_PKS3_PKPS1_EviT7_lllT6_T8_lllPii.num_agpr, 0
	.set _ZL19rocblas_trsv_deviceILi32ELi16ELb0ELb1ELb1ELb1E19rocblas_complex_numIdEPKS1_PKS3_PKPS1_EviT7_lllT6_T8_lllPii.numbered_sgpr, 95
	.set _ZL19rocblas_trsv_deviceILi32ELi16ELb0ELb1ELb1ELb1E19rocblas_complex_numIdEPKS1_PKS3_PKPS1_EviT7_lllT6_T8_lllPii.num_named_barrier, 0
	.set _ZL19rocblas_trsv_deviceILi32ELi16ELb0ELb1ELb1ELb1E19rocblas_complex_numIdEPKS1_PKS3_PKPS1_EviT7_lllT6_T8_lllPii.private_seg_size, 0
	.set _ZL19rocblas_trsv_deviceILi32ELi16ELb0ELb1ELb1ELb1E19rocblas_complex_numIdEPKS1_PKS3_PKPS1_EviT7_lllT6_T8_lllPii.uses_vcc, 1
	.set _ZL19rocblas_trsv_deviceILi32ELi16ELb0ELb1ELb1ELb1E19rocblas_complex_numIdEPKS1_PKS3_PKPS1_EviT7_lllT6_T8_lllPii.uses_flat_scratch, 0
	.set _ZL19rocblas_trsv_deviceILi32ELi16ELb0ELb1ELb1ELb1E19rocblas_complex_numIdEPKS1_PKS3_PKPS1_EviT7_lllT6_T8_lllPii.has_dyn_sized_stack, 0
	.set _ZL19rocblas_trsv_deviceILi32ELi16ELb0ELb1ELb1ELb1E19rocblas_complex_numIdEPKS1_PKS3_PKPS1_EviT7_lllT6_T8_lllPii.has_recursion, 0
	.set _ZL19rocblas_trsv_deviceILi32ELi16ELb0ELb1ELb1ELb1E19rocblas_complex_numIdEPKS1_PKS3_PKPS1_EviT7_lllT6_T8_lllPii.has_indirect_call, 0
	.section	.AMDGPU.csdata,"",@progbits
; Kernel info:
; codeLenInByte = 22944
; TotalNumSgprs: 99
; NumVgprs: 41
; ScratchSize: 0
; MemoryBound: 1
; FloatMode: 240
; IeeeMode: 1
; LDSByteSize: 25104 bytes/workgroup (compile time only)
; SGPRBlocks: 12
; VGPRBlocks: 12
; NumSGPRsForWavesPerEU: 102
; NumVGPRsForWavesPerEU: 49
; Occupancy: 4
; WaveLimiterHint : 1
; COMPUTE_PGM_RSRC2:SCRATCH_EN: 0
; COMPUTE_PGM_RSRC2:USER_SGPR: 6
; COMPUTE_PGM_RSRC2:TRAP_HANDLER: 0
; COMPUTE_PGM_RSRC2:TGID_X_EN: 1
; COMPUTE_PGM_RSRC2:TGID_Y_EN: 0
; COMPUTE_PGM_RSRC2:TGID_Z_EN: 1
; COMPUTE_PGM_RSRC2:TIDIG_COMP_CNT: 1
	.section	.text._ZL19rocblas_trsv_deviceILi32ELi16ELb0ELb0ELb0ELb0E19rocblas_complex_numIdEPKS1_PKS3_PKPS1_EviT7_lllT6_T8_lllPii,"axG",@progbits,_ZL19rocblas_trsv_deviceILi32ELi16ELb0ELb0ELb0ELb0E19rocblas_complex_numIdEPKS1_PKS3_PKPS1_EviT7_lllT6_T8_lllPii,comdat
	.globl	_ZL19rocblas_trsv_deviceILi32ELi16ELb0ELb0ELb0ELb0E19rocblas_complex_numIdEPKS1_PKS3_PKPS1_EviT7_lllT6_T8_lllPii ; -- Begin function _ZL19rocblas_trsv_deviceILi32ELi16ELb0ELb0ELb0ELb0E19rocblas_complex_numIdEPKS1_PKS3_PKPS1_EviT7_lllT6_T8_lllPii
	.p2align	8
	.type	_ZL19rocblas_trsv_deviceILi32ELi16ELb0ELb0ELb0ELb0E19rocblas_complex_numIdEPKS1_PKS3_PKPS1_EviT7_lllT6_T8_lllPii,@function
_ZL19rocblas_trsv_deviceILi32ELi16ELb0ELb0ELb0ELb0E19rocblas_complex_numIdEPKS1_PKS3_PKPS1_EviT7_lllT6_T8_lllPii: ; @_ZL19rocblas_trsv_deviceILi32ELi16ELb0ELb0ELb0ELb0E19rocblas_complex_numIdEPKS1_PKS3_PKPS1_EviT7_lllT6_T8_lllPii
; %bb.0:
	s_load_dwordx4 s[0:3], s[4:5], 0x8
	s_mov_b32 s24, s7
	s_mov_b32 s25, 0
	s_lshl_b64 s[8:9], s[24:25], 3
	v_mov_b32_e32 v2, v1
	s_waitcnt lgkmcnt(0)
	s_add_u32 s0, s0, s8
	s_addc_u32 s1, s1, s9
	s_load_dwordx2 s[10:11], s[0:1], 0x0
	s_load_dword s26, s[4:5], 0x0
	s_load_dwordx8 s[12:19], s[4:5], 0x28
	s_load_dwordx2 s[28:29], s[4:5], 0x18
	s_lshl_b64 s[0:1], s[2:3], 4
	s_waitcnt lgkmcnt(0)
	s_add_u32 s88, s10, s0
	s_addc_u32 s89, s11, s1
	s_add_u32 s0, s14, s8
	s_load_dword s7, s[4:5], 0x60
	s_addc_u32 s1, s15, s9
	s_load_dwordx2 s[34:35], s[0:1], 0x0
	s_load_dwordx4 s[20:23], s[12:13], 0x0
	s_load_dword s91, s[4:5], 0x6c
	s_waitcnt lgkmcnt(0)
	s_add_i32 s7, s7, -1
	s_sub_i32 s90, s7, s6
	s_cmp_lg_u32 s6, 0
	s_cbranch_scc0 .LBB172_515
; %bb.1:
	s_lshl_b32 s33, s90, 5
	v_add3_u32 v1, v2, s33, 32
	v_ashrrev_i32_e32 v3, 31, v1
	v_mul_lo_u32 v7, s28, v3
	v_mul_lo_u32 v8, s29, v1
	v_mad_u64_u32 v[3:4], s[0:1], s28, v1, 0
	v_add_u32_e32 v5, s33, v0
	v_ashrrev_i32_e32 v6, 31, v5
	v_add3_u32 v4, v4, v7, v8
	v_lshlrev_b64 v[3:4], 4, v[3:4]
	v_mov_b32_e32 v7, s89
	v_add_co_u32_e64 v8, s[0:1], s88, v3
	v_addc_co_u32_e64 v7, s[0:1], v7, v4, s[0:1]
	v_lshlrev_b64 v[3:4], 4, v[5:6]
	v_cmp_gt_i32_e32 vcc, s26, v5
	v_add_co_u32_e64 v11, s[0:1], v8, v3
	v_addc_co_u32_e64 v12, s[0:1], v7, v4, s[0:1]
	v_cmp_gt_i32_e64 s[0:1], s26, v1
	v_mov_b32_e32 v9, 0
	v_mov_b32_e32 v3, 0
	;; [unrolled: 1-line block ×6, first 2 shown]
	s_and_b64 s[2:3], vcc, s[0:1]
	s_barrier
	s_and_saveexec_b64 s[0:1], s[2:3]
	s_cbranch_execz .LBB172_3
; %bb.2:
	flat_load_dwordx4 v[3:6], v[11:12]
.LBB172_3:
	s_or_b64 exec, exec, s[0:1]
	v_add_u32_e32 v1, 16, v1
	v_cmp_gt_i32_e64 s[0:1], s26, v1
	v_mov_b32_e32 v7, 0
	v_mov_b32_e32 v8, 0
	s_and_b64 s[2:3], vcc, s[0:1]
	s_waitcnt vmcnt(0) lgkmcnt(0)
	s_barrier
	s_and_saveexec_b64 s[0:1], s[2:3]
	s_cbranch_execz .LBB172_5
; %bb.4:
	s_lshl_b64 s[2:3], s[28:29], 8
	v_mov_b32_e32 v1, s3
	v_add_co_u32_e32 v7, vcc, s2, v11
	v_addc_co_u32_e32 v8, vcc, v12, v1, vcc
	flat_load_dwordx4 v[7:10], v[7:8]
.LBB172_5:
	s_or_b64 exec, exec, s[0:1]
	s_branch .LBB172_7
.LBB172_6:
	s_lshl_b32 s33, s90, 5
                                        ; implicit-def: $vgpr3_vgpr4
                                        ; implicit-def: $vgpr7_vgpr8
.LBB172_7:
	s_ashr_i32 s27, s26, 31
	s_lshr_b32 s0, s27, 27
	s_add_i32 s0, s26, s0
	s_andn2_b32 s0, s0, 31
	s_sub_i32 s87, s26, s0
	s_add_i32 s0, s26, -1
	s_ashr_i32 s1, s0, 31
	s_lshr_b32 s1, s1, 27
	s_add_i32 s0, s0, s1
	s_ashr_i32 s0, s0, 5
	s_cmp_eq_u32 s0, s90
	s_cselect_b64 s[0:1], -1, 0
	s_cmp_lg_u32 s87, 0
	s_cselect_b64 s[2:3], -1, 0
	s_and_b64 s[30:31], s[2:3], s[0:1]
	s_ashr_i32 s86, s33, 31
	s_add_u32 s8, s28, 1
	v_mov_b32_e32 v1, 0
	v_mov_b32_e32 v11, s33
	v_mad_u64_u32 v[19:20], s[0:1], s8, v11, v[0:1]
	s_addc_u32 s9, s29, 0
	s_mul_i32 s0, s8, s86
	s_mul_i32 s9, s9, s33
	s_add_i32 s0, s0, s9
	s_mov_b64 s[2:3], -1
	v_add_u32_e32 v20, s0, v20
	s_and_b64 vcc, exec, s[30:31]
	v_cmp_le_u32_e64 s[0:1], v2, v0
	v_lshl_add_u32 v1, v2, 5, v0
	s_cbranch_vccnz .LBB172_37
; %bb.8:
	v_mad_u64_u32 v[11:12], s[2:3], s28, v2, v[19:20]
	v_mad_u64_u32 v[12:13], s[2:3], s29, v2, v[12:13]
	s_and_saveexec_b64 s[2:3], s[0:1]
	s_xor_b64 s[0:1], exec, s[2:3]
	s_cbranch_execz .LBB172_20
; %bb.9:
	v_cmp_ne_u32_e32 vcc, v0, v2
	s_and_saveexec_b64 s[2:3], vcc
	s_xor_b64 s[2:3], exec, s[2:3]
	s_cbranch_execz .LBB172_13
; %bb.10:
	v_or_b32_e32 v11, v2, v0
	v_cmp_gt_u32_e32 vcc, 32, v11
	s_and_saveexec_b64 s[8:9], vcc
	s_cbranch_execz .LBB172_12
; %bb.11:
	v_mov_b32_e32 v11, 0
	v_lshlrev_b32_e32 v15, 4, v1
	v_mov_b32_e32 v12, v11
	v_mov_b32_e32 v13, v11
	;; [unrolled: 1-line block ×3, first 2 shown]
	ds_write_b128 v15, v[11:14]
.LBB172_12:
	s_or_b64 exec, exec, s[8:9]
                                        ; implicit-def: $vgpr11_vgpr12
.LBB172_13:
	s_andn2_saveexec_b64 s[2:3], s[2:3]
	s_cbranch_execz .LBB172_19
; %bb.14:
	v_lshlrev_b64 v[11:12], 4, v[11:12]
	v_mov_b32_e32 v13, s89
	v_add_co_u32_e32 v11, vcc, s88, v11
	v_addc_co_u32_e32 v12, vcc, v13, v12, vcc
	flat_load_dwordx4 v[11:14], v[11:12]
                                        ; implicit-def: $vgpr15_vgpr16
	s_waitcnt vmcnt(0) lgkmcnt(0)
	v_cmp_ngt_f64_e64 s[8:9], |v[11:12]|, |v[13:14]|
	s_and_saveexec_b64 s[10:11], s[8:9]
	s_xor_b64 s[8:9], exec, s[10:11]
	s_cbranch_execz .LBB172_16
; %bb.15:
	v_div_scale_f64 v[15:16], s[10:11], v[13:14], v[13:14], v[11:12]
	v_rcp_f64_e32 v[17:18], v[15:16]
	v_fma_f64 v[21:22], -v[15:16], v[17:18], 1.0
	v_fma_f64 v[17:18], v[17:18], v[21:22], v[17:18]
	v_div_scale_f64 v[21:22], vcc, v[11:12], v[13:14], v[11:12]
	v_fma_f64 v[23:24], -v[15:16], v[17:18], 1.0
	v_fma_f64 v[17:18], v[17:18], v[23:24], v[17:18]
	v_mul_f64 v[23:24], v[21:22], v[17:18]
	v_fma_f64 v[15:16], -v[15:16], v[23:24], v[21:22]
	v_div_fmas_f64 v[15:16], v[15:16], v[17:18], v[23:24]
	v_div_fixup_f64 v[15:16], v[15:16], v[13:14], v[11:12]
	v_fma_f64 v[11:12], v[11:12], v[15:16], v[13:14]
	v_div_scale_f64 v[13:14], s[10:11], v[11:12], v[11:12], 1.0
	v_div_scale_f64 v[23:24], vcc, 1.0, v[11:12], 1.0
	v_rcp_f64_e32 v[17:18], v[13:14]
	v_fma_f64 v[21:22], -v[13:14], v[17:18], 1.0
	v_fma_f64 v[17:18], v[17:18], v[21:22], v[17:18]
	v_fma_f64 v[21:22], -v[13:14], v[17:18], 1.0
	v_fma_f64 v[17:18], v[17:18], v[21:22], v[17:18]
	v_mul_f64 v[21:22], v[23:24], v[17:18]
	v_fma_f64 v[13:14], -v[13:14], v[21:22], v[23:24]
	v_div_fmas_f64 v[13:14], v[13:14], v[17:18], v[21:22]
	v_div_fixup_f64 v[17:18], v[13:14], v[11:12], 1.0
                                        ; implicit-def: $vgpr11_vgpr12
	v_mul_f64 v[15:16], v[15:16], v[17:18]
	v_xor_b32_e32 v18, 0x80000000, v18
.LBB172_16:
	s_andn2_saveexec_b64 s[8:9], s[8:9]
	s_cbranch_execz .LBB172_18
; %bb.17:
	v_div_scale_f64 v[15:16], s[10:11], v[11:12], v[11:12], v[13:14]
	v_rcp_f64_e32 v[17:18], v[15:16]
	v_fma_f64 v[21:22], -v[15:16], v[17:18], 1.0
	v_fma_f64 v[17:18], v[17:18], v[21:22], v[17:18]
	v_div_scale_f64 v[21:22], vcc, v[13:14], v[11:12], v[13:14]
	v_fma_f64 v[23:24], -v[15:16], v[17:18], 1.0
	v_fma_f64 v[17:18], v[17:18], v[23:24], v[17:18]
	v_mul_f64 v[23:24], v[21:22], v[17:18]
	v_fma_f64 v[15:16], -v[15:16], v[23:24], v[21:22]
	v_div_fmas_f64 v[15:16], v[15:16], v[17:18], v[23:24]
	v_div_fixup_f64 v[17:18], v[15:16], v[11:12], v[13:14]
	v_fma_f64 v[11:12], v[13:14], v[17:18], v[11:12]
	v_div_scale_f64 v[13:14], s[10:11], v[11:12], v[11:12], 1.0
	v_div_scale_f64 v[23:24], vcc, 1.0, v[11:12], 1.0
	v_rcp_f64_e32 v[15:16], v[13:14]
	v_fma_f64 v[21:22], -v[13:14], v[15:16], 1.0
	v_fma_f64 v[15:16], v[15:16], v[21:22], v[15:16]
	v_fma_f64 v[21:22], -v[13:14], v[15:16], 1.0
	v_fma_f64 v[15:16], v[15:16], v[21:22], v[15:16]
	v_mul_f64 v[21:22], v[23:24], v[15:16]
	v_fma_f64 v[13:14], -v[13:14], v[21:22], v[23:24]
	v_div_fmas_f64 v[13:14], v[13:14], v[15:16], v[21:22]
	v_div_fixup_f64 v[15:16], v[13:14], v[11:12], 1.0
	v_mul_f64 v[17:18], v[17:18], -v[15:16]
.LBB172_18:
	s_or_b64 exec, exec, s[8:9]
	v_lshlrev_b32_e32 v11, 4, v1
	ds_write_b128 v11, v[15:18]
.LBB172_19:
	s_or_b64 exec, exec, s[2:3]
                                        ; implicit-def: $vgpr11_vgpr12
.LBB172_20:
	s_andn2_saveexec_b64 s[0:1], s[0:1]
	s_cbranch_execz .LBB172_22
; %bb.21:
	v_lshlrev_b64 v[11:12], 4, v[11:12]
	v_mov_b32_e32 v13, s89
	v_add_co_u32_e32 v11, vcc, s88, v11
	v_addc_co_u32_e32 v12, vcc, v13, v12, vcc
	flat_load_dwordx4 v[11:14], v[11:12]
	v_lshlrev_b32_e32 v15, 4, v1
	s_waitcnt vmcnt(0) lgkmcnt(0)
	v_xor_b32_e32 v12, 0x80000000, v12
	v_xor_b32_e32 v14, 0x80000000, v14
	ds_write_b128 v15, v[11:14]
.LBB172_22:
	s_or_b64 exec, exec, s[0:1]
	v_add_u32_e32 v13, 16, v2
	v_mad_u64_u32 v[11:12], s[0:1], s28, v13, v[19:20]
	v_lshl_add_u32 v21, v13, 5, v0
	v_cmp_le_u32_e32 vcc, v13, v0
	v_mad_u64_u32 v[14:15], s[0:1], s29, v13, v[12:13]
	v_mov_b32_e32 v12, v14
	s_and_saveexec_b64 s[0:1], vcc
	s_xor_b64 s[0:1], exec, s[0:1]
	s_cbranch_execz .LBB172_34
; %bb.23:
	v_cmp_ne_u32_e32 vcc, v0, v13
	s_and_saveexec_b64 s[2:3], vcc
	s_xor_b64 s[2:3], exec, s[2:3]
	s_cbranch_execz .LBB172_27
; %bb.24:
	v_or_b32_e32 v11, v13, v0
	v_cmp_gt_u32_e32 vcc, 32, v11
	s_and_saveexec_b64 s[8:9], vcc
	s_cbranch_execz .LBB172_26
; %bb.25:
	v_mov_b32_e32 v11, 0
	v_lshlrev_b32_e32 v15, 4, v21
	v_mov_b32_e32 v12, v11
	v_mov_b32_e32 v13, v11
	;; [unrolled: 1-line block ×3, first 2 shown]
	ds_write_b128 v15, v[11:14]
.LBB172_26:
	s_or_b64 exec, exec, s[8:9]
                                        ; implicit-def: $vgpr21
                                        ; implicit-def: $vgpr11_vgpr12
.LBB172_27:
	s_andn2_saveexec_b64 s[2:3], s[2:3]
	s_cbranch_execz .LBB172_33
; %bb.28:
	v_lshlrev_b64 v[11:12], 4, v[11:12]
	v_mov_b32_e32 v13, s89
	v_add_co_u32_e32 v11, vcc, s88, v11
	v_addc_co_u32_e32 v12, vcc, v13, v12, vcc
	flat_load_dwordx4 v[11:14], v[11:12]
                                        ; implicit-def: $vgpr15_vgpr16
	s_waitcnt vmcnt(0) lgkmcnt(0)
	v_cmp_ngt_f64_e64 s[8:9], |v[11:12]|, |v[13:14]|
	s_and_saveexec_b64 s[10:11], s[8:9]
	s_xor_b64 s[8:9], exec, s[10:11]
	s_cbranch_execz .LBB172_30
; %bb.29:
	v_div_scale_f64 v[15:16], s[10:11], v[13:14], v[13:14], v[11:12]
	v_rcp_f64_e32 v[17:18], v[15:16]
	v_fma_f64 v[22:23], -v[15:16], v[17:18], 1.0
	v_fma_f64 v[17:18], v[17:18], v[22:23], v[17:18]
	v_div_scale_f64 v[22:23], vcc, v[11:12], v[13:14], v[11:12]
	v_fma_f64 v[24:25], -v[15:16], v[17:18], 1.0
	v_fma_f64 v[17:18], v[17:18], v[24:25], v[17:18]
	v_mul_f64 v[24:25], v[22:23], v[17:18]
	v_fma_f64 v[15:16], -v[15:16], v[24:25], v[22:23]
	v_div_fmas_f64 v[15:16], v[15:16], v[17:18], v[24:25]
	v_div_fixup_f64 v[15:16], v[15:16], v[13:14], v[11:12]
	v_fma_f64 v[11:12], v[11:12], v[15:16], v[13:14]
	v_div_scale_f64 v[13:14], s[10:11], v[11:12], v[11:12], 1.0
	v_div_scale_f64 v[24:25], vcc, 1.0, v[11:12], 1.0
	v_rcp_f64_e32 v[17:18], v[13:14]
	v_fma_f64 v[22:23], -v[13:14], v[17:18], 1.0
	v_fma_f64 v[17:18], v[17:18], v[22:23], v[17:18]
	v_fma_f64 v[22:23], -v[13:14], v[17:18], 1.0
	v_fma_f64 v[17:18], v[17:18], v[22:23], v[17:18]
	v_mul_f64 v[22:23], v[24:25], v[17:18]
	v_fma_f64 v[13:14], -v[13:14], v[22:23], v[24:25]
	v_div_fmas_f64 v[13:14], v[13:14], v[17:18], v[22:23]
	v_div_fixup_f64 v[17:18], v[13:14], v[11:12], 1.0
                                        ; implicit-def: $vgpr11_vgpr12
	v_mul_f64 v[15:16], v[15:16], v[17:18]
	v_xor_b32_e32 v18, 0x80000000, v18
.LBB172_30:
	s_andn2_saveexec_b64 s[8:9], s[8:9]
	s_cbranch_execz .LBB172_32
; %bb.31:
	v_div_scale_f64 v[15:16], s[10:11], v[11:12], v[11:12], v[13:14]
	v_rcp_f64_e32 v[17:18], v[15:16]
	v_fma_f64 v[22:23], -v[15:16], v[17:18], 1.0
	v_fma_f64 v[17:18], v[17:18], v[22:23], v[17:18]
	v_div_scale_f64 v[22:23], vcc, v[13:14], v[11:12], v[13:14]
	v_fma_f64 v[24:25], -v[15:16], v[17:18], 1.0
	v_fma_f64 v[17:18], v[17:18], v[24:25], v[17:18]
	v_mul_f64 v[24:25], v[22:23], v[17:18]
	v_fma_f64 v[15:16], -v[15:16], v[24:25], v[22:23]
	v_div_fmas_f64 v[15:16], v[15:16], v[17:18], v[24:25]
	v_div_fixup_f64 v[17:18], v[15:16], v[11:12], v[13:14]
	v_fma_f64 v[11:12], v[13:14], v[17:18], v[11:12]
	v_div_scale_f64 v[13:14], s[10:11], v[11:12], v[11:12], 1.0
	v_div_scale_f64 v[24:25], vcc, 1.0, v[11:12], 1.0
	v_rcp_f64_e32 v[15:16], v[13:14]
	v_fma_f64 v[22:23], -v[13:14], v[15:16], 1.0
	v_fma_f64 v[15:16], v[15:16], v[22:23], v[15:16]
	v_fma_f64 v[22:23], -v[13:14], v[15:16], 1.0
	v_fma_f64 v[15:16], v[15:16], v[22:23], v[15:16]
	v_mul_f64 v[22:23], v[24:25], v[15:16]
	v_fma_f64 v[13:14], -v[13:14], v[22:23], v[24:25]
	v_div_fmas_f64 v[13:14], v[13:14], v[15:16], v[22:23]
	v_div_fixup_f64 v[15:16], v[13:14], v[11:12], 1.0
	v_mul_f64 v[17:18], v[17:18], -v[15:16]
.LBB172_32:
	s_or_b64 exec, exec, s[8:9]
	v_lshlrev_b32_e32 v11, 4, v21
	ds_write_b128 v11, v[15:18]
.LBB172_33:
	s_or_b64 exec, exec, s[2:3]
                                        ; implicit-def: $vgpr11_vgpr12
                                        ; implicit-def: $vgpr21
.LBB172_34:
	s_andn2_saveexec_b64 s[0:1], s[0:1]
	s_cbranch_execz .LBB172_36
; %bb.35:
	v_lshlrev_b64 v[11:12], 4, v[11:12]
	v_mov_b32_e32 v13, s89
	v_add_co_u32_e32 v11, vcc, s88, v11
	v_addc_co_u32_e32 v12, vcc, v13, v12, vcc
	flat_load_dwordx4 v[11:14], v[11:12]
	v_lshlrev_b32_e32 v15, 4, v21
	s_waitcnt vmcnt(0) lgkmcnt(0)
	v_xor_b32_e32 v12, 0x80000000, v12
	v_xor_b32_e32 v14, 0x80000000, v14
	ds_write_b128 v15, v[11:14]
.LBB172_36:
	s_or_b64 exec, exec, s[0:1]
	s_mov_b64 s[2:3], 0
.LBB172_37:
	s_and_b64 vcc, exec, s[2:3]
	s_cbranch_vccz .LBB172_67
; %bb.38:
	v_mad_u64_u32 v[11:12], s[0:1], s28, v2, v[19:20]
	v_cmp_le_u32_e32 vcc, v2, v0
	v_cmp_gt_i32_e64 s[0:1], s87, v0
	v_mad_u64_u32 v[12:13], s[2:3], s29, v2, v[12:13]
	v_max_i32_e32 v13, v2, v0
	v_cmp_le_i32_e64 s[2:3], s87, v13
	s_or_b64 s[2:3], s[2:3], vcc
	s_and_saveexec_b64 s[8:9], s[2:3]
	s_xor_b64 s[2:3], exec, s[8:9]
	s_cbranch_execz .LBB172_50
; %bb.39:
	v_cmp_ne_u32_e32 vcc, v0, v2
	s_xor_b64 s[8:9], s[0:1], -1
	s_or_b64 s[8:9], s[8:9], vcc
	s_and_saveexec_b64 s[10:11], s[8:9]
	s_xor_b64 s[8:9], exec, s[10:11]
	s_cbranch_execz .LBB172_43
; %bb.40:
	v_or_b32_e32 v11, v2, v0
	v_cmp_gt_u32_e32 vcc, 32, v11
	s_and_saveexec_b64 s[10:11], vcc
	s_cbranch_execz .LBB172_42
; %bb.41:
	v_mov_b32_e32 v11, 0
	v_lshlrev_b32_e32 v15, 4, v1
	v_mov_b32_e32 v12, v11
	v_mov_b32_e32 v13, v11
	;; [unrolled: 1-line block ×3, first 2 shown]
	ds_write_b128 v15, v[11:14]
.LBB172_42:
	s_or_b64 exec, exec, s[10:11]
                                        ; implicit-def: $vgpr11_vgpr12
.LBB172_43:
	s_andn2_saveexec_b64 s[8:9], s[8:9]
	s_cbranch_execz .LBB172_49
; %bb.44:
	v_lshlrev_b64 v[11:12], 4, v[11:12]
	v_mov_b32_e32 v13, s89
	v_add_co_u32_e32 v11, vcc, s88, v11
	v_addc_co_u32_e32 v12, vcc, v13, v12, vcc
	flat_load_dwordx4 v[11:14], v[11:12]
                                        ; implicit-def: $vgpr15_vgpr16
	s_waitcnt vmcnt(0) lgkmcnt(0)
	v_cmp_ngt_f64_e64 s[10:11], |v[11:12]|, |v[13:14]|
	s_and_saveexec_b64 s[12:13], s[10:11]
	s_xor_b64 s[10:11], exec, s[12:13]
	s_cbranch_execz .LBB172_46
; %bb.45:
	v_div_scale_f64 v[15:16], s[12:13], v[13:14], v[13:14], v[11:12]
	v_rcp_f64_e32 v[17:18], v[15:16]
	v_fma_f64 v[21:22], -v[15:16], v[17:18], 1.0
	v_fma_f64 v[17:18], v[17:18], v[21:22], v[17:18]
	v_div_scale_f64 v[21:22], vcc, v[11:12], v[13:14], v[11:12]
	v_fma_f64 v[23:24], -v[15:16], v[17:18], 1.0
	v_fma_f64 v[17:18], v[17:18], v[23:24], v[17:18]
	v_mul_f64 v[23:24], v[21:22], v[17:18]
	v_fma_f64 v[15:16], -v[15:16], v[23:24], v[21:22]
	v_div_fmas_f64 v[15:16], v[15:16], v[17:18], v[23:24]
	v_div_fixup_f64 v[15:16], v[15:16], v[13:14], v[11:12]
	v_fma_f64 v[11:12], v[11:12], v[15:16], v[13:14]
	v_div_scale_f64 v[13:14], s[12:13], v[11:12], v[11:12], 1.0
	v_div_scale_f64 v[23:24], vcc, 1.0, v[11:12], 1.0
	v_rcp_f64_e32 v[17:18], v[13:14]
	v_fma_f64 v[21:22], -v[13:14], v[17:18], 1.0
	v_fma_f64 v[17:18], v[17:18], v[21:22], v[17:18]
	v_fma_f64 v[21:22], -v[13:14], v[17:18], 1.0
	v_fma_f64 v[17:18], v[17:18], v[21:22], v[17:18]
	v_mul_f64 v[21:22], v[23:24], v[17:18]
	v_fma_f64 v[13:14], -v[13:14], v[21:22], v[23:24]
	v_div_fmas_f64 v[13:14], v[13:14], v[17:18], v[21:22]
	v_div_fixup_f64 v[17:18], v[13:14], v[11:12], 1.0
                                        ; implicit-def: $vgpr11_vgpr12
	v_mul_f64 v[15:16], v[15:16], v[17:18]
	v_xor_b32_e32 v18, 0x80000000, v18
.LBB172_46:
	s_andn2_saveexec_b64 s[10:11], s[10:11]
	s_cbranch_execz .LBB172_48
; %bb.47:
	v_div_scale_f64 v[15:16], s[12:13], v[11:12], v[11:12], v[13:14]
	v_rcp_f64_e32 v[17:18], v[15:16]
	v_fma_f64 v[21:22], -v[15:16], v[17:18], 1.0
	v_fma_f64 v[17:18], v[17:18], v[21:22], v[17:18]
	v_div_scale_f64 v[21:22], vcc, v[13:14], v[11:12], v[13:14]
	v_fma_f64 v[23:24], -v[15:16], v[17:18], 1.0
	v_fma_f64 v[17:18], v[17:18], v[23:24], v[17:18]
	v_mul_f64 v[23:24], v[21:22], v[17:18]
	v_fma_f64 v[15:16], -v[15:16], v[23:24], v[21:22]
	v_div_fmas_f64 v[15:16], v[15:16], v[17:18], v[23:24]
	v_div_fixup_f64 v[17:18], v[15:16], v[11:12], v[13:14]
	v_fma_f64 v[11:12], v[13:14], v[17:18], v[11:12]
	v_div_scale_f64 v[13:14], s[12:13], v[11:12], v[11:12], 1.0
	v_div_scale_f64 v[23:24], vcc, 1.0, v[11:12], 1.0
	v_rcp_f64_e32 v[15:16], v[13:14]
	v_fma_f64 v[21:22], -v[13:14], v[15:16], 1.0
	v_fma_f64 v[15:16], v[15:16], v[21:22], v[15:16]
	v_fma_f64 v[21:22], -v[13:14], v[15:16], 1.0
	v_fma_f64 v[15:16], v[15:16], v[21:22], v[15:16]
	v_mul_f64 v[21:22], v[23:24], v[15:16]
	v_fma_f64 v[13:14], -v[13:14], v[21:22], v[23:24]
	v_div_fmas_f64 v[13:14], v[13:14], v[15:16], v[21:22]
	v_div_fixup_f64 v[15:16], v[13:14], v[11:12], 1.0
	v_mul_f64 v[17:18], v[17:18], -v[15:16]
.LBB172_48:
	s_or_b64 exec, exec, s[10:11]
	v_lshlrev_b32_e32 v11, 4, v1
	ds_write_b128 v11, v[15:18]
.LBB172_49:
	s_or_b64 exec, exec, s[8:9]
                                        ; implicit-def: $vgpr11_vgpr12
.LBB172_50:
	s_andn2_saveexec_b64 s[2:3], s[2:3]
	s_cbranch_execz .LBB172_52
; %bb.51:
	v_lshlrev_b64 v[11:12], 4, v[11:12]
	v_mov_b32_e32 v13, s89
	v_add_co_u32_e32 v11, vcc, s88, v11
	v_addc_co_u32_e32 v12, vcc, v13, v12, vcc
	flat_load_dwordx4 v[11:14], v[11:12]
	v_lshlrev_b32_e32 v15, 4, v1
	s_waitcnt vmcnt(0) lgkmcnt(0)
	v_xor_b32_e32 v12, 0x80000000, v12
	v_xor_b32_e32 v14, 0x80000000, v14
	ds_write_b128 v15, v[11:14]
.LBB172_52:
	s_or_b64 exec, exec, s[2:3]
	v_add_u32_e32 v13, 16, v2
	v_mad_u64_u32 v[11:12], s[2:3], s28, v13, v[19:20]
	v_cmp_gt_u32_e32 vcc, v13, v0
	v_lshl_add_u32 v19, v13, 5, v0
	v_mad_u64_u32 v[14:15], s[2:3], s29, v13, v[12:13]
	v_cmp_gt_i32_e64 s[2:3], s87, v13
	s_and_b64 s[2:3], vcc, s[2:3]
	s_and_b64 s[2:3], s[0:1], s[2:3]
	v_mov_b32_e32 v12, v14
	s_xor_b64 s[2:3], s[2:3], -1
	s_and_saveexec_b64 s[8:9], s[2:3]
	s_xor_b64 s[2:3], exec, s[8:9]
	s_cbranch_execz .LBB172_64
; %bb.53:
	v_cmp_ne_u32_e32 vcc, v0, v13
	s_xor_b64 s[0:1], s[0:1], -1
	s_or_b64 s[0:1], s[0:1], vcc
	s_and_saveexec_b64 s[8:9], s[0:1]
	s_xor_b64 s[0:1], exec, s[8:9]
	s_cbranch_execz .LBB172_57
; %bb.54:
	v_or_b32_e32 v11, v13, v0
	v_cmp_gt_u32_e32 vcc, 32, v11
	s_and_saveexec_b64 s[8:9], vcc
	s_cbranch_execz .LBB172_56
; %bb.55:
	v_mov_b32_e32 v11, 0
	v_lshlrev_b32_e32 v15, 4, v19
	v_mov_b32_e32 v12, v11
	v_mov_b32_e32 v13, v11
	;; [unrolled: 1-line block ×3, first 2 shown]
	ds_write_b128 v15, v[11:14]
.LBB172_56:
	s_or_b64 exec, exec, s[8:9]
                                        ; implicit-def: $vgpr19
                                        ; implicit-def: $vgpr11_vgpr12
.LBB172_57:
	s_andn2_saveexec_b64 s[0:1], s[0:1]
	s_cbranch_execz .LBB172_63
; %bb.58:
	v_lshlrev_b64 v[11:12], 4, v[11:12]
	v_mov_b32_e32 v13, s89
	v_add_co_u32_e32 v11, vcc, s88, v11
	v_addc_co_u32_e32 v12, vcc, v13, v12, vcc
	flat_load_dwordx4 v[11:14], v[11:12]
                                        ; implicit-def: $vgpr15_vgpr16
	s_waitcnt vmcnt(0) lgkmcnt(0)
	v_cmp_ngt_f64_e64 s[8:9], |v[11:12]|, |v[13:14]|
	s_and_saveexec_b64 s[10:11], s[8:9]
	s_xor_b64 s[8:9], exec, s[10:11]
	s_cbranch_execz .LBB172_60
; %bb.59:
	v_div_scale_f64 v[15:16], s[10:11], v[13:14], v[13:14], v[11:12]
	v_rcp_f64_e32 v[17:18], v[15:16]
	v_fma_f64 v[20:21], -v[15:16], v[17:18], 1.0
	v_fma_f64 v[17:18], v[17:18], v[20:21], v[17:18]
	v_div_scale_f64 v[20:21], vcc, v[11:12], v[13:14], v[11:12]
	v_fma_f64 v[22:23], -v[15:16], v[17:18], 1.0
	v_fma_f64 v[17:18], v[17:18], v[22:23], v[17:18]
	v_mul_f64 v[22:23], v[20:21], v[17:18]
	v_fma_f64 v[15:16], -v[15:16], v[22:23], v[20:21]
	v_div_fmas_f64 v[15:16], v[15:16], v[17:18], v[22:23]
	v_div_fixup_f64 v[15:16], v[15:16], v[13:14], v[11:12]
	v_fma_f64 v[11:12], v[11:12], v[15:16], v[13:14]
	v_div_scale_f64 v[13:14], s[10:11], v[11:12], v[11:12], 1.0
	v_div_scale_f64 v[22:23], vcc, 1.0, v[11:12], 1.0
	v_rcp_f64_e32 v[17:18], v[13:14]
	v_fma_f64 v[20:21], -v[13:14], v[17:18], 1.0
	v_fma_f64 v[17:18], v[17:18], v[20:21], v[17:18]
	v_fma_f64 v[20:21], -v[13:14], v[17:18], 1.0
	v_fma_f64 v[17:18], v[17:18], v[20:21], v[17:18]
	v_mul_f64 v[20:21], v[22:23], v[17:18]
	v_fma_f64 v[13:14], -v[13:14], v[20:21], v[22:23]
	v_div_fmas_f64 v[13:14], v[13:14], v[17:18], v[20:21]
	v_div_fixup_f64 v[17:18], v[13:14], v[11:12], 1.0
                                        ; implicit-def: $vgpr11_vgpr12
	v_mul_f64 v[15:16], v[15:16], v[17:18]
	v_xor_b32_e32 v18, 0x80000000, v18
.LBB172_60:
	s_andn2_saveexec_b64 s[8:9], s[8:9]
	s_cbranch_execz .LBB172_62
; %bb.61:
	v_div_scale_f64 v[15:16], s[10:11], v[11:12], v[11:12], v[13:14]
	v_rcp_f64_e32 v[17:18], v[15:16]
	v_fma_f64 v[20:21], -v[15:16], v[17:18], 1.0
	v_fma_f64 v[17:18], v[17:18], v[20:21], v[17:18]
	v_div_scale_f64 v[20:21], vcc, v[13:14], v[11:12], v[13:14]
	v_fma_f64 v[22:23], -v[15:16], v[17:18], 1.0
	v_fma_f64 v[17:18], v[17:18], v[22:23], v[17:18]
	v_mul_f64 v[22:23], v[20:21], v[17:18]
	v_fma_f64 v[15:16], -v[15:16], v[22:23], v[20:21]
	v_div_fmas_f64 v[15:16], v[15:16], v[17:18], v[22:23]
	v_div_fixup_f64 v[17:18], v[15:16], v[11:12], v[13:14]
	v_fma_f64 v[11:12], v[13:14], v[17:18], v[11:12]
	v_div_scale_f64 v[13:14], s[10:11], v[11:12], v[11:12], 1.0
	v_div_scale_f64 v[22:23], vcc, 1.0, v[11:12], 1.0
	v_rcp_f64_e32 v[15:16], v[13:14]
	v_fma_f64 v[20:21], -v[13:14], v[15:16], 1.0
	v_fma_f64 v[15:16], v[15:16], v[20:21], v[15:16]
	v_fma_f64 v[20:21], -v[13:14], v[15:16], 1.0
	v_fma_f64 v[15:16], v[15:16], v[20:21], v[15:16]
	v_mul_f64 v[20:21], v[22:23], v[15:16]
	v_fma_f64 v[13:14], -v[13:14], v[20:21], v[22:23]
	v_div_fmas_f64 v[13:14], v[13:14], v[15:16], v[20:21]
	v_div_fixup_f64 v[15:16], v[13:14], v[11:12], 1.0
	v_mul_f64 v[17:18], v[17:18], -v[15:16]
.LBB172_62:
	s_or_b64 exec, exec, s[8:9]
	v_lshlrev_b32_e32 v11, 4, v19
	ds_write_b128 v11, v[15:18]
.LBB172_63:
	s_or_b64 exec, exec, s[0:1]
                                        ; implicit-def: $vgpr11_vgpr12
                                        ; implicit-def: $vgpr19
.LBB172_64:
	s_andn2_saveexec_b64 s[0:1], s[2:3]
	s_cbranch_execz .LBB172_66
; %bb.65:
	v_lshlrev_b64 v[11:12], 4, v[11:12]
	v_mov_b32_e32 v13, s89
	v_add_co_u32_e32 v11, vcc, s88, v11
	v_addc_co_u32_e32 v12, vcc, v13, v12, vcc
	flat_load_dwordx4 v[11:14], v[11:12]
	v_lshlrev_b32_e32 v15, 4, v19
	s_waitcnt vmcnt(0) lgkmcnt(0)
	v_xor_b32_e32 v12, 0x80000000, v12
	v_xor_b32_e32 v14, 0x80000000, v14
	ds_write_b128 v15, v[11:14]
.LBB172_66:
	s_or_b64 exec, exec, s[0:1]
.LBB172_67:
	s_cmp_lt_i32 s6, 5
	s_cselect_b64 s[0:1], -1, 0
	s_or_b64 s[36:37], s[0:1], s[30:31]
	s_and_b64 vcc, exec, s[36:37]
	s_waitcnt vmcnt(0) lgkmcnt(0)
	s_barrier
	s_cbranch_vccnz .LBB172_461
; %bb.68:
	v_or_b32_e32 v11, v0, v2
	v_cmp_eq_u32_e32 vcc, 0, v11
	s_and_saveexec_b64 s[0:1], vcc
	s_cbranch_execz .LBB172_70
; %bb.69:
	v_mov_b32_e32 v25, 0
	ds_read_b128 v[11:14], v25 offset:16368
	ds_read_b128 v[15:18], v25 offset:15840
	;; [unrolled: 1-line block ×3, first 2 shown]
	s_waitcnt lgkmcnt(1)
	v_mul_f64 v[23:24], v[11:12], v[17:18]
	v_mul_f64 v[17:18], v[13:14], v[17:18]
	v_fma_f64 v[13:14], v[13:14], v[15:16], v[23:24]
	v_fma_f64 v[11:12], v[11:12], v[15:16], -v[17:18]
	s_waitcnt lgkmcnt(0)
	v_mul_f64 v[15:16], v[13:14], v[21:22]
	v_mul_f64 v[17:18], v[11:12], v[21:22]
	v_fma_f64 v[11:12], v[19:20], v[11:12], -v[15:16]
	v_fma_f64 v[13:14], v[19:20], v[13:14], v[17:18]
	ds_write_b128 v25, v[11:14] offset:16352
.LBB172_70:
	s_or_b64 exec, exec, s[0:1]
	v_lshlrev_b32_e32 v11, 5, v2
	v_add_u32_e32 v18, v11, v0
	v_add_u16_e32 v11, v11, v0
	v_lshrrev_b16_e32 v17, 1, v11
	v_mov_b32_e32 v11, 0
	v_mov_b32_e32 v13, 0
	v_and_b32_e32 v15, 1, v0
	v_sub_u32_e32 v16, 1, v17
	v_cmp_lt_u32_e64 s[2:3], 3, v18
	v_mov_b32_e32 v12, 0
	v_mov_b32_e32 v14, 0
	v_cmp_gt_u32_e64 s[0:1], 4, v18
	s_waitcnt lgkmcnt(0)
	s_barrier
	buffer_wbinvl1_vol
	s_and_saveexec_b64 s[10:11], s[0:1]
	s_cbranch_execz .LBB172_74
; %bb.71:
	v_lshlrev_b32_e32 v19, 4, v15
	v_lshlrev_b32_e32 v11, 9, v16
	ds_read_b128 v[11:14], v11 offset:15840
	ds_read_b128 v[19:22], v19 offset:15808
	v_cmp_gt_u32_e64 s[8:9], 2, v18
	s_waitcnt lgkmcnt(0)
	v_mul_f64 v[23:24], v[13:14], v[21:22]
	v_mul_f64 v[21:22], v[11:12], v[21:22]
	v_fma_f64 v[11:12], v[11:12], v[19:20], -v[23:24]
	v_fma_f64 v[13:14], v[13:14], v[19:20], v[21:22]
	v_add_f64 v[11:12], v[11:12], 0
	v_add_f64 v[13:14], v[13:14], 0
	s_and_saveexec_b64 s[12:13], s[8:9]
	s_cbranch_execz .LBB172_73
; %bb.72:
	v_lshlrev_b32_e32 v23, 4, v0
	v_mov_b32_e32 v19, 0
	ds_read_b128 v[19:22], v19 offset:16368
	ds_read_b128 v[23:26], v23 offset:16320
	s_waitcnt lgkmcnt(0)
	v_mul_f64 v[27:28], v[21:22], v[25:26]
	v_mul_f64 v[25:26], v[19:20], v[25:26]
	v_fma_f64 v[19:20], v[19:20], v[23:24], -v[27:28]
	v_fma_f64 v[21:22], v[21:22], v[23:24], v[25:26]
	v_add_f64 v[11:12], v[11:12], v[19:20]
	v_add_f64 v[13:14], v[13:14], v[21:22]
.LBB172_73:
	s_or_b64 exec, exec, s[12:13]
.LBB172_74:
	s_or_b64 exec, exec, s[10:11]
	v_mov_b32_e32 v19, 0x4000
	v_cmp_ne_u32_e64 s[8:9], 0, v15
	s_xor_b64 s[10:11], s[2:3], -1
	v_lshl_add_u32 v17, v17, 4, v19
	s_and_b64 s[40:41], s[8:9], s[10:11]
	s_and_saveexec_b64 s[2:3], s[40:41]
	s_cbranch_execz .LBB172_76
; %bb.75:
	v_mov_b32_e32 v19, 0
	ds_read_b128 v[19:22], v19 offset:15312
	s_waitcnt lgkmcnt(0)
	v_mul_f64 v[23:24], v[13:14], v[21:22]
	v_mul_f64 v[21:22], v[11:12], v[21:22]
	v_fma_f64 v[11:12], v[11:12], v[19:20], -v[23:24]
	v_fma_f64 v[13:14], v[13:14], v[19:20], v[21:22]
	v_xor_b32_e32 v20, 0x80000000, v12
	v_xor_b32_e32 v22, 0x80000000, v14
	v_mov_b32_e32 v19, v11
	v_mov_b32_e32 v21, v13
	ds_write_b128 v17, v[19:22]
.LBB172_76:
	s_or_b64 exec, exec, s[2:3]
	v_cmp_eq_u32_e64 s[2:3], 0, v15
	s_and_b64 s[38:39], s[2:3], s[10:11]
	s_waitcnt lgkmcnt(0)
	s_barrier
	s_and_saveexec_b64 s[2:3], s[38:39]
	s_cbranch_execz .LBB172_78
; %bb.77:
	v_mov_b32_e32 v23, 0
	ds_read_b128 v[19:22], v17
	ds_read_b128 v[23:26], v23 offset:15296
	s_waitcnt lgkmcnt(0)
	v_mul_f64 v[27:28], v[21:22], v[25:26]
	v_mul_f64 v[25:26], v[19:20], v[25:26]
	v_fma_f64 v[19:20], v[19:20], v[23:24], -v[27:28]
	v_fma_f64 v[21:22], v[21:22], v[23:24], v[25:26]
	v_add_f64 v[11:12], v[11:12], -v[19:20]
	v_add_f64 v[13:14], v[13:14], -v[21:22]
.LBB172_78:
	s_or_b64 exec, exec, s[2:3]
	s_barrier
	s_and_saveexec_b64 s[2:3], s[38:39]
	s_cbranch_execz .LBB172_80
; %bb.79:
	v_mov_b32_e32 v19, 0
	ds_read_b128 v[19:22], v19 offset:14784
	s_waitcnt lgkmcnt(0)
	v_mul_f64 v[23:24], v[13:14], v[21:22]
	v_mul_f64 v[21:22], v[11:12], v[21:22]
	v_fma_f64 v[11:12], v[11:12], v[19:20], -v[23:24]
	v_fma_f64 v[13:14], v[13:14], v[19:20], v[21:22]
	v_xor_b32_e32 v20, 0x80000000, v12
	v_xor_b32_e32 v22, 0x80000000, v14
	v_mov_b32_e32 v19, v11
	v_mov_b32_e32 v21, v13
	ds_write_b128 v17, v[19:22]
.LBB172_80:
	s_or_b64 exec, exec, s[2:3]
	s_waitcnt lgkmcnt(0)
	s_barrier
	s_barrier
	s_and_saveexec_b64 s[2:3], s[0:1]
; %bb.81:
	v_lshlrev_b32_e32 v19, 4, v15
	v_lshl_or_b32 v19, v16, 9, v19
	ds_write_b128 v19, v[11:14] offset:15808
; %bb.82:
	s_or_b64 exec, exec, s[2:3]
	s_waitcnt lgkmcnt(0)
	s_barrier
	s_barrier
	s_and_saveexec_b64 s[2:3], vcc
	s_cbranch_execz .LBB172_84
; %bb.83:
	v_mov_b32_e32 v29, 0
	ds_read_b128 v[11:14], v29 offset:15312
	ds_read_b128 v[19:22], v29 offset:14784
	ds_read_b128 v[23:26], v29 offset:15296
	s_waitcnt lgkmcnt(1)
	v_mul_f64 v[27:28], v[11:12], v[21:22]
	v_mul_f64 v[21:22], v[13:14], v[21:22]
	v_fma_f64 v[13:14], v[13:14], v[19:20], v[27:28]
	v_fma_f64 v[11:12], v[11:12], v[19:20], -v[21:22]
	s_waitcnt lgkmcnt(0)
	v_mul_f64 v[19:20], v[13:14], v[25:26]
	v_mul_f64 v[21:22], v[11:12], v[25:26]
	v_fma_f64 v[11:12], v[23:24], v[11:12], -v[19:20]
	v_fma_f64 v[13:14], v[23:24], v[13:14], v[21:22]
	ds_write_b128 v29, v[11:14] offset:15296
.LBB172_84:
	s_or_b64 exec, exec, s[2:3]
	v_lshrrev_b32_e32 v21, 2, v18
	v_mov_b32_e32 v13, 0
	v_mov_b32_e32 v11, 0
	v_and_b32_e32 v19, 3, v0
	v_sub_u32_e32 v20, 3, v21
	v_cmp_lt_u32_e64 s[8:9], 15, v18
	v_mov_b32_e32 v14, 0
	v_mov_b32_e32 v12, 0
	v_cmp_gt_u32_e64 s[2:3], 16, v18
	s_waitcnt lgkmcnt(0)
	s_barrier
	buffer_wbinvl1_vol
	s_and_saveexec_b64 s[12:13], s[2:3]
	s_cbranch_execz .LBB172_90
; %bb.85:
	v_lshlrev_b32_e32 v23, 9, v20
	v_lshlrev_b32_e32 v22, 4, v19
	ds_read_b128 v[11:14], v23 offset:14784
	ds_read_b128 v[24:27], v22 offset:14720
	v_cmp_gt_u32_e64 s[10:11], 12, v18
	s_waitcnt lgkmcnt(0)
	v_mul_f64 v[28:29], v[13:14], v[26:27]
	v_mul_f64 v[26:27], v[11:12], v[26:27]
	v_fma_f64 v[11:12], v[11:12], v[24:25], -v[28:29]
	v_fma_f64 v[13:14], v[13:14], v[24:25], v[26:27]
	v_add_f64 v[11:12], v[11:12], 0
	v_add_f64 v[13:14], v[13:14], 0
	s_and_saveexec_b64 s[14:15], s[10:11]
	s_cbranch_execnz .LBB172_520
; %bb.86:
	s_or_b64 exec, exec, s[14:15]
	v_cmp_gt_u32_e64 s[10:11], 8, v18
	s_and_saveexec_b64 s[14:15], s[10:11]
	s_cbranch_execnz .LBB172_521
.LBB172_87:
	s_or_b64 exec, exec, s[14:15]
	v_cmp_gt_u32_e64 s[10:11], 4, v18
	s_and_saveexec_b64 s[14:15], s[10:11]
	s_cbranch_execz .LBB172_89
.LBB172_88:
	v_lshlrev_b32_e32 v26, 4, v0
	v_mov_b32_e32 v22, 0
	ds_read_b128 v[22:25], v22 offset:16368
	ds_read_b128 v[26:29], v26 offset:16256
	s_waitcnt lgkmcnt(0)
	v_mul_f64 v[30:31], v[24:25], v[28:29]
	v_mul_f64 v[28:29], v[22:23], v[28:29]
	v_fma_f64 v[22:23], v[22:23], v[26:27], -v[30:31]
	v_fma_f64 v[24:25], v[24:25], v[26:27], v[28:29]
	v_add_f64 v[11:12], v[11:12], v[22:23]
	v_add_f64 v[13:14], v[13:14], v[24:25]
.LBB172_89:
	s_or_b64 exec, exec, s[14:15]
.LBB172_90:
	s_or_b64 exec, exec, s[12:13]
	v_mov_b32_e32 v22, 0x4000
	v_cmp_eq_u32_e64 s[10:11], 3, v19
	s_xor_b64 s[12:13], s[8:9], -1
	v_lshl_add_u32 v21, v21, 4, v22
	s_and_b64 s[44:45], s[10:11], s[12:13]
	s_and_saveexec_b64 s[8:9], s[44:45]
	s_cbranch_execz .LBB172_92
; %bb.91:
	v_mov_b32_e32 v22, 0
	ds_read_b128 v[22:25], v22 offset:14256
	s_waitcnt lgkmcnt(0)
	v_mul_f64 v[26:27], v[13:14], v[24:25]
	v_mul_f64 v[24:25], v[11:12], v[24:25]
	v_fma_f64 v[11:12], v[11:12], v[22:23], -v[26:27]
	v_fma_f64 v[13:14], v[13:14], v[22:23], v[24:25]
	v_xor_b32_e32 v23, 0x80000000, v12
	v_xor_b32_e32 v25, 0x80000000, v14
	v_mov_b32_e32 v22, v11
	v_mov_b32_e32 v24, v13
	ds_write_b128 v21, v[22:25]
.LBB172_92:
	s_or_b64 exec, exec, s[8:9]
	v_cmp_ne_u32_e64 s[8:9], 3, v19
	s_and_b64 s[46:47], s[8:9], s[12:13]
	s_waitcnt lgkmcnt(0)
	s_barrier
	s_and_saveexec_b64 s[8:9], s[46:47]
	s_cbranch_execz .LBB172_94
; %bb.93:
	v_lshlrev_b32_e32 v26, 4, v19
	ds_read_b128 v[22:25], v21
	ds_read_b128 v[26:29], v26 offset:14208
	s_waitcnt lgkmcnt(0)
	v_mul_f64 v[30:31], v[24:25], v[28:29]
	v_mul_f64 v[28:29], v[22:23], v[28:29]
	v_fma_f64 v[22:23], v[22:23], v[26:27], -v[30:31]
	v_fma_f64 v[24:25], v[24:25], v[26:27], v[28:29]
	v_add_f64 v[11:12], v[11:12], -v[22:23]
	v_add_f64 v[13:14], v[13:14], -v[24:25]
.LBB172_94:
	s_or_b64 exec, exec, s[8:9]
	v_cmp_eq_u32_e64 s[8:9], 2, v19
	s_and_b64 s[48:49], s[8:9], s[12:13]
	s_barrier
	s_and_saveexec_b64 s[8:9], s[48:49]
	s_cbranch_execz .LBB172_96
; %bb.95:
	v_mov_b32_e32 v22, 0
	ds_read_b128 v[22:25], v22 offset:13728
	s_waitcnt lgkmcnt(0)
	v_mul_f64 v[26:27], v[13:14], v[24:25]
	v_mul_f64 v[24:25], v[11:12], v[24:25]
	v_fma_f64 v[11:12], v[11:12], v[22:23], -v[26:27]
	v_fma_f64 v[13:14], v[13:14], v[22:23], v[24:25]
	v_xor_b32_e32 v23, 0x80000000, v12
	v_xor_b32_e32 v25, 0x80000000, v14
	v_mov_b32_e32 v22, v11
	v_mov_b32_e32 v24, v13
	ds_write_b128 v21, v[22:25]
.LBB172_96:
	s_or_b64 exec, exec, s[8:9]
	v_cmp_gt_u32_e64 s[8:9], 2, v19
	s_and_b64 s[50:51], s[8:9], s[12:13]
	s_waitcnt lgkmcnt(0)
	s_barrier
	s_and_saveexec_b64 s[8:9], s[50:51]
	s_cbranch_execz .LBB172_98
; %bb.97:
	v_lshlrev_b32_e32 v26, 4, v19
	ds_read_b128 v[22:25], v21
	ds_read_b128 v[26:29], v26 offset:13696
	s_waitcnt lgkmcnt(0)
	v_mul_f64 v[30:31], v[24:25], v[28:29]
	v_mul_f64 v[28:29], v[22:23], v[28:29]
	v_fma_f64 v[22:23], v[22:23], v[26:27], -v[30:31]
	v_fma_f64 v[24:25], v[24:25], v[26:27], v[28:29]
	v_add_f64 v[11:12], v[11:12], -v[22:23]
	v_add_f64 v[13:14], v[13:14], -v[24:25]
.LBB172_98:
	s_or_b64 exec, exec, s[8:9]
	v_cmp_eq_u32_e64 s[8:9], 1, v19
	s_and_b64 s[52:53], s[8:9], s[12:13]
	s_barrier
	s_and_saveexec_b64 s[8:9], s[52:53]
	s_cbranch_execz .LBB172_100
; %bb.99:
	v_mov_b32_e32 v22, 0
	ds_read_b128 v[22:25], v22 offset:13200
	s_waitcnt lgkmcnt(0)
	v_mul_f64 v[26:27], v[13:14], v[24:25]
	v_mul_f64 v[24:25], v[11:12], v[24:25]
	v_fma_f64 v[11:12], v[11:12], v[22:23], -v[26:27]
	v_fma_f64 v[13:14], v[13:14], v[22:23], v[24:25]
	v_xor_b32_e32 v23, 0x80000000, v12
	v_xor_b32_e32 v25, 0x80000000, v14
	v_mov_b32_e32 v22, v11
	v_mov_b32_e32 v24, v13
	ds_write_b128 v21, v[22:25]
.LBB172_100:
	s_or_b64 exec, exec, s[8:9]
	v_cmp_eq_u32_e64 s[8:9], 0, v19
	s_and_b64 s[42:43], s[8:9], s[12:13]
	s_waitcnt lgkmcnt(0)
	s_barrier
	s_and_saveexec_b64 s[8:9], s[42:43]
	s_cbranch_execz .LBB172_102
; %bb.101:
	v_mov_b32_e32 v26, 0
	ds_read_b128 v[22:25], v21
	ds_read_b128 v[26:29], v26 offset:13184
	s_waitcnt lgkmcnt(0)
	v_mul_f64 v[30:31], v[24:25], v[28:29]
	v_mul_f64 v[28:29], v[22:23], v[28:29]
	v_fma_f64 v[22:23], v[22:23], v[26:27], -v[30:31]
	v_fma_f64 v[24:25], v[24:25], v[26:27], v[28:29]
	v_add_f64 v[11:12], v[11:12], -v[22:23]
	v_add_f64 v[13:14], v[13:14], -v[24:25]
.LBB172_102:
	s_or_b64 exec, exec, s[8:9]
	s_barrier
	s_and_saveexec_b64 s[8:9], s[42:43]
	s_cbranch_execz .LBB172_104
; %bb.103:
	v_mov_b32_e32 v22, 0
	ds_read_b128 v[22:25], v22 offset:12672
	s_waitcnt lgkmcnt(0)
	v_mul_f64 v[26:27], v[13:14], v[24:25]
	v_mul_f64 v[24:25], v[11:12], v[24:25]
	v_fma_f64 v[11:12], v[11:12], v[22:23], -v[26:27]
	v_fma_f64 v[13:14], v[13:14], v[22:23], v[24:25]
	v_xor_b32_e32 v23, 0x80000000, v12
	v_xor_b32_e32 v25, 0x80000000, v14
	v_mov_b32_e32 v22, v11
	v_mov_b32_e32 v24, v13
	ds_write_b128 v21, v[22:25]
.LBB172_104:
	s_or_b64 exec, exec, s[8:9]
	s_waitcnt lgkmcnt(0)
	s_barrier
	s_barrier
	s_and_saveexec_b64 s[8:9], s[2:3]
; %bb.105:
	v_lshlrev_b32_e32 v22, 4, v19
	v_lshl_or_b32 v22, v20, 9, v22
	ds_write_b128 v22, v[11:14] offset:14720
; %bb.106:
	s_or_b64 exec, exec, s[8:9]
	s_waitcnt lgkmcnt(0)
	s_barrier
	s_barrier
	s_and_saveexec_b64 s[8:9], vcc
	s_cbranch_execz .LBB172_108
; %bb.107:
	v_mov_b32_e32 v32, 0
	ds_read_b128 v[11:14], v32 offset:14256
	ds_read_b128 v[22:25], v32 offset:13728
	;; [unrolled: 1-line block ×3, first 2 shown]
	s_waitcnt lgkmcnt(1)
	v_mul_f64 v[30:31], v[11:12], v[24:25]
	v_mul_f64 v[24:25], v[13:14], v[24:25]
	v_fma_f64 v[13:14], v[13:14], v[22:23], v[30:31]
	v_fma_f64 v[11:12], v[11:12], v[22:23], -v[24:25]
	s_waitcnt lgkmcnt(0)
	v_mul_f64 v[22:23], v[13:14], v[28:29]
	v_mul_f64 v[24:25], v[11:12], v[28:29]
	v_fma_f64 v[11:12], v[26:27], v[11:12], -v[22:23]
	v_fma_f64 v[13:14], v[26:27], v[13:14], v[24:25]
	ds_write_b128 v32, v[11:14] offset:14240
.LBB172_108:
	s_or_b64 exec, exec, s[8:9]
	v_mov_b32_e32 v11, 0
	v_mov_b32_e32 v13, 0
	v_mov_b32_e32 v12, 0
	v_mov_b32_e32 v14, 0
	s_waitcnt lgkmcnt(0)
	s_barrier
	buffer_wbinvl1_vol
	s_and_saveexec_b64 s[10:11], s[0:1]
	s_cbranch_execz .LBB172_112
; %bb.109:
	v_lshlrev_b32_e32 v22, 4, v15
	v_lshlrev_b32_e32 v11, 9, v16
	ds_read_b128 v[11:14], v11 offset:13728
	ds_read_b128 v[22:25], v22 offset:13696
	v_cmp_gt_u32_e64 s[8:9], 2, v18
	s_waitcnt lgkmcnt(0)
	v_mul_f64 v[26:27], v[13:14], v[24:25]
	v_mul_f64 v[24:25], v[11:12], v[24:25]
	v_fma_f64 v[11:12], v[11:12], v[22:23], -v[26:27]
	v_fma_f64 v[13:14], v[13:14], v[22:23], v[24:25]
	v_add_f64 v[11:12], v[11:12], 0
	v_add_f64 v[13:14], v[13:14], 0
	s_and_saveexec_b64 s[12:13], s[8:9]
	s_cbranch_execz .LBB172_111
; %bb.110:
	v_lshlrev_b32_e32 v26, 4, v0
	v_mov_b32_e32 v22, 0
	ds_read_b128 v[22:25], v22 offset:14256
	ds_read_b128 v[26:29], v26 offset:14208
	s_waitcnt lgkmcnt(0)
	v_mul_f64 v[30:31], v[24:25], v[28:29]
	v_mul_f64 v[28:29], v[22:23], v[28:29]
	v_fma_f64 v[22:23], v[22:23], v[26:27], -v[30:31]
	v_fma_f64 v[24:25], v[24:25], v[26:27], v[28:29]
	v_add_f64 v[11:12], v[11:12], v[22:23]
	v_add_f64 v[13:14], v[13:14], v[24:25]
.LBB172_111:
	s_or_b64 exec, exec, s[12:13]
.LBB172_112:
	s_or_b64 exec, exec, s[10:11]
	s_and_saveexec_b64 s[8:9], s[40:41]
	s_cbranch_execz .LBB172_114
; %bb.113:
	v_mov_b32_e32 v22, 0
	ds_read_b128 v[22:25], v22 offset:13200
	s_waitcnt lgkmcnt(0)
	v_mul_f64 v[26:27], v[13:14], v[24:25]
	v_mul_f64 v[24:25], v[11:12], v[24:25]
	v_fma_f64 v[11:12], v[11:12], v[22:23], -v[26:27]
	v_fma_f64 v[13:14], v[13:14], v[22:23], v[24:25]
	v_xor_b32_e32 v23, 0x80000000, v12
	v_xor_b32_e32 v25, 0x80000000, v14
	v_mov_b32_e32 v22, v11
	v_mov_b32_e32 v24, v13
	ds_write_b128 v17, v[22:25]
.LBB172_114:
	s_or_b64 exec, exec, s[8:9]
	s_waitcnt lgkmcnt(0)
	s_barrier
	s_and_saveexec_b64 s[8:9], s[38:39]
	s_cbranch_execz .LBB172_116
; %bb.115:
	v_mov_b32_e32 v26, 0
	ds_read_b128 v[22:25], v17
	ds_read_b128 v[26:29], v26 offset:13184
	s_waitcnt lgkmcnt(0)
	v_mul_f64 v[30:31], v[24:25], v[28:29]
	v_mul_f64 v[28:29], v[22:23], v[28:29]
	v_fma_f64 v[22:23], v[22:23], v[26:27], -v[30:31]
	v_fma_f64 v[24:25], v[24:25], v[26:27], v[28:29]
	v_add_f64 v[11:12], v[11:12], -v[22:23]
	v_add_f64 v[13:14], v[13:14], -v[24:25]
.LBB172_116:
	s_or_b64 exec, exec, s[8:9]
	s_barrier
	s_and_saveexec_b64 s[8:9], s[38:39]
	s_cbranch_execz .LBB172_118
; %bb.117:
	v_mov_b32_e32 v22, 0
	ds_read_b128 v[22:25], v22 offset:12672
	s_waitcnt lgkmcnt(0)
	v_mul_f64 v[26:27], v[13:14], v[24:25]
	v_mul_f64 v[24:25], v[11:12], v[24:25]
	v_fma_f64 v[11:12], v[11:12], v[22:23], -v[26:27]
	v_fma_f64 v[13:14], v[13:14], v[22:23], v[24:25]
	v_xor_b32_e32 v23, 0x80000000, v12
	v_xor_b32_e32 v25, 0x80000000, v14
	v_mov_b32_e32 v22, v11
	v_mov_b32_e32 v24, v13
	ds_write_b128 v17, v[22:25]
.LBB172_118:
	s_or_b64 exec, exec, s[8:9]
	s_waitcnt lgkmcnt(0)
	s_barrier
	s_barrier
	s_and_saveexec_b64 s[8:9], s[0:1]
; %bb.119:
	v_lshlrev_b32_e32 v22, 4, v15
	v_lshl_or_b32 v22, v16, 9, v22
	ds_write_b128 v22, v[11:14] offset:13696
; %bb.120:
	s_or_b64 exec, exec, s[8:9]
	s_waitcnt lgkmcnt(0)
	s_barrier
	s_barrier
	s_and_saveexec_b64 s[8:9], vcc
	s_cbranch_execz .LBB172_122
; %bb.121:
	v_mov_b32_e32 v32, 0
	ds_read_b128 v[11:14], v32 offset:13200
	ds_read_b128 v[22:25], v32 offset:12672
	;; [unrolled: 1-line block ×3, first 2 shown]
	s_waitcnt lgkmcnt(1)
	v_mul_f64 v[30:31], v[11:12], v[24:25]
	v_mul_f64 v[24:25], v[13:14], v[24:25]
	v_fma_f64 v[13:14], v[13:14], v[22:23], v[30:31]
	v_fma_f64 v[11:12], v[11:12], v[22:23], -v[24:25]
	s_waitcnt lgkmcnt(0)
	v_mul_f64 v[22:23], v[13:14], v[28:29]
	v_mul_f64 v[24:25], v[11:12], v[28:29]
	v_fma_f64 v[11:12], v[26:27], v[11:12], -v[22:23]
	v_fma_f64 v[13:14], v[26:27], v[13:14], v[24:25]
	ds_write_b128 v32, v[11:14] offset:13184
.LBB172_122:
	s_or_b64 exec, exec, s[8:9]
	v_lshrrev_b32_e32 v24, 3, v18
	v_mov_b32_e32 v13, 0
	v_mov_b32_e32 v11, 0
	v_and_b32_e32 v22, 7, v0
	v_sub_u32_e32 v23, 7, v24
	v_cmp_lt_u32_e64 s[8:9], 63, v18
	v_mov_b32_e32 v14, 0
	v_mov_b32_e32 v12, 0
	v_cmp_gt_u32_e64 s[12:13], 64, v18
	s_waitcnt lgkmcnt(0)
	s_barrier
	buffer_wbinvl1_vol
	s_and_saveexec_b64 s[14:15], s[12:13]
	s_cbranch_execz .LBB172_132
; %bb.123:
	v_lshlrev_b32_e32 v26, 9, v23
	v_lshlrev_b32_e32 v25, 4, v22
	ds_read_b128 v[11:14], v26 offset:12672
	ds_read_b128 v[27:30], v25 offset:12544
	v_cmp_gt_u32_e64 s[10:11], 56, v18
	s_waitcnt lgkmcnt(0)
	v_mul_f64 v[31:32], v[13:14], v[29:30]
	v_mul_f64 v[29:30], v[11:12], v[29:30]
	v_fma_f64 v[11:12], v[11:12], v[27:28], -v[31:32]
	v_fma_f64 v[13:14], v[13:14], v[27:28], v[29:30]
	v_add_f64 v[11:12], v[11:12], 0
	v_add_f64 v[13:14], v[13:14], 0
	s_and_saveexec_b64 s[54:55], s[10:11]
	s_cbranch_execnz .LBB172_522
; %bb.124:
	s_or_b64 exec, exec, s[54:55]
	v_cmp_gt_u32_e64 s[10:11], 48, v18
	s_and_saveexec_b64 s[54:55], s[10:11]
	s_cbranch_execnz .LBB172_523
.LBB172_125:
	s_or_b64 exec, exec, s[54:55]
	v_cmp_gt_u32_e64 s[10:11], 40, v18
	s_and_saveexec_b64 s[54:55], s[10:11]
	s_cbranch_execnz .LBB172_524
.LBB172_126:
	s_or_b64 exec, exec, s[54:55]
	v_cmp_gt_u32_e64 s[10:11], 32, v18
	s_and_saveexec_b64 s[54:55], s[10:11]
	s_cbranch_execnz .LBB172_525
.LBB172_127:
	s_or_b64 exec, exec, s[54:55]
	v_cmp_gt_u32_e64 s[10:11], 24, v18
	s_and_saveexec_b64 s[54:55], s[10:11]
	s_cbranch_execnz .LBB172_526
.LBB172_128:
	s_or_b64 exec, exec, s[54:55]
	s_and_saveexec_b64 s[10:11], s[2:3]
	s_cbranch_execnz .LBB172_527
.LBB172_129:
	s_or_b64 exec, exec, s[10:11]
	v_cmp_gt_u32_e64 s[10:11], 8, v18
	s_and_saveexec_b64 s[54:55], s[10:11]
	s_cbranch_execz .LBB172_131
.LBB172_130:
	v_lshlrev_b32_e32 v29, 4, v0
	v_mov_b32_e32 v25, 0
	ds_read_b128 v[25:28], v25 offset:16368
	ds_read_b128 v[29:32], v29 offset:16128
	s_waitcnt lgkmcnt(0)
	v_mul_f64 v[33:34], v[27:28], v[31:32]
	v_mul_f64 v[31:32], v[25:26], v[31:32]
	v_fma_f64 v[25:26], v[25:26], v[29:30], -v[33:34]
	v_fma_f64 v[27:28], v[27:28], v[29:30], v[31:32]
	v_add_f64 v[11:12], v[11:12], v[25:26]
	v_add_f64 v[13:14], v[13:14], v[27:28]
.LBB172_131:
	s_or_b64 exec, exec, s[54:55]
.LBB172_132:
	s_or_b64 exec, exec, s[14:15]
	v_mov_b32_e32 v25, 0x4000
	v_cmp_eq_u32_e64 s[10:11], 7, v22
	s_xor_b64 s[14:15], s[8:9], -1
	v_lshl_add_u32 v24, v24, 4, v25
	s_and_b64 s[56:57], s[10:11], s[14:15]
	s_and_saveexec_b64 s[8:9], s[56:57]
	s_cbranch_execz .LBB172_134
; %bb.133:
	v_mov_b32_e32 v25, 0
	ds_read_b128 v[25:28], v25 offset:12144
	s_waitcnt lgkmcnt(0)
	v_mul_f64 v[29:30], v[13:14], v[27:28]
	v_mul_f64 v[27:28], v[11:12], v[27:28]
	v_fma_f64 v[11:12], v[11:12], v[25:26], -v[29:30]
	v_fma_f64 v[13:14], v[13:14], v[25:26], v[27:28]
	v_xor_b32_e32 v26, 0x80000000, v12
	v_xor_b32_e32 v28, 0x80000000, v14
	v_mov_b32_e32 v25, v11
	v_mov_b32_e32 v27, v13
	ds_write_b128 v24, v[25:28]
.LBB172_134:
	s_or_b64 exec, exec, s[8:9]
	v_cmp_ne_u32_e64 s[8:9], 7, v22
	s_and_b64 s[58:59], s[8:9], s[14:15]
	s_waitcnt lgkmcnt(0)
	s_barrier
	s_and_saveexec_b64 s[8:9], s[58:59]
	s_cbranch_execz .LBB172_136
; %bb.135:
	v_lshlrev_b32_e32 v29, 4, v22
	ds_read_b128 v[25:28], v24
	ds_read_b128 v[29:32], v29 offset:12032
	s_waitcnt lgkmcnt(0)
	v_mul_f64 v[33:34], v[27:28], v[31:32]
	v_mul_f64 v[31:32], v[25:26], v[31:32]
	v_fma_f64 v[25:26], v[25:26], v[29:30], -v[33:34]
	v_fma_f64 v[27:28], v[27:28], v[29:30], v[31:32]
	v_add_f64 v[11:12], v[11:12], -v[25:26]
	v_add_f64 v[13:14], v[13:14], -v[27:28]
.LBB172_136:
	s_or_b64 exec, exec, s[8:9]
	v_cmp_eq_u32_e64 s[8:9], 6, v22
	s_and_b64 s[60:61], s[8:9], s[14:15]
	s_barrier
	s_and_saveexec_b64 s[8:9], s[60:61]
	s_cbranch_execz .LBB172_138
; %bb.137:
	v_mov_b32_e32 v25, 0
	ds_read_b128 v[25:28], v25 offset:11616
	s_waitcnt lgkmcnt(0)
	v_mul_f64 v[29:30], v[13:14], v[27:28]
	v_mul_f64 v[27:28], v[11:12], v[27:28]
	v_fma_f64 v[11:12], v[11:12], v[25:26], -v[29:30]
	v_fma_f64 v[13:14], v[13:14], v[25:26], v[27:28]
	v_xor_b32_e32 v26, 0x80000000, v12
	v_xor_b32_e32 v28, 0x80000000, v14
	v_mov_b32_e32 v25, v11
	v_mov_b32_e32 v27, v13
	ds_write_b128 v24, v[25:28]
.LBB172_138:
	s_or_b64 exec, exec, s[8:9]
	v_cmp_gt_u32_e64 s[8:9], 6, v22
	s_and_b64 s[62:63], s[8:9], s[14:15]
	s_waitcnt lgkmcnt(0)
	s_barrier
	s_and_saveexec_b64 s[8:9], s[62:63]
	s_cbranch_execz .LBB172_140
; %bb.139:
	v_lshlrev_b32_e32 v29, 4, v22
	ds_read_b128 v[25:28], v24
	ds_read_b128 v[29:32], v29 offset:11520
	s_waitcnt lgkmcnt(0)
	v_mul_f64 v[33:34], v[27:28], v[31:32]
	v_mul_f64 v[31:32], v[25:26], v[31:32]
	v_fma_f64 v[25:26], v[25:26], v[29:30], -v[33:34]
	v_fma_f64 v[27:28], v[27:28], v[29:30], v[31:32]
	v_add_f64 v[11:12], v[11:12], -v[25:26]
	v_add_f64 v[13:14], v[13:14], -v[27:28]
.LBB172_140:
	s_or_b64 exec, exec, s[8:9]
	v_cmp_eq_u32_e64 s[8:9], 5, v22
	s_and_b64 s[64:65], s[8:9], s[14:15]
	s_barrier
	s_and_saveexec_b64 s[8:9], s[64:65]
	s_cbranch_execz .LBB172_142
; %bb.141:
	v_mov_b32_e32 v25, 0
	ds_read_b128 v[25:28], v25 offset:11088
	s_waitcnt lgkmcnt(0)
	v_mul_f64 v[29:30], v[13:14], v[27:28]
	v_mul_f64 v[27:28], v[11:12], v[27:28]
	v_fma_f64 v[11:12], v[11:12], v[25:26], -v[29:30]
	v_fma_f64 v[13:14], v[13:14], v[25:26], v[27:28]
	v_xor_b32_e32 v26, 0x80000000, v12
	v_xor_b32_e32 v28, 0x80000000, v14
	v_mov_b32_e32 v25, v11
	v_mov_b32_e32 v27, v13
	ds_write_b128 v24, v[25:28]
.LBB172_142:
	s_or_b64 exec, exec, s[8:9]
	v_cmp_gt_u32_e64 s[8:9], 5, v22
	;; [unrolled: 39-line block ×5, first 2 shown]
	s_and_b64 s[78:79], s[8:9], s[14:15]
	s_waitcnt lgkmcnt(0)
	s_barrier
	s_and_saveexec_b64 s[8:9], s[78:79]
	s_cbranch_execz .LBB172_156
; %bb.155:
	v_lshlrev_b32_e32 v29, 4, v22
	ds_read_b128 v[25:28], v24
	ds_read_b128 v[29:32], v29 offset:9472
	s_waitcnt lgkmcnt(0)
	v_mul_f64 v[33:34], v[27:28], v[31:32]
	v_mul_f64 v[31:32], v[25:26], v[31:32]
	v_fma_f64 v[25:26], v[25:26], v[29:30], -v[33:34]
	v_fma_f64 v[27:28], v[27:28], v[29:30], v[31:32]
	v_add_f64 v[11:12], v[11:12], -v[25:26]
	v_add_f64 v[13:14], v[13:14], -v[27:28]
.LBB172_156:
	s_or_b64 exec, exec, s[8:9]
	v_cmp_eq_u32_e64 s[8:9], 1, v22
	s_and_b64 s[80:81], s[8:9], s[14:15]
	s_barrier
	s_and_saveexec_b64 s[8:9], s[80:81]
	s_cbranch_execz .LBB172_158
; %bb.157:
	v_mov_b32_e32 v25, 0
	ds_read_b128 v[25:28], v25 offset:8976
	s_waitcnt lgkmcnt(0)
	v_mul_f64 v[29:30], v[13:14], v[27:28]
	v_mul_f64 v[27:28], v[11:12], v[27:28]
	v_fma_f64 v[11:12], v[11:12], v[25:26], -v[29:30]
	v_fma_f64 v[13:14], v[13:14], v[25:26], v[27:28]
	v_xor_b32_e32 v26, 0x80000000, v12
	v_xor_b32_e32 v28, 0x80000000, v14
	v_mov_b32_e32 v25, v11
	v_mov_b32_e32 v27, v13
	ds_write_b128 v24, v[25:28]
.LBB172_158:
	s_or_b64 exec, exec, s[8:9]
	v_cmp_eq_u32_e64 s[8:9], 0, v22
	s_and_b64 s[54:55], s[8:9], s[14:15]
	s_waitcnt lgkmcnt(0)
	s_barrier
	s_and_saveexec_b64 s[8:9], s[54:55]
	s_cbranch_execz .LBB172_160
; %bb.159:
	v_mov_b32_e32 v29, 0
	ds_read_b128 v[25:28], v24
	ds_read_b128 v[29:32], v29 offset:8960
	s_waitcnt lgkmcnt(0)
	v_mul_f64 v[33:34], v[27:28], v[31:32]
	v_mul_f64 v[31:32], v[25:26], v[31:32]
	v_fma_f64 v[25:26], v[25:26], v[29:30], -v[33:34]
	v_fma_f64 v[27:28], v[27:28], v[29:30], v[31:32]
	v_add_f64 v[11:12], v[11:12], -v[25:26]
	v_add_f64 v[13:14], v[13:14], -v[27:28]
.LBB172_160:
	s_or_b64 exec, exec, s[8:9]
	s_barrier
	s_and_saveexec_b64 s[8:9], s[54:55]
	s_cbranch_execz .LBB172_162
; %bb.161:
	v_mov_b32_e32 v25, 0
	ds_read_b128 v[25:28], v25 offset:8448
	s_waitcnt lgkmcnt(0)
	v_mul_f64 v[29:30], v[13:14], v[27:28]
	v_mul_f64 v[27:28], v[11:12], v[27:28]
	v_fma_f64 v[11:12], v[11:12], v[25:26], -v[29:30]
	v_fma_f64 v[13:14], v[13:14], v[25:26], v[27:28]
	v_xor_b32_e32 v26, 0x80000000, v12
	v_xor_b32_e32 v28, 0x80000000, v14
	v_mov_b32_e32 v25, v11
	v_mov_b32_e32 v27, v13
	ds_write_b128 v24, v[25:28]
.LBB172_162:
	s_or_b64 exec, exec, s[8:9]
	s_waitcnt lgkmcnt(0)
	s_barrier
	s_barrier
	s_and_saveexec_b64 s[8:9], s[12:13]
; %bb.163:
	v_lshlrev_b32_e32 v25, 4, v22
	v_lshl_or_b32 v25, v23, 9, v25
	ds_write_b128 v25, v[11:14] offset:12544
; %bb.164:
	s_or_b64 exec, exec, s[8:9]
	s_waitcnt lgkmcnt(0)
	s_barrier
	s_barrier
	s_and_saveexec_b64 s[8:9], vcc
	s_cbranch_execz .LBB172_166
; %bb.165:
	v_mov_b32_e32 v35, 0
	ds_read_b128 v[11:14], v35 offset:12144
	ds_read_b128 v[25:28], v35 offset:11616
	;; [unrolled: 1-line block ×3, first 2 shown]
	s_waitcnt lgkmcnt(1)
	v_mul_f64 v[33:34], v[11:12], v[27:28]
	v_mul_f64 v[27:28], v[13:14], v[27:28]
	v_fma_f64 v[13:14], v[13:14], v[25:26], v[33:34]
	v_fma_f64 v[11:12], v[11:12], v[25:26], -v[27:28]
	s_waitcnt lgkmcnt(0)
	v_mul_f64 v[25:26], v[13:14], v[31:32]
	v_mul_f64 v[27:28], v[11:12], v[31:32]
	v_fma_f64 v[11:12], v[29:30], v[11:12], -v[25:26]
	v_fma_f64 v[13:14], v[29:30], v[13:14], v[27:28]
	ds_write_b128 v35, v[11:14] offset:12128
.LBB172_166:
	s_or_b64 exec, exec, s[8:9]
	v_mov_b32_e32 v11, 0
	v_mov_b32_e32 v13, 0
	;; [unrolled: 1-line block ×4, first 2 shown]
	s_waitcnt lgkmcnt(0)
	s_barrier
	buffer_wbinvl1_vol
	s_and_saveexec_b64 s[10:11], s[0:1]
	s_cbranch_execz .LBB172_170
; %bb.167:
	v_lshlrev_b32_e32 v25, 4, v15
	v_lshlrev_b32_e32 v11, 9, v16
	ds_read_b128 v[11:14], v11 offset:11616
	ds_read_b128 v[25:28], v25 offset:11584
	v_cmp_gt_u32_e64 s[8:9], 2, v18
	s_waitcnt lgkmcnt(0)
	v_mul_f64 v[29:30], v[13:14], v[27:28]
	v_mul_f64 v[27:28], v[11:12], v[27:28]
	v_fma_f64 v[11:12], v[11:12], v[25:26], -v[29:30]
	v_fma_f64 v[13:14], v[13:14], v[25:26], v[27:28]
	v_add_f64 v[11:12], v[11:12], 0
	v_add_f64 v[13:14], v[13:14], 0
	s_and_saveexec_b64 s[14:15], s[8:9]
	s_cbranch_execz .LBB172_169
; %bb.168:
	v_lshlrev_b32_e32 v29, 4, v0
	v_mov_b32_e32 v25, 0
	ds_read_b128 v[25:28], v25 offset:12144
	ds_read_b128 v[29:32], v29 offset:12096
	s_waitcnt lgkmcnt(0)
	v_mul_f64 v[33:34], v[27:28], v[31:32]
	v_mul_f64 v[31:32], v[25:26], v[31:32]
	v_fma_f64 v[25:26], v[25:26], v[29:30], -v[33:34]
	v_fma_f64 v[27:28], v[27:28], v[29:30], v[31:32]
	v_add_f64 v[11:12], v[11:12], v[25:26]
	v_add_f64 v[13:14], v[13:14], v[27:28]
.LBB172_169:
	s_or_b64 exec, exec, s[14:15]
.LBB172_170:
	s_or_b64 exec, exec, s[10:11]
	s_and_saveexec_b64 s[8:9], s[40:41]
	s_cbranch_execz .LBB172_172
; %bb.171:
	v_mov_b32_e32 v25, 0
	ds_read_b128 v[25:28], v25 offset:11088
	s_waitcnt lgkmcnt(0)
	v_mul_f64 v[29:30], v[13:14], v[27:28]
	v_mul_f64 v[27:28], v[11:12], v[27:28]
	v_fma_f64 v[11:12], v[11:12], v[25:26], -v[29:30]
	v_fma_f64 v[13:14], v[13:14], v[25:26], v[27:28]
	v_xor_b32_e32 v26, 0x80000000, v12
	v_xor_b32_e32 v28, 0x80000000, v14
	v_mov_b32_e32 v25, v11
	v_mov_b32_e32 v27, v13
	ds_write_b128 v17, v[25:28]
.LBB172_172:
	s_or_b64 exec, exec, s[8:9]
	s_waitcnt lgkmcnt(0)
	s_barrier
	s_and_saveexec_b64 s[8:9], s[38:39]
	s_cbranch_execz .LBB172_174
; %bb.173:
	v_mov_b32_e32 v29, 0
	ds_read_b128 v[25:28], v17
	ds_read_b128 v[29:32], v29 offset:11072
	s_waitcnt lgkmcnt(0)
	v_mul_f64 v[33:34], v[27:28], v[31:32]
	v_mul_f64 v[31:32], v[25:26], v[31:32]
	v_fma_f64 v[25:26], v[25:26], v[29:30], -v[33:34]
	v_fma_f64 v[27:28], v[27:28], v[29:30], v[31:32]
	v_add_f64 v[11:12], v[11:12], -v[25:26]
	v_add_f64 v[13:14], v[13:14], -v[27:28]
.LBB172_174:
	s_or_b64 exec, exec, s[8:9]
	s_barrier
	s_and_saveexec_b64 s[8:9], s[38:39]
	s_cbranch_execz .LBB172_176
; %bb.175:
	v_mov_b32_e32 v25, 0
	ds_read_b128 v[25:28], v25 offset:10560
	s_waitcnt lgkmcnt(0)
	v_mul_f64 v[29:30], v[13:14], v[27:28]
	v_mul_f64 v[27:28], v[11:12], v[27:28]
	v_fma_f64 v[11:12], v[11:12], v[25:26], -v[29:30]
	v_fma_f64 v[13:14], v[13:14], v[25:26], v[27:28]
	v_xor_b32_e32 v26, 0x80000000, v12
	v_xor_b32_e32 v28, 0x80000000, v14
	v_mov_b32_e32 v25, v11
	v_mov_b32_e32 v27, v13
	ds_write_b128 v17, v[25:28]
.LBB172_176:
	s_or_b64 exec, exec, s[8:9]
	s_waitcnt lgkmcnt(0)
	s_barrier
	s_barrier
	s_and_saveexec_b64 s[8:9], s[0:1]
; %bb.177:
	v_lshlrev_b32_e32 v25, 4, v15
	v_lshl_or_b32 v25, v16, 9, v25
	ds_write_b128 v25, v[11:14] offset:11584
; %bb.178:
	s_or_b64 exec, exec, s[8:9]
	s_waitcnt lgkmcnt(0)
	s_barrier
	s_barrier
	s_and_saveexec_b64 s[8:9], vcc
	s_cbranch_execz .LBB172_180
; %bb.179:
	v_mov_b32_e32 v35, 0
	ds_read_b128 v[11:14], v35 offset:11088
	ds_read_b128 v[25:28], v35 offset:10560
	;; [unrolled: 1-line block ×3, first 2 shown]
	s_waitcnt lgkmcnt(1)
	v_mul_f64 v[33:34], v[11:12], v[27:28]
	v_mul_f64 v[27:28], v[13:14], v[27:28]
	v_fma_f64 v[13:14], v[13:14], v[25:26], v[33:34]
	v_fma_f64 v[11:12], v[11:12], v[25:26], -v[27:28]
	s_waitcnt lgkmcnt(0)
	v_mul_f64 v[25:26], v[13:14], v[31:32]
	v_mul_f64 v[27:28], v[11:12], v[31:32]
	v_fma_f64 v[11:12], v[29:30], v[11:12], -v[25:26]
	v_fma_f64 v[13:14], v[29:30], v[13:14], v[27:28]
	ds_write_b128 v35, v[11:14] offset:11072
.LBB172_180:
	s_or_b64 exec, exec, s[8:9]
	v_mov_b32_e32 v13, 0
	v_mov_b32_e32 v11, 0
	;; [unrolled: 1-line block ×4, first 2 shown]
	s_waitcnt lgkmcnt(0)
	s_barrier
	buffer_wbinvl1_vol
	s_and_saveexec_b64 s[10:11], s[2:3]
	s_cbranch_execz .LBB172_186
; %bb.181:
	v_lshlrev_b32_e32 v26, 9, v20
	v_lshlrev_b32_e32 v25, 4, v19
	ds_read_b128 v[11:14], v26 offset:10560
	ds_read_b128 v[27:30], v25 offset:10496
	v_cmp_gt_u32_e64 s[8:9], 12, v18
	s_waitcnt lgkmcnt(0)
	v_mul_f64 v[31:32], v[13:14], v[29:30]
	v_mul_f64 v[29:30], v[11:12], v[29:30]
	v_fma_f64 v[11:12], v[11:12], v[27:28], -v[31:32]
	v_fma_f64 v[13:14], v[13:14], v[27:28], v[29:30]
	v_add_f64 v[11:12], v[11:12], 0
	v_add_f64 v[13:14], v[13:14], 0
	s_and_saveexec_b64 s[14:15], s[8:9]
	s_cbranch_execnz .LBB172_528
; %bb.182:
	s_or_b64 exec, exec, s[14:15]
	v_cmp_gt_u32_e64 s[8:9], 8, v18
	s_and_saveexec_b64 s[14:15], s[8:9]
	s_cbranch_execnz .LBB172_529
.LBB172_183:
	s_or_b64 exec, exec, s[14:15]
	v_cmp_gt_u32_e64 s[8:9], 4, v18
	s_and_saveexec_b64 s[14:15], s[8:9]
	s_cbranch_execz .LBB172_185
.LBB172_184:
	v_lshlrev_b32_e32 v29, 4, v0
	v_mov_b32_e32 v25, 0
	ds_read_b128 v[25:28], v25 offset:12144
	ds_read_b128 v[29:32], v29 offset:12032
	s_waitcnt lgkmcnt(0)
	v_mul_f64 v[33:34], v[27:28], v[31:32]
	v_mul_f64 v[31:32], v[25:26], v[31:32]
	v_fma_f64 v[25:26], v[25:26], v[29:30], -v[33:34]
	v_fma_f64 v[27:28], v[27:28], v[29:30], v[31:32]
	v_add_f64 v[11:12], v[11:12], v[25:26]
	v_add_f64 v[13:14], v[13:14], v[27:28]
.LBB172_185:
	s_or_b64 exec, exec, s[14:15]
.LBB172_186:
	s_or_b64 exec, exec, s[10:11]
	s_and_saveexec_b64 s[8:9], s[44:45]
	s_cbranch_execz .LBB172_188
; %bb.187:
	v_mov_b32_e32 v25, 0
	ds_read_b128 v[25:28], v25 offset:10032
	s_waitcnt lgkmcnt(0)
	v_mul_f64 v[29:30], v[13:14], v[27:28]
	v_mul_f64 v[27:28], v[11:12], v[27:28]
	v_fma_f64 v[11:12], v[11:12], v[25:26], -v[29:30]
	v_fma_f64 v[13:14], v[13:14], v[25:26], v[27:28]
	v_xor_b32_e32 v26, 0x80000000, v12
	v_xor_b32_e32 v28, 0x80000000, v14
	v_mov_b32_e32 v25, v11
	v_mov_b32_e32 v27, v13
	ds_write_b128 v21, v[25:28]
.LBB172_188:
	s_or_b64 exec, exec, s[8:9]
	s_waitcnt lgkmcnt(0)
	s_barrier
	s_and_saveexec_b64 s[8:9], s[46:47]
	s_cbranch_execz .LBB172_190
; %bb.189:
	v_lshlrev_b32_e32 v29, 4, v19
	ds_read_b128 v[25:28], v21
	ds_read_b128 v[29:32], v29 offset:9984
	s_waitcnt lgkmcnt(0)
	v_mul_f64 v[33:34], v[27:28], v[31:32]
	v_mul_f64 v[31:32], v[25:26], v[31:32]
	v_fma_f64 v[25:26], v[25:26], v[29:30], -v[33:34]
	v_fma_f64 v[27:28], v[27:28], v[29:30], v[31:32]
	v_add_f64 v[11:12], v[11:12], -v[25:26]
	v_add_f64 v[13:14], v[13:14], -v[27:28]
.LBB172_190:
	s_or_b64 exec, exec, s[8:9]
	s_barrier
	s_and_saveexec_b64 s[8:9], s[48:49]
	s_cbranch_execz .LBB172_192
; %bb.191:
	v_mov_b32_e32 v25, 0
	ds_read_b128 v[25:28], v25 offset:9504
	s_waitcnt lgkmcnt(0)
	v_mul_f64 v[29:30], v[13:14], v[27:28]
	v_mul_f64 v[27:28], v[11:12], v[27:28]
	v_fma_f64 v[11:12], v[11:12], v[25:26], -v[29:30]
	v_fma_f64 v[13:14], v[13:14], v[25:26], v[27:28]
	v_xor_b32_e32 v26, 0x80000000, v12
	v_xor_b32_e32 v28, 0x80000000, v14
	v_mov_b32_e32 v25, v11
	v_mov_b32_e32 v27, v13
	ds_write_b128 v21, v[25:28]
.LBB172_192:
	s_or_b64 exec, exec, s[8:9]
	s_waitcnt lgkmcnt(0)
	s_barrier
	s_and_saveexec_b64 s[8:9], s[50:51]
	s_cbranch_execz .LBB172_194
; %bb.193:
	v_lshlrev_b32_e32 v29, 4, v19
	ds_read_b128 v[25:28], v21
	ds_read_b128 v[29:32], v29 offset:9472
	s_waitcnt lgkmcnt(0)
	v_mul_f64 v[33:34], v[27:28], v[31:32]
	v_mul_f64 v[31:32], v[25:26], v[31:32]
	v_fma_f64 v[25:26], v[25:26], v[29:30], -v[33:34]
	v_fma_f64 v[27:28], v[27:28], v[29:30], v[31:32]
	v_add_f64 v[11:12], v[11:12], -v[25:26]
	v_add_f64 v[13:14], v[13:14], -v[27:28]
.LBB172_194:
	s_or_b64 exec, exec, s[8:9]
	s_barrier
	s_and_saveexec_b64 s[8:9], s[52:53]
	s_cbranch_execz .LBB172_196
; %bb.195:
	v_mov_b32_e32 v25, 0
	ds_read_b128 v[25:28], v25 offset:8976
	s_waitcnt lgkmcnt(0)
	v_mul_f64 v[29:30], v[13:14], v[27:28]
	v_mul_f64 v[27:28], v[11:12], v[27:28]
	v_fma_f64 v[11:12], v[11:12], v[25:26], -v[29:30]
	v_fma_f64 v[13:14], v[13:14], v[25:26], v[27:28]
	v_xor_b32_e32 v26, 0x80000000, v12
	v_xor_b32_e32 v28, 0x80000000, v14
	v_mov_b32_e32 v25, v11
	v_mov_b32_e32 v27, v13
	ds_write_b128 v21, v[25:28]
.LBB172_196:
	s_or_b64 exec, exec, s[8:9]
	s_waitcnt lgkmcnt(0)
	s_barrier
	s_and_saveexec_b64 s[8:9], s[42:43]
	s_cbranch_execz .LBB172_198
; %bb.197:
	v_mov_b32_e32 v29, 0
	ds_read_b128 v[25:28], v21
	ds_read_b128 v[29:32], v29 offset:8960
	s_waitcnt lgkmcnt(0)
	v_mul_f64 v[33:34], v[27:28], v[31:32]
	v_mul_f64 v[31:32], v[25:26], v[31:32]
	v_fma_f64 v[25:26], v[25:26], v[29:30], -v[33:34]
	v_fma_f64 v[27:28], v[27:28], v[29:30], v[31:32]
	v_add_f64 v[11:12], v[11:12], -v[25:26]
	v_add_f64 v[13:14], v[13:14], -v[27:28]
.LBB172_198:
	s_or_b64 exec, exec, s[8:9]
	s_barrier
	s_and_saveexec_b64 s[8:9], s[42:43]
	s_cbranch_execz .LBB172_200
; %bb.199:
	v_mov_b32_e32 v25, 0
	ds_read_b128 v[25:28], v25 offset:8448
	s_waitcnt lgkmcnt(0)
	v_mul_f64 v[29:30], v[13:14], v[27:28]
	v_mul_f64 v[27:28], v[11:12], v[27:28]
	v_fma_f64 v[11:12], v[11:12], v[25:26], -v[29:30]
	v_fma_f64 v[13:14], v[13:14], v[25:26], v[27:28]
	v_xor_b32_e32 v26, 0x80000000, v12
	v_xor_b32_e32 v28, 0x80000000, v14
	v_mov_b32_e32 v25, v11
	v_mov_b32_e32 v27, v13
	ds_write_b128 v21, v[25:28]
.LBB172_200:
	s_or_b64 exec, exec, s[8:9]
	s_waitcnt lgkmcnt(0)
	s_barrier
	s_barrier
	s_and_saveexec_b64 s[8:9], s[2:3]
; %bb.201:
	v_lshlrev_b32_e32 v25, 4, v19
	v_lshl_or_b32 v25, v20, 9, v25
	ds_write_b128 v25, v[11:14] offset:10496
; %bb.202:
	s_or_b64 exec, exec, s[8:9]
	s_waitcnt lgkmcnt(0)
	s_barrier
	s_barrier
	s_and_saveexec_b64 s[8:9], vcc
	s_cbranch_execz .LBB172_204
; %bb.203:
	v_mov_b32_e32 v35, 0
	ds_read_b128 v[11:14], v35 offset:10032
	ds_read_b128 v[25:28], v35 offset:9504
	;; [unrolled: 1-line block ×3, first 2 shown]
	s_waitcnt lgkmcnt(1)
	v_mul_f64 v[33:34], v[11:12], v[27:28]
	v_mul_f64 v[27:28], v[13:14], v[27:28]
	v_fma_f64 v[13:14], v[13:14], v[25:26], v[33:34]
	v_fma_f64 v[11:12], v[11:12], v[25:26], -v[27:28]
	s_waitcnt lgkmcnt(0)
	v_mul_f64 v[25:26], v[13:14], v[31:32]
	v_mul_f64 v[27:28], v[11:12], v[31:32]
	v_fma_f64 v[11:12], v[29:30], v[11:12], -v[25:26]
	v_fma_f64 v[13:14], v[29:30], v[13:14], v[27:28]
	ds_write_b128 v35, v[11:14] offset:10016
.LBB172_204:
	s_or_b64 exec, exec, s[8:9]
	v_mov_b32_e32 v11, 0
	v_mov_b32_e32 v13, 0
	;; [unrolled: 1-line block ×4, first 2 shown]
	s_waitcnt lgkmcnt(0)
	s_barrier
	buffer_wbinvl1_vol
	s_and_saveexec_b64 s[10:11], s[0:1]
	s_cbranch_execz .LBB172_208
; %bb.205:
	v_lshlrev_b32_e32 v25, 4, v15
	v_lshlrev_b32_e32 v11, 9, v16
	ds_read_b128 v[11:14], v11 offset:9504
	ds_read_b128 v[25:28], v25 offset:9472
	v_cmp_gt_u32_e64 s[8:9], 2, v18
	s_waitcnt lgkmcnt(0)
	v_mul_f64 v[29:30], v[13:14], v[27:28]
	v_mul_f64 v[27:28], v[11:12], v[27:28]
	v_fma_f64 v[11:12], v[11:12], v[25:26], -v[29:30]
	v_fma_f64 v[13:14], v[13:14], v[25:26], v[27:28]
	v_add_f64 v[11:12], v[11:12], 0
	v_add_f64 v[13:14], v[13:14], 0
	s_and_saveexec_b64 s[14:15], s[8:9]
	s_cbranch_execz .LBB172_207
; %bb.206:
	v_lshlrev_b32_e32 v29, 4, v0
	v_mov_b32_e32 v25, 0
	ds_read_b128 v[25:28], v25 offset:10032
	ds_read_b128 v[29:32], v29 offset:9984
	s_waitcnt lgkmcnt(0)
	v_mul_f64 v[33:34], v[27:28], v[31:32]
	v_mul_f64 v[31:32], v[25:26], v[31:32]
	v_fma_f64 v[25:26], v[25:26], v[29:30], -v[33:34]
	v_fma_f64 v[27:28], v[27:28], v[29:30], v[31:32]
	v_add_f64 v[11:12], v[11:12], v[25:26]
	v_add_f64 v[13:14], v[13:14], v[27:28]
.LBB172_207:
	s_or_b64 exec, exec, s[14:15]
.LBB172_208:
	s_or_b64 exec, exec, s[10:11]
	s_and_saveexec_b64 s[8:9], s[40:41]
	s_cbranch_execz .LBB172_210
; %bb.209:
	v_mov_b32_e32 v25, 0
	ds_read_b128 v[25:28], v25 offset:8976
	s_waitcnt lgkmcnt(0)
	v_mul_f64 v[29:30], v[13:14], v[27:28]
	v_mul_f64 v[27:28], v[11:12], v[27:28]
	v_fma_f64 v[11:12], v[11:12], v[25:26], -v[29:30]
	v_fma_f64 v[13:14], v[13:14], v[25:26], v[27:28]
	v_xor_b32_e32 v26, 0x80000000, v12
	v_xor_b32_e32 v28, 0x80000000, v14
	v_mov_b32_e32 v25, v11
	v_mov_b32_e32 v27, v13
	ds_write_b128 v17, v[25:28]
.LBB172_210:
	s_or_b64 exec, exec, s[8:9]
	s_waitcnt lgkmcnt(0)
	s_barrier
	s_and_saveexec_b64 s[8:9], s[38:39]
	s_cbranch_execz .LBB172_212
; %bb.211:
	v_mov_b32_e32 v29, 0
	ds_read_b128 v[25:28], v17
	ds_read_b128 v[29:32], v29 offset:8960
	s_waitcnt lgkmcnt(0)
	v_mul_f64 v[33:34], v[27:28], v[31:32]
	v_mul_f64 v[31:32], v[25:26], v[31:32]
	v_fma_f64 v[25:26], v[25:26], v[29:30], -v[33:34]
	v_fma_f64 v[27:28], v[27:28], v[29:30], v[31:32]
	v_add_f64 v[11:12], v[11:12], -v[25:26]
	v_add_f64 v[13:14], v[13:14], -v[27:28]
.LBB172_212:
	s_or_b64 exec, exec, s[8:9]
	s_barrier
	s_and_saveexec_b64 s[8:9], s[38:39]
	s_cbranch_execz .LBB172_214
; %bb.213:
	v_mov_b32_e32 v25, 0
	ds_read_b128 v[25:28], v25 offset:8448
	s_waitcnt lgkmcnt(0)
	v_mul_f64 v[29:30], v[13:14], v[27:28]
	v_mul_f64 v[27:28], v[11:12], v[27:28]
	v_fma_f64 v[11:12], v[11:12], v[25:26], -v[29:30]
	v_fma_f64 v[13:14], v[13:14], v[25:26], v[27:28]
	v_xor_b32_e32 v26, 0x80000000, v12
	v_xor_b32_e32 v28, 0x80000000, v14
	v_mov_b32_e32 v25, v11
	v_mov_b32_e32 v27, v13
	ds_write_b128 v17, v[25:28]
.LBB172_214:
	s_or_b64 exec, exec, s[8:9]
	s_waitcnt lgkmcnt(0)
	s_barrier
	s_barrier
	s_and_saveexec_b64 s[8:9], s[0:1]
; %bb.215:
	v_lshlrev_b32_e32 v25, 4, v15
	v_lshl_or_b32 v25, v16, 9, v25
	ds_write_b128 v25, v[11:14] offset:9472
; %bb.216:
	s_or_b64 exec, exec, s[8:9]
	s_waitcnt lgkmcnt(0)
	s_barrier
	s_barrier
	s_and_saveexec_b64 s[8:9], vcc
	s_cbranch_execz .LBB172_218
; %bb.217:
	v_mov_b32_e32 v35, 0
	ds_read_b128 v[11:14], v35 offset:8976
	ds_read_b128 v[25:28], v35 offset:8448
	;; [unrolled: 1-line block ×3, first 2 shown]
	s_waitcnt lgkmcnt(1)
	v_mul_f64 v[33:34], v[11:12], v[27:28]
	v_mul_f64 v[27:28], v[13:14], v[27:28]
	v_fma_f64 v[13:14], v[13:14], v[25:26], v[33:34]
	v_fma_f64 v[11:12], v[11:12], v[25:26], -v[27:28]
	s_waitcnt lgkmcnt(0)
	v_mul_f64 v[25:26], v[13:14], v[31:32]
	v_mul_f64 v[27:28], v[11:12], v[31:32]
	v_fma_f64 v[11:12], v[29:30], v[11:12], -v[25:26]
	v_fma_f64 v[13:14], v[29:30], v[13:14], v[27:28]
	ds_write_b128 v35, v[11:14] offset:8960
.LBB172_218:
	s_or_b64 exec, exec, s[8:9]
	s_movk_i32 s8, 0xff
	v_lshrrev_b32_e32 v27, 4, v18
	v_cmp_lt_u32_e64 s[10:11], s8, v18
	s_movk_i32 s8, 0x100
	v_mov_b32_e32 v13, 0
	v_mov_b32_e32 v11, 0
	v_and_b32_e32 v25, 15, v0
	v_sub_u32_e32 v26, 15, v27
	v_mov_b32_e32 v14, 0
	v_mov_b32_e32 v12, 0
	v_cmp_gt_u32_e64 s[8:9], s8, v18
	s_waitcnt lgkmcnt(0)
	s_barrier
	buffer_wbinvl1_vol
	s_and_saveexec_b64 s[82:83], s[8:9]
	s_cbranch_execz .LBB172_246
; %bb.219:
	v_lshlrev_b32_e32 v29, 9, v26
	v_lshlrev_b32_e32 v28, 4, v25
	ds_read_b128 v[11:14], v29 offset:8448
	ds_read_b128 v[30:33], v28 offset:8192
	s_movk_i32 s14, 0xf0
	v_cmp_gt_u32_e64 s[14:15], s14, v18
	s_waitcnt lgkmcnt(0)
	v_mul_f64 v[34:35], v[13:14], v[32:33]
	v_mul_f64 v[32:33], v[11:12], v[32:33]
	v_fma_f64 v[11:12], v[11:12], v[30:31], -v[34:35]
	v_fma_f64 v[13:14], v[13:14], v[30:31], v[32:33]
	v_add_f64 v[11:12], v[11:12], 0
	v_add_f64 v[13:14], v[13:14], 0
	s_and_saveexec_b64 s[84:85], s[14:15]
	s_cbranch_execz .LBB172_221
; %bb.220:
	ds_read_b128 v[30:33], v29 offset:8464
	ds_read_b128 v[34:37], v28 offset:8704
	s_waitcnt lgkmcnt(0)
	v_mul_f64 v[38:39], v[32:33], v[36:37]
	v_mul_f64 v[36:37], v[30:31], v[36:37]
	v_fma_f64 v[30:31], v[30:31], v[34:35], -v[38:39]
	v_fma_f64 v[32:33], v[32:33], v[34:35], v[36:37]
	v_add_f64 v[11:12], v[11:12], v[30:31]
	v_add_f64 v[13:14], v[13:14], v[32:33]
.LBB172_221:
	s_or_b64 exec, exec, s[84:85]
	s_movk_i32 s14, 0xe0
	v_cmp_gt_u32_e64 s[14:15], s14, v18
	s_and_saveexec_b64 s[84:85], s[14:15]
	s_cbranch_execz .LBB172_223
; %bb.222:
	ds_read_b128 v[30:33], v29 offset:8480
	ds_read_b128 v[34:37], v28 offset:9216
	s_waitcnt lgkmcnt(0)
	v_mul_f64 v[38:39], v[32:33], v[36:37]
	v_mul_f64 v[36:37], v[30:31], v[36:37]
	v_fma_f64 v[30:31], v[30:31], v[34:35], -v[38:39]
	v_fma_f64 v[32:33], v[32:33], v[34:35], v[36:37]
	v_add_f64 v[11:12], v[11:12], v[30:31]
	v_add_f64 v[13:14], v[13:14], v[32:33]
.LBB172_223:
	s_or_b64 exec, exec, s[84:85]
	s_movk_i32 s14, 0xd0
	v_cmp_gt_u32_e64 s[14:15], s14, v18
	;; [unrolled: 16-line block ×10, first 2 shown]
	s_and_saveexec_b64 s[84:85], s[14:15]
	s_cbranch_execnz .LBB172_530
; %bb.240:
	s_or_b64 exec, exec, s[84:85]
	s_and_saveexec_b64 s[14:15], s[12:13]
	s_cbranch_execnz .LBB172_531
.LBB172_241:
	s_or_b64 exec, exec, s[14:15]
	v_cmp_gt_u32_e64 s[14:15], 48, v18
	s_and_saveexec_b64 s[84:85], s[14:15]
	s_cbranch_execnz .LBB172_532
.LBB172_242:
	s_or_b64 exec, exec, s[84:85]
	v_cmp_gt_u32_e64 s[14:15], 32, v18
	s_and_saveexec_b64 s[84:85], s[14:15]
	s_cbranch_execnz .LBB172_533
.LBB172_243:
	s_or_b64 exec, exec, s[84:85]
	v_cmp_gt_u32_e64 s[14:15], 16, v18
	s_and_saveexec_b64 s[84:85], s[14:15]
	s_cbranch_execz .LBB172_245
.LBB172_244:
	v_lshlrev_b32_e32 v32, 4, v0
	v_mov_b32_e32 v28, 0
	ds_read_b128 v[28:31], v28 offset:16368
	ds_read_b128 v[32:35], v32 offset:15872
	s_waitcnt lgkmcnt(0)
	v_mul_f64 v[36:37], v[30:31], v[34:35]
	v_mul_f64 v[34:35], v[28:29], v[34:35]
	v_fma_f64 v[28:29], v[28:29], v[32:33], -v[36:37]
	v_fma_f64 v[30:31], v[30:31], v[32:33], v[34:35]
	v_add_f64 v[11:12], v[11:12], v[28:29]
	v_add_f64 v[13:14], v[13:14], v[30:31]
.LBB172_245:
	s_or_b64 exec, exec, s[84:85]
.LBB172_246:
	s_or_b64 exec, exec, s[82:83]
	v_mov_b32_e32 v28, 0x4000
	v_cmp_eq_u32_e64 s[14:15], 15, v25
	s_xor_b64 s[82:83], s[10:11], -1
	v_lshl_add_u32 v27, v27, 4, v28
	s_and_b64 s[14:15], s[14:15], s[82:83]
	s_and_saveexec_b64 s[10:11], s[14:15]
	s_cbranch_execz .LBB172_248
; %bb.247:
	v_mov_b32_e32 v28, 0
	ds_read_b128 v[28:31], v28 offset:7920
	s_waitcnt lgkmcnt(0)
	v_mul_f64 v[32:33], v[13:14], v[30:31]
	v_mul_f64 v[30:31], v[11:12], v[30:31]
	v_fma_f64 v[11:12], v[11:12], v[28:29], -v[32:33]
	v_fma_f64 v[13:14], v[13:14], v[28:29], v[30:31]
	v_xor_b32_e32 v29, 0x80000000, v12
	v_xor_b32_e32 v31, 0x80000000, v14
	v_mov_b32_e32 v28, v11
	v_mov_b32_e32 v30, v13
	ds_write_b128 v27, v[28:31]
.LBB172_248:
	s_or_b64 exec, exec, s[10:11]
	v_cmp_ne_u32_e64 s[10:11], 15, v25
	s_and_b64 s[14:15], s[10:11], s[82:83]
	s_waitcnt lgkmcnt(0)
	s_barrier
	s_and_saveexec_b64 s[10:11], s[14:15]
	s_cbranch_execz .LBB172_250
; %bb.249:
	v_lshlrev_b32_e32 v32, 4, v25
	ds_read_b128 v[28:31], v27
	ds_read_b128 v[32:35], v32 offset:7680
	s_waitcnt lgkmcnt(0)
	v_mul_f64 v[36:37], v[30:31], v[34:35]
	v_mul_f64 v[34:35], v[28:29], v[34:35]
	v_fma_f64 v[28:29], v[28:29], v[32:33], -v[36:37]
	v_fma_f64 v[30:31], v[30:31], v[32:33], v[34:35]
	v_add_f64 v[11:12], v[11:12], -v[28:29]
	v_add_f64 v[13:14], v[13:14], -v[30:31]
.LBB172_250:
	s_or_b64 exec, exec, s[10:11]
	v_cmp_eq_u32_e64 s[10:11], 14, v25
	s_and_b64 s[14:15], s[10:11], s[82:83]
	s_barrier
	s_and_saveexec_b64 s[10:11], s[14:15]
	s_cbranch_execz .LBB172_252
; %bb.251:
	v_mov_b32_e32 v28, 0
	ds_read_b128 v[28:31], v28 offset:7392
	s_waitcnt lgkmcnt(0)
	v_mul_f64 v[32:33], v[13:14], v[30:31]
	v_mul_f64 v[30:31], v[11:12], v[30:31]
	v_fma_f64 v[11:12], v[11:12], v[28:29], -v[32:33]
	v_fma_f64 v[13:14], v[13:14], v[28:29], v[30:31]
	v_xor_b32_e32 v29, 0x80000000, v12
	v_xor_b32_e32 v31, 0x80000000, v14
	v_mov_b32_e32 v28, v11
	v_mov_b32_e32 v30, v13
	ds_write_b128 v27, v[28:31]
.LBB172_252:
	s_or_b64 exec, exec, s[10:11]
	v_cmp_gt_u32_e64 s[10:11], 14, v25
	s_and_b64 s[14:15], s[10:11], s[82:83]
	s_waitcnt lgkmcnt(0)
	s_barrier
	s_and_saveexec_b64 s[10:11], s[14:15]
	s_cbranch_execz .LBB172_254
; %bb.253:
	v_lshlrev_b32_e32 v32, 4, v25
	ds_read_b128 v[28:31], v27
	ds_read_b128 v[32:35], v32 offset:7168
	s_waitcnt lgkmcnt(0)
	v_mul_f64 v[36:37], v[30:31], v[34:35]
	v_mul_f64 v[34:35], v[28:29], v[34:35]
	v_fma_f64 v[28:29], v[28:29], v[32:33], -v[36:37]
	v_fma_f64 v[30:31], v[30:31], v[32:33], v[34:35]
	v_add_f64 v[11:12], v[11:12], -v[28:29]
	v_add_f64 v[13:14], v[13:14], -v[30:31]
.LBB172_254:
	s_or_b64 exec, exec, s[10:11]
	v_cmp_eq_u32_e64 s[10:11], 13, v25
	s_and_b64 s[14:15], s[10:11], s[82:83]
	s_barrier
	s_and_saveexec_b64 s[10:11], s[14:15]
	s_cbranch_execz .LBB172_256
; %bb.255:
	v_mov_b32_e32 v28, 0
	ds_read_b128 v[28:31], v28 offset:6864
	s_waitcnt lgkmcnt(0)
	v_mul_f64 v[32:33], v[13:14], v[30:31]
	v_mul_f64 v[30:31], v[11:12], v[30:31]
	v_fma_f64 v[11:12], v[11:12], v[28:29], -v[32:33]
	v_fma_f64 v[13:14], v[13:14], v[28:29], v[30:31]
	v_xor_b32_e32 v29, 0x80000000, v12
	v_xor_b32_e32 v31, 0x80000000, v14
	v_mov_b32_e32 v28, v11
	v_mov_b32_e32 v30, v13
	ds_write_b128 v27, v[28:31]
.LBB172_256:
	s_or_b64 exec, exec, s[10:11]
	v_cmp_gt_u32_e64 s[10:11], 13, v25
	;; [unrolled: 39-line block ×13, first 2 shown]
	s_and_b64 s[14:15], s[10:11], s[82:83]
	s_waitcnt lgkmcnt(0)
	s_barrier
	s_and_saveexec_b64 s[10:11], s[14:15]
	s_cbranch_execz .LBB172_302
; %bb.301:
	v_lshlrev_b32_e32 v32, 4, v25
	ds_read_b128 v[28:31], v27
	ds_read_b128 v[32:35], v32 offset:1024
	s_waitcnt lgkmcnt(0)
	v_mul_f64 v[36:37], v[30:31], v[34:35]
	v_mul_f64 v[34:35], v[28:29], v[34:35]
	v_fma_f64 v[28:29], v[28:29], v[32:33], -v[36:37]
	v_fma_f64 v[30:31], v[30:31], v[32:33], v[34:35]
	v_add_f64 v[11:12], v[11:12], -v[28:29]
	v_add_f64 v[13:14], v[13:14], -v[30:31]
.LBB172_302:
	s_or_b64 exec, exec, s[10:11]
	v_cmp_eq_u32_e64 s[10:11], 1, v25
	s_and_b64 s[14:15], s[10:11], s[82:83]
	s_barrier
	s_and_saveexec_b64 s[10:11], s[14:15]
	s_cbranch_execz .LBB172_304
; %bb.303:
	v_mov_b32_e32 v28, 0
	ds_read_b128 v[28:31], v28 offset:528
	s_waitcnt lgkmcnt(0)
	v_mul_f64 v[32:33], v[13:14], v[30:31]
	v_mul_f64 v[30:31], v[11:12], v[30:31]
	v_fma_f64 v[11:12], v[11:12], v[28:29], -v[32:33]
	v_fma_f64 v[13:14], v[13:14], v[28:29], v[30:31]
	v_xor_b32_e32 v29, 0x80000000, v12
	v_xor_b32_e32 v31, 0x80000000, v14
	v_mov_b32_e32 v28, v11
	v_mov_b32_e32 v30, v13
	ds_write_b128 v27, v[28:31]
.LBB172_304:
	s_or_b64 exec, exec, s[10:11]
	v_cmp_eq_u32_e64 s[10:11], 0, v25
	s_and_b64 s[10:11], s[10:11], s[82:83]
	s_waitcnt lgkmcnt(0)
	s_barrier
	s_and_saveexec_b64 s[14:15], s[10:11]
	s_cbranch_execz .LBB172_306
; %bb.305:
	v_mov_b32_e32 v32, 0
	ds_read_b128 v[28:31], v27
	ds_read_b128 v[32:35], v32 offset:512
	s_waitcnt lgkmcnt(0)
	v_mul_f64 v[36:37], v[30:31], v[34:35]
	v_mul_f64 v[34:35], v[28:29], v[34:35]
	v_fma_f64 v[28:29], v[28:29], v[32:33], -v[36:37]
	v_fma_f64 v[30:31], v[30:31], v[32:33], v[34:35]
	v_add_f64 v[11:12], v[11:12], -v[28:29]
	v_add_f64 v[13:14], v[13:14], -v[30:31]
.LBB172_306:
	s_or_b64 exec, exec, s[14:15]
	s_barrier
	s_and_saveexec_b64 s[14:15], s[10:11]
	s_cbranch_execz .LBB172_308
; %bb.307:
	v_mov_b32_e32 v28, 0
	ds_read_b128 v[28:31], v28
	s_waitcnt lgkmcnt(0)
	v_mul_f64 v[32:33], v[13:14], v[30:31]
	v_mul_f64 v[30:31], v[11:12], v[30:31]
	v_fma_f64 v[11:12], v[11:12], v[28:29], -v[32:33]
	v_fma_f64 v[13:14], v[13:14], v[28:29], v[30:31]
	v_xor_b32_e32 v29, 0x80000000, v12
	v_xor_b32_e32 v31, 0x80000000, v14
	v_mov_b32_e32 v28, v11
	v_mov_b32_e32 v30, v13
	ds_write_b128 v27, v[28:31]
.LBB172_308:
	s_or_b64 exec, exec, s[14:15]
	s_waitcnt lgkmcnt(0)
	s_barrier
	s_barrier
	s_and_saveexec_b64 s[10:11], s[8:9]
; %bb.309:
	v_lshlrev_b32_e32 v25, 4, v25
	v_lshl_or_b32 v25, v26, 9, v25
	ds_write_b128 v25, v[11:14] offset:8192
; %bb.310:
	s_or_b64 exec, exec, s[10:11]
	s_waitcnt lgkmcnt(0)
	s_barrier
	s_barrier
	s_and_saveexec_b64 s[8:9], vcc
	s_cbranch_execz .LBB172_312
; %bb.311:
	v_mov_b32_e32 v35, 0
	ds_read_b128 v[11:14], v35 offset:7920
	ds_read_b128 v[25:28], v35 offset:7392
	;; [unrolled: 1-line block ×3, first 2 shown]
	s_waitcnt lgkmcnt(1)
	v_mul_f64 v[33:34], v[11:12], v[27:28]
	v_mul_f64 v[27:28], v[13:14], v[27:28]
	v_fma_f64 v[13:14], v[13:14], v[25:26], v[33:34]
	v_fma_f64 v[11:12], v[11:12], v[25:26], -v[27:28]
	s_waitcnt lgkmcnt(0)
	v_mul_f64 v[25:26], v[13:14], v[31:32]
	v_mul_f64 v[27:28], v[11:12], v[31:32]
	v_fma_f64 v[11:12], v[29:30], v[11:12], -v[25:26]
	v_fma_f64 v[13:14], v[29:30], v[13:14], v[27:28]
	ds_write_b128 v35, v[11:14] offset:7904
.LBB172_312:
	s_or_b64 exec, exec, s[8:9]
	v_mov_b32_e32 v11, 0
	v_mov_b32_e32 v13, 0
	;; [unrolled: 1-line block ×4, first 2 shown]
	s_waitcnt lgkmcnt(0)
	s_barrier
	buffer_wbinvl1_vol
	s_and_saveexec_b64 s[10:11], s[0:1]
	s_cbranch_execz .LBB172_316
; %bb.313:
	v_lshlrev_b32_e32 v25, 4, v15
	v_lshlrev_b32_e32 v11, 9, v16
	ds_read_b128 v[11:14], v11 offset:7392
	ds_read_b128 v[25:28], v25 offset:7360
	v_cmp_gt_u32_e64 s[8:9], 2, v18
	s_waitcnt lgkmcnt(0)
	v_mul_f64 v[29:30], v[13:14], v[27:28]
	v_mul_f64 v[27:28], v[11:12], v[27:28]
	v_fma_f64 v[11:12], v[11:12], v[25:26], -v[29:30]
	v_fma_f64 v[13:14], v[13:14], v[25:26], v[27:28]
	v_add_f64 v[11:12], v[11:12], 0
	v_add_f64 v[13:14], v[13:14], 0
	s_and_saveexec_b64 s[14:15], s[8:9]
	s_cbranch_execz .LBB172_315
; %bb.314:
	v_lshlrev_b32_e32 v29, 4, v0
	v_mov_b32_e32 v25, 0
	ds_read_b128 v[25:28], v25 offset:7920
	ds_read_b128 v[29:32], v29 offset:7872
	s_waitcnt lgkmcnt(0)
	v_mul_f64 v[33:34], v[27:28], v[31:32]
	v_mul_f64 v[31:32], v[25:26], v[31:32]
	v_fma_f64 v[25:26], v[25:26], v[29:30], -v[33:34]
	v_fma_f64 v[27:28], v[27:28], v[29:30], v[31:32]
	v_add_f64 v[11:12], v[11:12], v[25:26]
	v_add_f64 v[13:14], v[13:14], v[27:28]
.LBB172_315:
	s_or_b64 exec, exec, s[14:15]
.LBB172_316:
	s_or_b64 exec, exec, s[10:11]
	s_and_saveexec_b64 s[8:9], s[40:41]
	s_cbranch_execz .LBB172_318
; %bb.317:
	v_mov_b32_e32 v25, 0
	ds_read_b128 v[25:28], v25 offset:6864
	s_waitcnt lgkmcnt(0)
	v_mul_f64 v[29:30], v[13:14], v[27:28]
	v_mul_f64 v[27:28], v[11:12], v[27:28]
	v_fma_f64 v[11:12], v[11:12], v[25:26], -v[29:30]
	v_fma_f64 v[13:14], v[13:14], v[25:26], v[27:28]
	v_xor_b32_e32 v26, 0x80000000, v12
	v_xor_b32_e32 v28, 0x80000000, v14
	v_mov_b32_e32 v25, v11
	v_mov_b32_e32 v27, v13
	ds_write_b128 v17, v[25:28]
.LBB172_318:
	s_or_b64 exec, exec, s[8:9]
	s_waitcnt lgkmcnt(0)
	s_barrier
	s_and_saveexec_b64 s[8:9], s[38:39]
	s_cbranch_execz .LBB172_320
; %bb.319:
	v_mov_b32_e32 v29, 0
	ds_read_b128 v[25:28], v17
	ds_read_b128 v[29:32], v29 offset:6848
	s_waitcnt lgkmcnt(0)
	v_mul_f64 v[33:34], v[27:28], v[31:32]
	v_mul_f64 v[31:32], v[25:26], v[31:32]
	v_fma_f64 v[25:26], v[25:26], v[29:30], -v[33:34]
	v_fma_f64 v[27:28], v[27:28], v[29:30], v[31:32]
	v_add_f64 v[11:12], v[11:12], -v[25:26]
	v_add_f64 v[13:14], v[13:14], -v[27:28]
.LBB172_320:
	s_or_b64 exec, exec, s[8:9]
	s_barrier
	s_and_saveexec_b64 s[8:9], s[38:39]
	s_cbranch_execz .LBB172_322
; %bb.321:
	v_mov_b32_e32 v25, 0
	ds_read_b128 v[25:28], v25 offset:6336
	s_waitcnt lgkmcnt(0)
	v_mul_f64 v[29:30], v[13:14], v[27:28]
	v_mul_f64 v[27:28], v[11:12], v[27:28]
	v_fma_f64 v[11:12], v[11:12], v[25:26], -v[29:30]
	v_fma_f64 v[13:14], v[13:14], v[25:26], v[27:28]
	v_xor_b32_e32 v26, 0x80000000, v12
	v_xor_b32_e32 v28, 0x80000000, v14
	v_mov_b32_e32 v25, v11
	v_mov_b32_e32 v27, v13
	ds_write_b128 v17, v[25:28]
.LBB172_322:
	s_or_b64 exec, exec, s[8:9]
	s_waitcnt lgkmcnt(0)
	s_barrier
	s_barrier
	s_and_saveexec_b64 s[8:9], s[0:1]
; %bb.323:
	v_lshlrev_b32_e32 v25, 4, v15
	v_lshl_or_b32 v25, v16, 9, v25
	ds_write_b128 v25, v[11:14] offset:7360
; %bb.324:
	s_or_b64 exec, exec, s[8:9]
	s_waitcnt lgkmcnt(0)
	s_barrier
	s_barrier
	s_and_saveexec_b64 s[8:9], vcc
	s_cbranch_execz .LBB172_326
; %bb.325:
	v_mov_b32_e32 v35, 0
	ds_read_b128 v[11:14], v35 offset:6864
	ds_read_b128 v[25:28], v35 offset:6336
	;; [unrolled: 1-line block ×3, first 2 shown]
	s_waitcnt lgkmcnt(1)
	v_mul_f64 v[33:34], v[11:12], v[27:28]
	v_mul_f64 v[27:28], v[13:14], v[27:28]
	v_fma_f64 v[13:14], v[13:14], v[25:26], v[33:34]
	v_fma_f64 v[11:12], v[11:12], v[25:26], -v[27:28]
	s_waitcnt lgkmcnt(0)
	v_mul_f64 v[25:26], v[13:14], v[31:32]
	v_mul_f64 v[27:28], v[11:12], v[31:32]
	v_fma_f64 v[11:12], v[29:30], v[11:12], -v[25:26]
	v_fma_f64 v[13:14], v[29:30], v[13:14], v[27:28]
	ds_write_b128 v35, v[11:14] offset:6848
.LBB172_326:
	s_or_b64 exec, exec, s[8:9]
	v_mov_b32_e32 v13, 0
	v_mov_b32_e32 v11, 0
	;; [unrolled: 1-line block ×4, first 2 shown]
	s_waitcnt lgkmcnt(0)
	s_barrier
	buffer_wbinvl1_vol
	s_and_saveexec_b64 s[10:11], s[2:3]
	s_cbranch_execz .LBB172_332
; %bb.327:
	v_lshlrev_b32_e32 v26, 9, v20
	v_lshlrev_b32_e32 v25, 4, v19
	ds_read_b128 v[11:14], v26 offset:6336
	ds_read_b128 v[27:30], v25 offset:6272
	v_cmp_gt_u32_e64 s[8:9], 12, v18
	s_waitcnt lgkmcnt(0)
	v_mul_f64 v[31:32], v[13:14], v[29:30]
	v_mul_f64 v[29:30], v[11:12], v[29:30]
	v_fma_f64 v[11:12], v[11:12], v[27:28], -v[31:32]
	v_fma_f64 v[13:14], v[13:14], v[27:28], v[29:30]
	v_add_f64 v[11:12], v[11:12], 0
	v_add_f64 v[13:14], v[13:14], 0
	s_and_saveexec_b64 s[14:15], s[8:9]
	s_cbranch_execnz .LBB172_534
; %bb.328:
	s_or_b64 exec, exec, s[14:15]
	v_cmp_gt_u32_e64 s[8:9], 8, v18
	s_and_saveexec_b64 s[14:15], s[8:9]
	s_cbranch_execnz .LBB172_535
.LBB172_329:
	s_or_b64 exec, exec, s[14:15]
	v_cmp_gt_u32_e64 s[8:9], 4, v18
	s_and_saveexec_b64 s[14:15], s[8:9]
	s_cbranch_execz .LBB172_331
.LBB172_330:
	v_lshlrev_b32_e32 v29, 4, v0
	v_mov_b32_e32 v25, 0
	ds_read_b128 v[25:28], v25 offset:7920
	ds_read_b128 v[29:32], v29 offset:7808
	s_waitcnt lgkmcnt(0)
	v_mul_f64 v[33:34], v[27:28], v[31:32]
	v_mul_f64 v[31:32], v[25:26], v[31:32]
	v_fma_f64 v[25:26], v[25:26], v[29:30], -v[33:34]
	v_fma_f64 v[27:28], v[27:28], v[29:30], v[31:32]
	v_add_f64 v[11:12], v[11:12], v[25:26]
	v_add_f64 v[13:14], v[13:14], v[27:28]
.LBB172_331:
	s_or_b64 exec, exec, s[14:15]
.LBB172_332:
	s_or_b64 exec, exec, s[10:11]
	s_and_saveexec_b64 s[8:9], s[44:45]
	s_cbranch_execz .LBB172_334
; %bb.333:
	v_mov_b32_e32 v25, 0
	ds_read_b128 v[25:28], v25 offset:5808
	s_waitcnt lgkmcnt(0)
	v_mul_f64 v[29:30], v[13:14], v[27:28]
	v_mul_f64 v[27:28], v[11:12], v[27:28]
	v_fma_f64 v[11:12], v[11:12], v[25:26], -v[29:30]
	v_fma_f64 v[13:14], v[13:14], v[25:26], v[27:28]
	v_xor_b32_e32 v26, 0x80000000, v12
	v_xor_b32_e32 v28, 0x80000000, v14
	v_mov_b32_e32 v25, v11
	v_mov_b32_e32 v27, v13
	ds_write_b128 v21, v[25:28]
.LBB172_334:
	s_or_b64 exec, exec, s[8:9]
	s_waitcnt lgkmcnt(0)
	s_barrier
	s_and_saveexec_b64 s[8:9], s[46:47]
	s_cbranch_execz .LBB172_336
; %bb.335:
	v_lshlrev_b32_e32 v29, 4, v19
	ds_read_b128 v[25:28], v21
	ds_read_b128 v[29:32], v29 offset:5760
	s_waitcnt lgkmcnt(0)
	v_mul_f64 v[33:34], v[27:28], v[31:32]
	v_mul_f64 v[31:32], v[25:26], v[31:32]
	v_fma_f64 v[25:26], v[25:26], v[29:30], -v[33:34]
	v_fma_f64 v[27:28], v[27:28], v[29:30], v[31:32]
	v_add_f64 v[11:12], v[11:12], -v[25:26]
	v_add_f64 v[13:14], v[13:14], -v[27:28]
.LBB172_336:
	s_or_b64 exec, exec, s[8:9]
	s_barrier
	s_and_saveexec_b64 s[8:9], s[48:49]
	s_cbranch_execz .LBB172_338
; %bb.337:
	v_mov_b32_e32 v25, 0
	ds_read_b128 v[25:28], v25 offset:5280
	s_waitcnt lgkmcnt(0)
	v_mul_f64 v[29:30], v[13:14], v[27:28]
	v_mul_f64 v[27:28], v[11:12], v[27:28]
	v_fma_f64 v[11:12], v[11:12], v[25:26], -v[29:30]
	v_fma_f64 v[13:14], v[13:14], v[25:26], v[27:28]
	v_xor_b32_e32 v26, 0x80000000, v12
	v_xor_b32_e32 v28, 0x80000000, v14
	v_mov_b32_e32 v25, v11
	v_mov_b32_e32 v27, v13
	ds_write_b128 v21, v[25:28]
.LBB172_338:
	s_or_b64 exec, exec, s[8:9]
	s_waitcnt lgkmcnt(0)
	s_barrier
	s_and_saveexec_b64 s[8:9], s[50:51]
	s_cbranch_execz .LBB172_340
; %bb.339:
	v_lshlrev_b32_e32 v29, 4, v19
	ds_read_b128 v[25:28], v21
	ds_read_b128 v[29:32], v29 offset:5248
	s_waitcnt lgkmcnt(0)
	v_mul_f64 v[33:34], v[27:28], v[31:32]
	v_mul_f64 v[31:32], v[25:26], v[31:32]
	v_fma_f64 v[25:26], v[25:26], v[29:30], -v[33:34]
	v_fma_f64 v[27:28], v[27:28], v[29:30], v[31:32]
	v_add_f64 v[11:12], v[11:12], -v[25:26]
	v_add_f64 v[13:14], v[13:14], -v[27:28]
.LBB172_340:
	s_or_b64 exec, exec, s[8:9]
	s_barrier
	s_and_saveexec_b64 s[8:9], s[52:53]
	s_cbranch_execz .LBB172_342
; %bb.341:
	v_mov_b32_e32 v25, 0
	ds_read_b128 v[25:28], v25 offset:4752
	s_waitcnt lgkmcnt(0)
	v_mul_f64 v[29:30], v[13:14], v[27:28]
	v_mul_f64 v[27:28], v[11:12], v[27:28]
	v_fma_f64 v[11:12], v[11:12], v[25:26], -v[29:30]
	v_fma_f64 v[13:14], v[13:14], v[25:26], v[27:28]
	v_xor_b32_e32 v26, 0x80000000, v12
	v_xor_b32_e32 v28, 0x80000000, v14
	v_mov_b32_e32 v25, v11
	v_mov_b32_e32 v27, v13
	ds_write_b128 v21, v[25:28]
.LBB172_342:
	s_or_b64 exec, exec, s[8:9]
	s_waitcnt lgkmcnt(0)
	s_barrier
	s_and_saveexec_b64 s[8:9], s[42:43]
	s_cbranch_execz .LBB172_344
; %bb.343:
	v_mov_b32_e32 v29, 0
	ds_read_b128 v[25:28], v21
	ds_read_b128 v[29:32], v29 offset:4736
	s_waitcnt lgkmcnt(0)
	v_mul_f64 v[33:34], v[27:28], v[31:32]
	v_mul_f64 v[31:32], v[25:26], v[31:32]
	v_fma_f64 v[25:26], v[25:26], v[29:30], -v[33:34]
	v_fma_f64 v[27:28], v[27:28], v[29:30], v[31:32]
	v_add_f64 v[11:12], v[11:12], -v[25:26]
	v_add_f64 v[13:14], v[13:14], -v[27:28]
.LBB172_344:
	s_or_b64 exec, exec, s[8:9]
	s_barrier
	s_and_saveexec_b64 s[8:9], s[42:43]
	s_cbranch_execz .LBB172_346
; %bb.345:
	v_mov_b32_e32 v25, 0
	ds_read_b128 v[25:28], v25 offset:4224
	s_waitcnt lgkmcnt(0)
	v_mul_f64 v[29:30], v[13:14], v[27:28]
	v_mul_f64 v[27:28], v[11:12], v[27:28]
	v_fma_f64 v[11:12], v[11:12], v[25:26], -v[29:30]
	v_fma_f64 v[13:14], v[13:14], v[25:26], v[27:28]
	v_xor_b32_e32 v26, 0x80000000, v12
	v_xor_b32_e32 v28, 0x80000000, v14
	v_mov_b32_e32 v25, v11
	v_mov_b32_e32 v27, v13
	ds_write_b128 v21, v[25:28]
.LBB172_346:
	s_or_b64 exec, exec, s[8:9]
	s_waitcnt lgkmcnt(0)
	s_barrier
	s_barrier
	s_and_saveexec_b64 s[8:9], s[2:3]
; %bb.347:
	v_lshlrev_b32_e32 v25, 4, v19
	v_lshl_or_b32 v25, v20, 9, v25
	ds_write_b128 v25, v[11:14] offset:6272
; %bb.348:
	s_or_b64 exec, exec, s[8:9]
	s_waitcnt lgkmcnt(0)
	s_barrier
	s_barrier
	s_and_saveexec_b64 s[8:9], vcc
	s_cbranch_execz .LBB172_350
; %bb.349:
	v_mov_b32_e32 v35, 0
	ds_read_b128 v[11:14], v35 offset:5808
	ds_read_b128 v[25:28], v35 offset:5280
	;; [unrolled: 1-line block ×3, first 2 shown]
	s_waitcnt lgkmcnt(1)
	v_mul_f64 v[33:34], v[11:12], v[27:28]
	v_mul_f64 v[27:28], v[13:14], v[27:28]
	v_fma_f64 v[13:14], v[13:14], v[25:26], v[33:34]
	v_fma_f64 v[11:12], v[11:12], v[25:26], -v[27:28]
	s_waitcnt lgkmcnt(0)
	v_mul_f64 v[25:26], v[13:14], v[31:32]
	v_mul_f64 v[27:28], v[11:12], v[31:32]
	v_fma_f64 v[11:12], v[29:30], v[11:12], -v[25:26]
	v_fma_f64 v[13:14], v[29:30], v[13:14], v[27:28]
	ds_write_b128 v35, v[11:14] offset:5792
.LBB172_350:
	s_or_b64 exec, exec, s[8:9]
	v_mov_b32_e32 v11, 0
	v_mov_b32_e32 v13, 0
	;; [unrolled: 1-line block ×4, first 2 shown]
	s_waitcnt lgkmcnt(0)
	s_barrier
	buffer_wbinvl1_vol
	s_and_saveexec_b64 s[10:11], s[0:1]
	s_cbranch_execz .LBB172_354
; %bb.351:
	v_lshlrev_b32_e32 v25, 4, v15
	v_lshlrev_b32_e32 v11, 9, v16
	ds_read_b128 v[11:14], v11 offset:5280
	ds_read_b128 v[25:28], v25 offset:5248
	v_cmp_gt_u32_e64 s[8:9], 2, v18
	s_waitcnt lgkmcnt(0)
	v_mul_f64 v[29:30], v[13:14], v[27:28]
	v_mul_f64 v[27:28], v[11:12], v[27:28]
	v_fma_f64 v[11:12], v[11:12], v[25:26], -v[29:30]
	v_fma_f64 v[13:14], v[13:14], v[25:26], v[27:28]
	v_add_f64 v[11:12], v[11:12], 0
	v_add_f64 v[13:14], v[13:14], 0
	s_and_saveexec_b64 s[14:15], s[8:9]
	s_cbranch_execz .LBB172_353
; %bb.352:
	v_lshlrev_b32_e32 v29, 4, v0
	v_mov_b32_e32 v25, 0
	ds_read_b128 v[25:28], v25 offset:5808
	ds_read_b128 v[29:32], v29 offset:5760
	s_waitcnt lgkmcnt(0)
	v_mul_f64 v[33:34], v[27:28], v[31:32]
	v_mul_f64 v[31:32], v[25:26], v[31:32]
	v_fma_f64 v[25:26], v[25:26], v[29:30], -v[33:34]
	v_fma_f64 v[27:28], v[27:28], v[29:30], v[31:32]
	v_add_f64 v[11:12], v[11:12], v[25:26]
	v_add_f64 v[13:14], v[13:14], v[27:28]
.LBB172_353:
	s_or_b64 exec, exec, s[14:15]
.LBB172_354:
	s_or_b64 exec, exec, s[10:11]
	s_and_saveexec_b64 s[8:9], s[40:41]
	s_cbranch_execz .LBB172_356
; %bb.355:
	v_mov_b32_e32 v25, 0
	ds_read_b128 v[25:28], v25 offset:4752
	s_waitcnt lgkmcnt(0)
	v_mul_f64 v[29:30], v[13:14], v[27:28]
	v_mul_f64 v[27:28], v[11:12], v[27:28]
	v_fma_f64 v[11:12], v[11:12], v[25:26], -v[29:30]
	v_fma_f64 v[13:14], v[13:14], v[25:26], v[27:28]
	v_xor_b32_e32 v26, 0x80000000, v12
	v_xor_b32_e32 v28, 0x80000000, v14
	v_mov_b32_e32 v25, v11
	v_mov_b32_e32 v27, v13
	ds_write_b128 v17, v[25:28]
.LBB172_356:
	s_or_b64 exec, exec, s[8:9]
	s_waitcnt lgkmcnt(0)
	s_barrier
	s_and_saveexec_b64 s[8:9], s[38:39]
	s_cbranch_execz .LBB172_358
; %bb.357:
	v_mov_b32_e32 v29, 0
	ds_read_b128 v[25:28], v17
	ds_read_b128 v[29:32], v29 offset:4736
	s_waitcnt lgkmcnt(0)
	v_mul_f64 v[33:34], v[27:28], v[31:32]
	v_mul_f64 v[31:32], v[25:26], v[31:32]
	v_fma_f64 v[25:26], v[25:26], v[29:30], -v[33:34]
	v_fma_f64 v[27:28], v[27:28], v[29:30], v[31:32]
	v_add_f64 v[11:12], v[11:12], -v[25:26]
	v_add_f64 v[13:14], v[13:14], -v[27:28]
.LBB172_358:
	s_or_b64 exec, exec, s[8:9]
	s_barrier
	s_and_saveexec_b64 s[8:9], s[38:39]
	s_cbranch_execz .LBB172_360
; %bb.359:
	v_mov_b32_e32 v25, 0
	ds_read_b128 v[25:28], v25 offset:4224
	s_waitcnt lgkmcnt(0)
	v_mul_f64 v[29:30], v[13:14], v[27:28]
	v_mul_f64 v[27:28], v[11:12], v[27:28]
	v_fma_f64 v[11:12], v[11:12], v[25:26], -v[29:30]
	v_fma_f64 v[13:14], v[13:14], v[25:26], v[27:28]
	v_xor_b32_e32 v26, 0x80000000, v12
	v_xor_b32_e32 v28, 0x80000000, v14
	v_mov_b32_e32 v25, v11
	v_mov_b32_e32 v27, v13
	ds_write_b128 v17, v[25:28]
.LBB172_360:
	s_or_b64 exec, exec, s[8:9]
	s_waitcnt lgkmcnt(0)
	s_barrier
	s_barrier
	s_and_saveexec_b64 s[8:9], s[0:1]
; %bb.361:
	v_lshlrev_b32_e32 v25, 4, v15
	v_lshl_or_b32 v25, v16, 9, v25
	ds_write_b128 v25, v[11:14] offset:5248
; %bb.362:
	s_or_b64 exec, exec, s[8:9]
	s_waitcnt lgkmcnt(0)
	s_barrier
	s_barrier
	s_and_saveexec_b64 s[8:9], vcc
	s_cbranch_execz .LBB172_364
; %bb.363:
	v_mov_b32_e32 v35, 0
	ds_read_b128 v[11:14], v35 offset:4752
	ds_read_b128 v[25:28], v35 offset:4224
	;; [unrolled: 1-line block ×3, first 2 shown]
	s_waitcnt lgkmcnt(1)
	v_mul_f64 v[33:34], v[11:12], v[27:28]
	v_mul_f64 v[27:28], v[13:14], v[27:28]
	v_fma_f64 v[13:14], v[13:14], v[25:26], v[33:34]
	v_fma_f64 v[11:12], v[11:12], v[25:26], -v[27:28]
	s_waitcnt lgkmcnt(0)
	v_mul_f64 v[25:26], v[13:14], v[31:32]
	v_mul_f64 v[27:28], v[11:12], v[31:32]
	v_fma_f64 v[11:12], v[29:30], v[11:12], -v[25:26]
	v_fma_f64 v[13:14], v[29:30], v[13:14], v[27:28]
	ds_write_b128 v35, v[11:14] offset:4736
.LBB172_364:
	s_or_b64 exec, exec, s[8:9]
	v_mov_b32_e32 v13, 0
	v_mov_b32_e32 v11, 0
	;; [unrolled: 1-line block ×4, first 2 shown]
	s_waitcnt lgkmcnt(0)
	s_barrier
	buffer_wbinvl1_vol
	s_and_saveexec_b64 s[10:11], s[12:13]
	s_cbranch_execz .LBB172_374
; %bb.365:
	v_lshlrev_b32_e32 v26, 9, v23
	v_lshlrev_b32_e32 v25, 4, v22
	ds_read_b128 v[11:14], v26 offset:4224
	ds_read_b128 v[27:30], v25 offset:4096
	v_cmp_gt_u32_e64 s[8:9], 56, v18
	s_waitcnt lgkmcnt(0)
	v_mul_f64 v[31:32], v[13:14], v[29:30]
	v_mul_f64 v[29:30], v[11:12], v[29:30]
	v_fma_f64 v[11:12], v[11:12], v[27:28], -v[31:32]
	v_fma_f64 v[13:14], v[13:14], v[27:28], v[29:30]
	v_add_f64 v[11:12], v[11:12], 0
	v_add_f64 v[13:14], v[13:14], 0
	s_and_saveexec_b64 s[14:15], s[8:9]
	s_cbranch_execnz .LBB172_536
; %bb.366:
	s_or_b64 exec, exec, s[14:15]
	v_cmp_gt_u32_e64 s[8:9], 48, v18
	s_and_saveexec_b64 s[14:15], s[8:9]
	s_cbranch_execnz .LBB172_537
.LBB172_367:
	s_or_b64 exec, exec, s[14:15]
	v_cmp_gt_u32_e64 s[8:9], 40, v18
	s_and_saveexec_b64 s[14:15], s[8:9]
	s_cbranch_execnz .LBB172_538
.LBB172_368:
	s_or_b64 exec, exec, s[14:15]
	v_cmp_gt_u32_e64 s[8:9], 32, v18
	s_and_saveexec_b64 s[14:15], s[8:9]
	s_cbranch_execnz .LBB172_539
.LBB172_369:
	s_or_b64 exec, exec, s[14:15]
	v_cmp_gt_u32_e64 s[8:9], 24, v18
	s_and_saveexec_b64 s[14:15], s[8:9]
	s_cbranch_execnz .LBB172_540
.LBB172_370:
	s_or_b64 exec, exec, s[14:15]
	s_and_saveexec_b64 s[8:9], s[2:3]
	s_cbranch_execnz .LBB172_541
.LBB172_371:
	s_or_b64 exec, exec, s[8:9]
	v_cmp_gt_u32_e64 s[8:9], 8, v18
	s_and_saveexec_b64 s[14:15], s[8:9]
	s_cbranch_execz .LBB172_373
.LBB172_372:
	v_lshlrev_b32_e32 v29, 4, v0
	v_mov_b32_e32 v25, 0
	ds_read_b128 v[25:28], v25 offset:7920
	ds_read_b128 v[29:32], v29 offset:7680
	s_waitcnt lgkmcnt(0)
	v_mul_f64 v[33:34], v[27:28], v[31:32]
	v_mul_f64 v[31:32], v[25:26], v[31:32]
	v_fma_f64 v[25:26], v[25:26], v[29:30], -v[33:34]
	v_fma_f64 v[27:28], v[27:28], v[29:30], v[31:32]
	v_add_f64 v[11:12], v[11:12], v[25:26]
	v_add_f64 v[13:14], v[13:14], v[27:28]
.LBB172_373:
	s_or_b64 exec, exec, s[14:15]
.LBB172_374:
	s_or_b64 exec, exec, s[10:11]
	s_and_saveexec_b64 s[8:9], s[56:57]
	s_cbranch_execz .LBB172_376
; %bb.375:
	v_mov_b32_e32 v25, 0
	ds_read_b128 v[25:28], v25 offset:3696
	s_waitcnt lgkmcnt(0)
	v_mul_f64 v[29:30], v[13:14], v[27:28]
	v_mul_f64 v[27:28], v[11:12], v[27:28]
	v_fma_f64 v[11:12], v[11:12], v[25:26], -v[29:30]
	v_fma_f64 v[13:14], v[13:14], v[25:26], v[27:28]
	v_xor_b32_e32 v26, 0x80000000, v12
	v_xor_b32_e32 v28, 0x80000000, v14
	v_mov_b32_e32 v25, v11
	v_mov_b32_e32 v27, v13
	ds_write_b128 v24, v[25:28]
.LBB172_376:
	s_or_b64 exec, exec, s[8:9]
	s_waitcnt lgkmcnt(0)
	s_barrier
	s_and_saveexec_b64 s[8:9], s[58:59]
	s_cbranch_execz .LBB172_378
; %bb.377:
	v_lshlrev_b32_e32 v29, 4, v22
	ds_read_b128 v[25:28], v24
	ds_read_b128 v[29:32], v29 offset:3584
	s_waitcnt lgkmcnt(0)
	v_mul_f64 v[33:34], v[27:28], v[31:32]
	v_mul_f64 v[31:32], v[25:26], v[31:32]
	v_fma_f64 v[25:26], v[25:26], v[29:30], -v[33:34]
	v_fma_f64 v[27:28], v[27:28], v[29:30], v[31:32]
	v_add_f64 v[11:12], v[11:12], -v[25:26]
	v_add_f64 v[13:14], v[13:14], -v[27:28]
.LBB172_378:
	s_or_b64 exec, exec, s[8:9]
	s_barrier
	s_and_saveexec_b64 s[8:9], s[60:61]
	s_cbranch_execz .LBB172_380
; %bb.379:
	v_mov_b32_e32 v25, 0
	ds_read_b128 v[25:28], v25 offset:3168
	s_waitcnt lgkmcnt(0)
	v_mul_f64 v[29:30], v[13:14], v[27:28]
	v_mul_f64 v[27:28], v[11:12], v[27:28]
	v_fma_f64 v[11:12], v[11:12], v[25:26], -v[29:30]
	v_fma_f64 v[13:14], v[13:14], v[25:26], v[27:28]
	v_xor_b32_e32 v26, 0x80000000, v12
	v_xor_b32_e32 v28, 0x80000000, v14
	v_mov_b32_e32 v25, v11
	v_mov_b32_e32 v27, v13
	ds_write_b128 v24, v[25:28]
.LBB172_380:
	s_or_b64 exec, exec, s[8:9]
	s_waitcnt lgkmcnt(0)
	s_barrier
	s_and_saveexec_b64 s[8:9], s[62:63]
	s_cbranch_execz .LBB172_382
; %bb.381:
	v_lshlrev_b32_e32 v29, 4, v22
	ds_read_b128 v[25:28], v24
	ds_read_b128 v[29:32], v29 offset:3072
	s_waitcnt lgkmcnt(0)
	v_mul_f64 v[33:34], v[27:28], v[31:32]
	v_mul_f64 v[31:32], v[25:26], v[31:32]
	v_fma_f64 v[25:26], v[25:26], v[29:30], -v[33:34]
	v_fma_f64 v[27:28], v[27:28], v[29:30], v[31:32]
	v_add_f64 v[11:12], v[11:12], -v[25:26]
	v_add_f64 v[13:14], v[13:14], -v[27:28]
.LBB172_382:
	s_or_b64 exec, exec, s[8:9]
	s_barrier
	;; [unrolled: 35-line block ×6, first 2 shown]
	s_and_saveexec_b64 s[8:9], s[80:81]
	s_cbranch_execz .LBB172_400
; %bb.399:
	v_mov_b32_e32 v25, 0
	ds_read_b128 v[25:28], v25 offset:528
	s_waitcnt lgkmcnt(0)
	v_mul_f64 v[29:30], v[13:14], v[27:28]
	v_mul_f64 v[27:28], v[11:12], v[27:28]
	v_fma_f64 v[11:12], v[11:12], v[25:26], -v[29:30]
	v_fma_f64 v[13:14], v[13:14], v[25:26], v[27:28]
	v_xor_b32_e32 v26, 0x80000000, v12
	v_xor_b32_e32 v28, 0x80000000, v14
	v_mov_b32_e32 v25, v11
	v_mov_b32_e32 v27, v13
	ds_write_b128 v24, v[25:28]
.LBB172_400:
	s_or_b64 exec, exec, s[8:9]
	s_waitcnt lgkmcnt(0)
	s_barrier
	s_and_saveexec_b64 s[8:9], s[54:55]
	s_cbranch_execz .LBB172_402
; %bb.401:
	v_mov_b32_e32 v29, 0
	ds_read_b128 v[25:28], v24
	ds_read_b128 v[29:32], v29 offset:512
	s_waitcnt lgkmcnt(0)
	v_mul_f64 v[33:34], v[27:28], v[31:32]
	v_mul_f64 v[31:32], v[25:26], v[31:32]
	v_fma_f64 v[25:26], v[25:26], v[29:30], -v[33:34]
	v_fma_f64 v[27:28], v[27:28], v[29:30], v[31:32]
	v_add_f64 v[11:12], v[11:12], -v[25:26]
	v_add_f64 v[13:14], v[13:14], -v[27:28]
.LBB172_402:
	s_or_b64 exec, exec, s[8:9]
	s_barrier
	s_and_saveexec_b64 s[8:9], s[54:55]
	s_cbranch_execz .LBB172_404
; %bb.403:
	v_mov_b32_e32 v25, 0
	ds_read_b128 v[25:28], v25
	s_waitcnt lgkmcnt(0)
	v_mul_f64 v[29:30], v[13:14], v[27:28]
	v_mul_f64 v[27:28], v[11:12], v[27:28]
	v_fma_f64 v[11:12], v[11:12], v[25:26], -v[29:30]
	v_fma_f64 v[13:14], v[13:14], v[25:26], v[27:28]
	v_xor_b32_e32 v26, 0x80000000, v12
	v_xor_b32_e32 v28, 0x80000000, v14
	v_mov_b32_e32 v25, v11
	v_mov_b32_e32 v27, v13
	ds_write_b128 v24, v[25:28]
.LBB172_404:
	s_or_b64 exec, exec, s[8:9]
	s_waitcnt lgkmcnt(0)
	s_barrier
	s_barrier
	s_and_saveexec_b64 s[8:9], s[12:13]
; %bb.405:
	v_lshlrev_b32_e32 v22, 4, v22
	v_lshl_or_b32 v22, v23, 9, v22
	ds_write_b128 v22, v[11:14] offset:4096
; %bb.406:
	s_or_b64 exec, exec, s[8:9]
	s_waitcnt lgkmcnt(0)
	s_barrier
	s_barrier
	s_and_saveexec_b64 s[8:9], vcc
	s_cbranch_execz .LBB172_408
; %bb.407:
	v_mov_b32_e32 v32, 0
	ds_read_b128 v[11:14], v32 offset:3696
	ds_read_b128 v[22:25], v32 offset:3168
	;; [unrolled: 1-line block ×3, first 2 shown]
	s_waitcnt lgkmcnt(1)
	v_mul_f64 v[30:31], v[11:12], v[24:25]
	v_mul_f64 v[24:25], v[13:14], v[24:25]
	v_fma_f64 v[13:14], v[13:14], v[22:23], v[30:31]
	v_fma_f64 v[11:12], v[11:12], v[22:23], -v[24:25]
	s_waitcnt lgkmcnt(0)
	v_mul_f64 v[22:23], v[13:14], v[28:29]
	v_mul_f64 v[24:25], v[11:12], v[28:29]
	v_fma_f64 v[11:12], v[26:27], v[11:12], -v[22:23]
	v_fma_f64 v[13:14], v[26:27], v[13:14], v[24:25]
	ds_write_b128 v32, v[11:14] offset:3680
.LBB172_408:
	s_or_b64 exec, exec, s[8:9]
	v_mov_b32_e32 v11, 0
	v_mov_b32_e32 v13, 0
	;; [unrolled: 1-line block ×4, first 2 shown]
	s_waitcnt lgkmcnt(0)
	s_barrier
	buffer_wbinvl1_vol
	s_and_saveexec_b64 s[10:11], s[0:1]
	s_cbranch_execz .LBB172_412
; %bb.409:
	v_lshlrev_b32_e32 v22, 4, v15
	v_lshlrev_b32_e32 v11, 9, v16
	ds_read_b128 v[11:14], v11 offset:3168
	ds_read_b128 v[22:25], v22 offset:3136
	v_cmp_gt_u32_e64 s[8:9], 2, v18
	s_waitcnt lgkmcnt(0)
	v_mul_f64 v[26:27], v[13:14], v[24:25]
	v_mul_f64 v[24:25], v[11:12], v[24:25]
	v_fma_f64 v[11:12], v[11:12], v[22:23], -v[26:27]
	v_fma_f64 v[13:14], v[13:14], v[22:23], v[24:25]
	v_add_f64 v[11:12], v[11:12], 0
	v_add_f64 v[13:14], v[13:14], 0
	s_and_saveexec_b64 s[12:13], s[8:9]
	s_cbranch_execz .LBB172_411
; %bb.410:
	v_lshlrev_b32_e32 v26, 4, v0
	v_mov_b32_e32 v22, 0
	ds_read_b128 v[22:25], v22 offset:3696
	ds_read_b128 v[26:29], v26 offset:3648
	s_waitcnt lgkmcnt(0)
	v_mul_f64 v[30:31], v[24:25], v[28:29]
	v_mul_f64 v[28:29], v[22:23], v[28:29]
	v_fma_f64 v[22:23], v[22:23], v[26:27], -v[30:31]
	v_fma_f64 v[24:25], v[24:25], v[26:27], v[28:29]
	v_add_f64 v[11:12], v[11:12], v[22:23]
	v_add_f64 v[13:14], v[13:14], v[24:25]
.LBB172_411:
	s_or_b64 exec, exec, s[12:13]
.LBB172_412:
	s_or_b64 exec, exec, s[10:11]
	s_and_saveexec_b64 s[8:9], s[40:41]
	s_cbranch_execz .LBB172_414
; %bb.413:
	v_mov_b32_e32 v22, 0
	ds_read_b128 v[22:25], v22 offset:2640
	s_waitcnt lgkmcnt(0)
	v_mul_f64 v[26:27], v[13:14], v[24:25]
	v_mul_f64 v[24:25], v[11:12], v[24:25]
	v_fma_f64 v[11:12], v[11:12], v[22:23], -v[26:27]
	v_fma_f64 v[13:14], v[13:14], v[22:23], v[24:25]
	v_xor_b32_e32 v23, 0x80000000, v12
	v_xor_b32_e32 v25, 0x80000000, v14
	v_mov_b32_e32 v22, v11
	v_mov_b32_e32 v24, v13
	ds_write_b128 v17, v[22:25]
.LBB172_414:
	s_or_b64 exec, exec, s[8:9]
	s_waitcnt lgkmcnt(0)
	s_barrier
	s_and_saveexec_b64 s[8:9], s[38:39]
	s_cbranch_execz .LBB172_416
; %bb.415:
	v_mov_b32_e32 v26, 0
	ds_read_b128 v[22:25], v17
	ds_read_b128 v[26:29], v26 offset:2624
	s_waitcnt lgkmcnt(0)
	v_mul_f64 v[30:31], v[24:25], v[28:29]
	v_mul_f64 v[28:29], v[22:23], v[28:29]
	v_fma_f64 v[22:23], v[22:23], v[26:27], -v[30:31]
	v_fma_f64 v[24:25], v[24:25], v[26:27], v[28:29]
	v_add_f64 v[11:12], v[11:12], -v[22:23]
	v_add_f64 v[13:14], v[13:14], -v[24:25]
.LBB172_416:
	s_or_b64 exec, exec, s[8:9]
	s_barrier
	s_and_saveexec_b64 s[8:9], s[38:39]
	s_cbranch_execz .LBB172_418
; %bb.417:
	v_mov_b32_e32 v22, 0
	ds_read_b128 v[22:25], v22 offset:2112
	s_waitcnt lgkmcnt(0)
	v_mul_f64 v[26:27], v[13:14], v[24:25]
	v_mul_f64 v[24:25], v[11:12], v[24:25]
	v_fma_f64 v[11:12], v[11:12], v[22:23], -v[26:27]
	v_fma_f64 v[13:14], v[13:14], v[22:23], v[24:25]
	v_xor_b32_e32 v23, 0x80000000, v12
	v_xor_b32_e32 v25, 0x80000000, v14
	v_mov_b32_e32 v22, v11
	v_mov_b32_e32 v24, v13
	ds_write_b128 v17, v[22:25]
.LBB172_418:
	s_or_b64 exec, exec, s[8:9]
	s_waitcnt lgkmcnt(0)
	s_barrier
	s_barrier
	s_and_saveexec_b64 s[8:9], s[0:1]
; %bb.419:
	v_lshlrev_b32_e32 v22, 4, v15
	v_lshl_or_b32 v22, v16, 9, v22
	ds_write_b128 v22, v[11:14] offset:3136
; %bb.420:
	s_or_b64 exec, exec, s[8:9]
	s_waitcnt lgkmcnt(0)
	s_barrier
	s_barrier
	s_and_saveexec_b64 s[8:9], vcc
	s_cbranch_execz .LBB172_422
; %bb.421:
	v_mov_b32_e32 v32, 0
	ds_read_b128 v[11:14], v32 offset:2640
	ds_read_b128 v[22:25], v32 offset:2112
	;; [unrolled: 1-line block ×3, first 2 shown]
	s_waitcnt lgkmcnt(1)
	v_mul_f64 v[30:31], v[11:12], v[24:25]
	v_mul_f64 v[24:25], v[13:14], v[24:25]
	v_fma_f64 v[13:14], v[13:14], v[22:23], v[30:31]
	v_fma_f64 v[11:12], v[11:12], v[22:23], -v[24:25]
	s_waitcnt lgkmcnt(0)
	v_mul_f64 v[22:23], v[13:14], v[28:29]
	v_mul_f64 v[24:25], v[11:12], v[28:29]
	v_fma_f64 v[11:12], v[26:27], v[11:12], -v[22:23]
	v_fma_f64 v[13:14], v[26:27], v[13:14], v[24:25]
	ds_write_b128 v32, v[11:14] offset:2624
.LBB172_422:
	s_or_b64 exec, exec, s[8:9]
	v_mov_b32_e32 v13, 0
	v_mov_b32_e32 v11, 0
	;; [unrolled: 1-line block ×4, first 2 shown]
	s_waitcnt lgkmcnt(0)
	s_barrier
	buffer_wbinvl1_vol
	s_and_saveexec_b64 s[10:11], s[2:3]
	s_cbranch_execz .LBB172_428
; %bb.423:
	v_lshlrev_b32_e32 v23, 9, v20
	v_lshlrev_b32_e32 v22, 4, v19
	ds_read_b128 v[11:14], v23 offset:2112
	ds_read_b128 v[24:27], v22 offset:2048
	v_cmp_gt_u32_e64 s[8:9], 12, v18
	s_waitcnt lgkmcnt(0)
	v_mul_f64 v[28:29], v[13:14], v[26:27]
	v_mul_f64 v[26:27], v[11:12], v[26:27]
	v_fma_f64 v[11:12], v[11:12], v[24:25], -v[28:29]
	v_fma_f64 v[13:14], v[13:14], v[24:25], v[26:27]
	v_add_f64 v[11:12], v[11:12], 0
	v_add_f64 v[13:14], v[13:14], 0
	s_and_saveexec_b64 s[12:13], s[8:9]
	s_cbranch_execnz .LBB172_542
; %bb.424:
	s_or_b64 exec, exec, s[12:13]
	v_cmp_gt_u32_e64 s[8:9], 8, v18
	s_and_saveexec_b64 s[12:13], s[8:9]
	s_cbranch_execnz .LBB172_543
.LBB172_425:
	s_or_b64 exec, exec, s[12:13]
	v_cmp_gt_u32_e64 s[8:9], 4, v18
	s_and_saveexec_b64 s[12:13], s[8:9]
	s_cbranch_execz .LBB172_427
.LBB172_426:
	v_lshlrev_b32_e32 v26, 4, v0
	v_mov_b32_e32 v22, 0
	ds_read_b128 v[22:25], v22 offset:3696
	ds_read_b128 v[26:29], v26 offset:3584
	s_waitcnt lgkmcnt(0)
	v_mul_f64 v[30:31], v[24:25], v[28:29]
	v_mul_f64 v[28:29], v[22:23], v[28:29]
	v_fma_f64 v[22:23], v[22:23], v[26:27], -v[30:31]
	v_fma_f64 v[24:25], v[24:25], v[26:27], v[28:29]
	v_add_f64 v[11:12], v[11:12], v[22:23]
	v_add_f64 v[13:14], v[13:14], v[24:25]
.LBB172_427:
	s_or_b64 exec, exec, s[12:13]
.LBB172_428:
	s_or_b64 exec, exec, s[10:11]
	s_and_saveexec_b64 s[8:9], s[44:45]
	s_cbranch_execz .LBB172_430
; %bb.429:
	v_mov_b32_e32 v22, 0
	ds_read_b128 v[22:25], v22 offset:1584
	s_waitcnt lgkmcnt(0)
	v_mul_f64 v[26:27], v[13:14], v[24:25]
	v_mul_f64 v[24:25], v[11:12], v[24:25]
	v_fma_f64 v[11:12], v[11:12], v[22:23], -v[26:27]
	v_fma_f64 v[13:14], v[13:14], v[22:23], v[24:25]
	v_xor_b32_e32 v23, 0x80000000, v12
	v_xor_b32_e32 v25, 0x80000000, v14
	v_mov_b32_e32 v22, v11
	v_mov_b32_e32 v24, v13
	ds_write_b128 v21, v[22:25]
.LBB172_430:
	s_or_b64 exec, exec, s[8:9]
	s_waitcnt lgkmcnt(0)
	s_barrier
	s_and_saveexec_b64 s[8:9], s[46:47]
	s_cbranch_execz .LBB172_432
; %bb.431:
	v_lshlrev_b32_e32 v26, 4, v19
	ds_read_b128 v[22:25], v21
	ds_read_b128 v[26:29], v26 offset:1536
	s_waitcnt lgkmcnt(0)
	v_mul_f64 v[30:31], v[24:25], v[28:29]
	v_mul_f64 v[28:29], v[22:23], v[28:29]
	v_fma_f64 v[22:23], v[22:23], v[26:27], -v[30:31]
	v_fma_f64 v[24:25], v[24:25], v[26:27], v[28:29]
	v_add_f64 v[11:12], v[11:12], -v[22:23]
	v_add_f64 v[13:14], v[13:14], -v[24:25]
.LBB172_432:
	s_or_b64 exec, exec, s[8:9]
	s_barrier
	s_and_saveexec_b64 s[8:9], s[48:49]
	s_cbranch_execz .LBB172_434
; %bb.433:
	v_mov_b32_e32 v22, 0
	ds_read_b128 v[22:25], v22 offset:1056
	s_waitcnt lgkmcnt(0)
	v_mul_f64 v[26:27], v[13:14], v[24:25]
	v_mul_f64 v[24:25], v[11:12], v[24:25]
	v_fma_f64 v[11:12], v[11:12], v[22:23], -v[26:27]
	v_fma_f64 v[13:14], v[13:14], v[22:23], v[24:25]
	v_xor_b32_e32 v23, 0x80000000, v12
	v_xor_b32_e32 v25, 0x80000000, v14
	v_mov_b32_e32 v22, v11
	v_mov_b32_e32 v24, v13
	ds_write_b128 v21, v[22:25]
.LBB172_434:
	s_or_b64 exec, exec, s[8:9]
	s_waitcnt lgkmcnt(0)
	s_barrier
	s_and_saveexec_b64 s[8:9], s[50:51]
	s_cbranch_execz .LBB172_436
; %bb.435:
	v_lshlrev_b32_e32 v26, 4, v19
	ds_read_b128 v[22:25], v21
	ds_read_b128 v[26:29], v26 offset:1024
	s_waitcnt lgkmcnt(0)
	v_mul_f64 v[30:31], v[24:25], v[28:29]
	v_mul_f64 v[28:29], v[22:23], v[28:29]
	v_fma_f64 v[22:23], v[22:23], v[26:27], -v[30:31]
	v_fma_f64 v[24:25], v[24:25], v[26:27], v[28:29]
	v_add_f64 v[11:12], v[11:12], -v[22:23]
	v_add_f64 v[13:14], v[13:14], -v[24:25]
.LBB172_436:
	s_or_b64 exec, exec, s[8:9]
	s_barrier
	s_and_saveexec_b64 s[8:9], s[52:53]
	s_cbranch_execz .LBB172_438
; %bb.437:
	v_mov_b32_e32 v22, 0
	ds_read_b128 v[22:25], v22 offset:528
	s_waitcnt lgkmcnt(0)
	v_mul_f64 v[26:27], v[13:14], v[24:25]
	v_mul_f64 v[24:25], v[11:12], v[24:25]
	v_fma_f64 v[11:12], v[11:12], v[22:23], -v[26:27]
	v_fma_f64 v[13:14], v[13:14], v[22:23], v[24:25]
	v_xor_b32_e32 v23, 0x80000000, v12
	v_xor_b32_e32 v25, 0x80000000, v14
	v_mov_b32_e32 v22, v11
	v_mov_b32_e32 v24, v13
	ds_write_b128 v21, v[22:25]
.LBB172_438:
	s_or_b64 exec, exec, s[8:9]
	s_waitcnt lgkmcnt(0)
	s_barrier
	s_and_saveexec_b64 s[8:9], s[42:43]
	s_cbranch_execz .LBB172_440
; %bb.439:
	v_mov_b32_e32 v26, 0
	ds_read_b128 v[22:25], v21
	ds_read_b128 v[26:29], v26 offset:512
	s_waitcnt lgkmcnt(0)
	v_mul_f64 v[30:31], v[24:25], v[28:29]
	v_mul_f64 v[28:29], v[22:23], v[28:29]
	v_fma_f64 v[22:23], v[22:23], v[26:27], -v[30:31]
	v_fma_f64 v[24:25], v[24:25], v[26:27], v[28:29]
	v_add_f64 v[11:12], v[11:12], -v[22:23]
	v_add_f64 v[13:14], v[13:14], -v[24:25]
.LBB172_440:
	s_or_b64 exec, exec, s[8:9]
	s_barrier
	s_and_saveexec_b64 s[8:9], s[42:43]
	s_cbranch_execz .LBB172_442
; %bb.441:
	v_mov_b32_e32 v22, 0
	ds_read_b128 v[22:25], v22
	s_waitcnt lgkmcnt(0)
	v_mul_f64 v[26:27], v[13:14], v[24:25]
	v_mul_f64 v[24:25], v[11:12], v[24:25]
	v_fma_f64 v[11:12], v[11:12], v[22:23], -v[26:27]
	v_fma_f64 v[13:14], v[13:14], v[22:23], v[24:25]
	v_xor_b32_e32 v23, 0x80000000, v12
	v_xor_b32_e32 v25, 0x80000000, v14
	v_mov_b32_e32 v22, v11
	v_mov_b32_e32 v24, v13
	ds_write_b128 v21, v[22:25]
.LBB172_442:
	s_or_b64 exec, exec, s[8:9]
	s_waitcnt lgkmcnt(0)
	s_barrier
	s_barrier
	s_and_saveexec_b64 s[8:9], s[2:3]
; %bb.443:
	v_lshlrev_b32_e32 v19, 4, v19
	v_lshl_or_b32 v19, v20, 9, v19
	ds_write_b128 v19, v[11:14] offset:2048
; %bb.444:
	s_or_b64 exec, exec, s[8:9]
	s_waitcnt lgkmcnt(0)
	s_barrier
	s_barrier
	s_and_saveexec_b64 s[2:3], vcc
	s_cbranch_execz .LBB172_446
; %bb.445:
	v_mov_b32_e32 v29, 0
	ds_read_b128 v[11:14], v29 offset:1584
	ds_read_b128 v[19:22], v29 offset:1056
	;; [unrolled: 1-line block ×3, first 2 shown]
	s_waitcnt lgkmcnt(1)
	v_mul_f64 v[27:28], v[11:12], v[21:22]
	v_mul_f64 v[21:22], v[13:14], v[21:22]
	v_fma_f64 v[13:14], v[13:14], v[19:20], v[27:28]
	v_fma_f64 v[11:12], v[11:12], v[19:20], -v[21:22]
	s_waitcnt lgkmcnt(0)
	v_mul_f64 v[19:20], v[13:14], v[25:26]
	v_mul_f64 v[21:22], v[11:12], v[25:26]
	v_fma_f64 v[11:12], v[23:24], v[11:12], -v[19:20]
	v_fma_f64 v[13:14], v[23:24], v[13:14], v[21:22]
	ds_write_b128 v29, v[11:14] offset:1568
.LBB172_446:
	s_or_b64 exec, exec, s[2:3]
	v_mov_b32_e32 v11, 0
	v_mov_b32_e32 v13, 0
	;; [unrolled: 1-line block ×4, first 2 shown]
	s_waitcnt lgkmcnt(0)
	s_barrier
	buffer_wbinvl1_vol
	s_and_saveexec_b64 s[8:9], s[0:1]
	s_cbranch_execz .LBB172_450
; %bb.447:
	v_lshlrev_b32_e32 v19, 4, v15
	v_lshlrev_b32_e32 v11, 9, v16
	ds_read_b128 v[11:14], v11 offset:1056
	ds_read_b128 v[19:22], v19 offset:1024
	v_cmp_gt_u32_e64 s[2:3], 2, v18
	s_waitcnt lgkmcnt(0)
	v_mul_f64 v[23:24], v[13:14], v[21:22]
	v_mul_f64 v[21:22], v[11:12], v[21:22]
	v_fma_f64 v[11:12], v[11:12], v[19:20], -v[23:24]
	v_fma_f64 v[13:14], v[13:14], v[19:20], v[21:22]
	v_add_f64 v[11:12], v[11:12], 0
	v_add_f64 v[13:14], v[13:14], 0
	s_and_saveexec_b64 s[10:11], s[2:3]
	s_cbranch_execz .LBB172_449
; %bb.448:
	v_lshlrev_b32_e32 v22, 4, v0
	v_mov_b32_e32 v18, 0
	ds_read_b128 v[18:21], v18 offset:1584
	ds_read_b128 v[22:25], v22 offset:1536
	s_waitcnt lgkmcnt(0)
	v_mul_f64 v[26:27], v[20:21], v[24:25]
	v_mul_f64 v[24:25], v[18:19], v[24:25]
	v_fma_f64 v[18:19], v[18:19], v[22:23], -v[26:27]
	v_fma_f64 v[20:21], v[20:21], v[22:23], v[24:25]
	v_add_f64 v[11:12], v[11:12], v[18:19]
	v_add_f64 v[13:14], v[13:14], v[20:21]
.LBB172_449:
	s_or_b64 exec, exec, s[10:11]
.LBB172_450:
	s_or_b64 exec, exec, s[8:9]
	s_and_saveexec_b64 s[2:3], s[40:41]
	s_cbranch_execz .LBB172_452
; %bb.451:
	v_mov_b32_e32 v18, 0
	ds_read_b128 v[18:21], v18 offset:528
	s_waitcnt lgkmcnt(0)
	v_mul_f64 v[22:23], v[13:14], v[20:21]
	v_mul_f64 v[20:21], v[11:12], v[20:21]
	v_fma_f64 v[11:12], v[11:12], v[18:19], -v[22:23]
	v_fma_f64 v[13:14], v[13:14], v[18:19], v[20:21]
	v_xor_b32_e32 v19, 0x80000000, v12
	v_xor_b32_e32 v21, 0x80000000, v14
	v_mov_b32_e32 v18, v11
	v_mov_b32_e32 v20, v13
	ds_write_b128 v17, v[18:21]
.LBB172_452:
	s_or_b64 exec, exec, s[2:3]
	s_waitcnt lgkmcnt(0)
	s_barrier
	s_and_saveexec_b64 s[2:3], s[38:39]
	s_cbranch_execz .LBB172_454
; %bb.453:
	v_mov_b32_e32 v22, 0
	ds_read_b128 v[18:21], v17
	ds_read_b128 v[22:25], v22 offset:512
	s_waitcnt lgkmcnt(0)
	v_mul_f64 v[26:27], v[20:21], v[24:25]
	v_mul_f64 v[24:25], v[18:19], v[24:25]
	v_fma_f64 v[18:19], v[18:19], v[22:23], -v[26:27]
	v_fma_f64 v[20:21], v[20:21], v[22:23], v[24:25]
	v_add_f64 v[11:12], v[11:12], -v[18:19]
	v_add_f64 v[13:14], v[13:14], -v[20:21]
.LBB172_454:
	s_or_b64 exec, exec, s[2:3]
	s_barrier
	s_and_saveexec_b64 s[2:3], s[38:39]
	s_cbranch_execz .LBB172_456
; %bb.455:
	v_mov_b32_e32 v18, 0
	ds_read_b128 v[18:21], v18
	s_waitcnt lgkmcnt(0)
	v_mul_f64 v[22:23], v[13:14], v[20:21]
	v_mul_f64 v[20:21], v[11:12], v[20:21]
	v_fma_f64 v[11:12], v[11:12], v[18:19], -v[22:23]
	v_fma_f64 v[13:14], v[13:14], v[18:19], v[20:21]
	v_xor_b32_e32 v19, 0x80000000, v12
	v_xor_b32_e32 v21, 0x80000000, v14
	v_mov_b32_e32 v18, v11
	v_mov_b32_e32 v20, v13
	ds_write_b128 v17, v[18:21]
.LBB172_456:
	s_or_b64 exec, exec, s[2:3]
	s_waitcnt lgkmcnt(0)
	s_barrier
	s_barrier
	s_and_saveexec_b64 s[2:3], s[0:1]
; %bb.457:
	v_lshlrev_b32_e32 v15, 4, v15
	v_lshl_or_b32 v15, v16, 9, v15
	ds_write_b128 v15, v[11:14] offset:1024
; %bb.458:
	s_or_b64 exec, exec, s[2:3]
	s_waitcnt lgkmcnt(0)
	s_barrier
	s_barrier
	s_and_saveexec_b64 s[0:1], vcc
	s_cbranch_execz .LBB172_460
; %bb.459:
	v_mov_b32_e32 v25, 0
	ds_read_b128 v[11:14], v25 offset:528
	ds_read_b128 v[15:18], v25
	ds_read_b128 v[19:22], v25 offset:512
	s_waitcnt lgkmcnt(1)
	v_mul_f64 v[23:24], v[11:12], v[17:18]
	v_mul_f64 v[17:18], v[13:14], v[17:18]
	v_fma_f64 v[13:14], v[13:14], v[15:16], v[23:24]
	v_fma_f64 v[11:12], v[11:12], v[15:16], -v[17:18]
	s_waitcnt lgkmcnt(0)
	v_mul_f64 v[15:16], v[13:14], v[21:22]
	v_mul_f64 v[17:18], v[11:12], v[21:22]
	v_fma_f64 v[11:12], v[19:20], v[11:12], -v[15:16]
	v_fma_f64 v[13:14], v[19:20], v[13:14], v[17:18]
	ds_write_b128 v25, v[11:14] offset:512
.LBB172_460:
	s_or_b64 exec, exec, s[0:1]
.LBB172_461:
	s_lshl_b64 s[0:1], s[16:17], 4
	s_add_u32 s34, s34, s0
	v_cmp_le_i32_e32 vcc, s87, v0
	s_addc_u32 s35, s35, s1
	s_and_b64 s[14:15], vcc, s[30:31]
	v_cmp_eq_u32_e64 s[0:1], 0, v2
	s_xor_b64 s[2:3], s[14:15], -1
	v_mov_b32_e32 v13, 0
	v_mov_b32_e32 v11, 0
	s_and_b64 s[8:9], s[0:1], s[2:3]
	v_mov_b32_e32 v14, 0
	v_mov_b32_e32 v12, 0
	v_add_u32_e32 v16, s33, v0
	s_waitcnt lgkmcnt(0)
	s_barrier
	s_and_saveexec_b64 s[2:3], s[8:9]
	s_cbranch_execz .LBB172_463
; %bb.462:
	v_ashrrev_i32_e32 v13, 31, v16
	v_mul_lo_u32 v14, s19, v16
	v_mad_u64_u32 v[11:12], s[8:9], s18, v16, 0
	v_mul_lo_u32 v13, s18, v13
	v_add3_u32 v12, v12, v13, v14
	v_lshlrev_b64 v[11:12], 4, v[11:12]
	v_mov_b32_e32 v13, s35
	v_add_co_u32_e32 v11, vcc, s34, v11
	v_addc_co_u32_e32 v12, vcc, v13, v12, vcc
	flat_load_dwordx4 v[11:14], v[11:12]
	s_waitcnt vmcnt(0) lgkmcnt(0)
	v_mul_f64 v[17:18], s[20:21], v[11:12]
	v_mul_f64 v[19:20], s[20:21], v[13:14]
	v_fma_f64 v[13:14], s[22:23], v[13:14], -v[17:18]
	v_fma_f64 v[11:12], v[11:12], -s[22:23], -v[19:20]
.LBB172_463:
	s_or_b64 exec, exec, s[2:3]
	s_load_dwordx2 s[12:13], s[4:5], 0x50
	s_and_b32 s2, 0xffff, s91
	v_mad_u32_u24 v22, v2, s2, v0
	v_mov_b32_e32 v15, 0
	s_cmp_lt_i32 s6, 1
	v_cmp_eq_u32_e64 s[2:3], 0, v22
	s_cbranch_scc1 .LBB172_486
; %bb.464:
	v_ashrrev_i32_e32 v17, 31, v16
	v_cmp_gt_i32_e64 s[10:11], s26, v16
	v_lshlrev_b64 v[16:17], 4, v[16:17]
	s_lshl_b64 s[4:5], s[24:25], 2
	v_mov_b32_e32 v18, 0x6000
	s_waitcnt lgkmcnt(0)
	s_add_u32 s16, s12, s4
	v_lshl_add_u32 v23, v22, 4, v18
	v_lshl_or_b32 v24, v2, 4, v18
	v_mov_b32_e32 v18, s89
	v_add_co_u32_e32 v25, vcc, s88, v16
	s_mov_b32 s38, 0
	s_addc_u32 s17, s13, s5
	v_cmp_gt_u32_e64 s[4:5], 32, v22
	s_add_i32 s90, s90, 1
	v_addc_co_u32_e32 v26, vcc, v18, v17, vcc
	s_lshl_b64 s[20:21], s[28:29], 8
	v_mov_b32_e32 v27, -1
	s_branch .LBB172_467
.LBB172_465:                            ;   in Loop: Header=BB172_467 Depth=1
	ds_read_b128 v[28:31], v24 offset:256
	s_waitcnt vmcnt(0) lgkmcnt(0)
	v_mul_f64 v[18:19], v[20:21], v[30:31]
	v_mul_f64 v[30:31], v[16:17], v[30:31]
	v_fma_f64 v[16:17], v[16:17], v[28:29], -v[18:19]
	v_fma_f64 v[18:19], v[20:21], v[28:29], v[30:31]
	v_add_f64 v[13:14], v[13:14], v[16:17]
	v_add_f64 v[11:12], v[11:12], v[18:19]
.LBB172_466:                            ;   in Loop: Header=BB172_467 Depth=1
	s_or_b64 exec, exec, s[22:23]
	s_add_i32 s38, s38, 1
	s_cmp_eq_u32 s38, s6
	s_cbranch_scc1 .LBB172_486
.LBB172_467:                            ; =>This Loop Header: Depth=1
                                        ;     Child Loop BB172_469 Depth 2
	v_cmp_gt_i32_e32 vcc, s38, v27
	s_and_b64 s[22:23], s[2:3], vcc
	s_and_saveexec_b64 s[8:9], s[22:23]
	s_cbranch_execz .LBB172_470
; %bb.468:                              ;   in Loop: Header=BB172_467 Depth=1
	global_load_dword v27, v15, s[16:17]
	s_waitcnt vmcnt(0)
	v_cmp_le_i32_e32 vcc, s38, v27
	s_cbranch_vccnz .LBB172_470
.LBB172_469:                            ;   Parent Loop BB172_467 Depth=1
                                        ; =>  This Inner Loop Header: Depth=2
	buffer_wbinvl1_vol
	global_load_dword v27, v15, s[16:17]
	s_waitcnt vmcnt(0)
	v_cmp_gt_i32_e32 vcc, s38, v27
	s_cbranch_vccnz .LBB172_469
.LBB172_470:                            ;   in Loop: Header=BB172_467 Depth=1
	s_or_b64 exec, exec, s[8:9]
	s_sub_i32 s39, s7, s38
	s_lshl_b32 s40, s39, 5
	buffer_wbinvl1_vol
	s_barrier
	s_and_saveexec_b64 s[8:9], s[4:5]
	s_cbranch_execz .LBB172_475
; %bb.471:                              ;   in Loop: Header=BB172_467 Depth=1
	s_ashr_i32 s22, s40, 31
	v_mov_b32_e32 v17, s22
	v_or_b32_e32 v16, s40, v22
	v_cmp_le_i64_e32 vcc, s[26:27], v[16:17]
	s_and_saveexec_b64 s[22:23], vcc
	s_xor_b64 s[22:23], exec, s[22:23]
; %bb.472:                              ;   in Loop: Header=BB172_467 Depth=1
	v_mov_b32_e32 v16, v15
	v_mov_b32_e32 v17, v15
	;; [unrolled: 1-line block ×3, first 2 shown]
	ds_write_b128 v23, v[15:18]
                                        ; implicit-def: $vgpr16_vgpr17
; %bb.473:                              ;   in Loop: Header=BB172_467 Depth=1
	s_andn2_saveexec_b64 s[22:23], s[22:23]
	s_cbranch_execz .LBB172_475
; %bb.474:                              ;   in Loop: Header=BB172_467 Depth=1
	v_mul_lo_u32 v18, v17, s18
	v_mul_lo_u32 v19, v16, s19
	v_mad_u64_u32 v[16:17], s[22:23], v16, s18, 0
	v_add3_u32 v17, v17, v19, v18
	v_lshlrev_b64 v[16:17], 4, v[16:17]
	v_mov_b32_e32 v18, s35
	v_add_co_u32_e32 v16, vcc, s34, v16
	v_addc_co_u32_e32 v17, vcc, v18, v17, vcc
	flat_load_dwordx4 v[16:19], v[16:17]
	s_waitcnt vmcnt(0) lgkmcnt(0)
	ds_write2_b64 v23, v[16:17], v[18:19] offset1:1
.LBB172_475:                            ;   in Loop: Header=BB172_467 Depth=1
	s_or_b64 exec, exec, s[8:9]
	v_add_u32_e32 v28, s40, v2
	v_ashrrev_i32_e32 v18, 31, v28
	v_mul_lo_u32 v19, s29, v28
	v_mad_u64_u32 v[16:17], s[8:9], s28, v28, 0
	v_mul_lo_u32 v18, s28, v18
	s_cmp_lg_u32 s39, s90
	s_cselect_b64 s[8:9], -1, 0
	s_waitcnt lgkmcnt(0)
	v_add3_u32 v17, v17, v18, v19
	v_lshlrev_b64 v[16:17], 4, v[16:17]
	v_cndmask_b32_e64 v18, 0, 1, s[8:9]
	v_add_co_u32_e32 v16, vcc, v25, v16
	v_addc_co_u32_e32 v17, vcc, v26, v17, vcc
	v_cmp_gt_i32_e32 vcc, s26, v28
	s_and_b64 s[40:41], s[10:11], vcc
	v_cmp_ne_u32_e64 s[8:9], 1, v18
	s_barrier
	s_and_saveexec_b64 s[22:23], s[40:41]
	s_cbranch_execz .LBB172_481
; %bb.476:                              ;   in Loop: Header=BB172_467 Depth=1
	v_mov_b32_e32 v19, v4
	s_and_b64 vcc, exec, s[8:9]
	v_mov_b32_e32 v18, v3
	s_cbranch_vccnz .LBB172_478
; %bb.477:                              ;   in Loop: Header=BB172_467 Depth=1
	flat_load_dwordx2 v[18:19], v[16:17]
.LBB172_478:                            ;   in Loop: Header=BB172_467 Depth=1
	v_mov_b32_e32 v21, v6
	s_and_b64 vcc, exec, s[8:9]
	v_mov_b32_e32 v20, v5
	s_cbranch_vccnz .LBB172_480
; %bb.479:                              ;   in Loop: Header=BB172_467 Depth=1
	flat_load_dwordx2 v[20:21], v[16:17] offset:8
.LBB172_480:                            ;   in Loop: Header=BB172_467 Depth=1
	ds_read_b128 v[29:32], v24
	s_waitcnt vmcnt(0) lgkmcnt(0)
	v_mul_f64 v[33:34], v[20:21], v[31:32]
	v_mul_f64 v[31:32], v[18:19], v[31:32]
	v_fma_f64 v[18:19], v[18:19], v[29:30], -v[33:34]
	v_fma_f64 v[20:21], v[20:21], v[29:30], v[31:32]
	v_add_f64 v[13:14], v[13:14], v[18:19]
	v_add_f64 v[11:12], v[11:12], v[20:21]
.LBB172_481:                            ;   in Loop: Header=BB172_467 Depth=1
	s_or_b64 exec, exec, s[22:23]
	v_add_u32_e32 v18, 16, v28
	v_cmp_gt_i32_e32 vcc, s26, v18
	s_and_b64 s[40:41], s[10:11], vcc
	s_and_saveexec_b64 s[22:23], s[40:41]
	s_cbranch_execz .LBB172_466
; %bb.482:                              ;   in Loop: Header=BB172_467 Depth=1
	v_mov_b32_e32 v19, s21
	v_add_co_u32_e32 v18, vcc, s20, v16
	v_addc_co_u32_e32 v19, vcc, v17, v19, vcc
	v_mov_b32_e32 v17, v8
	s_and_b64 vcc, exec, s[8:9]
	v_mov_b32_e32 v16, v7
	s_cbranch_vccnz .LBB172_484
; %bb.483:                              ;   in Loop: Header=BB172_467 Depth=1
	flat_load_dwordx2 v[16:17], v[18:19]
.LBB172_484:                            ;   in Loop: Header=BB172_467 Depth=1
	v_mov_b32_e32 v21, v10
	s_and_b64 vcc, exec, s[8:9]
	v_mov_b32_e32 v20, v9
	s_cbranch_vccnz .LBB172_465
; %bb.485:                              ;   in Loop: Header=BB172_467 Depth=1
	flat_load_dwordx2 v[20:21], v[18:19] offset:8
	s_branch .LBB172_465
.LBB172_486:
	s_xor_b64 s[2:3], s[30:31], -1
	s_xor_b64 s[4:5], s[36:37], -1
	v_lshlrev_b32_e32 v1, 4, v1
	v_mov_b32_e32 v15, v11
	v_mov_b32_e32 v16, v12
	ds_write_b128 v1, v[13:16] offset:16384
	s_waitcnt lgkmcnt(0)
	s_barrier
	s_and_saveexec_b64 s[6:7], s[0:1]
	s_cbranch_execz .LBB172_488
; %bb.487:
	v_lshlrev_b32_e32 v15, 4, v0
	ds_read_b128 v[3:6], v15 offset:16896
	ds_read_b128 v[7:10], v15 offset:17408
	s_waitcnt lgkmcnt(1)
	v_add_f64 v[3:4], v[13:14], v[3:4]
	v_add_f64 v[5:6], v[11:12], v[5:6]
	s_waitcnt lgkmcnt(0)
	v_add_f64 v[11:12], v[3:4], v[7:8]
	v_add_f64 v[13:14], v[5:6], v[9:10]
	ds_read_b128 v[3:6], v15 offset:17920
	ds_read_b128 v[7:10], v15 offset:18432
	s_waitcnt lgkmcnt(1)
	v_add_f64 v[3:4], v[11:12], v[3:4]
	v_add_f64 v[5:6], v[13:14], v[5:6]
	s_waitcnt lgkmcnt(0)
	v_add_f64 v[11:12], v[3:4], v[7:8]
	v_add_f64 v[13:14], v[5:6], v[9:10]
	;; [unrolled: 8-line block ×7, first 2 shown]
	ds_read_b128 v[3:6], v15 offset:24064
	s_waitcnt lgkmcnt(0)
	v_add_f64 v[3:4], v[7:8], v[3:4]
	v_add_f64 v[5:6], v[9:10], v[5:6]
	v_xor_b32_e32 v4, 0x80000000, v4
	v_xor_b32_e32 v6, 0x80000000, v6
	v_cndmask_b32_e64 v13, v3, 0, s[14:15]
	v_cndmask_b32_e64 v14, v4, 0, s[14:15]
	;; [unrolled: 1-line block ×4, first 2 shown]
.LBB172_488:
	s_or_b64 exec, exec, s[6:7]
	s_andn2_b64 vcc, exec, s[4:5]
	s_cbranch_vccnz .LBB172_497
; %bb.489:
	v_mov_b32_e32 v3, 0x6000
	v_lshl_or_b32 v7, v2, 4, v3
	s_and_saveexec_b64 s[4:5], s[0:1]
; %bb.490:
	v_lshl_add_u32 v3, v0, 4, v7
	v_mov_b32_e32 v15, v11
	v_mov_b32_e32 v16, v12
	ds_write_b128 v3, v[13:16]
; %bb.491:
	s_or_b64 exec, exec, s[4:5]
	v_mov_b32_e32 v3, 0
	v_mov_b32_e32 v5, 0
	;; [unrolled: 1-line block ×4, first 2 shown]
	v_cmp_le_u32_e32 vcc, v0, v2
	s_waitcnt lgkmcnt(0)
	s_barrier
	s_and_saveexec_b64 s[4:5], vcc
	s_cbranch_execz .LBB172_493
; %bb.492:
	ds_read_b128 v[3:6], v7
	ds_read_b128 v[15:18], v1
	s_waitcnt lgkmcnt(0)
	v_mul_f64 v[8:9], v[5:6], v[17:18]
	v_mul_f64 v[17:18], v[3:4], v[17:18]
	v_fma_f64 v[3:4], v[3:4], v[15:16], -v[8:9]
	v_fma_f64 v[5:6], v[5:6], v[15:16], v[17:18]
	v_add_f64 v[3:4], v[3:4], 0
	v_add_f64 v[5:6], v[5:6], 0
.LBB172_493:
	s_or_b64 exec, exec, s[4:5]
	v_add_u32_e32 v2, 16, v2
	v_add_u32_e32 v8, 0x4000, v1
	v_cmp_le_u32_e32 vcc, v0, v2
	s_and_saveexec_b64 s[4:5], vcc
	s_cbranch_execz .LBB172_495
; %bb.494:
	ds_read_b128 v[15:18], v7 offset:256
	ds_read_b128 v[23:26], v1 offset:8192
	s_waitcnt lgkmcnt(0)
	v_mul_f64 v[1:2], v[17:18], v[25:26]
	v_mul_f64 v[9:10], v[15:16], v[25:26]
	v_fma_f64 v[1:2], v[15:16], v[23:24], -v[1:2]
	v_fma_f64 v[9:10], v[17:18], v[23:24], v[9:10]
	v_add_f64 v[3:4], v[3:4], v[1:2]
	v_add_f64 v[5:6], v[5:6], v[9:10]
.LBB172_495:
	s_or_b64 exec, exec, s[4:5]
	s_mov_b64 s[6:7], 0
	s_mov_b64 s[4:5], 0
	ds_write_b128 v8, v[3:6]
	s_waitcnt lgkmcnt(0)
	s_barrier
                                        ; implicit-def: $vgpr1_vgpr2
                                        ; implicit-def: $vgpr7_vgpr8
	s_and_saveexec_b64 s[8:9], s[0:1]
	s_cbranch_execz .LBB172_516
; %bb.496:
	v_lshlrev_b32_e32 v19, 4, v0
	ds_read_b128 v[7:10], v19 offset:16896
	ds_read_b128 v[15:18], v19 offset:17408
	s_mov_b64 s[4:5], exec
	s_waitcnt lgkmcnt(1)
	v_add_f64 v[1:2], v[3:4], v[7:8]
	v_add_f64 v[3:4], v[5:6], v[9:10]
	s_waitcnt lgkmcnt(0)
	v_add_f64 v[9:10], v[1:2], v[15:16]
	v_add_f64 v[15:16], v[3:4], v[17:18]
	ds_read_b128 v[1:4], v19 offset:17920
	ds_read_b128 v[5:8], v19 offset:18432
	s_waitcnt lgkmcnt(1)
	v_add_f64 v[1:2], v[9:10], v[1:2]
	v_add_f64 v[3:4], v[15:16], v[3:4]
	s_waitcnt lgkmcnt(0)
	v_add_f64 v[9:10], v[1:2], v[5:6]
	v_add_f64 v[15:16], v[3:4], v[7:8]
	ds_read_b128 v[1:4], v19 offset:18944
	ds_read_b128 v[5:8], v19 offset:19456
	;; [unrolled: 8-line block ×6, first 2 shown]
	s_waitcnt lgkmcnt(1)
	v_add_f64 v[1:2], v[9:10], v[1:2]
	v_add_f64 v[3:4], v[15:16], v[3:4]
	s_waitcnt lgkmcnt(0)
	v_add_f64 v[5:6], v[1:2], v[5:6]
	v_add_f64 v[9:10], v[3:4], v[7:8]
	ds_read_b128 v[1:4], v19 offset:24064
	s_waitcnt lgkmcnt(0)
	v_add_f64 v[7:8], v[5:6], v[1:2]
	v_add_f64 v[1:2], v[9:10], v[3:4]
	s_or_b64 exec, exec, s[8:9]
	s_and_b64 vcc, exec, s[6:7]
	s_cbranch_vccnz .LBB172_498
	s_branch .LBB172_517
.LBB172_497:
	s_mov_b64 s[4:5], 0
                                        ; implicit-def: $vgpr1_vgpr2
                                        ; implicit-def: $vgpr7_vgpr8
	s_cbranch_execz .LBB172_517
.LBB172_498:
	s_movk_i32 s6, 0x210
	v_lshlrev_b32_e32 v2, 9, v0
	v_mov_b32_e32 v3, 0x3c00
	v_mul_u32_u24_e32 v1, 0x210, v0
	v_sub_u32_e32 v2, 0, v2
	v_mad_u32_u24 v3, v0, s6, v3
	s_mov_b32 s8, 31
	s_movk_i32 s9, 0xc200
	v_mov_b32_e32 v4, 0
	s_branch .LBB172_500
.LBB172_499:                            ;   in Loop: Header=BB172_500 Depth=1
	s_or_b64 exec, exec, s[6:7]
	s_add_i32 s8, s8, -2
	s_cmp_lg_u32 s10, 0
	v_add_u32_e32 v2, 0xfffffc00, v2
	s_barrier
	s_cbranch_scc0 .LBB172_508
.LBB172_500:                            ; =>This Inner Loop Header: Depth=1
	v_cmp_eq_u32_e32 vcc, s9, v2
	s_and_b64 s[10:11], s[0:1], vcc
	s_and_saveexec_b64 s[6:7], s[10:11]
	s_cbranch_execz .LBB172_502
; %bb.501:                              ;   in Loop: Header=BB172_500 Depth=1
	ds_read_b128 v[5:8], v1
	s_waitcnt lgkmcnt(0)
	v_mul_f64 v[9:10], v[11:12], v[7:8]
	v_mul_f64 v[7:8], v[13:14], v[7:8]
	v_fma_f64 v[9:10], v[13:14], v[5:6], -v[9:10]
	v_fma_f64 v[11:12], v[11:12], v[5:6], v[7:8]
	v_mov_b32_e32 v14, v10
	v_mov_b32_e32 v13, v9
	ds_write_b128 v4, v[9:12] offset:25088
.LBB172_502:                            ;   in Loop: Header=BB172_500 Depth=1
	s_or_b64 exec, exec, s[6:7]
	v_cmp_gt_u32_e32 vcc, s8, v0
	s_and_b64 s[10:11], s[0:1], vcc
	v_add_u32_e32 v5, v3, v2
	s_waitcnt lgkmcnt(0)
	s_barrier
	s_and_saveexec_b64 s[6:7], s[10:11]
	s_cbranch_execz .LBB172_504
; %bb.503:                              ;   in Loop: Header=BB172_500 Depth=1
	ds_read_b128 v[6:9], v4 offset:25088
	ds_read_b128 v[15:18], v5 offset:512
	s_waitcnt lgkmcnt(0)
	v_mul_f64 v[19:20], v[8:9], v[17:18]
	v_mul_f64 v[17:18], v[6:7], v[17:18]
	v_fma_f64 v[6:7], v[6:7], v[15:16], -v[19:20]
	v_fma_f64 v[8:9], v[8:9], v[15:16], v[17:18]
	v_add_f64 v[13:14], v[13:14], v[6:7]
	v_add_f64 v[11:12], v[11:12], v[8:9]
.LBB172_504:                            ;   in Loop: Header=BB172_500 Depth=1
	s_or_b64 exec, exec, s[6:7]
	s_add_i32 s10, s8, -1
	v_cmp_eq_u32_e32 vcc, s10, v0
	s_and_b64 s[14:15], s[0:1], vcc
	s_barrier
	s_and_saveexec_b64 s[6:7], s[14:15]
	s_cbranch_execz .LBB172_506
; %bb.505:                              ;   in Loop: Header=BB172_500 Depth=1
	ds_read_b128 v[6:9], v1
	s_waitcnt lgkmcnt(0)
	v_mul_f64 v[15:16], v[11:12], v[8:9]
	v_mul_f64 v[17:18], v[13:14], v[8:9]
	v_fma_f64 v[9:10], v[13:14], v[6:7], -v[15:16]
	v_fma_f64 v[11:12], v[11:12], v[6:7], v[17:18]
	v_mov_b32_e32 v14, v10
	v_mov_b32_e32 v13, v9
	ds_write_b128 v4, v[9:12] offset:25088
.LBB172_506:                            ;   in Loop: Header=BB172_500 Depth=1
	s_or_b64 exec, exec, s[6:7]
	v_cmp_gt_u32_e32 vcc, s10, v0
	s_and_b64 s[14:15], s[0:1], vcc
	s_waitcnt lgkmcnt(0)
	s_barrier
	s_and_saveexec_b64 s[6:7], s[14:15]
	s_cbranch_execz .LBB172_499
; %bb.507:                              ;   in Loop: Header=BB172_500 Depth=1
	ds_read_b128 v[6:9], v4 offset:25088
	ds_read_b128 v[15:18], v5
	s_waitcnt lgkmcnt(0)
	v_mul_f64 v[19:20], v[8:9], v[17:18]
	v_mul_f64 v[17:18], v[6:7], v[17:18]
	v_fma_f64 v[5:6], v[6:7], v[15:16], -v[19:20]
	v_fma_f64 v[7:8], v[8:9], v[15:16], v[17:18]
	v_add_f64 v[13:14], v[13:14], v[5:6]
	v_add_f64 v[11:12], v[11:12], v[7:8]
	s_branch .LBB172_499
.LBB172_508:
	s_mov_b64 s[6:7], -1
	s_and_b64 vcc, exec, s[2:3]
	s_cbranch_vccnz .LBB172_518
; %bb.509:
	s_andn2_b64 vcc, exec, s[6:7]
	s_cbranch_vccz .LBB172_519
.LBB172_510:
	s_and_saveexec_b64 s[0:1], s[4:5]
	s_cbranch_execz .LBB172_512
.LBB172_511:
	v_mov_b32_e32 v0, s86
	v_add_co_u32_e32 v1, vcc, s33, v22
	v_addc_co_u32_e32 v0, vcc, 0, v0, vcc
	v_mul_lo_u32 v2, v0, s18
	v_mul_lo_u32 v3, v1, s19
	v_mad_u64_u32 v[0:1], s[2:3], v1, s18, 0
	v_mov_b32_e32 v15, v11
	v_mov_b32_e32 v16, v12
	v_add3_u32 v1, v1, v3, v2
	v_lshlrev_b64 v[0:1], 4, v[0:1]
	v_mov_b32_e32 v2, s35
	v_add_co_u32_e32 v0, vcc, s34, v0
	v_addc_co_u32_e32 v1, vcc, v2, v1, vcc
	flat_store_dwordx4 v[0:1], v[13:16]
.LBB172_512:
	s_or_b64 exec, exec, s[0:1]
	v_cmp_eq_u32_e32 vcc, 0, v22
	s_waitcnt vmcnt(0) lgkmcnt(0)
	buffer_wbinvl1_vol
	s_barrier
	s_and_saveexec_b64 s[0:1], vcc
	s_cbranch_execz .LBB172_514
; %bb.513:
	s_lshl_b64 s[2:3], s[24:25], 2
	s_add_u32 s2, s12, s2
	s_addc_u32 s3, s13, s3
	v_mov_b32_e32 v0, 0
	global_load_dword v1, v0, s[2:3]
	s_waitcnt vmcnt(0)
	v_add_u32_e32 v1, 1, v1
	global_store_dword v0, v1, s[2:3]
.LBB172_514:
	s_or_b64 exec, exec, s[0:1]
	s_waitcnt vmcnt(0)
	buffer_wbinvl1_vol
	s_endpgm
.LBB172_515:
                                        ; implicit-def: $vgpr9_vgpr10
                                        ; implicit-def: $vgpr5_vgpr6
                                        ; implicit-def: $sgpr33
	s_cbranch_execnz .LBB172_6
	s_branch .LBB172_7
.LBB172_516:
	s_or_b64 exec, exec, s[8:9]
	s_and_b64 vcc, exec, s[6:7]
	s_cbranch_vccnz .LBB172_498
.LBB172_517:
	v_mov_b32_e32 v12, v2
	v_mov_b32_e32 v14, v8
	;; [unrolled: 1-line block ×4, first 2 shown]
	s_and_saveexec_b64 s[0:1], s[4:5]
	s_cbranch_execnz .LBB172_511
	s_branch .LBB172_512
.LBB172_518:
	s_andn2_b64 s[2:3], s[4:5], exec
	s_and_b64 s[4:5], s[0:1], exec
	s_or_b64 s[4:5], s[2:3], s[4:5]
	s_cbranch_execnz .LBB172_510
.LBB172_519:
	v_cmp_gt_i32_e32 vcc, s87, v0
	s_and_b64 s[0:1], s[0:1], vcc
	s_andn2_b64 s[2:3], s[4:5], exec
	s_and_b64 s[0:1], s[0:1], exec
	s_or_b64 s[4:5], s[2:3], s[0:1]
	s_and_saveexec_b64 s[0:1], s[4:5]
	s_cbranch_execnz .LBB172_511
	s_branch .LBB172_512
.LBB172_520:
	ds_read_b128 v[24:27], v23 offset:14800
	ds_read_b128 v[28:31], v22 offset:15232
	s_waitcnt lgkmcnt(0)
	v_mul_f64 v[32:33], v[26:27], v[30:31]
	v_mul_f64 v[30:31], v[24:25], v[30:31]
	v_fma_f64 v[24:25], v[24:25], v[28:29], -v[32:33]
	v_fma_f64 v[26:27], v[26:27], v[28:29], v[30:31]
	v_add_f64 v[11:12], v[11:12], v[24:25]
	v_add_f64 v[13:14], v[13:14], v[26:27]
	s_or_b64 exec, exec, s[14:15]
	v_cmp_gt_u32_e64 s[10:11], 8, v18
	s_and_saveexec_b64 s[14:15], s[10:11]
	s_cbranch_execz .LBB172_87
.LBB172_521:
	ds_read_b128 v[23:26], v23 offset:14816
	ds_read_b128 v[27:30], v22 offset:15744
	s_waitcnt lgkmcnt(0)
	v_mul_f64 v[31:32], v[25:26], v[29:30]
	v_mul_f64 v[29:30], v[23:24], v[29:30]
	v_fma_f64 v[22:23], v[23:24], v[27:28], -v[31:32]
	v_fma_f64 v[24:25], v[25:26], v[27:28], v[29:30]
	v_add_f64 v[11:12], v[11:12], v[22:23]
	v_add_f64 v[13:14], v[13:14], v[24:25]
	s_or_b64 exec, exec, s[14:15]
	v_cmp_gt_u32_e64 s[10:11], 4, v18
	s_and_saveexec_b64 s[14:15], s[10:11]
	s_cbranch_execnz .LBB172_88
	s_branch .LBB172_89
.LBB172_522:
	ds_read_b128 v[27:30], v26 offset:12688
	ds_read_b128 v[31:34], v25 offset:13056
	s_waitcnt lgkmcnt(0)
	v_mul_f64 v[35:36], v[29:30], v[33:34]
	v_mul_f64 v[33:34], v[27:28], v[33:34]
	v_fma_f64 v[27:28], v[27:28], v[31:32], -v[35:36]
	v_fma_f64 v[29:30], v[29:30], v[31:32], v[33:34]
	v_add_f64 v[11:12], v[11:12], v[27:28]
	v_add_f64 v[13:14], v[13:14], v[29:30]
	s_or_b64 exec, exec, s[54:55]
	v_cmp_gt_u32_e64 s[10:11], 48, v18
	s_and_saveexec_b64 s[54:55], s[10:11]
	s_cbranch_execz .LBB172_125
.LBB172_523:
	ds_read_b128 v[27:30], v26 offset:12704
	ds_read_b128 v[31:34], v25 offset:13568
	s_waitcnt lgkmcnt(0)
	v_mul_f64 v[35:36], v[29:30], v[33:34]
	v_mul_f64 v[33:34], v[27:28], v[33:34]
	v_fma_f64 v[27:28], v[27:28], v[31:32], -v[35:36]
	v_fma_f64 v[29:30], v[29:30], v[31:32], v[33:34]
	v_add_f64 v[11:12], v[11:12], v[27:28]
	v_add_f64 v[13:14], v[13:14], v[29:30]
	s_or_b64 exec, exec, s[54:55]
	v_cmp_gt_u32_e64 s[10:11], 40, v18
	s_and_saveexec_b64 s[54:55], s[10:11]
	s_cbranch_execz .LBB172_126
.LBB172_524:
	ds_read_b128 v[27:30], v26 offset:12720
	ds_read_b128 v[31:34], v25 offset:14080
	s_waitcnt lgkmcnt(0)
	v_mul_f64 v[35:36], v[29:30], v[33:34]
	v_mul_f64 v[33:34], v[27:28], v[33:34]
	v_fma_f64 v[27:28], v[27:28], v[31:32], -v[35:36]
	v_fma_f64 v[29:30], v[29:30], v[31:32], v[33:34]
	v_add_f64 v[11:12], v[11:12], v[27:28]
	v_add_f64 v[13:14], v[13:14], v[29:30]
	s_or_b64 exec, exec, s[54:55]
	v_cmp_gt_u32_e64 s[10:11], 32, v18
	s_and_saveexec_b64 s[54:55], s[10:11]
	s_cbranch_execz .LBB172_127
.LBB172_525:
	ds_read_b128 v[27:30], v26 offset:12736
	ds_read_b128 v[31:34], v25 offset:14592
	s_waitcnt lgkmcnt(0)
	v_mul_f64 v[35:36], v[29:30], v[33:34]
	v_mul_f64 v[33:34], v[27:28], v[33:34]
	v_fma_f64 v[27:28], v[27:28], v[31:32], -v[35:36]
	v_fma_f64 v[29:30], v[29:30], v[31:32], v[33:34]
	v_add_f64 v[11:12], v[11:12], v[27:28]
	v_add_f64 v[13:14], v[13:14], v[29:30]
	s_or_b64 exec, exec, s[54:55]
	v_cmp_gt_u32_e64 s[10:11], 24, v18
	s_and_saveexec_b64 s[54:55], s[10:11]
	s_cbranch_execz .LBB172_128
.LBB172_526:
	ds_read_b128 v[27:30], v26 offset:12752
	ds_read_b128 v[31:34], v25 offset:15104
	s_waitcnt lgkmcnt(0)
	v_mul_f64 v[35:36], v[29:30], v[33:34]
	v_mul_f64 v[33:34], v[27:28], v[33:34]
	v_fma_f64 v[27:28], v[27:28], v[31:32], -v[35:36]
	v_fma_f64 v[29:30], v[29:30], v[31:32], v[33:34]
	v_add_f64 v[11:12], v[11:12], v[27:28]
	v_add_f64 v[13:14], v[13:14], v[29:30]
	s_or_b64 exec, exec, s[54:55]
	s_and_saveexec_b64 s[10:11], s[2:3]
	s_cbranch_execz .LBB172_129
.LBB172_527:
	ds_read_b128 v[26:29], v26 offset:12768
	ds_read_b128 v[30:33], v25 offset:15616
	s_waitcnt lgkmcnt(0)
	v_mul_f64 v[34:35], v[28:29], v[32:33]
	v_mul_f64 v[32:33], v[26:27], v[32:33]
	v_fma_f64 v[25:26], v[26:27], v[30:31], -v[34:35]
	v_fma_f64 v[27:28], v[28:29], v[30:31], v[32:33]
	v_add_f64 v[11:12], v[11:12], v[25:26]
	v_add_f64 v[13:14], v[13:14], v[27:28]
	s_or_b64 exec, exec, s[10:11]
	v_cmp_gt_u32_e64 s[10:11], 8, v18
	s_and_saveexec_b64 s[54:55], s[10:11]
	s_cbranch_execnz .LBB172_130
	s_branch .LBB172_131
.LBB172_528:
	ds_read_b128 v[27:30], v26 offset:10576
	ds_read_b128 v[31:34], v25 offset:11008
	s_waitcnt lgkmcnt(0)
	v_mul_f64 v[35:36], v[29:30], v[33:34]
	v_mul_f64 v[33:34], v[27:28], v[33:34]
	v_fma_f64 v[27:28], v[27:28], v[31:32], -v[35:36]
	v_fma_f64 v[29:30], v[29:30], v[31:32], v[33:34]
	v_add_f64 v[11:12], v[11:12], v[27:28]
	v_add_f64 v[13:14], v[13:14], v[29:30]
	s_or_b64 exec, exec, s[14:15]
	v_cmp_gt_u32_e64 s[8:9], 8, v18
	s_and_saveexec_b64 s[14:15], s[8:9]
	s_cbranch_execz .LBB172_183
.LBB172_529:
	ds_read_b128 v[26:29], v26 offset:10592
	ds_read_b128 v[30:33], v25 offset:11520
	s_waitcnt lgkmcnt(0)
	v_mul_f64 v[34:35], v[28:29], v[32:33]
	v_mul_f64 v[32:33], v[26:27], v[32:33]
	v_fma_f64 v[25:26], v[26:27], v[30:31], -v[34:35]
	v_fma_f64 v[27:28], v[28:29], v[30:31], v[32:33]
	v_add_f64 v[11:12], v[11:12], v[25:26]
	v_add_f64 v[13:14], v[13:14], v[27:28]
	s_or_b64 exec, exec, s[14:15]
	v_cmp_gt_u32_e64 s[8:9], 4, v18
	s_and_saveexec_b64 s[14:15], s[8:9]
	s_cbranch_execnz .LBB172_184
	s_branch .LBB172_185
.LBB172_530:
	ds_read_b128 v[30:33], v29 offset:8624
	ds_read_b128 v[34:37], v28 offset:13824
	s_waitcnt lgkmcnt(0)
	v_mul_f64 v[38:39], v[32:33], v[36:37]
	v_mul_f64 v[36:37], v[30:31], v[36:37]
	v_fma_f64 v[30:31], v[30:31], v[34:35], -v[38:39]
	v_fma_f64 v[32:33], v[32:33], v[34:35], v[36:37]
	v_add_f64 v[11:12], v[11:12], v[30:31]
	v_add_f64 v[13:14], v[13:14], v[32:33]
	s_or_b64 exec, exec, s[84:85]
	s_and_saveexec_b64 s[14:15], s[12:13]
	s_cbranch_execz .LBB172_241
.LBB172_531:
	ds_read_b128 v[30:33], v29 offset:8640
	ds_read_b128 v[34:37], v28 offset:14336
	s_waitcnt lgkmcnt(0)
	v_mul_f64 v[38:39], v[32:33], v[36:37]
	v_mul_f64 v[36:37], v[30:31], v[36:37]
	v_fma_f64 v[30:31], v[30:31], v[34:35], -v[38:39]
	v_fma_f64 v[32:33], v[32:33], v[34:35], v[36:37]
	v_add_f64 v[11:12], v[11:12], v[30:31]
	v_add_f64 v[13:14], v[13:14], v[32:33]
	s_or_b64 exec, exec, s[14:15]
	v_cmp_gt_u32_e64 s[14:15], 48, v18
	s_and_saveexec_b64 s[84:85], s[14:15]
	s_cbranch_execz .LBB172_242
.LBB172_532:
	ds_read_b128 v[30:33], v29 offset:8656
	ds_read_b128 v[34:37], v28 offset:14848
	s_waitcnt lgkmcnt(0)
	v_mul_f64 v[38:39], v[32:33], v[36:37]
	v_mul_f64 v[36:37], v[30:31], v[36:37]
	v_fma_f64 v[30:31], v[30:31], v[34:35], -v[38:39]
	v_fma_f64 v[32:33], v[32:33], v[34:35], v[36:37]
	v_add_f64 v[11:12], v[11:12], v[30:31]
	v_add_f64 v[13:14], v[13:14], v[32:33]
	s_or_b64 exec, exec, s[84:85]
	v_cmp_gt_u32_e64 s[14:15], 32, v18
	s_and_saveexec_b64 s[84:85], s[14:15]
	s_cbranch_execz .LBB172_243
.LBB172_533:
	ds_read_b128 v[29:32], v29 offset:8672
	ds_read_b128 v[33:36], v28 offset:15360
	s_waitcnt lgkmcnt(0)
	v_mul_f64 v[37:38], v[31:32], v[35:36]
	v_mul_f64 v[35:36], v[29:30], v[35:36]
	v_fma_f64 v[28:29], v[29:30], v[33:34], -v[37:38]
	v_fma_f64 v[30:31], v[31:32], v[33:34], v[35:36]
	v_add_f64 v[11:12], v[11:12], v[28:29]
	v_add_f64 v[13:14], v[13:14], v[30:31]
	s_or_b64 exec, exec, s[84:85]
	v_cmp_gt_u32_e64 s[14:15], 16, v18
	s_and_saveexec_b64 s[84:85], s[14:15]
	s_cbranch_execnz .LBB172_244
	s_branch .LBB172_245
.LBB172_534:
	ds_read_b128 v[27:30], v26 offset:6352
	ds_read_b128 v[31:34], v25 offset:6784
	s_waitcnt lgkmcnt(0)
	v_mul_f64 v[35:36], v[29:30], v[33:34]
	v_mul_f64 v[33:34], v[27:28], v[33:34]
	v_fma_f64 v[27:28], v[27:28], v[31:32], -v[35:36]
	v_fma_f64 v[29:30], v[29:30], v[31:32], v[33:34]
	v_add_f64 v[11:12], v[11:12], v[27:28]
	v_add_f64 v[13:14], v[13:14], v[29:30]
	s_or_b64 exec, exec, s[14:15]
	v_cmp_gt_u32_e64 s[8:9], 8, v18
	s_and_saveexec_b64 s[14:15], s[8:9]
	s_cbranch_execz .LBB172_329
.LBB172_535:
	ds_read_b128 v[26:29], v26 offset:6368
	ds_read_b128 v[30:33], v25 offset:7296
	s_waitcnt lgkmcnt(0)
	v_mul_f64 v[34:35], v[28:29], v[32:33]
	v_mul_f64 v[32:33], v[26:27], v[32:33]
	v_fma_f64 v[25:26], v[26:27], v[30:31], -v[34:35]
	v_fma_f64 v[27:28], v[28:29], v[30:31], v[32:33]
	v_add_f64 v[11:12], v[11:12], v[25:26]
	v_add_f64 v[13:14], v[13:14], v[27:28]
	s_or_b64 exec, exec, s[14:15]
	v_cmp_gt_u32_e64 s[8:9], 4, v18
	s_and_saveexec_b64 s[14:15], s[8:9]
	s_cbranch_execnz .LBB172_330
	s_branch .LBB172_331
.LBB172_536:
	ds_read_b128 v[27:30], v26 offset:4240
	ds_read_b128 v[31:34], v25 offset:4608
	s_waitcnt lgkmcnt(0)
	v_mul_f64 v[35:36], v[29:30], v[33:34]
	v_mul_f64 v[33:34], v[27:28], v[33:34]
	v_fma_f64 v[27:28], v[27:28], v[31:32], -v[35:36]
	v_fma_f64 v[29:30], v[29:30], v[31:32], v[33:34]
	v_add_f64 v[11:12], v[11:12], v[27:28]
	v_add_f64 v[13:14], v[13:14], v[29:30]
	s_or_b64 exec, exec, s[14:15]
	v_cmp_gt_u32_e64 s[8:9], 48, v18
	s_and_saveexec_b64 s[14:15], s[8:9]
	s_cbranch_execz .LBB172_367
.LBB172_537:
	ds_read_b128 v[27:30], v26 offset:4256
	ds_read_b128 v[31:34], v25 offset:5120
	s_waitcnt lgkmcnt(0)
	v_mul_f64 v[35:36], v[29:30], v[33:34]
	v_mul_f64 v[33:34], v[27:28], v[33:34]
	v_fma_f64 v[27:28], v[27:28], v[31:32], -v[35:36]
	v_fma_f64 v[29:30], v[29:30], v[31:32], v[33:34]
	v_add_f64 v[11:12], v[11:12], v[27:28]
	v_add_f64 v[13:14], v[13:14], v[29:30]
	s_or_b64 exec, exec, s[14:15]
	v_cmp_gt_u32_e64 s[8:9], 40, v18
	s_and_saveexec_b64 s[14:15], s[8:9]
	s_cbranch_execz .LBB172_368
.LBB172_538:
	ds_read_b128 v[27:30], v26 offset:4272
	ds_read_b128 v[31:34], v25 offset:5632
	s_waitcnt lgkmcnt(0)
	v_mul_f64 v[35:36], v[29:30], v[33:34]
	v_mul_f64 v[33:34], v[27:28], v[33:34]
	v_fma_f64 v[27:28], v[27:28], v[31:32], -v[35:36]
	v_fma_f64 v[29:30], v[29:30], v[31:32], v[33:34]
	v_add_f64 v[11:12], v[11:12], v[27:28]
	v_add_f64 v[13:14], v[13:14], v[29:30]
	s_or_b64 exec, exec, s[14:15]
	v_cmp_gt_u32_e64 s[8:9], 32, v18
	s_and_saveexec_b64 s[14:15], s[8:9]
	s_cbranch_execz .LBB172_369
.LBB172_539:
	ds_read_b128 v[27:30], v26 offset:4288
	ds_read_b128 v[31:34], v25 offset:6144
	s_waitcnt lgkmcnt(0)
	v_mul_f64 v[35:36], v[29:30], v[33:34]
	v_mul_f64 v[33:34], v[27:28], v[33:34]
	v_fma_f64 v[27:28], v[27:28], v[31:32], -v[35:36]
	v_fma_f64 v[29:30], v[29:30], v[31:32], v[33:34]
	v_add_f64 v[11:12], v[11:12], v[27:28]
	v_add_f64 v[13:14], v[13:14], v[29:30]
	s_or_b64 exec, exec, s[14:15]
	v_cmp_gt_u32_e64 s[8:9], 24, v18
	s_and_saveexec_b64 s[14:15], s[8:9]
	s_cbranch_execz .LBB172_370
.LBB172_540:
	ds_read_b128 v[27:30], v26 offset:4304
	ds_read_b128 v[31:34], v25 offset:6656
	s_waitcnt lgkmcnt(0)
	v_mul_f64 v[35:36], v[29:30], v[33:34]
	v_mul_f64 v[33:34], v[27:28], v[33:34]
	v_fma_f64 v[27:28], v[27:28], v[31:32], -v[35:36]
	v_fma_f64 v[29:30], v[29:30], v[31:32], v[33:34]
	v_add_f64 v[11:12], v[11:12], v[27:28]
	v_add_f64 v[13:14], v[13:14], v[29:30]
	s_or_b64 exec, exec, s[14:15]
	s_and_saveexec_b64 s[8:9], s[2:3]
	s_cbranch_execz .LBB172_371
.LBB172_541:
	ds_read_b128 v[26:29], v26 offset:4320
	ds_read_b128 v[30:33], v25 offset:7168
	s_waitcnt lgkmcnt(0)
	v_mul_f64 v[34:35], v[28:29], v[32:33]
	v_mul_f64 v[32:33], v[26:27], v[32:33]
	v_fma_f64 v[25:26], v[26:27], v[30:31], -v[34:35]
	v_fma_f64 v[27:28], v[28:29], v[30:31], v[32:33]
	v_add_f64 v[11:12], v[11:12], v[25:26]
	v_add_f64 v[13:14], v[13:14], v[27:28]
	s_or_b64 exec, exec, s[8:9]
	v_cmp_gt_u32_e64 s[8:9], 8, v18
	s_and_saveexec_b64 s[14:15], s[8:9]
	s_cbranch_execnz .LBB172_372
	s_branch .LBB172_373
.LBB172_542:
	ds_read_b128 v[24:27], v23 offset:2128
	ds_read_b128 v[28:31], v22 offset:2560
	s_waitcnt lgkmcnt(0)
	v_mul_f64 v[32:33], v[26:27], v[30:31]
	v_mul_f64 v[30:31], v[24:25], v[30:31]
	v_fma_f64 v[24:25], v[24:25], v[28:29], -v[32:33]
	v_fma_f64 v[26:27], v[26:27], v[28:29], v[30:31]
	v_add_f64 v[11:12], v[11:12], v[24:25]
	v_add_f64 v[13:14], v[13:14], v[26:27]
	s_or_b64 exec, exec, s[12:13]
	v_cmp_gt_u32_e64 s[8:9], 8, v18
	s_and_saveexec_b64 s[12:13], s[8:9]
	s_cbranch_execz .LBB172_425
.LBB172_543:
	ds_read_b128 v[23:26], v23 offset:2144
	ds_read_b128 v[27:30], v22 offset:3072
	s_waitcnt lgkmcnt(0)
	v_mul_f64 v[31:32], v[25:26], v[29:30]
	v_mul_f64 v[29:30], v[23:24], v[29:30]
	v_fma_f64 v[22:23], v[23:24], v[27:28], -v[31:32]
	v_fma_f64 v[24:25], v[25:26], v[27:28], v[29:30]
	v_add_f64 v[11:12], v[11:12], v[22:23]
	v_add_f64 v[13:14], v[13:14], v[24:25]
	s_or_b64 exec, exec, s[12:13]
	v_cmp_gt_u32_e64 s[8:9], 4, v18
	s_and_saveexec_b64 s[12:13], s[8:9]
	s_cbranch_execnz .LBB172_426
	s_branch .LBB172_427
	.section	.rodata,"a",@progbits
	.p2align	6, 0x0
	.amdhsa_kernel _ZL19rocblas_trsv_deviceILi32ELi16ELb0ELb0ELb0ELb0E19rocblas_complex_numIdEPKS1_PKS3_PKPS1_EviT7_lllT6_T8_lllPii
		.amdhsa_group_segment_fixed_size 25104
		.amdhsa_private_segment_fixed_size 0
		.amdhsa_kernarg_size 352
		.amdhsa_user_sgpr_count 6
		.amdhsa_user_sgpr_private_segment_buffer 1
		.amdhsa_user_sgpr_dispatch_ptr 0
		.amdhsa_user_sgpr_queue_ptr 0
		.amdhsa_user_sgpr_kernarg_segment_ptr 1
		.amdhsa_user_sgpr_dispatch_id 0
		.amdhsa_user_sgpr_flat_scratch_init 0
		.amdhsa_user_sgpr_private_segment_size 0
		.amdhsa_uses_dynamic_stack 0
		.amdhsa_system_sgpr_private_segment_wavefront_offset 0
		.amdhsa_system_sgpr_workgroup_id_x 1
		.amdhsa_system_sgpr_workgroup_id_y 0
		.amdhsa_system_sgpr_workgroup_id_z 1
		.amdhsa_system_sgpr_workgroup_info 0
		.amdhsa_system_vgpr_workitem_id 1
		.amdhsa_next_free_vgpr 49
		.amdhsa_next_free_sgpr 98
		.amdhsa_reserve_vcc 1
		.amdhsa_reserve_flat_scratch 0
		.amdhsa_float_round_mode_32 0
		.amdhsa_float_round_mode_16_64 0
		.amdhsa_float_denorm_mode_32 3
		.amdhsa_float_denorm_mode_16_64 3
		.amdhsa_dx10_clamp 1
		.amdhsa_ieee_mode 1
		.amdhsa_fp16_overflow 0
		.amdhsa_exception_fp_ieee_invalid_op 0
		.amdhsa_exception_fp_denorm_src 0
		.amdhsa_exception_fp_ieee_div_zero 0
		.amdhsa_exception_fp_ieee_overflow 0
		.amdhsa_exception_fp_ieee_underflow 0
		.amdhsa_exception_fp_ieee_inexact 0
		.amdhsa_exception_int_div_zero 0
	.end_amdhsa_kernel
	.section	.text._ZL19rocblas_trsv_deviceILi32ELi16ELb0ELb0ELb0ELb0E19rocblas_complex_numIdEPKS1_PKS3_PKPS1_EviT7_lllT6_T8_lllPii,"axG",@progbits,_ZL19rocblas_trsv_deviceILi32ELi16ELb0ELb0ELb0ELb0E19rocblas_complex_numIdEPKS1_PKS3_PKPS1_EviT7_lllT6_T8_lllPii,comdat
.Lfunc_end172:
	.size	_ZL19rocblas_trsv_deviceILi32ELi16ELb0ELb0ELb0ELb0E19rocblas_complex_numIdEPKS1_PKS3_PKPS1_EviT7_lllT6_T8_lllPii, .Lfunc_end172-_ZL19rocblas_trsv_deviceILi32ELi16ELb0ELb0ELb0ELb0E19rocblas_complex_numIdEPKS1_PKS3_PKPS1_EviT7_lllT6_T8_lllPii
                                        ; -- End function
	.set _ZL19rocblas_trsv_deviceILi32ELi16ELb0ELb0ELb0ELb0E19rocblas_complex_numIdEPKS1_PKS3_PKPS1_EviT7_lllT6_T8_lllPii.num_vgpr, 40
	.set _ZL19rocblas_trsv_deviceILi32ELi16ELb0ELb0ELb0ELb0E19rocblas_complex_numIdEPKS1_PKS3_PKPS1_EviT7_lllT6_T8_lllPii.num_agpr, 0
	.set _ZL19rocblas_trsv_deviceILi32ELi16ELb0ELb0ELb0ELb0E19rocblas_complex_numIdEPKS1_PKS3_PKPS1_EviT7_lllT6_T8_lllPii.numbered_sgpr, 92
	.set _ZL19rocblas_trsv_deviceILi32ELi16ELb0ELb0ELb0ELb0E19rocblas_complex_numIdEPKS1_PKS3_PKPS1_EviT7_lllT6_T8_lllPii.num_named_barrier, 0
	.set _ZL19rocblas_trsv_deviceILi32ELi16ELb0ELb0ELb0ELb0E19rocblas_complex_numIdEPKS1_PKS3_PKPS1_EviT7_lllT6_T8_lllPii.private_seg_size, 0
	.set _ZL19rocblas_trsv_deviceILi32ELi16ELb0ELb0ELb0ELb0E19rocblas_complex_numIdEPKS1_PKS3_PKPS1_EviT7_lllT6_T8_lllPii.uses_vcc, 1
	.set _ZL19rocblas_trsv_deviceILi32ELi16ELb0ELb0ELb0ELb0E19rocblas_complex_numIdEPKS1_PKS3_PKPS1_EviT7_lllT6_T8_lllPii.uses_flat_scratch, 0
	.set _ZL19rocblas_trsv_deviceILi32ELi16ELb0ELb0ELb0ELb0E19rocblas_complex_numIdEPKS1_PKS3_PKPS1_EviT7_lllT6_T8_lllPii.has_dyn_sized_stack, 0
	.set _ZL19rocblas_trsv_deviceILi32ELi16ELb0ELb0ELb0ELb0E19rocblas_complex_numIdEPKS1_PKS3_PKPS1_EviT7_lllT6_T8_lllPii.has_recursion, 0
	.set _ZL19rocblas_trsv_deviceILi32ELi16ELb0ELb0ELb0ELb0E19rocblas_complex_numIdEPKS1_PKS3_PKPS1_EviT7_lllT6_T8_lllPii.has_indirect_call, 0
	.section	.AMDGPU.csdata,"",@progbits
; Kernel info:
; codeLenInByte = 26976
; TotalNumSgprs: 96
; NumVgprs: 40
; ScratchSize: 0
; MemoryBound: 1
; FloatMode: 240
; IeeeMode: 1
; LDSByteSize: 25104 bytes/workgroup (compile time only)
; SGPRBlocks: 12
; VGPRBlocks: 12
; NumSGPRsForWavesPerEU: 102
; NumVGPRsForWavesPerEU: 49
; Occupancy: 4
; WaveLimiterHint : 1
; COMPUTE_PGM_RSRC2:SCRATCH_EN: 0
; COMPUTE_PGM_RSRC2:USER_SGPR: 6
; COMPUTE_PGM_RSRC2:TRAP_HANDLER: 0
; COMPUTE_PGM_RSRC2:TGID_X_EN: 1
; COMPUTE_PGM_RSRC2:TGID_Y_EN: 0
; COMPUTE_PGM_RSRC2:TGID_Z_EN: 1
; COMPUTE_PGM_RSRC2:TIDIG_COMP_CNT: 1
	.section	.text._ZL19rocblas_trsv_deviceILi32ELi16ELb0ELb1ELb0ELb0E19rocblas_complex_numIdEPKS1_PKS3_PKPS1_EviT7_lllT6_T8_lllPii,"axG",@progbits,_ZL19rocblas_trsv_deviceILi32ELi16ELb0ELb1ELb0ELb0E19rocblas_complex_numIdEPKS1_PKS3_PKPS1_EviT7_lllT6_T8_lllPii,comdat
	.globl	_ZL19rocblas_trsv_deviceILi32ELi16ELb0ELb1ELb0ELb0E19rocblas_complex_numIdEPKS1_PKS3_PKPS1_EviT7_lllT6_T8_lllPii ; -- Begin function _ZL19rocblas_trsv_deviceILi32ELi16ELb0ELb1ELb0ELb0E19rocblas_complex_numIdEPKS1_PKS3_PKPS1_EviT7_lllT6_T8_lllPii
	.p2align	8
	.type	_ZL19rocblas_trsv_deviceILi32ELi16ELb0ELb1ELb0ELb0E19rocblas_complex_numIdEPKS1_PKS3_PKPS1_EviT7_lllT6_T8_lllPii,@function
_ZL19rocblas_trsv_deviceILi32ELi16ELb0ELb1ELb0ELb0E19rocblas_complex_numIdEPKS1_PKS3_PKPS1_EviT7_lllT6_T8_lllPii: ; @_ZL19rocblas_trsv_deviceILi32ELi16ELb0ELb1ELb0ELb0E19rocblas_complex_numIdEPKS1_PKS3_PKPS1_EviT7_lllT6_T8_lllPii
; %bb.0:
	s_load_dwordx4 s[0:3], s[4:5], 0x8
	s_mov_b32 s28, s7
	s_mov_b32 s29, 0
	s_lshl_b64 s[8:9], s[28:29], 3
	v_mov_b32_e32 v2, v1
	s_waitcnt lgkmcnt(0)
	s_add_u32 s0, s0, s8
	s_addc_u32 s1, s1, s9
	s_load_dwordx2 s[10:11], s[0:1], 0x0
	s_load_dword s7, s[4:5], 0x0
	s_load_dwordx8 s[16:23], s[4:5], 0x28
	s_load_dwordx2 s[34:35], s[4:5], 0x18
	s_lshl_b64 s[0:1], s[2:3], 4
	s_waitcnt lgkmcnt(0)
	s_add_u32 s94, s10, s0
	s_addc_u32 s95, s11, s1
	s_add_u32 s0, s18, s8
	s_addc_u32 s1, s19, s9
	s_load_dwordx2 s[36:37], s[0:1], 0x0
	s_load_dwordx4 s[24:27], s[16:17], 0x0
	s_load_dword s46, s[4:5], 0x6c
	s_cmp_eq_u32 s6, 0
	s_cbranch_scc1 .LBB173_6
; %bb.1:
	s_lshl_b32 s33, s6, 5
	v_add_u32_e32 v1, s33, v0
	v_ashrrev_i32_e32 v3, 31, v1
	v_mul_lo_u32 v7, s34, v3
	v_mul_lo_u32 v8, s35, v1
	v_mad_u64_u32 v[5:6], s[0:1], s34, v1, 0
	v_add_u32_e32 v3, s33, v2
	v_subrev_u32_e32 v3, 32, v3
	v_add3_u32 v6, v6, v7, v8
	v_lshlrev_b64 v[5:6], 4, v[5:6]
	v_ashrrev_i32_e32 v4, 31, v3
	v_cmp_gt_i32_e32 vcc, s7, v1
	v_mov_b32_e32 v1, s95
	v_add_co_u32_e64 v7, s[0:1], s94, v5
	v_lshlrev_b64 v[4:5], 4, v[3:4]
	v_addc_co_u32_e64 v1, s[0:1], v1, v6, s[0:1]
	v_add_co_u32_e64 v11, s[0:1], v7, v4
	v_addc_co_u32_e64 v12, s[0:1], v1, v5, s[0:1]
	v_cmp_gt_i32_e64 s[0:1], s7, v3
	v_mov_b32_e32 v5, 0
	v_mov_b32_e32 v7, 0
	;; [unrolled: 1-line block ×6, first 2 shown]
	s_and_b64 s[2:3], s[0:1], vcc
	s_waitcnt lgkmcnt(0)
	s_barrier
	s_and_saveexec_b64 s[0:1], s[2:3]
	s_cbranch_execz .LBB173_3
; %bb.2:
	flat_load_dwordx4 v[7:10], v[11:12]
.LBB173_3:
	s_or_b64 exec, exec, s[0:1]
	v_add_u32_e32 v1, 16, v3
	v_cmp_gt_i32_e64 s[0:1], s7, v1
	v_mov_b32_e32 v3, 0
	v_mov_b32_e32 v4, 0
	s_and_b64 s[2:3], s[0:1], vcc
	s_waitcnt vmcnt(0) lgkmcnt(0)
	s_barrier
	s_and_saveexec_b64 s[0:1], s[2:3]
	s_cbranch_execz .LBB173_5
; %bb.4:
	flat_load_dwordx4 v[3:6], v[11:12] offset:256
.LBB173_5:
	s_or_b64 exec, exec, s[0:1]
	s_branch .LBB173_7
.LBB173_6:
                                        ; implicit-def: $vgpr5_vgpr6
                                        ; implicit-def: $vgpr9_vgpr10
	s_mov_b32 s33, s29
.LBB173_7:
	s_ashr_i32 s0, s7, 31
	s_lshr_b32 s0, s0, 27
	s_add_i32 s0, s7, s0
	s_andn2_b32 s0, s0, 31
	s_sub_i32 s93, s7, s0
	s_add_i32 s0, s7, -1
	s_ashr_i32 s1, s0, 31
	s_lshr_b32 s1, s1, 27
	s_add_i32 s0, s0, s1
	s_ashr_i32 s0, s0, 5
	s_cmp_eq_u32 s0, s6
	s_cselect_b64 s[0:1], -1, 0
	s_cmp_lg_u32 s93, 0
	s_cselect_b64 s[2:3], -1, 0
	s_and_b64 s[30:31], s[2:3], s[0:1]
	s_cmp_lt_i32 s6, 5
	s_cselect_b64 s[2:3], -1, 0
	s_or_b64 s[0:1], s[2:3], s[30:31]
	s_ashr_i32 s92, s33, 31
	s_add_u32 s10, s34, 1
	v_mov_b32_e32 v1, 0
	v_mov_b32_e32 v11, s33
	v_mad_u64_u32 v[19:20], s[8:9], s10, v11, v[0:1]
	s_addc_u32 s11, s35, 0
	s_mul_i32 s8, s10, s92
	s_mul_i32 s11, s11, s33
	v_lshlrev_b32_e32 v21, 5, v0
	s_add_i32 s8, s8, s11
	s_mov_b64 s[12:13], -1
	v_add_u32_e32 v20, s8, v20
	s_and_b64 vcc, exec, s[30:31]
	v_add_u32_e32 v22, v2, v21
	v_cmp_le_u32_e64 s[8:9], v2, v0
	v_lshl_add_u32 v1, v2, 5, v0
	s_cbranch_vccnz .LBB173_37
; %bb.8:
	v_mad_u64_u32 v[11:12], s[10:11], s34, v2, v[19:20]
	v_cndmask_b32_e64 v23, v1, v22, s[2:3]
	v_mad_u64_u32 v[12:13], s[10:11], s35, v2, v[12:13]
	s_and_saveexec_b64 s[2:3], s[8:9]
	s_xor_b64 s[2:3], exec, s[2:3]
	s_cbranch_execz .LBB173_20
; %bb.9:
	v_cmp_ne_u32_e32 vcc, v0, v2
	s_and_saveexec_b64 s[8:9], vcc
	s_xor_b64 s[8:9], exec, s[8:9]
	s_cbranch_execz .LBB173_13
; %bb.10:
	v_or_b32_e32 v11, v2, v0
	v_cmp_gt_u32_e32 vcc, 32, v11
	s_and_saveexec_b64 s[10:11], vcc
	s_cbranch_execz .LBB173_12
; %bb.11:
	v_mov_b32_e32 v11, 0
	v_lshlrev_b32_e32 v15, 4, v23
	v_mov_b32_e32 v12, v11
	v_mov_b32_e32 v13, v11
	;; [unrolled: 1-line block ×3, first 2 shown]
	ds_write_b128 v15, v[11:14]
.LBB173_12:
	s_or_b64 exec, exec, s[10:11]
                                        ; implicit-def: $vgpr23
                                        ; implicit-def: $vgpr11_vgpr12
.LBB173_13:
	s_andn2_saveexec_b64 s[8:9], s[8:9]
	s_cbranch_execz .LBB173_19
; %bb.14:
	v_lshlrev_b64 v[11:12], 4, v[11:12]
	v_mov_b32_e32 v13, s95
	v_add_co_u32_e32 v11, vcc, s94, v11
	v_addc_co_u32_e32 v12, vcc, v13, v12, vcc
	flat_load_dwordx4 v[11:14], v[11:12]
                                        ; implicit-def: $vgpr15_vgpr16
	s_waitcnt vmcnt(0) lgkmcnt(0)
	v_cmp_ngt_f64_e64 s[10:11], |v[11:12]|, |v[13:14]|
	s_and_saveexec_b64 s[12:13], s[10:11]
	s_xor_b64 s[10:11], exec, s[12:13]
	s_cbranch_execz .LBB173_16
; %bb.15:
	v_div_scale_f64 v[15:16], s[12:13], v[13:14], v[13:14], v[11:12]
	v_rcp_f64_e32 v[17:18], v[15:16]
	v_fma_f64 v[24:25], -v[15:16], v[17:18], 1.0
	v_fma_f64 v[17:18], v[17:18], v[24:25], v[17:18]
	v_div_scale_f64 v[24:25], vcc, v[11:12], v[13:14], v[11:12]
	v_fma_f64 v[26:27], -v[15:16], v[17:18], 1.0
	v_fma_f64 v[17:18], v[17:18], v[26:27], v[17:18]
	v_mul_f64 v[26:27], v[24:25], v[17:18]
	v_fma_f64 v[15:16], -v[15:16], v[26:27], v[24:25]
	v_div_fmas_f64 v[15:16], v[15:16], v[17:18], v[26:27]
	v_div_fixup_f64 v[15:16], v[15:16], v[13:14], v[11:12]
	v_fma_f64 v[11:12], v[11:12], v[15:16], v[13:14]
	v_div_scale_f64 v[13:14], s[12:13], v[11:12], v[11:12], 1.0
	v_div_scale_f64 v[26:27], vcc, 1.0, v[11:12], 1.0
	v_rcp_f64_e32 v[17:18], v[13:14]
	v_fma_f64 v[24:25], -v[13:14], v[17:18], 1.0
	v_fma_f64 v[17:18], v[17:18], v[24:25], v[17:18]
	v_fma_f64 v[24:25], -v[13:14], v[17:18], 1.0
	v_fma_f64 v[17:18], v[17:18], v[24:25], v[17:18]
	v_mul_f64 v[24:25], v[26:27], v[17:18]
	v_fma_f64 v[13:14], -v[13:14], v[24:25], v[26:27]
	v_div_fmas_f64 v[13:14], v[13:14], v[17:18], v[24:25]
	v_div_fixup_f64 v[17:18], v[13:14], v[11:12], 1.0
                                        ; implicit-def: $vgpr11_vgpr12
	v_mul_f64 v[15:16], v[15:16], v[17:18]
	v_xor_b32_e32 v18, 0x80000000, v18
.LBB173_16:
	s_andn2_saveexec_b64 s[10:11], s[10:11]
	s_cbranch_execz .LBB173_18
; %bb.17:
	v_div_scale_f64 v[15:16], s[12:13], v[11:12], v[11:12], v[13:14]
	v_rcp_f64_e32 v[17:18], v[15:16]
	v_fma_f64 v[24:25], -v[15:16], v[17:18], 1.0
	v_fma_f64 v[17:18], v[17:18], v[24:25], v[17:18]
	v_div_scale_f64 v[24:25], vcc, v[13:14], v[11:12], v[13:14]
	v_fma_f64 v[26:27], -v[15:16], v[17:18], 1.0
	v_fma_f64 v[17:18], v[17:18], v[26:27], v[17:18]
	v_mul_f64 v[26:27], v[24:25], v[17:18]
	v_fma_f64 v[15:16], -v[15:16], v[26:27], v[24:25]
	v_div_fmas_f64 v[15:16], v[15:16], v[17:18], v[26:27]
	v_div_fixup_f64 v[17:18], v[15:16], v[11:12], v[13:14]
	v_fma_f64 v[11:12], v[13:14], v[17:18], v[11:12]
	v_div_scale_f64 v[13:14], s[12:13], v[11:12], v[11:12], 1.0
	v_div_scale_f64 v[26:27], vcc, 1.0, v[11:12], 1.0
	v_rcp_f64_e32 v[15:16], v[13:14]
	v_fma_f64 v[24:25], -v[13:14], v[15:16], 1.0
	v_fma_f64 v[15:16], v[15:16], v[24:25], v[15:16]
	v_fma_f64 v[24:25], -v[13:14], v[15:16], 1.0
	v_fma_f64 v[15:16], v[15:16], v[24:25], v[15:16]
	v_mul_f64 v[24:25], v[26:27], v[15:16]
	v_fma_f64 v[13:14], -v[13:14], v[24:25], v[26:27]
	v_div_fmas_f64 v[13:14], v[13:14], v[15:16], v[24:25]
	v_div_fixup_f64 v[15:16], v[13:14], v[11:12], 1.0
	v_mul_f64 v[17:18], v[17:18], -v[15:16]
.LBB173_18:
	s_or_b64 exec, exec, s[10:11]
	v_lshlrev_b32_e32 v11, 4, v23
	ds_write_b128 v11, v[15:18]
.LBB173_19:
	s_or_b64 exec, exec, s[8:9]
                                        ; implicit-def: $vgpr11_vgpr12
                                        ; implicit-def: $vgpr23
.LBB173_20:
	s_andn2_saveexec_b64 s[2:3], s[2:3]
	s_cbranch_execz .LBB173_22
; %bb.21:
	v_lshlrev_b64 v[11:12], 4, v[11:12]
	v_mov_b32_e32 v13, s95
	v_add_co_u32_e32 v11, vcc, s94, v11
	v_addc_co_u32_e32 v12, vcc, v13, v12, vcc
	flat_load_dwordx4 v[11:14], v[11:12]
	v_lshlrev_b32_e32 v15, 4, v23
	s_waitcnt vmcnt(0) lgkmcnt(0)
	v_xor_b32_e32 v12, 0x80000000, v12
	v_xor_b32_e32 v14, 0x80000000, v14
	ds_write_b128 v15, v[11:14]
.LBB173_22:
	s_or_b64 exec, exec, s[2:3]
	v_add_u32_e32 v13, 16, v2
	v_mad_u64_u32 v[11:12], s[2:3], s34, v13, v[19:20]
	v_cmp_le_u32_e32 vcc, v13, v0
	v_mad_u64_u32 v[14:15], s[2:3], s35, v13, v[12:13]
	v_add_u32_e32 v12, v13, v21
	v_lshl_add_u32 v15, v13, 5, v0
	v_cndmask_b32_e64 v23, v15, v12, s[0:1]
	v_mov_b32_e32 v12, v14
	s_and_saveexec_b64 s[2:3], vcc
	s_xor_b64 s[2:3], exec, s[2:3]
	s_cbranch_execz .LBB173_34
; %bb.23:
	v_cmp_ne_u32_e32 vcc, v0, v13
	s_and_saveexec_b64 s[8:9], vcc
	s_xor_b64 s[8:9], exec, s[8:9]
	s_cbranch_execz .LBB173_27
; %bb.24:
	v_or_b32_e32 v11, v13, v0
	v_cmp_gt_u32_e32 vcc, 32, v11
	s_and_saveexec_b64 s[10:11], vcc
	s_cbranch_execz .LBB173_26
; %bb.25:
	v_mov_b32_e32 v11, 0
	v_lshlrev_b32_e32 v15, 4, v23
	v_mov_b32_e32 v12, v11
	v_mov_b32_e32 v13, v11
	;; [unrolled: 1-line block ×3, first 2 shown]
	ds_write_b128 v15, v[11:14]
.LBB173_26:
	s_or_b64 exec, exec, s[10:11]
                                        ; implicit-def: $vgpr23
                                        ; implicit-def: $vgpr11_vgpr12
.LBB173_27:
	s_andn2_saveexec_b64 s[8:9], s[8:9]
	s_cbranch_execz .LBB173_33
; %bb.28:
	v_lshlrev_b64 v[11:12], 4, v[11:12]
	v_mov_b32_e32 v13, s95
	v_add_co_u32_e32 v11, vcc, s94, v11
	v_addc_co_u32_e32 v12, vcc, v13, v12, vcc
	flat_load_dwordx4 v[11:14], v[11:12]
                                        ; implicit-def: $vgpr15_vgpr16
	s_waitcnt vmcnt(0) lgkmcnt(0)
	v_cmp_ngt_f64_e64 s[10:11], |v[11:12]|, |v[13:14]|
	s_and_saveexec_b64 s[12:13], s[10:11]
	s_xor_b64 s[10:11], exec, s[12:13]
	s_cbranch_execz .LBB173_30
; %bb.29:
	v_div_scale_f64 v[15:16], s[12:13], v[13:14], v[13:14], v[11:12]
	v_rcp_f64_e32 v[17:18], v[15:16]
	v_fma_f64 v[24:25], -v[15:16], v[17:18], 1.0
	v_fma_f64 v[17:18], v[17:18], v[24:25], v[17:18]
	v_div_scale_f64 v[24:25], vcc, v[11:12], v[13:14], v[11:12]
	v_fma_f64 v[26:27], -v[15:16], v[17:18], 1.0
	v_fma_f64 v[17:18], v[17:18], v[26:27], v[17:18]
	v_mul_f64 v[26:27], v[24:25], v[17:18]
	v_fma_f64 v[15:16], -v[15:16], v[26:27], v[24:25]
	v_div_fmas_f64 v[15:16], v[15:16], v[17:18], v[26:27]
	v_div_fixup_f64 v[15:16], v[15:16], v[13:14], v[11:12]
	v_fma_f64 v[11:12], v[11:12], v[15:16], v[13:14]
	v_div_scale_f64 v[13:14], s[12:13], v[11:12], v[11:12], 1.0
	v_div_scale_f64 v[26:27], vcc, 1.0, v[11:12], 1.0
	v_rcp_f64_e32 v[17:18], v[13:14]
	v_fma_f64 v[24:25], -v[13:14], v[17:18], 1.0
	v_fma_f64 v[17:18], v[17:18], v[24:25], v[17:18]
	v_fma_f64 v[24:25], -v[13:14], v[17:18], 1.0
	v_fma_f64 v[17:18], v[17:18], v[24:25], v[17:18]
	v_mul_f64 v[24:25], v[26:27], v[17:18]
	v_fma_f64 v[13:14], -v[13:14], v[24:25], v[26:27]
	v_div_fmas_f64 v[13:14], v[13:14], v[17:18], v[24:25]
	v_div_fixup_f64 v[17:18], v[13:14], v[11:12], 1.0
                                        ; implicit-def: $vgpr11_vgpr12
	v_mul_f64 v[15:16], v[15:16], v[17:18]
	v_xor_b32_e32 v18, 0x80000000, v18
.LBB173_30:
	s_andn2_saveexec_b64 s[10:11], s[10:11]
	s_cbranch_execz .LBB173_32
; %bb.31:
	v_div_scale_f64 v[15:16], s[12:13], v[11:12], v[11:12], v[13:14]
	v_rcp_f64_e32 v[17:18], v[15:16]
	v_fma_f64 v[24:25], -v[15:16], v[17:18], 1.0
	v_fma_f64 v[17:18], v[17:18], v[24:25], v[17:18]
	v_div_scale_f64 v[24:25], vcc, v[13:14], v[11:12], v[13:14]
	v_fma_f64 v[26:27], -v[15:16], v[17:18], 1.0
	v_fma_f64 v[17:18], v[17:18], v[26:27], v[17:18]
	v_mul_f64 v[26:27], v[24:25], v[17:18]
	v_fma_f64 v[15:16], -v[15:16], v[26:27], v[24:25]
	v_div_fmas_f64 v[15:16], v[15:16], v[17:18], v[26:27]
	v_div_fixup_f64 v[17:18], v[15:16], v[11:12], v[13:14]
	v_fma_f64 v[11:12], v[13:14], v[17:18], v[11:12]
	v_div_scale_f64 v[13:14], s[12:13], v[11:12], v[11:12], 1.0
	v_div_scale_f64 v[26:27], vcc, 1.0, v[11:12], 1.0
	v_rcp_f64_e32 v[15:16], v[13:14]
	v_fma_f64 v[24:25], -v[13:14], v[15:16], 1.0
	v_fma_f64 v[15:16], v[15:16], v[24:25], v[15:16]
	v_fma_f64 v[24:25], -v[13:14], v[15:16], 1.0
	v_fma_f64 v[15:16], v[15:16], v[24:25], v[15:16]
	v_mul_f64 v[24:25], v[26:27], v[15:16]
	v_fma_f64 v[13:14], -v[13:14], v[24:25], v[26:27]
	v_div_fmas_f64 v[13:14], v[13:14], v[15:16], v[24:25]
	v_div_fixup_f64 v[15:16], v[13:14], v[11:12], 1.0
	v_mul_f64 v[17:18], v[17:18], -v[15:16]
.LBB173_32:
	s_or_b64 exec, exec, s[10:11]
	v_lshlrev_b32_e32 v11, 4, v23
	ds_write_b128 v11, v[15:18]
.LBB173_33:
	s_or_b64 exec, exec, s[8:9]
                                        ; implicit-def: $vgpr11_vgpr12
                                        ; implicit-def: $vgpr23
.LBB173_34:
	s_andn2_saveexec_b64 s[2:3], s[2:3]
	s_cbranch_execz .LBB173_36
; %bb.35:
	v_lshlrev_b64 v[11:12], 4, v[11:12]
	v_mov_b32_e32 v13, s95
	v_add_co_u32_e32 v11, vcc, s94, v11
	v_addc_co_u32_e32 v12, vcc, v13, v12, vcc
	flat_load_dwordx4 v[11:14], v[11:12]
	v_lshlrev_b32_e32 v15, 4, v23
	s_waitcnt vmcnt(0) lgkmcnt(0)
	v_xor_b32_e32 v12, 0x80000000, v12
	v_xor_b32_e32 v14, 0x80000000, v14
	ds_write_b128 v15, v[11:14]
.LBB173_36:
	s_or_b64 exec, exec, s[2:3]
	s_mov_b64 s[12:13], 0
.LBB173_37:
	s_xor_b64 s[10:11], s[0:1], -1
	s_and_b64 vcc, exec, s[12:13]
	s_cbranch_vccz .LBB173_67
; %bb.38:
	v_mad_u64_u32 v[11:12], s[2:3], s34, v2, v[19:20]
	v_cmp_le_u32_e32 vcc, v2, v0
	v_cmp_gt_i32_e64 s[2:3], s93, v0
	v_mad_u64_u32 v[12:13], s[8:9], s35, v2, v[12:13]
	v_max_i32_e32 v13, v2, v0
	v_cmp_le_i32_e64 s[8:9], s93, v13
	s_or_b64 s[8:9], s[8:9], vcc
	s_and_saveexec_b64 s[12:13], s[8:9]
	s_xor_b64 s[8:9], exec, s[12:13]
	s_cbranch_execz .LBB173_50
; %bb.39:
	v_cmp_ne_u32_e32 vcc, v0, v2
	s_xor_b64 s[12:13], s[2:3], -1
	s_or_b64 s[12:13], s[12:13], vcc
	s_and_saveexec_b64 s[14:15], s[12:13]
	s_xor_b64 s[12:13], exec, s[14:15]
	s_cbranch_execz .LBB173_43
; %bb.40:
	v_or_b32_e32 v11, v2, v0
	v_cmp_gt_u32_e32 vcc, 32, v11
	s_and_saveexec_b64 s[14:15], vcc
	s_cbranch_execz .LBB173_42
; %bb.41:
	v_mov_b32_e32 v11, 0
	v_lshlrev_b32_e32 v15, 4, v22
	v_mov_b32_e32 v12, v11
	v_mov_b32_e32 v13, v11
	;; [unrolled: 1-line block ×3, first 2 shown]
	ds_write_b128 v15, v[11:14]
.LBB173_42:
	s_or_b64 exec, exec, s[14:15]
                                        ; implicit-def: $vgpr22
                                        ; implicit-def: $vgpr11_vgpr12
.LBB173_43:
	s_andn2_saveexec_b64 s[12:13], s[12:13]
	s_cbranch_execz .LBB173_49
; %bb.44:
	v_lshlrev_b64 v[11:12], 4, v[11:12]
	v_mov_b32_e32 v13, s95
	v_add_co_u32_e32 v11, vcc, s94, v11
	v_addc_co_u32_e32 v12, vcc, v13, v12, vcc
	flat_load_dwordx4 v[11:14], v[11:12]
                                        ; implicit-def: $vgpr15_vgpr16
	s_waitcnt vmcnt(0) lgkmcnt(0)
	v_cmp_ngt_f64_e64 s[14:15], |v[11:12]|, |v[13:14]|
	s_and_saveexec_b64 s[16:17], s[14:15]
	s_xor_b64 s[14:15], exec, s[16:17]
	s_cbranch_execz .LBB173_46
; %bb.45:
	v_div_scale_f64 v[15:16], s[16:17], v[13:14], v[13:14], v[11:12]
	v_rcp_f64_e32 v[17:18], v[15:16]
	v_fma_f64 v[23:24], -v[15:16], v[17:18], 1.0
	v_fma_f64 v[17:18], v[17:18], v[23:24], v[17:18]
	v_div_scale_f64 v[23:24], vcc, v[11:12], v[13:14], v[11:12]
	v_fma_f64 v[25:26], -v[15:16], v[17:18], 1.0
	v_fma_f64 v[17:18], v[17:18], v[25:26], v[17:18]
	v_mul_f64 v[25:26], v[23:24], v[17:18]
	v_fma_f64 v[15:16], -v[15:16], v[25:26], v[23:24]
	v_div_fmas_f64 v[15:16], v[15:16], v[17:18], v[25:26]
	v_div_fixup_f64 v[15:16], v[15:16], v[13:14], v[11:12]
	v_fma_f64 v[11:12], v[11:12], v[15:16], v[13:14]
	v_div_scale_f64 v[13:14], s[16:17], v[11:12], v[11:12], 1.0
	v_div_scale_f64 v[25:26], vcc, 1.0, v[11:12], 1.0
	v_rcp_f64_e32 v[17:18], v[13:14]
	v_fma_f64 v[23:24], -v[13:14], v[17:18], 1.0
	v_fma_f64 v[17:18], v[17:18], v[23:24], v[17:18]
	v_fma_f64 v[23:24], -v[13:14], v[17:18], 1.0
	v_fma_f64 v[17:18], v[17:18], v[23:24], v[17:18]
	v_mul_f64 v[23:24], v[25:26], v[17:18]
	v_fma_f64 v[13:14], -v[13:14], v[23:24], v[25:26]
	v_div_fmas_f64 v[13:14], v[13:14], v[17:18], v[23:24]
	v_div_fixup_f64 v[17:18], v[13:14], v[11:12], 1.0
                                        ; implicit-def: $vgpr11_vgpr12
	v_mul_f64 v[15:16], v[15:16], v[17:18]
	v_xor_b32_e32 v18, 0x80000000, v18
.LBB173_46:
	s_andn2_saveexec_b64 s[14:15], s[14:15]
	s_cbranch_execz .LBB173_48
; %bb.47:
	v_div_scale_f64 v[15:16], s[16:17], v[11:12], v[11:12], v[13:14]
	v_rcp_f64_e32 v[17:18], v[15:16]
	v_fma_f64 v[23:24], -v[15:16], v[17:18], 1.0
	v_fma_f64 v[17:18], v[17:18], v[23:24], v[17:18]
	v_div_scale_f64 v[23:24], vcc, v[13:14], v[11:12], v[13:14]
	v_fma_f64 v[25:26], -v[15:16], v[17:18], 1.0
	v_fma_f64 v[17:18], v[17:18], v[25:26], v[17:18]
	v_mul_f64 v[25:26], v[23:24], v[17:18]
	v_fma_f64 v[15:16], -v[15:16], v[25:26], v[23:24]
	v_div_fmas_f64 v[15:16], v[15:16], v[17:18], v[25:26]
	v_div_fixup_f64 v[17:18], v[15:16], v[11:12], v[13:14]
	v_fma_f64 v[11:12], v[13:14], v[17:18], v[11:12]
	v_div_scale_f64 v[13:14], s[16:17], v[11:12], v[11:12], 1.0
	v_div_scale_f64 v[25:26], vcc, 1.0, v[11:12], 1.0
	v_rcp_f64_e32 v[15:16], v[13:14]
	v_fma_f64 v[23:24], -v[13:14], v[15:16], 1.0
	v_fma_f64 v[15:16], v[15:16], v[23:24], v[15:16]
	v_fma_f64 v[23:24], -v[13:14], v[15:16], 1.0
	v_fma_f64 v[15:16], v[15:16], v[23:24], v[15:16]
	v_mul_f64 v[23:24], v[25:26], v[15:16]
	v_fma_f64 v[13:14], -v[13:14], v[23:24], v[25:26]
	v_div_fmas_f64 v[13:14], v[13:14], v[15:16], v[23:24]
	v_div_fixup_f64 v[15:16], v[13:14], v[11:12], 1.0
	v_mul_f64 v[17:18], v[17:18], -v[15:16]
.LBB173_48:
	s_or_b64 exec, exec, s[14:15]
	v_lshlrev_b32_e32 v11, 4, v22
	ds_write_b128 v11, v[15:18]
.LBB173_49:
	s_or_b64 exec, exec, s[12:13]
                                        ; implicit-def: $vgpr11_vgpr12
                                        ; implicit-def: $vgpr22
.LBB173_50:
	s_andn2_saveexec_b64 s[8:9], s[8:9]
	s_cbranch_execz .LBB173_52
; %bb.51:
	v_lshlrev_b64 v[11:12], 4, v[11:12]
	v_mov_b32_e32 v13, s95
	v_add_co_u32_e32 v11, vcc, s94, v11
	v_addc_co_u32_e32 v12, vcc, v13, v12, vcc
	flat_load_dwordx4 v[11:14], v[11:12]
	v_lshlrev_b32_e32 v15, 4, v22
	s_waitcnt vmcnt(0) lgkmcnt(0)
	v_xor_b32_e32 v12, 0x80000000, v12
	v_xor_b32_e32 v14, 0x80000000, v14
	ds_write_b128 v15, v[11:14]
.LBB173_52:
	s_or_b64 exec, exec, s[8:9]
	v_add_u32_e32 v13, 16, v2
	v_mad_u64_u32 v[11:12], s[8:9], s34, v13, v[19:20]
	v_add_u32_e32 v16, v13, v21
	v_cmp_gt_u32_e32 vcc, v13, v0
	v_mad_u64_u32 v[14:15], s[8:9], s35, v13, v[12:13]
	v_lshl_add_u32 v12, v13, 5, v0
	v_cndmask_b32_e64 v19, v12, v16, s[0:1]
	v_cmp_gt_i32_e64 s[0:1], s93, v13
	s_and_b64 s[0:1], vcc, s[0:1]
	s_and_b64 s[0:1], s[2:3], s[0:1]
	v_mov_b32_e32 v12, v14
	s_xor_b64 s[0:1], s[0:1], -1
	s_and_saveexec_b64 s[8:9], s[0:1]
	s_xor_b64 s[0:1], exec, s[8:9]
	s_cbranch_execz .LBB173_64
; %bb.53:
	v_cmp_ne_u32_e32 vcc, v0, v13
	s_xor_b64 s[2:3], s[2:3], -1
	s_or_b64 s[2:3], s[2:3], vcc
	s_and_saveexec_b64 s[8:9], s[2:3]
	s_xor_b64 s[2:3], exec, s[8:9]
	s_cbranch_execz .LBB173_57
; %bb.54:
	v_or_b32_e32 v11, v13, v0
	v_cmp_gt_u32_e32 vcc, 32, v11
	s_and_saveexec_b64 s[8:9], vcc
	s_cbranch_execz .LBB173_56
; %bb.55:
	v_mov_b32_e32 v11, 0
	v_lshlrev_b32_e32 v15, 4, v19
	v_mov_b32_e32 v12, v11
	v_mov_b32_e32 v13, v11
	v_mov_b32_e32 v14, v11
	ds_write_b128 v15, v[11:14]
.LBB173_56:
	s_or_b64 exec, exec, s[8:9]
                                        ; implicit-def: $vgpr19
                                        ; implicit-def: $vgpr11_vgpr12
.LBB173_57:
	s_andn2_saveexec_b64 s[2:3], s[2:3]
	s_cbranch_execz .LBB173_63
; %bb.58:
	v_lshlrev_b64 v[11:12], 4, v[11:12]
	v_mov_b32_e32 v13, s95
	v_add_co_u32_e32 v11, vcc, s94, v11
	v_addc_co_u32_e32 v12, vcc, v13, v12, vcc
	flat_load_dwordx4 v[11:14], v[11:12]
                                        ; implicit-def: $vgpr15_vgpr16
	s_waitcnt vmcnt(0) lgkmcnt(0)
	v_cmp_ngt_f64_e64 s[8:9], |v[11:12]|, |v[13:14]|
	s_and_saveexec_b64 s[12:13], s[8:9]
	s_xor_b64 s[8:9], exec, s[12:13]
	s_cbranch_execz .LBB173_60
; %bb.59:
	v_div_scale_f64 v[15:16], s[12:13], v[13:14], v[13:14], v[11:12]
	v_rcp_f64_e32 v[17:18], v[15:16]
	v_fma_f64 v[20:21], -v[15:16], v[17:18], 1.0
	v_fma_f64 v[17:18], v[17:18], v[20:21], v[17:18]
	v_div_scale_f64 v[20:21], vcc, v[11:12], v[13:14], v[11:12]
	v_fma_f64 v[22:23], -v[15:16], v[17:18], 1.0
	v_fma_f64 v[17:18], v[17:18], v[22:23], v[17:18]
	v_mul_f64 v[22:23], v[20:21], v[17:18]
	v_fma_f64 v[15:16], -v[15:16], v[22:23], v[20:21]
	v_div_fmas_f64 v[15:16], v[15:16], v[17:18], v[22:23]
	v_div_fixup_f64 v[15:16], v[15:16], v[13:14], v[11:12]
	v_fma_f64 v[11:12], v[11:12], v[15:16], v[13:14]
	v_div_scale_f64 v[13:14], s[12:13], v[11:12], v[11:12], 1.0
	v_div_scale_f64 v[22:23], vcc, 1.0, v[11:12], 1.0
	v_rcp_f64_e32 v[17:18], v[13:14]
	v_fma_f64 v[20:21], -v[13:14], v[17:18], 1.0
	v_fma_f64 v[17:18], v[17:18], v[20:21], v[17:18]
	v_fma_f64 v[20:21], -v[13:14], v[17:18], 1.0
	v_fma_f64 v[17:18], v[17:18], v[20:21], v[17:18]
	v_mul_f64 v[20:21], v[22:23], v[17:18]
	v_fma_f64 v[13:14], -v[13:14], v[20:21], v[22:23]
	v_div_fmas_f64 v[13:14], v[13:14], v[17:18], v[20:21]
	v_div_fixup_f64 v[17:18], v[13:14], v[11:12], 1.0
                                        ; implicit-def: $vgpr11_vgpr12
	v_mul_f64 v[15:16], v[15:16], v[17:18]
	v_xor_b32_e32 v18, 0x80000000, v18
.LBB173_60:
	s_andn2_saveexec_b64 s[8:9], s[8:9]
	s_cbranch_execz .LBB173_62
; %bb.61:
	v_div_scale_f64 v[15:16], s[12:13], v[11:12], v[11:12], v[13:14]
	v_rcp_f64_e32 v[17:18], v[15:16]
	v_fma_f64 v[20:21], -v[15:16], v[17:18], 1.0
	v_fma_f64 v[17:18], v[17:18], v[20:21], v[17:18]
	v_div_scale_f64 v[20:21], vcc, v[13:14], v[11:12], v[13:14]
	v_fma_f64 v[22:23], -v[15:16], v[17:18], 1.0
	v_fma_f64 v[17:18], v[17:18], v[22:23], v[17:18]
	v_mul_f64 v[22:23], v[20:21], v[17:18]
	v_fma_f64 v[15:16], -v[15:16], v[22:23], v[20:21]
	v_div_fmas_f64 v[15:16], v[15:16], v[17:18], v[22:23]
	v_div_fixup_f64 v[17:18], v[15:16], v[11:12], v[13:14]
	v_fma_f64 v[11:12], v[13:14], v[17:18], v[11:12]
	v_div_scale_f64 v[13:14], s[12:13], v[11:12], v[11:12], 1.0
	v_div_scale_f64 v[22:23], vcc, 1.0, v[11:12], 1.0
	v_rcp_f64_e32 v[15:16], v[13:14]
	v_fma_f64 v[20:21], -v[13:14], v[15:16], 1.0
	v_fma_f64 v[15:16], v[15:16], v[20:21], v[15:16]
	v_fma_f64 v[20:21], -v[13:14], v[15:16], 1.0
	v_fma_f64 v[15:16], v[15:16], v[20:21], v[15:16]
	v_mul_f64 v[20:21], v[22:23], v[15:16]
	v_fma_f64 v[13:14], -v[13:14], v[20:21], v[22:23]
	v_div_fmas_f64 v[13:14], v[13:14], v[15:16], v[20:21]
	v_div_fixup_f64 v[15:16], v[13:14], v[11:12], 1.0
	v_mul_f64 v[17:18], v[17:18], -v[15:16]
.LBB173_62:
	s_or_b64 exec, exec, s[8:9]
	v_lshlrev_b32_e32 v11, 4, v19
	ds_write_b128 v11, v[15:18]
.LBB173_63:
	s_or_b64 exec, exec, s[2:3]
                                        ; implicit-def: $vgpr11_vgpr12
                                        ; implicit-def: $vgpr19
.LBB173_64:
	s_andn2_saveexec_b64 s[0:1], s[0:1]
	s_cbranch_execz .LBB173_66
; %bb.65:
	v_lshlrev_b64 v[11:12], 4, v[11:12]
	v_mov_b32_e32 v13, s95
	v_add_co_u32_e32 v11, vcc, s94, v11
	v_addc_co_u32_e32 v12, vcc, v13, v12, vcc
	flat_load_dwordx4 v[11:14], v[11:12]
	v_lshlrev_b32_e32 v15, 4, v19
	s_waitcnt vmcnt(0) lgkmcnt(0)
	v_xor_b32_e32 v12, 0x80000000, v12
	v_xor_b32_e32 v14, 0x80000000, v14
	ds_write_b128 v15, v[11:14]
.LBB173_66:
	s_or_b64 exec, exec, s[0:1]
.LBB173_67:
	v_cndmask_b32_e64 v11, 0, 1, s[10:11]
	v_cmp_ne_u32_e64 s[0:1], 1, v11
	s_andn2_b64 vcc, exec, s[10:11]
	s_waitcnt vmcnt(0) lgkmcnt(0)
	s_barrier
	s_cbranch_vccnz .LBB173_491
; %bb.68:
	v_or_b32_e32 v11, v0, v2
	v_cmp_eq_u32_e32 vcc, 0, v11
	s_and_saveexec_b64 s[2:3], vcc
	s_cbranch_execz .LBB173_70
; %bb.69:
	v_mov_b32_e32 v25, 0
	ds_read_b128 v[11:14], v25 offset:16368
	ds_read_b128 v[15:18], v25 offset:15840
	;; [unrolled: 1-line block ×3, first 2 shown]
	s_waitcnt lgkmcnt(1)
	v_mul_f64 v[23:24], v[11:12], v[17:18]
	v_mul_f64 v[17:18], v[13:14], v[17:18]
	v_fma_f64 v[13:14], v[13:14], v[15:16], v[23:24]
	v_fma_f64 v[11:12], v[11:12], v[15:16], -v[17:18]
	s_waitcnt lgkmcnt(0)
	v_mul_f64 v[15:16], v[13:14], v[21:22]
	v_mul_f64 v[17:18], v[11:12], v[21:22]
	v_fma_f64 v[11:12], v[19:20], v[11:12], -v[15:16]
	v_fma_f64 v[13:14], v[19:20], v[13:14], v[17:18]
	ds_write_b128 v25, v[11:14] offset:16352
	ds_write_b128 v25, v[11:14] offset:15856
.LBB173_70:
	s_or_b64 exec, exec, s[2:3]
	v_lshlrev_b32_e32 v11, 5, v2
	v_add_u32_e32 v18, v11, v0
	v_add_u16_e32 v11, v11, v0
	v_lshrrev_b16_e32 v17, 1, v11
	v_mov_b32_e32 v11, 0
	v_mov_b32_e32 v13, 0
	v_and_b32_e32 v15, 1, v0
	v_sub_u32_e32 v16, 1, v17
	v_cmp_lt_u32_e64 s[8:9], 3, v18
	v_mov_b32_e32 v12, 0
	v_mov_b32_e32 v14, 0
	v_cmp_gt_u32_e64 s[2:3], 4, v18
	s_waitcnt lgkmcnt(0)
	s_barrier
	buffer_wbinvl1_vol
	s_and_saveexec_b64 s[12:13], s[2:3]
	s_cbranch_execz .LBB173_74
; %bb.71:
	v_lshlrev_b32_e32 v19, 4, v15
	v_lshlrev_b32_e32 v11, 9, v16
	ds_read_b128 v[11:14], v11 offset:15840
	ds_read_b128 v[19:22], v19 offset:15808
	v_cmp_gt_u32_e64 s[10:11], 2, v18
	s_waitcnt lgkmcnt(0)
	v_mul_f64 v[23:24], v[13:14], v[21:22]
	v_mul_f64 v[21:22], v[11:12], v[21:22]
	v_fma_f64 v[11:12], v[11:12], v[19:20], -v[23:24]
	v_fma_f64 v[13:14], v[13:14], v[19:20], v[21:22]
	v_add_f64 v[11:12], v[11:12], 0
	v_add_f64 v[13:14], v[13:14], 0
	s_and_saveexec_b64 s[14:15], s[10:11]
	s_cbranch_execz .LBB173_73
; %bb.72:
	v_lshlrev_b32_e32 v23, 4, v0
	v_mov_b32_e32 v19, 0
	ds_read_b128 v[19:22], v19 offset:16368
	ds_read_b128 v[23:26], v23 offset:16320
	s_waitcnt lgkmcnt(0)
	v_mul_f64 v[27:28], v[21:22], v[25:26]
	v_mul_f64 v[25:26], v[19:20], v[25:26]
	v_fma_f64 v[19:20], v[19:20], v[23:24], -v[27:28]
	v_fma_f64 v[21:22], v[21:22], v[23:24], v[25:26]
	v_add_f64 v[11:12], v[11:12], v[19:20]
	v_add_f64 v[13:14], v[13:14], v[21:22]
.LBB173_73:
	s_or_b64 exec, exec, s[14:15]
.LBB173_74:
	s_or_b64 exec, exec, s[12:13]
	v_mov_b32_e32 v19, 0x4000
	v_cmp_ne_u32_e64 s[10:11], 0, v15
	s_xor_b64 s[12:13], s[8:9], -1
	v_lshl_add_u32 v17, v17, 4, v19
	s_and_b64 s[40:41], s[10:11], s[12:13]
	s_and_saveexec_b64 s[8:9], s[40:41]
	s_cbranch_execz .LBB173_76
; %bb.75:
	v_mov_b32_e32 v19, 0
	ds_read_b128 v[19:22], v19 offset:15312
	s_waitcnt lgkmcnt(0)
	v_mul_f64 v[23:24], v[13:14], v[21:22]
	v_mul_f64 v[21:22], v[11:12], v[21:22]
	v_fma_f64 v[11:12], v[11:12], v[19:20], -v[23:24]
	v_fma_f64 v[13:14], v[13:14], v[19:20], v[21:22]
	v_xor_b32_e32 v20, 0x80000000, v12
	v_xor_b32_e32 v22, 0x80000000, v14
	v_mov_b32_e32 v19, v11
	v_mov_b32_e32 v21, v13
	ds_write_b128 v17, v[19:22]
.LBB173_76:
	s_or_b64 exec, exec, s[8:9]
	v_cmp_eq_u32_e64 s[8:9], 0, v15
	s_and_b64 s[38:39], s[8:9], s[12:13]
	s_waitcnt lgkmcnt(0)
	s_barrier
	s_and_saveexec_b64 s[8:9], s[38:39]
	s_cbranch_execz .LBB173_78
; %bb.77:
	v_mov_b32_e32 v23, 0
	ds_read_b128 v[19:22], v17
	ds_read_b128 v[23:26], v23 offset:15296
	s_waitcnt lgkmcnt(0)
	v_mul_f64 v[27:28], v[21:22], v[25:26]
	v_mul_f64 v[25:26], v[19:20], v[25:26]
	v_fma_f64 v[19:20], v[19:20], v[23:24], -v[27:28]
	v_fma_f64 v[21:22], v[21:22], v[23:24], v[25:26]
	v_add_f64 v[11:12], v[11:12], -v[19:20]
	v_add_f64 v[13:14], v[13:14], -v[21:22]
.LBB173_78:
	s_or_b64 exec, exec, s[8:9]
	s_barrier
	s_and_saveexec_b64 s[8:9], s[38:39]
	s_cbranch_execz .LBB173_80
; %bb.79:
	v_mov_b32_e32 v19, 0
	ds_read_b128 v[19:22], v19 offset:14784
	s_waitcnt lgkmcnt(0)
	v_mul_f64 v[23:24], v[13:14], v[21:22]
	v_mul_f64 v[21:22], v[11:12], v[21:22]
	v_fma_f64 v[11:12], v[11:12], v[19:20], -v[23:24]
	v_fma_f64 v[13:14], v[13:14], v[19:20], v[21:22]
	v_xor_b32_e32 v20, 0x80000000, v12
	v_xor_b32_e32 v22, 0x80000000, v14
	v_mov_b32_e32 v19, v11
	v_mov_b32_e32 v21, v13
	ds_write_b128 v17, v[19:22]
.LBB173_80:
	s_or_b64 exec, exec, s[8:9]
	s_waitcnt lgkmcnt(0)
	s_barrier
	s_barrier
	s_and_saveexec_b64 s[8:9], s[2:3]
; %bb.81:
	v_lshlrev_b32_e32 v19, 4, v15
	v_lshl_or_b32 v19, v16, 9, v19
	ds_write_b128 v19, v[11:14] offset:15808
; %bb.82:
	s_or_b64 exec, exec, s[8:9]
	v_cmp_eq_u32_e64 s[10:11], 0, v2
	v_cmp_gt_u32_e64 s[8:9], 2, v0
	s_and_b64 s[42:43], s[10:11], s[8:9]
	s_waitcnt lgkmcnt(0)
	s_barrier
	s_barrier
	s_and_saveexec_b64 s[8:9], s[42:43]
	s_cbranch_execz .LBB173_84
; %bb.83:
	v_lshlrev_b32_e32 v19, 9, v0
	ds_read_b128 v[11:14], v19 offset:15808
	s_movk_i32 s12, 0xfe10
	v_mad_i32_i24 v20, v0, s12, v19
	s_waitcnt lgkmcnt(0)
	ds_write_b128 v20, v[11:14] offset:14816
	ds_read_b128 v[11:14], v19 offset:15824
	s_waitcnt lgkmcnt(0)
	ds_write_b128 v20, v[11:14] offset:15328
.LBB173_84:
	s_or_b64 exec, exec, s[8:9]
	s_waitcnt lgkmcnt(0)
	s_barrier
	s_and_saveexec_b64 s[8:9], vcc
	s_cbranch_execz .LBB173_86
; %bb.85:
	v_mov_b32_e32 v29, 0
	ds_read_b128 v[11:14], v29 offset:15312
	ds_read_b128 v[19:22], v29 offset:14784
	ds_read_b128 v[23:26], v29 offset:15296
	s_waitcnt lgkmcnt(1)
	v_mul_f64 v[27:28], v[11:12], v[21:22]
	v_mul_f64 v[21:22], v[13:14], v[21:22]
	v_fma_f64 v[13:14], v[13:14], v[19:20], v[27:28]
	v_fma_f64 v[11:12], v[11:12], v[19:20], -v[21:22]
	s_waitcnt lgkmcnt(0)
	v_mul_f64 v[19:20], v[13:14], v[25:26]
	v_mul_f64 v[21:22], v[11:12], v[25:26]
	v_fma_f64 v[11:12], v[23:24], v[11:12], -v[19:20]
	v_fma_f64 v[13:14], v[23:24], v[13:14], v[21:22]
	ds_write_b128 v29, v[11:14] offset:15296
	ds_write_b128 v29, v[11:14] offset:14800
.LBB173_86:
	s_or_b64 exec, exec, s[8:9]
	v_lshrrev_b32_e32 v21, 2, v18
	v_mov_b32_e32 v13, 0
	v_mov_b32_e32 v11, 0
	v_and_b32_e32 v19, 3, v0
	v_sub_u32_e32 v20, 3, v21
	v_cmp_lt_u32_e64 s[8:9], 15, v18
	v_mov_b32_e32 v14, 0
	v_mov_b32_e32 v12, 0
	v_cmp_gt_u32_e64 s[16:17], 16, v18
	s_waitcnt lgkmcnt(0)
	s_barrier
	buffer_wbinvl1_vol
	s_and_saveexec_b64 s[14:15], s[16:17]
	s_cbranch_execz .LBB173_92
; %bb.87:
	v_lshlrev_b32_e32 v23, 9, v20
	v_lshlrev_b32_e32 v22, 4, v19
	ds_read_b128 v[11:14], v23 offset:14784
	ds_read_b128 v[24:27], v22 offset:14720
	v_cmp_gt_u32_e64 s[12:13], 12, v18
	s_waitcnt lgkmcnt(0)
	v_mul_f64 v[28:29], v[13:14], v[26:27]
	v_mul_f64 v[26:27], v[11:12], v[26:27]
	v_fma_f64 v[11:12], v[11:12], v[24:25], -v[28:29]
	v_fma_f64 v[13:14], v[13:14], v[24:25], v[26:27]
	v_add_f64 v[11:12], v[11:12], 0
	v_add_f64 v[13:14], v[13:14], 0
	s_and_saveexec_b64 s[18:19], s[12:13]
	s_cbranch_execnz .LBB173_551
; %bb.88:
	s_or_b64 exec, exec, s[18:19]
	v_cmp_gt_u32_e64 s[12:13], 8, v18
	s_and_saveexec_b64 s[18:19], s[12:13]
	s_cbranch_execnz .LBB173_552
.LBB173_89:
	s_or_b64 exec, exec, s[18:19]
	v_cmp_gt_u32_e64 s[12:13], 4, v18
	s_and_saveexec_b64 s[18:19], s[12:13]
	s_cbranch_execz .LBB173_91
.LBB173_90:
	v_lshlrev_b32_e32 v26, 4, v0
	v_mov_b32_e32 v22, 0
	ds_read_b128 v[22:25], v22 offset:16368
	ds_read_b128 v[26:29], v26 offset:16256
	s_waitcnt lgkmcnt(0)
	v_mul_f64 v[30:31], v[24:25], v[28:29]
	v_mul_f64 v[28:29], v[22:23], v[28:29]
	v_fma_f64 v[22:23], v[22:23], v[26:27], -v[30:31]
	v_fma_f64 v[24:25], v[24:25], v[26:27], v[28:29]
	v_add_f64 v[11:12], v[11:12], v[22:23]
	v_add_f64 v[13:14], v[13:14], v[24:25]
.LBB173_91:
	s_or_b64 exec, exec, s[18:19]
.LBB173_92:
	s_or_b64 exec, exec, s[14:15]
	v_mov_b32_e32 v22, 0x4000
	v_cmp_eq_u32_e64 s[12:13], 3, v19
	s_xor_b64 s[14:15], s[8:9], -1
	v_lshl_add_u32 v21, v21, 4, v22
	s_and_b64 s[46:47], s[12:13], s[14:15]
	s_and_saveexec_b64 s[8:9], s[46:47]
	s_cbranch_execz .LBB173_94
; %bb.93:
	v_mov_b32_e32 v22, 0
	ds_read_b128 v[22:25], v22 offset:14256
	s_waitcnt lgkmcnt(0)
	v_mul_f64 v[26:27], v[13:14], v[24:25]
	v_mul_f64 v[24:25], v[11:12], v[24:25]
	v_fma_f64 v[11:12], v[11:12], v[22:23], -v[26:27]
	v_fma_f64 v[13:14], v[13:14], v[22:23], v[24:25]
	v_xor_b32_e32 v23, 0x80000000, v12
	v_xor_b32_e32 v25, 0x80000000, v14
	v_mov_b32_e32 v22, v11
	v_mov_b32_e32 v24, v13
	ds_write_b128 v21, v[22:25]
.LBB173_94:
	s_or_b64 exec, exec, s[8:9]
	v_cmp_ne_u32_e64 s[8:9], 3, v19
	s_and_b64 s[48:49], s[8:9], s[14:15]
	s_waitcnt lgkmcnt(0)
	s_barrier
	s_and_saveexec_b64 s[8:9], s[48:49]
	s_cbranch_execz .LBB173_96
; %bb.95:
	v_lshlrev_b32_e32 v26, 4, v19
	ds_read_b128 v[22:25], v21
	ds_read_b128 v[26:29], v26 offset:14208
	s_waitcnt lgkmcnt(0)
	v_mul_f64 v[30:31], v[24:25], v[28:29]
	v_mul_f64 v[28:29], v[22:23], v[28:29]
	v_fma_f64 v[22:23], v[22:23], v[26:27], -v[30:31]
	v_fma_f64 v[24:25], v[24:25], v[26:27], v[28:29]
	v_add_f64 v[11:12], v[11:12], -v[22:23]
	v_add_f64 v[13:14], v[13:14], -v[24:25]
.LBB173_96:
	s_or_b64 exec, exec, s[8:9]
	v_cmp_eq_u32_e64 s[8:9], 2, v19
	s_and_b64 s[50:51], s[8:9], s[14:15]
	s_barrier
	s_and_saveexec_b64 s[8:9], s[50:51]
	s_cbranch_execz .LBB173_98
; %bb.97:
	v_mov_b32_e32 v22, 0
	ds_read_b128 v[22:25], v22 offset:13728
	s_waitcnt lgkmcnt(0)
	v_mul_f64 v[26:27], v[13:14], v[24:25]
	v_mul_f64 v[24:25], v[11:12], v[24:25]
	v_fma_f64 v[11:12], v[11:12], v[22:23], -v[26:27]
	v_fma_f64 v[13:14], v[13:14], v[22:23], v[24:25]
	v_xor_b32_e32 v23, 0x80000000, v12
	v_xor_b32_e32 v25, 0x80000000, v14
	v_mov_b32_e32 v22, v11
	v_mov_b32_e32 v24, v13
	ds_write_b128 v21, v[22:25]
.LBB173_98:
	s_or_b64 exec, exec, s[8:9]
	v_cmp_gt_u32_e64 s[8:9], 2, v19
	s_and_b64 s[52:53], s[8:9], s[14:15]
	s_waitcnt lgkmcnt(0)
	s_barrier
	s_and_saveexec_b64 s[8:9], s[52:53]
	s_cbranch_execz .LBB173_100
; %bb.99:
	v_lshlrev_b32_e32 v26, 4, v19
	ds_read_b128 v[22:25], v21
	ds_read_b128 v[26:29], v26 offset:13696
	s_waitcnt lgkmcnt(0)
	v_mul_f64 v[30:31], v[24:25], v[28:29]
	v_mul_f64 v[28:29], v[22:23], v[28:29]
	v_fma_f64 v[22:23], v[22:23], v[26:27], -v[30:31]
	v_fma_f64 v[24:25], v[24:25], v[26:27], v[28:29]
	v_add_f64 v[11:12], v[11:12], -v[22:23]
	v_add_f64 v[13:14], v[13:14], -v[24:25]
.LBB173_100:
	s_or_b64 exec, exec, s[8:9]
	v_cmp_eq_u32_e64 s[8:9], 1, v19
	s_and_b64 s[54:55], s[8:9], s[14:15]
	s_barrier
	s_and_saveexec_b64 s[8:9], s[54:55]
	s_cbranch_execz .LBB173_102
; %bb.101:
	v_mov_b32_e32 v22, 0
	ds_read_b128 v[22:25], v22 offset:13200
	s_waitcnt lgkmcnt(0)
	v_mul_f64 v[26:27], v[13:14], v[24:25]
	v_mul_f64 v[24:25], v[11:12], v[24:25]
	v_fma_f64 v[11:12], v[11:12], v[22:23], -v[26:27]
	v_fma_f64 v[13:14], v[13:14], v[22:23], v[24:25]
	v_xor_b32_e32 v23, 0x80000000, v12
	v_xor_b32_e32 v25, 0x80000000, v14
	v_mov_b32_e32 v22, v11
	v_mov_b32_e32 v24, v13
	ds_write_b128 v21, v[22:25]
.LBB173_102:
	s_or_b64 exec, exec, s[8:9]
	v_cmp_eq_u32_e64 s[8:9], 0, v19
	s_and_b64 s[44:45], s[8:9], s[14:15]
	s_waitcnt lgkmcnt(0)
	s_barrier
	s_and_saveexec_b64 s[8:9], s[44:45]
	s_cbranch_execz .LBB173_104
; %bb.103:
	v_mov_b32_e32 v26, 0
	ds_read_b128 v[22:25], v21
	ds_read_b128 v[26:29], v26 offset:13184
	s_waitcnt lgkmcnt(0)
	v_mul_f64 v[30:31], v[24:25], v[28:29]
	v_mul_f64 v[28:29], v[22:23], v[28:29]
	v_fma_f64 v[22:23], v[22:23], v[26:27], -v[30:31]
	v_fma_f64 v[24:25], v[24:25], v[26:27], v[28:29]
	v_add_f64 v[11:12], v[11:12], -v[22:23]
	v_add_f64 v[13:14], v[13:14], -v[24:25]
.LBB173_104:
	s_or_b64 exec, exec, s[8:9]
	s_barrier
	s_and_saveexec_b64 s[8:9], s[44:45]
	s_cbranch_execz .LBB173_106
; %bb.105:
	v_mov_b32_e32 v22, 0
	ds_read_b128 v[22:25], v22 offset:12672
	s_waitcnt lgkmcnt(0)
	v_mul_f64 v[26:27], v[13:14], v[24:25]
	v_mul_f64 v[24:25], v[11:12], v[24:25]
	v_fma_f64 v[11:12], v[11:12], v[22:23], -v[26:27]
	v_fma_f64 v[13:14], v[13:14], v[22:23], v[24:25]
	v_xor_b32_e32 v23, 0x80000000, v12
	v_xor_b32_e32 v25, 0x80000000, v14
	v_mov_b32_e32 v22, v11
	v_mov_b32_e32 v24, v13
	ds_write_b128 v21, v[22:25]
.LBB173_106:
	s_or_b64 exec, exec, s[8:9]
	s_waitcnt lgkmcnt(0)
	s_barrier
	s_barrier
	s_and_saveexec_b64 s[8:9], s[16:17]
; %bb.107:
	v_lshlrev_b32_e32 v22, 4, v19
	v_lshl_or_b32 v22, v20, 9, v22
	ds_write_b128 v22, v[11:14] offset:14720
; %bb.108:
	s_or_b64 exec, exec, s[8:9]
	v_cmp_gt_u32_e64 s[8:9], 4, v0
	s_and_b64 s[56:57], s[10:11], s[8:9]
	s_waitcnt lgkmcnt(0)
	s_barrier
	s_barrier
	s_and_saveexec_b64 s[8:9], s[56:57]
	s_cbranch_execz .LBB173_110
; %bb.109:
	v_lshlrev_b32_e32 v22, 4, v0
	s_movk_i32 s12, 0x1f0
	v_mad_u32_u24 v23, v0, s12, v22
	ds_read_b128 v[11:14], v23 offset:14720
	s_waitcnt lgkmcnt(0)
	ds_write_b128 v22, v[11:14] offset:12736
	ds_read_b128 v[11:14], v23 offset:14736
	s_waitcnt lgkmcnt(0)
	ds_write_b128 v22, v[11:14] offset:13248
	;; [unrolled: 3-line block ×4, first 2 shown]
.LBB173_110:
	s_or_b64 exec, exec, s[8:9]
	s_waitcnt lgkmcnt(0)
	s_barrier
	s_and_saveexec_b64 s[8:9], vcc
	s_cbranch_execz .LBB173_112
; %bb.111:
	v_mov_b32_e32 v32, 0
	ds_read_b128 v[11:14], v32 offset:14256
	ds_read_b128 v[22:25], v32 offset:13728
	;; [unrolled: 1-line block ×3, first 2 shown]
	s_waitcnt lgkmcnt(1)
	v_mul_f64 v[30:31], v[11:12], v[24:25]
	v_mul_f64 v[24:25], v[13:14], v[24:25]
	v_fma_f64 v[13:14], v[13:14], v[22:23], v[30:31]
	v_fma_f64 v[11:12], v[11:12], v[22:23], -v[24:25]
	s_waitcnt lgkmcnt(0)
	v_mul_f64 v[22:23], v[13:14], v[28:29]
	v_mul_f64 v[24:25], v[11:12], v[28:29]
	v_fma_f64 v[11:12], v[26:27], v[11:12], -v[22:23]
	v_fma_f64 v[13:14], v[26:27], v[13:14], v[24:25]
	ds_write_b128 v32, v[11:14] offset:14240
	ds_write_b128 v32, v[11:14] offset:13744
.LBB173_112:
	s_or_b64 exec, exec, s[8:9]
	v_mov_b32_e32 v11, 0
	v_mov_b32_e32 v13, 0
	;; [unrolled: 1-line block ×4, first 2 shown]
	s_waitcnt lgkmcnt(0)
	s_barrier
	buffer_wbinvl1_vol
	s_and_saveexec_b64 s[12:13], s[2:3]
	s_cbranch_execz .LBB173_116
; %bb.113:
	v_lshlrev_b32_e32 v22, 4, v15
	v_lshlrev_b32_e32 v11, 9, v16
	ds_read_b128 v[11:14], v11 offset:13728
	ds_read_b128 v[22:25], v22 offset:13696
	v_cmp_gt_u32_e64 s[8:9], 2, v18
	s_waitcnt lgkmcnt(0)
	v_mul_f64 v[26:27], v[13:14], v[24:25]
	v_mul_f64 v[24:25], v[11:12], v[24:25]
	v_fma_f64 v[11:12], v[11:12], v[22:23], -v[26:27]
	v_fma_f64 v[13:14], v[13:14], v[22:23], v[24:25]
	v_add_f64 v[11:12], v[11:12], 0
	v_add_f64 v[13:14], v[13:14], 0
	s_and_saveexec_b64 s[14:15], s[8:9]
	s_cbranch_execz .LBB173_115
; %bb.114:
	v_lshlrev_b32_e32 v26, 4, v0
	v_mov_b32_e32 v22, 0
	ds_read_b128 v[22:25], v22 offset:14256
	ds_read_b128 v[26:29], v26 offset:14208
	s_waitcnt lgkmcnt(0)
	v_mul_f64 v[30:31], v[24:25], v[28:29]
	v_mul_f64 v[28:29], v[22:23], v[28:29]
	v_fma_f64 v[22:23], v[22:23], v[26:27], -v[30:31]
	v_fma_f64 v[24:25], v[24:25], v[26:27], v[28:29]
	v_add_f64 v[11:12], v[11:12], v[22:23]
	v_add_f64 v[13:14], v[13:14], v[24:25]
.LBB173_115:
	s_or_b64 exec, exec, s[14:15]
.LBB173_116:
	s_or_b64 exec, exec, s[12:13]
	s_and_saveexec_b64 s[8:9], s[40:41]
	s_cbranch_execz .LBB173_118
; %bb.117:
	v_mov_b32_e32 v22, 0
	ds_read_b128 v[22:25], v22 offset:13200
	s_waitcnt lgkmcnt(0)
	v_mul_f64 v[26:27], v[13:14], v[24:25]
	v_mul_f64 v[24:25], v[11:12], v[24:25]
	v_fma_f64 v[11:12], v[11:12], v[22:23], -v[26:27]
	v_fma_f64 v[13:14], v[13:14], v[22:23], v[24:25]
	v_xor_b32_e32 v23, 0x80000000, v12
	v_xor_b32_e32 v25, 0x80000000, v14
	v_mov_b32_e32 v22, v11
	v_mov_b32_e32 v24, v13
	ds_write_b128 v17, v[22:25]
.LBB173_118:
	s_or_b64 exec, exec, s[8:9]
	s_waitcnt lgkmcnt(0)
	s_barrier
	s_and_saveexec_b64 s[8:9], s[38:39]
	s_cbranch_execz .LBB173_120
; %bb.119:
	v_mov_b32_e32 v26, 0
	ds_read_b128 v[22:25], v17
	ds_read_b128 v[26:29], v26 offset:13184
	s_waitcnt lgkmcnt(0)
	v_mul_f64 v[30:31], v[24:25], v[28:29]
	v_mul_f64 v[28:29], v[22:23], v[28:29]
	v_fma_f64 v[22:23], v[22:23], v[26:27], -v[30:31]
	v_fma_f64 v[24:25], v[24:25], v[26:27], v[28:29]
	v_add_f64 v[11:12], v[11:12], -v[22:23]
	v_add_f64 v[13:14], v[13:14], -v[24:25]
.LBB173_120:
	s_or_b64 exec, exec, s[8:9]
	s_barrier
	s_and_saveexec_b64 s[8:9], s[38:39]
	s_cbranch_execz .LBB173_122
; %bb.121:
	v_mov_b32_e32 v22, 0
	ds_read_b128 v[22:25], v22 offset:12672
	s_waitcnt lgkmcnt(0)
	v_mul_f64 v[26:27], v[13:14], v[24:25]
	v_mul_f64 v[24:25], v[11:12], v[24:25]
	v_fma_f64 v[11:12], v[11:12], v[22:23], -v[26:27]
	v_fma_f64 v[13:14], v[13:14], v[22:23], v[24:25]
	v_xor_b32_e32 v23, 0x80000000, v12
	v_xor_b32_e32 v25, 0x80000000, v14
	v_mov_b32_e32 v22, v11
	v_mov_b32_e32 v24, v13
	ds_write_b128 v17, v[22:25]
.LBB173_122:
	s_or_b64 exec, exec, s[8:9]
	s_waitcnt lgkmcnt(0)
	s_barrier
	s_barrier
	s_and_saveexec_b64 s[8:9], s[2:3]
; %bb.123:
	v_lshlrev_b32_e32 v22, 4, v15
	v_lshl_or_b32 v22, v16, 9, v22
	ds_write_b128 v22, v[11:14] offset:13696
; %bb.124:
	s_or_b64 exec, exec, s[8:9]
	s_waitcnt lgkmcnt(0)
	s_barrier
	s_barrier
	s_and_saveexec_b64 s[8:9], s[42:43]
	s_cbranch_execz .LBB173_126
; %bb.125:
	v_lshlrev_b32_e32 v22, 9, v0
	ds_read_b128 v[11:14], v22 offset:13696
	s_movk_i32 s12, 0xfe10
	v_mad_i32_i24 v23, v0, s12, v22
	s_waitcnt lgkmcnt(0)
	ds_write_b128 v23, v[11:14] offset:12704
	ds_read_b128 v[11:14], v22 offset:13712
	s_waitcnt lgkmcnt(0)
	ds_write_b128 v23, v[11:14] offset:13216
.LBB173_126:
	s_or_b64 exec, exec, s[8:9]
	s_waitcnt lgkmcnt(0)
	s_barrier
	s_and_saveexec_b64 s[8:9], vcc
	s_cbranch_execz .LBB173_128
; %bb.127:
	v_mov_b32_e32 v32, 0
	ds_read_b128 v[11:14], v32 offset:13200
	ds_read_b128 v[22:25], v32 offset:12672
	;; [unrolled: 1-line block ×3, first 2 shown]
	s_waitcnt lgkmcnt(1)
	v_mul_f64 v[30:31], v[11:12], v[24:25]
	v_mul_f64 v[24:25], v[13:14], v[24:25]
	v_fma_f64 v[13:14], v[13:14], v[22:23], v[30:31]
	v_fma_f64 v[11:12], v[11:12], v[22:23], -v[24:25]
	s_waitcnt lgkmcnt(0)
	v_mul_f64 v[22:23], v[13:14], v[28:29]
	v_mul_f64 v[24:25], v[11:12], v[28:29]
	v_fma_f64 v[11:12], v[26:27], v[11:12], -v[22:23]
	v_fma_f64 v[13:14], v[26:27], v[13:14], v[24:25]
	ds_write_b128 v32, v[11:14] offset:13184
	ds_write_b128 v32, v[11:14] offset:12688
.LBB173_128:
	s_or_b64 exec, exec, s[8:9]
	v_lshrrev_b32_e32 v24, 3, v18
	v_mov_b32_e32 v13, 0
	v_mov_b32_e32 v11, 0
	v_and_b32_e32 v22, 7, v0
	v_sub_u32_e32 v23, 7, v24
	v_cmp_lt_u32_e64 s[12:13], 63, v18
	v_mov_b32_e32 v14, 0
	v_mov_b32_e32 v12, 0
	v_cmp_gt_u32_e64 s[8:9], 64, v18
	s_waitcnt lgkmcnt(0)
	s_barrier
	buffer_wbinvl1_vol
	s_and_saveexec_b64 s[18:19], s[8:9]
	s_cbranch_execz .LBB173_138
; %bb.129:
	v_lshlrev_b32_e32 v26, 9, v23
	v_lshlrev_b32_e32 v25, 4, v22
	ds_read_b128 v[11:14], v26 offset:12672
	ds_read_b128 v[27:30], v25 offset:12544
	v_cmp_gt_u32_e64 s[14:15], 56, v18
	s_waitcnt lgkmcnt(0)
	v_mul_f64 v[31:32], v[13:14], v[29:30]
	v_mul_f64 v[29:30], v[11:12], v[29:30]
	v_fma_f64 v[11:12], v[11:12], v[27:28], -v[31:32]
	v_fma_f64 v[13:14], v[13:14], v[27:28], v[29:30]
	v_add_f64 v[11:12], v[11:12], 0
	v_add_f64 v[13:14], v[13:14], 0
	s_and_saveexec_b64 s[58:59], s[14:15]
	s_cbranch_execnz .LBB173_553
; %bb.130:
	s_or_b64 exec, exec, s[58:59]
	v_cmp_gt_u32_e64 s[14:15], 48, v18
	s_and_saveexec_b64 s[58:59], s[14:15]
	s_cbranch_execnz .LBB173_554
.LBB173_131:
	s_or_b64 exec, exec, s[58:59]
	v_cmp_gt_u32_e64 s[14:15], 40, v18
	s_and_saveexec_b64 s[58:59], s[14:15]
	s_cbranch_execnz .LBB173_555
.LBB173_132:
	s_or_b64 exec, exec, s[58:59]
	v_cmp_gt_u32_e64 s[14:15], 32, v18
	s_and_saveexec_b64 s[58:59], s[14:15]
	s_cbranch_execnz .LBB173_556
.LBB173_133:
	s_or_b64 exec, exec, s[58:59]
	v_cmp_gt_u32_e64 s[14:15], 24, v18
	s_and_saveexec_b64 s[58:59], s[14:15]
	s_cbranch_execnz .LBB173_557
.LBB173_134:
	s_or_b64 exec, exec, s[58:59]
	s_and_saveexec_b64 s[14:15], s[16:17]
	s_cbranch_execnz .LBB173_558
.LBB173_135:
	s_or_b64 exec, exec, s[14:15]
	v_cmp_gt_u32_e64 s[14:15], 8, v18
	s_and_saveexec_b64 s[58:59], s[14:15]
	s_cbranch_execz .LBB173_137
.LBB173_136:
	v_lshlrev_b32_e32 v29, 4, v0
	v_mov_b32_e32 v25, 0
	ds_read_b128 v[25:28], v25 offset:16368
	ds_read_b128 v[29:32], v29 offset:16128
	s_waitcnt lgkmcnt(0)
	v_mul_f64 v[33:34], v[27:28], v[31:32]
	v_mul_f64 v[31:32], v[25:26], v[31:32]
	v_fma_f64 v[25:26], v[25:26], v[29:30], -v[33:34]
	v_fma_f64 v[27:28], v[27:28], v[29:30], v[31:32]
	v_add_f64 v[11:12], v[11:12], v[25:26]
	v_add_f64 v[13:14], v[13:14], v[27:28]
.LBB173_137:
	s_or_b64 exec, exec, s[58:59]
.LBB173_138:
	s_or_b64 exec, exec, s[18:19]
	v_mov_b32_e32 v25, 0x4000
	v_cmp_eq_u32_e64 s[14:15], 7, v22
	s_xor_b64 s[18:19], s[12:13], -1
	v_lshl_add_u32 v24, v24, 4, v25
	s_and_b64 s[60:61], s[14:15], s[18:19]
	s_and_saveexec_b64 s[12:13], s[60:61]
	s_cbranch_execz .LBB173_140
; %bb.139:
	v_mov_b32_e32 v25, 0
	ds_read_b128 v[25:28], v25 offset:12144
	s_waitcnt lgkmcnt(0)
	v_mul_f64 v[29:30], v[13:14], v[27:28]
	v_mul_f64 v[27:28], v[11:12], v[27:28]
	v_fma_f64 v[11:12], v[11:12], v[25:26], -v[29:30]
	v_fma_f64 v[13:14], v[13:14], v[25:26], v[27:28]
	v_xor_b32_e32 v26, 0x80000000, v12
	v_xor_b32_e32 v28, 0x80000000, v14
	v_mov_b32_e32 v25, v11
	v_mov_b32_e32 v27, v13
	ds_write_b128 v24, v[25:28]
.LBB173_140:
	s_or_b64 exec, exec, s[12:13]
	v_cmp_ne_u32_e64 s[12:13], 7, v22
	s_and_b64 s[62:63], s[12:13], s[18:19]
	s_waitcnt lgkmcnt(0)
	s_barrier
	s_and_saveexec_b64 s[12:13], s[62:63]
	s_cbranch_execz .LBB173_142
; %bb.141:
	v_lshlrev_b32_e32 v29, 4, v22
	ds_read_b128 v[25:28], v24
	ds_read_b128 v[29:32], v29 offset:12032
	s_waitcnt lgkmcnt(0)
	v_mul_f64 v[33:34], v[27:28], v[31:32]
	v_mul_f64 v[31:32], v[25:26], v[31:32]
	v_fma_f64 v[25:26], v[25:26], v[29:30], -v[33:34]
	v_fma_f64 v[27:28], v[27:28], v[29:30], v[31:32]
	v_add_f64 v[11:12], v[11:12], -v[25:26]
	v_add_f64 v[13:14], v[13:14], -v[27:28]
.LBB173_142:
	s_or_b64 exec, exec, s[12:13]
	v_cmp_eq_u32_e64 s[12:13], 6, v22
	s_and_b64 s[64:65], s[12:13], s[18:19]
	s_barrier
	s_and_saveexec_b64 s[12:13], s[64:65]
	s_cbranch_execz .LBB173_144
; %bb.143:
	v_mov_b32_e32 v25, 0
	ds_read_b128 v[25:28], v25 offset:11616
	s_waitcnt lgkmcnt(0)
	v_mul_f64 v[29:30], v[13:14], v[27:28]
	v_mul_f64 v[27:28], v[11:12], v[27:28]
	v_fma_f64 v[11:12], v[11:12], v[25:26], -v[29:30]
	v_fma_f64 v[13:14], v[13:14], v[25:26], v[27:28]
	v_xor_b32_e32 v26, 0x80000000, v12
	v_xor_b32_e32 v28, 0x80000000, v14
	v_mov_b32_e32 v25, v11
	v_mov_b32_e32 v27, v13
	ds_write_b128 v24, v[25:28]
.LBB173_144:
	s_or_b64 exec, exec, s[12:13]
	v_cmp_gt_u32_e64 s[12:13], 6, v22
	s_and_b64 s[66:67], s[12:13], s[18:19]
	s_waitcnt lgkmcnt(0)
	s_barrier
	s_and_saveexec_b64 s[12:13], s[66:67]
	s_cbranch_execz .LBB173_146
; %bb.145:
	v_lshlrev_b32_e32 v29, 4, v22
	ds_read_b128 v[25:28], v24
	ds_read_b128 v[29:32], v29 offset:11520
	s_waitcnt lgkmcnt(0)
	v_mul_f64 v[33:34], v[27:28], v[31:32]
	v_mul_f64 v[31:32], v[25:26], v[31:32]
	v_fma_f64 v[25:26], v[25:26], v[29:30], -v[33:34]
	v_fma_f64 v[27:28], v[27:28], v[29:30], v[31:32]
	v_add_f64 v[11:12], v[11:12], -v[25:26]
	v_add_f64 v[13:14], v[13:14], -v[27:28]
.LBB173_146:
	s_or_b64 exec, exec, s[12:13]
	v_cmp_eq_u32_e64 s[12:13], 5, v22
	s_and_b64 s[68:69], s[12:13], s[18:19]
	s_barrier
	s_and_saveexec_b64 s[12:13], s[68:69]
	s_cbranch_execz .LBB173_148
; %bb.147:
	v_mov_b32_e32 v25, 0
	ds_read_b128 v[25:28], v25 offset:11088
	s_waitcnt lgkmcnt(0)
	v_mul_f64 v[29:30], v[13:14], v[27:28]
	v_mul_f64 v[27:28], v[11:12], v[27:28]
	v_fma_f64 v[11:12], v[11:12], v[25:26], -v[29:30]
	v_fma_f64 v[13:14], v[13:14], v[25:26], v[27:28]
	v_xor_b32_e32 v26, 0x80000000, v12
	v_xor_b32_e32 v28, 0x80000000, v14
	v_mov_b32_e32 v25, v11
	v_mov_b32_e32 v27, v13
	ds_write_b128 v24, v[25:28]
.LBB173_148:
	s_or_b64 exec, exec, s[12:13]
	v_cmp_gt_u32_e64 s[12:13], 5, v22
	;; [unrolled: 39-line block ×5, first 2 shown]
	s_and_b64 s[82:83], s[12:13], s[18:19]
	s_waitcnt lgkmcnt(0)
	s_barrier
	s_and_saveexec_b64 s[12:13], s[82:83]
	s_cbranch_execz .LBB173_162
; %bb.161:
	v_lshlrev_b32_e32 v29, 4, v22
	ds_read_b128 v[25:28], v24
	ds_read_b128 v[29:32], v29 offset:9472
	s_waitcnt lgkmcnt(0)
	v_mul_f64 v[33:34], v[27:28], v[31:32]
	v_mul_f64 v[31:32], v[25:26], v[31:32]
	v_fma_f64 v[25:26], v[25:26], v[29:30], -v[33:34]
	v_fma_f64 v[27:28], v[27:28], v[29:30], v[31:32]
	v_add_f64 v[11:12], v[11:12], -v[25:26]
	v_add_f64 v[13:14], v[13:14], -v[27:28]
.LBB173_162:
	s_or_b64 exec, exec, s[12:13]
	v_cmp_eq_u32_e64 s[12:13], 1, v22
	s_and_b64 s[84:85], s[12:13], s[18:19]
	s_barrier
	s_and_saveexec_b64 s[12:13], s[84:85]
	s_cbranch_execz .LBB173_164
; %bb.163:
	v_mov_b32_e32 v25, 0
	ds_read_b128 v[25:28], v25 offset:8976
	s_waitcnt lgkmcnt(0)
	v_mul_f64 v[29:30], v[13:14], v[27:28]
	v_mul_f64 v[27:28], v[11:12], v[27:28]
	v_fma_f64 v[11:12], v[11:12], v[25:26], -v[29:30]
	v_fma_f64 v[13:14], v[13:14], v[25:26], v[27:28]
	v_xor_b32_e32 v26, 0x80000000, v12
	v_xor_b32_e32 v28, 0x80000000, v14
	v_mov_b32_e32 v25, v11
	v_mov_b32_e32 v27, v13
	ds_write_b128 v24, v[25:28]
.LBB173_164:
	s_or_b64 exec, exec, s[12:13]
	v_cmp_eq_u32_e64 s[12:13], 0, v22
	s_and_b64 s[58:59], s[12:13], s[18:19]
	s_waitcnt lgkmcnt(0)
	s_barrier
	s_and_saveexec_b64 s[12:13], s[58:59]
	s_cbranch_execz .LBB173_166
; %bb.165:
	v_mov_b32_e32 v29, 0
	ds_read_b128 v[25:28], v24
	ds_read_b128 v[29:32], v29 offset:8960
	s_waitcnt lgkmcnt(0)
	v_mul_f64 v[33:34], v[27:28], v[31:32]
	v_mul_f64 v[31:32], v[25:26], v[31:32]
	v_fma_f64 v[25:26], v[25:26], v[29:30], -v[33:34]
	v_fma_f64 v[27:28], v[27:28], v[29:30], v[31:32]
	v_add_f64 v[11:12], v[11:12], -v[25:26]
	v_add_f64 v[13:14], v[13:14], -v[27:28]
.LBB173_166:
	s_or_b64 exec, exec, s[12:13]
	s_barrier
	s_and_saveexec_b64 s[12:13], s[58:59]
	s_cbranch_execz .LBB173_168
; %bb.167:
	v_mov_b32_e32 v25, 0
	ds_read_b128 v[25:28], v25 offset:8448
	s_waitcnt lgkmcnt(0)
	v_mul_f64 v[29:30], v[13:14], v[27:28]
	v_mul_f64 v[27:28], v[11:12], v[27:28]
	v_fma_f64 v[11:12], v[11:12], v[25:26], -v[29:30]
	v_fma_f64 v[13:14], v[13:14], v[25:26], v[27:28]
	v_xor_b32_e32 v26, 0x80000000, v12
	v_xor_b32_e32 v28, 0x80000000, v14
	v_mov_b32_e32 v25, v11
	v_mov_b32_e32 v27, v13
	ds_write_b128 v24, v[25:28]
.LBB173_168:
	s_or_b64 exec, exec, s[12:13]
	s_waitcnt lgkmcnt(0)
	s_barrier
	s_barrier
	s_and_saveexec_b64 s[12:13], s[8:9]
; %bb.169:
	v_lshlrev_b32_e32 v25, 4, v22
	v_lshl_or_b32 v25, v23, 9, v25
	ds_write_b128 v25, v[11:14] offset:12544
; %bb.170:
	s_or_b64 exec, exec, s[12:13]
	v_cmp_gt_u32_e64 s[12:13], 8, v0
	s_and_b64 s[86:87], s[10:11], s[12:13]
	s_waitcnt lgkmcnt(0)
	s_barrier
	s_barrier
	s_and_saveexec_b64 s[12:13], s[86:87]
	s_cbranch_execz .LBB173_172
; %bb.171:
	v_lshlrev_b32_e32 v25, 9, v0
	ds_read_b128 v[11:14], v25 offset:12544
	s_movk_i32 s14, 0xfe10
	v_mad_i32_i24 v26, v0, s14, v25
	s_waitcnt lgkmcnt(0)
	ds_write_b128 v26, v[11:14] offset:8576
	ds_read_b128 v[11:14], v25 offset:12560
	s_waitcnt lgkmcnt(0)
	ds_write_b128 v26, v[11:14] offset:9088
	ds_read_b128 v[11:14], v25 offset:12576
	s_waitcnt lgkmcnt(0)
	ds_write_b128 v26, v[11:14] offset:9600
	ds_read_b128 v[11:14], v25 offset:12592
	s_waitcnt lgkmcnt(0)
	ds_write_b128 v26, v[11:14] offset:10112
	ds_read_b128 v[11:14], v25 offset:12608
	s_waitcnt lgkmcnt(0)
	ds_write_b128 v26, v[11:14] offset:10624
	ds_read_b128 v[11:14], v25 offset:12624
	s_waitcnt lgkmcnt(0)
	ds_write_b128 v26, v[11:14] offset:11136
	ds_read_b128 v[11:14], v25 offset:12640
	s_waitcnt lgkmcnt(0)
	ds_write_b128 v26, v[11:14] offset:11648
	ds_read_b128 v[11:14], v25 offset:12656
	s_waitcnt lgkmcnt(0)
	ds_write_b128 v26, v[11:14] offset:12160
.LBB173_172:
	s_or_b64 exec, exec, s[12:13]
	s_waitcnt lgkmcnt(0)
	s_barrier
	s_and_saveexec_b64 s[12:13], vcc
	s_cbranch_execz .LBB173_174
; %bb.173:
	v_mov_b32_e32 v35, 0
	ds_read_b128 v[11:14], v35 offset:12144
	ds_read_b128 v[25:28], v35 offset:11616
	;; [unrolled: 1-line block ×3, first 2 shown]
	s_waitcnt lgkmcnt(1)
	v_mul_f64 v[33:34], v[11:12], v[27:28]
	v_mul_f64 v[27:28], v[13:14], v[27:28]
	v_fma_f64 v[13:14], v[13:14], v[25:26], v[33:34]
	v_fma_f64 v[11:12], v[11:12], v[25:26], -v[27:28]
	s_waitcnt lgkmcnt(0)
	v_mul_f64 v[25:26], v[13:14], v[31:32]
	v_mul_f64 v[27:28], v[11:12], v[31:32]
	v_fma_f64 v[11:12], v[29:30], v[11:12], -v[25:26]
	v_fma_f64 v[13:14], v[29:30], v[13:14], v[27:28]
	ds_write_b128 v35, v[11:14] offset:12128
	ds_write_b128 v35, v[11:14] offset:11632
.LBB173_174:
	s_or_b64 exec, exec, s[12:13]
	v_mov_b32_e32 v11, 0
	v_mov_b32_e32 v13, 0
	;; [unrolled: 1-line block ×4, first 2 shown]
	s_waitcnt lgkmcnt(0)
	s_barrier
	buffer_wbinvl1_vol
	s_and_saveexec_b64 s[14:15], s[2:3]
	s_cbranch_execz .LBB173_178
; %bb.175:
	v_lshlrev_b32_e32 v25, 4, v15
	v_lshlrev_b32_e32 v11, 9, v16
	ds_read_b128 v[11:14], v11 offset:11616
	ds_read_b128 v[25:28], v25 offset:11584
	v_cmp_gt_u32_e64 s[12:13], 2, v18
	s_waitcnt lgkmcnt(0)
	v_mul_f64 v[29:30], v[13:14], v[27:28]
	v_mul_f64 v[27:28], v[11:12], v[27:28]
	v_fma_f64 v[11:12], v[11:12], v[25:26], -v[29:30]
	v_fma_f64 v[13:14], v[13:14], v[25:26], v[27:28]
	v_add_f64 v[11:12], v[11:12], 0
	v_add_f64 v[13:14], v[13:14], 0
	s_and_saveexec_b64 s[18:19], s[12:13]
	s_cbranch_execz .LBB173_177
; %bb.176:
	v_lshlrev_b32_e32 v29, 4, v0
	v_mov_b32_e32 v25, 0
	ds_read_b128 v[25:28], v25 offset:12144
	ds_read_b128 v[29:32], v29 offset:12096
	s_waitcnt lgkmcnt(0)
	v_mul_f64 v[33:34], v[27:28], v[31:32]
	v_mul_f64 v[31:32], v[25:26], v[31:32]
	v_fma_f64 v[25:26], v[25:26], v[29:30], -v[33:34]
	v_fma_f64 v[27:28], v[27:28], v[29:30], v[31:32]
	v_add_f64 v[11:12], v[11:12], v[25:26]
	v_add_f64 v[13:14], v[13:14], v[27:28]
.LBB173_177:
	s_or_b64 exec, exec, s[18:19]
.LBB173_178:
	s_or_b64 exec, exec, s[14:15]
	s_and_saveexec_b64 s[12:13], s[40:41]
	s_cbranch_execz .LBB173_180
; %bb.179:
	v_mov_b32_e32 v25, 0
	ds_read_b128 v[25:28], v25 offset:11088
	s_waitcnt lgkmcnt(0)
	v_mul_f64 v[29:30], v[13:14], v[27:28]
	v_mul_f64 v[27:28], v[11:12], v[27:28]
	v_fma_f64 v[11:12], v[11:12], v[25:26], -v[29:30]
	v_fma_f64 v[13:14], v[13:14], v[25:26], v[27:28]
	v_xor_b32_e32 v26, 0x80000000, v12
	v_xor_b32_e32 v28, 0x80000000, v14
	v_mov_b32_e32 v25, v11
	v_mov_b32_e32 v27, v13
	ds_write_b128 v17, v[25:28]
.LBB173_180:
	s_or_b64 exec, exec, s[12:13]
	s_waitcnt lgkmcnt(0)
	s_barrier
	s_and_saveexec_b64 s[12:13], s[38:39]
	s_cbranch_execz .LBB173_182
; %bb.181:
	v_mov_b32_e32 v29, 0
	ds_read_b128 v[25:28], v17
	ds_read_b128 v[29:32], v29 offset:11072
	s_waitcnt lgkmcnt(0)
	v_mul_f64 v[33:34], v[27:28], v[31:32]
	v_mul_f64 v[31:32], v[25:26], v[31:32]
	v_fma_f64 v[25:26], v[25:26], v[29:30], -v[33:34]
	v_fma_f64 v[27:28], v[27:28], v[29:30], v[31:32]
	v_add_f64 v[11:12], v[11:12], -v[25:26]
	v_add_f64 v[13:14], v[13:14], -v[27:28]
.LBB173_182:
	s_or_b64 exec, exec, s[12:13]
	s_barrier
	s_and_saveexec_b64 s[12:13], s[38:39]
	s_cbranch_execz .LBB173_184
; %bb.183:
	v_mov_b32_e32 v25, 0
	ds_read_b128 v[25:28], v25 offset:10560
	s_waitcnt lgkmcnt(0)
	v_mul_f64 v[29:30], v[13:14], v[27:28]
	v_mul_f64 v[27:28], v[11:12], v[27:28]
	v_fma_f64 v[11:12], v[11:12], v[25:26], -v[29:30]
	v_fma_f64 v[13:14], v[13:14], v[25:26], v[27:28]
	v_xor_b32_e32 v26, 0x80000000, v12
	v_xor_b32_e32 v28, 0x80000000, v14
	v_mov_b32_e32 v25, v11
	v_mov_b32_e32 v27, v13
	ds_write_b128 v17, v[25:28]
.LBB173_184:
	s_or_b64 exec, exec, s[12:13]
	s_waitcnt lgkmcnt(0)
	s_barrier
	s_barrier
	s_and_saveexec_b64 s[12:13], s[2:3]
; %bb.185:
	v_lshlrev_b32_e32 v25, 4, v15
	v_lshl_or_b32 v25, v16, 9, v25
	ds_write_b128 v25, v[11:14] offset:11584
; %bb.186:
	s_or_b64 exec, exec, s[12:13]
	s_waitcnt lgkmcnt(0)
	s_barrier
	s_barrier
	s_and_saveexec_b64 s[12:13], s[42:43]
	s_cbranch_execz .LBB173_188
; %bb.187:
	v_lshlrev_b32_e32 v25, 9, v0
	ds_read_b128 v[11:14], v25 offset:11584
	s_movk_i32 s14, 0xfe10
	v_mad_i32_i24 v26, v0, s14, v25
	s_waitcnt lgkmcnt(0)
	ds_write_b128 v26, v[11:14] offset:10592
	ds_read_b128 v[11:14], v25 offset:11600
	s_waitcnt lgkmcnt(0)
	ds_write_b128 v26, v[11:14] offset:11104
.LBB173_188:
	s_or_b64 exec, exec, s[12:13]
	s_waitcnt lgkmcnt(0)
	s_barrier
	s_and_saveexec_b64 s[12:13], vcc
	s_cbranch_execz .LBB173_190
; %bb.189:
	v_mov_b32_e32 v35, 0
	ds_read_b128 v[11:14], v35 offset:11088
	ds_read_b128 v[25:28], v35 offset:10560
	;; [unrolled: 1-line block ×3, first 2 shown]
	s_waitcnt lgkmcnt(1)
	v_mul_f64 v[33:34], v[11:12], v[27:28]
	v_mul_f64 v[27:28], v[13:14], v[27:28]
	v_fma_f64 v[13:14], v[13:14], v[25:26], v[33:34]
	v_fma_f64 v[11:12], v[11:12], v[25:26], -v[27:28]
	s_waitcnt lgkmcnt(0)
	v_mul_f64 v[25:26], v[13:14], v[31:32]
	v_mul_f64 v[27:28], v[11:12], v[31:32]
	v_fma_f64 v[11:12], v[29:30], v[11:12], -v[25:26]
	v_fma_f64 v[13:14], v[29:30], v[13:14], v[27:28]
	ds_write_b128 v35, v[11:14] offset:11072
	ds_write_b128 v35, v[11:14] offset:10576
.LBB173_190:
	s_or_b64 exec, exec, s[12:13]
	v_mov_b32_e32 v13, 0
	v_mov_b32_e32 v11, 0
	v_mov_b32_e32 v14, 0
	v_mov_b32_e32 v12, 0
	s_waitcnt lgkmcnt(0)
	s_barrier
	buffer_wbinvl1_vol
	s_and_saveexec_b64 s[14:15], s[16:17]
	s_cbranch_execz .LBB173_196
; %bb.191:
	v_lshlrev_b32_e32 v26, 9, v20
	v_lshlrev_b32_e32 v25, 4, v19
	ds_read_b128 v[11:14], v26 offset:10560
	ds_read_b128 v[27:30], v25 offset:10496
	v_cmp_gt_u32_e64 s[12:13], 12, v18
	s_waitcnt lgkmcnt(0)
	v_mul_f64 v[31:32], v[13:14], v[29:30]
	v_mul_f64 v[29:30], v[11:12], v[29:30]
	v_fma_f64 v[11:12], v[11:12], v[27:28], -v[31:32]
	v_fma_f64 v[13:14], v[13:14], v[27:28], v[29:30]
	v_add_f64 v[11:12], v[11:12], 0
	v_add_f64 v[13:14], v[13:14], 0
	s_and_saveexec_b64 s[18:19], s[12:13]
	s_cbranch_execnz .LBB173_559
; %bb.192:
	s_or_b64 exec, exec, s[18:19]
	v_cmp_gt_u32_e64 s[12:13], 8, v18
	s_and_saveexec_b64 s[18:19], s[12:13]
	s_cbranch_execnz .LBB173_560
.LBB173_193:
	s_or_b64 exec, exec, s[18:19]
	v_cmp_gt_u32_e64 s[12:13], 4, v18
	s_and_saveexec_b64 s[18:19], s[12:13]
	s_cbranch_execz .LBB173_195
.LBB173_194:
	v_lshlrev_b32_e32 v29, 4, v0
	v_mov_b32_e32 v25, 0
	ds_read_b128 v[25:28], v25 offset:12144
	ds_read_b128 v[29:32], v29 offset:12032
	s_waitcnt lgkmcnt(0)
	v_mul_f64 v[33:34], v[27:28], v[31:32]
	v_mul_f64 v[31:32], v[25:26], v[31:32]
	v_fma_f64 v[25:26], v[25:26], v[29:30], -v[33:34]
	v_fma_f64 v[27:28], v[27:28], v[29:30], v[31:32]
	v_add_f64 v[11:12], v[11:12], v[25:26]
	v_add_f64 v[13:14], v[13:14], v[27:28]
.LBB173_195:
	s_or_b64 exec, exec, s[18:19]
.LBB173_196:
	s_or_b64 exec, exec, s[14:15]
	s_and_saveexec_b64 s[12:13], s[46:47]
	s_cbranch_execz .LBB173_198
; %bb.197:
	v_mov_b32_e32 v25, 0
	ds_read_b128 v[25:28], v25 offset:10032
	s_waitcnt lgkmcnt(0)
	v_mul_f64 v[29:30], v[13:14], v[27:28]
	v_mul_f64 v[27:28], v[11:12], v[27:28]
	v_fma_f64 v[11:12], v[11:12], v[25:26], -v[29:30]
	v_fma_f64 v[13:14], v[13:14], v[25:26], v[27:28]
	v_xor_b32_e32 v26, 0x80000000, v12
	v_xor_b32_e32 v28, 0x80000000, v14
	v_mov_b32_e32 v25, v11
	v_mov_b32_e32 v27, v13
	ds_write_b128 v21, v[25:28]
.LBB173_198:
	s_or_b64 exec, exec, s[12:13]
	s_waitcnt lgkmcnt(0)
	s_barrier
	s_and_saveexec_b64 s[12:13], s[48:49]
	s_cbranch_execz .LBB173_200
; %bb.199:
	v_lshlrev_b32_e32 v29, 4, v19
	ds_read_b128 v[25:28], v21
	ds_read_b128 v[29:32], v29 offset:9984
	s_waitcnt lgkmcnt(0)
	v_mul_f64 v[33:34], v[27:28], v[31:32]
	v_mul_f64 v[31:32], v[25:26], v[31:32]
	v_fma_f64 v[25:26], v[25:26], v[29:30], -v[33:34]
	v_fma_f64 v[27:28], v[27:28], v[29:30], v[31:32]
	v_add_f64 v[11:12], v[11:12], -v[25:26]
	v_add_f64 v[13:14], v[13:14], -v[27:28]
.LBB173_200:
	s_or_b64 exec, exec, s[12:13]
	s_barrier
	s_and_saveexec_b64 s[12:13], s[50:51]
	s_cbranch_execz .LBB173_202
; %bb.201:
	v_mov_b32_e32 v25, 0
	ds_read_b128 v[25:28], v25 offset:9504
	s_waitcnt lgkmcnt(0)
	v_mul_f64 v[29:30], v[13:14], v[27:28]
	v_mul_f64 v[27:28], v[11:12], v[27:28]
	v_fma_f64 v[11:12], v[11:12], v[25:26], -v[29:30]
	v_fma_f64 v[13:14], v[13:14], v[25:26], v[27:28]
	v_xor_b32_e32 v26, 0x80000000, v12
	v_xor_b32_e32 v28, 0x80000000, v14
	v_mov_b32_e32 v25, v11
	v_mov_b32_e32 v27, v13
	ds_write_b128 v21, v[25:28]
.LBB173_202:
	s_or_b64 exec, exec, s[12:13]
	s_waitcnt lgkmcnt(0)
	s_barrier
	s_and_saveexec_b64 s[12:13], s[52:53]
	s_cbranch_execz .LBB173_204
; %bb.203:
	v_lshlrev_b32_e32 v29, 4, v19
	ds_read_b128 v[25:28], v21
	ds_read_b128 v[29:32], v29 offset:9472
	s_waitcnt lgkmcnt(0)
	v_mul_f64 v[33:34], v[27:28], v[31:32]
	v_mul_f64 v[31:32], v[25:26], v[31:32]
	v_fma_f64 v[25:26], v[25:26], v[29:30], -v[33:34]
	v_fma_f64 v[27:28], v[27:28], v[29:30], v[31:32]
	v_add_f64 v[11:12], v[11:12], -v[25:26]
	v_add_f64 v[13:14], v[13:14], -v[27:28]
.LBB173_204:
	s_or_b64 exec, exec, s[12:13]
	s_barrier
	s_and_saveexec_b64 s[12:13], s[54:55]
	s_cbranch_execz .LBB173_206
; %bb.205:
	v_mov_b32_e32 v25, 0
	ds_read_b128 v[25:28], v25 offset:8976
	s_waitcnt lgkmcnt(0)
	v_mul_f64 v[29:30], v[13:14], v[27:28]
	v_mul_f64 v[27:28], v[11:12], v[27:28]
	v_fma_f64 v[11:12], v[11:12], v[25:26], -v[29:30]
	v_fma_f64 v[13:14], v[13:14], v[25:26], v[27:28]
	v_xor_b32_e32 v26, 0x80000000, v12
	v_xor_b32_e32 v28, 0x80000000, v14
	v_mov_b32_e32 v25, v11
	v_mov_b32_e32 v27, v13
	ds_write_b128 v21, v[25:28]
.LBB173_206:
	s_or_b64 exec, exec, s[12:13]
	s_waitcnt lgkmcnt(0)
	s_barrier
	s_and_saveexec_b64 s[12:13], s[44:45]
	s_cbranch_execz .LBB173_208
; %bb.207:
	v_mov_b32_e32 v29, 0
	ds_read_b128 v[25:28], v21
	ds_read_b128 v[29:32], v29 offset:8960
	s_waitcnt lgkmcnt(0)
	v_mul_f64 v[33:34], v[27:28], v[31:32]
	v_mul_f64 v[31:32], v[25:26], v[31:32]
	v_fma_f64 v[25:26], v[25:26], v[29:30], -v[33:34]
	v_fma_f64 v[27:28], v[27:28], v[29:30], v[31:32]
	v_add_f64 v[11:12], v[11:12], -v[25:26]
	v_add_f64 v[13:14], v[13:14], -v[27:28]
.LBB173_208:
	s_or_b64 exec, exec, s[12:13]
	s_barrier
	s_and_saveexec_b64 s[12:13], s[44:45]
	s_cbranch_execz .LBB173_210
; %bb.209:
	v_mov_b32_e32 v25, 0
	ds_read_b128 v[25:28], v25 offset:8448
	s_waitcnt lgkmcnt(0)
	v_mul_f64 v[29:30], v[13:14], v[27:28]
	v_mul_f64 v[27:28], v[11:12], v[27:28]
	v_fma_f64 v[11:12], v[11:12], v[25:26], -v[29:30]
	v_fma_f64 v[13:14], v[13:14], v[25:26], v[27:28]
	v_xor_b32_e32 v26, 0x80000000, v12
	v_xor_b32_e32 v28, 0x80000000, v14
	v_mov_b32_e32 v25, v11
	v_mov_b32_e32 v27, v13
	ds_write_b128 v21, v[25:28]
.LBB173_210:
	s_or_b64 exec, exec, s[12:13]
	s_waitcnt lgkmcnt(0)
	s_barrier
	s_barrier
	s_and_saveexec_b64 s[12:13], s[16:17]
; %bb.211:
	v_lshlrev_b32_e32 v25, 4, v19
	v_lshl_or_b32 v25, v20, 9, v25
	ds_write_b128 v25, v[11:14] offset:10496
; %bb.212:
	s_or_b64 exec, exec, s[12:13]
	s_waitcnt lgkmcnt(0)
	s_barrier
	s_barrier
	s_and_saveexec_b64 s[12:13], s[56:57]
	s_cbranch_execz .LBB173_214
; %bb.213:
	v_lshlrev_b32_e32 v25, 4, v0
	s_movk_i32 s14, 0x1f0
	v_mad_u32_u24 v26, v0, s14, v25
	ds_read_b128 v[11:14], v26 offset:10496
	s_waitcnt lgkmcnt(0)
	ds_write_b128 v25, v[11:14] offset:8512
	ds_read_b128 v[11:14], v26 offset:10512
	s_waitcnt lgkmcnt(0)
	ds_write_b128 v25, v[11:14] offset:9024
	;; [unrolled: 3-line block ×4, first 2 shown]
.LBB173_214:
	s_or_b64 exec, exec, s[12:13]
	s_waitcnt lgkmcnt(0)
	s_barrier
	s_and_saveexec_b64 s[12:13], vcc
	s_cbranch_execz .LBB173_216
; %bb.215:
	v_mov_b32_e32 v35, 0
	ds_read_b128 v[11:14], v35 offset:10032
	ds_read_b128 v[25:28], v35 offset:9504
	;; [unrolled: 1-line block ×3, first 2 shown]
	s_waitcnt lgkmcnt(1)
	v_mul_f64 v[33:34], v[11:12], v[27:28]
	v_mul_f64 v[27:28], v[13:14], v[27:28]
	v_fma_f64 v[13:14], v[13:14], v[25:26], v[33:34]
	v_fma_f64 v[11:12], v[11:12], v[25:26], -v[27:28]
	s_waitcnt lgkmcnt(0)
	v_mul_f64 v[25:26], v[13:14], v[31:32]
	v_mul_f64 v[27:28], v[11:12], v[31:32]
	v_fma_f64 v[11:12], v[29:30], v[11:12], -v[25:26]
	v_fma_f64 v[13:14], v[29:30], v[13:14], v[27:28]
	ds_write_b128 v35, v[11:14] offset:10016
	ds_write_b128 v35, v[11:14] offset:9520
.LBB173_216:
	s_or_b64 exec, exec, s[12:13]
	v_mov_b32_e32 v11, 0
	v_mov_b32_e32 v13, 0
	;; [unrolled: 1-line block ×4, first 2 shown]
	s_waitcnt lgkmcnt(0)
	s_barrier
	buffer_wbinvl1_vol
	s_and_saveexec_b64 s[14:15], s[2:3]
	s_cbranch_execz .LBB173_220
; %bb.217:
	v_lshlrev_b32_e32 v25, 4, v15
	v_lshlrev_b32_e32 v11, 9, v16
	ds_read_b128 v[11:14], v11 offset:9504
	ds_read_b128 v[25:28], v25 offset:9472
	v_cmp_gt_u32_e64 s[12:13], 2, v18
	s_waitcnt lgkmcnt(0)
	v_mul_f64 v[29:30], v[13:14], v[27:28]
	v_mul_f64 v[27:28], v[11:12], v[27:28]
	v_fma_f64 v[11:12], v[11:12], v[25:26], -v[29:30]
	v_fma_f64 v[13:14], v[13:14], v[25:26], v[27:28]
	v_add_f64 v[11:12], v[11:12], 0
	v_add_f64 v[13:14], v[13:14], 0
	s_and_saveexec_b64 s[18:19], s[12:13]
	s_cbranch_execz .LBB173_219
; %bb.218:
	v_lshlrev_b32_e32 v29, 4, v0
	v_mov_b32_e32 v25, 0
	ds_read_b128 v[25:28], v25 offset:10032
	ds_read_b128 v[29:32], v29 offset:9984
	s_waitcnt lgkmcnt(0)
	v_mul_f64 v[33:34], v[27:28], v[31:32]
	v_mul_f64 v[31:32], v[25:26], v[31:32]
	v_fma_f64 v[25:26], v[25:26], v[29:30], -v[33:34]
	v_fma_f64 v[27:28], v[27:28], v[29:30], v[31:32]
	v_add_f64 v[11:12], v[11:12], v[25:26]
	v_add_f64 v[13:14], v[13:14], v[27:28]
.LBB173_219:
	s_or_b64 exec, exec, s[18:19]
.LBB173_220:
	s_or_b64 exec, exec, s[14:15]
	s_and_saveexec_b64 s[12:13], s[40:41]
	s_cbranch_execz .LBB173_222
; %bb.221:
	v_mov_b32_e32 v25, 0
	ds_read_b128 v[25:28], v25 offset:8976
	s_waitcnt lgkmcnt(0)
	v_mul_f64 v[29:30], v[13:14], v[27:28]
	v_mul_f64 v[27:28], v[11:12], v[27:28]
	v_fma_f64 v[11:12], v[11:12], v[25:26], -v[29:30]
	v_fma_f64 v[13:14], v[13:14], v[25:26], v[27:28]
	v_xor_b32_e32 v26, 0x80000000, v12
	v_xor_b32_e32 v28, 0x80000000, v14
	v_mov_b32_e32 v25, v11
	v_mov_b32_e32 v27, v13
	ds_write_b128 v17, v[25:28]
.LBB173_222:
	s_or_b64 exec, exec, s[12:13]
	s_waitcnt lgkmcnt(0)
	s_barrier
	s_and_saveexec_b64 s[12:13], s[38:39]
	s_cbranch_execz .LBB173_224
; %bb.223:
	v_mov_b32_e32 v29, 0
	ds_read_b128 v[25:28], v17
	ds_read_b128 v[29:32], v29 offset:8960
	s_waitcnt lgkmcnt(0)
	v_mul_f64 v[33:34], v[27:28], v[31:32]
	v_mul_f64 v[31:32], v[25:26], v[31:32]
	v_fma_f64 v[25:26], v[25:26], v[29:30], -v[33:34]
	v_fma_f64 v[27:28], v[27:28], v[29:30], v[31:32]
	v_add_f64 v[11:12], v[11:12], -v[25:26]
	v_add_f64 v[13:14], v[13:14], -v[27:28]
.LBB173_224:
	s_or_b64 exec, exec, s[12:13]
	s_barrier
	s_and_saveexec_b64 s[12:13], s[38:39]
	s_cbranch_execz .LBB173_226
; %bb.225:
	v_mov_b32_e32 v25, 0
	ds_read_b128 v[25:28], v25 offset:8448
	s_waitcnt lgkmcnt(0)
	v_mul_f64 v[29:30], v[13:14], v[27:28]
	v_mul_f64 v[27:28], v[11:12], v[27:28]
	v_fma_f64 v[11:12], v[11:12], v[25:26], -v[29:30]
	v_fma_f64 v[13:14], v[13:14], v[25:26], v[27:28]
	v_xor_b32_e32 v26, 0x80000000, v12
	v_xor_b32_e32 v28, 0x80000000, v14
	v_mov_b32_e32 v25, v11
	v_mov_b32_e32 v27, v13
	ds_write_b128 v17, v[25:28]
.LBB173_226:
	s_or_b64 exec, exec, s[12:13]
	s_waitcnt lgkmcnt(0)
	s_barrier
	s_barrier
	s_and_saveexec_b64 s[12:13], s[2:3]
; %bb.227:
	v_lshlrev_b32_e32 v25, 4, v15
	v_lshl_or_b32 v25, v16, 9, v25
	ds_write_b128 v25, v[11:14] offset:9472
; %bb.228:
	s_or_b64 exec, exec, s[12:13]
	s_waitcnt lgkmcnt(0)
	s_barrier
	s_barrier
	s_and_saveexec_b64 s[12:13], s[42:43]
	s_cbranch_execz .LBB173_230
; %bb.229:
	v_lshlrev_b32_e32 v25, 9, v0
	ds_read_b128 v[11:14], v25 offset:9472
	s_movk_i32 s14, 0xfe10
	v_mad_i32_i24 v26, v0, s14, v25
	s_waitcnt lgkmcnt(0)
	ds_write_b128 v26, v[11:14] offset:8480
	ds_read_b128 v[11:14], v25 offset:9488
	s_waitcnt lgkmcnt(0)
	ds_write_b128 v26, v[11:14] offset:8992
.LBB173_230:
	s_or_b64 exec, exec, s[12:13]
	s_waitcnt lgkmcnt(0)
	s_barrier
	s_and_saveexec_b64 s[12:13], vcc
	s_cbranch_execz .LBB173_232
; %bb.231:
	v_mov_b32_e32 v35, 0
	ds_read_b128 v[11:14], v35 offset:8976
	ds_read_b128 v[25:28], v35 offset:8448
	;; [unrolled: 1-line block ×3, first 2 shown]
	s_waitcnt lgkmcnt(1)
	v_mul_f64 v[33:34], v[11:12], v[27:28]
	v_mul_f64 v[27:28], v[13:14], v[27:28]
	v_fma_f64 v[13:14], v[13:14], v[25:26], v[33:34]
	v_fma_f64 v[11:12], v[11:12], v[25:26], -v[27:28]
	s_waitcnt lgkmcnt(0)
	v_mul_f64 v[25:26], v[13:14], v[31:32]
	v_mul_f64 v[27:28], v[11:12], v[31:32]
	v_fma_f64 v[11:12], v[29:30], v[11:12], -v[25:26]
	v_fma_f64 v[13:14], v[29:30], v[13:14], v[27:28]
	ds_write_b128 v35, v[11:14] offset:8960
	ds_write_b128 v35, v[11:14] offset:8464
.LBB173_232:
	s_or_b64 exec, exec, s[12:13]
	s_movk_i32 s12, 0xff
	v_lshrrev_b32_e32 v27, 4, v18
	v_cmp_lt_u32_e64 s[14:15], s12, v18
	s_movk_i32 s12, 0x100
	v_mov_b32_e32 v13, 0
	v_mov_b32_e32 v11, 0
	v_and_b32_e32 v25, 15, v0
	v_sub_u32_e32 v26, 15, v27
	v_mov_b32_e32 v14, 0
	v_mov_b32_e32 v12, 0
	v_cmp_gt_u32_e64 s[12:13], s12, v18
	s_waitcnt lgkmcnt(0)
	s_barrier
	buffer_wbinvl1_vol
	s_and_saveexec_b64 s[88:89], s[12:13]
	s_cbranch_execz .LBB173_260
; %bb.233:
	v_lshlrev_b32_e32 v29, 9, v26
	v_lshlrev_b32_e32 v28, 4, v25
	ds_read_b128 v[11:14], v29 offset:8448
	ds_read_b128 v[30:33], v28 offset:8192
	s_movk_i32 s18, 0xf0
	v_cmp_gt_u32_e64 s[18:19], s18, v18
	s_waitcnt lgkmcnt(0)
	v_mul_f64 v[34:35], v[13:14], v[32:33]
	v_mul_f64 v[32:33], v[11:12], v[32:33]
	v_fma_f64 v[11:12], v[11:12], v[30:31], -v[34:35]
	v_fma_f64 v[13:14], v[13:14], v[30:31], v[32:33]
	v_add_f64 v[11:12], v[11:12], 0
	v_add_f64 v[13:14], v[13:14], 0
	s_and_saveexec_b64 s[90:91], s[18:19]
	s_cbranch_execz .LBB173_235
; %bb.234:
	ds_read_b128 v[30:33], v29 offset:8464
	ds_read_b128 v[34:37], v28 offset:8704
	s_waitcnt lgkmcnt(0)
	v_mul_f64 v[38:39], v[32:33], v[36:37]
	v_mul_f64 v[36:37], v[30:31], v[36:37]
	v_fma_f64 v[30:31], v[30:31], v[34:35], -v[38:39]
	v_fma_f64 v[32:33], v[32:33], v[34:35], v[36:37]
	v_add_f64 v[11:12], v[11:12], v[30:31]
	v_add_f64 v[13:14], v[13:14], v[32:33]
.LBB173_235:
	s_or_b64 exec, exec, s[90:91]
	s_movk_i32 s18, 0xe0
	v_cmp_gt_u32_e64 s[18:19], s18, v18
	s_and_saveexec_b64 s[90:91], s[18:19]
	s_cbranch_execz .LBB173_237
; %bb.236:
	ds_read_b128 v[30:33], v29 offset:8480
	ds_read_b128 v[34:37], v28 offset:9216
	s_waitcnt lgkmcnt(0)
	v_mul_f64 v[38:39], v[32:33], v[36:37]
	v_mul_f64 v[36:37], v[30:31], v[36:37]
	v_fma_f64 v[30:31], v[30:31], v[34:35], -v[38:39]
	v_fma_f64 v[32:33], v[32:33], v[34:35], v[36:37]
	v_add_f64 v[11:12], v[11:12], v[30:31]
	v_add_f64 v[13:14], v[13:14], v[32:33]
.LBB173_237:
	s_or_b64 exec, exec, s[90:91]
	s_movk_i32 s18, 0xd0
	v_cmp_gt_u32_e64 s[18:19], s18, v18
	;; [unrolled: 16-line block ×10, first 2 shown]
	s_and_saveexec_b64 s[90:91], s[18:19]
	s_cbranch_execnz .LBB173_561
; %bb.254:
	s_or_b64 exec, exec, s[90:91]
	s_and_saveexec_b64 s[18:19], s[8:9]
	s_cbranch_execnz .LBB173_562
.LBB173_255:
	s_or_b64 exec, exec, s[18:19]
	v_cmp_gt_u32_e64 s[18:19], 48, v18
	s_and_saveexec_b64 s[90:91], s[18:19]
	s_cbranch_execnz .LBB173_563
.LBB173_256:
	s_or_b64 exec, exec, s[90:91]
	v_cmp_gt_u32_e64 s[18:19], 32, v18
	s_and_saveexec_b64 s[90:91], s[18:19]
	s_cbranch_execnz .LBB173_564
.LBB173_257:
	s_or_b64 exec, exec, s[90:91]
	v_cmp_gt_u32_e64 s[18:19], 16, v18
	s_and_saveexec_b64 s[90:91], s[18:19]
	s_cbranch_execz .LBB173_259
.LBB173_258:
	v_lshlrev_b32_e32 v32, 4, v0
	v_mov_b32_e32 v28, 0
	ds_read_b128 v[28:31], v28 offset:16368
	ds_read_b128 v[32:35], v32 offset:15872
	s_waitcnt lgkmcnt(0)
	v_mul_f64 v[36:37], v[30:31], v[34:35]
	v_mul_f64 v[34:35], v[28:29], v[34:35]
	v_fma_f64 v[28:29], v[28:29], v[32:33], -v[36:37]
	v_fma_f64 v[30:31], v[30:31], v[32:33], v[34:35]
	v_add_f64 v[11:12], v[11:12], v[28:29]
	v_add_f64 v[13:14], v[13:14], v[30:31]
.LBB173_259:
	s_or_b64 exec, exec, s[90:91]
.LBB173_260:
	s_or_b64 exec, exec, s[88:89]
	v_mov_b32_e32 v28, 0x4000
	v_cmp_eq_u32_e64 s[18:19], 15, v25
	s_xor_b64 s[88:89], s[14:15], -1
	v_lshl_add_u32 v27, v27, 4, v28
	s_and_b64 s[18:19], s[18:19], s[88:89]
	s_and_saveexec_b64 s[14:15], s[18:19]
	s_cbranch_execz .LBB173_262
; %bb.261:
	v_mov_b32_e32 v28, 0
	ds_read_b128 v[28:31], v28 offset:7920
	s_waitcnt lgkmcnt(0)
	v_mul_f64 v[32:33], v[13:14], v[30:31]
	v_mul_f64 v[30:31], v[11:12], v[30:31]
	v_fma_f64 v[11:12], v[11:12], v[28:29], -v[32:33]
	v_fma_f64 v[13:14], v[13:14], v[28:29], v[30:31]
	v_xor_b32_e32 v29, 0x80000000, v12
	v_xor_b32_e32 v31, 0x80000000, v14
	v_mov_b32_e32 v28, v11
	v_mov_b32_e32 v30, v13
	ds_write_b128 v27, v[28:31]
.LBB173_262:
	s_or_b64 exec, exec, s[14:15]
	v_cmp_ne_u32_e64 s[14:15], 15, v25
	s_and_b64 s[18:19], s[14:15], s[88:89]
	s_waitcnt lgkmcnt(0)
	s_barrier
	s_and_saveexec_b64 s[14:15], s[18:19]
	s_cbranch_execz .LBB173_264
; %bb.263:
	v_lshlrev_b32_e32 v32, 4, v25
	ds_read_b128 v[28:31], v27
	ds_read_b128 v[32:35], v32 offset:7680
	s_waitcnt lgkmcnt(0)
	v_mul_f64 v[36:37], v[30:31], v[34:35]
	v_mul_f64 v[34:35], v[28:29], v[34:35]
	v_fma_f64 v[28:29], v[28:29], v[32:33], -v[36:37]
	v_fma_f64 v[30:31], v[30:31], v[32:33], v[34:35]
	v_add_f64 v[11:12], v[11:12], -v[28:29]
	v_add_f64 v[13:14], v[13:14], -v[30:31]
.LBB173_264:
	s_or_b64 exec, exec, s[14:15]
	v_cmp_eq_u32_e64 s[14:15], 14, v25
	s_and_b64 s[18:19], s[14:15], s[88:89]
	s_barrier
	s_and_saveexec_b64 s[14:15], s[18:19]
	s_cbranch_execz .LBB173_266
; %bb.265:
	v_mov_b32_e32 v28, 0
	ds_read_b128 v[28:31], v28 offset:7392
	s_waitcnt lgkmcnt(0)
	v_mul_f64 v[32:33], v[13:14], v[30:31]
	v_mul_f64 v[30:31], v[11:12], v[30:31]
	v_fma_f64 v[11:12], v[11:12], v[28:29], -v[32:33]
	v_fma_f64 v[13:14], v[13:14], v[28:29], v[30:31]
	v_xor_b32_e32 v29, 0x80000000, v12
	v_xor_b32_e32 v31, 0x80000000, v14
	v_mov_b32_e32 v28, v11
	v_mov_b32_e32 v30, v13
	ds_write_b128 v27, v[28:31]
.LBB173_266:
	s_or_b64 exec, exec, s[14:15]
	v_cmp_gt_u32_e64 s[14:15], 14, v25
	s_and_b64 s[18:19], s[14:15], s[88:89]
	s_waitcnt lgkmcnt(0)
	s_barrier
	s_and_saveexec_b64 s[14:15], s[18:19]
	s_cbranch_execz .LBB173_268
; %bb.267:
	v_lshlrev_b32_e32 v32, 4, v25
	ds_read_b128 v[28:31], v27
	ds_read_b128 v[32:35], v32 offset:7168
	s_waitcnt lgkmcnt(0)
	v_mul_f64 v[36:37], v[30:31], v[34:35]
	v_mul_f64 v[34:35], v[28:29], v[34:35]
	v_fma_f64 v[28:29], v[28:29], v[32:33], -v[36:37]
	v_fma_f64 v[30:31], v[30:31], v[32:33], v[34:35]
	v_add_f64 v[11:12], v[11:12], -v[28:29]
	v_add_f64 v[13:14], v[13:14], -v[30:31]
.LBB173_268:
	s_or_b64 exec, exec, s[14:15]
	v_cmp_eq_u32_e64 s[14:15], 13, v25
	s_and_b64 s[18:19], s[14:15], s[88:89]
	s_barrier
	s_and_saveexec_b64 s[14:15], s[18:19]
	s_cbranch_execz .LBB173_270
; %bb.269:
	v_mov_b32_e32 v28, 0
	ds_read_b128 v[28:31], v28 offset:6864
	s_waitcnt lgkmcnt(0)
	v_mul_f64 v[32:33], v[13:14], v[30:31]
	v_mul_f64 v[30:31], v[11:12], v[30:31]
	v_fma_f64 v[11:12], v[11:12], v[28:29], -v[32:33]
	v_fma_f64 v[13:14], v[13:14], v[28:29], v[30:31]
	v_xor_b32_e32 v29, 0x80000000, v12
	v_xor_b32_e32 v31, 0x80000000, v14
	v_mov_b32_e32 v28, v11
	v_mov_b32_e32 v30, v13
	ds_write_b128 v27, v[28:31]
.LBB173_270:
	s_or_b64 exec, exec, s[14:15]
	v_cmp_gt_u32_e64 s[14:15], 13, v25
	;; [unrolled: 39-line block ×13, first 2 shown]
	s_and_b64 s[18:19], s[14:15], s[88:89]
	s_waitcnt lgkmcnt(0)
	s_barrier
	s_and_saveexec_b64 s[14:15], s[18:19]
	s_cbranch_execz .LBB173_316
; %bb.315:
	v_lshlrev_b32_e32 v32, 4, v25
	ds_read_b128 v[28:31], v27
	ds_read_b128 v[32:35], v32 offset:1024
	s_waitcnt lgkmcnt(0)
	v_mul_f64 v[36:37], v[30:31], v[34:35]
	v_mul_f64 v[34:35], v[28:29], v[34:35]
	v_fma_f64 v[28:29], v[28:29], v[32:33], -v[36:37]
	v_fma_f64 v[30:31], v[30:31], v[32:33], v[34:35]
	v_add_f64 v[11:12], v[11:12], -v[28:29]
	v_add_f64 v[13:14], v[13:14], -v[30:31]
.LBB173_316:
	s_or_b64 exec, exec, s[14:15]
	v_cmp_eq_u32_e64 s[14:15], 1, v25
	s_and_b64 s[18:19], s[14:15], s[88:89]
	s_barrier
	s_and_saveexec_b64 s[14:15], s[18:19]
	s_cbranch_execz .LBB173_318
; %bb.317:
	v_mov_b32_e32 v28, 0
	ds_read_b128 v[28:31], v28 offset:528
	s_waitcnt lgkmcnt(0)
	v_mul_f64 v[32:33], v[13:14], v[30:31]
	v_mul_f64 v[30:31], v[11:12], v[30:31]
	v_fma_f64 v[11:12], v[11:12], v[28:29], -v[32:33]
	v_fma_f64 v[13:14], v[13:14], v[28:29], v[30:31]
	v_xor_b32_e32 v29, 0x80000000, v12
	v_xor_b32_e32 v31, 0x80000000, v14
	v_mov_b32_e32 v28, v11
	v_mov_b32_e32 v30, v13
	ds_write_b128 v27, v[28:31]
.LBB173_318:
	s_or_b64 exec, exec, s[14:15]
	v_cmp_eq_u32_e64 s[14:15], 0, v25
	s_and_b64 s[14:15], s[14:15], s[88:89]
	s_waitcnt lgkmcnt(0)
	s_barrier
	s_and_saveexec_b64 s[18:19], s[14:15]
	s_cbranch_execz .LBB173_320
; %bb.319:
	v_mov_b32_e32 v32, 0
	ds_read_b128 v[28:31], v27
	ds_read_b128 v[32:35], v32 offset:512
	s_waitcnt lgkmcnt(0)
	v_mul_f64 v[36:37], v[30:31], v[34:35]
	v_mul_f64 v[34:35], v[28:29], v[34:35]
	v_fma_f64 v[28:29], v[28:29], v[32:33], -v[36:37]
	v_fma_f64 v[30:31], v[30:31], v[32:33], v[34:35]
	v_add_f64 v[11:12], v[11:12], -v[28:29]
	v_add_f64 v[13:14], v[13:14], -v[30:31]
.LBB173_320:
	s_or_b64 exec, exec, s[18:19]
	s_barrier
	s_and_saveexec_b64 s[18:19], s[14:15]
	s_cbranch_execz .LBB173_322
; %bb.321:
	v_mov_b32_e32 v28, 0
	ds_read_b128 v[28:31], v28
	s_waitcnt lgkmcnt(0)
	v_mul_f64 v[32:33], v[13:14], v[30:31]
	v_mul_f64 v[30:31], v[11:12], v[30:31]
	v_fma_f64 v[11:12], v[11:12], v[28:29], -v[32:33]
	v_fma_f64 v[13:14], v[13:14], v[28:29], v[30:31]
	v_xor_b32_e32 v29, 0x80000000, v12
	v_xor_b32_e32 v31, 0x80000000, v14
	v_mov_b32_e32 v28, v11
	v_mov_b32_e32 v30, v13
	ds_write_b128 v27, v[28:31]
.LBB173_322:
	s_or_b64 exec, exec, s[18:19]
	s_waitcnt lgkmcnt(0)
	s_barrier
	s_barrier
	s_and_saveexec_b64 s[14:15], s[12:13]
; %bb.323:
	v_lshlrev_b32_e32 v25, 4, v25
	v_lshl_or_b32 v25, v26, 9, v25
	ds_write_b128 v25, v[11:14] offset:8192
; %bb.324:
	s_or_b64 exec, exec, s[14:15]
	v_cmp_gt_u32_e64 s[12:13], 16, v0
	s_and_b64 s[12:13], s[10:11], s[12:13]
	s_waitcnt lgkmcnt(0)
	s_barrier
	s_barrier
	s_and_saveexec_b64 s[10:11], s[12:13]
	s_cbranch_execz .LBB173_326
; %bb.325:
	v_lshlrev_b32_e32 v25, 9, v0
	ds_read_b128 v[11:14], v25 offset:8192
	s_movk_i32 s12, 0xfe10
	v_mad_i32_i24 v26, v0, s12, v25
	s_waitcnt lgkmcnt(0)
	ds_write_b128 v26, v[11:14] offset:256
	ds_read_b128 v[11:14], v25 offset:8208
	s_waitcnt lgkmcnt(0)
	ds_write_b128 v26, v[11:14] offset:768
	ds_read_b128 v[11:14], v25 offset:8224
	;; [unrolled: 3-line block ×15, first 2 shown]
	s_waitcnt lgkmcnt(0)
	ds_write_b128 v26, v[11:14] offset:7936
.LBB173_326:
	s_or_b64 exec, exec, s[10:11]
	s_waitcnt lgkmcnt(0)
	s_barrier
	s_and_saveexec_b64 s[10:11], vcc
	s_cbranch_execz .LBB173_328
; %bb.327:
	v_mov_b32_e32 v35, 0
	ds_read_b128 v[11:14], v35 offset:7920
	ds_read_b128 v[25:28], v35 offset:7392
	;; [unrolled: 1-line block ×3, first 2 shown]
	s_waitcnt lgkmcnt(1)
	v_mul_f64 v[33:34], v[11:12], v[27:28]
	v_mul_f64 v[27:28], v[13:14], v[27:28]
	v_fma_f64 v[13:14], v[13:14], v[25:26], v[33:34]
	v_fma_f64 v[11:12], v[11:12], v[25:26], -v[27:28]
	s_waitcnt lgkmcnt(0)
	v_mul_f64 v[25:26], v[13:14], v[31:32]
	v_mul_f64 v[27:28], v[11:12], v[31:32]
	v_fma_f64 v[11:12], v[29:30], v[11:12], -v[25:26]
	v_fma_f64 v[13:14], v[29:30], v[13:14], v[27:28]
	ds_write_b128 v35, v[11:14] offset:7904
	ds_write_b128 v35, v[11:14] offset:7408
.LBB173_328:
	s_or_b64 exec, exec, s[10:11]
	v_mov_b32_e32 v11, 0
	v_mov_b32_e32 v13, 0
	;; [unrolled: 1-line block ×4, first 2 shown]
	s_waitcnt lgkmcnt(0)
	s_barrier
	buffer_wbinvl1_vol
	s_and_saveexec_b64 s[12:13], s[2:3]
	s_cbranch_execz .LBB173_332
; %bb.329:
	v_lshlrev_b32_e32 v25, 4, v15
	v_lshlrev_b32_e32 v11, 9, v16
	ds_read_b128 v[11:14], v11 offset:7392
	ds_read_b128 v[25:28], v25 offset:7360
	v_cmp_gt_u32_e64 s[10:11], 2, v18
	s_waitcnt lgkmcnt(0)
	v_mul_f64 v[29:30], v[13:14], v[27:28]
	v_mul_f64 v[27:28], v[11:12], v[27:28]
	v_fma_f64 v[11:12], v[11:12], v[25:26], -v[29:30]
	v_fma_f64 v[13:14], v[13:14], v[25:26], v[27:28]
	v_add_f64 v[11:12], v[11:12], 0
	v_add_f64 v[13:14], v[13:14], 0
	s_and_saveexec_b64 s[14:15], s[10:11]
	s_cbranch_execz .LBB173_331
; %bb.330:
	v_lshlrev_b32_e32 v29, 4, v0
	v_mov_b32_e32 v25, 0
	ds_read_b128 v[25:28], v25 offset:7920
	ds_read_b128 v[29:32], v29 offset:7872
	s_waitcnt lgkmcnt(0)
	v_mul_f64 v[33:34], v[27:28], v[31:32]
	v_mul_f64 v[31:32], v[25:26], v[31:32]
	v_fma_f64 v[25:26], v[25:26], v[29:30], -v[33:34]
	v_fma_f64 v[27:28], v[27:28], v[29:30], v[31:32]
	v_add_f64 v[11:12], v[11:12], v[25:26]
	v_add_f64 v[13:14], v[13:14], v[27:28]
.LBB173_331:
	s_or_b64 exec, exec, s[14:15]
.LBB173_332:
	s_or_b64 exec, exec, s[12:13]
	s_and_saveexec_b64 s[10:11], s[40:41]
	s_cbranch_execz .LBB173_334
; %bb.333:
	v_mov_b32_e32 v25, 0
	ds_read_b128 v[25:28], v25 offset:6864
	s_waitcnt lgkmcnt(0)
	v_mul_f64 v[29:30], v[13:14], v[27:28]
	v_mul_f64 v[27:28], v[11:12], v[27:28]
	v_fma_f64 v[11:12], v[11:12], v[25:26], -v[29:30]
	v_fma_f64 v[13:14], v[13:14], v[25:26], v[27:28]
	v_xor_b32_e32 v26, 0x80000000, v12
	v_xor_b32_e32 v28, 0x80000000, v14
	v_mov_b32_e32 v25, v11
	v_mov_b32_e32 v27, v13
	ds_write_b128 v17, v[25:28]
.LBB173_334:
	s_or_b64 exec, exec, s[10:11]
	s_waitcnt lgkmcnt(0)
	s_barrier
	s_and_saveexec_b64 s[10:11], s[38:39]
	s_cbranch_execz .LBB173_336
; %bb.335:
	v_mov_b32_e32 v29, 0
	ds_read_b128 v[25:28], v17
	ds_read_b128 v[29:32], v29 offset:6848
	s_waitcnt lgkmcnt(0)
	v_mul_f64 v[33:34], v[27:28], v[31:32]
	v_mul_f64 v[31:32], v[25:26], v[31:32]
	v_fma_f64 v[25:26], v[25:26], v[29:30], -v[33:34]
	v_fma_f64 v[27:28], v[27:28], v[29:30], v[31:32]
	v_add_f64 v[11:12], v[11:12], -v[25:26]
	v_add_f64 v[13:14], v[13:14], -v[27:28]
.LBB173_336:
	s_or_b64 exec, exec, s[10:11]
	s_barrier
	s_and_saveexec_b64 s[10:11], s[38:39]
	s_cbranch_execz .LBB173_338
; %bb.337:
	v_mov_b32_e32 v25, 0
	ds_read_b128 v[25:28], v25 offset:6336
	s_waitcnt lgkmcnt(0)
	v_mul_f64 v[29:30], v[13:14], v[27:28]
	v_mul_f64 v[27:28], v[11:12], v[27:28]
	v_fma_f64 v[11:12], v[11:12], v[25:26], -v[29:30]
	v_fma_f64 v[13:14], v[13:14], v[25:26], v[27:28]
	v_xor_b32_e32 v26, 0x80000000, v12
	v_xor_b32_e32 v28, 0x80000000, v14
	v_mov_b32_e32 v25, v11
	v_mov_b32_e32 v27, v13
	ds_write_b128 v17, v[25:28]
.LBB173_338:
	s_or_b64 exec, exec, s[10:11]
	s_waitcnt lgkmcnt(0)
	s_barrier
	s_barrier
	s_and_saveexec_b64 s[10:11], s[2:3]
; %bb.339:
	v_lshlrev_b32_e32 v25, 4, v15
	v_lshl_or_b32 v25, v16, 9, v25
	ds_write_b128 v25, v[11:14] offset:7360
; %bb.340:
	s_or_b64 exec, exec, s[10:11]
	s_waitcnt lgkmcnt(0)
	s_barrier
	s_barrier
	s_and_saveexec_b64 s[10:11], s[42:43]
	s_cbranch_execz .LBB173_342
; %bb.341:
	v_lshlrev_b32_e32 v25, 9, v0
	ds_read_b128 v[11:14], v25 offset:7360
	s_movk_i32 s12, 0xfe10
	v_mad_i32_i24 v26, v0, s12, v25
	s_waitcnt lgkmcnt(0)
	ds_write_b128 v26, v[11:14] offset:6368
	ds_read_b128 v[11:14], v25 offset:7376
	s_waitcnt lgkmcnt(0)
	ds_write_b128 v26, v[11:14] offset:6880
.LBB173_342:
	s_or_b64 exec, exec, s[10:11]
	s_waitcnt lgkmcnt(0)
	s_barrier
	s_and_saveexec_b64 s[10:11], vcc
	s_cbranch_execz .LBB173_344
; %bb.343:
	v_mov_b32_e32 v35, 0
	ds_read_b128 v[11:14], v35 offset:6864
	ds_read_b128 v[25:28], v35 offset:6336
	;; [unrolled: 1-line block ×3, first 2 shown]
	s_waitcnt lgkmcnt(1)
	v_mul_f64 v[33:34], v[11:12], v[27:28]
	v_mul_f64 v[27:28], v[13:14], v[27:28]
	v_fma_f64 v[13:14], v[13:14], v[25:26], v[33:34]
	v_fma_f64 v[11:12], v[11:12], v[25:26], -v[27:28]
	s_waitcnt lgkmcnt(0)
	v_mul_f64 v[25:26], v[13:14], v[31:32]
	v_mul_f64 v[27:28], v[11:12], v[31:32]
	v_fma_f64 v[11:12], v[29:30], v[11:12], -v[25:26]
	v_fma_f64 v[13:14], v[29:30], v[13:14], v[27:28]
	ds_write_b128 v35, v[11:14] offset:6848
	ds_write_b128 v35, v[11:14] offset:6352
.LBB173_344:
	s_or_b64 exec, exec, s[10:11]
	v_mov_b32_e32 v13, 0
	v_mov_b32_e32 v11, 0
	v_mov_b32_e32 v14, 0
	v_mov_b32_e32 v12, 0
	s_waitcnt lgkmcnt(0)
	s_barrier
	buffer_wbinvl1_vol
	s_and_saveexec_b64 s[12:13], s[16:17]
	s_cbranch_execz .LBB173_350
; %bb.345:
	v_lshlrev_b32_e32 v26, 9, v20
	v_lshlrev_b32_e32 v25, 4, v19
	ds_read_b128 v[11:14], v26 offset:6336
	ds_read_b128 v[27:30], v25 offset:6272
	v_cmp_gt_u32_e64 s[10:11], 12, v18
	s_waitcnt lgkmcnt(0)
	v_mul_f64 v[31:32], v[13:14], v[29:30]
	v_mul_f64 v[29:30], v[11:12], v[29:30]
	v_fma_f64 v[11:12], v[11:12], v[27:28], -v[31:32]
	v_fma_f64 v[13:14], v[13:14], v[27:28], v[29:30]
	v_add_f64 v[11:12], v[11:12], 0
	v_add_f64 v[13:14], v[13:14], 0
	s_and_saveexec_b64 s[14:15], s[10:11]
	s_cbranch_execnz .LBB173_565
; %bb.346:
	s_or_b64 exec, exec, s[14:15]
	v_cmp_gt_u32_e64 s[10:11], 8, v18
	s_and_saveexec_b64 s[14:15], s[10:11]
	s_cbranch_execnz .LBB173_566
.LBB173_347:
	s_or_b64 exec, exec, s[14:15]
	v_cmp_gt_u32_e64 s[10:11], 4, v18
	s_and_saveexec_b64 s[14:15], s[10:11]
	s_cbranch_execz .LBB173_349
.LBB173_348:
	v_lshlrev_b32_e32 v29, 4, v0
	v_mov_b32_e32 v25, 0
	ds_read_b128 v[25:28], v25 offset:7920
	ds_read_b128 v[29:32], v29 offset:7808
	s_waitcnt lgkmcnt(0)
	v_mul_f64 v[33:34], v[27:28], v[31:32]
	v_mul_f64 v[31:32], v[25:26], v[31:32]
	v_fma_f64 v[25:26], v[25:26], v[29:30], -v[33:34]
	v_fma_f64 v[27:28], v[27:28], v[29:30], v[31:32]
	v_add_f64 v[11:12], v[11:12], v[25:26]
	v_add_f64 v[13:14], v[13:14], v[27:28]
.LBB173_349:
	s_or_b64 exec, exec, s[14:15]
.LBB173_350:
	s_or_b64 exec, exec, s[12:13]
	s_and_saveexec_b64 s[10:11], s[46:47]
	s_cbranch_execz .LBB173_352
; %bb.351:
	v_mov_b32_e32 v25, 0
	ds_read_b128 v[25:28], v25 offset:5808
	s_waitcnt lgkmcnt(0)
	v_mul_f64 v[29:30], v[13:14], v[27:28]
	v_mul_f64 v[27:28], v[11:12], v[27:28]
	v_fma_f64 v[11:12], v[11:12], v[25:26], -v[29:30]
	v_fma_f64 v[13:14], v[13:14], v[25:26], v[27:28]
	v_xor_b32_e32 v26, 0x80000000, v12
	v_xor_b32_e32 v28, 0x80000000, v14
	v_mov_b32_e32 v25, v11
	v_mov_b32_e32 v27, v13
	ds_write_b128 v21, v[25:28]
.LBB173_352:
	s_or_b64 exec, exec, s[10:11]
	s_waitcnt lgkmcnt(0)
	s_barrier
	s_and_saveexec_b64 s[10:11], s[48:49]
	s_cbranch_execz .LBB173_354
; %bb.353:
	v_lshlrev_b32_e32 v29, 4, v19
	ds_read_b128 v[25:28], v21
	ds_read_b128 v[29:32], v29 offset:5760
	s_waitcnt lgkmcnt(0)
	v_mul_f64 v[33:34], v[27:28], v[31:32]
	v_mul_f64 v[31:32], v[25:26], v[31:32]
	v_fma_f64 v[25:26], v[25:26], v[29:30], -v[33:34]
	v_fma_f64 v[27:28], v[27:28], v[29:30], v[31:32]
	v_add_f64 v[11:12], v[11:12], -v[25:26]
	v_add_f64 v[13:14], v[13:14], -v[27:28]
.LBB173_354:
	s_or_b64 exec, exec, s[10:11]
	s_barrier
	s_and_saveexec_b64 s[10:11], s[50:51]
	s_cbranch_execz .LBB173_356
; %bb.355:
	v_mov_b32_e32 v25, 0
	ds_read_b128 v[25:28], v25 offset:5280
	s_waitcnt lgkmcnt(0)
	v_mul_f64 v[29:30], v[13:14], v[27:28]
	v_mul_f64 v[27:28], v[11:12], v[27:28]
	v_fma_f64 v[11:12], v[11:12], v[25:26], -v[29:30]
	v_fma_f64 v[13:14], v[13:14], v[25:26], v[27:28]
	v_xor_b32_e32 v26, 0x80000000, v12
	v_xor_b32_e32 v28, 0x80000000, v14
	v_mov_b32_e32 v25, v11
	v_mov_b32_e32 v27, v13
	ds_write_b128 v21, v[25:28]
.LBB173_356:
	s_or_b64 exec, exec, s[10:11]
	s_waitcnt lgkmcnt(0)
	s_barrier
	s_and_saveexec_b64 s[10:11], s[52:53]
	s_cbranch_execz .LBB173_358
; %bb.357:
	v_lshlrev_b32_e32 v29, 4, v19
	ds_read_b128 v[25:28], v21
	ds_read_b128 v[29:32], v29 offset:5248
	s_waitcnt lgkmcnt(0)
	v_mul_f64 v[33:34], v[27:28], v[31:32]
	v_mul_f64 v[31:32], v[25:26], v[31:32]
	v_fma_f64 v[25:26], v[25:26], v[29:30], -v[33:34]
	v_fma_f64 v[27:28], v[27:28], v[29:30], v[31:32]
	v_add_f64 v[11:12], v[11:12], -v[25:26]
	v_add_f64 v[13:14], v[13:14], -v[27:28]
.LBB173_358:
	s_or_b64 exec, exec, s[10:11]
	s_barrier
	s_and_saveexec_b64 s[10:11], s[54:55]
	s_cbranch_execz .LBB173_360
; %bb.359:
	v_mov_b32_e32 v25, 0
	ds_read_b128 v[25:28], v25 offset:4752
	s_waitcnt lgkmcnt(0)
	v_mul_f64 v[29:30], v[13:14], v[27:28]
	v_mul_f64 v[27:28], v[11:12], v[27:28]
	v_fma_f64 v[11:12], v[11:12], v[25:26], -v[29:30]
	v_fma_f64 v[13:14], v[13:14], v[25:26], v[27:28]
	v_xor_b32_e32 v26, 0x80000000, v12
	v_xor_b32_e32 v28, 0x80000000, v14
	v_mov_b32_e32 v25, v11
	v_mov_b32_e32 v27, v13
	ds_write_b128 v21, v[25:28]
.LBB173_360:
	s_or_b64 exec, exec, s[10:11]
	s_waitcnt lgkmcnt(0)
	s_barrier
	s_and_saveexec_b64 s[10:11], s[44:45]
	s_cbranch_execz .LBB173_362
; %bb.361:
	v_mov_b32_e32 v29, 0
	ds_read_b128 v[25:28], v21
	ds_read_b128 v[29:32], v29 offset:4736
	s_waitcnt lgkmcnt(0)
	v_mul_f64 v[33:34], v[27:28], v[31:32]
	v_mul_f64 v[31:32], v[25:26], v[31:32]
	v_fma_f64 v[25:26], v[25:26], v[29:30], -v[33:34]
	v_fma_f64 v[27:28], v[27:28], v[29:30], v[31:32]
	v_add_f64 v[11:12], v[11:12], -v[25:26]
	v_add_f64 v[13:14], v[13:14], -v[27:28]
.LBB173_362:
	s_or_b64 exec, exec, s[10:11]
	s_barrier
	s_and_saveexec_b64 s[10:11], s[44:45]
	s_cbranch_execz .LBB173_364
; %bb.363:
	v_mov_b32_e32 v25, 0
	ds_read_b128 v[25:28], v25 offset:4224
	s_waitcnt lgkmcnt(0)
	v_mul_f64 v[29:30], v[13:14], v[27:28]
	v_mul_f64 v[27:28], v[11:12], v[27:28]
	v_fma_f64 v[11:12], v[11:12], v[25:26], -v[29:30]
	v_fma_f64 v[13:14], v[13:14], v[25:26], v[27:28]
	v_xor_b32_e32 v26, 0x80000000, v12
	v_xor_b32_e32 v28, 0x80000000, v14
	v_mov_b32_e32 v25, v11
	v_mov_b32_e32 v27, v13
	ds_write_b128 v21, v[25:28]
.LBB173_364:
	s_or_b64 exec, exec, s[10:11]
	s_waitcnt lgkmcnt(0)
	s_barrier
	s_barrier
	s_and_saveexec_b64 s[10:11], s[16:17]
; %bb.365:
	v_lshlrev_b32_e32 v25, 4, v19
	v_lshl_or_b32 v25, v20, 9, v25
	ds_write_b128 v25, v[11:14] offset:6272
; %bb.366:
	s_or_b64 exec, exec, s[10:11]
	s_waitcnt lgkmcnt(0)
	s_barrier
	s_barrier
	s_and_saveexec_b64 s[10:11], s[56:57]
	s_cbranch_execz .LBB173_368
; %bb.367:
	v_lshlrev_b32_e32 v25, 4, v0
	s_movk_i32 s12, 0x1f0
	v_mad_u32_u24 v26, v0, s12, v25
	ds_read_b128 v[11:14], v26 offset:6272
	s_waitcnt lgkmcnt(0)
	ds_write_b128 v25, v[11:14] offset:4288
	ds_read_b128 v[11:14], v26 offset:6288
	s_waitcnt lgkmcnt(0)
	ds_write_b128 v25, v[11:14] offset:4800
	;; [unrolled: 3-line block ×4, first 2 shown]
.LBB173_368:
	s_or_b64 exec, exec, s[10:11]
	s_waitcnt lgkmcnt(0)
	s_barrier
	s_and_saveexec_b64 s[10:11], vcc
	s_cbranch_execz .LBB173_370
; %bb.369:
	v_mov_b32_e32 v35, 0
	ds_read_b128 v[11:14], v35 offset:5808
	ds_read_b128 v[25:28], v35 offset:5280
	;; [unrolled: 1-line block ×3, first 2 shown]
	s_waitcnt lgkmcnt(1)
	v_mul_f64 v[33:34], v[11:12], v[27:28]
	v_mul_f64 v[27:28], v[13:14], v[27:28]
	v_fma_f64 v[13:14], v[13:14], v[25:26], v[33:34]
	v_fma_f64 v[11:12], v[11:12], v[25:26], -v[27:28]
	s_waitcnt lgkmcnt(0)
	v_mul_f64 v[25:26], v[13:14], v[31:32]
	v_mul_f64 v[27:28], v[11:12], v[31:32]
	v_fma_f64 v[11:12], v[29:30], v[11:12], -v[25:26]
	v_fma_f64 v[13:14], v[29:30], v[13:14], v[27:28]
	ds_write_b128 v35, v[11:14] offset:5792
	ds_write_b128 v35, v[11:14] offset:5296
.LBB173_370:
	s_or_b64 exec, exec, s[10:11]
	v_mov_b32_e32 v11, 0
	v_mov_b32_e32 v13, 0
	;; [unrolled: 1-line block ×4, first 2 shown]
	s_waitcnt lgkmcnt(0)
	s_barrier
	buffer_wbinvl1_vol
	s_and_saveexec_b64 s[12:13], s[2:3]
	s_cbranch_execz .LBB173_374
; %bb.371:
	v_lshlrev_b32_e32 v25, 4, v15
	v_lshlrev_b32_e32 v11, 9, v16
	ds_read_b128 v[11:14], v11 offset:5280
	ds_read_b128 v[25:28], v25 offset:5248
	v_cmp_gt_u32_e64 s[10:11], 2, v18
	s_waitcnt lgkmcnt(0)
	v_mul_f64 v[29:30], v[13:14], v[27:28]
	v_mul_f64 v[27:28], v[11:12], v[27:28]
	v_fma_f64 v[11:12], v[11:12], v[25:26], -v[29:30]
	v_fma_f64 v[13:14], v[13:14], v[25:26], v[27:28]
	v_add_f64 v[11:12], v[11:12], 0
	v_add_f64 v[13:14], v[13:14], 0
	s_and_saveexec_b64 s[14:15], s[10:11]
	s_cbranch_execz .LBB173_373
; %bb.372:
	v_lshlrev_b32_e32 v29, 4, v0
	v_mov_b32_e32 v25, 0
	ds_read_b128 v[25:28], v25 offset:5808
	ds_read_b128 v[29:32], v29 offset:5760
	s_waitcnt lgkmcnt(0)
	v_mul_f64 v[33:34], v[27:28], v[31:32]
	v_mul_f64 v[31:32], v[25:26], v[31:32]
	v_fma_f64 v[25:26], v[25:26], v[29:30], -v[33:34]
	v_fma_f64 v[27:28], v[27:28], v[29:30], v[31:32]
	v_add_f64 v[11:12], v[11:12], v[25:26]
	v_add_f64 v[13:14], v[13:14], v[27:28]
.LBB173_373:
	s_or_b64 exec, exec, s[14:15]
.LBB173_374:
	s_or_b64 exec, exec, s[12:13]
	s_and_saveexec_b64 s[10:11], s[40:41]
	s_cbranch_execz .LBB173_376
; %bb.375:
	v_mov_b32_e32 v25, 0
	ds_read_b128 v[25:28], v25 offset:4752
	s_waitcnt lgkmcnt(0)
	v_mul_f64 v[29:30], v[13:14], v[27:28]
	v_mul_f64 v[27:28], v[11:12], v[27:28]
	v_fma_f64 v[11:12], v[11:12], v[25:26], -v[29:30]
	v_fma_f64 v[13:14], v[13:14], v[25:26], v[27:28]
	v_xor_b32_e32 v26, 0x80000000, v12
	v_xor_b32_e32 v28, 0x80000000, v14
	v_mov_b32_e32 v25, v11
	v_mov_b32_e32 v27, v13
	ds_write_b128 v17, v[25:28]
.LBB173_376:
	s_or_b64 exec, exec, s[10:11]
	s_waitcnt lgkmcnt(0)
	s_barrier
	s_and_saveexec_b64 s[10:11], s[38:39]
	s_cbranch_execz .LBB173_378
; %bb.377:
	v_mov_b32_e32 v29, 0
	ds_read_b128 v[25:28], v17
	ds_read_b128 v[29:32], v29 offset:4736
	s_waitcnt lgkmcnt(0)
	v_mul_f64 v[33:34], v[27:28], v[31:32]
	v_mul_f64 v[31:32], v[25:26], v[31:32]
	v_fma_f64 v[25:26], v[25:26], v[29:30], -v[33:34]
	v_fma_f64 v[27:28], v[27:28], v[29:30], v[31:32]
	v_add_f64 v[11:12], v[11:12], -v[25:26]
	v_add_f64 v[13:14], v[13:14], -v[27:28]
.LBB173_378:
	s_or_b64 exec, exec, s[10:11]
	s_barrier
	s_and_saveexec_b64 s[10:11], s[38:39]
	s_cbranch_execz .LBB173_380
; %bb.379:
	v_mov_b32_e32 v25, 0
	ds_read_b128 v[25:28], v25 offset:4224
	s_waitcnt lgkmcnt(0)
	v_mul_f64 v[29:30], v[13:14], v[27:28]
	v_mul_f64 v[27:28], v[11:12], v[27:28]
	v_fma_f64 v[11:12], v[11:12], v[25:26], -v[29:30]
	v_fma_f64 v[13:14], v[13:14], v[25:26], v[27:28]
	v_xor_b32_e32 v26, 0x80000000, v12
	v_xor_b32_e32 v28, 0x80000000, v14
	v_mov_b32_e32 v25, v11
	v_mov_b32_e32 v27, v13
	ds_write_b128 v17, v[25:28]
.LBB173_380:
	s_or_b64 exec, exec, s[10:11]
	s_waitcnt lgkmcnt(0)
	s_barrier
	s_barrier
	s_and_saveexec_b64 s[10:11], s[2:3]
; %bb.381:
	v_lshlrev_b32_e32 v25, 4, v15
	v_lshl_or_b32 v25, v16, 9, v25
	ds_write_b128 v25, v[11:14] offset:5248
; %bb.382:
	s_or_b64 exec, exec, s[10:11]
	s_waitcnt lgkmcnt(0)
	s_barrier
	s_barrier
	s_and_saveexec_b64 s[10:11], s[42:43]
	s_cbranch_execz .LBB173_384
; %bb.383:
	v_lshlrev_b32_e32 v25, 9, v0
	ds_read_b128 v[11:14], v25 offset:5248
	s_movk_i32 s12, 0xfe10
	v_mad_i32_i24 v26, v0, s12, v25
	s_waitcnt lgkmcnt(0)
	ds_write_b128 v26, v[11:14] offset:4256
	ds_read_b128 v[11:14], v25 offset:5264
	s_waitcnt lgkmcnt(0)
	ds_write_b128 v26, v[11:14] offset:4768
.LBB173_384:
	s_or_b64 exec, exec, s[10:11]
	s_waitcnt lgkmcnt(0)
	s_barrier
	s_and_saveexec_b64 s[10:11], vcc
	s_cbranch_execz .LBB173_386
; %bb.385:
	v_mov_b32_e32 v35, 0
	ds_read_b128 v[11:14], v35 offset:4752
	ds_read_b128 v[25:28], v35 offset:4224
	;; [unrolled: 1-line block ×3, first 2 shown]
	s_waitcnt lgkmcnt(1)
	v_mul_f64 v[33:34], v[11:12], v[27:28]
	v_mul_f64 v[27:28], v[13:14], v[27:28]
	v_fma_f64 v[13:14], v[13:14], v[25:26], v[33:34]
	v_fma_f64 v[11:12], v[11:12], v[25:26], -v[27:28]
	s_waitcnt lgkmcnt(0)
	v_mul_f64 v[25:26], v[13:14], v[31:32]
	v_mul_f64 v[27:28], v[11:12], v[31:32]
	v_fma_f64 v[11:12], v[29:30], v[11:12], -v[25:26]
	v_fma_f64 v[13:14], v[29:30], v[13:14], v[27:28]
	ds_write_b128 v35, v[11:14] offset:4736
	ds_write_b128 v35, v[11:14] offset:4240
.LBB173_386:
	s_or_b64 exec, exec, s[10:11]
	v_mov_b32_e32 v13, 0
	v_mov_b32_e32 v11, 0
	;; [unrolled: 1-line block ×4, first 2 shown]
	s_waitcnt lgkmcnt(0)
	s_barrier
	buffer_wbinvl1_vol
	s_and_saveexec_b64 s[12:13], s[8:9]
	s_cbranch_execz .LBB173_396
; %bb.387:
	v_lshlrev_b32_e32 v26, 9, v23
	v_lshlrev_b32_e32 v25, 4, v22
	ds_read_b128 v[11:14], v26 offset:4224
	ds_read_b128 v[27:30], v25 offset:4096
	v_cmp_gt_u32_e64 s[10:11], 56, v18
	s_waitcnt lgkmcnt(0)
	v_mul_f64 v[31:32], v[13:14], v[29:30]
	v_mul_f64 v[29:30], v[11:12], v[29:30]
	v_fma_f64 v[11:12], v[11:12], v[27:28], -v[31:32]
	v_fma_f64 v[13:14], v[13:14], v[27:28], v[29:30]
	v_add_f64 v[11:12], v[11:12], 0
	v_add_f64 v[13:14], v[13:14], 0
	s_and_saveexec_b64 s[14:15], s[10:11]
	s_cbranch_execnz .LBB173_567
; %bb.388:
	s_or_b64 exec, exec, s[14:15]
	v_cmp_gt_u32_e64 s[10:11], 48, v18
	s_and_saveexec_b64 s[14:15], s[10:11]
	s_cbranch_execnz .LBB173_568
.LBB173_389:
	s_or_b64 exec, exec, s[14:15]
	v_cmp_gt_u32_e64 s[10:11], 40, v18
	s_and_saveexec_b64 s[14:15], s[10:11]
	s_cbranch_execnz .LBB173_569
.LBB173_390:
	s_or_b64 exec, exec, s[14:15]
	v_cmp_gt_u32_e64 s[10:11], 32, v18
	s_and_saveexec_b64 s[14:15], s[10:11]
	s_cbranch_execnz .LBB173_570
.LBB173_391:
	s_or_b64 exec, exec, s[14:15]
	v_cmp_gt_u32_e64 s[10:11], 24, v18
	s_and_saveexec_b64 s[14:15], s[10:11]
	s_cbranch_execnz .LBB173_571
.LBB173_392:
	s_or_b64 exec, exec, s[14:15]
	s_and_saveexec_b64 s[10:11], s[16:17]
	s_cbranch_execnz .LBB173_572
.LBB173_393:
	s_or_b64 exec, exec, s[10:11]
	v_cmp_gt_u32_e64 s[10:11], 8, v18
	s_and_saveexec_b64 s[14:15], s[10:11]
	s_cbranch_execz .LBB173_395
.LBB173_394:
	v_lshlrev_b32_e32 v29, 4, v0
	v_mov_b32_e32 v25, 0
	ds_read_b128 v[25:28], v25 offset:7920
	ds_read_b128 v[29:32], v29 offset:7680
	s_waitcnt lgkmcnt(0)
	v_mul_f64 v[33:34], v[27:28], v[31:32]
	v_mul_f64 v[31:32], v[25:26], v[31:32]
	v_fma_f64 v[25:26], v[25:26], v[29:30], -v[33:34]
	v_fma_f64 v[27:28], v[27:28], v[29:30], v[31:32]
	v_add_f64 v[11:12], v[11:12], v[25:26]
	v_add_f64 v[13:14], v[13:14], v[27:28]
.LBB173_395:
	s_or_b64 exec, exec, s[14:15]
.LBB173_396:
	s_or_b64 exec, exec, s[12:13]
	s_and_saveexec_b64 s[10:11], s[60:61]
	s_cbranch_execz .LBB173_398
; %bb.397:
	v_mov_b32_e32 v25, 0
	ds_read_b128 v[25:28], v25 offset:3696
	s_waitcnt lgkmcnt(0)
	v_mul_f64 v[29:30], v[13:14], v[27:28]
	v_mul_f64 v[27:28], v[11:12], v[27:28]
	v_fma_f64 v[11:12], v[11:12], v[25:26], -v[29:30]
	v_fma_f64 v[13:14], v[13:14], v[25:26], v[27:28]
	v_xor_b32_e32 v26, 0x80000000, v12
	v_xor_b32_e32 v28, 0x80000000, v14
	v_mov_b32_e32 v25, v11
	v_mov_b32_e32 v27, v13
	ds_write_b128 v24, v[25:28]
.LBB173_398:
	s_or_b64 exec, exec, s[10:11]
	s_waitcnt lgkmcnt(0)
	s_barrier
	s_and_saveexec_b64 s[10:11], s[62:63]
	s_cbranch_execz .LBB173_400
; %bb.399:
	v_lshlrev_b32_e32 v29, 4, v22
	ds_read_b128 v[25:28], v24
	ds_read_b128 v[29:32], v29 offset:3584
	s_waitcnt lgkmcnt(0)
	v_mul_f64 v[33:34], v[27:28], v[31:32]
	v_mul_f64 v[31:32], v[25:26], v[31:32]
	v_fma_f64 v[25:26], v[25:26], v[29:30], -v[33:34]
	v_fma_f64 v[27:28], v[27:28], v[29:30], v[31:32]
	v_add_f64 v[11:12], v[11:12], -v[25:26]
	v_add_f64 v[13:14], v[13:14], -v[27:28]
.LBB173_400:
	s_or_b64 exec, exec, s[10:11]
	s_barrier
	s_and_saveexec_b64 s[10:11], s[64:65]
	s_cbranch_execz .LBB173_402
; %bb.401:
	v_mov_b32_e32 v25, 0
	ds_read_b128 v[25:28], v25 offset:3168
	s_waitcnt lgkmcnt(0)
	v_mul_f64 v[29:30], v[13:14], v[27:28]
	v_mul_f64 v[27:28], v[11:12], v[27:28]
	v_fma_f64 v[11:12], v[11:12], v[25:26], -v[29:30]
	v_fma_f64 v[13:14], v[13:14], v[25:26], v[27:28]
	v_xor_b32_e32 v26, 0x80000000, v12
	v_xor_b32_e32 v28, 0x80000000, v14
	v_mov_b32_e32 v25, v11
	v_mov_b32_e32 v27, v13
	ds_write_b128 v24, v[25:28]
.LBB173_402:
	s_or_b64 exec, exec, s[10:11]
	s_waitcnt lgkmcnt(0)
	s_barrier
	s_and_saveexec_b64 s[10:11], s[66:67]
	s_cbranch_execz .LBB173_404
; %bb.403:
	v_lshlrev_b32_e32 v29, 4, v22
	ds_read_b128 v[25:28], v24
	ds_read_b128 v[29:32], v29 offset:3072
	s_waitcnt lgkmcnt(0)
	v_mul_f64 v[33:34], v[27:28], v[31:32]
	v_mul_f64 v[31:32], v[25:26], v[31:32]
	v_fma_f64 v[25:26], v[25:26], v[29:30], -v[33:34]
	v_fma_f64 v[27:28], v[27:28], v[29:30], v[31:32]
	v_add_f64 v[11:12], v[11:12], -v[25:26]
	v_add_f64 v[13:14], v[13:14], -v[27:28]
.LBB173_404:
	s_or_b64 exec, exec, s[10:11]
	s_barrier
	;; [unrolled: 35-line block ×6, first 2 shown]
	s_and_saveexec_b64 s[10:11], s[84:85]
	s_cbranch_execz .LBB173_422
; %bb.421:
	v_mov_b32_e32 v25, 0
	ds_read_b128 v[25:28], v25 offset:528
	s_waitcnt lgkmcnt(0)
	v_mul_f64 v[29:30], v[13:14], v[27:28]
	v_mul_f64 v[27:28], v[11:12], v[27:28]
	v_fma_f64 v[11:12], v[11:12], v[25:26], -v[29:30]
	v_fma_f64 v[13:14], v[13:14], v[25:26], v[27:28]
	v_xor_b32_e32 v26, 0x80000000, v12
	v_xor_b32_e32 v28, 0x80000000, v14
	v_mov_b32_e32 v25, v11
	v_mov_b32_e32 v27, v13
	ds_write_b128 v24, v[25:28]
.LBB173_422:
	s_or_b64 exec, exec, s[10:11]
	s_waitcnt lgkmcnt(0)
	s_barrier
	s_and_saveexec_b64 s[10:11], s[58:59]
	s_cbranch_execz .LBB173_424
; %bb.423:
	v_mov_b32_e32 v29, 0
	ds_read_b128 v[25:28], v24
	ds_read_b128 v[29:32], v29 offset:512
	s_waitcnt lgkmcnt(0)
	v_mul_f64 v[33:34], v[27:28], v[31:32]
	v_mul_f64 v[31:32], v[25:26], v[31:32]
	v_fma_f64 v[25:26], v[25:26], v[29:30], -v[33:34]
	v_fma_f64 v[27:28], v[27:28], v[29:30], v[31:32]
	v_add_f64 v[11:12], v[11:12], -v[25:26]
	v_add_f64 v[13:14], v[13:14], -v[27:28]
.LBB173_424:
	s_or_b64 exec, exec, s[10:11]
	s_barrier
	s_and_saveexec_b64 s[10:11], s[58:59]
	s_cbranch_execz .LBB173_426
; %bb.425:
	v_mov_b32_e32 v25, 0
	ds_read_b128 v[25:28], v25
	s_waitcnt lgkmcnt(0)
	v_mul_f64 v[29:30], v[13:14], v[27:28]
	v_mul_f64 v[27:28], v[11:12], v[27:28]
	v_fma_f64 v[11:12], v[11:12], v[25:26], -v[29:30]
	v_fma_f64 v[13:14], v[13:14], v[25:26], v[27:28]
	v_xor_b32_e32 v26, 0x80000000, v12
	v_xor_b32_e32 v28, 0x80000000, v14
	v_mov_b32_e32 v25, v11
	v_mov_b32_e32 v27, v13
	ds_write_b128 v24, v[25:28]
.LBB173_426:
	s_or_b64 exec, exec, s[10:11]
	s_waitcnt lgkmcnt(0)
	s_barrier
	s_barrier
	s_and_saveexec_b64 s[10:11], s[8:9]
; %bb.427:
	v_lshlrev_b32_e32 v22, 4, v22
	v_lshl_or_b32 v22, v23, 9, v22
	ds_write_b128 v22, v[11:14] offset:4096
; %bb.428:
	s_or_b64 exec, exec, s[10:11]
	s_waitcnt lgkmcnt(0)
	s_barrier
	s_barrier
	s_and_saveexec_b64 s[8:9], s[86:87]
	s_cbranch_execz .LBB173_430
; %bb.429:
	v_lshlrev_b32_e32 v22, 9, v0
	ds_read_b128 v[11:14], v22 offset:4096
	s_movk_i32 s10, 0xfe10
	v_mad_i32_i24 v23, v0, s10, v22
	s_waitcnt lgkmcnt(0)
	ds_write_b128 v23, v[11:14] offset:128
	ds_read_b128 v[11:14], v22 offset:4112
	s_waitcnt lgkmcnt(0)
	ds_write_b128 v23, v[11:14] offset:640
	ds_read_b128 v[11:14], v22 offset:4128
	;; [unrolled: 3-line block ×7, first 2 shown]
	s_waitcnt lgkmcnt(0)
	ds_write_b128 v23, v[11:14] offset:3712
.LBB173_430:
	s_or_b64 exec, exec, s[8:9]
	s_waitcnt lgkmcnt(0)
	s_barrier
	s_and_saveexec_b64 s[8:9], vcc
	s_cbranch_execz .LBB173_432
; %bb.431:
	v_mov_b32_e32 v32, 0
	ds_read_b128 v[11:14], v32 offset:3696
	ds_read_b128 v[22:25], v32 offset:3168
	;; [unrolled: 1-line block ×3, first 2 shown]
	s_waitcnt lgkmcnt(1)
	v_mul_f64 v[30:31], v[11:12], v[24:25]
	v_mul_f64 v[24:25], v[13:14], v[24:25]
	v_fma_f64 v[13:14], v[13:14], v[22:23], v[30:31]
	v_fma_f64 v[11:12], v[11:12], v[22:23], -v[24:25]
	s_waitcnt lgkmcnt(0)
	v_mul_f64 v[22:23], v[13:14], v[28:29]
	v_mul_f64 v[24:25], v[11:12], v[28:29]
	v_fma_f64 v[11:12], v[26:27], v[11:12], -v[22:23]
	v_fma_f64 v[13:14], v[26:27], v[13:14], v[24:25]
	ds_write_b128 v32, v[11:14] offset:3680
	ds_write_b128 v32, v[11:14] offset:3184
.LBB173_432:
	s_or_b64 exec, exec, s[8:9]
	v_mov_b32_e32 v11, 0
	v_mov_b32_e32 v13, 0
	;; [unrolled: 1-line block ×4, first 2 shown]
	s_waitcnt lgkmcnt(0)
	s_barrier
	buffer_wbinvl1_vol
	s_and_saveexec_b64 s[10:11], s[2:3]
	s_cbranch_execz .LBB173_436
; %bb.433:
	v_lshlrev_b32_e32 v22, 4, v15
	v_lshlrev_b32_e32 v11, 9, v16
	ds_read_b128 v[11:14], v11 offset:3168
	ds_read_b128 v[22:25], v22 offset:3136
	v_cmp_gt_u32_e64 s[8:9], 2, v18
	s_waitcnt lgkmcnt(0)
	v_mul_f64 v[26:27], v[13:14], v[24:25]
	v_mul_f64 v[24:25], v[11:12], v[24:25]
	v_fma_f64 v[11:12], v[11:12], v[22:23], -v[26:27]
	v_fma_f64 v[13:14], v[13:14], v[22:23], v[24:25]
	v_add_f64 v[11:12], v[11:12], 0
	v_add_f64 v[13:14], v[13:14], 0
	s_and_saveexec_b64 s[12:13], s[8:9]
	s_cbranch_execz .LBB173_435
; %bb.434:
	v_lshlrev_b32_e32 v26, 4, v0
	v_mov_b32_e32 v22, 0
	ds_read_b128 v[22:25], v22 offset:3696
	ds_read_b128 v[26:29], v26 offset:3648
	s_waitcnt lgkmcnt(0)
	v_mul_f64 v[30:31], v[24:25], v[28:29]
	v_mul_f64 v[28:29], v[22:23], v[28:29]
	v_fma_f64 v[22:23], v[22:23], v[26:27], -v[30:31]
	v_fma_f64 v[24:25], v[24:25], v[26:27], v[28:29]
	v_add_f64 v[11:12], v[11:12], v[22:23]
	v_add_f64 v[13:14], v[13:14], v[24:25]
.LBB173_435:
	s_or_b64 exec, exec, s[12:13]
.LBB173_436:
	s_or_b64 exec, exec, s[10:11]
	s_and_saveexec_b64 s[8:9], s[40:41]
	s_cbranch_execz .LBB173_438
; %bb.437:
	v_mov_b32_e32 v22, 0
	ds_read_b128 v[22:25], v22 offset:2640
	s_waitcnt lgkmcnt(0)
	v_mul_f64 v[26:27], v[13:14], v[24:25]
	v_mul_f64 v[24:25], v[11:12], v[24:25]
	v_fma_f64 v[11:12], v[11:12], v[22:23], -v[26:27]
	v_fma_f64 v[13:14], v[13:14], v[22:23], v[24:25]
	v_xor_b32_e32 v23, 0x80000000, v12
	v_xor_b32_e32 v25, 0x80000000, v14
	v_mov_b32_e32 v22, v11
	v_mov_b32_e32 v24, v13
	ds_write_b128 v17, v[22:25]
.LBB173_438:
	s_or_b64 exec, exec, s[8:9]
	s_waitcnt lgkmcnt(0)
	s_barrier
	s_and_saveexec_b64 s[8:9], s[38:39]
	s_cbranch_execz .LBB173_440
; %bb.439:
	v_mov_b32_e32 v26, 0
	ds_read_b128 v[22:25], v17
	ds_read_b128 v[26:29], v26 offset:2624
	s_waitcnt lgkmcnt(0)
	v_mul_f64 v[30:31], v[24:25], v[28:29]
	v_mul_f64 v[28:29], v[22:23], v[28:29]
	v_fma_f64 v[22:23], v[22:23], v[26:27], -v[30:31]
	v_fma_f64 v[24:25], v[24:25], v[26:27], v[28:29]
	v_add_f64 v[11:12], v[11:12], -v[22:23]
	v_add_f64 v[13:14], v[13:14], -v[24:25]
.LBB173_440:
	s_or_b64 exec, exec, s[8:9]
	s_barrier
	s_and_saveexec_b64 s[8:9], s[38:39]
	s_cbranch_execz .LBB173_442
; %bb.441:
	v_mov_b32_e32 v22, 0
	ds_read_b128 v[22:25], v22 offset:2112
	s_waitcnt lgkmcnt(0)
	v_mul_f64 v[26:27], v[13:14], v[24:25]
	v_mul_f64 v[24:25], v[11:12], v[24:25]
	v_fma_f64 v[11:12], v[11:12], v[22:23], -v[26:27]
	v_fma_f64 v[13:14], v[13:14], v[22:23], v[24:25]
	v_xor_b32_e32 v23, 0x80000000, v12
	v_xor_b32_e32 v25, 0x80000000, v14
	v_mov_b32_e32 v22, v11
	v_mov_b32_e32 v24, v13
	ds_write_b128 v17, v[22:25]
.LBB173_442:
	s_or_b64 exec, exec, s[8:9]
	s_waitcnt lgkmcnt(0)
	s_barrier
	s_barrier
	s_and_saveexec_b64 s[8:9], s[2:3]
; %bb.443:
	v_lshlrev_b32_e32 v22, 4, v15
	v_lshl_or_b32 v22, v16, 9, v22
	ds_write_b128 v22, v[11:14] offset:3136
; %bb.444:
	s_or_b64 exec, exec, s[8:9]
	s_waitcnt lgkmcnt(0)
	s_barrier
	s_barrier
	s_and_saveexec_b64 s[8:9], s[42:43]
	s_cbranch_execz .LBB173_446
; %bb.445:
	v_lshlrev_b32_e32 v22, 9, v0
	ds_read_b128 v[11:14], v22 offset:3136
	s_movk_i32 s10, 0xfe10
	v_mad_i32_i24 v23, v0, s10, v22
	s_waitcnt lgkmcnt(0)
	ds_write_b128 v23, v[11:14] offset:2144
	ds_read_b128 v[11:14], v22 offset:3152
	s_waitcnt lgkmcnt(0)
	ds_write_b128 v23, v[11:14] offset:2656
.LBB173_446:
	s_or_b64 exec, exec, s[8:9]
	s_waitcnt lgkmcnt(0)
	s_barrier
	s_and_saveexec_b64 s[8:9], vcc
	s_cbranch_execz .LBB173_448
; %bb.447:
	v_mov_b32_e32 v32, 0
	ds_read_b128 v[11:14], v32 offset:2640
	ds_read_b128 v[22:25], v32 offset:2112
	;; [unrolled: 1-line block ×3, first 2 shown]
	s_waitcnt lgkmcnt(1)
	v_mul_f64 v[30:31], v[11:12], v[24:25]
	v_mul_f64 v[24:25], v[13:14], v[24:25]
	v_fma_f64 v[13:14], v[13:14], v[22:23], v[30:31]
	v_fma_f64 v[11:12], v[11:12], v[22:23], -v[24:25]
	s_waitcnt lgkmcnt(0)
	v_mul_f64 v[22:23], v[13:14], v[28:29]
	v_mul_f64 v[24:25], v[11:12], v[28:29]
	v_fma_f64 v[11:12], v[26:27], v[11:12], -v[22:23]
	v_fma_f64 v[13:14], v[26:27], v[13:14], v[24:25]
	ds_write_b128 v32, v[11:14] offset:2624
	ds_write_b128 v32, v[11:14] offset:2128
.LBB173_448:
	s_or_b64 exec, exec, s[8:9]
	v_mov_b32_e32 v13, 0
	v_mov_b32_e32 v11, 0
	;; [unrolled: 1-line block ×4, first 2 shown]
	s_waitcnt lgkmcnt(0)
	s_barrier
	buffer_wbinvl1_vol
	s_and_saveexec_b64 s[10:11], s[16:17]
	s_cbranch_execz .LBB173_454
; %bb.449:
	v_lshlrev_b32_e32 v23, 9, v20
	v_lshlrev_b32_e32 v22, 4, v19
	ds_read_b128 v[11:14], v23 offset:2112
	ds_read_b128 v[24:27], v22 offset:2048
	v_cmp_gt_u32_e64 s[8:9], 12, v18
	s_waitcnt lgkmcnt(0)
	v_mul_f64 v[28:29], v[13:14], v[26:27]
	v_mul_f64 v[26:27], v[11:12], v[26:27]
	v_fma_f64 v[11:12], v[11:12], v[24:25], -v[28:29]
	v_fma_f64 v[13:14], v[13:14], v[24:25], v[26:27]
	v_add_f64 v[11:12], v[11:12], 0
	v_add_f64 v[13:14], v[13:14], 0
	s_and_saveexec_b64 s[12:13], s[8:9]
	s_cbranch_execnz .LBB173_573
; %bb.450:
	s_or_b64 exec, exec, s[12:13]
	v_cmp_gt_u32_e64 s[8:9], 8, v18
	s_and_saveexec_b64 s[12:13], s[8:9]
	s_cbranch_execnz .LBB173_574
.LBB173_451:
	s_or_b64 exec, exec, s[12:13]
	v_cmp_gt_u32_e64 s[8:9], 4, v18
	s_and_saveexec_b64 s[12:13], s[8:9]
	s_cbranch_execz .LBB173_453
.LBB173_452:
	v_lshlrev_b32_e32 v26, 4, v0
	v_mov_b32_e32 v22, 0
	ds_read_b128 v[22:25], v22 offset:3696
	ds_read_b128 v[26:29], v26 offset:3584
	s_waitcnt lgkmcnt(0)
	v_mul_f64 v[30:31], v[24:25], v[28:29]
	v_mul_f64 v[28:29], v[22:23], v[28:29]
	v_fma_f64 v[22:23], v[22:23], v[26:27], -v[30:31]
	v_fma_f64 v[24:25], v[24:25], v[26:27], v[28:29]
	v_add_f64 v[11:12], v[11:12], v[22:23]
	v_add_f64 v[13:14], v[13:14], v[24:25]
.LBB173_453:
	s_or_b64 exec, exec, s[12:13]
.LBB173_454:
	s_or_b64 exec, exec, s[10:11]
	s_and_saveexec_b64 s[8:9], s[46:47]
	s_cbranch_execz .LBB173_456
; %bb.455:
	v_mov_b32_e32 v22, 0
	ds_read_b128 v[22:25], v22 offset:1584
	s_waitcnt lgkmcnt(0)
	v_mul_f64 v[26:27], v[13:14], v[24:25]
	v_mul_f64 v[24:25], v[11:12], v[24:25]
	v_fma_f64 v[11:12], v[11:12], v[22:23], -v[26:27]
	v_fma_f64 v[13:14], v[13:14], v[22:23], v[24:25]
	v_xor_b32_e32 v23, 0x80000000, v12
	v_xor_b32_e32 v25, 0x80000000, v14
	v_mov_b32_e32 v22, v11
	v_mov_b32_e32 v24, v13
	ds_write_b128 v21, v[22:25]
.LBB173_456:
	s_or_b64 exec, exec, s[8:9]
	s_waitcnt lgkmcnt(0)
	s_barrier
	s_and_saveexec_b64 s[8:9], s[48:49]
	s_load_dword s46, s[4:5], 0x6c
	s_cbranch_execz .LBB173_458
; %bb.457:
	v_lshlrev_b32_e32 v26, 4, v19
	ds_read_b128 v[22:25], v21
	ds_read_b128 v[26:29], v26 offset:1536
	s_waitcnt lgkmcnt(0)
	v_mul_f64 v[30:31], v[24:25], v[28:29]
	v_mul_f64 v[28:29], v[22:23], v[28:29]
	v_fma_f64 v[22:23], v[22:23], v[26:27], -v[30:31]
	v_fma_f64 v[24:25], v[24:25], v[26:27], v[28:29]
	v_add_f64 v[11:12], v[11:12], -v[22:23]
	v_add_f64 v[13:14], v[13:14], -v[24:25]
.LBB173_458:
	s_or_b64 exec, exec, s[8:9]
	s_waitcnt lgkmcnt(0)
	s_barrier
	s_and_saveexec_b64 s[8:9], s[50:51]
	s_cbranch_execz .LBB173_460
; %bb.459:
	v_mov_b32_e32 v22, 0
	ds_read_b128 v[22:25], v22 offset:1056
	s_waitcnt lgkmcnt(0)
	v_mul_f64 v[26:27], v[13:14], v[24:25]
	v_mul_f64 v[24:25], v[11:12], v[24:25]
	v_fma_f64 v[11:12], v[11:12], v[22:23], -v[26:27]
	v_fma_f64 v[13:14], v[13:14], v[22:23], v[24:25]
	v_xor_b32_e32 v23, 0x80000000, v12
	v_xor_b32_e32 v25, 0x80000000, v14
	v_mov_b32_e32 v22, v11
	v_mov_b32_e32 v24, v13
	ds_write_b128 v21, v[22:25]
.LBB173_460:
	s_or_b64 exec, exec, s[8:9]
	s_waitcnt lgkmcnt(0)
	s_barrier
	s_and_saveexec_b64 s[8:9], s[52:53]
	s_cbranch_execz .LBB173_462
; %bb.461:
	v_lshlrev_b32_e32 v26, 4, v19
	ds_read_b128 v[22:25], v21
	ds_read_b128 v[26:29], v26 offset:1024
	s_waitcnt lgkmcnt(0)
	v_mul_f64 v[30:31], v[24:25], v[28:29]
	v_mul_f64 v[28:29], v[22:23], v[28:29]
	v_fma_f64 v[22:23], v[22:23], v[26:27], -v[30:31]
	v_fma_f64 v[24:25], v[24:25], v[26:27], v[28:29]
	v_add_f64 v[11:12], v[11:12], -v[22:23]
	v_add_f64 v[13:14], v[13:14], -v[24:25]
.LBB173_462:
	s_or_b64 exec, exec, s[8:9]
	s_barrier
	s_and_saveexec_b64 s[8:9], s[54:55]
	s_cbranch_execz .LBB173_464
; %bb.463:
	v_mov_b32_e32 v22, 0
	ds_read_b128 v[22:25], v22 offset:528
	s_waitcnt lgkmcnt(0)
	v_mul_f64 v[26:27], v[13:14], v[24:25]
	v_mul_f64 v[24:25], v[11:12], v[24:25]
	v_fma_f64 v[11:12], v[11:12], v[22:23], -v[26:27]
	v_fma_f64 v[13:14], v[13:14], v[22:23], v[24:25]
	v_xor_b32_e32 v23, 0x80000000, v12
	v_xor_b32_e32 v25, 0x80000000, v14
	v_mov_b32_e32 v22, v11
	v_mov_b32_e32 v24, v13
	ds_write_b128 v21, v[22:25]
.LBB173_464:
	s_or_b64 exec, exec, s[8:9]
	s_waitcnt lgkmcnt(0)
	s_barrier
	s_and_saveexec_b64 s[8:9], s[44:45]
	s_cbranch_execz .LBB173_466
; %bb.465:
	v_mov_b32_e32 v26, 0
	ds_read_b128 v[22:25], v21
	ds_read_b128 v[26:29], v26 offset:512
	s_waitcnt lgkmcnt(0)
	v_mul_f64 v[30:31], v[24:25], v[28:29]
	v_mul_f64 v[28:29], v[22:23], v[28:29]
	v_fma_f64 v[22:23], v[22:23], v[26:27], -v[30:31]
	v_fma_f64 v[24:25], v[24:25], v[26:27], v[28:29]
	v_add_f64 v[11:12], v[11:12], -v[22:23]
	v_add_f64 v[13:14], v[13:14], -v[24:25]
.LBB173_466:
	s_or_b64 exec, exec, s[8:9]
	s_barrier
	s_and_saveexec_b64 s[8:9], s[44:45]
	s_cbranch_execz .LBB173_468
; %bb.467:
	v_mov_b32_e32 v22, 0
	ds_read_b128 v[22:25], v22
	s_waitcnt lgkmcnt(0)
	v_mul_f64 v[26:27], v[13:14], v[24:25]
	v_mul_f64 v[24:25], v[11:12], v[24:25]
	v_fma_f64 v[11:12], v[11:12], v[22:23], -v[26:27]
	v_fma_f64 v[13:14], v[13:14], v[22:23], v[24:25]
	v_xor_b32_e32 v23, 0x80000000, v12
	v_xor_b32_e32 v25, 0x80000000, v14
	v_mov_b32_e32 v22, v11
	v_mov_b32_e32 v24, v13
	ds_write_b128 v21, v[22:25]
.LBB173_468:
	s_or_b64 exec, exec, s[8:9]
	s_waitcnt lgkmcnt(0)
	s_barrier
	s_barrier
	s_and_saveexec_b64 s[8:9], s[16:17]
; %bb.469:
	v_lshlrev_b32_e32 v19, 4, v19
	v_lshl_or_b32 v19, v20, 9, v19
	ds_write_b128 v19, v[11:14] offset:2048
; %bb.470:
	s_or_b64 exec, exec, s[8:9]
	s_waitcnt lgkmcnt(0)
	s_barrier
	s_barrier
	s_and_saveexec_b64 s[8:9], s[56:57]
	s_cbranch_execz .LBB173_472
; %bb.471:
	v_lshlrev_b32_e32 v19, 4, v0
	s_movk_i32 s10, 0x1f0
	v_mad_u32_u24 v20, v0, s10, v19
	ds_read_b128 v[11:14], v20 offset:2048
	s_waitcnt lgkmcnt(0)
	ds_write_b128 v19, v[11:14] offset:64
	ds_read_b128 v[11:14], v20 offset:2064
	s_waitcnt lgkmcnt(0)
	ds_write_b128 v19, v[11:14] offset:576
	;; [unrolled: 3-line block ×4, first 2 shown]
.LBB173_472:
	s_or_b64 exec, exec, s[8:9]
	s_waitcnt lgkmcnt(0)
	s_barrier
	s_and_saveexec_b64 s[8:9], vcc
	s_cbranch_execz .LBB173_474
; %bb.473:
	v_mov_b32_e32 v29, 0
	ds_read_b128 v[11:14], v29 offset:1584
	ds_read_b128 v[19:22], v29 offset:1056
	ds_read_b128 v[23:26], v29 offset:1568
	s_waitcnt lgkmcnt(1)
	v_mul_f64 v[27:28], v[11:12], v[21:22]
	v_mul_f64 v[21:22], v[13:14], v[21:22]
	v_fma_f64 v[13:14], v[13:14], v[19:20], v[27:28]
	v_fma_f64 v[11:12], v[11:12], v[19:20], -v[21:22]
	s_waitcnt lgkmcnt(0)
	v_mul_f64 v[19:20], v[13:14], v[25:26]
	v_mul_f64 v[21:22], v[11:12], v[25:26]
	v_fma_f64 v[11:12], v[23:24], v[11:12], -v[19:20]
	v_fma_f64 v[13:14], v[23:24], v[13:14], v[21:22]
	ds_write_b128 v29, v[11:14] offset:1568
	ds_write_b128 v29, v[11:14] offset:1072
.LBB173_474:
	s_or_b64 exec, exec, s[8:9]
	v_mov_b32_e32 v11, 0
	v_mov_b32_e32 v13, 0
	v_mov_b32_e32 v12, 0
	v_mov_b32_e32 v14, 0
	s_waitcnt lgkmcnt(0)
	s_barrier
	buffer_wbinvl1_vol
	s_and_saveexec_b64 s[10:11], s[2:3]
	s_cbranch_execz .LBB173_478
; %bb.475:
	v_lshlrev_b32_e32 v19, 4, v15
	v_lshlrev_b32_e32 v11, 9, v16
	ds_read_b128 v[11:14], v11 offset:1056
	ds_read_b128 v[19:22], v19 offset:1024
	v_cmp_gt_u32_e64 s[8:9], 2, v18
	s_waitcnt lgkmcnt(0)
	v_mul_f64 v[23:24], v[13:14], v[21:22]
	v_mul_f64 v[21:22], v[11:12], v[21:22]
	v_fma_f64 v[11:12], v[11:12], v[19:20], -v[23:24]
	v_fma_f64 v[13:14], v[13:14], v[19:20], v[21:22]
	v_add_f64 v[11:12], v[11:12], 0
	v_add_f64 v[13:14], v[13:14], 0
	s_and_saveexec_b64 s[12:13], s[8:9]
	s_cbranch_execz .LBB173_477
; %bb.476:
	v_lshlrev_b32_e32 v22, 4, v0
	v_mov_b32_e32 v18, 0
	ds_read_b128 v[18:21], v18 offset:1584
	ds_read_b128 v[22:25], v22 offset:1536
	s_waitcnt lgkmcnt(0)
	v_mul_f64 v[26:27], v[20:21], v[24:25]
	v_mul_f64 v[24:25], v[18:19], v[24:25]
	v_fma_f64 v[18:19], v[18:19], v[22:23], -v[26:27]
	v_fma_f64 v[20:21], v[20:21], v[22:23], v[24:25]
	v_add_f64 v[11:12], v[11:12], v[18:19]
	v_add_f64 v[13:14], v[13:14], v[20:21]
.LBB173_477:
	s_or_b64 exec, exec, s[12:13]
.LBB173_478:
	s_or_b64 exec, exec, s[10:11]
	s_and_saveexec_b64 s[8:9], s[40:41]
	s_cbranch_execz .LBB173_480
; %bb.479:
	v_mov_b32_e32 v18, 0
	ds_read_b128 v[18:21], v18 offset:528
	s_waitcnt lgkmcnt(0)
	v_mul_f64 v[22:23], v[13:14], v[20:21]
	v_mul_f64 v[20:21], v[11:12], v[20:21]
	v_fma_f64 v[11:12], v[11:12], v[18:19], -v[22:23]
	v_fma_f64 v[13:14], v[13:14], v[18:19], v[20:21]
	v_xor_b32_e32 v19, 0x80000000, v12
	v_xor_b32_e32 v21, 0x80000000, v14
	v_mov_b32_e32 v18, v11
	v_mov_b32_e32 v20, v13
	ds_write_b128 v17, v[18:21]
.LBB173_480:
	s_or_b64 exec, exec, s[8:9]
	s_waitcnt lgkmcnt(0)
	s_barrier
	s_and_saveexec_b64 s[8:9], s[38:39]
	s_cbranch_execz .LBB173_482
; %bb.481:
	v_mov_b32_e32 v22, 0
	ds_read_b128 v[18:21], v17
	ds_read_b128 v[22:25], v22 offset:512
	s_waitcnt lgkmcnt(0)
	v_mul_f64 v[26:27], v[20:21], v[24:25]
	v_mul_f64 v[24:25], v[18:19], v[24:25]
	v_fma_f64 v[18:19], v[18:19], v[22:23], -v[26:27]
	v_fma_f64 v[20:21], v[20:21], v[22:23], v[24:25]
	v_add_f64 v[11:12], v[11:12], -v[18:19]
	v_add_f64 v[13:14], v[13:14], -v[20:21]
.LBB173_482:
	s_or_b64 exec, exec, s[8:9]
	s_barrier
	s_and_saveexec_b64 s[8:9], s[38:39]
	s_cbranch_execz .LBB173_484
; %bb.483:
	v_mov_b32_e32 v18, 0
	ds_read_b128 v[18:21], v18
	s_waitcnt lgkmcnt(0)
	v_mul_f64 v[22:23], v[13:14], v[20:21]
	v_mul_f64 v[20:21], v[11:12], v[20:21]
	v_fma_f64 v[11:12], v[11:12], v[18:19], -v[22:23]
	v_fma_f64 v[13:14], v[13:14], v[18:19], v[20:21]
	v_xor_b32_e32 v19, 0x80000000, v12
	v_xor_b32_e32 v21, 0x80000000, v14
	v_mov_b32_e32 v18, v11
	v_mov_b32_e32 v20, v13
	ds_write_b128 v17, v[18:21]
.LBB173_484:
	s_or_b64 exec, exec, s[8:9]
	s_waitcnt lgkmcnt(0)
	s_barrier
	s_barrier
	s_and_saveexec_b64 s[8:9], s[2:3]
; %bb.485:
	v_lshlrev_b32_e32 v15, 4, v15
	v_lshl_or_b32 v15, v16, 9, v15
	ds_write_b128 v15, v[11:14] offset:1024
; %bb.486:
	s_or_b64 exec, exec, s[8:9]
	s_waitcnt lgkmcnt(0)
	s_barrier
	s_barrier
	s_and_saveexec_b64 s[2:3], s[42:43]
	s_cbranch_execz .LBB173_488
; %bb.487:
	v_lshlrev_b32_e32 v15, 9, v0
	ds_read_b128 v[11:14], v15 offset:1024
	s_movk_i32 s8, 0xfe10
	v_mad_i32_i24 v16, v0, s8, v15
	s_waitcnt lgkmcnt(0)
	ds_write_b128 v16, v[11:14] offset:32
	ds_read_b128 v[11:14], v15 offset:1040
	s_waitcnt lgkmcnt(0)
	ds_write_b128 v16, v[11:14] offset:544
.LBB173_488:
	s_or_b64 exec, exec, s[2:3]
	s_waitcnt lgkmcnt(0)
	s_barrier
	s_and_saveexec_b64 s[2:3], vcc
	s_cbranch_execz .LBB173_490
; %bb.489:
	v_mov_b32_e32 v25, 0
	ds_read_b128 v[11:14], v25 offset:528
	ds_read_b128 v[15:18], v25
	ds_read_b128 v[19:22], v25 offset:512
	s_waitcnt lgkmcnt(1)
	v_mul_f64 v[23:24], v[11:12], v[17:18]
	v_mul_f64 v[17:18], v[13:14], v[17:18]
	v_fma_f64 v[13:14], v[13:14], v[15:16], v[23:24]
	v_fma_f64 v[11:12], v[11:12], v[15:16], -v[17:18]
	s_waitcnt lgkmcnt(0)
	v_mul_f64 v[15:16], v[13:14], v[21:22]
	v_mul_f64 v[17:18], v[11:12], v[21:22]
	v_fma_f64 v[11:12], v[19:20], v[11:12], -v[15:16]
	v_fma_f64 v[13:14], v[19:20], v[13:14], v[17:18]
	ds_write_b128 v25, v[11:14] offset:512
	ds_write_b128 v25, v[11:14] offset:16
.LBB173_490:
	s_or_b64 exec, exec, s[2:3]
.LBB173_491:
	s_lshl_b64 s[2:3], s[20:21], 4
	s_add_u32 s36, s36, s2
	v_cmp_le_i32_e32 vcc, s93, v0
	s_addc_u32 s37, s37, s3
	s_and_b64 s[16:17], vcc, s[30:31]
	v_cmp_eq_u32_e64 s[2:3], 0, v2
	s_xor_b64 s[8:9], s[16:17], -1
	v_mov_b32_e32 v13, 0
	v_mov_b32_e32 v11, 0
	s_and_b64 s[10:11], s[2:3], s[8:9]
	v_mov_b32_e32 v14, 0
	v_mov_b32_e32 v12, 0
	v_add_u32_e32 v15, s33, v0
	s_waitcnt lgkmcnt(0)
	s_barrier
	s_and_saveexec_b64 s[8:9], s[10:11]
	s_cbranch_execz .LBB173_493
; %bb.492:
	v_ashrrev_i32_e32 v13, 31, v15
	v_mul_lo_u32 v14, s23, v15
	v_mad_u64_u32 v[11:12], s[10:11], s22, v15, 0
	v_mul_lo_u32 v13, s22, v13
	v_add3_u32 v12, v12, v13, v14
	v_lshlrev_b64 v[11:12], 4, v[11:12]
	v_mov_b32_e32 v13, s37
	v_add_co_u32_e32 v11, vcc, s36, v11
	v_addc_co_u32_e32 v12, vcc, v13, v12, vcc
	flat_load_dwordx4 v[11:14], v[11:12]
	s_waitcnt vmcnt(0) lgkmcnt(0)
	v_mul_f64 v[16:17], s[24:25], v[11:12]
	v_mul_f64 v[18:19], s[24:25], v[13:14]
	v_fma_f64 v[13:14], s[26:27], v[13:14], -v[16:17]
	v_fma_f64 v[11:12], v[11:12], -s[26:27], -v[18:19]
.LBB173_493:
	s_or_b64 exec, exec, s[8:9]
	s_load_dwordx2 s[14:15], s[4:5], 0x50
	s_and_b32 s4, 0xffff, s46
	v_mad_u32_u24 v23, v2, s4, v0
	v_mov_b32_e32 v16, 0
	s_cmp_lt_i32 s6, 1
	v_cmp_eq_u32_e64 s[4:5], 0, v23
	s_cbranch_scc1 .LBB173_516
; %bb.494:
	v_mad_u64_u32 v[17:18], s[8:9], s34, v15, 0
	s_mov_b32 s24, 0
	v_cmp_gt_u32_e64 s[12:13], 32, v23
	v_mad_u64_u32 v[18:19], s[8:9], s35, v15, v[18:19]
	s_lshl_b64 s[8:9], s[28:29], 2
	s_waitcnt lgkmcnt(0)
	s_add_u32 s18, s14, s8
	v_lshlrev_b64 v[17:18], 4, v[17:18]
	s_addc_u32 s19, s15, s9
	v_mov_b32_e32 v19, 0x6000
	v_cmp_gt_i32_e64 s[8:9], s7, v15
	v_mov_b32_e32 v15, s95
	v_add_co_u32_e32 v26, vcc, s94, v17
	v_lshl_add_u32 v24, v23, 4, v19
	v_lshl_or_b32 v25, v2, 4, v19
	s_add_i32 s25, s6, -1
	v_addc_co_u32_e32 v27, vcc, v15, v18, vcc
	v_mov_b32_e32 v28, -1
	s_branch .LBB173_497
.LBB173_495:                            ;   in Loop: Header=BB173_497 Depth=1
	ds_read_b128 v[29:32], v25 offset:256
	s_waitcnt vmcnt(0) lgkmcnt(0)
	v_mul_f64 v[17:18], v[21:22], v[31:32]
	v_mul_f64 v[31:32], v[19:20], v[31:32]
	v_fma_f64 v[17:18], v[19:20], v[29:30], -v[17:18]
	v_fma_f64 v[19:20], v[21:22], v[29:30], v[31:32]
	v_add_f64 v[13:14], v[13:14], v[17:18]
	v_add_f64 v[11:12], v[11:12], v[19:20]
.LBB173_496:                            ;   in Loop: Header=BB173_497 Depth=1
	s_or_b64 exec, exec, s[20:21]
	s_add_i32 s24, s24, 1
	s_cmp_eq_u32 s24, s6
	s_cbranch_scc1 .LBB173_516
.LBB173_497:                            ; =>This Loop Header: Depth=1
                                        ;     Child Loop BB173_499 Depth 2
	v_cmp_gt_i32_e32 vcc, s24, v28
	s_and_b64 s[20:21], s[4:5], vcc
	s_and_saveexec_b64 s[10:11], s[20:21]
	s_cbranch_execz .LBB173_500
; %bb.498:                              ;   in Loop: Header=BB173_497 Depth=1
	global_load_dword v28, v16, s[18:19]
	s_waitcnt vmcnt(0)
	v_cmp_le_i32_e32 vcc, s24, v28
	s_cbranch_vccnz .LBB173_500
.LBB173_499:                            ;   Parent Loop BB173_497 Depth=1
                                        ; =>  This Inner Loop Header: Depth=2
	buffer_wbinvl1_vol
	global_load_dword v28, v16, s[18:19]
	s_waitcnt vmcnt(0)
	v_cmp_gt_i32_e32 vcc, s24, v28
	s_cbranch_vccnz .LBB173_499
.LBB173_500:                            ;   in Loop: Header=BB173_497 Depth=1
	s_or_b64 exec, exec, s[10:11]
	s_lshl_b32 s26, s24, 5
	buffer_wbinvl1_vol
	s_barrier
	s_and_saveexec_b64 s[10:11], s[12:13]
	s_cbranch_execz .LBB173_505
; %bb.501:                              ;   in Loop: Header=BB173_497 Depth=1
	v_or_b32_e32 v15, s26, v23
	v_cmp_le_i32_e32 vcc, s7, v15
	s_and_saveexec_b64 s[20:21], vcc
	s_xor_b64 s[20:21], exec, s[20:21]
; %bb.502:                              ;   in Loop: Header=BB173_497 Depth=1
	v_mov_b32_e32 v15, v16
	v_mov_b32_e32 v17, v16
	;; [unrolled: 1-line block ×3, first 2 shown]
	ds_write_b128 v24, v[15:18]
                                        ; implicit-def: $vgpr15
; %bb.503:                              ;   in Loop: Header=BB173_497 Depth=1
	s_andn2_saveexec_b64 s[20:21], s[20:21]
	s_cbranch_execz .LBB173_505
; %bb.504:                              ;   in Loop: Header=BB173_497 Depth=1
	v_mad_u64_u32 v[17:18], s[20:21], s22, v15, 0
	v_mad_u64_u32 v[18:19], s[20:21], s23, v15, v[18:19]
	v_mov_b32_e32 v15, s37
	v_lshlrev_b64 v[17:18], 4, v[17:18]
	v_add_co_u32_e32 v17, vcc, s36, v17
	v_addc_co_u32_e32 v18, vcc, v15, v18, vcc
	flat_load_dwordx4 v[17:20], v[17:18]
	s_waitcnt vmcnt(0) lgkmcnt(0)
	ds_write2_b64 v24, v[17:18], v[19:20] offset1:1
.LBB173_505:                            ;   in Loop: Header=BB173_497 Depth=1
	s_or_b64 exec, exec, s[10:11]
	v_add_u32_e32 v15, s26, v2
	v_lshlrev_b64 v[17:18], 4, v[15:16]
	s_cmp_lg_u32 s24, s25
	v_add_co_u32_e32 v17, vcc, v26, v17
	s_cselect_b64 s[10:11], -1, 0
	v_addc_co_u32_e32 v18, vcc, v27, v18, vcc
	v_cmp_gt_i32_e32 vcc, s7, v15
	v_cndmask_b32_e64 v19, 0, 1, s[10:11]
	s_and_b64 s[26:27], vcc, s[8:9]
	v_cmp_ne_u32_e64 s[10:11], 1, v19
	s_waitcnt lgkmcnt(0)
	s_barrier
	s_and_saveexec_b64 s[20:21], s[26:27]
	s_cbranch_execz .LBB173_511
; %bb.506:                              ;   in Loop: Header=BB173_497 Depth=1
	v_mov_b32_e32 v20, v8
	s_and_b64 vcc, exec, s[10:11]
	v_mov_b32_e32 v19, v7
	s_cbranch_vccnz .LBB173_508
; %bb.507:                              ;   in Loop: Header=BB173_497 Depth=1
	flat_load_dwordx2 v[19:20], v[17:18]
.LBB173_508:                            ;   in Loop: Header=BB173_497 Depth=1
	v_mov_b32_e32 v22, v10
	s_and_b64 vcc, exec, s[10:11]
	v_mov_b32_e32 v21, v9
	s_cbranch_vccnz .LBB173_510
; %bb.509:                              ;   in Loop: Header=BB173_497 Depth=1
	flat_load_dwordx2 v[21:22], v[17:18] offset:8
.LBB173_510:                            ;   in Loop: Header=BB173_497 Depth=1
	ds_read_b128 v[29:32], v25
	s_waitcnt vmcnt(0) lgkmcnt(0)
	v_mul_f64 v[33:34], v[21:22], v[31:32]
	v_mul_f64 v[31:32], v[19:20], v[31:32]
	v_fma_f64 v[19:20], v[19:20], v[29:30], -v[33:34]
	v_fma_f64 v[21:22], v[21:22], v[29:30], v[31:32]
	v_add_f64 v[13:14], v[13:14], v[19:20]
	v_add_f64 v[11:12], v[11:12], v[21:22]
.LBB173_511:                            ;   in Loop: Header=BB173_497 Depth=1
	s_or_b64 exec, exec, s[20:21]
	v_add_u32_e32 v15, 16, v15
	v_cmp_gt_i32_e32 vcc, s7, v15
	s_and_b64 s[26:27], vcc, s[8:9]
	s_and_saveexec_b64 s[20:21], s[26:27]
	s_cbranch_execz .LBB173_496
; %bb.512:                              ;   in Loop: Header=BB173_497 Depth=1
	v_mov_b32_e32 v20, v4
	s_and_b64 vcc, exec, s[10:11]
	v_mov_b32_e32 v19, v3
	s_cbranch_vccnz .LBB173_514
; %bb.513:                              ;   in Loop: Header=BB173_497 Depth=1
	flat_load_dwordx2 v[19:20], v[17:18] offset:256
.LBB173_514:                            ;   in Loop: Header=BB173_497 Depth=1
	v_mov_b32_e32 v22, v6
	s_and_b64 vcc, exec, s[10:11]
	v_mov_b32_e32 v21, v5
	s_cbranch_vccnz .LBB173_495
; %bb.515:                              ;   in Loop: Header=BB173_497 Depth=1
	flat_load_dwordx2 v[21:22], v[17:18] offset:264
	s_branch .LBB173_495
.LBB173_516:
	s_xor_b64 s[4:5], s[30:31], -1
	v_lshlrev_b32_e32 v1, 4, v1
	v_mov_b32_e32 v15, v11
	v_mov_b32_e32 v16, v12
	ds_write_b128 v1, v[13:16] offset:16384
	s_waitcnt lgkmcnt(0)
	s_barrier
	s_and_saveexec_b64 s[6:7], s[2:3]
	s_cbranch_execz .LBB173_518
; %bb.517:
	v_lshlrev_b32_e32 v15, 4, v0
	ds_read_b128 v[3:6], v15 offset:16896
	ds_read_b128 v[7:10], v15 offset:17408
	s_waitcnt lgkmcnt(1)
	v_add_f64 v[3:4], v[13:14], v[3:4]
	v_add_f64 v[5:6], v[11:12], v[5:6]
	s_waitcnt lgkmcnt(0)
	v_add_f64 v[11:12], v[3:4], v[7:8]
	v_add_f64 v[13:14], v[5:6], v[9:10]
	ds_read_b128 v[3:6], v15 offset:17920
	ds_read_b128 v[7:10], v15 offset:18432
	s_waitcnt lgkmcnt(1)
	v_add_f64 v[3:4], v[11:12], v[3:4]
	v_add_f64 v[5:6], v[13:14], v[5:6]
	s_waitcnt lgkmcnt(0)
	v_add_f64 v[11:12], v[3:4], v[7:8]
	v_add_f64 v[13:14], v[5:6], v[9:10]
	;; [unrolled: 8-line block ×7, first 2 shown]
	ds_read_b128 v[3:6], v15 offset:24064
	s_waitcnt lgkmcnt(0)
	v_add_f64 v[3:4], v[7:8], v[3:4]
	v_add_f64 v[5:6], v[9:10], v[5:6]
	v_xor_b32_e32 v4, 0x80000000, v4
	v_xor_b32_e32 v6, 0x80000000, v6
	v_cndmask_b32_e64 v13, v3, 0, s[16:17]
	v_cndmask_b32_e64 v14, v4, 0, s[16:17]
	;; [unrolled: 1-line block ×4, first 2 shown]
.LBB173_518:
	s_or_b64 exec, exec, s[6:7]
	s_and_b64 vcc, exec, s[0:1]
	s_cbranch_vccnz .LBB173_527
; %bb.519:
	v_mov_b32_e32 v3, 0x6000
	v_lshl_or_b32 v7, v2, 4, v3
	s_and_saveexec_b64 s[0:1], s[2:3]
; %bb.520:
	v_lshl_add_u32 v3, v0, 4, v7
	v_mov_b32_e32 v15, v11
	v_mov_b32_e32 v16, v12
	ds_write_b128 v3, v[13:16]
; %bb.521:
	s_or_b64 exec, exec, s[0:1]
	v_mov_b32_e32 v3, 0
	v_mov_b32_e32 v5, 0
	;; [unrolled: 1-line block ×4, first 2 shown]
	v_cmp_le_u32_e32 vcc, v2, v0
	s_waitcnt lgkmcnt(0)
	s_barrier
	s_and_saveexec_b64 s[0:1], vcc
	s_cbranch_execz .LBB173_523
; %bb.522:
	ds_read_b128 v[3:6], v7
	ds_read_b128 v[15:18], v1
	s_waitcnt lgkmcnt(0)
	v_mul_f64 v[8:9], v[5:6], v[17:18]
	v_mul_f64 v[17:18], v[3:4], v[17:18]
	v_fma_f64 v[3:4], v[3:4], v[15:16], -v[8:9]
	v_fma_f64 v[5:6], v[5:6], v[15:16], v[17:18]
	v_add_f64 v[3:4], v[3:4], 0
	v_add_f64 v[5:6], v[5:6], 0
.LBB173_523:
	s_or_b64 exec, exec, s[0:1]
	v_add_u32_e32 v2, 16, v2
	v_add_u32_e32 v8, 0x4000, v1
	v_cmp_ge_u32_e32 vcc, v0, v2
	s_and_saveexec_b64 s[0:1], vcc
	s_cbranch_execz .LBB173_525
; %bb.524:
	ds_read_b128 v[15:18], v7 offset:256
	ds_read_b128 v[19:22], v1 offset:8192
	s_waitcnt lgkmcnt(0)
	v_mul_f64 v[1:2], v[17:18], v[21:22]
	v_mul_f64 v[9:10], v[15:16], v[21:22]
	v_fma_f64 v[1:2], v[15:16], v[19:20], -v[1:2]
	v_fma_f64 v[9:10], v[17:18], v[19:20], v[9:10]
	v_add_f64 v[3:4], v[3:4], v[1:2]
	v_add_f64 v[5:6], v[5:6], v[9:10]
.LBB173_525:
	s_or_b64 exec, exec, s[0:1]
	s_mov_b64 s[6:7], 0
	s_mov_b64 s[0:1], 0
	ds_write_b128 v8, v[3:6]
	s_waitcnt lgkmcnt(0)
	s_barrier
                                        ; implicit-def: $vgpr7_vgpr8
                                        ; implicit-def: $vgpr9_vgpr10
                                        ; implicit-def: $vgpr1_vgpr2
	s_and_saveexec_b64 s[8:9], s[2:3]
	s_cbranch_execz .LBB173_540
; %bb.526:
	v_lshlrev_b32_e32 v19, 4, v0
	ds_read_b128 v[7:10], v19 offset:16896
	ds_read_b128 v[15:18], v19 offset:17408
	s_mov_b64 s[0:1], exec
	s_waitcnt lgkmcnt(1)
	v_add_f64 v[1:2], v[3:4], v[7:8]
	v_add_f64 v[3:4], v[5:6], v[9:10]
	s_waitcnt lgkmcnt(0)
	v_add_f64 v[9:10], v[1:2], v[15:16]
	v_add_f64 v[15:16], v[3:4], v[17:18]
	ds_read_b128 v[1:4], v19 offset:17920
	ds_read_b128 v[5:8], v19 offset:18432
	s_waitcnt lgkmcnt(1)
	v_add_f64 v[1:2], v[9:10], v[1:2]
	v_add_f64 v[3:4], v[15:16], v[3:4]
	s_waitcnt lgkmcnt(0)
	v_add_f64 v[9:10], v[1:2], v[5:6]
	v_add_f64 v[15:16], v[3:4], v[7:8]
	ds_read_b128 v[1:4], v19 offset:18944
	ds_read_b128 v[5:8], v19 offset:19456
	;; [unrolled: 8-line block ×6, first 2 shown]
	s_waitcnt lgkmcnt(1)
	v_add_f64 v[1:2], v[9:10], v[1:2]
	v_add_f64 v[3:4], v[15:16], v[3:4]
	v_add_u32_e32 v15, s33, v23
	s_waitcnt lgkmcnt(0)
	v_add_f64 v[9:10], v[1:2], v[5:6]
	v_add_f64 v[7:8], v[3:4], v[7:8]
	ds_read_b128 v[3:6], v19 offset:24064
	v_mad_u64_u32 v[1:2], s[10:11], s22, v15, 0
	s_waitcnt lgkmcnt(0)
	v_add_f64 v[9:10], v[9:10], v[3:4]
	v_add_f64 v[7:8], v[7:8], v[5:6]
	v_mad_u64_u32 v[2:3], s[10:11], s23, v15, v[2:3]
	s_or_b64 exec, exec, s[8:9]
	s_and_b64 vcc, exec, s[6:7]
	s_cbranch_vccnz .LBB173_528
	s_branch .LBB173_541
.LBB173_527:
	s_mov_b64 s[0:1], 0
                                        ; implicit-def: $vgpr7_vgpr8
                                        ; implicit-def: $vgpr9_vgpr10
                                        ; implicit-def: $vgpr1_vgpr2
	s_cbranch_execz .LBB173_541
.LBB173_528:
	v_mul_u32_u24_e32 v1, 0x210, v0
	v_lshlrev_b32_e32 v2, 9, v0
	v_sub_u32_e32 v2, v1, v2
	s_mov_b32 s8, 0
	v_mov_b32_e32 v3, 0
	v_mov_b32_e32 v4, v0
	s_branch .LBB173_530
.LBB173_529:                            ;   in Loop: Header=BB173_530 Depth=1
	s_or_b64 exec, exec, s[6:7]
	s_add_i32 s8, s8, 2
	v_add_u32_e32 v2, 0x400, v2
	s_cmp_lg_u32 s8, 32
	v_add_u32_e32 v4, -2, v4
	s_barrier
	s_cbranch_scc0 .LBB173_538
.LBB173_530:                            ; =>This Inner Loop Header: Depth=1
	v_cmp_eq_u32_e32 vcc, 0, v4
	s_and_b64 s[10:11], s[2:3], vcc
	s_and_saveexec_b64 s[6:7], s[10:11]
	s_cbranch_execz .LBB173_532
; %bb.531:                              ;   in Loop: Header=BB173_530 Depth=1
	ds_read_b128 v[5:8], v1
	s_waitcnt lgkmcnt(0)
	v_mul_f64 v[9:10], v[11:12], v[7:8]
	v_mul_f64 v[7:8], v[13:14], v[7:8]
	v_fma_f64 v[9:10], v[13:14], v[5:6], -v[9:10]
	v_fma_f64 v[11:12], v[11:12], v[5:6], v[7:8]
	v_mov_b32_e32 v14, v10
	v_mov_b32_e32 v13, v9
	ds_write_b128 v3, v[9:12] offset:25088
.LBB173_532:                            ;   in Loop: Header=BB173_530 Depth=1
	s_or_b64 exec, exec, s[6:7]
	v_cmp_lt_u32_e32 vcc, s8, v0
	s_and_b64 s[10:11], s[2:3], vcc
	s_waitcnt lgkmcnt(0)
	s_barrier
	s_and_saveexec_b64 s[6:7], s[10:11]
	s_cbranch_execz .LBB173_534
; %bb.533:                              ;   in Loop: Header=BB173_530 Depth=1
	ds_read_b128 v[5:8], v3 offset:25088
	ds_read_b128 v[15:18], v2
	s_waitcnt lgkmcnt(0)
	v_mul_f64 v[9:10], v[7:8], v[17:18]
	v_mul_f64 v[17:18], v[5:6], v[17:18]
	v_fma_f64 v[5:6], v[5:6], v[15:16], -v[9:10]
	v_fma_f64 v[7:8], v[7:8], v[15:16], v[17:18]
	v_add_f64 v[13:14], v[13:14], v[5:6]
	v_add_f64 v[11:12], v[11:12], v[7:8]
.LBB173_534:                            ;   in Loop: Header=BB173_530 Depth=1
	s_or_b64 exec, exec, s[6:7]
	s_or_b32 s9, s8, 1
	v_cmp_eq_u32_e32 vcc, s9, v0
	s_and_b64 s[10:11], s[2:3], vcc
	s_barrier
	s_and_saveexec_b64 s[6:7], s[10:11]
	s_cbranch_execz .LBB173_536
; %bb.535:                              ;   in Loop: Header=BB173_530 Depth=1
	ds_read_b128 v[5:8], v1
	s_waitcnt lgkmcnt(0)
	v_mul_f64 v[9:10], v[11:12], v[7:8]
	v_mul_f64 v[7:8], v[13:14], v[7:8]
	v_fma_f64 v[9:10], v[13:14], v[5:6], -v[9:10]
	v_fma_f64 v[11:12], v[11:12], v[5:6], v[7:8]
	v_mov_b32_e32 v14, v10
	v_mov_b32_e32 v13, v9
	ds_write_b128 v3, v[9:12] offset:25088
.LBB173_536:                            ;   in Loop: Header=BB173_530 Depth=1
	s_or_b64 exec, exec, s[6:7]
	v_cmp_lt_u32_e32 vcc, s9, v0
	s_and_b64 s[10:11], s[2:3], vcc
	s_waitcnt lgkmcnt(0)
	s_barrier
	s_and_saveexec_b64 s[6:7], s[10:11]
	s_cbranch_execz .LBB173_529
; %bb.537:                              ;   in Loop: Header=BB173_530 Depth=1
	ds_read_b128 v[5:8], v3 offset:25088
	ds_read_b128 v[15:18], v2 offset:512
	s_waitcnt lgkmcnt(0)
	v_mul_f64 v[9:10], v[7:8], v[17:18]
	v_mul_f64 v[17:18], v[5:6], v[17:18]
	v_fma_f64 v[5:6], v[5:6], v[15:16], -v[9:10]
	v_fma_f64 v[7:8], v[7:8], v[15:16], v[17:18]
	v_add_f64 v[13:14], v[13:14], v[5:6]
	v_add_f64 v[11:12], v[11:12], v[7:8]
	s_branch .LBB173_529
.LBB173_538:
	s_and_b64 vcc, exec, s[4:5]
	s_cbranch_vccz .LBB173_542
; %bb.539:
	s_and_b64 s[4:5], s[2:3], exec
	s_cbranch_execz .LBB173_543
	s_branch .LBB173_544
.LBB173_540:
	s_or_b64 exec, exec, s[8:9]
	s_and_b64 vcc, exec, s[6:7]
	s_cbranch_vccnz .LBB173_528
.LBB173_541:
	v_mov_b32_e32 v12, v8
	v_mov_b32_e32 v14, v10
	;; [unrolled: 1-line block ×4, first 2 shown]
	s_and_saveexec_b64 s[2:3], s[0:1]
	s_cbranch_execnz .LBB173_547
	s_branch .LBB173_548
.LBB173_542:
	s_mov_b64 s[4:5], 0
.LBB173_543:
	v_cmp_gt_i32_e32 vcc, s93, v0
	s_and_b64 s[2:3], s[2:3], vcc
	s_andn2_b64 s[4:5], s[4:5], exec
	s_and_b64 s[2:3], s[2:3], exec
	s_or_b64 s[4:5], s[4:5], s[2:3]
.LBB173_544:
                                        ; implicit-def: $vgpr1_vgpr2
	s_and_saveexec_b64 s[2:3], s[4:5]
	s_cbranch_execz .LBB173_546
; %bb.545:
	v_mov_b32_e32 v0, s92
	v_add_co_u32_e32 v1, vcc, s33, v23
	v_addc_co_u32_e32 v0, vcc, 0, v0, vcc
	v_mul_lo_u32 v0, v0, s22
	v_mul_lo_u32 v3, v1, s23
	v_mad_u64_u32 v[1:2], s[4:5], v1, s22, 0
	s_or_b64 s[0:1], s[0:1], exec
	v_add3_u32 v2, v2, v3, v0
.LBB173_546:
	s_or_b64 exec, exec, s[2:3]
	s_and_saveexec_b64 s[2:3], s[0:1]
	s_cbranch_execz .LBB173_548
.LBB173_547:
	v_lshlrev_b64 v[0:1], 4, v[1:2]
	v_mov_b32_e32 v2, s37
	v_add_co_u32_e32 v0, vcc, s36, v0
	v_addc_co_u32_e32 v1, vcc, v2, v1, vcc
	v_mov_b32_e32 v15, v11
	v_mov_b32_e32 v16, v12
	flat_store_dwordx4 v[0:1], v[13:16]
.LBB173_548:
	s_or_b64 exec, exec, s[2:3]
	v_cmp_eq_u32_e32 vcc, 0, v23
	s_waitcnt vmcnt(0) lgkmcnt(0)
	buffer_wbinvl1_vol
	s_barrier
	s_and_saveexec_b64 s[0:1], vcc
	s_cbranch_execz .LBB173_550
; %bb.549:
	s_lshl_b64 s[2:3], s[28:29], 2
	s_add_u32 s2, s14, s2
	s_addc_u32 s3, s15, s3
	v_mov_b32_e32 v0, 0
	global_load_dword v1, v0, s[2:3]
	s_waitcnt vmcnt(0)
	v_add_u32_e32 v1, 1, v1
	global_store_dword v0, v1, s[2:3]
.LBB173_550:
	s_or_b64 exec, exec, s[0:1]
	s_waitcnt vmcnt(0)
	buffer_wbinvl1_vol
	s_endpgm
.LBB173_551:
	ds_read_b128 v[24:27], v23 offset:14800
	ds_read_b128 v[28:31], v22 offset:15232
	s_waitcnt lgkmcnt(0)
	v_mul_f64 v[32:33], v[26:27], v[30:31]
	v_mul_f64 v[30:31], v[24:25], v[30:31]
	v_fma_f64 v[24:25], v[24:25], v[28:29], -v[32:33]
	v_fma_f64 v[26:27], v[26:27], v[28:29], v[30:31]
	v_add_f64 v[11:12], v[11:12], v[24:25]
	v_add_f64 v[13:14], v[13:14], v[26:27]
	s_or_b64 exec, exec, s[18:19]
	v_cmp_gt_u32_e64 s[12:13], 8, v18
	s_and_saveexec_b64 s[18:19], s[12:13]
	s_cbranch_execz .LBB173_89
.LBB173_552:
	ds_read_b128 v[23:26], v23 offset:14816
	ds_read_b128 v[27:30], v22 offset:15744
	s_waitcnt lgkmcnt(0)
	v_mul_f64 v[31:32], v[25:26], v[29:30]
	v_mul_f64 v[29:30], v[23:24], v[29:30]
	v_fma_f64 v[22:23], v[23:24], v[27:28], -v[31:32]
	v_fma_f64 v[24:25], v[25:26], v[27:28], v[29:30]
	v_add_f64 v[11:12], v[11:12], v[22:23]
	v_add_f64 v[13:14], v[13:14], v[24:25]
	s_or_b64 exec, exec, s[18:19]
	v_cmp_gt_u32_e64 s[12:13], 4, v18
	s_and_saveexec_b64 s[18:19], s[12:13]
	s_cbranch_execnz .LBB173_90
	s_branch .LBB173_91
.LBB173_553:
	ds_read_b128 v[27:30], v26 offset:12688
	ds_read_b128 v[31:34], v25 offset:13056
	s_waitcnt lgkmcnt(0)
	v_mul_f64 v[35:36], v[29:30], v[33:34]
	v_mul_f64 v[33:34], v[27:28], v[33:34]
	v_fma_f64 v[27:28], v[27:28], v[31:32], -v[35:36]
	v_fma_f64 v[29:30], v[29:30], v[31:32], v[33:34]
	v_add_f64 v[11:12], v[11:12], v[27:28]
	v_add_f64 v[13:14], v[13:14], v[29:30]
	s_or_b64 exec, exec, s[58:59]
	v_cmp_gt_u32_e64 s[14:15], 48, v18
	s_and_saveexec_b64 s[58:59], s[14:15]
	s_cbranch_execz .LBB173_131
.LBB173_554:
	ds_read_b128 v[27:30], v26 offset:12704
	ds_read_b128 v[31:34], v25 offset:13568
	s_waitcnt lgkmcnt(0)
	v_mul_f64 v[35:36], v[29:30], v[33:34]
	v_mul_f64 v[33:34], v[27:28], v[33:34]
	v_fma_f64 v[27:28], v[27:28], v[31:32], -v[35:36]
	v_fma_f64 v[29:30], v[29:30], v[31:32], v[33:34]
	v_add_f64 v[11:12], v[11:12], v[27:28]
	v_add_f64 v[13:14], v[13:14], v[29:30]
	s_or_b64 exec, exec, s[58:59]
	v_cmp_gt_u32_e64 s[14:15], 40, v18
	s_and_saveexec_b64 s[58:59], s[14:15]
	s_cbranch_execz .LBB173_132
.LBB173_555:
	ds_read_b128 v[27:30], v26 offset:12720
	ds_read_b128 v[31:34], v25 offset:14080
	s_waitcnt lgkmcnt(0)
	v_mul_f64 v[35:36], v[29:30], v[33:34]
	v_mul_f64 v[33:34], v[27:28], v[33:34]
	v_fma_f64 v[27:28], v[27:28], v[31:32], -v[35:36]
	v_fma_f64 v[29:30], v[29:30], v[31:32], v[33:34]
	v_add_f64 v[11:12], v[11:12], v[27:28]
	v_add_f64 v[13:14], v[13:14], v[29:30]
	s_or_b64 exec, exec, s[58:59]
	v_cmp_gt_u32_e64 s[14:15], 32, v18
	s_and_saveexec_b64 s[58:59], s[14:15]
	s_cbranch_execz .LBB173_133
.LBB173_556:
	ds_read_b128 v[27:30], v26 offset:12736
	ds_read_b128 v[31:34], v25 offset:14592
	s_waitcnt lgkmcnt(0)
	v_mul_f64 v[35:36], v[29:30], v[33:34]
	v_mul_f64 v[33:34], v[27:28], v[33:34]
	v_fma_f64 v[27:28], v[27:28], v[31:32], -v[35:36]
	v_fma_f64 v[29:30], v[29:30], v[31:32], v[33:34]
	v_add_f64 v[11:12], v[11:12], v[27:28]
	v_add_f64 v[13:14], v[13:14], v[29:30]
	s_or_b64 exec, exec, s[58:59]
	v_cmp_gt_u32_e64 s[14:15], 24, v18
	s_and_saveexec_b64 s[58:59], s[14:15]
	s_cbranch_execz .LBB173_134
.LBB173_557:
	ds_read_b128 v[27:30], v26 offset:12752
	ds_read_b128 v[31:34], v25 offset:15104
	s_waitcnt lgkmcnt(0)
	v_mul_f64 v[35:36], v[29:30], v[33:34]
	v_mul_f64 v[33:34], v[27:28], v[33:34]
	v_fma_f64 v[27:28], v[27:28], v[31:32], -v[35:36]
	v_fma_f64 v[29:30], v[29:30], v[31:32], v[33:34]
	v_add_f64 v[11:12], v[11:12], v[27:28]
	v_add_f64 v[13:14], v[13:14], v[29:30]
	s_or_b64 exec, exec, s[58:59]
	s_and_saveexec_b64 s[14:15], s[16:17]
	s_cbranch_execz .LBB173_135
.LBB173_558:
	ds_read_b128 v[26:29], v26 offset:12768
	ds_read_b128 v[30:33], v25 offset:15616
	s_waitcnt lgkmcnt(0)
	v_mul_f64 v[34:35], v[28:29], v[32:33]
	v_mul_f64 v[32:33], v[26:27], v[32:33]
	v_fma_f64 v[25:26], v[26:27], v[30:31], -v[34:35]
	v_fma_f64 v[27:28], v[28:29], v[30:31], v[32:33]
	v_add_f64 v[11:12], v[11:12], v[25:26]
	v_add_f64 v[13:14], v[13:14], v[27:28]
	s_or_b64 exec, exec, s[14:15]
	v_cmp_gt_u32_e64 s[14:15], 8, v18
	s_and_saveexec_b64 s[58:59], s[14:15]
	s_cbranch_execnz .LBB173_136
	s_branch .LBB173_137
.LBB173_559:
	ds_read_b128 v[27:30], v26 offset:10576
	ds_read_b128 v[31:34], v25 offset:11008
	s_waitcnt lgkmcnt(0)
	v_mul_f64 v[35:36], v[29:30], v[33:34]
	v_mul_f64 v[33:34], v[27:28], v[33:34]
	v_fma_f64 v[27:28], v[27:28], v[31:32], -v[35:36]
	v_fma_f64 v[29:30], v[29:30], v[31:32], v[33:34]
	v_add_f64 v[11:12], v[11:12], v[27:28]
	v_add_f64 v[13:14], v[13:14], v[29:30]
	s_or_b64 exec, exec, s[18:19]
	v_cmp_gt_u32_e64 s[12:13], 8, v18
	s_and_saveexec_b64 s[18:19], s[12:13]
	s_cbranch_execz .LBB173_193
.LBB173_560:
	ds_read_b128 v[26:29], v26 offset:10592
	ds_read_b128 v[30:33], v25 offset:11520
	s_waitcnt lgkmcnt(0)
	v_mul_f64 v[34:35], v[28:29], v[32:33]
	v_mul_f64 v[32:33], v[26:27], v[32:33]
	v_fma_f64 v[25:26], v[26:27], v[30:31], -v[34:35]
	v_fma_f64 v[27:28], v[28:29], v[30:31], v[32:33]
	v_add_f64 v[11:12], v[11:12], v[25:26]
	v_add_f64 v[13:14], v[13:14], v[27:28]
	s_or_b64 exec, exec, s[18:19]
	v_cmp_gt_u32_e64 s[12:13], 4, v18
	s_and_saveexec_b64 s[18:19], s[12:13]
	s_cbranch_execnz .LBB173_194
	s_branch .LBB173_195
.LBB173_561:
	ds_read_b128 v[30:33], v29 offset:8624
	ds_read_b128 v[34:37], v28 offset:13824
	s_waitcnt lgkmcnt(0)
	v_mul_f64 v[38:39], v[32:33], v[36:37]
	v_mul_f64 v[36:37], v[30:31], v[36:37]
	v_fma_f64 v[30:31], v[30:31], v[34:35], -v[38:39]
	v_fma_f64 v[32:33], v[32:33], v[34:35], v[36:37]
	v_add_f64 v[11:12], v[11:12], v[30:31]
	v_add_f64 v[13:14], v[13:14], v[32:33]
	s_or_b64 exec, exec, s[90:91]
	s_and_saveexec_b64 s[18:19], s[8:9]
	s_cbranch_execz .LBB173_255
.LBB173_562:
	ds_read_b128 v[30:33], v29 offset:8640
	ds_read_b128 v[34:37], v28 offset:14336
	s_waitcnt lgkmcnt(0)
	v_mul_f64 v[38:39], v[32:33], v[36:37]
	v_mul_f64 v[36:37], v[30:31], v[36:37]
	v_fma_f64 v[30:31], v[30:31], v[34:35], -v[38:39]
	v_fma_f64 v[32:33], v[32:33], v[34:35], v[36:37]
	v_add_f64 v[11:12], v[11:12], v[30:31]
	v_add_f64 v[13:14], v[13:14], v[32:33]
	s_or_b64 exec, exec, s[18:19]
	v_cmp_gt_u32_e64 s[18:19], 48, v18
	s_and_saveexec_b64 s[90:91], s[18:19]
	s_cbranch_execz .LBB173_256
.LBB173_563:
	ds_read_b128 v[30:33], v29 offset:8656
	ds_read_b128 v[34:37], v28 offset:14848
	s_waitcnt lgkmcnt(0)
	v_mul_f64 v[38:39], v[32:33], v[36:37]
	v_mul_f64 v[36:37], v[30:31], v[36:37]
	v_fma_f64 v[30:31], v[30:31], v[34:35], -v[38:39]
	v_fma_f64 v[32:33], v[32:33], v[34:35], v[36:37]
	v_add_f64 v[11:12], v[11:12], v[30:31]
	v_add_f64 v[13:14], v[13:14], v[32:33]
	s_or_b64 exec, exec, s[90:91]
	v_cmp_gt_u32_e64 s[18:19], 32, v18
	s_and_saveexec_b64 s[90:91], s[18:19]
	s_cbranch_execz .LBB173_257
.LBB173_564:
	ds_read_b128 v[29:32], v29 offset:8672
	ds_read_b128 v[33:36], v28 offset:15360
	s_waitcnt lgkmcnt(0)
	v_mul_f64 v[37:38], v[31:32], v[35:36]
	v_mul_f64 v[35:36], v[29:30], v[35:36]
	v_fma_f64 v[28:29], v[29:30], v[33:34], -v[37:38]
	v_fma_f64 v[30:31], v[31:32], v[33:34], v[35:36]
	v_add_f64 v[11:12], v[11:12], v[28:29]
	v_add_f64 v[13:14], v[13:14], v[30:31]
	s_or_b64 exec, exec, s[90:91]
	v_cmp_gt_u32_e64 s[18:19], 16, v18
	s_and_saveexec_b64 s[90:91], s[18:19]
	s_cbranch_execnz .LBB173_258
	s_branch .LBB173_259
.LBB173_565:
	ds_read_b128 v[27:30], v26 offset:6352
	ds_read_b128 v[31:34], v25 offset:6784
	s_waitcnt lgkmcnt(0)
	v_mul_f64 v[35:36], v[29:30], v[33:34]
	v_mul_f64 v[33:34], v[27:28], v[33:34]
	v_fma_f64 v[27:28], v[27:28], v[31:32], -v[35:36]
	v_fma_f64 v[29:30], v[29:30], v[31:32], v[33:34]
	v_add_f64 v[11:12], v[11:12], v[27:28]
	v_add_f64 v[13:14], v[13:14], v[29:30]
	s_or_b64 exec, exec, s[14:15]
	v_cmp_gt_u32_e64 s[10:11], 8, v18
	s_and_saveexec_b64 s[14:15], s[10:11]
	s_cbranch_execz .LBB173_347
.LBB173_566:
	ds_read_b128 v[26:29], v26 offset:6368
	ds_read_b128 v[30:33], v25 offset:7296
	s_waitcnt lgkmcnt(0)
	v_mul_f64 v[34:35], v[28:29], v[32:33]
	v_mul_f64 v[32:33], v[26:27], v[32:33]
	v_fma_f64 v[25:26], v[26:27], v[30:31], -v[34:35]
	v_fma_f64 v[27:28], v[28:29], v[30:31], v[32:33]
	v_add_f64 v[11:12], v[11:12], v[25:26]
	v_add_f64 v[13:14], v[13:14], v[27:28]
	s_or_b64 exec, exec, s[14:15]
	v_cmp_gt_u32_e64 s[10:11], 4, v18
	s_and_saveexec_b64 s[14:15], s[10:11]
	s_cbranch_execnz .LBB173_348
	s_branch .LBB173_349
.LBB173_567:
	ds_read_b128 v[27:30], v26 offset:4240
	ds_read_b128 v[31:34], v25 offset:4608
	s_waitcnt lgkmcnt(0)
	v_mul_f64 v[35:36], v[29:30], v[33:34]
	v_mul_f64 v[33:34], v[27:28], v[33:34]
	v_fma_f64 v[27:28], v[27:28], v[31:32], -v[35:36]
	v_fma_f64 v[29:30], v[29:30], v[31:32], v[33:34]
	v_add_f64 v[11:12], v[11:12], v[27:28]
	v_add_f64 v[13:14], v[13:14], v[29:30]
	s_or_b64 exec, exec, s[14:15]
	v_cmp_gt_u32_e64 s[10:11], 48, v18
	s_and_saveexec_b64 s[14:15], s[10:11]
	s_cbranch_execz .LBB173_389
.LBB173_568:
	ds_read_b128 v[27:30], v26 offset:4256
	ds_read_b128 v[31:34], v25 offset:5120
	s_waitcnt lgkmcnt(0)
	v_mul_f64 v[35:36], v[29:30], v[33:34]
	v_mul_f64 v[33:34], v[27:28], v[33:34]
	v_fma_f64 v[27:28], v[27:28], v[31:32], -v[35:36]
	v_fma_f64 v[29:30], v[29:30], v[31:32], v[33:34]
	v_add_f64 v[11:12], v[11:12], v[27:28]
	v_add_f64 v[13:14], v[13:14], v[29:30]
	s_or_b64 exec, exec, s[14:15]
	v_cmp_gt_u32_e64 s[10:11], 40, v18
	s_and_saveexec_b64 s[14:15], s[10:11]
	s_cbranch_execz .LBB173_390
.LBB173_569:
	ds_read_b128 v[27:30], v26 offset:4272
	ds_read_b128 v[31:34], v25 offset:5632
	s_waitcnt lgkmcnt(0)
	v_mul_f64 v[35:36], v[29:30], v[33:34]
	v_mul_f64 v[33:34], v[27:28], v[33:34]
	v_fma_f64 v[27:28], v[27:28], v[31:32], -v[35:36]
	v_fma_f64 v[29:30], v[29:30], v[31:32], v[33:34]
	v_add_f64 v[11:12], v[11:12], v[27:28]
	v_add_f64 v[13:14], v[13:14], v[29:30]
	s_or_b64 exec, exec, s[14:15]
	v_cmp_gt_u32_e64 s[10:11], 32, v18
	s_and_saveexec_b64 s[14:15], s[10:11]
	s_cbranch_execz .LBB173_391
.LBB173_570:
	ds_read_b128 v[27:30], v26 offset:4288
	ds_read_b128 v[31:34], v25 offset:6144
	s_waitcnt lgkmcnt(0)
	v_mul_f64 v[35:36], v[29:30], v[33:34]
	v_mul_f64 v[33:34], v[27:28], v[33:34]
	v_fma_f64 v[27:28], v[27:28], v[31:32], -v[35:36]
	v_fma_f64 v[29:30], v[29:30], v[31:32], v[33:34]
	v_add_f64 v[11:12], v[11:12], v[27:28]
	v_add_f64 v[13:14], v[13:14], v[29:30]
	s_or_b64 exec, exec, s[14:15]
	v_cmp_gt_u32_e64 s[10:11], 24, v18
	s_and_saveexec_b64 s[14:15], s[10:11]
	s_cbranch_execz .LBB173_392
.LBB173_571:
	ds_read_b128 v[27:30], v26 offset:4304
	ds_read_b128 v[31:34], v25 offset:6656
	s_waitcnt lgkmcnt(0)
	v_mul_f64 v[35:36], v[29:30], v[33:34]
	v_mul_f64 v[33:34], v[27:28], v[33:34]
	v_fma_f64 v[27:28], v[27:28], v[31:32], -v[35:36]
	v_fma_f64 v[29:30], v[29:30], v[31:32], v[33:34]
	v_add_f64 v[11:12], v[11:12], v[27:28]
	v_add_f64 v[13:14], v[13:14], v[29:30]
	s_or_b64 exec, exec, s[14:15]
	s_and_saveexec_b64 s[10:11], s[16:17]
	s_cbranch_execz .LBB173_393
.LBB173_572:
	ds_read_b128 v[26:29], v26 offset:4320
	ds_read_b128 v[30:33], v25 offset:7168
	s_waitcnt lgkmcnt(0)
	v_mul_f64 v[34:35], v[28:29], v[32:33]
	v_mul_f64 v[32:33], v[26:27], v[32:33]
	v_fma_f64 v[25:26], v[26:27], v[30:31], -v[34:35]
	v_fma_f64 v[27:28], v[28:29], v[30:31], v[32:33]
	v_add_f64 v[11:12], v[11:12], v[25:26]
	v_add_f64 v[13:14], v[13:14], v[27:28]
	s_or_b64 exec, exec, s[10:11]
	v_cmp_gt_u32_e64 s[10:11], 8, v18
	s_and_saveexec_b64 s[14:15], s[10:11]
	s_cbranch_execnz .LBB173_394
	s_branch .LBB173_395
.LBB173_573:
	ds_read_b128 v[24:27], v23 offset:2128
	ds_read_b128 v[28:31], v22 offset:2560
	s_waitcnt lgkmcnt(0)
	v_mul_f64 v[32:33], v[26:27], v[30:31]
	v_mul_f64 v[30:31], v[24:25], v[30:31]
	v_fma_f64 v[24:25], v[24:25], v[28:29], -v[32:33]
	v_fma_f64 v[26:27], v[26:27], v[28:29], v[30:31]
	v_add_f64 v[11:12], v[11:12], v[24:25]
	v_add_f64 v[13:14], v[13:14], v[26:27]
	s_or_b64 exec, exec, s[12:13]
	v_cmp_gt_u32_e64 s[8:9], 8, v18
	s_and_saveexec_b64 s[12:13], s[8:9]
	s_cbranch_execz .LBB173_451
.LBB173_574:
	ds_read_b128 v[23:26], v23 offset:2144
	ds_read_b128 v[27:30], v22 offset:3072
	s_waitcnt lgkmcnt(0)
	v_mul_f64 v[31:32], v[25:26], v[29:30]
	v_mul_f64 v[29:30], v[23:24], v[29:30]
	v_fma_f64 v[22:23], v[23:24], v[27:28], -v[31:32]
	v_fma_f64 v[24:25], v[25:26], v[27:28], v[29:30]
	v_add_f64 v[11:12], v[11:12], v[22:23]
	v_add_f64 v[13:14], v[13:14], v[24:25]
	s_or_b64 exec, exec, s[12:13]
	v_cmp_gt_u32_e64 s[8:9], 4, v18
	s_and_saveexec_b64 s[12:13], s[8:9]
	s_cbranch_execnz .LBB173_452
	s_branch .LBB173_453
	.section	.rodata,"a",@progbits
	.p2align	6, 0x0
	.amdhsa_kernel _ZL19rocblas_trsv_deviceILi32ELi16ELb0ELb1ELb0ELb0E19rocblas_complex_numIdEPKS1_PKS3_PKPS1_EviT7_lllT6_T8_lllPii
		.amdhsa_group_segment_fixed_size 25104
		.amdhsa_private_segment_fixed_size 0
		.amdhsa_kernarg_size 352
		.amdhsa_user_sgpr_count 6
		.amdhsa_user_sgpr_private_segment_buffer 1
		.amdhsa_user_sgpr_dispatch_ptr 0
		.amdhsa_user_sgpr_queue_ptr 0
		.amdhsa_user_sgpr_kernarg_segment_ptr 1
		.amdhsa_user_sgpr_dispatch_id 0
		.amdhsa_user_sgpr_flat_scratch_init 0
		.amdhsa_user_sgpr_private_segment_size 0
		.amdhsa_uses_dynamic_stack 0
		.amdhsa_system_sgpr_private_segment_wavefront_offset 0
		.amdhsa_system_sgpr_workgroup_id_x 1
		.amdhsa_system_sgpr_workgroup_id_y 0
		.amdhsa_system_sgpr_workgroup_id_z 1
		.amdhsa_system_sgpr_workgroup_info 0
		.amdhsa_system_vgpr_workitem_id 1
		.amdhsa_next_free_vgpr 49
		.amdhsa_next_free_sgpr 98
		.amdhsa_reserve_vcc 1
		.amdhsa_reserve_flat_scratch 0
		.amdhsa_float_round_mode_32 0
		.amdhsa_float_round_mode_16_64 0
		.amdhsa_float_denorm_mode_32 3
		.amdhsa_float_denorm_mode_16_64 3
		.amdhsa_dx10_clamp 1
		.amdhsa_ieee_mode 1
		.amdhsa_fp16_overflow 0
		.amdhsa_exception_fp_ieee_invalid_op 0
		.amdhsa_exception_fp_denorm_src 0
		.amdhsa_exception_fp_ieee_div_zero 0
		.amdhsa_exception_fp_ieee_overflow 0
		.amdhsa_exception_fp_ieee_underflow 0
		.amdhsa_exception_fp_ieee_inexact 0
		.amdhsa_exception_int_div_zero 0
	.end_amdhsa_kernel
	.section	.text._ZL19rocblas_trsv_deviceILi32ELi16ELb0ELb1ELb0ELb0E19rocblas_complex_numIdEPKS1_PKS3_PKPS1_EviT7_lllT6_T8_lllPii,"axG",@progbits,_ZL19rocblas_trsv_deviceILi32ELi16ELb0ELb1ELb0ELb0E19rocblas_complex_numIdEPKS1_PKS3_PKPS1_EviT7_lllT6_T8_lllPii,comdat
.Lfunc_end173:
	.size	_ZL19rocblas_trsv_deviceILi32ELi16ELb0ELb1ELb0ELb0E19rocblas_complex_numIdEPKS1_PKS3_PKPS1_EviT7_lllT6_T8_lllPii, .Lfunc_end173-_ZL19rocblas_trsv_deviceILi32ELi16ELb0ELb1ELb0ELb0E19rocblas_complex_numIdEPKS1_PKS3_PKPS1_EviT7_lllT6_T8_lllPii
                                        ; -- End function
	.set _ZL19rocblas_trsv_deviceILi32ELi16ELb0ELb1ELb0ELb0E19rocblas_complex_numIdEPKS1_PKS3_PKPS1_EviT7_lllT6_T8_lllPii.num_vgpr, 40
	.set _ZL19rocblas_trsv_deviceILi32ELi16ELb0ELb1ELb0ELb0E19rocblas_complex_numIdEPKS1_PKS3_PKPS1_EviT7_lllT6_T8_lllPii.num_agpr, 0
	.set _ZL19rocblas_trsv_deviceILi32ELi16ELb0ELb1ELb0ELb0E19rocblas_complex_numIdEPKS1_PKS3_PKPS1_EviT7_lllT6_T8_lllPii.numbered_sgpr, 96
	.set _ZL19rocblas_trsv_deviceILi32ELi16ELb0ELb1ELb0ELb0E19rocblas_complex_numIdEPKS1_PKS3_PKPS1_EviT7_lllT6_T8_lllPii.num_named_barrier, 0
	.set _ZL19rocblas_trsv_deviceILi32ELi16ELb0ELb1ELb0ELb0E19rocblas_complex_numIdEPKS1_PKS3_PKPS1_EviT7_lllT6_T8_lllPii.private_seg_size, 0
	.set _ZL19rocblas_trsv_deviceILi32ELi16ELb0ELb1ELb0ELb0E19rocblas_complex_numIdEPKS1_PKS3_PKPS1_EviT7_lllT6_T8_lllPii.uses_vcc, 1
	.set _ZL19rocblas_trsv_deviceILi32ELi16ELb0ELb1ELb0ELb0E19rocblas_complex_numIdEPKS1_PKS3_PKPS1_EviT7_lllT6_T8_lllPii.uses_flat_scratch, 0
	.set _ZL19rocblas_trsv_deviceILi32ELi16ELb0ELb1ELb0ELb0E19rocblas_complex_numIdEPKS1_PKS3_PKPS1_EviT7_lllT6_T8_lllPii.has_dyn_sized_stack, 0
	.set _ZL19rocblas_trsv_deviceILi32ELi16ELb0ELb1ELb0ELb0E19rocblas_complex_numIdEPKS1_PKS3_PKPS1_EviT7_lllT6_T8_lllPii.has_recursion, 0
	.set _ZL19rocblas_trsv_deviceILi32ELi16ELb0ELb1ELb0ELb0E19rocblas_complex_numIdEPKS1_PKS3_PKPS1_EviT7_lllT6_T8_lllPii.has_indirect_call, 0
	.section	.AMDGPU.csdata,"",@progbits
; Kernel info:
; codeLenInByte = 28932
; TotalNumSgprs: 100
; NumVgprs: 40
; ScratchSize: 0
; MemoryBound: 1
; FloatMode: 240
; IeeeMode: 1
; LDSByteSize: 25104 bytes/workgroup (compile time only)
; SGPRBlocks: 12
; VGPRBlocks: 12
; NumSGPRsForWavesPerEU: 102
; NumVGPRsForWavesPerEU: 49
; Occupancy: 4
; WaveLimiterHint : 1
; COMPUTE_PGM_RSRC2:SCRATCH_EN: 0
; COMPUTE_PGM_RSRC2:USER_SGPR: 6
; COMPUTE_PGM_RSRC2:TRAP_HANDLER: 0
; COMPUTE_PGM_RSRC2:TGID_X_EN: 1
; COMPUTE_PGM_RSRC2:TGID_Y_EN: 0
; COMPUTE_PGM_RSRC2:TGID_Z_EN: 1
; COMPUTE_PGM_RSRC2:TIDIG_COMP_CNT: 1
	.section	.text._ZL19rocblas_trsv_deviceILi32ELi16ELb0ELb1ELb1ELb0E19rocblas_complex_numIdEPKS1_PKS3_PKPS1_EviT7_lllT6_T8_lllPii,"axG",@progbits,_ZL19rocblas_trsv_deviceILi32ELi16ELb0ELb1ELb1ELb0E19rocblas_complex_numIdEPKS1_PKS3_PKPS1_EviT7_lllT6_T8_lllPii,comdat
	.globl	_ZL19rocblas_trsv_deviceILi32ELi16ELb0ELb1ELb1ELb0E19rocblas_complex_numIdEPKS1_PKS3_PKPS1_EviT7_lllT6_T8_lllPii ; -- Begin function _ZL19rocblas_trsv_deviceILi32ELi16ELb0ELb1ELb1ELb0E19rocblas_complex_numIdEPKS1_PKS3_PKPS1_EviT7_lllT6_T8_lllPii
	.p2align	8
	.type	_ZL19rocblas_trsv_deviceILi32ELi16ELb0ELb1ELb1ELb0E19rocblas_complex_numIdEPKS1_PKS3_PKPS1_EviT7_lllT6_T8_lllPii,@function
_ZL19rocblas_trsv_deviceILi32ELi16ELb0ELb1ELb1ELb0E19rocblas_complex_numIdEPKS1_PKS3_PKPS1_EviT7_lllT6_T8_lllPii: ; @_ZL19rocblas_trsv_deviceILi32ELi16ELb0ELb1ELb1ELb0E19rocblas_complex_numIdEPKS1_PKS3_PKPS1_EviT7_lllT6_T8_lllPii
; %bb.0:
	s_load_dwordx4 s[0:3], s[4:5], 0x8
	s_mov_b32 s28, s7
	s_mov_b32 s29, 0
	s_lshl_b64 s[8:9], s[28:29], 3
	v_mov_b32_e32 v2, v1
	s_waitcnt lgkmcnt(0)
	s_add_u32 s0, s0, s8
	s_addc_u32 s1, s1, s9
	s_load_dwordx2 s[10:11], s[0:1], 0x0
	s_load_dword s7, s[4:5], 0x0
	s_load_dwordx8 s[16:23], s[4:5], 0x28
	s_load_dwordx2 s[34:35], s[4:5], 0x18
	s_lshl_b64 s[0:1], s[2:3], 4
	s_waitcnt lgkmcnt(0)
	s_add_u32 s94, s10, s0
	s_addc_u32 s95, s11, s1
	s_add_u32 s0, s18, s8
	s_addc_u32 s1, s19, s9
	s_load_dwordx2 s[36:37], s[0:1], 0x0
	s_load_dwordx4 s[24:27], s[16:17], 0x0
	s_load_dword s46, s[4:5], 0x6c
	s_cmp_eq_u32 s6, 0
	s_cbranch_scc1 .LBB174_6
; %bb.1:
	s_lshl_b32 s33, s6, 5
	v_add_u32_e32 v1, s33, v0
	v_ashrrev_i32_e32 v3, 31, v1
	v_mul_lo_u32 v7, s34, v3
	v_mul_lo_u32 v8, s35, v1
	v_mad_u64_u32 v[5:6], s[0:1], s34, v1, 0
	v_add_u32_e32 v3, s33, v2
	v_subrev_u32_e32 v3, 32, v3
	v_add3_u32 v6, v6, v7, v8
	v_lshlrev_b64 v[5:6], 4, v[5:6]
	v_ashrrev_i32_e32 v4, 31, v3
	v_cmp_gt_i32_e32 vcc, s7, v1
	v_mov_b32_e32 v1, s95
	v_add_co_u32_e64 v7, s[0:1], s94, v5
	v_lshlrev_b64 v[4:5], 4, v[3:4]
	v_addc_co_u32_e64 v1, s[0:1], v1, v6, s[0:1]
	v_add_co_u32_e64 v11, s[0:1], v7, v4
	v_addc_co_u32_e64 v12, s[0:1], v1, v5, s[0:1]
	v_cmp_gt_i32_e64 s[0:1], s7, v3
	v_mov_b32_e32 v5, 0
	v_mov_b32_e32 v7, 0
	;; [unrolled: 1-line block ×6, first 2 shown]
	s_and_b64 s[2:3], s[0:1], vcc
	s_waitcnt lgkmcnt(0)
	s_barrier
	s_and_saveexec_b64 s[0:1], s[2:3]
	s_cbranch_execz .LBB174_3
; %bb.2:
	flat_load_dwordx4 v[7:10], v[11:12]
.LBB174_3:
	s_or_b64 exec, exec, s[0:1]
	v_add_u32_e32 v1, 16, v3
	v_cmp_gt_i32_e64 s[0:1], s7, v1
	v_mov_b32_e32 v3, 0
	v_mov_b32_e32 v4, 0
	s_and_b64 s[2:3], s[0:1], vcc
	s_waitcnt vmcnt(0) lgkmcnt(0)
	s_barrier
	s_and_saveexec_b64 s[0:1], s[2:3]
	s_cbranch_execz .LBB174_5
; %bb.4:
	flat_load_dwordx4 v[3:6], v[11:12] offset:256
.LBB174_5:
	s_or_b64 exec, exec, s[0:1]
	s_branch .LBB174_7
.LBB174_6:
                                        ; implicit-def: $vgpr5_vgpr6
                                        ; implicit-def: $vgpr9_vgpr10
	s_mov_b32 s33, s29
.LBB174_7:
	s_ashr_i32 s0, s7, 31
	s_lshr_b32 s0, s0, 27
	s_add_i32 s0, s7, s0
	s_andn2_b32 s0, s0, 31
	s_sub_i32 s93, s7, s0
	s_add_i32 s0, s7, -1
	s_ashr_i32 s1, s0, 31
	s_lshr_b32 s1, s1, 27
	s_add_i32 s0, s0, s1
	s_ashr_i32 s0, s0, 5
	s_cmp_eq_u32 s0, s6
	s_cselect_b64 s[0:1], -1, 0
	s_cmp_lg_u32 s93, 0
	s_cselect_b64 s[2:3], -1, 0
	s_and_b64 s[30:31], s[2:3], s[0:1]
	s_cmp_lt_i32 s6, 5
	s_cselect_b64 s[2:3], -1, 0
	s_or_b64 s[0:1], s[2:3], s[30:31]
	s_ashr_i32 s92, s33, 31
	s_add_u32 s10, s34, 1
	v_mov_b32_e32 v1, 0
	v_mov_b32_e32 v11, s33
	v_mad_u64_u32 v[19:20], s[8:9], s10, v11, v[0:1]
	s_addc_u32 s11, s35, 0
	s_mul_i32 s8, s10, s92
	s_mul_i32 s11, s11, s33
	v_lshlrev_b32_e32 v21, 5, v0
	s_add_i32 s8, s8, s11
	s_mov_b64 s[12:13], -1
	v_add_u32_e32 v20, s8, v20
	s_and_b64 vcc, exec, s[30:31]
	v_add_u32_e32 v22, v2, v21
	v_cmp_le_u32_e64 s[8:9], v2, v0
	v_lshl_add_u32 v1, v2, 5, v0
	s_cbranch_vccnz .LBB174_37
; %bb.8:
	v_mad_u64_u32 v[11:12], s[10:11], s34, v2, v[19:20]
	v_cndmask_b32_e64 v23, v1, v22, s[2:3]
	v_mad_u64_u32 v[12:13], s[10:11], s35, v2, v[12:13]
	s_and_saveexec_b64 s[2:3], s[8:9]
	s_xor_b64 s[2:3], exec, s[2:3]
	s_cbranch_execz .LBB174_20
; %bb.9:
	v_cmp_ne_u32_e32 vcc, v0, v2
	s_and_saveexec_b64 s[8:9], vcc
	s_xor_b64 s[8:9], exec, s[8:9]
	s_cbranch_execz .LBB174_13
; %bb.10:
	v_or_b32_e32 v11, v2, v0
	v_cmp_gt_u32_e32 vcc, 32, v11
	s_and_saveexec_b64 s[10:11], vcc
	s_cbranch_execz .LBB174_12
; %bb.11:
	v_mov_b32_e32 v11, 0
	v_lshlrev_b32_e32 v15, 4, v23
	v_mov_b32_e32 v12, v11
	v_mov_b32_e32 v13, v11
	;; [unrolled: 1-line block ×3, first 2 shown]
	ds_write_b128 v15, v[11:14]
.LBB174_12:
	s_or_b64 exec, exec, s[10:11]
                                        ; implicit-def: $vgpr23
                                        ; implicit-def: $vgpr11_vgpr12
.LBB174_13:
	s_andn2_saveexec_b64 s[8:9], s[8:9]
	s_cbranch_execz .LBB174_19
; %bb.14:
	v_lshlrev_b64 v[11:12], 4, v[11:12]
	v_mov_b32_e32 v13, s95
	v_add_co_u32_e32 v11, vcc, s94, v11
	v_addc_co_u32_e32 v12, vcc, v13, v12, vcc
	flat_load_dwordx4 v[11:14], v[11:12]
                                        ; implicit-def: $vgpr15_vgpr16
	s_waitcnt vmcnt(0) lgkmcnt(0)
	v_cmp_ngt_f64_e64 s[10:11], |v[11:12]|, |v[13:14]|
	s_and_saveexec_b64 s[12:13], s[10:11]
	s_xor_b64 s[10:11], exec, s[12:13]
	s_cbranch_execz .LBB174_16
; %bb.15:
	v_div_scale_f64 v[15:16], s[12:13], -v[13:14], -v[13:14], v[11:12]
	v_rcp_f64_e32 v[17:18], v[15:16]
	v_fma_f64 v[24:25], -v[15:16], v[17:18], 1.0
	v_fma_f64 v[17:18], v[17:18], v[24:25], v[17:18]
	v_div_scale_f64 v[24:25], vcc, v[11:12], -v[13:14], v[11:12]
	v_fma_f64 v[26:27], -v[15:16], v[17:18], 1.0
	v_fma_f64 v[17:18], v[17:18], v[26:27], v[17:18]
	v_mul_f64 v[26:27], v[24:25], v[17:18]
	v_fma_f64 v[15:16], -v[15:16], v[26:27], v[24:25]
	v_div_fmas_f64 v[15:16], v[15:16], v[17:18], v[26:27]
	v_div_fixup_f64 v[15:16], v[15:16], -v[13:14], v[11:12]
	v_fma_f64 v[11:12], v[11:12], v[15:16], -v[13:14]
	v_div_scale_f64 v[13:14], s[12:13], v[11:12], v[11:12], 1.0
	v_div_scale_f64 v[26:27], vcc, 1.0, v[11:12], 1.0
	v_rcp_f64_e32 v[17:18], v[13:14]
	v_fma_f64 v[24:25], -v[13:14], v[17:18], 1.0
	v_fma_f64 v[17:18], v[17:18], v[24:25], v[17:18]
	v_fma_f64 v[24:25], -v[13:14], v[17:18], 1.0
	v_fma_f64 v[17:18], v[17:18], v[24:25], v[17:18]
	v_mul_f64 v[24:25], v[26:27], v[17:18]
	v_fma_f64 v[13:14], -v[13:14], v[24:25], v[26:27]
	v_div_fmas_f64 v[13:14], v[13:14], v[17:18], v[24:25]
	v_div_fixup_f64 v[17:18], v[13:14], v[11:12], 1.0
                                        ; implicit-def: $vgpr11_vgpr12
	v_mul_f64 v[15:16], v[15:16], v[17:18]
	v_xor_b32_e32 v18, 0x80000000, v18
.LBB174_16:
	s_andn2_saveexec_b64 s[10:11], s[10:11]
	s_cbranch_execz .LBB174_18
; %bb.17:
	v_div_scale_f64 v[15:16], s[12:13], v[11:12], v[11:12], -v[13:14]
	v_rcp_f64_e32 v[17:18], v[15:16]
	v_fma_f64 v[24:25], -v[15:16], v[17:18], 1.0
	v_fma_f64 v[17:18], v[17:18], v[24:25], v[17:18]
	v_div_scale_f64 v[24:25], vcc, -v[13:14], v[11:12], -v[13:14]
	v_fma_f64 v[26:27], -v[15:16], v[17:18], 1.0
	v_fma_f64 v[17:18], v[17:18], v[26:27], v[17:18]
	v_mul_f64 v[26:27], v[24:25], v[17:18]
	v_fma_f64 v[15:16], -v[15:16], v[26:27], v[24:25]
	v_div_fmas_f64 v[15:16], v[15:16], v[17:18], v[26:27]
	v_div_fixup_f64 v[17:18], v[15:16], v[11:12], -v[13:14]
	v_fma_f64 v[11:12], -v[13:14], v[17:18], v[11:12]
	v_div_scale_f64 v[13:14], s[12:13], v[11:12], v[11:12], 1.0
	v_div_scale_f64 v[26:27], vcc, 1.0, v[11:12], 1.0
	v_rcp_f64_e32 v[15:16], v[13:14]
	v_fma_f64 v[24:25], -v[13:14], v[15:16], 1.0
	v_fma_f64 v[15:16], v[15:16], v[24:25], v[15:16]
	v_fma_f64 v[24:25], -v[13:14], v[15:16], 1.0
	v_fma_f64 v[15:16], v[15:16], v[24:25], v[15:16]
	v_mul_f64 v[24:25], v[26:27], v[15:16]
	v_fma_f64 v[13:14], -v[13:14], v[24:25], v[26:27]
	v_div_fmas_f64 v[13:14], v[13:14], v[15:16], v[24:25]
	v_div_fixup_f64 v[15:16], v[13:14], v[11:12], 1.0
	v_mul_f64 v[17:18], v[17:18], -v[15:16]
.LBB174_18:
	s_or_b64 exec, exec, s[10:11]
	v_lshlrev_b32_e32 v11, 4, v23
	ds_write_b128 v11, v[15:18]
.LBB174_19:
	s_or_b64 exec, exec, s[8:9]
                                        ; implicit-def: $vgpr11_vgpr12
                                        ; implicit-def: $vgpr23
.LBB174_20:
	s_andn2_saveexec_b64 s[2:3], s[2:3]
	s_cbranch_execz .LBB174_22
; %bb.21:
	v_lshlrev_b64 v[11:12], 4, v[11:12]
	v_mov_b32_e32 v13, s95
	v_add_co_u32_e32 v11, vcc, s94, v11
	v_addc_co_u32_e32 v12, vcc, v13, v12, vcc
	flat_load_dwordx4 v[11:14], v[11:12]
	v_lshlrev_b32_e32 v15, 4, v23
	s_waitcnt vmcnt(0) lgkmcnt(0)
	v_xor_b32_e32 v12, 0x80000000, v12
	ds_write_b128 v15, v[11:14]
.LBB174_22:
	s_or_b64 exec, exec, s[2:3]
	v_add_u32_e32 v13, 16, v2
	v_mad_u64_u32 v[11:12], s[2:3], s34, v13, v[19:20]
	v_cmp_le_u32_e32 vcc, v13, v0
	v_mad_u64_u32 v[14:15], s[2:3], s35, v13, v[12:13]
	v_add_u32_e32 v12, v13, v21
	v_lshl_add_u32 v15, v13, 5, v0
	v_cndmask_b32_e64 v23, v15, v12, s[0:1]
	v_mov_b32_e32 v12, v14
	s_and_saveexec_b64 s[2:3], vcc
	s_xor_b64 s[2:3], exec, s[2:3]
	s_cbranch_execz .LBB174_34
; %bb.23:
	v_cmp_ne_u32_e32 vcc, v0, v13
	s_and_saveexec_b64 s[8:9], vcc
	s_xor_b64 s[8:9], exec, s[8:9]
	s_cbranch_execz .LBB174_27
; %bb.24:
	v_or_b32_e32 v11, v13, v0
	v_cmp_gt_u32_e32 vcc, 32, v11
	s_and_saveexec_b64 s[10:11], vcc
	s_cbranch_execz .LBB174_26
; %bb.25:
	v_mov_b32_e32 v11, 0
	v_lshlrev_b32_e32 v15, 4, v23
	v_mov_b32_e32 v12, v11
	v_mov_b32_e32 v13, v11
	;; [unrolled: 1-line block ×3, first 2 shown]
	ds_write_b128 v15, v[11:14]
.LBB174_26:
	s_or_b64 exec, exec, s[10:11]
                                        ; implicit-def: $vgpr23
                                        ; implicit-def: $vgpr11_vgpr12
.LBB174_27:
	s_andn2_saveexec_b64 s[8:9], s[8:9]
	s_cbranch_execz .LBB174_33
; %bb.28:
	v_lshlrev_b64 v[11:12], 4, v[11:12]
	v_mov_b32_e32 v13, s95
	v_add_co_u32_e32 v11, vcc, s94, v11
	v_addc_co_u32_e32 v12, vcc, v13, v12, vcc
	flat_load_dwordx4 v[11:14], v[11:12]
                                        ; implicit-def: $vgpr15_vgpr16
	s_waitcnt vmcnt(0) lgkmcnt(0)
	v_cmp_ngt_f64_e64 s[10:11], |v[11:12]|, |v[13:14]|
	s_and_saveexec_b64 s[12:13], s[10:11]
	s_xor_b64 s[10:11], exec, s[12:13]
	s_cbranch_execz .LBB174_30
; %bb.29:
	v_div_scale_f64 v[15:16], s[12:13], -v[13:14], -v[13:14], v[11:12]
	v_rcp_f64_e32 v[17:18], v[15:16]
	v_fma_f64 v[24:25], -v[15:16], v[17:18], 1.0
	v_fma_f64 v[17:18], v[17:18], v[24:25], v[17:18]
	v_div_scale_f64 v[24:25], vcc, v[11:12], -v[13:14], v[11:12]
	v_fma_f64 v[26:27], -v[15:16], v[17:18], 1.0
	v_fma_f64 v[17:18], v[17:18], v[26:27], v[17:18]
	v_mul_f64 v[26:27], v[24:25], v[17:18]
	v_fma_f64 v[15:16], -v[15:16], v[26:27], v[24:25]
	v_div_fmas_f64 v[15:16], v[15:16], v[17:18], v[26:27]
	v_div_fixup_f64 v[15:16], v[15:16], -v[13:14], v[11:12]
	v_fma_f64 v[11:12], v[11:12], v[15:16], -v[13:14]
	v_div_scale_f64 v[13:14], s[12:13], v[11:12], v[11:12], 1.0
	v_div_scale_f64 v[26:27], vcc, 1.0, v[11:12], 1.0
	v_rcp_f64_e32 v[17:18], v[13:14]
	v_fma_f64 v[24:25], -v[13:14], v[17:18], 1.0
	v_fma_f64 v[17:18], v[17:18], v[24:25], v[17:18]
	v_fma_f64 v[24:25], -v[13:14], v[17:18], 1.0
	v_fma_f64 v[17:18], v[17:18], v[24:25], v[17:18]
	v_mul_f64 v[24:25], v[26:27], v[17:18]
	v_fma_f64 v[13:14], -v[13:14], v[24:25], v[26:27]
	v_div_fmas_f64 v[13:14], v[13:14], v[17:18], v[24:25]
	v_div_fixup_f64 v[17:18], v[13:14], v[11:12], 1.0
                                        ; implicit-def: $vgpr11_vgpr12
	v_mul_f64 v[15:16], v[15:16], v[17:18]
	v_xor_b32_e32 v18, 0x80000000, v18
.LBB174_30:
	s_andn2_saveexec_b64 s[10:11], s[10:11]
	s_cbranch_execz .LBB174_32
; %bb.31:
	v_div_scale_f64 v[15:16], s[12:13], v[11:12], v[11:12], -v[13:14]
	v_rcp_f64_e32 v[17:18], v[15:16]
	v_fma_f64 v[24:25], -v[15:16], v[17:18], 1.0
	v_fma_f64 v[17:18], v[17:18], v[24:25], v[17:18]
	v_div_scale_f64 v[24:25], vcc, -v[13:14], v[11:12], -v[13:14]
	v_fma_f64 v[26:27], -v[15:16], v[17:18], 1.0
	v_fma_f64 v[17:18], v[17:18], v[26:27], v[17:18]
	v_mul_f64 v[26:27], v[24:25], v[17:18]
	v_fma_f64 v[15:16], -v[15:16], v[26:27], v[24:25]
	v_div_fmas_f64 v[15:16], v[15:16], v[17:18], v[26:27]
	v_div_fixup_f64 v[17:18], v[15:16], v[11:12], -v[13:14]
	v_fma_f64 v[11:12], -v[13:14], v[17:18], v[11:12]
	v_div_scale_f64 v[13:14], s[12:13], v[11:12], v[11:12], 1.0
	v_div_scale_f64 v[26:27], vcc, 1.0, v[11:12], 1.0
	v_rcp_f64_e32 v[15:16], v[13:14]
	v_fma_f64 v[24:25], -v[13:14], v[15:16], 1.0
	v_fma_f64 v[15:16], v[15:16], v[24:25], v[15:16]
	v_fma_f64 v[24:25], -v[13:14], v[15:16], 1.0
	v_fma_f64 v[15:16], v[15:16], v[24:25], v[15:16]
	v_mul_f64 v[24:25], v[26:27], v[15:16]
	v_fma_f64 v[13:14], -v[13:14], v[24:25], v[26:27]
	v_div_fmas_f64 v[13:14], v[13:14], v[15:16], v[24:25]
	v_div_fixup_f64 v[15:16], v[13:14], v[11:12], 1.0
	v_mul_f64 v[17:18], v[17:18], -v[15:16]
.LBB174_32:
	s_or_b64 exec, exec, s[10:11]
	v_lshlrev_b32_e32 v11, 4, v23
	ds_write_b128 v11, v[15:18]
.LBB174_33:
	s_or_b64 exec, exec, s[8:9]
                                        ; implicit-def: $vgpr11_vgpr12
                                        ; implicit-def: $vgpr23
.LBB174_34:
	s_andn2_saveexec_b64 s[2:3], s[2:3]
	s_cbranch_execz .LBB174_36
; %bb.35:
	v_lshlrev_b64 v[11:12], 4, v[11:12]
	v_mov_b32_e32 v13, s95
	v_add_co_u32_e32 v11, vcc, s94, v11
	v_addc_co_u32_e32 v12, vcc, v13, v12, vcc
	flat_load_dwordx4 v[11:14], v[11:12]
	v_lshlrev_b32_e32 v15, 4, v23
	s_waitcnt vmcnt(0) lgkmcnt(0)
	v_xor_b32_e32 v12, 0x80000000, v12
	ds_write_b128 v15, v[11:14]
.LBB174_36:
	s_or_b64 exec, exec, s[2:3]
	s_mov_b64 s[12:13], 0
.LBB174_37:
	s_xor_b64 s[10:11], s[0:1], -1
	s_and_b64 vcc, exec, s[12:13]
	s_cbranch_vccz .LBB174_67
; %bb.38:
	v_mad_u64_u32 v[11:12], s[2:3], s34, v2, v[19:20]
	v_cmp_le_u32_e32 vcc, v2, v0
	v_cmp_gt_i32_e64 s[2:3], s93, v0
	v_mad_u64_u32 v[12:13], s[8:9], s35, v2, v[12:13]
	v_max_i32_e32 v13, v2, v0
	v_cmp_le_i32_e64 s[8:9], s93, v13
	s_or_b64 s[8:9], s[8:9], vcc
	s_and_saveexec_b64 s[12:13], s[8:9]
	s_xor_b64 s[8:9], exec, s[12:13]
	s_cbranch_execz .LBB174_50
; %bb.39:
	v_cmp_ne_u32_e32 vcc, v0, v2
	s_xor_b64 s[12:13], s[2:3], -1
	s_or_b64 s[12:13], s[12:13], vcc
	s_and_saveexec_b64 s[14:15], s[12:13]
	s_xor_b64 s[12:13], exec, s[14:15]
	s_cbranch_execz .LBB174_43
; %bb.40:
	v_or_b32_e32 v11, v2, v0
	v_cmp_gt_u32_e32 vcc, 32, v11
	s_and_saveexec_b64 s[14:15], vcc
	s_cbranch_execz .LBB174_42
; %bb.41:
	v_mov_b32_e32 v11, 0
	v_lshlrev_b32_e32 v15, 4, v22
	v_mov_b32_e32 v12, v11
	v_mov_b32_e32 v13, v11
	;; [unrolled: 1-line block ×3, first 2 shown]
	ds_write_b128 v15, v[11:14]
.LBB174_42:
	s_or_b64 exec, exec, s[14:15]
                                        ; implicit-def: $vgpr22
                                        ; implicit-def: $vgpr11_vgpr12
.LBB174_43:
	s_andn2_saveexec_b64 s[12:13], s[12:13]
	s_cbranch_execz .LBB174_49
; %bb.44:
	v_lshlrev_b64 v[11:12], 4, v[11:12]
	v_mov_b32_e32 v13, s95
	v_add_co_u32_e32 v11, vcc, s94, v11
	v_addc_co_u32_e32 v12, vcc, v13, v12, vcc
	flat_load_dwordx4 v[11:14], v[11:12]
                                        ; implicit-def: $vgpr15_vgpr16
	s_waitcnt vmcnt(0) lgkmcnt(0)
	v_cmp_ngt_f64_e64 s[14:15], |v[11:12]|, |v[13:14]|
	s_and_saveexec_b64 s[16:17], s[14:15]
	s_xor_b64 s[14:15], exec, s[16:17]
	s_cbranch_execz .LBB174_46
; %bb.45:
	v_div_scale_f64 v[15:16], s[16:17], -v[13:14], -v[13:14], v[11:12]
	v_rcp_f64_e32 v[17:18], v[15:16]
	v_fma_f64 v[23:24], -v[15:16], v[17:18], 1.0
	v_fma_f64 v[17:18], v[17:18], v[23:24], v[17:18]
	v_div_scale_f64 v[23:24], vcc, v[11:12], -v[13:14], v[11:12]
	v_fma_f64 v[25:26], -v[15:16], v[17:18], 1.0
	v_fma_f64 v[17:18], v[17:18], v[25:26], v[17:18]
	v_mul_f64 v[25:26], v[23:24], v[17:18]
	v_fma_f64 v[15:16], -v[15:16], v[25:26], v[23:24]
	v_div_fmas_f64 v[15:16], v[15:16], v[17:18], v[25:26]
	v_div_fixup_f64 v[15:16], v[15:16], -v[13:14], v[11:12]
	v_fma_f64 v[11:12], v[11:12], v[15:16], -v[13:14]
	v_div_scale_f64 v[13:14], s[16:17], v[11:12], v[11:12], 1.0
	v_div_scale_f64 v[25:26], vcc, 1.0, v[11:12], 1.0
	v_rcp_f64_e32 v[17:18], v[13:14]
	v_fma_f64 v[23:24], -v[13:14], v[17:18], 1.0
	v_fma_f64 v[17:18], v[17:18], v[23:24], v[17:18]
	v_fma_f64 v[23:24], -v[13:14], v[17:18], 1.0
	v_fma_f64 v[17:18], v[17:18], v[23:24], v[17:18]
	v_mul_f64 v[23:24], v[25:26], v[17:18]
	v_fma_f64 v[13:14], -v[13:14], v[23:24], v[25:26]
	v_div_fmas_f64 v[13:14], v[13:14], v[17:18], v[23:24]
	v_div_fixup_f64 v[17:18], v[13:14], v[11:12], 1.0
                                        ; implicit-def: $vgpr11_vgpr12
	v_mul_f64 v[15:16], v[15:16], v[17:18]
	v_xor_b32_e32 v18, 0x80000000, v18
.LBB174_46:
	s_andn2_saveexec_b64 s[14:15], s[14:15]
	s_cbranch_execz .LBB174_48
; %bb.47:
	v_div_scale_f64 v[15:16], s[16:17], v[11:12], v[11:12], -v[13:14]
	v_rcp_f64_e32 v[17:18], v[15:16]
	v_fma_f64 v[23:24], -v[15:16], v[17:18], 1.0
	v_fma_f64 v[17:18], v[17:18], v[23:24], v[17:18]
	v_div_scale_f64 v[23:24], vcc, -v[13:14], v[11:12], -v[13:14]
	v_fma_f64 v[25:26], -v[15:16], v[17:18], 1.0
	v_fma_f64 v[17:18], v[17:18], v[25:26], v[17:18]
	v_mul_f64 v[25:26], v[23:24], v[17:18]
	v_fma_f64 v[15:16], -v[15:16], v[25:26], v[23:24]
	v_div_fmas_f64 v[15:16], v[15:16], v[17:18], v[25:26]
	v_div_fixup_f64 v[17:18], v[15:16], v[11:12], -v[13:14]
	v_fma_f64 v[11:12], -v[13:14], v[17:18], v[11:12]
	v_div_scale_f64 v[13:14], s[16:17], v[11:12], v[11:12], 1.0
	v_div_scale_f64 v[25:26], vcc, 1.0, v[11:12], 1.0
	v_rcp_f64_e32 v[15:16], v[13:14]
	v_fma_f64 v[23:24], -v[13:14], v[15:16], 1.0
	v_fma_f64 v[15:16], v[15:16], v[23:24], v[15:16]
	v_fma_f64 v[23:24], -v[13:14], v[15:16], 1.0
	v_fma_f64 v[15:16], v[15:16], v[23:24], v[15:16]
	v_mul_f64 v[23:24], v[25:26], v[15:16]
	v_fma_f64 v[13:14], -v[13:14], v[23:24], v[25:26]
	v_div_fmas_f64 v[13:14], v[13:14], v[15:16], v[23:24]
	v_div_fixup_f64 v[15:16], v[13:14], v[11:12], 1.0
	v_mul_f64 v[17:18], v[17:18], -v[15:16]
.LBB174_48:
	s_or_b64 exec, exec, s[14:15]
	v_lshlrev_b32_e32 v11, 4, v22
	ds_write_b128 v11, v[15:18]
.LBB174_49:
	s_or_b64 exec, exec, s[12:13]
                                        ; implicit-def: $vgpr11_vgpr12
                                        ; implicit-def: $vgpr22
.LBB174_50:
	s_andn2_saveexec_b64 s[8:9], s[8:9]
	s_cbranch_execz .LBB174_52
; %bb.51:
	v_lshlrev_b64 v[11:12], 4, v[11:12]
	v_mov_b32_e32 v13, s95
	v_add_co_u32_e32 v11, vcc, s94, v11
	v_addc_co_u32_e32 v12, vcc, v13, v12, vcc
	flat_load_dwordx4 v[11:14], v[11:12]
	v_lshlrev_b32_e32 v15, 4, v22
	s_waitcnt vmcnt(0) lgkmcnt(0)
	v_xor_b32_e32 v12, 0x80000000, v12
	ds_write_b128 v15, v[11:14]
.LBB174_52:
	s_or_b64 exec, exec, s[8:9]
	v_add_u32_e32 v13, 16, v2
	v_mad_u64_u32 v[11:12], s[8:9], s34, v13, v[19:20]
	v_add_u32_e32 v16, v13, v21
	v_cmp_gt_u32_e32 vcc, v13, v0
	v_mad_u64_u32 v[14:15], s[8:9], s35, v13, v[12:13]
	v_lshl_add_u32 v12, v13, 5, v0
	v_cndmask_b32_e64 v19, v12, v16, s[0:1]
	v_cmp_gt_i32_e64 s[0:1], s93, v13
	s_and_b64 s[0:1], vcc, s[0:1]
	s_and_b64 s[0:1], s[2:3], s[0:1]
	v_mov_b32_e32 v12, v14
	s_xor_b64 s[0:1], s[0:1], -1
	s_and_saveexec_b64 s[8:9], s[0:1]
	s_xor_b64 s[0:1], exec, s[8:9]
	s_cbranch_execz .LBB174_64
; %bb.53:
	v_cmp_ne_u32_e32 vcc, v0, v13
	s_xor_b64 s[2:3], s[2:3], -1
	s_or_b64 s[2:3], s[2:3], vcc
	s_and_saveexec_b64 s[8:9], s[2:3]
	s_xor_b64 s[2:3], exec, s[8:9]
	s_cbranch_execz .LBB174_57
; %bb.54:
	v_or_b32_e32 v11, v13, v0
	v_cmp_gt_u32_e32 vcc, 32, v11
	s_and_saveexec_b64 s[8:9], vcc
	s_cbranch_execz .LBB174_56
; %bb.55:
	v_mov_b32_e32 v11, 0
	v_lshlrev_b32_e32 v15, 4, v19
	v_mov_b32_e32 v12, v11
	v_mov_b32_e32 v13, v11
	v_mov_b32_e32 v14, v11
	ds_write_b128 v15, v[11:14]
.LBB174_56:
	s_or_b64 exec, exec, s[8:9]
                                        ; implicit-def: $vgpr19
                                        ; implicit-def: $vgpr11_vgpr12
.LBB174_57:
	s_andn2_saveexec_b64 s[2:3], s[2:3]
	s_cbranch_execz .LBB174_63
; %bb.58:
	v_lshlrev_b64 v[11:12], 4, v[11:12]
	v_mov_b32_e32 v13, s95
	v_add_co_u32_e32 v11, vcc, s94, v11
	v_addc_co_u32_e32 v12, vcc, v13, v12, vcc
	flat_load_dwordx4 v[11:14], v[11:12]
                                        ; implicit-def: $vgpr15_vgpr16
	s_waitcnt vmcnt(0) lgkmcnt(0)
	v_cmp_ngt_f64_e64 s[8:9], |v[11:12]|, |v[13:14]|
	s_and_saveexec_b64 s[12:13], s[8:9]
	s_xor_b64 s[8:9], exec, s[12:13]
	s_cbranch_execz .LBB174_60
; %bb.59:
	v_div_scale_f64 v[15:16], s[12:13], -v[13:14], -v[13:14], v[11:12]
	v_rcp_f64_e32 v[17:18], v[15:16]
	v_fma_f64 v[20:21], -v[15:16], v[17:18], 1.0
	v_fma_f64 v[17:18], v[17:18], v[20:21], v[17:18]
	v_div_scale_f64 v[20:21], vcc, v[11:12], -v[13:14], v[11:12]
	v_fma_f64 v[22:23], -v[15:16], v[17:18], 1.0
	v_fma_f64 v[17:18], v[17:18], v[22:23], v[17:18]
	v_mul_f64 v[22:23], v[20:21], v[17:18]
	v_fma_f64 v[15:16], -v[15:16], v[22:23], v[20:21]
	v_div_fmas_f64 v[15:16], v[15:16], v[17:18], v[22:23]
	v_div_fixup_f64 v[15:16], v[15:16], -v[13:14], v[11:12]
	v_fma_f64 v[11:12], v[11:12], v[15:16], -v[13:14]
	v_div_scale_f64 v[13:14], s[12:13], v[11:12], v[11:12], 1.0
	v_div_scale_f64 v[22:23], vcc, 1.0, v[11:12], 1.0
	v_rcp_f64_e32 v[17:18], v[13:14]
	v_fma_f64 v[20:21], -v[13:14], v[17:18], 1.0
	v_fma_f64 v[17:18], v[17:18], v[20:21], v[17:18]
	v_fma_f64 v[20:21], -v[13:14], v[17:18], 1.0
	v_fma_f64 v[17:18], v[17:18], v[20:21], v[17:18]
	v_mul_f64 v[20:21], v[22:23], v[17:18]
	v_fma_f64 v[13:14], -v[13:14], v[20:21], v[22:23]
	v_div_fmas_f64 v[13:14], v[13:14], v[17:18], v[20:21]
	v_div_fixup_f64 v[17:18], v[13:14], v[11:12], 1.0
                                        ; implicit-def: $vgpr11_vgpr12
	v_mul_f64 v[15:16], v[15:16], v[17:18]
	v_xor_b32_e32 v18, 0x80000000, v18
.LBB174_60:
	s_andn2_saveexec_b64 s[8:9], s[8:9]
	s_cbranch_execz .LBB174_62
; %bb.61:
	v_div_scale_f64 v[15:16], s[12:13], v[11:12], v[11:12], -v[13:14]
	v_rcp_f64_e32 v[17:18], v[15:16]
	v_fma_f64 v[20:21], -v[15:16], v[17:18], 1.0
	v_fma_f64 v[17:18], v[17:18], v[20:21], v[17:18]
	v_div_scale_f64 v[20:21], vcc, -v[13:14], v[11:12], -v[13:14]
	v_fma_f64 v[22:23], -v[15:16], v[17:18], 1.0
	v_fma_f64 v[17:18], v[17:18], v[22:23], v[17:18]
	v_mul_f64 v[22:23], v[20:21], v[17:18]
	v_fma_f64 v[15:16], -v[15:16], v[22:23], v[20:21]
	v_div_fmas_f64 v[15:16], v[15:16], v[17:18], v[22:23]
	v_div_fixup_f64 v[17:18], v[15:16], v[11:12], -v[13:14]
	v_fma_f64 v[11:12], -v[13:14], v[17:18], v[11:12]
	v_div_scale_f64 v[13:14], s[12:13], v[11:12], v[11:12], 1.0
	v_div_scale_f64 v[22:23], vcc, 1.0, v[11:12], 1.0
	v_rcp_f64_e32 v[15:16], v[13:14]
	v_fma_f64 v[20:21], -v[13:14], v[15:16], 1.0
	v_fma_f64 v[15:16], v[15:16], v[20:21], v[15:16]
	v_fma_f64 v[20:21], -v[13:14], v[15:16], 1.0
	v_fma_f64 v[15:16], v[15:16], v[20:21], v[15:16]
	v_mul_f64 v[20:21], v[22:23], v[15:16]
	v_fma_f64 v[13:14], -v[13:14], v[20:21], v[22:23]
	v_div_fmas_f64 v[13:14], v[13:14], v[15:16], v[20:21]
	v_div_fixup_f64 v[15:16], v[13:14], v[11:12], 1.0
	v_mul_f64 v[17:18], v[17:18], -v[15:16]
.LBB174_62:
	s_or_b64 exec, exec, s[8:9]
	v_lshlrev_b32_e32 v11, 4, v19
	ds_write_b128 v11, v[15:18]
.LBB174_63:
	s_or_b64 exec, exec, s[2:3]
                                        ; implicit-def: $vgpr11_vgpr12
                                        ; implicit-def: $vgpr19
.LBB174_64:
	s_andn2_saveexec_b64 s[0:1], s[0:1]
	s_cbranch_execz .LBB174_66
; %bb.65:
	v_lshlrev_b64 v[11:12], 4, v[11:12]
	v_mov_b32_e32 v13, s95
	v_add_co_u32_e32 v11, vcc, s94, v11
	v_addc_co_u32_e32 v12, vcc, v13, v12, vcc
	flat_load_dwordx4 v[11:14], v[11:12]
	v_lshlrev_b32_e32 v15, 4, v19
	s_waitcnt vmcnt(0) lgkmcnt(0)
	v_xor_b32_e32 v12, 0x80000000, v12
	ds_write_b128 v15, v[11:14]
.LBB174_66:
	s_or_b64 exec, exec, s[0:1]
.LBB174_67:
	v_cndmask_b32_e64 v11, 0, 1, s[10:11]
	v_cmp_ne_u32_e64 s[0:1], 1, v11
	s_andn2_b64 vcc, exec, s[10:11]
	s_waitcnt vmcnt(0) lgkmcnt(0)
	s_barrier
	s_cbranch_vccnz .LBB174_491
; %bb.68:
	v_or_b32_e32 v11, v0, v2
	v_cmp_eq_u32_e32 vcc, 0, v11
	s_and_saveexec_b64 s[2:3], vcc
	s_cbranch_execz .LBB174_70
; %bb.69:
	v_mov_b32_e32 v25, 0
	ds_read_b128 v[11:14], v25 offset:16368
	ds_read_b128 v[15:18], v25 offset:15840
	;; [unrolled: 1-line block ×3, first 2 shown]
	s_waitcnt lgkmcnt(1)
	v_mul_f64 v[23:24], v[11:12], v[17:18]
	v_mul_f64 v[17:18], v[13:14], v[17:18]
	v_fma_f64 v[13:14], v[13:14], v[15:16], v[23:24]
	v_fma_f64 v[11:12], v[11:12], v[15:16], -v[17:18]
	s_waitcnt lgkmcnt(0)
	v_mul_f64 v[15:16], v[13:14], v[21:22]
	v_mul_f64 v[17:18], v[11:12], v[21:22]
	v_fma_f64 v[11:12], v[19:20], v[11:12], -v[15:16]
	v_fma_f64 v[13:14], v[19:20], v[13:14], v[17:18]
	ds_write_b128 v25, v[11:14] offset:16352
	ds_write_b128 v25, v[11:14] offset:15856
.LBB174_70:
	s_or_b64 exec, exec, s[2:3]
	v_lshlrev_b32_e32 v11, 5, v2
	v_add_u32_e32 v18, v11, v0
	v_add_u16_e32 v11, v11, v0
	v_lshrrev_b16_e32 v17, 1, v11
	v_mov_b32_e32 v11, 0
	v_mov_b32_e32 v13, 0
	v_and_b32_e32 v15, 1, v0
	v_sub_u32_e32 v16, 1, v17
	v_cmp_lt_u32_e64 s[8:9], 3, v18
	v_mov_b32_e32 v12, 0
	v_mov_b32_e32 v14, 0
	v_cmp_gt_u32_e64 s[2:3], 4, v18
	s_waitcnt lgkmcnt(0)
	s_barrier
	buffer_wbinvl1_vol
	s_and_saveexec_b64 s[12:13], s[2:3]
	s_cbranch_execz .LBB174_74
; %bb.71:
	v_lshlrev_b32_e32 v19, 4, v15
	v_lshlrev_b32_e32 v11, 9, v16
	ds_read_b128 v[11:14], v11 offset:15840
	ds_read_b128 v[19:22], v19 offset:15808
	v_cmp_gt_u32_e64 s[10:11], 2, v18
	s_waitcnt lgkmcnt(0)
	v_mul_f64 v[23:24], v[13:14], v[21:22]
	v_mul_f64 v[21:22], v[11:12], v[21:22]
	v_fma_f64 v[11:12], v[11:12], v[19:20], -v[23:24]
	v_fma_f64 v[13:14], v[13:14], v[19:20], v[21:22]
	v_add_f64 v[11:12], v[11:12], 0
	v_add_f64 v[13:14], v[13:14], 0
	s_and_saveexec_b64 s[14:15], s[10:11]
	s_cbranch_execz .LBB174_73
; %bb.72:
	v_lshlrev_b32_e32 v23, 4, v0
	v_mov_b32_e32 v19, 0
	ds_read_b128 v[19:22], v19 offset:16368
	ds_read_b128 v[23:26], v23 offset:16320
	s_waitcnt lgkmcnt(0)
	v_mul_f64 v[27:28], v[21:22], v[25:26]
	v_mul_f64 v[25:26], v[19:20], v[25:26]
	v_fma_f64 v[19:20], v[19:20], v[23:24], -v[27:28]
	v_fma_f64 v[21:22], v[21:22], v[23:24], v[25:26]
	v_add_f64 v[11:12], v[11:12], v[19:20]
	v_add_f64 v[13:14], v[13:14], v[21:22]
.LBB174_73:
	s_or_b64 exec, exec, s[14:15]
.LBB174_74:
	s_or_b64 exec, exec, s[12:13]
	v_mov_b32_e32 v19, 0x4000
	v_cmp_ne_u32_e64 s[10:11], 0, v15
	s_xor_b64 s[12:13], s[8:9], -1
	v_lshl_add_u32 v17, v17, 4, v19
	s_and_b64 s[40:41], s[10:11], s[12:13]
	s_and_saveexec_b64 s[8:9], s[40:41]
	s_cbranch_execz .LBB174_76
; %bb.75:
	v_mov_b32_e32 v19, 0
	ds_read_b128 v[19:22], v19 offset:15312
	s_waitcnt lgkmcnt(0)
	v_mul_f64 v[23:24], v[13:14], v[21:22]
	v_mul_f64 v[21:22], v[11:12], v[21:22]
	v_fma_f64 v[11:12], v[11:12], v[19:20], -v[23:24]
	v_fma_f64 v[13:14], v[13:14], v[19:20], v[21:22]
	v_xor_b32_e32 v20, 0x80000000, v12
	v_xor_b32_e32 v22, 0x80000000, v14
	v_mov_b32_e32 v19, v11
	v_mov_b32_e32 v21, v13
	ds_write_b128 v17, v[19:22]
.LBB174_76:
	s_or_b64 exec, exec, s[8:9]
	v_cmp_eq_u32_e64 s[8:9], 0, v15
	s_and_b64 s[38:39], s[8:9], s[12:13]
	s_waitcnt lgkmcnt(0)
	s_barrier
	s_and_saveexec_b64 s[8:9], s[38:39]
	s_cbranch_execz .LBB174_78
; %bb.77:
	v_mov_b32_e32 v23, 0
	ds_read_b128 v[19:22], v17
	ds_read_b128 v[23:26], v23 offset:15296
	s_waitcnt lgkmcnt(0)
	v_mul_f64 v[27:28], v[21:22], v[25:26]
	v_mul_f64 v[25:26], v[19:20], v[25:26]
	v_fma_f64 v[19:20], v[19:20], v[23:24], -v[27:28]
	v_fma_f64 v[21:22], v[21:22], v[23:24], v[25:26]
	v_add_f64 v[11:12], v[11:12], -v[19:20]
	v_add_f64 v[13:14], v[13:14], -v[21:22]
.LBB174_78:
	s_or_b64 exec, exec, s[8:9]
	s_barrier
	s_and_saveexec_b64 s[8:9], s[38:39]
	s_cbranch_execz .LBB174_80
; %bb.79:
	v_mov_b32_e32 v19, 0
	ds_read_b128 v[19:22], v19 offset:14784
	s_waitcnt lgkmcnt(0)
	v_mul_f64 v[23:24], v[13:14], v[21:22]
	v_mul_f64 v[21:22], v[11:12], v[21:22]
	v_fma_f64 v[11:12], v[11:12], v[19:20], -v[23:24]
	v_fma_f64 v[13:14], v[13:14], v[19:20], v[21:22]
	v_xor_b32_e32 v20, 0x80000000, v12
	v_xor_b32_e32 v22, 0x80000000, v14
	v_mov_b32_e32 v19, v11
	v_mov_b32_e32 v21, v13
	ds_write_b128 v17, v[19:22]
.LBB174_80:
	s_or_b64 exec, exec, s[8:9]
	s_waitcnt lgkmcnt(0)
	s_barrier
	s_barrier
	s_and_saveexec_b64 s[8:9], s[2:3]
; %bb.81:
	v_lshlrev_b32_e32 v19, 4, v15
	v_lshl_or_b32 v19, v16, 9, v19
	ds_write_b128 v19, v[11:14] offset:15808
; %bb.82:
	s_or_b64 exec, exec, s[8:9]
	v_cmp_eq_u32_e64 s[10:11], 0, v2
	v_cmp_gt_u32_e64 s[8:9], 2, v0
	s_and_b64 s[42:43], s[10:11], s[8:9]
	s_waitcnt lgkmcnt(0)
	s_barrier
	s_barrier
	s_and_saveexec_b64 s[8:9], s[42:43]
	s_cbranch_execz .LBB174_84
; %bb.83:
	v_lshlrev_b32_e32 v19, 9, v0
	ds_read_b128 v[11:14], v19 offset:15808
	s_movk_i32 s12, 0xfe10
	v_mad_i32_i24 v20, v0, s12, v19
	s_waitcnt lgkmcnt(0)
	ds_write_b128 v20, v[11:14] offset:14816
	ds_read_b128 v[11:14], v19 offset:15824
	s_waitcnt lgkmcnt(0)
	ds_write_b128 v20, v[11:14] offset:15328
.LBB174_84:
	s_or_b64 exec, exec, s[8:9]
	s_waitcnt lgkmcnt(0)
	s_barrier
	s_and_saveexec_b64 s[8:9], vcc
	s_cbranch_execz .LBB174_86
; %bb.85:
	v_mov_b32_e32 v29, 0
	ds_read_b128 v[11:14], v29 offset:15312
	ds_read_b128 v[19:22], v29 offset:14784
	;; [unrolled: 1-line block ×3, first 2 shown]
	s_waitcnt lgkmcnt(1)
	v_mul_f64 v[27:28], v[11:12], v[21:22]
	v_mul_f64 v[21:22], v[13:14], v[21:22]
	v_fma_f64 v[13:14], v[13:14], v[19:20], v[27:28]
	v_fma_f64 v[11:12], v[11:12], v[19:20], -v[21:22]
	s_waitcnt lgkmcnt(0)
	v_mul_f64 v[19:20], v[13:14], v[25:26]
	v_mul_f64 v[21:22], v[11:12], v[25:26]
	v_fma_f64 v[11:12], v[23:24], v[11:12], -v[19:20]
	v_fma_f64 v[13:14], v[23:24], v[13:14], v[21:22]
	ds_write_b128 v29, v[11:14] offset:15296
	ds_write_b128 v29, v[11:14] offset:14800
.LBB174_86:
	s_or_b64 exec, exec, s[8:9]
	v_lshrrev_b32_e32 v21, 2, v18
	v_mov_b32_e32 v13, 0
	v_mov_b32_e32 v11, 0
	v_and_b32_e32 v19, 3, v0
	v_sub_u32_e32 v20, 3, v21
	v_cmp_lt_u32_e64 s[8:9], 15, v18
	v_mov_b32_e32 v14, 0
	v_mov_b32_e32 v12, 0
	v_cmp_gt_u32_e64 s[16:17], 16, v18
	s_waitcnt lgkmcnt(0)
	s_barrier
	buffer_wbinvl1_vol
	s_and_saveexec_b64 s[14:15], s[16:17]
	s_cbranch_execz .LBB174_92
; %bb.87:
	v_lshlrev_b32_e32 v23, 9, v20
	v_lshlrev_b32_e32 v22, 4, v19
	ds_read_b128 v[11:14], v23 offset:14784
	ds_read_b128 v[24:27], v22 offset:14720
	v_cmp_gt_u32_e64 s[12:13], 12, v18
	s_waitcnt lgkmcnt(0)
	v_mul_f64 v[28:29], v[13:14], v[26:27]
	v_mul_f64 v[26:27], v[11:12], v[26:27]
	v_fma_f64 v[11:12], v[11:12], v[24:25], -v[28:29]
	v_fma_f64 v[13:14], v[13:14], v[24:25], v[26:27]
	v_add_f64 v[11:12], v[11:12], 0
	v_add_f64 v[13:14], v[13:14], 0
	s_and_saveexec_b64 s[18:19], s[12:13]
	s_cbranch_execnz .LBB174_551
; %bb.88:
	s_or_b64 exec, exec, s[18:19]
	v_cmp_gt_u32_e64 s[12:13], 8, v18
	s_and_saveexec_b64 s[18:19], s[12:13]
	s_cbranch_execnz .LBB174_552
.LBB174_89:
	s_or_b64 exec, exec, s[18:19]
	v_cmp_gt_u32_e64 s[12:13], 4, v18
	s_and_saveexec_b64 s[18:19], s[12:13]
	s_cbranch_execz .LBB174_91
.LBB174_90:
	v_lshlrev_b32_e32 v26, 4, v0
	v_mov_b32_e32 v22, 0
	ds_read_b128 v[22:25], v22 offset:16368
	ds_read_b128 v[26:29], v26 offset:16256
	s_waitcnt lgkmcnt(0)
	v_mul_f64 v[30:31], v[24:25], v[28:29]
	v_mul_f64 v[28:29], v[22:23], v[28:29]
	v_fma_f64 v[22:23], v[22:23], v[26:27], -v[30:31]
	v_fma_f64 v[24:25], v[24:25], v[26:27], v[28:29]
	v_add_f64 v[11:12], v[11:12], v[22:23]
	v_add_f64 v[13:14], v[13:14], v[24:25]
.LBB174_91:
	s_or_b64 exec, exec, s[18:19]
.LBB174_92:
	s_or_b64 exec, exec, s[14:15]
	v_mov_b32_e32 v22, 0x4000
	v_cmp_eq_u32_e64 s[12:13], 3, v19
	s_xor_b64 s[14:15], s[8:9], -1
	v_lshl_add_u32 v21, v21, 4, v22
	s_and_b64 s[46:47], s[12:13], s[14:15]
	s_and_saveexec_b64 s[8:9], s[46:47]
	s_cbranch_execz .LBB174_94
; %bb.93:
	v_mov_b32_e32 v22, 0
	ds_read_b128 v[22:25], v22 offset:14256
	s_waitcnt lgkmcnt(0)
	v_mul_f64 v[26:27], v[13:14], v[24:25]
	v_mul_f64 v[24:25], v[11:12], v[24:25]
	v_fma_f64 v[11:12], v[11:12], v[22:23], -v[26:27]
	v_fma_f64 v[13:14], v[13:14], v[22:23], v[24:25]
	v_xor_b32_e32 v23, 0x80000000, v12
	v_xor_b32_e32 v25, 0x80000000, v14
	v_mov_b32_e32 v22, v11
	v_mov_b32_e32 v24, v13
	ds_write_b128 v21, v[22:25]
.LBB174_94:
	s_or_b64 exec, exec, s[8:9]
	v_cmp_ne_u32_e64 s[8:9], 3, v19
	s_and_b64 s[48:49], s[8:9], s[14:15]
	s_waitcnt lgkmcnt(0)
	s_barrier
	s_and_saveexec_b64 s[8:9], s[48:49]
	s_cbranch_execz .LBB174_96
; %bb.95:
	v_lshlrev_b32_e32 v26, 4, v19
	ds_read_b128 v[22:25], v21
	ds_read_b128 v[26:29], v26 offset:14208
	s_waitcnt lgkmcnt(0)
	v_mul_f64 v[30:31], v[24:25], v[28:29]
	v_mul_f64 v[28:29], v[22:23], v[28:29]
	v_fma_f64 v[22:23], v[22:23], v[26:27], -v[30:31]
	v_fma_f64 v[24:25], v[24:25], v[26:27], v[28:29]
	v_add_f64 v[11:12], v[11:12], -v[22:23]
	v_add_f64 v[13:14], v[13:14], -v[24:25]
.LBB174_96:
	s_or_b64 exec, exec, s[8:9]
	v_cmp_eq_u32_e64 s[8:9], 2, v19
	s_and_b64 s[50:51], s[8:9], s[14:15]
	s_barrier
	s_and_saveexec_b64 s[8:9], s[50:51]
	s_cbranch_execz .LBB174_98
; %bb.97:
	v_mov_b32_e32 v22, 0
	ds_read_b128 v[22:25], v22 offset:13728
	s_waitcnt lgkmcnt(0)
	v_mul_f64 v[26:27], v[13:14], v[24:25]
	v_mul_f64 v[24:25], v[11:12], v[24:25]
	v_fma_f64 v[11:12], v[11:12], v[22:23], -v[26:27]
	v_fma_f64 v[13:14], v[13:14], v[22:23], v[24:25]
	v_xor_b32_e32 v23, 0x80000000, v12
	v_xor_b32_e32 v25, 0x80000000, v14
	v_mov_b32_e32 v22, v11
	v_mov_b32_e32 v24, v13
	ds_write_b128 v21, v[22:25]
.LBB174_98:
	s_or_b64 exec, exec, s[8:9]
	v_cmp_gt_u32_e64 s[8:9], 2, v19
	s_and_b64 s[52:53], s[8:9], s[14:15]
	s_waitcnt lgkmcnt(0)
	s_barrier
	s_and_saveexec_b64 s[8:9], s[52:53]
	s_cbranch_execz .LBB174_100
; %bb.99:
	v_lshlrev_b32_e32 v26, 4, v19
	ds_read_b128 v[22:25], v21
	ds_read_b128 v[26:29], v26 offset:13696
	s_waitcnt lgkmcnt(0)
	v_mul_f64 v[30:31], v[24:25], v[28:29]
	v_mul_f64 v[28:29], v[22:23], v[28:29]
	v_fma_f64 v[22:23], v[22:23], v[26:27], -v[30:31]
	v_fma_f64 v[24:25], v[24:25], v[26:27], v[28:29]
	v_add_f64 v[11:12], v[11:12], -v[22:23]
	v_add_f64 v[13:14], v[13:14], -v[24:25]
.LBB174_100:
	s_or_b64 exec, exec, s[8:9]
	v_cmp_eq_u32_e64 s[8:9], 1, v19
	s_and_b64 s[54:55], s[8:9], s[14:15]
	s_barrier
	s_and_saveexec_b64 s[8:9], s[54:55]
	s_cbranch_execz .LBB174_102
; %bb.101:
	v_mov_b32_e32 v22, 0
	ds_read_b128 v[22:25], v22 offset:13200
	s_waitcnt lgkmcnt(0)
	v_mul_f64 v[26:27], v[13:14], v[24:25]
	v_mul_f64 v[24:25], v[11:12], v[24:25]
	v_fma_f64 v[11:12], v[11:12], v[22:23], -v[26:27]
	v_fma_f64 v[13:14], v[13:14], v[22:23], v[24:25]
	v_xor_b32_e32 v23, 0x80000000, v12
	v_xor_b32_e32 v25, 0x80000000, v14
	v_mov_b32_e32 v22, v11
	v_mov_b32_e32 v24, v13
	ds_write_b128 v21, v[22:25]
.LBB174_102:
	s_or_b64 exec, exec, s[8:9]
	v_cmp_eq_u32_e64 s[8:9], 0, v19
	s_and_b64 s[44:45], s[8:9], s[14:15]
	s_waitcnt lgkmcnt(0)
	s_barrier
	s_and_saveexec_b64 s[8:9], s[44:45]
	s_cbranch_execz .LBB174_104
; %bb.103:
	v_mov_b32_e32 v26, 0
	ds_read_b128 v[22:25], v21
	ds_read_b128 v[26:29], v26 offset:13184
	s_waitcnt lgkmcnt(0)
	v_mul_f64 v[30:31], v[24:25], v[28:29]
	v_mul_f64 v[28:29], v[22:23], v[28:29]
	v_fma_f64 v[22:23], v[22:23], v[26:27], -v[30:31]
	v_fma_f64 v[24:25], v[24:25], v[26:27], v[28:29]
	v_add_f64 v[11:12], v[11:12], -v[22:23]
	v_add_f64 v[13:14], v[13:14], -v[24:25]
.LBB174_104:
	s_or_b64 exec, exec, s[8:9]
	s_barrier
	s_and_saveexec_b64 s[8:9], s[44:45]
	s_cbranch_execz .LBB174_106
; %bb.105:
	v_mov_b32_e32 v22, 0
	ds_read_b128 v[22:25], v22 offset:12672
	s_waitcnt lgkmcnt(0)
	v_mul_f64 v[26:27], v[13:14], v[24:25]
	v_mul_f64 v[24:25], v[11:12], v[24:25]
	v_fma_f64 v[11:12], v[11:12], v[22:23], -v[26:27]
	v_fma_f64 v[13:14], v[13:14], v[22:23], v[24:25]
	v_xor_b32_e32 v23, 0x80000000, v12
	v_xor_b32_e32 v25, 0x80000000, v14
	v_mov_b32_e32 v22, v11
	v_mov_b32_e32 v24, v13
	ds_write_b128 v21, v[22:25]
.LBB174_106:
	s_or_b64 exec, exec, s[8:9]
	s_waitcnt lgkmcnt(0)
	s_barrier
	s_barrier
	s_and_saveexec_b64 s[8:9], s[16:17]
; %bb.107:
	v_lshlrev_b32_e32 v22, 4, v19
	v_lshl_or_b32 v22, v20, 9, v22
	ds_write_b128 v22, v[11:14] offset:14720
; %bb.108:
	s_or_b64 exec, exec, s[8:9]
	v_cmp_gt_u32_e64 s[8:9], 4, v0
	s_and_b64 s[56:57], s[10:11], s[8:9]
	s_waitcnt lgkmcnt(0)
	s_barrier
	s_barrier
	s_and_saveexec_b64 s[8:9], s[56:57]
	s_cbranch_execz .LBB174_110
; %bb.109:
	v_lshlrev_b32_e32 v22, 4, v0
	s_movk_i32 s12, 0x1f0
	v_mad_u32_u24 v23, v0, s12, v22
	ds_read_b128 v[11:14], v23 offset:14720
	s_waitcnt lgkmcnt(0)
	ds_write_b128 v22, v[11:14] offset:12736
	ds_read_b128 v[11:14], v23 offset:14736
	s_waitcnt lgkmcnt(0)
	ds_write_b128 v22, v[11:14] offset:13248
	;; [unrolled: 3-line block ×4, first 2 shown]
.LBB174_110:
	s_or_b64 exec, exec, s[8:9]
	s_waitcnt lgkmcnt(0)
	s_barrier
	s_and_saveexec_b64 s[8:9], vcc
	s_cbranch_execz .LBB174_112
; %bb.111:
	v_mov_b32_e32 v32, 0
	ds_read_b128 v[11:14], v32 offset:14256
	ds_read_b128 v[22:25], v32 offset:13728
	;; [unrolled: 1-line block ×3, first 2 shown]
	s_waitcnt lgkmcnt(1)
	v_mul_f64 v[30:31], v[11:12], v[24:25]
	v_mul_f64 v[24:25], v[13:14], v[24:25]
	v_fma_f64 v[13:14], v[13:14], v[22:23], v[30:31]
	v_fma_f64 v[11:12], v[11:12], v[22:23], -v[24:25]
	s_waitcnt lgkmcnt(0)
	v_mul_f64 v[22:23], v[13:14], v[28:29]
	v_mul_f64 v[24:25], v[11:12], v[28:29]
	v_fma_f64 v[11:12], v[26:27], v[11:12], -v[22:23]
	v_fma_f64 v[13:14], v[26:27], v[13:14], v[24:25]
	ds_write_b128 v32, v[11:14] offset:14240
	ds_write_b128 v32, v[11:14] offset:13744
.LBB174_112:
	s_or_b64 exec, exec, s[8:9]
	v_mov_b32_e32 v11, 0
	v_mov_b32_e32 v13, 0
	;; [unrolled: 1-line block ×4, first 2 shown]
	s_waitcnt lgkmcnt(0)
	s_barrier
	buffer_wbinvl1_vol
	s_and_saveexec_b64 s[12:13], s[2:3]
	s_cbranch_execz .LBB174_116
; %bb.113:
	v_lshlrev_b32_e32 v22, 4, v15
	v_lshlrev_b32_e32 v11, 9, v16
	ds_read_b128 v[11:14], v11 offset:13728
	ds_read_b128 v[22:25], v22 offset:13696
	v_cmp_gt_u32_e64 s[8:9], 2, v18
	s_waitcnt lgkmcnt(0)
	v_mul_f64 v[26:27], v[13:14], v[24:25]
	v_mul_f64 v[24:25], v[11:12], v[24:25]
	v_fma_f64 v[11:12], v[11:12], v[22:23], -v[26:27]
	v_fma_f64 v[13:14], v[13:14], v[22:23], v[24:25]
	v_add_f64 v[11:12], v[11:12], 0
	v_add_f64 v[13:14], v[13:14], 0
	s_and_saveexec_b64 s[14:15], s[8:9]
	s_cbranch_execz .LBB174_115
; %bb.114:
	v_lshlrev_b32_e32 v26, 4, v0
	v_mov_b32_e32 v22, 0
	ds_read_b128 v[22:25], v22 offset:14256
	ds_read_b128 v[26:29], v26 offset:14208
	s_waitcnt lgkmcnt(0)
	v_mul_f64 v[30:31], v[24:25], v[28:29]
	v_mul_f64 v[28:29], v[22:23], v[28:29]
	v_fma_f64 v[22:23], v[22:23], v[26:27], -v[30:31]
	v_fma_f64 v[24:25], v[24:25], v[26:27], v[28:29]
	v_add_f64 v[11:12], v[11:12], v[22:23]
	v_add_f64 v[13:14], v[13:14], v[24:25]
.LBB174_115:
	s_or_b64 exec, exec, s[14:15]
.LBB174_116:
	s_or_b64 exec, exec, s[12:13]
	s_and_saveexec_b64 s[8:9], s[40:41]
	s_cbranch_execz .LBB174_118
; %bb.117:
	v_mov_b32_e32 v22, 0
	ds_read_b128 v[22:25], v22 offset:13200
	s_waitcnt lgkmcnt(0)
	v_mul_f64 v[26:27], v[13:14], v[24:25]
	v_mul_f64 v[24:25], v[11:12], v[24:25]
	v_fma_f64 v[11:12], v[11:12], v[22:23], -v[26:27]
	v_fma_f64 v[13:14], v[13:14], v[22:23], v[24:25]
	v_xor_b32_e32 v23, 0x80000000, v12
	v_xor_b32_e32 v25, 0x80000000, v14
	v_mov_b32_e32 v22, v11
	v_mov_b32_e32 v24, v13
	ds_write_b128 v17, v[22:25]
.LBB174_118:
	s_or_b64 exec, exec, s[8:9]
	s_waitcnt lgkmcnt(0)
	s_barrier
	s_and_saveexec_b64 s[8:9], s[38:39]
	s_cbranch_execz .LBB174_120
; %bb.119:
	v_mov_b32_e32 v26, 0
	ds_read_b128 v[22:25], v17
	ds_read_b128 v[26:29], v26 offset:13184
	s_waitcnt lgkmcnt(0)
	v_mul_f64 v[30:31], v[24:25], v[28:29]
	v_mul_f64 v[28:29], v[22:23], v[28:29]
	v_fma_f64 v[22:23], v[22:23], v[26:27], -v[30:31]
	v_fma_f64 v[24:25], v[24:25], v[26:27], v[28:29]
	v_add_f64 v[11:12], v[11:12], -v[22:23]
	v_add_f64 v[13:14], v[13:14], -v[24:25]
.LBB174_120:
	s_or_b64 exec, exec, s[8:9]
	s_barrier
	s_and_saveexec_b64 s[8:9], s[38:39]
	s_cbranch_execz .LBB174_122
; %bb.121:
	v_mov_b32_e32 v22, 0
	ds_read_b128 v[22:25], v22 offset:12672
	s_waitcnt lgkmcnt(0)
	v_mul_f64 v[26:27], v[13:14], v[24:25]
	v_mul_f64 v[24:25], v[11:12], v[24:25]
	v_fma_f64 v[11:12], v[11:12], v[22:23], -v[26:27]
	v_fma_f64 v[13:14], v[13:14], v[22:23], v[24:25]
	v_xor_b32_e32 v23, 0x80000000, v12
	v_xor_b32_e32 v25, 0x80000000, v14
	v_mov_b32_e32 v22, v11
	v_mov_b32_e32 v24, v13
	ds_write_b128 v17, v[22:25]
.LBB174_122:
	s_or_b64 exec, exec, s[8:9]
	s_waitcnt lgkmcnt(0)
	s_barrier
	s_barrier
	s_and_saveexec_b64 s[8:9], s[2:3]
; %bb.123:
	v_lshlrev_b32_e32 v22, 4, v15
	v_lshl_or_b32 v22, v16, 9, v22
	ds_write_b128 v22, v[11:14] offset:13696
; %bb.124:
	s_or_b64 exec, exec, s[8:9]
	s_waitcnt lgkmcnt(0)
	s_barrier
	s_barrier
	s_and_saveexec_b64 s[8:9], s[42:43]
	s_cbranch_execz .LBB174_126
; %bb.125:
	v_lshlrev_b32_e32 v22, 9, v0
	ds_read_b128 v[11:14], v22 offset:13696
	s_movk_i32 s12, 0xfe10
	v_mad_i32_i24 v23, v0, s12, v22
	s_waitcnt lgkmcnt(0)
	ds_write_b128 v23, v[11:14] offset:12704
	ds_read_b128 v[11:14], v22 offset:13712
	s_waitcnt lgkmcnt(0)
	ds_write_b128 v23, v[11:14] offset:13216
.LBB174_126:
	s_or_b64 exec, exec, s[8:9]
	s_waitcnt lgkmcnt(0)
	s_barrier
	s_and_saveexec_b64 s[8:9], vcc
	s_cbranch_execz .LBB174_128
; %bb.127:
	v_mov_b32_e32 v32, 0
	ds_read_b128 v[11:14], v32 offset:13200
	ds_read_b128 v[22:25], v32 offset:12672
	;; [unrolled: 1-line block ×3, first 2 shown]
	s_waitcnt lgkmcnt(1)
	v_mul_f64 v[30:31], v[11:12], v[24:25]
	v_mul_f64 v[24:25], v[13:14], v[24:25]
	v_fma_f64 v[13:14], v[13:14], v[22:23], v[30:31]
	v_fma_f64 v[11:12], v[11:12], v[22:23], -v[24:25]
	s_waitcnt lgkmcnt(0)
	v_mul_f64 v[22:23], v[13:14], v[28:29]
	v_mul_f64 v[24:25], v[11:12], v[28:29]
	v_fma_f64 v[11:12], v[26:27], v[11:12], -v[22:23]
	v_fma_f64 v[13:14], v[26:27], v[13:14], v[24:25]
	ds_write_b128 v32, v[11:14] offset:13184
	ds_write_b128 v32, v[11:14] offset:12688
.LBB174_128:
	s_or_b64 exec, exec, s[8:9]
	v_lshrrev_b32_e32 v24, 3, v18
	v_mov_b32_e32 v13, 0
	v_mov_b32_e32 v11, 0
	v_and_b32_e32 v22, 7, v0
	v_sub_u32_e32 v23, 7, v24
	v_cmp_lt_u32_e64 s[12:13], 63, v18
	v_mov_b32_e32 v14, 0
	v_mov_b32_e32 v12, 0
	v_cmp_gt_u32_e64 s[8:9], 64, v18
	s_waitcnt lgkmcnt(0)
	s_barrier
	buffer_wbinvl1_vol
	s_and_saveexec_b64 s[18:19], s[8:9]
	s_cbranch_execz .LBB174_138
; %bb.129:
	v_lshlrev_b32_e32 v26, 9, v23
	v_lshlrev_b32_e32 v25, 4, v22
	ds_read_b128 v[11:14], v26 offset:12672
	ds_read_b128 v[27:30], v25 offset:12544
	v_cmp_gt_u32_e64 s[14:15], 56, v18
	s_waitcnt lgkmcnt(0)
	v_mul_f64 v[31:32], v[13:14], v[29:30]
	v_mul_f64 v[29:30], v[11:12], v[29:30]
	v_fma_f64 v[11:12], v[11:12], v[27:28], -v[31:32]
	v_fma_f64 v[13:14], v[13:14], v[27:28], v[29:30]
	v_add_f64 v[11:12], v[11:12], 0
	v_add_f64 v[13:14], v[13:14], 0
	s_and_saveexec_b64 s[58:59], s[14:15]
	s_cbranch_execnz .LBB174_553
; %bb.130:
	s_or_b64 exec, exec, s[58:59]
	v_cmp_gt_u32_e64 s[14:15], 48, v18
	s_and_saveexec_b64 s[58:59], s[14:15]
	s_cbranch_execnz .LBB174_554
.LBB174_131:
	s_or_b64 exec, exec, s[58:59]
	v_cmp_gt_u32_e64 s[14:15], 40, v18
	s_and_saveexec_b64 s[58:59], s[14:15]
	s_cbranch_execnz .LBB174_555
.LBB174_132:
	s_or_b64 exec, exec, s[58:59]
	v_cmp_gt_u32_e64 s[14:15], 32, v18
	s_and_saveexec_b64 s[58:59], s[14:15]
	s_cbranch_execnz .LBB174_556
.LBB174_133:
	s_or_b64 exec, exec, s[58:59]
	v_cmp_gt_u32_e64 s[14:15], 24, v18
	s_and_saveexec_b64 s[58:59], s[14:15]
	s_cbranch_execnz .LBB174_557
.LBB174_134:
	s_or_b64 exec, exec, s[58:59]
	s_and_saveexec_b64 s[14:15], s[16:17]
	s_cbranch_execnz .LBB174_558
.LBB174_135:
	s_or_b64 exec, exec, s[14:15]
	v_cmp_gt_u32_e64 s[14:15], 8, v18
	s_and_saveexec_b64 s[58:59], s[14:15]
	s_cbranch_execz .LBB174_137
.LBB174_136:
	v_lshlrev_b32_e32 v29, 4, v0
	v_mov_b32_e32 v25, 0
	ds_read_b128 v[25:28], v25 offset:16368
	ds_read_b128 v[29:32], v29 offset:16128
	s_waitcnt lgkmcnt(0)
	v_mul_f64 v[33:34], v[27:28], v[31:32]
	v_mul_f64 v[31:32], v[25:26], v[31:32]
	v_fma_f64 v[25:26], v[25:26], v[29:30], -v[33:34]
	v_fma_f64 v[27:28], v[27:28], v[29:30], v[31:32]
	v_add_f64 v[11:12], v[11:12], v[25:26]
	v_add_f64 v[13:14], v[13:14], v[27:28]
.LBB174_137:
	s_or_b64 exec, exec, s[58:59]
.LBB174_138:
	s_or_b64 exec, exec, s[18:19]
	v_mov_b32_e32 v25, 0x4000
	v_cmp_eq_u32_e64 s[14:15], 7, v22
	s_xor_b64 s[18:19], s[12:13], -1
	v_lshl_add_u32 v24, v24, 4, v25
	s_and_b64 s[60:61], s[14:15], s[18:19]
	s_and_saveexec_b64 s[12:13], s[60:61]
	s_cbranch_execz .LBB174_140
; %bb.139:
	v_mov_b32_e32 v25, 0
	ds_read_b128 v[25:28], v25 offset:12144
	s_waitcnt lgkmcnt(0)
	v_mul_f64 v[29:30], v[13:14], v[27:28]
	v_mul_f64 v[27:28], v[11:12], v[27:28]
	v_fma_f64 v[11:12], v[11:12], v[25:26], -v[29:30]
	v_fma_f64 v[13:14], v[13:14], v[25:26], v[27:28]
	v_xor_b32_e32 v26, 0x80000000, v12
	v_xor_b32_e32 v28, 0x80000000, v14
	v_mov_b32_e32 v25, v11
	v_mov_b32_e32 v27, v13
	ds_write_b128 v24, v[25:28]
.LBB174_140:
	s_or_b64 exec, exec, s[12:13]
	v_cmp_ne_u32_e64 s[12:13], 7, v22
	s_and_b64 s[62:63], s[12:13], s[18:19]
	s_waitcnt lgkmcnt(0)
	s_barrier
	s_and_saveexec_b64 s[12:13], s[62:63]
	s_cbranch_execz .LBB174_142
; %bb.141:
	v_lshlrev_b32_e32 v29, 4, v22
	ds_read_b128 v[25:28], v24
	ds_read_b128 v[29:32], v29 offset:12032
	s_waitcnt lgkmcnt(0)
	v_mul_f64 v[33:34], v[27:28], v[31:32]
	v_mul_f64 v[31:32], v[25:26], v[31:32]
	v_fma_f64 v[25:26], v[25:26], v[29:30], -v[33:34]
	v_fma_f64 v[27:28], v[27:28], v[29:30], v[31:32]
	v_add_f64 v[11:12], v[11:12], -v[25:26]
	v_add_f64 v[13:14], v[13:14], -v[27:28]
.LBB174_142:
	s_or_b64 exec, exec, s[12:13]
	v_cmp_eq_u32_e64 s[12:13], 6, v22
	s_and_b64 s[64:65], s[12:13], s[18:19]
	s_barrier
	s_and_saveexec_b64 s[12:13], s[64:65]
	s_cbranch_execz .LBB174_144
; %bb.143:
	v_mov_b32_e32 v25, 0
	ds_read_b128 v[25:28], v25 offset:11616
	s_waitcnt lgkmcnt(0)
	v_mul_f64 v[29:30], v[13:14], v[27:28]
	v_mul_f64 v[27:28], v[11:12], v[27:28]
	v_fma_f64 v[11:12], v[11:12], v[25:26], -v[29:30]
	v_fma_f64 v[13:14], v[13:14], v[25:26], v[27:28]
	v_xor_b32_e32 v26, 0x80000000, v12
	v_xor_b32_e32 v28, 0x80000000, v14
	v_mov_b32_e32 v25, v11
	v_mov_b32_e32 v27, v13
	ds_write_b128 v24, v[25:28]
.LBB174_144:
	s_or_b64 exec, exec, s[12:13]
	v_cmp_gt_u32_e64 s[12:13], 6, v22
	s_and_b64 s[66:67], s[12:13], s[18:19]
	s_waitcnt lgkmcnt(0)
	s_barrier
	s_and_saveexec_b64 s[12:13], s[66:67]
	s_cbranch_execz .LBB174_146
; %bb.145:
	v_lshlrev_b32_e32 v29, 4, v22
	ds_read_b128 v[25:28], v24
	ds_read_b128 v[29:32], v29 offset:11520
	s_waitcnt lgkmcnt(0)
	v_mul_f64 v[33:34], v[27:28], v[31:32]
	v_mul_f64 v[31:32], v[25:26], v[31:32]
	v_fma_f64 v[25:26], v[25:26], v[29:30], -v[33:34]
	v_fma_f64 v[27:28], v[27:28], v[29:30], v[31:32]
	v_add_f64 v[11:12], v[11:12], -v[25:26]
	v_add_f64 v[13:14], v[13:14], -v[27:28]
.LBB174_146:
	s_or_b64 exec, exec, s[12:13]
	v_cmp_eq_u32_e64 s[12:13], 5, v22
	s_and_b64 s[68:69], s[12:13], s[18:19]
	s_barrier
	s_and_saveexec_b64 s[12:13], s[68:69]
	s_cbranch_execz .LBB174_148
; %bb.147:
	v_mov_b32_e32 v25, 0
	ds_read_b128 v[25:28], v25 offset:11088
	s_waitcnt lgkmcnt(0)
	v_mul_f64 v[29:30], v[13:14], v[27:28]
	v_mul_f64 v[27:28], v[11:12], v[27:28]
	v_fma_f64 v[11:12], v[11:12], v[25:26], -v[29:30]
	v_fma_f64 v[13:14], v[13:14], v[25:26], v[27:28]
	v_xor_b32_e32 v26, 0x80000000, v12
	v_xor_b32_e32 v28, 0x80000000, v14
	v_mov_b32_e32 v25, v11
	v_mov_b32_e32 v27, v13
	ds_write_b128 v24, v[25:28]
.LBB174_148:
	s_or_b64 exec, exec, s[12:13]
	v_cmp_gt_u32_e64 s[12:13], 5, v22
	;; [unrolled: 39-line block ×5, first 2 shown]
	s_and_b64 s[82:83], s[12:13], s[18:19]
	s_waitcnt lgkmcnt(0)
	s_barrier
	s_and_saveexec_b64 s[12:13], s[82:83]
	s_cbranch_execz .LBB174_162
; %bb.161:
	v_lshlrev_b32_e32 v29, 4, v22
	ds_read_b128 v[25:28], v24
	ds_read_b128 v[29:32], v29 offset:9472
	s_waitcnt lgkmcnt(0)
	v_mul_f64 v[33:34], v[27:28], v[31:32]
	v_mul_f64 v[31:32], v[25:26], v[31:32]
	v_fma_f64 v[25:26], v[25:26], v[29:30], -v[33:34]
	v_fma_f64 v[27:28], v[27:28], v[29:30], v[31:32]
	v_add_f64 v[11:12], v[11:12], -v[25:26]
	v_add_f64 v[13:14], v[13:14], -v[27:28]
.LBB174_162:
	s_or_b64 exec, exec, s[12:13]
	v_cmp_eq_u32_e64 s[12:13], 1, v22
	s_and_b64 s[84:85], s[12:13], s[18:19]
	s_barrier
	s_and_saveexec_b64 s[12:13], s[84:85]
	s_cbranch_execz .LBB174_164
; %bb.163:
	v_mov_b32_e32 v25, 0
	ds_read_b128 v[25:28], v25 offset:8976
	s_waitcnt lgkmcnt(0)
	v_mul_f64 v[29:30], v[13:14], v[27:28]
	v_mul_f64 v[27:28], v[11:12], v[27:28]
	v_fma_f64 v[11:12], v[11:12], v[25:26], -v[29:30]
	v_fma_f64 v[13:14], v[13:14], v[25:26], v[27:28]
	v_xor_b32_e32 v26, 0x80000000, v12
	v_xor_b32_e32 v28, 0x80000000, v14
	v_mov_b32_e32 v25, v11
	v_mov_b32_e32 v27, v13
	ds_write_b128 v24, v[25:28]
.LBB174_164:
	s_or_b64 exec, exec, s[12:13]
	v_cmp_eq_u32_e64 s[12:13], 0, v22
	s_and_b64 s[58:59], s[12:13], s[18:19]
	s_waitcnt lgkmcnt(0)
	s_barrier
	s_and_saveexec_b64 s[12:13], s[58:59]
	s_cbranch_execz .LBB174_166
; %bb.165:
	v_mov_b32_e32 v29, 0
	ds_read_b128 v[25:28], v24
	ds_read_b128 v[29:32], v29 offset:8960
	s_waitcnt lgkmcnt(0)
	v_mul_f64 v[33:34], v[27:28], v[31:32]
	v_mul_f64 v[31:32], v[25:26], v[31:32]
	v_fma_f64 v[25:26], v[25:26], v[29:30], -v[33:34]
	v_fma_f64 v[27:28], v[27:28], v[29:30], v[31:32]
	v_add_f64 v[11:12], v[11:12], -v[25:26]
	v_add_f64 v[13:14], v[13:14], -v[27:28]
.LBB174_166:
	s_or_b64 exec, exec, s[12:13]
	s_barrier
	s_and_saveexec_b64 s[12:13], s[58:59]
	s_cbranch_execz .LBB174_168
; %bb.167:
	v_mov_b32_e32 v25, 0
	ds_read_b128 v[25:28], v25 offset:8448
	s_waitcnt lgkmcnt(0)
	v_mul_f64 v[29:30], v[13:14], v[27:28]
	v_mul_f64 v[27:28], v[11:12], v[27:28]
	v_fma_f64 v[11:12], v[11:12], v[25:26], -v[29:30]
	v_fma_f64 v[13:14], v[13:14], v[25:26], v[27:28]
	v_xor_b32_e32 v26, 0x80000000, v12
	v_xor_b32_e32 v28, 0x80000000, v14
	v_mov_b32_e32 v25, v11
	v_mov_b32_e32 v27, v13
	ds_write_b128 v24, v[25:28]
.LBB174_168:
	s_or_b64 exec, exec, s[12:13]
	s_waitcnt lgkmcnt(0)
	s_barrier
	s_barrier
	s_and_saveexec_b64 s[12:13], s[8:9]
; %bb.169:
	v_lshlrev_b32_e32 v25, 4, v22
	v_lshl_or_b32 v25, v23, 9, v25
	ds_write_b128 v25, v[11:14] offset:12544
; %bb.170:
	s_or_b64 exec, exec, s[12:13]
	v_cmp_gt_u32_e64 s[12:13], 8, v0
	s_and_b64 s[86:87], s[10:11], s[12:13]
	s_waitcnt lgkmcnt(0)
	s_barrier
	s_barrier
	s_and_saveexec_b64 s[12:13], s[86:87]
	s_cbranch_execz .LBB174_172
; %bb.171:
	v_lshlrev_b32_e32 v25, 9, v0
	ds_read_b128 v[11:14], v25 offset:12544
	s_movk_i32 s14, 0xfe10
	v_mad_i32_i24 v26, v0, s14, v25
	s_waitcnt lgkmcnt(0)
	ds_write_b128 v26, v[11:14] offset:8576
	ds_read_b128 v[11:14], v25 offset:12560
	s_waitcnt lgkmcnt(0)
	ds_write_b128 v26, v[11:14] offset:9088
	ds_read_b128 v[11:14], v25 offset:12576
	;; [unrolled: 3-line block ×7, first 2 shown]
	s_waitcnt lgkmcnt(0)
	ds_write_b128 v26, v[11:14] offset:12160
.LBB174_172:
	s_or_b64 exec, exec, s[12:13]
	s_waitcnt lgkmcnt(0)
	s_barrier
	s_and_saveexec_b64 s[12:13], vcc
	s_cbranch_execz .LBB174_174
; %bb.173:
	v_mov_b32_e32 v35, 0
	ds_read_b128 v[11:14], v35 offset:12144
	ds_read_b128 v[25:28], v35 offset:11616
	;; [unrolled: 1-line block ×3, first 2 shown]
	s_waitcnt lgkmcnt(1)
	v_mul_f64 v[33:34], v[11:12], v[27:28]
	v_mul_f64 v[27:28], v[13:14], v[27:28]
	v_fma_f64 v[13:14], v[13:14], v[25:26], v[33:34]
	v_fma_f64 v[11:12], v[11:12], v[25:26], -v[27:28]
	s_waitcnt lgkmcnt(0)
	v_mul_f64 v[25:26], v[13:14], v[31:32]
	v_mul_f64 v[27:28], v[11:12], v[31:32]
	v_fma_f64 v[11:12], v[29:30], v[11:12], -v[25:26]
	v_fma_f64 v[13:14], v[29:30], v[13:14], v[27:28]
	ds_write_b128 v35, v[11:14] offset:12128
	ds_write_b128 v35, v[11:14] offset:11632
.LBB174_174:
	s_or_b64 exec, exec, s[12:13]
	v_mov_b32_e32 v11, 0
	v_mov_b32_e32 v13, 0
	;; [unrolled: 1-line block ×4, first 2 shown]
	s_waitcnt lgkmcnt(0)
	s_barrier
	buffer_wbinvl1_vol
	s_and_saveexec_b64 s[14:15], s[2:3]
	s_cbranch_execz .LBB174_178
; %bb.175:
	v_lshlrev_b32_e32 v25, 4, v15
	v_lshlrev_b32_e32 v11, 9, v16
	ds_read_b128 v[11:14], v11 offset:11616
	ds_read_b128 v[25:28], v25 offset:11584
	v_cmp_gt_u32_e64 s[12:13], 2, v18
	s_waitcnt lgkmcnt(0)
	v_mul_f64 v[29:30], v[13:14], v[27:28]
	v_mul_f64 v[27:28], v[11:12], v[27:28]
	v_fma_f64 v[11:12], v[11:12], v[25:26], -v[29:30]
	v_fma_f64 v[13:14], v[13:14], v[25:26], v[27:28]
	v_add_f64 v[11:12], v[11:12], 0
	v_add_f64 v[13:14], v[13:14], 0
	s_and_saveexec_b64 s[18:19], s[12:13]
	s_cbranch_execz .LBB174_177
; %bb.176:
	v_lshlrev_b32_e32 v29, 4, v0
	v_mov_b32_e32 v25, 0
	ds_read_b128 v[25:28], v25 offset:12144
	ds_read_b128 v[29:32], v29 offset:12096
	s_waitcnt lgkmcnt(0)
	v_mul_f64 v[33:34], v[27:28], v[31:32]
	v_mul_f64 v[31:32], v[25:26], v[31:32]
	v_fma_f64 v[25:26], v[25:26], v[29:30], -v[33:34]
	v_fma_f64 v[27:28], v[27:28], v[29:30], v[31:32]
	v_add_f64 v[11:12], v[11:12], v[25:26]
	v_add_f64 v[13:14], v[13:14], v[27:28]
.LBB174_177:
	s_or_b64 exec, exec, s[18:19]
.LBB174_178:
	s_or_b64 exec, exec, s[14:15]
	s_and_saveexec_b64 s[12:13], s[40:41]
	s_cbranch_execz .LBB174_180
; %bb.179:
	v_mov_b32_e32 v25, 0
	ds_read_b128 v[25:28], v25 offset:11088
	s_waitcnt lgkmcnt(0)
	v_mul_f64 v[29:30], v[13:14], v[27:28]
	v_mul_f64 v[27:28], v[11:12], v[27:28]
	v_fma_f64 v[11:12], v[11:12], v[25:26], -v[29:30]
	v_fma_f64 v[13:14], v[13:14], v[25:26], v[27:28]
	v_xor_b32_e32 v26, 0x80000000, v12
	v_xor_b32_e32 v28, 0x80000000, v14
	v_mov_b32_e32 v25, v11
	v_mov_b32_e32 v27, v13
	ds_write_b128 v17, v[25:28]
.LBB174_180:
	s_or_b64 exec, exec, s[12:13]
	s_waitcnt lgkmcnt(0)
	s_barrier
	s_and_saveexec_b64 s[12:13], s[38:39]
	s_cbranch_execz .LBB174_182
; %bb.181:
	v_mov_b32_e32 v29, 0
	ds_read_b128 v[25:28], v17
	ds_read_b128 v[29:32], v29 offset:11072
	s_waitcnt lgkmcnt(0)
	v_mul_f64 v[33:34], v[27:28], v[31:32]
	v_mul_f64 v[31:32], v[25:26], v[31:32]
	v_fma_f64 v[25:26], v[25:26], v[29:30], -v[33:34]
	v_fma_f64 v[27:28], v[27:28], v[29:30], v[31:32]
	v_add_f64 v[11:12], v[11:12], -v[25:26]
	v_add_f64 v[13:14], v[13:14], -v[27:28]
.LBB174_182:
	s_or_b64 exec, exec, s[12:13]
	s_barrier
	s_and_saveexec_b64 s[12:13], s[38:39]
	s_cbranch_execz .LBB174_184
; %bb.183:
	v_mov_b32_e32 v25, 0
	ds_read_b128 v[25:28], v25 offset:10560
	s_waitcnt lgkmcnt(0)
	v_mul_f64 v[29:30], v[13:14], v[27:28]
	v_mul_f64 v[27:28], v[11:12], v[27:28]
	v_fma_f64 v[11:12], v[11:12], v[25:26], -v[29:30]
	v_fma_f64 v[13:14], v[13:14], v[25:26], v[27:28]
	v_xor_b32_e32 v26, 0x80000000, v12
	v_xor_b32_e32 v28, 0x80000000, v14
	v_mov_b32_e32 v25, v11
	v_mov_b32_e32 v27, v13
	ds_write_b128 v17, v[25:28]
.LBB174_184:
	s_or_b64 exec, exec, s[12:13]
	s_waitcnt lgkmcnt(0)
	s_barrier
	s_barrier
	s_and_saveexec_b64 s[12:13], s[2:3]
; %bb.185:
	v_lshlrev_b32_e32 v25, 4, v15
	v_lshl_or_b32 v25, v16, 9, v25
	ds_write_b128 v25, v[11:14] offset:11584
; %bb.186:
	s_or_b64 exec, exec, s[12:13]
	s_waitcnt lgkmcnt(0)
	s_barrier
	s_barrier
	s_and_saveexec_b64 s[12:13], s[42:43]
	s_cbranch_execz .LBB174_188
; %bb.187:
	v_lshlrev_b32_e32 v25, 9, v0
	ds_read_b128 v[11:14], v25 offset:11584
	s_movk_i32 s14, 0xfe10
	v_mad_i32_i24 v26, v0, s14, v25
	s_waitcnt lgkmcnt(0)
	ds_write_b128 v26, v[11:14] offset:10592
	ds_read_b128 v[11:14], v25 offset:11600
	s_waitcnt lgkmcnt(0)
	ds_write_b128 v26, v[11:14] offset:11104
.LBB174_188:
	s_or_b64 exec, exec, s[12:13]
	s_waitcnt lgkmcnt(0)
	s_barrier
	s_and_saveexec_b64 s[12:13], vcc
	s_cbranch_execz .LBB174_190
; %bb.189:
	v_mov_b32_e32 v35, 0
	ds_read_b128 v[11:14], v35 offset:11088
	ds_read_b128 v[25:28], v35 offset:10560
	;; [unrolled: 1-line block ×3, first 2 shown]
	s_waitcnt lgkmcnt(1)
	v_mul_f64 v[33:34], v[11:12], v[27:28]
	v_mul_f64 v[27:28], v[13:14], v[27:28]
	v_fma_f64 v[13:14], v[13:14], v[25:26], v[33:34]
	v_fma_f64 v[11:12], v[11:12], v[25:26], -v[27:28]
	s_waitcnt lgkmcnt(0)
	v_mul_f64 v[25:26], v[13:14], v[31:32]
	v_mul_f64 v[27:28], v[11:12], v[31:32]
	v_fma_f64 v[11:12], v[29:30], v[11:12], -v[25:26]
	v_fma_f64 v[13:14], v[29:30], v[13:14], v[27:28]
	ds_write_b128 v35, v[11:14] offset:11072
	ds_write_b128 v35, v[11:14] offset:10576
.LBB174_190:
	s_or_b64 exec, exec, s[12:13]
	v_mov_b32_e32 v13, 0
	v_mov_b32_e32 v11, 0
	;; [unrolled: 1-line block ×4, first 2 shown]
	s_waitcnt lgkmcnt(0)
	s_barrier
	buffer_wbinvl1_vol
	s_and_saveexec_b64 s[14:15], s[16:17]
	s_cbranch_execz .LBB174_196
; %bb.191:
	v_lshlrev_b32_e32 v26, 9, v20
	v_lshlrev_b32_e32 v25, 4, v19
	ds_read_b128 v[11:14], v26 offset:10560
	ds_read_b128 v[27:30], v25 offset:10496
	v_cmp_gt_u32_e64 s[12:13], 12, v18
	s_waitcnt lgkmcnt(0)
	v_mul_f64 v[31:32], v[13:14], v[29:30]
	v_mul_f64 v[29:30], v[11:12], v[29:30]
	v_fma_f64 v[11:12], v[11:12], v[27:28], -v[31:32]
	v_fma_f64 v[13:14], v[13:14], v[27:28], v[29:30]
	v_add_f64 v[11:12], v[11:12], 0
	v_add_f64 v[13:14], v[13:14], 0
	s_and_saveexec_b64 s[18:19], s[12:13]
	s_cbranch_execnz .LBB174_559
; %bb.192:
	s_or_b64 exec, exec, s[18:19]
	v_cmp_gt_u32_e64 s[12:13], 8, v18
	s_and_saveexec_b64 s[18:19], s[12:13]
	s_cbranch_execnz .LBB174_560
.LBB174_193:
	s_or_b64 exec, exec, s[18:19]
	v_cmp_gt_u32_e64 s[12:13], 4, v18
	s_and_saveexec_b64 s[18:19], s[12:13]
	s_cbranch_execz .LBB174_195
.LBB174_194:
	v_lshlrev_b32_e32 v29, 4, v0
	v_mov_b32_e32 v25, 0
	ds_read_b128 v[25:28], v25 offset:12144
	ds_read_b128 v[29:32], v29 offset:12032
	s_waitcnt lgkmcnt(0)
	v_mul_f64 v[33:34], v[27:28], v[31:32]
	v_mul_f64 v[31:32], v[25:26], v[31:32]
	v_fma_f64 v[25:26], v[25:26], v[29:30], -v[33:34]
	v_fma_f64 v[27:28], v[27:28], v[29:30], v[31:32]
	v_add_f64 v[11:12], v[11:12], v[25:26]
	v_add_f64 v[13:14], v[13:14], v[27:28]
.LBB174_195:
	s_or_b64 exec, exec, s[18:19]
.LBB174_196:
	s_or_b64 exec, exec, s[14:15]
	s_and_saveexec_b64 s[12:13], s[46:47]
	s_cbranch_execz .LBB174_198
; %bb.197:
	v_mov_b32_e32 v25, 0
	ds_read_b128 v[25:28], v25 offset:10032
	s_waitcnt lgkmcnt(0)
	v_mul_f64 v[29:30], v[13:14], v[27:28]
	v_mul_f64 v[27:28], v[11:12], v[27:28]
	v_fma_f64 v[11:12], v[11:12], v[25:26], -v[29:30]
	v_fma_f64 v[13:14], v[13:14], v[25:26], v[27:28]
	v_xor_b32_e32 v26, 0x80000000, v12
	v_xor_b32_e32 v28, 0x80000000, v14
	v_mov_b32_e32 v25, v11
	v_mov_b32_e32 v27, v13
	ds_write_b128 v21, v[25:28]
.LBB174_198:
	s_or_b64 exec, exec, s[12:13]
	s_waitcnt lgkmcnt(0)
	s_barrier
	s_and_saveexec_b64 s[12:13], s[48:49]
	s_cbranch_execz .LBB174_200
; %bb.199:
	v_lshlrev_b32_e32 v29, 4, v19
	ds_read_b128 v[25:28], v21
	ds_read_b128 v[29:32], v29 offset:9984
	s_waitcnt lgkmcnt(0)
	v_mul_f64 v[33:34], v[27:28], v[31:32]
	v_mul_f64 v[31:32], v[25:26], v[31:32]
	v_fma_f64 v[25:26], v[25:26], v[29:30], -v[33:34]
	v_fma_f64 v[27:28], v[27:28], v[29:30], v[31:32]
	v_add_f64 v[11:12], v[11:12], -v[25:26]
	v_add_f64 v[13:14], v[13:14], -v[27:28]
.LBB174_200:
	s_or_b64 exec, exec, s[12:13]
	s_barrier
	s_and_saveexec_b64 s[12:13], s[50:51]
	s_cbranch_execz .LBB174_202
; %bb.201:
	v_mov_b32_e32 v25, 0
	ds_read_b128 v[25:28], v25 offset:9504
	s_waitcnt lgkmcnt(0)
	v_mul_f64 v[29:30], v[13:14], v[27:28]
	v_mul_f64 v[27:28], v[11:12], v[27:28]
	v_fma_f64 v[11:12], v[11:12], v[25:26], -v[29:30]
	v_fma_f64 v[13:14], v[13:14], v[25:26], v[27:28]
	v_xor_b32_e32 v26, 0x80000000, v12
	v_xor_b32_e32 v28, 0x80000000, v14
	v_mov_b32_e32 v25, v11
	v_mov_b32_e32 v27, v13
	ds_write_b128 v21, v[25:28]
.LBB174_202:
	s_or_b64 exec, exec, s[12:13]
	s_waitcnt lgkmcnt(0)
	s_barrier
	s_and_saveexec_b64 s[12:13], s[52:53]
	s_cbranch_execz .LBB174_204
; %bb.203:
	v_lshlrev_b32_e32 v29, 4, v19
	ds_read_b128 v[25:28], v21
	ds_read_b128 v[29:32], v29 offset:9472
	s_waitcnt lgkmcnt(0)
	v_mul_f64 v[33:34], v[27:28], v[31:32]
	v_mul_f64 v[31:32], v[25:26], v[31:32]
	v_fma_f64 v[25:26], v[25:26], v[29:30], -v[33:34]
	v_fma_f64 v[27:28], v[27:28], v[29:30], v[31:32]
	v_add_f64 v[11:12], v[11:12], -v[25:26]
	v_add_f64 v[13:14], v[13:14], -v[27:28]
.LBB174_204:
	s_or_b64 exec, exec, s[12:13]
	s_barrier
	s_and_saveexec_b64 s[12:13], s[54:55]
	s_cbranch_execz .LBB174_206
; %bb.205:
	v_mov_b32_e32 v25, 0
	ds_read_b128 v[25:28], v25 offset:8976
	s_waitcnt lgkmcnt(0)
	v_mul_f64 v[29:30], v[13:14], v[27:28]
	v_mul_f64 v[27:28], v[11:12], v[27:28]
	v_fma_f64 v[11:12], v[11:12], v[25:26], -v[29:30]
	v_fma_f64 v[13:14], v[13:14], v[25:26], v[27:28]
	v_xor_b32_e32 v26, 0x80000000, v12
	v_xor_b32_e32 v28, 0x80000000, v14
	v_mov_b32_e32 v25, v11
	v_mov_b32_e32 v27, v13
	ds_write_b128 v21, v[25:28]
.LBB174_206:
	s_or_b64 exec, exec, s[12:13]
	s_waitcnt lgkmcnt(0)
	s_barrier
	s_and_saveexec_b64 s[12:13], s[44:45]
	s_cbranch_execz .LBB174_208
; %bb.207:
	v_mov_b32_e32 v29, 0
	ds_read_b128 v[25:28], v21
	ds_read_b128 v[29:32], v29 offset:8960
	s_waitcnt lgkmcnt(0)
	v_mul_f64 v[33:34], v[27:28], v[31:32]
	v_mul_f64 v[31:32], v[25:26], v[31:32]
	v_fma_f64 v[25:26], v[25:26], v[29:30], -v[33:34]
	v_fma_f64 v[27:28], v[27:28], v[29:30], v[31:32]
	v_add_f64 v[11:12], v[11:12], -v[25:26]
	v_add_f64 v[13:14], v[13:14], -v[27:28]
.LBB174_208:
	s_or_b64 exec, exec, s[12:13]
	s_barrier
	s_and_saveexec_b64 s[12:13], s[44:45]
	s_cbranch_execz .LBB174_210
; %bb.209:
	v_mov_b32_e32 v25, 0
	ds_read_b128 v[25:28], v25 offset:8448
	s_waitcnt lgkmcnt(0)
	v_mul_f64 v[29:30], v[13:14], v[27:28]
	v_mul_f64 v[27:28], v[11:12], v[27:28]
	v_fma_f64 v[11:12], v[11:12], v[25:26], -v[29:30]
	v_fma_f64 v[13:14], v[13:14], v[25:26], v[27:28]
	v_xor_b32_e32 v26, 0x80000000, v12
	v_xor_b32_e32 v28, 0x80000000, v14
	v_mov_b32_e32 v25, v11
	v_mov_b32_e32 v27, v13
	ds_write_b128 v21, v[25:28]
.LBB174_210:
	s_or_b64 exec, exec, s[12:13]
	s_waitcnt lgkmcnt(0)
	s_barrier
	s_barrier
	s_and_saveexec_b64 s[12:13], s[16:17]
; %bb.211:
	v_lshlrev_b32_e32 v25, 4, v19
	v_lshl_or_b32 v25, v20, 9, v25
	ds_write_b128 v25, v[11:14] offset:10496
; %bb.212:
	s_or_b64 exec, exec, s[12:13]
	s_waitcnt lgkmcnt(0)
	s_barrier
	s_barrier
	s_and_saveexec_b64 s[12:13], s[56:57]
	s_cbranch_execz .LBB174_214
; %bb.213:
	v_lshlrev_b32_e32 v25, 4, v0
	s_movk_i32 s14, 0x1f0
	v_mad_u32_u24 v26, v0, s14, v25
	ds_read_b128 v[11:14], v26 offset:10496
	s_waitcnt lgkmcnt(0)
	ds_write_b128 v25, v[11:14] offset:8512
	ds_read_b128 v[11:14], v26 offset:10512
	s_waitcnt lgkmcnt(0)
	ds_write_b128 v25, v[11:14] offset:9024
	;; [unrolled: 3-line block ×4, first 2 shown]
.LBB174_214:
	s_or_b64 exec, exec, s[12:13]
	s_waitcnt lgkmcnt(0)
	s_barrier
	s_and_saveexec_b64 s[12:13], vcc
	s_cbranch_execz .LBB174_216
; %bb.215:
	v_mov_b32_e32 v35, 0
	ds_read_b128 v[11:14], v35 offset:10032
	ds_read_b128 v[25:28], v35 offset:9504
	ds_read_b128 v[29:32], v35 offset:10016
	s_waitcnt lgkmcnt(1)
	v_mul_f64 v[33:34], v[11:12], v[27:28]
	v_mul_f64 v[27:28], v[13:14], v[27:28]
	v_fma_f64 v[13:14], v[13:14], v[25:26], v[33:34]
	v_fma_f64 v[11:12], v[11:12], v[25:26], -v[27:28]
	s_waitcnt lgkmcnt(0)
	v_mul_f64 v[25:26], v[13:14], v[31:32]
	v_mul_f64 v[27:28], v[11:12], v[31:32]
	v_fma_f64 v[11:12], v[29:30], v[11:12], -v[25:26]
	v_fma_f64 v[13:14], v[29:30], v[13:14], v[27:28]
	ds_write_b128 v35, v[11:14] offset:10016
	ds_write_b128 v35, v[11:14] offset:9520
.LBB174_216:
	s_or_b64 exec, exec, s[12:13]
	v_mov_b32_e32 v11, 0
	v_mov_b32_e32 v13, 0
	;; [unrolled: 1-line block ×4, first 2 shown]
	s_waitcnt lgkmcnt(0)
	s_barrier
	buffer_wbinvl1_vol
	s_and_saveexec_b64 s[14:15], s[2:3]
	s_cbranch_execz .LBB174_220
; %bb.217:
	v_lshlrev_b32_e32 v25, 4, v15
	v_lshlrev_b32_e32 v11, 9, v16
	ds_read_b128 v[11:14], v11 offset:9504
	ds_read_b128 v[25:28], v25 offset:9472
	v_cmp_gt_u32_e64 s[12:13], 2, v18
	s_waitcnt lgkmcnt(0)
	v_mul_f64 v[29:30], v[13:14], v[27:28]
	v_mul_f64 v[27:28], v[11:12], v[27:28]
	v_fma_f64 v[11:12], v[11:12], v[25:26], -v[29:30]
	v_fma_f64 v[13:14], v[13:14], v[25:26], v[27:28]
	v_add_f64 v[11:12], v[11:12], 0
	v_add_f64 v[13:14], v[13:14], 0
	s_and_saveexec_b64 s[18:19], s[12:13]
	s_cbranch_execz .LBB174_219
; %bb.218:
	v_lshlrev_b32_e32 v29, 4, v0
	v_mov_b32_e32 v25, 0
	ds_read_b128 v[25:28], v25 offset:10032
	ds_read_b128 v[29:32], v29 offset:9984
	s_waitcnt lgkmcnt(0)
	v_mul_f64 v[33:34], v[27:28], v[31:32]
	v_mul_f64 v[31:32], v[25:26], v[31:32]
	v_fma_f64 v[25:26], v[25:26], v[29:30], -v[33:34]
	v_fma_f64 v[27:28], v[27:28], v[29:30], v[31:32]
	v_add_f64 v[11:12], v[11:12], v[25:26]
	v_add_f64 v[13:14], v[13:14], v[27:28]
.LBB174_219:
	s_or_b64 exec, exec, s[18:19]
.LBB174_220:
	s_or_b64 exec, exec, s[14:15]
	s_and_saveexec_b64 s[12:13], s[40:41]
	s_cbranch_execz .LBB174_222
; %bb.221:
	v_mov_b32_e32 v25, 0
	ds_read_b128 v[25:28], v25 offset:8976
	s_waitcnt lgkmcnt(0)
	v_mul_f64 v[29:30], v[13:14], v[27:28]
	v_mul_f64 v[27:28], v[11:12], v[27:28]
	v_fma_f64 v[11:12], v[11:12], v[25:26], -v[29:30]
	v_fma_f64 v[13:14], v[13:14], v[25:26], v[27:28]
	v_xor_b32_e32 v26, 0x80000000, v12
	v_xor_b32_e32 v28, 0x80000000, v14
	v_mov_b32_e32 v25, v11
	v_mov_b32_e32 v27, v13
	ds_write_b128 v17, v[25:28]
.LBB174_222:
	s_or_b64 exec, exec, s[12:13]
	s_waitcnt lgkmcnt(0)
	s_barrier
	s_and_saveexec_b64 s[12:13], s[38:39]
	s_cbranch_execz .LBB174_224
; %bb.223:
	v_mov_b32_e32 v29, 0
	ds_read_b128 v[25:28], v17
	ds_read_b128 v[29:32], v29 offset:8960
	s_waitcnt lgkmcnt(0)
	v_mul_f64 v[33:34], v[27:28], v[31:32]
	v_mul_f64 v[31:32], v[25:26], v[31:32]
	v_fma_f64 v[25:26], v[25:26], v[29:30], -v[33:34]
	v_fma_f64 v[27:28], v[27:28], v[29:30], v[31:32]
	v_add_f64 v[11:12], v[11:12], -v[25:26]
	v_add_f64 v[13:14], v[13:14], -v[27:28]
.LBB174_224:
	s_or_b64 exec, exec, s[12:13]
	s_barrier
	s_and_saveexec_b64 s[12:13], s[38:39]
	s_cbranch_execz .LBB174_226
; %bb.225:
	v_mov_b32_e32 v25, 0
	ds_read_b128 v[25:28], v25 offset:8448
	s_waitcnt lgkmcnt(0)
	v_mul_f64 v[29:30], v[13:14], v[27:28]
	v_mul_f64 v[27:28], v[11:12], v[27:28]
	v_fma_f64 v[11:12], v[11:12], v[25:26], -v[29:30]
	v_fma_f64 v[13:14], v[13:14], v[25:26], v[27:28]
	v_xor_b32_e32 v26, 0x80000000, v12
	v_xor_b32_e32 v28, 0x80000000, v14
	v_mov_b32_e32 v25, v11
	v_mov_b32_e32 v27, v13
	ds_write_b128 v17, v[25:28]
.LBB174_226:
	s_or_b64 exec, exec, s[12:13]
	s_waitcnt lgkmcnt(0)
	s_barrier
	s_barrier
	s_and_saveexec_b64 s[12:13], s[2:3]
; %bb.227:
	v_lshlrev_b32_e32 v25, 4, v15
	v_lshl_or_b32 v25, v16, 9, v25
	ds_write_b128 v25, v[11:14] offset:9472
; %bb.228:
	s_or_b64 exec, exec, s[12:13]
	s_waitcnt lgkmcnt(0)
	s_barrier
	s_barrier
	s_and_saveexec_b64 s[12:13], s[42:43]
	s_cbranch_execz .LBB174_230
; %bb.229:
	v_lshlrev_b32_e32 v25, 9, v0
	ds_read_b128 v[11:14], v25 offset:9472
	s_movk_i32 s14, 0xfe10
	v_mad_i32_i24 v26, v0, s14, v25
	s_waitcnt lgkmcnt(0)
	ds_write_b128 v26, v[11:14] offset:8480
	ds_read_b128 v[11:14], v25 offset:9488
	s_waitcnt lgkmcnt(0)
	ds_write_b128 v26, v[11:14] offset:8992
.LBB174_230:
	s_or_b64 exec, exec, s[12:13]
	s_waitcnt lgkmcnt(0)
	s_barrier
	s_and_saveexec_b64 s[12:13], vcc
	s_cbranch_execz .LBB174_232
; %bb.231:
	v_mov_b32_e32 v35, 0
	ds_read_b128 v[11:14], v35 offset:8976
	ds_read_b128 v[25:28], v35 offset:8448
	;; [unrolled: 1-line block ×3, first 2 shown]
	s_waitcnt lgkmcnt(1)
	v_mul_f64 v[33:34], v[11:12], v[27:28]
	v_mul_f64 v[27:28], v[13:14], v[27:28]
	v_fma_f64 v[13:14], v[13:14], v[25:26], v[33:34]
	v_fma_f64 v[11:12], v[11:12], v[25:26], -v[27:28]
	s_waitcnt lgkmcnt(0)
	v_mul_f64 v[25:26], v[13:14], v[31:32]
	v_mul_f64 v[27:28], v[11:12], v[31:32]
	v_fma_f64 v[11:12], v[29:30], v[11:12], -v[25:26]
	v_fma_f64 v[13:14], v[29:30], v[13:14], v[27:28]
	ds_write_b128 v35, v[11:14] offset:8960
	ds_write_b128 v35, v[11:14] offset:8464
.LBB174_232:
	s_or_b64 exec, exec, s[12:13]
	s_movk_i32 s12, 0xff
	v_lshrrev_b32_e32 v27, 4, v18
	v_cmp_lt_u32_e64 s[14:15], s12, v18
	s_movk_i32 s12, 0x100
	v_mov_b32_e32 v13, 0
	v_mov_b32_e32 v11, 0
	v_and_b32_e32 v25, 15, v0
	v_sub_u32_e32 v26, 15, v27
	v_mov_b32_e32 v14, 0
	v_mov_b32_e32 v12, 0
	v_cmp_gt_u32_e64 s[12:13], s12, v18
	s_waitcnt lgkmcnt(0)
	s_barrier
	buffer_wbinvl1_vol
	s_and_saveexec_b64 s[88:89], s[12:13]
	s_cbranch_execz .LBB174_260
; %bb.233:
	v_lshlrev_b32_e32 v29, 9, v26
	v_lshlrev_b32_e32 v28, 4, v25
	ds_read_b128 v[11:14], v29 offset:8448
	ds_read_b128 v[30:33], v28 offset:8192
	s_movk_i32 s18, 0xf0
	v_cmp_gt_u32_e64 s[18:19], s18, v18
	s_waitcnt lgkmcnt(0)
	v_mul_f64 v[34:35], v[13:14], v[32:33]
	v_mul_f64 v[32:33], v[11:12], v[32:33]
	v_fma_f64 v[11:12], v[11:12], v[30:31], -v[34:35]
	v_fma_f64 v[13:14], v[13:14], v[30:31], v[32:33]
	v_add_f64 v[11:12], v[11:12], 0
	v_add_f64 v[13:14], v[13:14], 0
	s_and_saveexec_b64 s[90:91], s[18:19]
	s_cbranch_execz .LBB174_235
; %bb.234:
	ds_read_b128 v[30:33], v29 offset:8464
	ds_read_b128 v[34:37], v28 offset:8704
	s_waitcnt lgkmcnt(0)
	v_mul_f64 v[38:39], v[32:33], v[36:37]
	v_mul_f64 v[36:37], v[30:31], v[36:37]
	v_fma_f64 v[30:31], v[30:31], v[34:35], -v[38:39]
	v_fma_f64 v[32:33], v[32:33], v[34:35], v[36:37]
	v_add_f64 v[11:12], v[11:12], v[30:31]
	v_add_f64 v[13:14], v[13:14], v[32:33]
.LBB174_235:
	s_or_b64 exec, exec, s[90:91]
	s_movk_i32 s18, 0xe0
	v_cmp_gt_u32_e64 s[18:19], s18, v18
	s_and_saveexec_b64 s[90:91], s[18:19]
	s_cbranch_execz .LBB174_237
; %bb.236:
	ds_read_b128 v[30:33], v29 offset:8480
	ds_read_b128 v[34:37], v28 offset:9216
	s_waitcnt lgkmcnt(0)
	v_mul_f64 v[38:39], v[32:33], v[36:37]
	v_mul_f64 v[36:37], v[30:31], v[36:37]
	v_fma_f64 v[30:31], v[30:31], v[34:35], -v[38:39]
	v_fma_f64 v[32:33], v[32:33], v[34:35], v[36:37]
	v_add_f64 v[11:12], v[11:12], v[30:31]
	v_add_f64 v[13:14], v[13:14], v[32:33]
.LBB174_237:
	s_or_b64 exec, exec, s[90:91]
	s_movk_i32 s18, 0xd0
	v_cmp_gt_u32_e64 s[18:19], s18, v18
	;; [unrolled: 16-line block ×10, first 2 shown]
	s_and_saveexec_b64 s[90:91], s[18:19]
	s_cbranch_execnz .LBB174_561
; %bb.254:
	s_or_b64 exec, exec, s[90:91]
	s_and_saveexec_b64 s[18:19], s[8:9]
	s_cbranch_execnz .LBB174_562
.LBB174_255:
	s_or_b64 exec, exec, s[18:19]
	v_cmp_gt_u32_e64 s[18:19], 48, v18
	s_and_saveexec_b64 s[90:91], s[18:19]
	s_cbranch_execnz .LBB174_563
.LBB174_256:
	s_or_b64 exec, exec, s[90:91]
	v_cmp_gt_u32_e64 s[18:19], 32, v18
	s_and_saveexec_b64 s[90:91], s[18:19]
	s_cbranch_execnz .LBB174_564
.LBB174_257:
	s_or_b64 exec, exec, s[90:91]
	v_cmp_gt_u32_e64 s[18:19], 16, v18
	s_and_saveexec_b64 s[90:91], s[18:19]
	s_cbranch_execz .LBB174_259
.LBB174_258:
	v_lshlrev_b32_e32 v32, 4, v0
	v_mov_b32_e32 v28, 0
	ds_read_b128 v[28:31], v28 offset:16368
	ds_read_b128 v[32:35], v32 offset:15872
	s_waitcnt lgkmcnt(0)
	v_mul_f64 v[36:37], v[30:31], v[34:35]
	v_mul_f64 v[34:35], v[28:29], v[34:35]
	v_fma_f64 v[28:29], v[28:29], v[32:33], -v[36:37]
	v_fma_f64 v[30:31], v[30:31], v[32:33], v[34:35]
	v_add_f64 v[11:12], v[11:12], v[28:29]
	v_add_f64 v[13:14], v[13:14], v[30:31]
.LBB174_259:
	s_or_b64 exec, exec, s[90:91]
.LBB174_260:
	s_or_b64 exec, exec, s[88:89]
	v_mov_b32_e32 v28, 0x4000
	v_cmp_eq_u32_e64 s[18:19], 15, v25
	s_xor_b64 s[88:89], s[14:15], -1
	v_lshl_add_u32 v27, v27, 4, v28
	s_and_b64 s[18:19], s[18:19], s[88:89]
	s_and_saveexec_b64 s[14:15], s[18:19]
	s_cbranch_execz .LBB174_262
; %bb.261:
	v_mov_b32_e32 v28, 0
	ds_read_b128 v[28:31], v28 offset:7920
	s_waitcnt lgkmcnt(0)
	v_mul_f64 v[32:33], v[13:14], v[30:31]
	v_mul_f64 v[30:31], v[11:12], v[30:31]
	v_fma_f64 v[11:12], v[11:12], v[28:29], -v[32:33]
	v_fma_f64 v[13:14], v[13:14], v[28:29], v[30:31]
	v_xor_b32_e32 v29, 0x80000000, v12
	v_xor_b32_e32 v31, 0x80000000, v14
	v_mov_b32_e32 v28, v11
	v_mov_b32_e32 v30, v13
	ds_write_b128 v27, v[28:31]
.LBB174_262:
	s_or_b64 exec, exec, s[14:15]
	v_cmp_ne_u32_e64 s[14:15], 15, v25
	s_and_b64 s[18:19], s[14:15], s[88:89]
	s_waitcnt lgkmcnt(0)
	s_barrier
	s_and_saveexec_b64 s[14:15], s[18:19]
	s_cbranch_execz .LBB174_264
; %bb.263:
	v_lshlrev_b32_e32 v32, 4, v25
	ds_read_b128 v[28:31], v27
	ds_read_b128 v[32:35], v32 offset:7680
	s_waitcnt lgkmcnt(0)
	v_mul_f64 v[36:37], v[30:31], v[34:35]
	v_mul_f64 v[34:35], v[28:29], v[34:35]
	v_fma_f64 v[28:29], v[28:29], v[32:33], -v[36:37]
	v_fma_f64 v[30:31], v[30:31], v[32:33], v[34:35]
	v_add_f64 v[11:12], v[11:12], -v[28:29]
	v_add_f64 v[13:14], v[13:14], -v[30:31]
.LBB174_264:
	s_or_b64 exec, exec, s[14:15]
	v_cmp_eq_u32_e64 s[14:15], 14, v25
	s_and_b64 s[18:19], s[14:15], s[88:89]
	s_barrier
	s_and_saveexec_b64 s[14:15], s[18:19]
	s_cbranch_execz .LBB174_266
; %bb.265:
	v_mov_b32_e32 v28, 0
	ds_read_b128 v[28:31], v28 offset:7392
	s_waitcnt lgkmcnt(0)
	v_mul_f64 v[32:33], v[13:14], v[30:31]
	v_mul_f64 v[30:31], v[11:12], v[30:31]
	v_fma_f64 v[11:12], v[11:12], v[28:29], -v[32:33]
	v_fma_f64 v[13:14], v[13:14], v[28:29], v[30:31]
	v_xor_b32_e32 v29, 0x80000000, v12
	v_xor_b32_e32 v31, 0x80000000, v14
	v_mov_b32_e32 v28, v11
	v_mov_b32_e32 v30, v13
	ds_write_b128 v27, v[28:31]
.LBB174_266:
	s_or_b64 exec, exec, s[14:15]
	v_cmp_gt_u32_e64 s[14:15], 14, v25
	s_and_b64 s[18:19], s[14:15], s[88:89]
	s_waitcnt lgkmcnt(0)
	s_barrier
	s_and_saveexec_b64 s[14:15], s[18:19]
	s_cbranch_execz .LBB174_268
; %bb.267:
	v_lshlrev_b32_e32 v32, 4, v25
	ds_read_b128 v[28:31], v27
	ds_read_b128 v[32:35], v32 offset:7168
	s_waitcnt lgkmcnt(0)
	v_mul_f64 v[36:37], v[30:31], v[34:35]
	v_mul_f64 v[34:35], v[28:29], v[34:35]
	v_fma_f64 v[28:29], v[28:29], v[32:33], -v[36:37]
	v_fma_f64 v[30:31], v[30:31], v[32:33], v[34:35]
	v_add_f64 v[11:12], v[11:12], -v[28:29]
	v_add_f64 v[13:14], v[13:14], -v[30:31]
.LBB174_268:
	s_or_b64 exec, exec, s[14:15]
	v_cmp_eq_u32_e64 s[14:15], 13, v25
	s_and_b64 s[18:19], s[14:15], s[88:89]
	s_barrier
	s_and_saveexec_b64 s[14:15], s[18:19]
	s_cbranch_execz .LBB174_270
; %bb.269:
	v_mov_b32_e32 v28, 0
	ds_read_b128 v[28:31], v28 offset:6864
	s_waitcnt lgkmcnt(0)
	v_mul_f64 v[32:33], v[13:14], v[30:31]
	v_mul_f64 v[30:31], v[11:12], v[30:31]
	v_fma_f64 v[11:12], v[11:12], v[28:29], -v[32:33]
	v_fma_f64 v[13:14], v[13:14], v[28:29], v[30:31]
	v_xor_b32_e32 v29, 0x80000000, v12
	v_xor_b32_e32 v31, 0x80000000, v14
	v_mov_b32_e32 v28, v11
	v_mov_b32_e32 v30, v13
	ds_write_b128 v27, v[28:31]
.LBB174_270:
	s_or_b64 exec, exec, s[14:15]
	v_cmp_gt_u32_e64 s[14:15], 13, v25
	;; [unrolled: 39-line block ×13, first 2 shown]
	s_and_b64 s[18:19], s[14:15], s[88:89]
	s_waitcnt lgkmcnt(0)
	s_barrier
	s_and_saveexec_b64 s[14:15], s[18:19]
	s_cbranch_execz .LBB174_316
; %bb.315:
	v_lshlrev_b32_e32 v32, 4, v25
	ds_read_b128 v[28:31], v27
	ds_read_b128 v[32:35], v32 offset:1024
	s_waitcnt lgkmcnt(0)
	v_mul_f64 v[36:37], v[30:31], v[34:35]
	v_mul_f64 v[34:35], v[28:29], v[34:35]
	v_fma_f64 v[28:29], v[28:29], v[32:33], -v[36:37]
	v_fma_f64 v[30:31], v[30:31], v[32:33], v[34:35]
	v_add_f64 v[11:12], v[11:12], -v[28:29]
	v_add_f64 v[13:14], v[13:14], -v[30:31]
.LBB174_316:
	s_or_b64 exec, exec, s[14:15]
	v_cmp_eq_u32_e64 s[14:15], 1, v25
	s_and_b64 s[18:19], s[14:15], s[88:89]
	s_barrier
	s_and_saveexec_b64 s[14:15], s[18:19]
	s_cbranch_execz .LBB174_318
; %bb.317:
	v_mov_b32_e32 v28, 0
	ds_read_b128 v[28:31], v28 offset:528
	s_waitcnt lgkmcnt(0)
	v_mul_f64 v[32:33], v[13:14], v[30:31]
	v_mul_f64 v[30:31], v[11:12], v[30:31]
	v_fma_f64 v[11:12], v[11:12], v[28:29], -v[32:33]
	v_fma_f64 v[13:14], v[13:14], v[28:29], v[30:31]
	v_xor_b32_e32 v29, 0x80000000, v12
	v_xor_b32_e32 v31, 0x80000000, v14
	v_mov_b32_e32 v28, v11
	v_mov_b32_e32 v30, v13
	ds_write_b128 v27, v[28:31]
.LBB174_318:
	s_or_b64 exec, exec, s[14:15]
	v_cmp_eq_u32_e64 s[14:15], 0, v25
	s_and_b64 s[14:15], s[14:15], s[88:89]
	s_waitcnt lgkmcnt(0)
	s_barrier
	s_and_saveexec_b64 s[18:19], s[14:15]
	s_cbranch_execz .LBB174_320
; %bb.319:
	v_mov_b32_e32 v32, 0
	ds_read_b128 v[28:31], v27
	ds_read_b128 v[32:35], v32 offset:512
	s_waitcnt lgkmcnt(0)
	v_mul_f64 v[36:37], v[30:31], v[34:35]
	v_mul_f64 v[34:35], v[28:29], v[34:35]
	v_fma_f64 v[28:29], v[28:29], v[32:33], -v[36:37]
	v_fma_f64 v[30:31], v[30:31], v[32:33], v[34:35]
	v_add_f64 v[11:12], v[11:12], -v[28:29]
	v_add_f64 v[13:14], v[13:14], -v[30:31]
.LBB174_320:
	s_or_b64 exec, exec, s[18:19]
	s_barrier
	s_and_saveexec_b64 s[18:19], s[14:15]
	s_cbranch_execz .LBB174_322
; %bb.321:
	v_mov_b32_e32 v28, 0
	ds_read_b128 v[28:31], v28
	s_waitcnt lgkmcnt(0)
	v_mul_f64 v[32:33], v[13:14], v[30:31]
	v_mul_f64 v[30:31], v[11:12], v[30:31]
	v_fma_f64 v[11:12], v[11:12], v[28:29], -v[32:33]
	v_fma_f64 v[13:14], v[13:14], v[28:29], v[30:31]
	v_xor_b32_e32 v29, 0x80000000, v12
	v_xor_b32_e32 v31, 0x80000000, v14
	v_mov_b32_e32 v28, v11
	v_mov_b32_e32 v30, v13
	ds_write_b128 v27, v[28:31]
.LBB174_322:
	s_or_b64 exec, exec, s[18:19]
	s_waitcnt lgkmcnt(0)
	s_barrier
	s_barrier
	s_and_saveexec_b64 s[14:15], s[12:13]
; %bb.323:
	v_lshlrev_b32_e32 v25, 4, v25
	v_lshl_or_b32 v25, v26, 9, v25
	ds_write_b128 v25, v[11:14] offset:8192
; %bb.324:
	s_or_b64 exec, exec, s[14:15]
	v_cmp_gt_u32_e64 s[12:13], 16, v0
	s_and_b64 s[12:13], s[10:11], s[12:13]
	s_waitcnt lgkmcnt(0)
	s_barrier
	s_barrier
	s_and_saveexec_b64 s[10:11], s[12:13]
	s_cbranch_execz .LBB174_326
; %bb.325:
	v_lshlrev_b32_e32 v25, 9, v0
	ds_read_b128 v[11:14], v25 offset:8192
	s_movk_i32 s12, 0xfe10
	v_mad_i32_i24 v26, v0, s12, v25
	s_waitcnt lgkmcnt(0)
	ds_write_b128 v26, v[11:14] offset:256
	ds_read_b128 v[11:14], v25 offset:8208
	s_waitcnt lgkmcnt(0)
	ds_write_b128 v26, v[11:14] offset:768
	ds_read_b128 v[11:14], v25 offset:8224
	;; [unrolled: 3-line block ×15, first 2 shown]
	s_waitcnt lgkmcnt(0)
	ds_write_b128 v26, v[11:14] offset:7936
.LBB174_326:
	s_or_b64 exec, exec, s[10:11]
	s_waitcnt lgkmcnt(0)
	s_barrier
	s_and_saveexec_b64 s[10:11], vcc
	s_cbranch_execz .LBB174_328
; %bb.327:
	v_mov_b32_e32 v35, 0
	ds_read_b128 v[11:14], v35 offset:7920
	ds_read_b128 v[25:28], v35 offset:7392
	;; [unrolled: 1-line block ×3, first 2 shown]
	s_waitcnt lgkmcnt(1)
	v_mul_f64 v[33:34], v[11:12], v[27:28]
	v_mul_f64 v[27:28], v[13:14], v[27:28]
	v_fma_f64 v[13:14], v[13:14], v[25:26], v[33:34]
	v_fma_f64 v[11:12], v[11:12], v[25:26], -v[27:28]
	s_waitcnt lgkmcnt(0)
	v_mul_f64 v[25:26], v[13:14], v[31:32]
	v_mul_f64 v[27:28], v[11:12], v[31:32]
	v_fma_f64 v[11:12], v[29:30], v[11:12], -v[25:26]
	v_fma_f64 v[13:14], v[29:30], v[13:14], v[27:28]
	ds_write_b128 v35, v[11:14] offset:7904
	ds_write_b128 v35, v[11:14] offset:7408
.LBB174_328:
	s_or_b64 exec, exec, s[10:11]
	v_mov_b32_e32 v11, 0
	v_mov_b32_e32 v13, 0
	v_mov_b32_e32 v12, 0
	v_mov_b32_e32 v14, 0
	s_waitcnt lgkmcnt(0)
	s_barrier
	buffer_wbinvl1_vol
	s_and_saveexec_b64 s[12:13], s[2:3]
	s_cbranch_execz .LBB174_332
; %bb.329:
	v_lshlrev_b32_e32 v25, 4, v15
	v_lshlrev_b32_e32 v11, 9, v16
	ds_read_b128 v[11:14], v11 offset:7392
	ds_read_b128 v[25:28], v25 offset:7360
	v_cmp_gt_u32_e64 s[10:11], 2, v18
	s_waitcnt lgkmcnt(0)
	v_mul_f64 v[29:30], v[13:14], v[27:28]
	v_mul_f64 v[27:28], v[11:12], v[27:28]
	v_fma_f64 v[11:12], v[11:12], v[25:26], -v[29:30]
	v_fma_f64 v[13:14], v[13:14], v[25:26], v[27:28]
	v_add_f64 v[11:12], v[11:12], 0
	v_add_f64 v[13:14], v[13:14], 0
	s_and_saveexec_b64 s[14:15], s[10:11]
	s_cbranch_execz .LBB174_331
; %bb.330:
	v_lshlrev_b32_e32 v29, 4, v0
	v_mov_b32_e32 v25, 0
	ds_read_b128 v[25:28], v25 offset:7920
	ds_read_b128 v[29:32], v29 offset:7872
	s_waitcnt lgkmcnt(0)
	v_mul_f64 v[33:34], v[27:28], v[31:32]
	v_mul_f64 v[31:32], v[25:26], v[31:32]
	v_fma_f64 v[25:26], v[25:26], v[29:30], -v[33:34]
	v_fma_f64 v[27:28], v[27:28], v[29:30], v[31:32]
	v_add_f64 v[11:12], v[11:12], v[25:26]
	v_add_f64 v[13:14], v[13:14], v[27:28]
.LBB174_331:
	s_or_b64 exec, exec, s[14:15]
.LBB174_332:
	s_or_b64 exec, exec, s[12:13]
	s_and_saveexec_b64 s[10:11], s[40:41]
	s_cbranch_execz .LBB174_334
; %bb.333:
	v_mov_b32_e32 v25, 0
	ds_read_b128 v[25:28], v25 offset:6864
	s_waitcnt lgkmcnt(0)
	v_mul_f64 v[29:30], v[13:14], v[27:28]
	v_mul_f64 v[27:28], v[11:12], v[27:28]
	v_fma_f64 v[11:12], v[11:12], v[25:26], -v[29:30]
	v_fma_f64 v[13:14], v[13:14], v[25:26], v[27:28]
	v_xor_b32_e32 v26, 0x80000000, v12
	v_xor_b32_e32 v28, 0x80000000, v14
	v_mov_b32_e32 v25, v11
	v_mov_b32_e32 v27, v13
	ds_write_b128 v17, v[25:28]
.LBB174_334:
	s_or_b64 exec, exec, s[10:11]
	s_waitcnt lgkmcnt(0)
	s_barrier
	s_and_saveexec_b64 s[10:11], s[38:39]
	s_cbranch_execz .LBB174_336
; %bb.335:
	v_mov_b32_e32 v29, 0
	ds_read_b128 v[25:28], v17
	ds_read_b128 v[29:32], v29 offset:6848
	s_waitcnt lgkmcnt(0)
	v_mul_f64 v[33:34], v[27:28], v[31:32]
	v_mul_f64 v[31:32], v[25:26], v[31:32]
	v_fma_f64 v[25:26], v[25:26], v[29:30], -v[33:34]
	v_fma_f64 v[27:28], v[27:28], v[29:30], v[31:32]
	v_add_f64 v[11:12], v[11:12], -v[25:26]
	v_add_f64 v[13:14], v[13:14], -v[27:28]
.LBB174_336:
	s_or_b64 exec, exec, s[10:11]
	s_barrier
	s_and_saveexec_b64 s[10:11], s[38:39]
	s_cbranch_execz .LBB174_338
; %bb.337:
	v_mov_b32_e32 v25, 0
	ds_read_b128 v[25:28], v25 offset:6336
	s_waitcnt lgkmcnt(0)
	v_mul_f64 v[29:30], v[13:14], v[27:28]
	v_mul_f64 v[27:28], v[11:12], v[27:28]
	v_fma_f64 v[11:12], v[11:12], v[25:26], -v[29:30]
	v_fma_f64 v[13:14], v[13:14], v[25:26], v[27:28]
	v_xor_b32_e32 v26, 0x80000000, v12
	v_xor_b32_e32 v28, 0x80000000, v14
	v_mov_b32_e32 v25, v11
	v_mov_b32_e32 v27, v13
	ds_write_b128 v17, v[25:28]
.LBB174_338:
	s_or_b64 exec, exec, s[10:11]
	s_waitcnt lgkmcnt(0)
	s_barrier
	s_barrier
	s_and_saveexec_b64 s[10:11], s[2:3]
; %bb.339:
	v_lshlrev_b32_e32 v25, 4, v15
	v_lshl_or_b32 v25, v16, 9, v25
	ds_write_b128 v25, v[11:14] offset:7360
; %bb.340:
	s_or_b64 exec, exec, s[10:11]
	s_waitcnt lgkmcnt(0)
	s_barrier
	s_barrier
	s_and_saveexec_b64 s[10:11], s[42:43]
	s_cbranch_execz .LBB174_342
; %bb.341:
	v_lshlrev_b32_e32 v25, 9, v0
	ds_read_b128 v[11:14], v25 offset:7360
	s_movk_i32 s12, 0xfe10
	v_mad_i32_i24 v26, v0, s12, v25
	s_waitcnt lgkmcnt(0)
	ds_write_b128 v26, v[11:14] offset:6368
	ds_read_b128 v[11:14], v25 offset:7376
	s_waitcnt lgkmcnt(0)
	ds_write_b128 v26, v[11:14] offset:6880
.LBB174_342:
	s_or_b64 exec, exec, s[10:11]
	s_waitcnt lgkmcnt(0)
	s_barrier
	s_and_saveexec_b64 s[10:11], vcc
	s_cbranch_execz .LBB174_344
; %bb.343:
	v_mov_b32_e32 v35, 0
	ds_read_b128 v[11:14], v35 offset:6864
	ds_read_b128 v[25:28], v35 offset:6336
	;; [unrolled: 1-line block ×3, first 2 shown]
	s_waitcnt lgkmcnt(1)
	v_mul_f64 v[33:34], v[11:12], v[27:28]
	v_mul_f64 v[27:28], v[13:14], v[27:28]
	v_fma_f64 v[13:14], v[13:14], v[25:26], v[33:34]
	v_fma_f64 v[11:12], v[11:12], v[25:26], -v[27:28]
	s_waitcnt lgkmcnt(0)
	v_mul_f64 v[25:26], v[13:14], v[31:32]
	v_mul_f64 v[27:28], v[11:12], v[31:32]
	v_fma_f64 v[11:12], v[29:30], v[11:12], -v[25:26]
	v_fma_f64 v[13:14], v[29:30], v[13:14], v[27:28]
	ds_write_b128 v35, v[11:14] offset:6848
	ds_write_b128 v35, v[11:14] offset:6352
.LBB174_344:
	s_or_b64 exec, exec, s[10:11]
	v_mov_b32_e32 v13, 0
	v_mov_b32_e32 v11, 0
	;; [unrolled: 1-line block ×4, first 2 shown]
	s_waitcnt lgkmcnt(0)
	s_barrier
	buffer_wbinvl1_vol
	s_and_saveexec_b64 s[12:13], s[16:17]
	s_cbranch_execz .LBB174_350
; %bb.345:
	v_lshlrev_b32_e32 v26, 9, v20
	v_lshlrev_b32_e32 v25, 4, v19
	ds_read_b128 v[11:14], v26 offset:6336
	ds_read_b128 v[27:30], v25 offset:6272
	v_cmp_gt_u32_e64 s[10:11], 12, v18
	s_waitcnt lgkmcnt(0)
	v_mul_f64 v[31:32], v[13:14], v[29:30]
	v_mul_f64 v[29:30], v[11:12], v[29:30]
	v_fma_f64 v[11:12], v[11:12], v[27:28], -v[31:32]
	v_fma_f64 v[13:14], v[13:14], v[27:28], v[29:30]
	v_add_f64 v[11:12], v[11:12], 0
	v_add_f64 v[13:14], v[13:14], 0
	s_and_saveexec_b64 s[14:15], s[10:11]
	s_cbranch_execnz .LBB174_565
; %bb.346:
	s_or_b64 exec, exec, s[14:15]
	v_cmp_gt_u32_e64 s[10:11], 8, v18
	s_and_saveexec_b64 s[14:15], s[10:11]
	s_cbranch_execnz .LBB174_566
.LBB174_347:
	s_or_b64 exec, exec, s[14:15]
	v_cmp_gt_u32_e64 s[10:11], 4, v18
	s_and_saveexec_b64 s[14:15], s[10:11]
	s_cbranch_execz .LBB174_349
.LBB174_348:
	v_lshlrev_b32_e32 v29, 4, v0
	v_mov_b32_e32 v25, 0
	ds_read_b128 v[25:28], v25 offset:7920
	ds_read_b128 v[29:32], v29 offset:7808
	s_waitcnt lgkmcnt(0)
	v_mul_f64 v[33:34], v[27:28], v[31:32]
	v_mul_f64 v[31:32], v[25:26], v[31:32]
	v_fma_f64 v[25:26], v[25:26], v[29:30], -v[33:34]
	v_fma_f64 v[27:28], v[27:28], v[29:30], v[31:32]
	v_add_f64 v[11:12], v[11:12], v[25:26]
	v_add_f64 v[13:14], v[13:14], v[27:28]
.LBB174_349:
	s_or_b64 exec, exec, s[14:15]
.LBB174_350:
	s_or_b64 exec, exec, s[12:13]
	s_and_saveexec_b64 s[10:11], s[46:47]
	s_cbranch_execz .LBB174_352
; %bb.351:
	v_mov_b32_e32 v25, 0
	ds_read_b128 v[25:28], v25 offset:5808
	s_waitcnt lgkmcnt(0)
	v_mul_f64 v[29:30], v[13:14], v[27:28]
	v_mul_f64 v[27:28], v[11:12], v[27:28]
	v_fma_f64 v[11:12], v[11:12], v[25:26], -v[29:30]
	v_fma_f64 v[13:14], v[13:14], v[25:26], v[27:28]
	v_xor_b32_e32 v26, 0x80000000, v12
	v_xor_b32_e32 v28, 0x80000000, v14
	v_mov_b32_e32 v25, v11
	v_mov_b32_e32 v27, v13
	ds_write_b128 v21, v[25:28]
.LBB174_352:
	s_or_b64 exec, exec, s[10:11]
	s_waitcnt lgkmcnt(0)
	s_barrier
	s_and_saveexec_b64 s[10:11], s[48:49]
	s_cbranch_execz .LBB174_354
; %bb.353:
	v_lshlrev_b32_e32 v29, 4, v19
	ds_read_b128 v[25:28], v21
	ds_read_b128 v[29:32], v29 offset:5760
	s_waitcnt lgkmcnt(0)
	v_mul_f64 v[33:34], v[27:28], v[31:32]
	v_mul_f64 v[31:32], v[25:26], v[31:32]
	v_fma_f64 v[25:26], v[25:26], v[29:30], -v[33:34]
	v_fma_f64 v[27:28], v[27:28], v[29:30], v[31:32]
	v_add_f64 v[11:12], v[11:12], -v[25:26]
	v_add_f64 v[13:14], v[13:14], -v[27:28]
.LBB174_354:
	s_or_b64 exec, exec, s[10:11]
	s_barrier
	s_and_saveexec_b64 s[10:11], s[50:51]
	s_cbranch_execz .LBB174_356
; %bb.355:
	v_mov_b32_e32 v25, 0
	ds_read_b128 v[25:28], v25 offset:5280
	s_waitcnt lgkmcnt(0)
	v_mul_f64 v[29:30], v[13:14], v[27:28]
	v_mul_f64 v[27:28], v[11:12], v[27:28]
	v_fma_f64 v[11:12], v[11:12], v[25:26], -v[29:30]
	v_fma_f64 v[13:14], v[13:14], v[25:26], v[27:28]
	v_xor_b32_e32 v26, 0x80000000, v12
	v_xor_b32_e32 v28, 0x80000000, v14
	v_mov_b32_e32 v25, v11
	v_mov_b32_e32 v27, v13
	ds_write_b128 v21, v[25:28]
.LBB174_356:
	s_or_b64 exec, exec, s[10:11]
	s_waitcnt lgkmcnt(0)
	s_barrier
	s_and_saveexec_b64 s[10:11], s[52:53]
	s_cbranch_execz .LBB174_358
; %bb.357:
	v_lshlrev_b32_e32 v29, 4, v19
	ds_read_b128 v[25:28], v21
	ds_read_b128 v[29:32], v29 offset:5248
	s_waitcnt lgkmcnt(0)
	v_mul_f64 v[33:34], v[27:28], v[31:32]
	v_mul_f64 v[31:32], v[25:26], v[31:32]
	v_fma_f64 v[25:26], v[25:26], v[29:30], -v[33:34]
	v_fma_f64 v[27:28], v[27:28], v[29:30], v[31:32]
	v_add_f64 v[11:12], v[11:12], -v[25:26]
	v_add_f64 v[13:14], v[13:14], -v[27:28]
.LBB174_358:
	s_or_b64 exec, exec, s[10:11]
	s_barrier
	s_and_saveexec_b64 s[10:11], s[54:55]
	s_cbranch_execz .LBB174_360
; %bb.359:
	v_mov_b32_e32 v25, 0
	ds_read_b128 v[25:28], v25 offset:4752
	s_waitcnt lgkmcnt(0)
	v_mul_f64 v[29:30], v[13:14], v[27:28]
	v_mul_f64 v[27:28], v[11:12], v[27:28]
	v_fma_f64 v[11:12], v[11:12], v[25:26], -v[29:30]
	v_fma_f64 v[13:14], v[13:14], v[25:26], v[27:28]
	v_xor_b32_e32 v26, 0x80000000, v12
	v_xor_b32_e32 v28, 0x80000000, v14
	v_mov_b32_e32 v25, v11
	v_mov_b32_e32 v27, v13
	ds_write_b128 v21, v[25:28]
.LBB174_360:
	s_or_b64 exec, exec, s[10:11]
	s_waitcnt lgkmcnt(0)
	s_barrier
	s_and_saveexec_b64 s[10:11], s[44:45]
	s_cbranch_execz .LBB174_362
; %bb.361:
	v_mov_b32_e32 v29, 0
	ds_read_b128 v[25:28], v21
	ds_read_b128 v[29:32], v29 offset:4736
	s_waitcnt lgkmcnt(0)
	v_mul_f64 v[33:34], v[27:28], v[31:32]
	v_mul_f64 v[31:32], v[25:26], v[31:32]
	v_fma_f64 v[25:26], v[25:26], v[29:30], -v[33:34]
	v_fma_f64 v[27:28], v[27:28], v[29:30], v[31:32]
	v_add_f64 v[11:12], v[11:12], -v[25:26]
	v_add_f64 v[13:14], v[13:14], -v[27:28]
.LBB174_362:
	s_or_b64 exec, exec, s[10:11]
	s_barrier
	s_and_saveexec_b64 s[10:11], s[44:45]
	s_cbranch_execz .LBB174_364
; %bb.363:
	v_mov_b32_e32 v25, 0
	ds_read_b128 v[25:28], v25 offset:4224
	s_waitcnt lgkmcnt(0)
	v_mul_f64 v[29:30], v[13:14], v[27:28]
	v_mul_f64 v[27:28], v[11:12], v[27:28]
	v_fma_f64 v[11:12], v[11:12], v[25:26], -v[29:30]
	v_fma_f64 v[13:14], v[13:14], v[25:26], v[27:28]
	v_xor_b32_e32 v26, 0x80000000, v12
	v_xor_b32_e32 v28, 0x80000000, v14
	v_mov_b32_e32 v25, v11
	v_mov_b32_e32 v27, v13
	ds_write_b128 v21, v[25:28]
.LBB174_364:
	s_or_b64 exec, exec, s[10:11]
	s_waitcnt lgkmcnt(0)
	s_barrier
	s_barrier
	s_and_saveexec_b64 s[10:11], s[16:17]
; %bb.365:
	v_lshlrev_b32_e32 v25, 4, v19
	v_lshl_or_b32 v25, v20, 9, v25
	ds_write_b128 v25, v[11:14] offset:6272
; %bb.366:
	s_or_b64 exec, exec, s[10:11]
	s_waitcnt lgkmcnt(0)
	s_barrier
	s_barrier
	s_and_saveexec_b64 s[10:11], s[56:57]
	s_cbranch_execz .LBB174_368
; %bb.367:
	v_lshlrev_b32_e32 v25, 4, v0
	s_movk_i32 s12, 0x1f0
	v_mad_u32_u24 v26, v0, s12, v25
	ds_read_b128 v[11:14], v26 offset:6272
	s_waitcnt lgkmcnt(0)
	ds_write_b128 v25, v[11:14] offset:4288
	ds_read_b128 v[11:14], v26 offset:6288
	s_waitcnt lgkmcnt(0)
	ds_write_b128 v25, v[11:14] offset:4800
	;; [unrolled: 3-line block ×4, first 2 shown]
.LBB174_368:
	s_or_b64 exec, exec, s[10:11]
	s_waitcnt lgkmcnt(0)
	s_barrier
	s_and_saveexec_b64 s[10:11], vcc
	s_cbranch_execz .LBB174_370
; %bb.369:
	v_mov_b32_e32 v35, 0
	ds_read_b128 v[11:14], v35 offset:5808
	ds_read_b128 v[25:28], v35 offset:5280
	;; [unrolled: 1-line block ×3, first 2 shown]
	s_waitcnt lgkmcnt(1)
	v_mul_f64 v[33:34], v[11:12], v[27:28]
	v_mul_f64 v[27:28], v[13:14], v[27:28]
	v_fma_f64 v[13:14], v[13:14], v[25:26], v[33:34]
	v_fma_f64 v[11:12], v[11:12], v[25:26], -v[27:28]
	s_waitcnt lgkmcnt(0)
	v_mul_f64 v[25:26], v[13:14], v[31:32]
	v_mul_f64 v[27:28], v[11:12], v[31:32]
	v_fma_f64 v[11:12], v[29:30], v[11:12], -v[25:26]
	v_fma_f64 v[13:14], v[29:30], v[13:14], v[27:28]
	ds_write_b128 v35, v[11:14] offset:5792
	ds_write_b128 v35, v[11:14] offset:5296
.LBB174_370:
	s_or_b64 exec, exec, s[10:11]
	v_mov_b32_e32 v11, 0
	v_mov_b32_e32 v13, 0
	;; [unrolled: 1-line block ×4, first 2 shown]
	s_waitcnt lgkmcnt(0)
	s_barrier
	buffer_wbinvl1_vol
	s_and_saveexec_b64 s[12:13], s[2:3]
	s_cbranch_execz .LBB174_374
; %bb.371:
	v_lshlrev_b32_e32 v25, 4, v15
	v_lshlrev_b32_e32 v11, 9, v16
	ds_read_b128 v[11:14], v11 offset:5280
	ds_read_b128 v[25:28], v25 offset:5248
	v_cmp_gt_u32_e64 s[10:11], 2, v18
	s_waitcnt lgkmcnt(0)
	v_mul_f64 v[29:30], v[13:14], v[27:28]
	v_mul_f64 v[27:28], v[11:12], v[27:28]
	v_fma_f64 v[11:12], v[11:12], v[25:26], -v[29:30]
	v_fma_f64 v[13:14], v[13:14], v[25:26], v[27:28]
	v_add_f64 v[11:12], v[11:12], 0
	v_add_f64 v[13:14], v[13:14], 0
	s_and_saveexec_b64 s[14:15], s[10:11]
	s_cbranch_execz .LBB174_373
; %bb.372:
	v_lshlrev_b32_e32 v29, 4, v0
	v_mov_b32_e32 v25, 0
	ds_read_b128 v[25:28], v25 offset:5808
	ds_read_b128 v[29:32], v29 offset:5760
	s_waitcnt lgkmcnt(0)
	v_mul_f64 v[33:34], v[27:28], v[31:32]
	v_mul_f64 v[31:32], v[25:26], v[31:32]
	v_fma_f64 v[25:26], v[25:26], v[29:30], -v[33:34]
	v_fma_f64 v[27:28], v[27:28], v[29:30], v[31:32]
	v_add_f64 v[11:12], v[11:12], v[25:26]
	v_add_f64 v[13:14], v[13:14], v[27:28]
.LBB174_373:
	s_or_b64 exec, exec, s[14:15]
.LBB174_374:
	s_or_b64 exec, exec, s[12:13]
	s_and_saveexec_b64 s[10:11], s[40:41]
	s_cbranch_execz .LBB174_376
; %bb.375:
	v_mov_b32_e32 v25, 0
	ds_read_b128 v[25:28], v25 offset:4752
	s_waitcnt lgkmcnt(0)
	v_mul_f64 v[29:30], v[13:14], v[27:28]
	v_mul_f64 v[27:28], v[11:12], v[27:28]
	v_fma_f64 v[11:12], v[11:12], v[25:26], -v[29:30]
	v_fma_f64 v[13:14], v[13:14], v[25:26], v[27:28]
	v_xor_b32_e32 v26, 0x80000000, v12
	v_xor_b32_e32 v28, 0x80000000, v14
	v_mov_b32_e32 v25, v11
	v_mov_b32_e32 v27, v13
	ds_write_b128 v17, v[25:28]
.LBB174_376:
	s_or_b64 exec, exec, s[10:11]
	s_waitcnt lgkmcnt(0)
	s_barrier
	s_and_saveexec_b64 s[10:11], s[38:39]
	s_cbranch_execz .LBB174_378
; %bb.377:
	v_mov_b32_e32 v29, 0
	ds_read_b128 v[25:28], v17
	ds_read_b128 v[29:32], v29 offset:4736
	s_waitcnt lgkmcnt(0)
	v_mul_f64 v[33:34], v[27:28], v[31:32]
	v_mul_f64 v[31:32], v[25:26], v[31:32]
	v_fma_f64 v[25:26], v[25:26], v[29:30], -v[33:34]
	v_fma_f64 v[27:28], v[27:28], v[29:30], v[31:32]
	v_add_f64 v[11:12], v[11:12], -v[25:26]
	v_add_f64 v[13:14], v[13:14], -v[27:28]
.LBB174_378:
	s_or_b64 exec, exec, s[10:11]
	s_barrier
	s_and_saveexec_b64 s[10:11], s[38:39]
	s_cbranch_execz .LBB174_380
; %bb.379:
	v_mov_b32_e32 v25, 0
	ds_read_b128 v[25:28], v25 offset:4224
	s_waitcnt lgkmcnt(0)
	v_mul_f64 v[29:30], v[13:14], v[27:28]
	v_mul_f64 v[27:28], v[11:12], v[27:28]
	v_fma_f64 v[11:12], v[11:12], v[25:26], -v[29:30]
	v_fma_f64 v[13:14], v[13:14], v[25:26], v[27:28]
	v_xor_b32_e32 v26, 0x80000000, v12
	v_xor_b32_e32 v28, 0x80000000, v14
	v_mov_b32_e32 v25, v11
	v_mov_b32_e32 v27, v13
	ds_write_b128 v17, v[25:28]
.LBB174_380:
	s_or_b64 exec, exec, s[10:11]
	s_waitcnt lgkmcnt(0)
	s_barrier
	s_barrier
	s_and_saveexec_b64 s[10:11], s[2:3]
; %bb.381:
	v_lshlrev_b32_e32 v25, 4, v15
	v_lshl_or_b32 v25, v16, 9, v25
	ds_write_b128 v25, v[11:14] offset:5248
; %bb.382:
	s_or_b64 exec, exec, s[10:11]
	s_waitcnt lgkmcnt(0)
	s_barrier
	s_barrier
	s_and_saveexec_b64 s[10:11], s[42:43]
	s_cbranch_execz .LBB174_384
; %bb.383:
	v_lshlrev_b32_e32 v25, 9, v0
	ds_read_b128 v[11:14], v25 offset:5248
	s_movk_i32 s12, 0xfe10
	v_mad_i32_i24 v26, v0, s12, v25
	s_waitcnt lgkmcnt(0)
	ds_write_b128 v26, v[11:14] offset:4256
	ds_read_b128 v[11:14], v25 offset:5264
	s_waitcnt lgkmcnt(0)
	ds_write_b128 v26, v[11:14] offset:4768
.LBB174_384:
	s_or_b64 exec, exec, s[10:11]
	s_waitcnt lgkmcnt(0)
	s_barrier
	s_and_saveexec_b64 s[10:11], vcc
	s_cbranch_execz .LBB174_386
; %bb.385:
	v_mov_b32_e32 v35, 0
	ds_read_b128 v[11:14], v35 offset:4752
	ds_read_b128 v[25:28], v35 offset:4224
	;; [unrolled: 1-line block ×3, first 2 shown]
	s_waitcnt lgkmcnt(1)
	v_mul_f64 v[33:34], v[11:12], v[27:28]
	v_mul_f64 v[27:28], v[13:14], v[27:28]
	v_fma_f64 v[13:14], v[13:14], v[25:26], v[33:34]
	v_fma_f64 v[11:12], v[11:12], v[25:26], -v[27:28]
	s_waitcnt lgkmcnt(0)
	v_mul_f64 v[25:26], v[13:14], v[31:32]
	v_mul_f64 v[27:28], v[11:12], v[31:32]
	v_fma_f64 v[11:12], v[29:30], v[11:12], -v[25:26]
	v_fma_f64 v[13:14], v[29:30], v[13:14], v[27:28]
	ds_write_b128 v35, v[11:14] offset:4736
	ds_write_b128 v35, v[11:14] offset:4240
.LBB174_386:
	s_or_b64 exec, exec, s[10:11]
	v_mov_b32_e32 v13, 0
	v_mov_b32_e32 v11, 0
	;; [unrolled: 1-line block ×4, first 2 shown]
	s_waitcnt lgkmcnt(0)
	s_barrier
	buffer_wbinvl1_vol
	s_and_saveexec_b64 s[12:13], s[8:9]
	s_cbranch_execz .LBB174_396
; %bb.387:
	v_lshlrev_b32_e32 v26, 9, v23
	v_lshlrev_b32_e32 v25, 4, v22
	ds_read_b128 v[11:14], v26 offset:4224
	ds_read_b128 v[27:30], v25 offset:4096
	v_cmp_gt_u32_e64 s[10:11], 56, v18
	s_waitcnt lgkmcnt(0)
	v_mul_f64 v[31:32], v[13:14], v[29:30]
	v_mul_f64 v[29:30], v[11:12], v[29:30]
	v_fma_f64 v[11:12], v[11:12], v[27:28], -v[31:32]
	v_fma_f64 v[13:14], v[13:14], v[27:28], v[29:30]
	v_add_f64 v[11:12], v[11:12], 0
	v_add_f64 v[13:14], v[13:14], 0
	s_and_saveexec_b64 s[14:15], s[10:11]
	s_cbranch_execnz .LBB174_567
; %bb.388:
	s_or_b64 exec, exec, s[14:15]
	v_cmp_gt_u32_e64 s[10:11], 48, v18
	s_and_saveexec_b64 s[14:15], s[10:11]
	s_cbranch_execnz .LBB174_568
.LBB174_389:
	s_or_b64 exec, exec, s[14:15]
	v_cmp_gt_u32_e64 s[10:11], 40, v18
	s_and_saveexec_b64 s[14:15], s[10:11]
	s_cbranch_execnz .LBB174_569
.LBB174_390:
	s_or_b64 exec, exec, s[14:15]
	v_cmp_gt_u32_e64 s[10:11], 32, v18
	s_and_saveexec_b64 s[14:15], s[10:11]
	s_cbranch_execnz .LBB174_570
.LBB174_391:
	s_or_b64 exec, exec, s[14:15]
	v_cmp_gt_u32_e64 s[10:11], 24, v18
	s_and_saveexec_b64 s[14:15], s[10:11]
	s_cbranch_execnz .LBB174_571
.LBB174_392:
	s_or_b64 exec, exec, s[14:15]
	s_and_saveexec_b64 s[10:11], s[16:17]
	s_cbranch_execnz .LBB174_572
.LBB174_393:
	s_or_b64 exec, exec, s[10:11]
	v_cmp_gt_u32_e64 s[10:11], 8, v18
	s_and_saveexec_b64 s[14:15], s[10:11]
	s_cbranch_execz .LBB174_395
.LBB174_394:
	v_lshlrev_b32_e32 v29, 4, v0
	v_mov_b32_e32 v25, 0
	ds_read_b128 v[25:28], v25 offset:7920
	ds_read_b128 v[29:32], v29 offset:7680
	s_waitcnt lgkmcnt(0)
	v_mul_f64 v[33:34], v[27:28], v[31:32]
	v_mul_f64 v[31:32], v[25:26], v[31:32]
	v_fma_f64 v[25:26], v[25:26], v[29:30], -v[33:34]
	v_fma_f64 v[27:28], v[27:28], v[29:30], v[31:32]
	v_add_f64 v[11:12], v[11:12], v[25:26]
	v_add_f64 v[13:14], v[13:14], v[27:28]
.LBB174_395:
	s_or_b64 exec, exec, s[14:15]
.LBB174_396:
	s_or_b64 exec, exec, s[12:13]
	s_and_saveexec_b64 s[10:11], s[60:61]
	s_cbranch_execz .LBB174_398
; %bb.397:
	v_mov_b32_e32 v25, 0
	ds_read_b128 v[25:28], v25 offset:3696
	s_waitcnt lgkmcnt(0)
	v_mul_f64 v[29:30], v[13:14], v[27:28]
	v_mul_f64 v[27:28], v[11:12], v[27:28]
	v_fma_f64 v[11:12], v[11:12], v[25:26], -v[29:30]
	v_fma_f64 v[13:14], v[13:14], v[25:26], v[27:28]
	v_xor_b32_e32 v26, 0x80000000, v12
	v_xor_b32_e32 v28, 0x80000000, v14
	v_mov_b32_e32 v25, v11
	v_mov_b32_e32 v27, v13
	ds_write_b128 v24, v[25:28]
.LBB174_398:
	s_or_b64 exec, exec, s[10:11]
	s_waitcnt lgkmcnt(0)
	s_barrier
	s_and_saveexec_b64 s[10:11], s[62:63]
	s_cbranch_execz .LBB174_400
; %bb.399:
	v_lshlrev_b32_e32 v29, 4, v22
	ds_read_b128 v[25:28], v24
	ds_read_b128 v[29:32], v29 offset:3584
	s_waitcnt lgkmcnt(0)
	v_mul_f64 v[33:34], v[27:28], v[31:32]
	v_mul_f64 v[31:32], v[25:26], v[31:32]
	v_fma_f64 v[25:26], v[25:26], v[29:30], -v[33:34]
	v_fma_f64 v[27:28], v[27:28], v[29:30], v[31:32]
	v_add_f64 v[11:12], v[11:12], -v[25:26]
	v_add_f64 v[13:14], v[13:14], -v[27:28]
.LBB174_400:
	s_or_b64 exec, exec, s[10:11]
	s_barrier
	s_and_saveexec_b64 s[10:11], s[64:65]
	s_cbranch_execz .LBB174_402
; %bb.401:
	v_mov_b32_e32 v25, 0
	ds_read_b128 v[25:28], v25 offset:3168
	s_waitcnt lgkmcnt(0)
	v_mul_f64 v[29:30], v[13:14], v[27:28]
	v_mul_f64 v[27:28], v[11:12], v[27:28]
	v_fma_f64 v[11:12], v[11:12], v[25:26], -v[29:30]
	v_fma_f64 v[13:14], v[13:14], v[25:26], v[27:28]
	v_xor_b32_e32 v26, 0x80000000, v12
	v_xor_b32_e32 v28, 0x80000000, v14
	v_mov_b32_e32 v25, v11
	v_mov_b32_e32 v27, v13
	ds_write_b128 v24, v[25:28]
.LBB174_402:
	s_or_b64 exec, exec, s[10:11]
	s_waitcnt lgkmcnt(0)
	s_barrier
	s_and_saveexec_b64 s[10:11], s[66:67]
	s_cbranch_execz .LBB174_404
; %bb.403:
	v_lshlrev_b32_e32 v29, 4, v22
	ds_read_b128 v[25:28], v24
	ds_read_b128 v[29:32], v29 offset:3072
	s_waitcnt lgkmcnt(0)
	v_mul_f64 v[33:34], v[27:28], v[31:32]
	v_mul_f64 v[31:32], v[25:26], v[31:32]
	v_fma_f64 v[25:26], v[25:26], v[29:30], -v[33:34]
	v_fma_f64 v[27:28], v[27:28], v[29:30], v[31:32]
	v_add_f64 v[11:12], v[11:12], -v[25:26]
	v_add_f64 v[13:14], v[13:14], -v[27:28]
.LBB174_404:
	s_or_b64 exec, exec, s[10:11]
	s_barrier
	;; [unrolled: 35-line block ×6, first 2 shown]
	s_and_saveexec_b64 s[10:11], s[84:85]
	s_cbranch_execz .LBB174_422
; %bb.421:
	v_mov_b32_e32 v25, 0
	ds_read_b128 v[25:28], v25 offset:528
	s_waitcnt lgkmcnt(0)
	v_mul_f64 v[29:30], v[13:14], v[27:28]
	v_mul_f64 v[27:28], v[11:12], v[27:28]
	v_fma_f64 v[11:12], v[11:12], v[25:26], -v[29:30]
	v_fma_f64 v[13:14], v[13:14], v[25:26], v[27:28]
	v_xor_b32_e32 v26, 0x80000000, v12
	v_xor_b32_e32 v28, 0x80000000, v14
	v_mov_b32_e32 v25, v11
	v_mov_b32_e32 v27, v13
	ds_write_b128 v24, v[25:28]
.LBB174_422:
	s_or_b64 exec, exec, s[10:11]
	s_waitcnt lgkmcnt(0)
	s_barrier
	s_and_saveexec_b64 s[10:11], s[58:59]
	s_cbranch_execz .LBB174_424
; %bb.423:
	v_mov_b32_e32 v29, 0
	ds_read_b128 v[25:28], v24
	ds_read_b128 v[29:32], v29 offset:512
	s_waitcnt lgkmcnt(0)
	v_mul_f64 v[33:34], v[27:28], v[31:32]
	v_mul_f64 v[31:32], v[25:26], v[31:32]
	v_fma_f64 v[25:26], v[25:26], v[29:30], -v[33:34]
	v_fma_f64 v[27:28], v[27:28], v[29:30], v[31:32]
	v_add_f64 v[11:12], v[11:12], -v[25:26]
	v_add_f64 v[13:14], v[13:14], -v[27:28]
.LBB174_424:
	s_or_b64 exec, exec, s[10:11]
	s_barrier
	s_and_saveexec_b64 s[10:11], s[58:59]
	s_cbranch_execz .LBB174_426
; %bb.425:
	v_mov_b32_e32 v25, 0
	ds_read_b128 v[25:28], v25
	s_waitcnt lgkmcnt(0)
	v_mul_f64 v[29:30], v[13:14], v[27:28]
	v_mul_f64 v[27:28], v[11:12], v[27:28]
	v_fma_f64 v[11:12], v[11:12], v[25:26], -v[29:30]
	v_fma_f64 v[13:14], v[13:14], v[25:26], v[27:28]
	v_xor_b32_e32 v26, 0x80000000, v12
	v_xor_b32_e32 v28, 0x80000000, v14
	v_mov_b32_e32 v25, v11
	v_mov_b32_e32 v27, v13
	ds_write_b128 v24, v[25:28]
.LBB174_426:
	s_or_b64 exec, exec, s[10:11]
	s_waitcnt lgkmcnt(0)
	s_barrier
	s_barrier
	s_and_saveexec_b64 s[10:11], s[8:9]
; %bb.427:
	v_lshlrev_b32_e32 v22, 4, v22
	v_lshl_or_b32 v22, v23, 9, v22
	ds_write_b128 v22, v[11:14] offset:4096
; %bb.428:
	s_or_b64 exec, exec, s[10:11]
	s_waitcnt lgkmcnt(0)
	s_barrier
	s_barrier
	s_and_saveexec_b64 s[8:9], s[86:87]
	s_cbranch_execz .LBB174_430
; %bb.429:
	v_lshlrev_b32_e32 v22, 9, v0
	ds_read_b128 v[11:14], v22 offset:4096
	s_movk_i32 s10, 0xfe10
	v_mad_i32_i24 v23, v0, s10, v22
	s_waitcnt lgkmcnt(0)
	ds_write_b128 v23, v[11:14] offset:128
	ds_read_b128 v[11:14], v22 offset:4112
	s_waitcnt lgkmcnt(0)
	ds_write_b128 v23, v[11:14] offset:640
	ds_read_b128 v[11:14], v22 offset:4128
	;; [unrolled: 3-line block ×7, first 2 shown]
	s_waitcnt lgkmcnt(0)
	ds_write_b128 v23, v[11:14] offset:3712
.LBB174_430:
	s_or_b64 exec, exec, s[8:9]
	s_waitcnt lgkmcnt(0)
	s_barrier
	s_and_saveexec_b64 s[8:9], vcc
	s_cbranch_execz .LBB174_432
; %bb.431:
	v_mov_b32_e32 v32, 0
	ds_read_b128 v[11:14], v32 offset:3696
	ds_read_b128 v[22:25], v32 offset:3168
	;; [unrolled: 1-line block ×3, first 2 shown]
	s_waitcnt lgkmcnt(1)
	v_mul_f64 v[30:31], v[11:12], v[24:25]
	v_mul_f64 v[24:25], v[13:14], v[24:25]
	v_fma_f64 v[13:14], v[13:14], v[22:23], v[30:31]
	v_fma_f64 v[11:12], v[11:12], v[22:23], -v[24:25]
	s_waitcnt lgkmcnt(0)
	v_mul_f64 v[22:23], v[13:14], v[28:29]
	v_mul_f64 v[24:25], v[11:12], v[28:29]
	v_fma_f64 v[11:12], v[26:27], v[11:12], -v[22:23]
	v_fma_f64 v[13:14], v[26:27], v[13:14], v[24:25]
	ds_write_b128 v32, v[11:14] offset:3680
	ds_write_b128 v32, v[11:14] offset:3184
.LBB174_432:
	s_or_b64 exec, exec, s[8:9]
	v_mov_b32_e32 v11, 0
	v_mov_b32_e32 v13, 0
	;; [unrolled: 1-line block ×4, first 2 shown]
	s_waitcnt lgkmcnt(0)
	s_barrier
	buffer_wbinvl1_vol
	s_and_saveexec_b64 s[10:11], s[2:3]
	s_cbranch_execz .LBB174_436
; %bb.433:
	v_lshlrev_b32_e32 v22, 4, v15
	v_lshlrev_b32_e32 v11, 9, v16
	ds_read_b128 v[11:14], v11 offset:3168
	ds_read_b128 v[22:25], v22 offset:3136
	v_cmp_gt_u32_e64 s[8:9], 2, v18
	s_waitcnt lgkmcnt(0)
	v_mul_f64 v[26:27], v[13:14], v[24:25]
	v_mul_f64 v[24:25], v[11:12], v[24:25]
	v_fma_f64 v[11:12], v[11:12], v[22:23], -v[26:27]
	v_fma_f64 v[13:14], v[13:14], v[22:23], v[24:25]
	v_add_f64 v[11:12], v[11:12], 0
	v_add_f64 v[13:14], v[13:14], 0
	s_and_saveexec_b64 s[12:13], s[8:9]
	s_cbranch_execz .LBB174_435
; %bb.434:
	v_lshlrev_b32_e32 v26, 4, v0
	v_mov_b32_e32 v22, 0
	ds_read_b128 v[22:25], v22 offset:3696
	ds_read_b128 v[26:29], v26 offset:3648
	s_waitcnt lgkmcnt(0)
	v_mul_f64 v[30:31], v[24:25], v[28:29]
	v_mul_f64 v[28:29], v[22:23], v[28:29]
	v_fma_f64 v[22:23], v[22:23], v[26:27], -v[30:31]
	v_fma_f64 v[24:25], v[24:25], v[26:27], v[28:29]
	v_add_f64 v[11:12], v[11:12], v[22:23]
	v_add_f64 v[13:14], v[13:14], v[24:25]
.LBB174_435:
	s_or_b64 exec, exec, s[12:13]
.LBB174_436:
	s_or_b64 exec, exec, s[10:11]
	s_and_saveexec_b64 s[8:9], s[40:41]
	s_cbranch_execz .LBB174_438
; %bb.437:
	v_mov_b32_e32 v22, 0
	ds_read_b128 v[22:25], v22 offset:2640
	s_waitcnt lgkmcnt(0)
	v_mul_f64 v[26:27], v[13:14], v[24:25]
	v_mul_f64 v[24:25], v[11:12], v[24:25]
	v_fma_f64 v[11:12], v[11:12], v[22:23], -v[26:27]
	v_fma_f64 v[13:14], v[13:14], v[22:23], v[24:25]
	v_xor_b32_e32 v23, 0x80000000, v12
	v_xor_b32_e32 v25, 0x80000000, v14
	v_mov_b32_e32 v22, v11
	v_mov_b32_e32 v24, v13
	ds_write_b128 v17, v[22:25]
.LBB174_438:
	s_or_b64 exec, exec, s[8:9]
	s_waitcnt lgkmcnt(0)
	s_barrier
	s_and_saveexec_b64 s[8:9], s[38:39]
	s_cbranch_execz .LBB174_440
; %bb.439:
	v_mov_b32_e32 v26, 0
	ds_read_b128 v[22:25], v17
	ds_read_b128 v[26:29], v26 offset:2624
	s_waitcnt lgkmcnt(0)
	v_mul_f64 v[30:31], v[24:25], v[28:29]
	v_mul_f64 v[28:29], v[22:23], v[28:29]
	v_fma_f64 v[22:23], v[22:23], v[26:27], -v[30:31]
	v_fma_f64 v[24:25], v[24:25], v[26:27], v[28:29]
	v_add_f64 v[11:12], v[11:12], -v[22:23]
	v_add_f64 v[13:14], v[13:14], -v[24:25]
.LBB174_440:
	s_or_b64 exec, exec, s[8:9]
	s_barrier
	s_and_saveexec_b64 s[8:9], s[38:39]
	s_cbranch_execz .LBB174_442
; %bb.441:
	v_mov_b32_e32 v22, 0
	ds_read_b128 v[22:25], v22 offset:2112
	s_waitcnt lgkmcnt(0)
	v_mul_f64 v[26:27], v[13:14], v[24:25]
	v_mul_f64 v[24:25], v[11:12], v[24:25]
	v_fma_f64 v[11:12], v[11:12], v[22:23], -v[26:27]
	v_fma_f64 v[13:14], v[13:14], v[22:23], v[24:25]
	v_xor_b32_e32 v23, 0x80000000, v12
	v_xor_b32_e32 v25, 0x80000000, v14
	v_mov_b32_e32 v22, v11
	v_mov_b32_e32 v24, v13
	ds_write_b128 v17, v[22:25]
.LBB174_442:
	s_or_b64 exec, exec, s[8:9]
	s_waitcnt lgkmcnt(0)
	s_barrier
	s_barrier
	s_and_saveexec_b64 s[8:9], s[2:3]
; %bb.443:
	v_lshlrev_b32_e32 v22, 4, v15
	v_lshl_or_b32 v22, v16, 9, v22
	ds_write_b128 v22, v[11:14] offset:3136
; %bb.444:
	s_or_b64 exec, exec, s[8:9]
	s_waitcnt lgkmcnt(0)
	s_barrier
	s_barrier
	s_and_saveexec_b64 s[8:9], s[42:43]
	s_cbranch_execz .LBB174_446
; %bb.445:
	v_lshlrev_b32_e32 v22, 9, v0
	ds_read_b128 v[11:14], v22 offset:3136
	s_movk_i32 s10, 0xfe10
	v_mad_i32_i24 v23, v0, s10, v22
	s_waitcnt lgkmcnt(0)
	ds_write_b128 v23, v[11:14] offset:2144
	ds_read_b128 v[11:14], v22 offset:3152
	s_waitcnt lgkmcnt(0)
	ds_write_b128 v23, v[11:14] offset:2656
.LBB174_446:
	s_or_b64 exec, exec, s[8:9]
	s_waitcnt lgkmcnt(0)
	s_barrier
	s_and_saveexec_b64 s[8:9], vcc
	s_cbranch_execz .LBB174_448
; %bb.447:
	v_mov_b32_e32 v32, 0
	ds_read_b128 v[11:14], v32 offset:2640
	ds_read_b128 v[22:25], v32 offset:2112
	;; [unrolled: 1-line block ×3, first 2 shown]
	s_waitcnt lgkmcnt(1)
	v_mul_f64 v[30:31], v[11:12], v[24:25]
	v_mul_f64 v[24:25], v[13:14], v[24:25]
	v_fma_f64 v[13:14], v[13:14], v[22:23], v[30:31]
	v_fma_f64 v[11:12], v[11:12], v[22:23], -v[24:25]
	s_waitcnt lgkmcnt(0)
	v_mul_f64 v[22:23], v[13:14], v[28:29]
	v_mul_f64 v[24:25], v[11:12], v[28:29]
	v_fma_f64 v[11:12], v[26:27], v[11:12], -v[22:23]
	v_fma_f64 v[13:14], v[26:27], v[13:14], v[24:25]
	ds_write_b128 v32, v[11:14] offset:2624
	ds_write_b128 v32, v[11:14] offset:2128
.LBB174_448:
	s_or_b64 exec, exec, s[8:9]
	v_mov_b32_e32 v13, 0
	v_mov_b32_e32 v11, 0
	;; [unrolled: 1-line block ×4, first 2 shown]
	s_waitcnt lgkmcnt(0)
	s_barrier
	buffer_wbinvl1_vol
	s_and_saveexec_b64 s[10:11], s[16:17]
	s_cbranch_execz .LBB174_454
; %bb.449:
	v_lshlrev_b32_e32 v23, 9, v20
	v_lshlrev_b32_e32 v22, 4, v19
	ds_read_b128 v[11:14], v23 offset:2112
	ds_read_b128 v[24:27], v22 offset:2048
	v_cmp_gt_u32_e64 s[8:9], 12, v18
	s_waitcnt lgkmcnt(0)
	v_mul_f64 v[28:29], v[13:14], v[26:27]
	v_mul_f64 v[26:27], v[11:12], v[26:27]
	v_fma_f64 v[11:12], v[11:12], v[24:25], -v[28:29]
	v_fma_f64 v[13:14], v[13:14], v[24:25], v[26:27]
	v_add_f64 v[11:12], v[11:12], 0
	v_add_f64 v[13:14], v[13:14], 0
	s_and_saveexec_b64 s[12:13], s[8:9]
	s_cbranch_execnz .LBB174_573
; %bb.450:
	s_or_b64 exec, exec, s[12:13]
	v_cmp_gt_u32_e64 s[8:9], 8, v18
	s_and_saveexec_b64 s[12:13], s[8:9]
	s_cbranch_execnz .LBB174_574
.LBB174_451:
	s_or_b64 exec, exec, s[12:13]
	v_cmp_gt_u32_e64 s[8:9], 4, v18
	s_and_saveexec_b64 s[12:13], s[8:9]
	s_cbranch_execz .LBB174_453
.LBB174_452:
	v_lshlrev_b32_e32 v26, 4, v0
	v_mov_b32_e32 v22, 0
	ds_read_b128 v[22:25], v22 offset:3696
	ds_read_b128 v[26:29], v26 offset:3584
	s_waitcnt lgkmcnt(0)
	v_mul_f64 v[30:31], v[24:25], v[28:29]
	v_mul_f64 v[28:29], v[22:23], v[28:29]
	v_fma_f64 v[22:23], v[22:23], v[26:27], -v[30:31]
	v_fma_f64 v[24:25], v[24:25], v[26:27], v[28:29]
	v_add_f64 v[11:12], v[11:12], v[22:23]
	v_add_f64 v[13:14], v[13:14], v[24:25]
.LBB174_453:
	s_or_b64 exec, exec, s[12:13]
.LBB174_454:
	s_or_b64 exec, exec, s[10:11]
	s_and_saveexec_b64 s[8:9], s[46:47]
	s_cbranch_execz .LBB174_456
; %bb.455:
	v_mov_b32_e32 v22, 0
	ds_read_b128 v[22:25], v22 offset:1584
	s_waitcnt lgkmcnt(0)
	v_mul_f64 v[26:27], v[13:14], v[24:25]
	v_mul_f64 v[24:25], v[11:12], v[24:25]
	v_fma_f64 v[11:12], v[11:12], v[22:23], -v[26:27]
	v_fma_f64 v[13:14], v[13:14], v[22:23], v[24:25]
	v_xor_b32_e32 v23, 0x80000000, v12
	v_xor_b32_e32 v25, 0x80000000, v14
	v_mov_b32_e32 v22, v11
	v_mov_b32_e32 v24, v13
	ds_write_b128 v21, v[22:25]
.LBB174_456:
	s_or_b64 exec, exec, s[8:9]
	s_waitcnt lgkmcnt(0)
	s_barrier
	s_and_saveexec_b64 s[8:9], s[48:49]
	s_load_dword s46, s[4:5], 0x6c
	s_cbranch_execz .LBB174_458
; %bb.457:
	v_lshlrev_b32_e32 v26, 4, v19
	ds_read_b128 v[22:25], v21
	ds_read_b128 v[26:29], v26 offset:1536
	s_waitcnt lgkmcnt(0)
	v_mul_f64 v[30:31], v[24:25], v[28:29]
	v_mul_f64 v[28:29], v[22:23], v[28:29]
	v_fma_f64 v[22:23], v[22:23], v[26:27], -v[30:31]
	v_fma_f64 v[24:25], v[24:25], v[26:27], v[28:29]
	v_add_f64 v[11:12], v[11:12], -v[22:23]
	v_add_f64 v[13:14], v[13:14], -v[24:25]
.LBB174_458:
	s_or_b64 exec, exec, s[8:9]
	s_waitcnt lgkmcnt(0)
	s_barrier
	s_and_saveexec_b64 s[8:9], s[50:51]
	s_cbranch_execz .LBB174_460
; %bb.459:
	v_mov_b32_e32 v22, 0
	ds_read_b128 v[22:25], v22 offset:1056
	s_waitcnt lgkmcnt(0)
	v_mul_f64 v[26:27], v[13:14], v[24:25]
	v_mul_f64 v[24:25], v[11:12], v[24:25]
	v_fma_f64 v[11:12], v[11:12], v[22:23], -v[26:27]
	v_fma_f64 v[13:14], v[13:14], v[22:23], v[24:25]
	v_xor_b32_e32 v23, 0x80000000, v12
	v_xor_b32_e32 v25, 0x80000000, v14
	v_mov_b32_e32 v22, v11
	v_mov_b32_e32 v24, v13
	ds_write_b128 v21, v[22:25]
.LBB174_460:
	s_or_b64 exec, exec, s[8:9]
	s_waitcnt lgkmcnt(0)
	s_barrier
	s_and_saveexec_b64 s[8:9], s[52:53]
	s_cbranch_execz .LBB174_462
; %bb.461:
	v_lshlrev_b32_e32 v26, 4, v19
	ds_read_b128 v[22:25], v21
	ds_read_b128 v[26:29], v26 offset:1024
	s_waitcnt lgkmcnt(0)
	v_mul_f64 v[30:31], v[24:25], v[28:29]
	v_mul_f64 v[28:29], v[22:23], v[28:29]
	v_fma_f64 v[22:23], v[22:23], v[26:27], -v[30:31]
	v_fma_f64 v[24:25], v[24:25], v[26:27], v[28:29]
	v_add_f64 v[11:12], v[11:12], -v[22:23]
	v_add_f64 v[13:14], v[13:14], -v[24:25]
.LBB174_462:
	s_or_b64 exec, exec, s[8:9]
	s_barrier
	s_and_saveexec_b64 s[8:9], s[54:55]
	s_cbranch_execz .LBB174_464
; %bb.463:
	v_mov_b32_e32 v22, 0
	ds_read_b128 v[22:25], v22 offset:528
	s_waitcnt lgkmcnt(0)
	v_mul_f64 v[26:27], v[13:14], v[24:25]
	v_mul_f64 v[24:25], v[11:12], v[24:25]
	v_fma_f64 v[11:12], v[11:12], v[22:23], -v[26:27]
	v_fma_f64 v[13:14], v[13:14], v[22:23], v[24:25]
	v_xor_b32_e32 v23, 0x80000000, v12
	v_xor_b32_e32 v25, 0x80000000, v14
	v_mov_b32_e32 v22, v11
	v_mov_b32_e32 v24, v13
	ds_write_b128 v21, v[22:25]
.LBB174_464:
	s_or_b64 exec, exec, s[8:9]
	s_waitcnt lgkmcnt(0)
	s_barrier
	s_and_saveexec_b64 s[8:9], s[44:45]
	s_cbranch_execz .LBB174_466
; %bb.465:
	v_mov_b32_e32 v26, 0
	ds_read_b128 v[22:25], v21
	ds_read_b128 v[26:29], v26 offset:512
	s_waitcnt lgkmcnt(0)
	v_mul_f64 v[30:31], v[24:25], v[28:29]
	v_mul_f64 v[28:29], v[22:23], v[28:29]
	v_fma_f64 v[22:23], v[22:23], v[26:27], -v[30:31]
	v_fma_f64 v[24:25], v[24:25], v[26:27], v[28:29]
	v_add_f64 v[11:12], v[11:12], -v[22:23]
	v_add_f64 v[13:14], v[13:14], -v[24:25]
.LBB174_466:
	s_or_b64 exec, exec, s[8:9]
	s_barrier
	s_and_saveexec_b64 s[8:9], s[44:45]
	s_cbranch_execz .LBB174_468
; %bb.467:
	v_mov_b32_e32 v22, 0
	ds_read_b128 v[22:25], v22
	s_waitcnt lgkmcnt(0)
	v_mul_f64 v[26:27], v[13:14], v[24:25]
	v_mul_f64 v[24:25], v[11:12], v[24:25]
	v_fma_f64 v[11:12], v[11:12], v[22:23], -v[26:27]
	v_fma_f64 v[13:14], v[13:14], v[22:23], v[24:25]
	v_xor_b32_e32 v23, 0x80000000, v12
	v_xor_b32_e32 v25, 0x80000000, v14
	v_mov_b32_e32 v22, v11
	v_mov_b32_e32 v24, v13
	ds_write_b128 v21, v[22:25]
.LBB174_468:
	s_or_b64 exec, exec, s[8:9]
	s_waitcnt lgkmcnt(0)
	s_barrier
	s_barrier
	s_and_saveexec_b64 s[8:9], s[16:17]
; %bb.469:
	v_lshlrev_b32_e32 v19, 4, v19
	v_lshl_or_b32 v19, v20, 9, v19
	ds_write_b128 v19, v[11:14] offset:2048
; %bb.470:
	s_or_b64 exec, exec, s[8:9]
	s_waitcnt lgkmcnt(0)
	s_barrier
	s_barrier
	s_and_saveexec_b64 s[8:9], s[56:57]
	s_cbranch_execz .LBB174_472
; %bb.471:
	v_lshlrev_b32_e32 v19, 4, v0
	s_movk_i32 s10, 0x1f0
	v_mad_u32_u24 v20, v0, s10, v19
	ds_read_b128 v[11:14], v20 offset:2048
	s_waitcnt lgkmcnt(0)
	ds_write_b128 v19, v[11:14] offset:64
	ds_read_b128 v[11:14], v20 offset:2064
	s_waitcnt lgkmcnt(0)
	ds_write_b128 v19, v[11:14] offset:576
	ds_read_b128 v[11:14], v20 offset:2080
	s_waitcnt lgkmcnt(0)
	ds_write_b128 v19, v[11:14] offset:1088
	ds_read_b128 v[11:14], v20 offset:2096
	s_waitcnt lgkmcnt(0)
	ds_write_b128 v19, v[11:14] offset:1600
.LBB174_472:
	s_or_b64 exec, exec, s[8:9]
	s_waitcnt lgkmcnt(0)
	s_barrier
	s_and_saveexec_b64 s[8:9], vcc
	s_cbranch_execz .LBB174_474
; %bb.473:
	v_mov_b32_e32 v29, 0
	ds_read_b128 v[11:14], v29 offset:1584
	ds_read_b128 v[19:22], v29 offset:1056
	;; [unrolled: 1-line block ×3, first 2 shown]
	s_waitcnt lgkmcnt(1)
	v_mul_f64 v[27:28], v[11:12], v[21:22]
	v_mul_f64 v[21:22], v[13:14], v[21:22]
	v_fma_f64 v[13:14], v[13:14], v[19:20], v[27:28]
	v_fma_f64 v[11:12], v[11:12], v[19:20], -v[21:22]
	s_waitcnt lgkmcnt(0)
	v_mul_f64 v[19:20], v[13:14], v[25:26]
	v_mul_f64 v[21:22], v[11:12], v[25:26]
	v_fma_f64 v[11:12], v[23:24], v[11:12], -v[19:20]
	v_fma_f64 v[13:14], v[23:24], v[13:14], v[21:22]
	ds_write_b128 v29, v[11:14] offset:1568
	ds_write_b128 v29, v[11:14] offset:1072
.LBB174_474:
	s_or_b64 exec, exec, s[8:9]
	v_mov_b32_e32 v11, 0
	v_mov_b32_e32 v13, 0
	;; [unrolled: 1-line block ×4, first 2 shown]
	s_waitcnt lgkmcnt(0)
	s_barrier
	buffer_wbinvl1_vol
	s_and_saveexec_b64 s[10:11], s[2:3]
	s_cbranch_execz .LBB174_478
; %bb.475:
	v_lshlrev_b32_e32 v19, 4, v15
	v_lshlrev_b32_e32 v11, 9, v16
	ds_read_b128 v[11:14], v11 offset:1056
	ds_read_b128 v[19:22], v19 offset:1024
	v_cmp_gt_u32_e64 s[8:9], 2, v18
	s_waitcnt lgkmcnt(0)
	v_mul_f64 v[23:24], v[13:14], v[21:22]
	v_mul_f64 v[21:22], v[11:12], v[21:22]
	v_fma_f64 v[11:12], v[11:12], v[19:20], -v[23:24]
	v_fma_f64 v[13:14], v[13:14], v[19:20], v[21:22]
	v_add_f64 v[11:12], v[11:12], 0
	v_add_f64 v[13:14], v[13:14], 0
	s_and_saveexec_b64 s[12:13], s[8:9]
	s_cbranch_execz .LBB174_477
; %bb.476:
	v_lshlrev_b32_e32 v22, 4, v0
	v_mov_b32_e32 v18, 0
	ds_read_b128 v[18:21], v18 offset:1584
	ds_read_b128 v[22:25], v22 offset:1536
	s_waitcnt lgkmcnt(0)
	v_mul_f64 v[26:27], v[20:21], v[24:25]
	v_mul_f64 v[24:25], v[18:19], v[24:25]
	v_fma_f64 v[18:19], v[18:19], v[22:23], -v[26:27]
	v_fma_f64 v[20:21], v[20:21], v[22:23], v[24:25]
	v_add_f64 v[11:12], v[11:12], v[18:19]
	v_add_f64 v[13:14], v[13:14], v[20:21]
.LBB174_477:
	s_or_b64 exec, exec, s[12:13]
.LBB174_478:
	s_or_b64 exec, exec, s[10:11]
	s_and_saveexec_b64 s[8:9], s[40:41]
	s_cbranch_execz .LBB174_480
; %bb.479:
	v_mov_b32_e32 v18, 0
	ds_read_b128 v[18:21], v18 offset:528
	s_waitcnt lgkmcnt(0)
	v_mul_f64 v[22:23], v[13:14], v[20:21]
	v_mul_f64 v[20:21], v[11:12], v[20:21]
	v_fma_f64 v[11:12], v[11:12], v[18:19], -v[22:23]
	v_fma_f64 v[13:14], v[13:14], v[18:19], v[20:21]
	v_xor_b32_e32 v19, 0x80000000, v12
	v_xor_b32_e32 v21, 0x80000000, v14
	v_mov_b32_e32 v18, v11
	v_mov_b32_e32 v20, v13
	ds_write_b128 v17, v[18:21]
.LBB174_480:
	s_or_b64 exec, exec, s[8:9]
	s_waitcnt lgkmcnt(0)
	s_barrier
	s_and_saveexec_b64 s[8:9], s[38:39]
	s_cbranch_execz .LBB174_482
; %bb.481:
	v_mov_b32_e32 v22, 0
	ds_read_b128 v[18:21], v17
	ds_read_b128 v[22:25], v22 offset:512
	s_waitcnt lgkmcnt(0)
	v_mul_f64 v[26:27], v[20:21], v[24:25]
	v_mul_f64 v[24:25], v[18:19], v[24:25]
	v_fma_f64 v[18:19], v[18:19], v[22:23], -v[26:27]
	v_fma_f64 v[20:21], v[20:21], v[22:23], v[24:25]
	v_add_f64 v[11:12], v[11:12], -v[18:19]
	v_add_f64 v[13:14], v[13:14], -v[20:21]
.LBB174_482:
	s_or_b64 exec, exec, s[8:9]
	s_barrier
	s_and_saveexec_b64 s[8:9], s[38:39]
	s_cbranch_execz .LBB174_484
; %bb.483:
	v_mov_b32_e32 v18, 0
	ds_read_b128 v[18:21], v18
	s_waitcnt lgkmcnt(0)
	v_mul_f64 v[22:23], v[13:14], v[20:21]
	v_mul_f64 v[20:21], v[11:12], v[20:21]
	v_fma_f64 v[11:12], v[11:12], v[18:19], -v[22:23]
	v_fma_f64 v[13:14], v[13:14], v[18:19], v[20:21]
	v_xor_b32_e32 v19, 0x80000000, v12
	v_xor_b32_e32 v21, 0x80000000, v14
	v_mov_b32_e32 v18, v11
	v_mov_b32_e32 v20, v13
	ds_write_b128 v17, v[18:21]
.LBB174_484:
	s_or_b64 exec, exec, s[8:9]
	s_waitcnt lgkmcnt(0)
	s_barrier
	s_barrier
	s_and_saveexec_b64 s[8:9], s[2:3]
; %bb.485:
	v_lshlrev_b32_e32 v15, 4, v15
	v_lshl_or_b32 v15, v16, 9, v15
	ds_write_b128 v15, v[11:14] offset:1024
; %bb.486:
	s_or_b64 exec, exec, s[8:9]
	s_waitcnt lgkmcnt(0)
	s_barrier
	s_barrier
	s_and_saveexec_b64 s[2:3], s[42:43]
	s_cbranch_execz .LBB174_488
; %bb.487:
	v_lshlrev_b32_e32 v15, 9, v0
	ds_read_b128 v[11:14], v15 offset:1024
	s_movk_i32 s8, 0xfe10
	v_mad_i32_i24 v16, v0, s8, v15
	s_waitcnt lgkmcnt(0)
	ds_write_b128 v16, v[11:14] offset:32
	ds_read_b128 v[11:14], v15 offset:1040
	s_waitcnt lgkmcnt(0)
	ds_write_b128 v16, v[11:14] offset:544
.LBB174_488:
	s_or_b64 exec, exec, s[2:3]
	s_waitcnt lgkmcnt(0)
	s_barrier
	s_and_saveexec_b64 s[2:3], vcc
	s_cbranch_execz .LBB174_490
; %bb.489:
	v_mov_b32_e32 v25, 0
	ds_read_b128 v[11:14], v25 offset:528
	ds_read_b128 v[15:18], v25
	ds_read_b128 v[19:22], v25 offset:512
	s_waitcnt lgkmcnt(1)
	v_mul_f64 v[23:24], v[11:12], v[17:18]
	v_mul_f64 v[17:18], v[13:14], v[17:18]
	v_fma_f64 v[13:14], v[13:14], v[15:16], v[23:24]
	v_fma_f64 v[11:12], v[11:12], v[15:16], -v[17:18]
	s_waitcnt lgkmcnt(0)
	v_mul_f64 v[15:16], v[13:14], v[21:22]
	v_mul_f64 v[17:18], v[11:12], v[21:22]
	v_fma_f64 v[11:12], v[19:20], v[11:12], -v[15:16]
	v_fma_f64 v[13:14], v[19:20], v[13:14], v[17:18]
	ds_write_b128 v25, v[11:14] offset:512
	ds_write_b128 v25, v[11:14] offset:16
.LBB174_490:
	s_or_b64 exec, exec, s[2:3]
.LBB174_491:
	s_lshl_b64 s[2:3], s[20:21], 4
	s_add_u32 s36, s36, s2
	v_cmp_le_i32_e32 vcc, s93, v0
	s_addc_u32 s37, s37, s3
	s_and_b64 s[16:17], vcc, s[30:31]
	v_cmp_eq_u32_e64 s[2:3], 0, v2
	s_xor_b64 s[8:9], s[16:17], -1
	v_mov_b32_e32 v13, 0
	v_mov_b32_e32 v11, 0
	s_and_b64 s[10:11], s[2:3], s[8:9]
	v_mov_b32_e32 v14, 0
	v_mov_b32_e32 v12, 0
	v_add_u32_e32 v15, s33, v0
	s_waitcnt lgkmcnt(0)
	s_barrier
	s_and_saveexec_b64 s[8:9], s[10:11]
	s_cbranch_execz .LBB174_493
; %bb.492:
	v_ashrrev_i32_e32 v13, 31, v15
	v_mul_lo_u32 v14, s23, v15
	v_mad_u64_u32 v[11:12], s[10:11], s22, v15, 0
	v_mul_lo_u32 v13, s22, v13
	v_add3_u32 v12, v12, v13, v14
	v_lshlrev_b64 v[11:12], 4, v[11:12]
	v_mov_b32_e32 v13, s37
	v_add_co_u32_e32 v11, vcc, s36, v11
	v_addc_co_u32_e32 v12, vcc, v13, v12, vcc
	flat_load_dwordx4 v[11:14], v[11:12]
	s_waitcnt vmcnt(0) lgkmcnt(0)
	v_mul_f64 v[16:17], s[24:25], v[11:12]
	v_mul_f64 v[18:19], s[24:25], v[13:14]
	v_fma_f64 v[13:14], s[26:27], v[13:14], -v[16:17]
	v_fma_f64 v[11:12], v[11:12], -s[26:27], -v[18:19]
.LBB174_493:
	s_or_b64 exec, exec, s[8:9]
	s_load_dwordx2 s[14:15], s[4:5], 0x50
	s_and_b32 s4, 0xffff, s46
	v_mad_u32_u24 v23, v2, s4, v0
	v_mov_b32_e32 v16, 0
	s_cmp_lt_i32 s6, 1
	v_cmp_eq_u32_e64 s[4:5], 0, v23
	s_cbranch_scc1 .LBB174_516
; %bb.494:
	v_mad_u64_u32 v[17:18], s[8:9], s34, v15, 0
	s_mov_b32 s24, 0
	v_cmp_gt_u32_e64 s[12:13], 32, v23
	v_mad_u64_u32 v[18:19], s[8:9], s35, v15, v[18:19]
	s_lshl_b64 s[8:9], s[28:29], 2
	s_waitcnt lgkmcnt(0)
	s_add_u32 s18, s14, s8
	v_lshlrev_b64 v[17:18], 4, v[17:18]
	s_addc_u32 s19, s15, s9
	v_mov_b32_e32 v19, 0x6000
	v_cmp_gt_i32_e64 s[8:9], s7, v15
	v_mov_b32_e32 v15, s95
	v_add_co_u32_e32 v26, vcc, s94, v17
	v_lshl_add_u32 v24, v23, 4, v19
	v_lshl_or_b32 v25, v2, 4, v19
	s_add_i32 s25, s6, -1
	v_addc_co_u32_e32 v27, vcc, v15, v18, vcc
	v_mov_b32_e32 v28, -1
	s_branch .LBB174_497
.LBB174_495:                            ;   in Loop: Header=BB174_497 Depth=1
	ds_read_b128 v[29:32], v25 offset:256
	s_waitcnt vmcnt(0) lgkmcnt(0)
	v_mul_f64 v[17:18], v[21:22], v[31:32]
	v_mul_f64 v[21:22], v[21:22], v[29:30]
	v_fma_f64 v[17:18], v[19:20], v[29:30], v[17:18]
	v_fma_f64 v[19:20], v[19:20], v[31:32], -v[21:22]
	v_add_f64 v[13:14], v[13:14], v[17:18]
	v_add_f64 v[11:12], v[11:12], v[19:20]
.LBB174_496:                            ;   in Loop: Header=BB174_497 Depth=1
	s_or_b64 exec, exec, s[20:21]
	s_add_i32 s24, s24, 1
	s_cmp_eq_u32 s24, s6
	s_cbranch_scc1 .LBB174_516
.LBB174_497:                            ; =>This Loop Header: Depth=1
                                        ;     Child Loop BB174_499 Depth 2
	v_cmp_gt_i32_e32 vcc, s24, v28
	s_and_b64 s[20:21], s[4:5], vcc
	s_and_saveexec_b64 s[10:11], s[20:21]
	s_cbranch_execz .LBB174_500
; %bb.498:                              ;   in Loop: Header=BB174_497 Depth=1
	global_load_dword v28, v16, s[18:19]
	s_waitcnt vmcnt(0)
	v_cmp_le_i32_e32 vcc, s24, v28
	s_cbranch_vccnz .LBB174_500
.LBB174_499:                            ;   Parent Loop BB174_497 Depth=1
                                        ; =>  This Inner Loop Header: Depth=2
	buffer_wbinvl1_vol
	global_load_dword v28, v16, s[18:19]
	s_waitcnt vmcnt(0)
	v_cmp_gt_i32_e32 vcc, s24, v28
	s_cbranch_vccnz .LBB174_499
.LBB174_500:                            ;   in Loop: Header=BB174_497 Depth=1
	s_or_b64 exec, exec, s[10:11]
	s_lshl_b32 s26, s24, 5
	buffer_wbinvl1_vol
	s_barrier
	s_and_saveexec_b64 s[10:11], s[12:13]
	s_cbranch_execz .LBB174_505
; %bb.501:                              ;   in Loop: Header=BB174_497 Depth=1
	v_or_b32_e32 v15, s26, v23
	v_cmp_le_i32_e32 vcc, s7, v15
	s_and_saveexec_b64 s[20:21], vcc
	s_xor_b64 s[20:21], exec, s[20:21]
; %bb.502:                              ;   in Loop: Header=BB174_497 Depth=1
	v_mov_b32_e32 v15, v16
	v_mov_b32_e32 v17, v16
	;; [unrolled: 1-line block ×3, first 2 shown]
	ds_write_b128 v24, v[15:18]
                                        ; implicit-def: $vgpr15
; %bb.503:                              ;   in Loop: Header=BB174_497 Depth=1
	s_andn2_saveexec_b64 s[20:21], s[20:21]
	s_cbranch_execz .LBB174_505
; %bb.504:                              ;   in Loop: Header=BB174_497 Depth=1
	v_mad_u64_u32 v[17:18], s[20:21], s22, v15, 0
	v_mad_u64_u32 v[18:19], s[20:21], s23, v15, v[18:19]
	v_mov_b32_e32 v15, s37
	v_lshlrev_b64 v[17:18], 4, v[17:18]
	v_add_co_u32_e32 v17, vcc, s36, v17
	v_addc_co_u32_e32 v18, vcc, v15, v18, vcc
	flat_load_dwordx4 v[17:20], v[17:18]
	s_waitcnt vmcnt(0) lgkmcnt(0)
	ds_write2_b64 v24, v[17:18], v[19:20] offset1:1
.LBB174_505:                            ;   in Loop: Header=BB174_497 Depth=1
	s_or_b64 exec, exec, s[10:11]
	v_add_u32_e32 v15, s26, v2
	v_lshlrev_b64 v[17:18], 4, v[15:16]
	s_cmp_lg_u32 s24, s25
	v_add_co_u32_e32 v17, vcc, v26, v17
	s_cselect_b64 s[10:11], -1, 0
	v_addc_co_u32_e32 v18, vcc, v27, v18, vcc
	v_cmp_gt_i32_e32 vcc, s7, v15
	v_cndmask_b32_e64 v19, 0, 1, s[10:11]
	s_and_b64 s[26:27], vcc, s[8:9]
	v_cmp_ne_u32_e64 s[10:11], 1, v19
	s_waitcnt lgkmcnt(0)
	s_barrier
	s_and_saveexec_b64 s[20:21], s[26:27]
	s_cbranch_execz .LBB174_511
; %bb.506:                              ;   in Loop: Header=BB174_497 Depth=1
	v_mov_b32_e32 v20, v8
	s_and_b64 vcc, exec, s[10:11]
	v_mov_b32_e32 v19, v7
	s_cbranch_vccnz .LBB174_508
; %bb.507:                              ;   in Loop: Header=BB174_497 Depth=1
	flat_load_dwordx2 v[19:20], v[17:18]
.LBB174_508:                            ;   in Loop: Header=BB174_497 Depth=1
	v_mov_b32_e32 v22, v10
	s_and_b64 vcc, exec, s[10:11]
	v_mov_b32_e32 v21, v9
	s_cbranch_vccnz .LBB174_510
; %bb.509:                              ;   in Loop: Header=BB174_497 Depth=1
	flat_load_dwordx2 v[21:22], v[17:18] offset:8
.LBB174_510:                            ;   in Loop: Header=BB174_497 Depth=1
	ds_read_b128 v[29:32], v25
	s_waitcnt vmcnt(0) lgkmcnt(0)
	v_mul_f64 v[33:34], v[21:22], v[31:32]
	v_mul_f64 v[21:22], v[21:22], v[29:30]
	v_fma_f64 v[29:30], v[19:20], v[29:30], v[33:34]
	v_fma_f64 v[19:20], v[19:20], v[31:32], -v[21:22]
	v_add_f64 v[13:14], v[13:14], v[29:30]
	v_add_f64 v[11:12], v[11:12], v[19:20]
.LBB174_511:                            ;   in Loop: Header=BB174_497 Depth=1
	s_or_b64 exec, exec, s[20:21]
	v_add_u32_e32 v15, 16, v15
	v_cmp_gt_i32_e32 vcc, s7, v15
	s_and_b64 s[26:27], vcc, s[8:9]
	s_and_saveexec_b64 s[20:21], s[26:27]
	s_cbranch_execz .LBB174_496
; %bb.512:                              ;   in Loop: Header=BB174_497 Depth=1
	v_mov_b32_e32 v20, v4
	s_and_b64 vcc, exec, s[10:11]
	v_mov_b32_e32 v19, v3
	s_cbranch_vccnz .LBB174_514
; %bb.513:                              ;   in Loop: Header=BB174_497 Depth=1
	flat_load_dwordx2 v[19:20], v[17:18] offset:256
.LBB174_514:                            ;   in Loop: Header=BB174_497 Depth=1
	v_mov_b32_e32 v22, v6
	s_and_b64 vcc, exec, s[10:11]
	v_mov_b32_e32 v21, v5
	s_cbranch_vccnz .LBB174_495
; %bb.515:                              ;   in Loop: Header=BB174_497 Depth=1
	flat_load_dwordx2 v[21:22], v[17:18] offset:264
	s_branch .LBB174_495
.LBB174_516:
	s_xor_b64 s[4:5], s[30:31], -1
	v_lshlrev_b32_e32 v1, 4, v1
	v_mov_b32_e32 v15, v11
	v_mov_b32_e32 v16, v12
	ds_write_b128 v1, v[13:16] offset:16384
	s_waitcnt lgkmcnt(0)
	s_barrier
	s_and_saveexec_b64 s[6:7], s[2:3]
	s_cbranch_execz .LBB174_518
; %bb.517:
	v_lshlrev_b32_e32 v15, 4, v0
	ds_read_b128 v[3:6], v15 offset:16896
	ds_read_b128 v[7:10], v15 offset:17408
	s_waitcnt lgkmcnt(1)
	v_add_f64 v[3:4], v[13:14], v[3:4]
	v_add_f64 v[5:6], v[11:12], v[5:6]
	s_waitcnt lgkmcnt(0)
	v_add_f64 v[11:12], v[3:4], v[7:8]
	v_add_f64 v[13:14], v[5:6], v[9:10]
	ds_read_b128 v[3:6], v15 offset:17920
	ds_read_b128 v[7:10], v15 offset:18432
	s_waitcnt lgkmcnt(1)
	v_add_f64 v[3:4], v[11:12], v[3:4]
	v_add_f64 v[5:6], v[13:14], v[5:6]
	s_waitcnt lgkmcnt(0)
	v_add_f64 v[11:12], v[3:4], v[7:8]
	v_add_f64 v[13:14], v[5:6], v[9:10]
	;; [unrolled: 8-line block ×7, first 2 shown]
	ds_read_b128 v[3:6], v15 offset:24064
	s_waitcnt lgkmcnt(0)
	v_add_f64 v[3:4], v[7:8], v[3:4]
	v_add_f64 v[5:6], v[9:10], v[5:6]
	v_xor_b32_e32 v4, 0x80000000, v4
	v_xor_b32_e32 v6, 0x80000000, v6
	v_cndmask_b32_e64 v13, v3, 0, s[16:17]
	v_cndmask_b32_e64 v14, v4, 0, s[16:17]
	;; [unrolled: 1-line block ×4, first 2 shown]
.LBB174_518:
	s_or_b64 exec, exec, s[6:7]
	s_and_b64 vcc, exec, s[0:1]
	s_cbranch_vccnz .LBB174_527
; %bb.519:
	v_mov_b32_e32 v3, 0x6000
	v_lshl_or_b32 v7, v2, 4, v3
	s_and_saveexec_b64 s[0:1], s[2:3]
; %bb.520:
	v_lshl_add_u32 v3, v0, 4, v7
	v_mov_b32_e32 v15, v11
	v_mov_b32_e32 v16, v12
	ds_write_b128 v3, v[13:16]
; %bb.521:
	s_or_b64 exec, exec, s[0:1]
	v_mov_b32_e32 v3, 0
	v_mov_b32_e32 v5, 0
	;; [unrolled: 1-line block ×4, first 2 shown]
	v_cmp_le_u32_e32 vcc, v2, v0
	s_waitcnt lgkmcnt(0)
	s_barrier
	s_and_saveexec_b64 s[0:1], vcc
	s_cbranch_execz .LBB174_523
; %bb.522:
	ds_read_b128 v[3:6], v7
	ds_read_b128 v[15:18], v1
	s_waitcnt lgkmcnt(0)
	v_mul_f64 v[8:9], v[5:6], v[17:18]
	v_mul_f64 v[17:18], v[3:4], v[17:18]
	v_fma_f64 v[3:4], v[3:4], v[15:16], -v[8:9]
	v_fma_f64 v[5:6], v[5:6], v[15:16], v[17:18]
	v_add_f64 v[3:4], v[3:4], 0
	v_add_f64 v[5:6], v[5:6], 0
.LBB174_523:
	s_or_b64 exec, exec, s[0:1]
	v_add_u32_e32 v2, 16, v2
	v_add_u32_e32 v8, 0x4000, v1
	v_cmp_ge_u32_e32 vcc, v0, v2
	s_and_saveexec_b64 s[0:1], vcc
	s_cbranch_execz .LBB174_525
; %bb.524:
	ds_read_b128 v[15:18], v7 offset:256
	ds_read_b128 v[19:22], v1 offset:8192
	s_waitcnt lgkmcnt(0)
	v_mul_f64 v[1:2], v[17:18], v[21:22]
	v_mul_f64 v[9:10], v[15:16], v[21:22]
	v_fma_f64 v[1:2], v[15:16], v[19:20], -v[1:2]
	v_fma_f64 v[9:10], v[17:18], v[19:20], v[9:10]
	v_add_f64 v[3:4], v[3:4], v[1:2]
	v_add_f64 v[5:6], v[5:6], v[9:10]
.LBB174_525:
	s_or_b64 exec, exec, s[0:1]
	s_mov_b64 s[6:7], 0
	s_mov_b64 s[0:1], 0
	ds_write_b128 v8, v[3:6]
	s_waitcnt lgkmcnt(0)
	s_barrier
                                        ; implicit-def: $vgpr7_vgpr8
                                        ; implicit-def: $vgpr9_vgpr10
                                        ; implicit-def: $vgpr1_vgpr2
	s_and_saveexec_b64 s[8:9], s[2:3]
	s_cbranch_execz .LBB174_540
; %bb.526:
	v_lshlrev_b32_e32 v19, 4, v0
	ds_read_b128 v[7:10], v19 offset:16896
	ds_read_b128 v[15:18], v19 offset:17408
	s_mov_b64 s[0:1], exec
	s_waitcnt lgkmcnt(1)
	v_add_f64 v[1:2], v[3:4], v[7:8]
	v_add_f64 v[3:4], v[5:6], v[9:10]
	s_waitcnt lgkmcnt(0)
	v_add_f64 v[9:10], v[1:2], v[15:16]
	v_add_f64 v[15:16], v[3:4], v[17:18]
	ds_read_b128 v[1:4], v19 offset:17920
	ds_read_b128 v[5:8], v19 offset:18432
	s_waitcnt lgkmcnt(1)
	v_add_f64 v[1:2], v[9:10], v[1:2]
	v_add_f64 v[3:4], v[15:16], v[3:4]
	s_waitcnt lgkmcnt(0)
	v_add_f64 v[9:10], v[1:2], v[5:6]
	v_add_f64 v[15:16], v[3:4], v[7:8]
	ds_read_b128 v[1:4], v19 offset:18944
	ds_read_b128 v[5:8], v19 offset:19456
	s_waitcnt lgkmcnt(1)
	v_add_f64 v[1:2], v[9:10], v[1:2]
	v_add_f64 v[3:4], v[15:16], v[3:4]
	s_waitcnt lgkmcnt(0)
	v_add_f64 v[9:10], v[1:2], v[5:6]
	v_add_f64 v[15:16], v[3:4], v[7:8]
	ds_read_b128 v[1:4], v19 offset:19968
	ds_read_b128 v[5:8], v19 offset:20480
	s_waitcnt lgkmcnt(1)
	v_add_f64 v[1:2], v[9:10], v[1:2]
	v_add_f64 v[3:4], v[15:16], v[3:4]
	s_waitcnt lgkmcnt(0)
	v_add_f64 v[9:10], v[1:2], v[5:6]
	v_add_f64 v[15:16], v[3:4], v[7:8]
	ds_read_b128 v[1:4], v19 offset:20992
	ds_read_b128 v[5:8], v19 offset:21504
	s_waitcnt lgkmcnt(1)
	v_add_f64 v[1:2], v[9:10], v[1:2]
	v_add_f64 v[3:4], v[15:16], v[3:4]
	s_waitcnt lgkmcnt(0)
	v_add_f64 v[9:10], v[1:2], v[5:6]
	v_add_f64 v[15:16], v[3:4], v[7:8]
	ds_read_b128 v[1:4], v19 offset:22016
	ds_read_b128 v[5:8], v19 offset:22528
	s_waitcnt lgkmcnt(1)
	v_add_f64 v[1:2], v[9:10], v[1:2]
	v_add_f64 v[3:4], v[15:16], v[3:4]
	s_waitcnt lgkmcnt(0)
	v_add_f64 v[9:10], v[1:2], v[5:6]
	v_add_f64 v[15:16], v[3:4], v[7:8]
	ds_read_b128 v[1:4], v19 offset:23040
	ds_read_b128 v[5:8], v19 offset:23552
	s_waitcnt lgkmcnt(1)
	v_add_f64 v[1:2], v[9:10], v[1:2]
	v_add_f64 v[3:4], v[15:16], v[3:4]
	v_add_u32_e32 v15, s33, v23
	s_waitcnt lgkmcnt(0)
	v_add_f64 v[9:10], v[1:2], v[5:6]
	v_add_f64 v[7:8], v[3:4], v[7:8]
	ds_read_b128 v[3:6], v19 offset:24064
	v_mad_u64_u32 v[1:2], s[10:11], s22, v15, 0
	s_waitcnt lgkmcnt(0)
	v_add_f64 v[9:10], v[9:10], v[3:4]
	v_add_f64 v[7:8], v[7:8], v[5:6]
	v_mad_u64_u32 v[2:3], s[10:11], s23, v15, v[2:3]
	s_or_b64 exec, exec, s[8:9]
	s_and_b64 vcc, exec, s[6:7]
	s_cbranch_vccnz .LBB174_528
	s_branch .LBB174_541
.LBB174_527:
	s_mov_b64 s[0:1], 0
                                        ; implicit-def: $vgpr7_vgpr8
                                        ; implicit-def: $vgpr9_vgpr10
                                        ; implicit-def: $vgpr1_vgpr2
	s_cbranch_execz .LBB174_541
.LBB174_528:
	v_mul_u32_u24_e32 v1, 0x210, v0
	v_lshlrev_b32_e32 v2, 9, v0
	v_sub_u32_e32 v2, v1, v2
	s_mov_b32 s8, 0
	v_mov_b32_e32 v3, 0
	v_mov_b32_e32 v4, v0
	s_branch .LBB174_530
.LBB174_529:                            ;   in Loop: Header=BB174_530 Depth=1
	s_or_b64 exec, exec, s[6:7]
	s_add_i32 s8, s8, 2
	v_add_u32_e32 v2, 0x400, v2
	s_cmp_lg_u32 s8, 32
	v_add_u32_e32 v4, -2, v4
	s_barrier
	s_cbranch_scc0 .LBB174_538
.LBB174_530:                            ; =>This Inner Loop Header: Depth=1
	v_cmp_eq_u32_e32 vcc, 0, v4
	s_and_b64 s[10:11], s[2:3], vcc
	s_and_saveexec_b64 s[6:7], s[10:11]
	s_cbranch_execz .LBB174_532
; %bb.531:                              ;   in Loop: Header=BB174_530 Depth=1
	ds_read_b128 v[5:8], v1
	s_waitcnt lgkmcnt(0)
	v_mul_f64 v[9:10], v[11:12], v[7:8]
	v_mul_f64 v[7:8], v[13:14], v[7:8]
	v_fma_f64 v[9:10], v[13:14], v[5:6], -v[9:10]
	v_fma_f64 v[11:12], v[11:12], v[5:6], v[7:8]
	v_mov_b32_e32 v14, v10
	v_mov_b32_e32 v13, v9
	ds_write_b128 v3, v[9:12] offset:25088
.LBB174_532:                            ;   in Loop: Header=BB174_530 Depth=1
	s_or_b64 exec, exec, s[6:7]
	v_cmp_lt_u32_e32 vcc, s8, v0
	s_and_b64 s[10:11], s[2:3], vcc
	s_waitcnt lgkmcnt(0)
	s_barrier
	s_and_saveexec_b64 s[6:7], s[10:11]
	s_cbranch_execz .LBB174_534
; %bb.533:                              ;   in Loop: Header=BB174_530 Depth=1
	ds_read_b128 v[5:8], v3 offset:25088
	ds_read_b128 v[15:18], v2
	s_waitcnt lgkmcnt(0)
	v_mul_f64 v[9:10], v[7:8], v[17:18]
	v_mul_f64 v[17:18], v[5:6], v[17:18]
	v_fma_f64 v[5:6], v[5:6], v[15:16], -v[9:10]
	v_fma_f64 v[7:8], v[7:8], v[15:16], v[17:18]
	v_add_f64 v[13:14], v[13:14], v[5:6]
	v_add_f64 v[11:12], v[11:12], v[7:8]
.LBB174_534:                            ;   in Loop: Header=BB174_530 Depth=1
	s_or_b64 exec, exec, s[6:7]
	s_or_b32 s9, s8, 1
	v_cmp_eq_u32_e32 vcc, s9, v0
	s_and_b64 s[10:11], s[2:3], vcc
	s_barrier
	s_and_saveexec_b64 s[6:7], s[10:11]
	s_cbranch_execz .LBB174_536
; %bb.535:                              ;   in Loop: Header=BB174_530 Depth=1
	ds_read_b128 v[5:8], v1
	s_waitcnt lgkmcnt(0)
	v_mul_f64 v[9:10], v[11:12], v[7:8]
	v_mul_f64 v[7:8], v[13:14], v[7:8]
	v_fma_f64 v[9:10], v[13:14], v[5:6], -v[9:10]
	v_fma_f64 v[11:12], v[11:12], v[5:6], v[7:8]
	v_mov_b32_e32 v14, v10
	v_mov_b32_e32 v13, v9
	ds_write_b128 v3, v[9:12] offset:25088
.LBB174_536:                            ;   in Loop: Header=BB174_530 Depth=1
	s_or_b64 exec, exec, s[6:7]
	v_cmp_lt_u32_e32 vcc, s9, v0
	s_and_b64 s[10:11], s[2:3], vcc
	s_waitcnt lgkmcnt(0)
	s_barrier
	s_and_saveexec_b64 s[6:7], s[10:11]
	s_cbranch_execz .LBB174_529
; %bb.537:                              ;   in Loop: Header=BB174_530 Depth=1
	ds_read_b128 v[5:8], v3 offset:25088
	ds_read_b128 v[15:18], v2 offset:512
	s_waitcnt lgkmcnt(0)
	v_mul_f64 v[9:10], v[7:8], v[17:18]
	v_mul_f64 v[17:18], v[5:6], v[17:18]
	v_fma_f64 v[5:6], v[5:6], v[15:16], -v[9:10]
	v_fma_f64 v[7:8], v[7:8], v[15:16], v[17:18]
	v_add_f64 v[13:14], v[13:14], v[5:6]
	v_add_f64 v[11:12], v[11:12], v[7:8]
	s_branch .LBB174_529
.LBB174_538:
	s_and_b64 vcc, exec, s[4:5]
	s_cbranch_vccz .LBB174_542
; %bb.539:
	s_and_b64 s[4:5], s[2:3], exec
	s_cbranch_execz .LBB174_543
	s_branch .LBB174_544
.LBB174_540:
	s_or_b64 exec, exec, s[8:9]
	s_and_b64 vcc, exec, s[6:7]
	s_cbranch_vccnz .LBB174_528
.LBB174_541:
	v_mov_b32_e32 v12, v8
	v_mov_b32_e32 v14, v10
	;; [unrolled: 1-line block ×4, first 2 shown]
	s_and_saveexec_b64 s[2:3], s[0:1]
	s_cbranch_execnz .LBB174_547
	s_branch .LBB174_548
.LBB174_542:
	s_mov_b64 s[4:5], 0
.LBB174_543:
	v_cmp_gt_i32_e32 vcc, s93, v0
	s_and_b64 s[2:3], s[2:3], vcc
	s_andn2_b64 s[4:5], s[4:5], exec
	s_and_b64 s[2:3], s[2:3], exec
	s_or_b64 s[4:5], s[4:5], s[2:3]
.LBB174_544:
                                        ; implicit-def: $vgpr1_vgpr2
	s_and_saveexec_b64 s[2:3], s[4:5]
	s_cbranch_execz .LBB174_546
; %bb.545:
	v_mov_b32_e32 v0, s92
	v_add_co_u32_e32 v1, vcc, s33, v23
	v_addc_co_u32_e32 v0, vcc, 0, v0, vcc
	v_mul_lo_u32 v0, v0, s22
	v_mul_lo_u32 v3, v1, s23
	v_mad_u64_u32 v[1:2], s[4:5], v1, s22, 0
	s_or_b64 s[0:1], s[0:1], exec
	v_add3_u32 v2, v2, v3, v0
.LBB174_546:
	s_or_b64 exec, exec, s[2:3]
	s_and_saveexec_b64 s[2:3], s[0:1]
	s_cbranch_execz .LBB174_548
.LBB174_547:
	v_lshlrev_b64 v[0:1], 4, v[1:2]
	v_mov_b32_e32 v2, s37
	v_add_co_u32_e32 v0, vcc, s36, v0
	v_addc_co_u32_e32 v1, vcc, v2, v1, vcc
	v_mov_b32_e32 v15, v11
	v_mov_b32_e32 v16, v12
	flat_store_dwordx4 v[0:1], v[13:16]
.LBB174_548:
	s_or_b64 exec, exec, s[2:3]
	v_cmp_eq_u32_e32 vcc, 0, v23
	s_waitcnt vmcnt(0) lgkmcnt(0)
	buffer_wbinvl1_vol
	s_barrier
	s_and_saveexec_b64 s[0:1], vcc
	s_cbranch_execz .LBB174_550
; %bb.549:
	s_lshl_b64 s[2:3], s[28:29], 2
	s_add_u32 s2, s14, s2
	s_addc_u32 s3, s15, s3
	v_mov_b32_e32 v0, 0
	global_load_dword v1, v0, s[2:3]
	s_waitcnt vmcnt(0)
	v_add_u32_e32 v1, 1, v1
	global_store_dword v0, v1, s[2:3]
.LBB174_550:
	s_or_b64 exec, exec, s[0:1]
	s_waitcnt vmcnt(0)
	buffer_wbinvl1_vol
	s_endpgm
.LBB174_551:
	ds_read_b128 v[24:27], v23 offset:14800
	ds_read_b128 v[28:31], v22 offset:15232
	s_waitcnt lgkmcnt(0)
	v_mul_f64 v[32:33], v[26:27], v[30:31]
	v_mul_f64 v[30:31], v[24:25], v[30:31]
	v_fma_f64 v[24:25], v[24:25], v[28:29], -v[32:33]
	v_fma_f64 v[26:27], v[26:27], v[28:29], v[30:31]
	v_add_f64 v[11:12], v[11:12], v[24:25]
	v_add_f64 v[13:14], v[13:14], v[26:27]
	s_or_b64 exec, exec, s[18:19]
	v_cmp_gt_u32_e64 s[12:13], 8, v18
	s_and_saveexec_b64 s[18:19], s[12:13]
	s_cbranch_execz .LBB174_89
.LBB174_552:
	ds_read_b128 v[23:26], v23 offset:14816
	ds_read_b128 v[27:30], v22 offset:15744
	s_waitcnt lgkmcnt(0)
	v_mul_f64 v[31:32], v[25:26], v[29:30]
	v_mul_f64 v[29:30], v[23:24], v[29:30]
	v_fma_f64 v[22:23], v[23:24], v[27:28], -v[31:32]
	v_fma_f64 v[24:25], v[25:26], v[27:28], v[29:30]
	v_add_f64 v[11:12], v[11:12], v[22:23]
	v_add_f64 v[13:14], v[13:14], v[24:25]
	s_or_b64 exec, exec, s[18:19]
	v_cmp_gt_u32_e64 s[12:13], 4, v18
	s_and_saveexec_b64 s[18:19], s[12:13]
	s_cbranch_execnz .LBB174_90
	s_branch .LBB174_91
.LBB174_553:
	ds_read_b128 v[27:30], v26 offset:12688
	ds_read_b128 v[31:34], v25 offset:13056
	s_waitcnt lgkmcnt(0)
	v_mul_f64 v[35:36], v[29:30], v[33:34]
	v_mul_f64 v[33:34], v[27:28], v[33:34]
	v_fma_f64 v[27:28], v[27:28], v[31:32], -v[35:36]
	v_fma_f64 v[29:30], v[29:30], v[31:32], v[33:34]
	v_add_f64 v[11:12], v[11:12], v[27:28]
	v_add_f64 v[13:14], v[13:14], v[29:30]
	s_or_b64 exec, exec, s[58:59]
	v_cmp_gt_u32_e64 s[14:15], 48, v18
	s_and_saveexec_b64 s[58:59], s[14:15]
	s_cbranch_execz .LBB174_131
.LBB174_554:
	ds_read_b128 v[27:30], v26 offset:12704
	ds_read_b128 v[31:34], v25 offset:13568
	s_waitcnt lgkmcnt(0)
	v_mul_f64 v[35:36], v[29:30], v[33:34]
	v_mul_f64 v[33:34], v[27:28], v[33:34]
	v_fma_f64 v[27:28], v[27:28], v[31:32], -v[35:36]
	v_fma_f64 v[29:30], v[29:30], v[31:32], v[33:34]
	v_add_f64 v[11:12], v[11:12], v[27:28]
	v_add_f64 v[13:14], v[13:14], v[29:30]
	s_or_b64 exec, exec, s[58:59]
	v_cmp_gt_u32_e64 s[14:15], 40, v18
	s_and_saveexec_b64 s[58:59], s[14:15]
	s_cbranch_execz .LBB174_132
.LBB174_555:
	ds_read_b128 v[27:30], v26 offset:12720
	ds_read_b128 v[31:34], v25 offset:14080
	s_waitcnt lgkmcnt(0)
	v_mul_f64 v[35:36], v[29:30], v[33:34]
	v_mul_f64 v[33:34], v[27:28], v[33:34]
	v_fma_f64 v[27:28], v[27:28], v[31:32], -v[35:36]
	v_fma_f64 v[29:30], v[29:30], v[31:32], v[33:34]
	v_add_f64 v[11:12], v[11:12], v[27:28]
	v_add_f64 v[13:14], v[13:14], v[29:30]
	s_or_b64 exec, exec, s[58:59]
	v_cmp_gt_u32_e64 s[14:15], 32, v18
	s_and_saveexec_b64 s[58:59], s[14:15]
	s_cbranch_execz .LBB174_133
.LBB174_556:
	ds_read_b128 v[27:30], v26 offset:12736
	ds_read_b128 v[31:34], v25 offset:14592
	s_waitcnt lgkmcnt(0)
	v_mul_f64 v[35:36], v[29:30], v[33:34]
	v_mul_f64 v[33:34], v[27:28], v[33:34]
	v_fma_f64 v[27:28], v[27:28], v[31:32], -v[35:36]
	v_fma_f64 v[29:30], v[29:30], v[31:32], v[33:34]
	v_add_f64 v[11:12], v[11:12], v[27:28]
	v_add_f64 v[13:14], v[13:14], v[29:30]
	s_or_b64 exec, exec, s[58:59]
	v_cmp_gt_u32_e64 s[14:15], 24, v18
	s_and_saveexec_b64 s[58:59], s[14:15]
	s_cbranch_execz .LBB174_134
.LBB174_557:
	ds_read_b128 v[27:30], v26 offset:12752
	ds_read_b128 v[31:34], v25 offset:15104
	s_waitcnt lgkmcnt(0)
	v_mul_f64 v[35:36], v[29:30], v[33:34]
	v_mul_f64 v[33:34], v[27:28], v[33:34]
	v_fma_f64 v[27:28], v[27:28], v[31:32], -v[35:36]
	v_fma_f64 v[29:30], v[29:30], v[31:32], v[33:34]
	v_add_f64 v[11:12], v[11:12], v[27:28]
	v_add_f64 v[13:14], v[13:14], v[29:30]
	s_or_b64 exec, exec, s[58:59]
	s_and_saveexec_b64 s[14:15], s[16:17]
	s_cbranch_execz .LBB174_135
.LBB174_558:
	ds_read_b128 v[26:29], v26 offset:12768
	ds_read_b128 v[30:33], v25 offset:15616
	s_waitcnt lgkmcnt(0)
	v_mul_f64 v[34:35], v[28:29], v[32:33]
	v_mul_f64 v[32:33], v[26:27], v[32:33]
	v_fma_f64 v[25:26], v[26:27], v[30:31], -v[34:35]
	v_fma_f64 v[27:28], v[28:29], v[30:31], v[32:33]
	v_add_f64 v[11:12], v[11:12], v[25:26]
	v_add_f64 v[13:14], v[13:14], v[27:28]
	s_or_b64 exec, exec, s[14:15]
	v_cmp_gt_u32_e64 s[14:15], 8, v18
	s_and_saveexec_b64 s[58:59], s[14:15]
	s_cbranch_execnz .LBB174_136
	s_branch .LBB174_137
.LBB174_559:
	ds_read_b128 v[27:30], v26 offset:10576
	ds_read_b128 v[31:34], v25 offset:11008
	s_waitcnt lgkmcnt(0)
	v_mul_f64 v[35:36], v[29:30], v[33:34]
	v_mul_f64 v[33:34], v[27:28], v[33:34]
	v_fma_f64 v[27:28], v[27:28], v[31:32], -v[35:36]
	v_fma_f64 v[29:30], v[29:30], v[31:32], v[33:34]
	v_add_f64 v[11:12], v[11:12], v[27:28]
	v_add_f64 v[13:14], v[13:14], v[29:30]
	s_or_b64 exec, exec, s[18:19]
	v_cmp_gt_u32_e64 s[12:13], 8, v18
	s_and_saveexec_b64 s[18:19], s[12:13]
	s_cbranch_execz .LBB174_193
.LBB174_560:
	ds_read_b128 v[26:29], v26 offset:10592
	ds_read_b128 v[30:33], v25 offset:11520
	s_waitcnt lgkmcnt(0)
	v_mul_f64 v[34:35], v[28:29], v[32:33]
	v_mul_f64 v[32:33], v[26:27], v[32:33]
	v_fma_f64 v[25:26], v[26:27], v[30:31], -v[34:35]
	v_fma_f64 v[27:28], v[28:29], v[30:31], v[32:33]
	v_add_f64 v[11:12], v[11:12], v[25:26]
	v_add_f64 v[13:14], v[13:14], v[27:28]
	s_or_b64 exec, exec, s[18:19]
	v_cmp_gt_u32_e64 s[12:13], 4, v18
	s_and_saveexec_b64 s[18:19], s[12:13]
	s_cbranch_execnz .LBB174_194
	s_branch .LBB174_195
.LBB174_561:
	ds_read_b128 v[30:33], v29 offset:8624
	ds_read_b128 v[34:37], v28 offset:13824
	s_waitcnt lgkmcnt(0)
	v_mul_f64 v[38:39], v[32:33], v[36:37]
	v_mul_f64 v[36:37], v[30:31], v[36:37]
	v_fma_f64 v[30:31], v[30:31], v[34:35], -v[38:39]
	v_fma_f64 v[32:33], v[32:33], v[34:35], v[36:37]
	v_add_f64 v[11:12], v[11:12], v[30:31]
	v_add_f64 v[13:14], v[13:14], v[32:33]
	s_or_b64 exec, exec, s[90:91]
	s_and_saveexec_b64 s[18:19], s[8:9]
	s_cbranch_execz .LBB174_255
.LBB174_562:
	ds_read_b128 v[30:33], v29 offset:8640
	ds_read_b128 v[34:37], v28 offset:14336
	s_waitcnt lgkmcnt(0)
	v_mul_f64 v[38:39], v[32:33], v[36:37]
	v_mul_f64 v[36:37], v[30:31], v[36:37]
	v_fma_f64 v[30:31], v[30:31], v[34:35], -v[38:39]
	v_fma_f64 v[32:33], v[32:33], v[34:35], v[36:37]
	v_add_f64 v[11:12], v[11:12], v[30:31]
	v_add_f64 v[13:14], v[13:14], v[32:33]
	s_or_b64 exec, exec, s[18:19]
	v_cmp_gt_u32_e64 s[18:19], 48, v18
	s_and_saveexec_b64 s[90:91], s[18:19]
	s_cbranch_execz .LBB174_256
.LBB174_563:
	ds_read_b128 v[30:33], v29 offset:8656
	ds_read_b128 v[34:37], v28 offset:14848
	s_waitcnt lgkmcnt(0)
	v_mul_f64 v[38:39], v[32:33], v[36:37]
	v_mul_f64 v[36:37], v[30:31], v[36:37]
	v_fma_f64 v[30:31], v[30:31], v[34:35], -v[38:39]
	v_fma_f64 v[32:33], v[32:33], v[34:35], v[36:37]
	v_add_f64 v[11:12], v[11:12], v[30:31]
	v_add_f64 v[13:14], v[13:14], v[32:33]
	s_or_b64 exec, exec, s[90:91]
	v_cmp_gt_u32_e64 s[18:19], 32, v18
	s_and_saveexec_b64 s[90:91], s[18:19]
	s_cbranch_execz .LBB174_257
.LBB174_564:
	ds_read_b128 v[29:32], v29 offset:8672
	ds_read_b128 v[33:36], v28 offset:15360
	s_waitcnt lgkmcnt(0)
	v_mul_f64 v[37:38], v[31:32], v[35:36]
	v_mul_f64 v[35:36], v[29:30], v[35:36]
	v_fma_f64 v[28:29], v[29:30], v[33:34], -v[37:38]
	v_fma_f64 v[30:31], v[31:32], v[33:34], v[35:36]
	v_add_f64 v[11:12], v[11:12], v[28:29]
	v_add_f64 v[13:14], v[13:14], v[30:31]
	s_or_b64 exec, exec, s[90:91]
	v_cmp_gt_u32_e64 s[18:19], 16, v18
	s_and_saveexec_b64 s[90:91], s[18:19]
	s_cbranch_execnz .LBB174_258
	s_branch .LBB174_259
.LBB174_565:
	ds_read_b128 v[27:30], v26 offset:6352
	ds_read_b128 v[31:34], v25 offset:6784
	s_waitcnt lgkmcnt(0)
	v_mul_f64 v[35:36], v[29:30], v[33:34]
	v_mul_f64 v[33:34], v[27:28], v[33:34]
	v_fma_f64 v[27:28], v[27:28], v[31:32], -v[35:36]
	v_fma_f64 v[29:30], v[29:30], v[31:32], v[33:34]
	v_add_f64 v[11:12], v[11:12], v[27:28]
	v_add_f64 v[13:14], v[13:14], v[29:30]
	s_or_b64 exec, exec, s[14:15]
	v_cmp_gt_u32_e64 s[10:11], 8, v18
	s_and_saveexec_b64 s[14:15], s[10:11]
	s_cbranch_execz .LBB174_347
.LBB174_566:
	ds_read_b128 v[26:29], v26 offset:6368
	ds_read_b128 v[30:33], v25 offset:7296
	s_waitcnt lgkmcnt(0)
	v_mul_f64 v[34:35], v[28:29], v[32:33]
	v_mul_f64 v[32:33], v[26:27], v[32:33]
	v_fma_f64 v[25:26], v[26:27], v[30:31], -v[34:35]
	v_fma_f64 v[27:28], v[28:29], v[30:31], v[32:33]
	v_add_f64 v[11:12], v[11:12], v[25:26]
	v_add_f64 v[13:14], v[13:14], v[27:28]
	s_or_b64 exec, exec, s[14:15]
	v_cmp_gt_u32_e64 s[10:11], 4, v18
	s_and_saveexec_b64 s[14:15], s[10:11]
	s_cbranch_execnz .LBB174_348
	s_branch .LBB174_349
.LBB174_567:
	ds_read_b128 v[27:30], v26 offset:4240
	ds_read_b128 v[31:34], v25 offset:4608
	s_waitcnt lgkmcnt(0)
	v_mul_f64 v[35:36], v[29:30], v[33:34]
	v_mul_f64 v[33:34], v[27:28], v[33:34]
	v_fma_f64 v[27:28], v[27:28], v[31:32], -v[35:36]
	v_fma_f64 v[29:30], v[29:30], v[31:32], v[33:34]
	v_add_f64 v[11:12], v[11:12], v[27:28]
	v_add_f64 v[13:14], v[13:14], v[29:30]
	s_or_b64 exec, exec, s[14:15]
	v_cmp_gt_u32_e64 s[10:11], 48, v18
	s_and_saveexec_b64 s[14:15], s[10:11]
	s_cbranch_execz .LBB174_389
.LBB174_568:
	ds_read_b128 v[27:30], v26 offset:4256
	ds_read_b128 v[31:34], v25 offset:5120
	s_waitcnt lgkmcnt(0)
	v_mul_f64 v[35:36], v[29:30], v[33:34]
	v_mul_f64 v[33:34], v[27:28], v[33:34]
	v_fma_f64 v[27:28], v[27:28], v[31:32], -v[35:36]
	v_fma_f64 v[29:30], v[29:30], v[31:32], v[33:34]
	v_add_f64 v[11:12], v[11:12], v[27:28]
	v_add_f64 v[13:14], v[13:14], v[29:30]
	s_or_b64 exec, exec, s[14:15]
	v_cmp_gt_u32_e64 s[10:11], 40, v18
	s_and_saveexec_b64 s[14:15], s[10:11]
	s_cbranch_execz .LBB174_390
.LBB174_569:
	ds_read_b128 v[27:30], v26 offset:4272
	ds_read_b128 v[31:34], v25 offset:5632
	s_waitcnt lgkmcnt(0)
	v_mul_f64 v[35:36], v[29:30], v[33:34]
	v_mul_f64 v[33:34], v[27:28], v[33:34]
	v_fma_f64 v[27:28], v[27:28], v[31:32], -v[35:36]
	v_fma_f64 v[29:30], v[29:30], v[31:32], v[33:34]
	v_add_f64 v[11:12], v[11:12], v[27:28]
	v_add_f64 v[13:14], v[13:14], v[29:30]
	s_or_b64 exec, exec, s[14:15]
	v_cmp_gt_u32_e64 s[10:11], 32, v18
	s_and_saveexec_b64 s[14:15], s[10:11]
	s_cbranch_execz .LBB174_391
.LBB174_570:
	ds_read_b128 v[27:30], v26 offset:4288
	ds_read_b128 v[31:34], v25 offset:6144
	s_waitcnt lgkmcnt(0)
	v_mul_f64 v[35:36], v[29:30], v[33:34]
	v_mul_f64 v[33:34], v[27:28], v[33:34]
	v_fma_f64 v[27:28], v[27:28], v[31:32], -v[35:36]
	v_fma_f64 v[29:30], v[29:30], v[31:32], v[33:34]
	v_add_f64 v[11:12], v[11:12], v[27:28]
	v_add_f64 v[13:14], v[13:14], v[29:30]
	s_or_b64 exec, exec, s[14:15]
	v_cmp_gt_u32_e64 s[10:11], 24, v18
	s_and_saveexec_b64 s[14:15], s[10:11]
	s_cbranch_execz .LBB174_392
.LBB174_571:
	ds_read_b128 v[27:30], v26 offset:4304
	ds_read_b128 v[31:34], v25 offset:6656
	s_waitcnt lgkmcnt(0)
	v_mul_f64 v[35:36], v[29:30], v[33:34]
	v_mul_f64 v[33:34], v[27:28], v[33:34]
	v_fma_f64 v[27:28], v[27:28], v[31:32], -v[35:36]
	v_fma_f64 v[29:30], v[29:30], v[31:32], v[33:34]
	v_add_f64 v[11:12], v[11:12], v[27:28]
	v_add_f64 v[13:14], v[13:14], v[29:30]
	s_or_b64 exec, exec, s[14:15]
	s_and_saveexec_b64 s[10:11], s[16:17]
	s_cbranch_execz .LBB174_393
.LBB174_572:
	ds_read_b128 v[26:29], v26 offset:4320
	ds_read_b128 v[30:33], v25 offset:7168
	s_waitcnt lgkmcnt(0)
	v_mul_f64 v[34:35], v[28:29], v[32:33]
	v_mul_f64 v[32:33], v[26:27], v[32:33]
	v_fma_f64 v[25:26], v[26:27], v[30:31], -v[34:35]
	v_fma_f64 v[27:28], v[28:29], v[30:31], v[32:33]
	v_add_f64 v[11:12], v[11:12], v[25:26]
	v_add_f64 v[13:14], v[13:14], v[27:28]
	s_or_b64 exec, exec, s[10:11]
	v_cmp_gt_u32_e64 s[10:11], 8, v18
	s_and_saveexec_b64 s[14:15], s[10:11]
	s_cbranch_execnz .LBB174_394
	s_branch .LBB174_395
.LBB174_573:
	ds_read_b128 v[24:27], v23 offset:2128
	ds_read_b128 v[28:31], v22 offset:2560
	s_waitcnt lgkmcnt(0)
	v_mul_f64 v[32:33], v[26:27], v[30:31]
	v_mul_f64 v[30:31], v[24:25], v[30:31]
	v_fma_f64 v[24:25], v[24:25], v[28:29], -v[32:33]
	v_fma_f64 v[26:27], v[26:27], v[28:29], v[30:31]
	v_add_f64 v[11:12], v[11:12], v[24:25]
	v_add_f64 v[13:14], v[13:14], v[26:27]
	s_or_b64 exec, exec, s[12:13]
	v_cmp_gt_u32_e64 s[8:9], 8, v18
	s_and_saveexec_b64 s[12:13], s[8:9]
	s_cbranch_execz .LBB174_451
.LBB174_574:
	ds_read_b128 v[23:26], v23 offset:2144
	ds_read_b128 v[27:30], v22 offset:3072
	s_waitcnt lgkmcnt(0)
	v_mul_f64 v[31:32], v[25:26], v[29:30]
	v_mul_f64 v[29:30], v[23:24], v[29:30]
	v_fma_f64 v[22:23], v[23:24], v[27:28], -v[31:32]
	v_fma_f64 v[24:25], v[25:26], v[27:28], v[29:30]
	v_add_f64 v[11:12], v[11:12], v[22:23]
	v_add_f64 v[13:14], v[13:14], v[24:25]
	s_or_b64 exec, exec, s[12:13]
	v_cmp_gt_u32_e64 s[8:9], 4, v18
	s_and_saveexec_b64 s[12:13], s[8:9]
	s_cbranch_execnz .LBB174_452
	s_branch .LBB174_453
	.section	.rodata,"a",@progbits
	.p2align	6, 0x0
	.amdhsa_kernel _ZL19rocblas_trsv_deviceILi32ELi16ELb0ELb1ELb1ELb0E19rocblas_complex_numIdEPKS1_PKS3_PKPS1_EviT7_lllT6_T8_lllPii
		.amdhsa_group_segment_fixed_size 25104
		.amdhsa_private_segment_fixed_size 0
		.amdhsa_kernarg_size 352
		.amdhsa_user_sgpr_count 6
		.amdhsa_user_sgpr_private_segment_buffer 1
		.amdhsa_user_sgpr_dispatch_ptr 0
		.amdhsa_user_sgpr_queue_ptr 0
		.amdhsa_user_sgpr_kernarg_segment_ptr 1
		.amdhsa_user_sgpr_dispatch_id 0
		.amdhsa_user_sgpr_flat_scratch_init 0
		.amdhsa_user_sgpr_private_segment_size 0
		.amdhsa_uses_dynamic_stack 0
		.amdhsa_system_sgpr_private_segment_wavefront_offset 0
		.amdhsa_system_sgpr_workgroup_id_x 1
		.amdhsa_system_sgpr_workgroup_id_y 0
		.amdhsa_system_sgpr_workgroup_id_z 1
		.amdhsa_system_sgpr_workgroup_info 0
		.amdhsa_system_vgpr_workitem_id 1
		.amdhsa_next_free_vgpr 49
		.amdhsa_next_free_sgpr 98
		.amdhsa_reserve_vcc 1
		.amdhsa_reserve_flat_scratch 0
		.amdhsa_float_round_mode_32 0
		.amdhsa_float_round_mode_16_64 0
		.amdhsa_float_denorm_mode_32 3
		.amdhsa_float_denorm_mode_16_64 3
		.amdhsa_dx10_clamp 1
		.amdhsa_ieee_mode 1
		.amdhsa_fp16_overflow 0
		.amdhsa_exception_fp_ieee_invalid_op 0
		.amdhsa_exception_fp_denorm_src 0
		.amdhsa_exception_fp_ieee_div_zero 0
		.amdhsa_exception_fp_ieee_overflow 0
		.amdhsa_exception_fp_ieee_underflow 0
		.amdhsa_exception_fp_ieee_inexact 0
		.amdhsa_exception_int_div_zero 0
	.end_amdhsa_kernel
	.section	.text._ZL19rocblas_trsv_deviceILi32ELi16ELb0ELb1ELb1ELb0E19rocblas_complex_numIdEPKS1_PKS3_PKPS1_EviT7_lllT6_T8_lllPii,"axG",@progbits,_ZL19rocblas_trsv_deviceILi32ELi16ELb0ELb1ELb1ELb0E19rocblas_complex_numIdEPKS1_PKS3_PKPS1_EviT7_lllT6_T8_lllPii,comdat
.Lfunc_end174:
	.size	_ZL19rocblas_trsv_deviceILi32ELi16ELb0ELb1ELb1ELb0E19rocblas_complex_numIdEPKS1_PKS3_PKPS1_EviT7_lllT6_T8_lllPii, .Lfunc_end174-_ZL19rocblas_trsv_deviceILi32ELi16ELb0ELb1ELb1ELb0E19rocblas_complex_numIdEPKS1_PKS3_PKPS1_EviT7_lllT6_T8_lllPii
                                        ; -- End function
	.set _ZL19rocblas_trsv_deviceILi32ELi16ELb0ELb1ELb1ELb0E19rocblas_complex_numIdEPKS1_PKS3_PKPS1_EviT7_lllT6_T8_lllPii.num_vgpr, 40
	.set _ZL19rocblas_trsv_deviceILi32ELi16ELb0ELb1ELb1ELb0E19rocblas_complex_numIdEPKS1_PKS3_PKPS1_EviT7_lllT6_T8_lllPii.num_agpr, 0
	.set _ZL19rocblas_trsv_deviceILi32ELi16ELb0ELb1ELb1ELb0E19rocblas_complex_numIdEPKS1_PKS3_PKPS1_EviT7_lllT6_T8_lllPii.numbered_sgpr, 96
	.set _ZL19rocblas_trsv_deviceILi32ELi16ELb0ELb1ELb1ELb0E19rocblas_complex_numIdEPKS1_PKS3_PKPS1_EviT7_lllT6_T8_lllPii.num_named_barrier, 0
	.set _ZL19rocblas_trsv_deviceILi32ELi16ELb0ELb1ELb1ELb0E19rocblas_complex_numIdEPKS1_PKS3_PKPS1_EviT7_lllT6_T8_lllPii.private_seg_size, 0
	.set _ZL19rocblas_trsv_deviceILi32ELi16ELb0ELb1ELb1ELb0E19rocblas_complex_numIdEPKS1_PKS3_PKPS1_EviT7_lllT6_T8_lllPii.uses_vcc, 1
	.set _ZL19rocblas_trsv_deviceILi32ELi16ELb0ELb1ELb1ELb0E19rocblas_complex_numIdEPKS1_PKS3_PKPS1_EviT7_lllT6_T8_lllPii.uses_flat_scratch, 0
	.set _ZL19rocblas_trsv_deviceILi32ELi16ELb0ELb1ELb1ELb0E19rocblas_complex_numIdEPKS1_PKS3_PKPS1_EviT7_lllT6_T8_lllPii.has_dyn_sized_stack, 0
	.set _ZL19rocblas_trsv_deviceILi32ELi16ELb0ELb1ELb1ELb0E19rocblas_complex_numIdEPKS1_PKS3_PKPS1_EviT7_lllT6_T8_lllPii.has_recursion, 0
	.set _ZL19rocblas_trsv_deviceILi32ELi16ELb0ELb1ELb1ELb0E19rocblas_complex_numIdEPKS1_PKS3_PKPS1_EviT7_lllT6_T8_lllPii.has_indirect_call, 0
	.section	.AMDGPU.csdata,"",@progbits
; Kernel info:
; codeLenInByte = 28900
; TotalNumSgprs: 100
; NumVgprs: 40
; ScratchSize: 0
; MemoryBound: 1
; FloatMode: 240
; IeeeMode: 1
; LDSByteSize: 25104 bytes/workgroup (compile time only)
; SGPRBlocks: 12
; VGPRBlocks: 12
; NumSGPRsForWavesPerEU: 102
; NumVGPRsForWavesPerEU: 49
; Occupancy: 4
; WaveLimiterHint : 1
; COMPUTE_PGM_RSRC2:SCRATCH_EN: 0
; COMPUTE_PGM_RSRC2:USER_SGPR: 6
; COMPUTE_PGM_RSRC2:TRAP_HANDLER: 0
; COMPUTE_PGM_RSRC2:TGID_X_EN: 1
; COMPUTE_PGM_RSRC2:TGID_Y_EN: 0
; COMPUTE_PGM_RSRC2:TGID_Z_EN: 1
; COMPUTE_PGM_RSRC2:TIDIG_COMP_CNT: 1
	.section	.text._ZL19rocblas_trsv_deviceILi32ELi16ELb1ELb0ELb0ELb1E19rocblas_complex_numIdEPKS1_PKS3_PKPS1_EviT7_lllT6_T8_lllPii,"axG",@progbits,_ZL19rocblas_trsv_deviceILi32ELi16ELb1ELb0ELb0ELb1E19rocblas_complex_numIdEPKS1_PKS3_PKPS1_EviT7_lllT6_T8_lllPii,comdat
	.globl	_ZL19rocblas_trsv_deviceILi32ELi16ELb1ELb0ELb0ELb1E19rocblas_complex_numIdEPKS1_PKS3_PKPS1_EviT7_lllT6_T8_lllPii ; -- Begin function _ZL19rocblas_trsv_deviceILi32ELi16ELb1ELb0ELb0ELb1E19rocblas_complex_numIdEPKS1_PKS3_PKPS1_EviT7_lllT6_T8_lllPii
	.p2align	8
	.type	_ZL19rocblas_trsv_deviceILi32ELi16ELb1ELb0ELb0ELb1E19rocblas_complex_numIdEPKS1_PKS3_PKPS1_EviT7_lllT6_T8_lllPii,@function
_ZL19rocblas_trsv_deviceILi32ELi16ELb1ELb0ELb0ELb1E19rocblas_complex_numIdEPKS1_PKS3_PKPS1_EviT7_lllT6_T8_lllPii: ; @_ZL19rocblas_trsv_deviceILi32ELi16ELb1ELb0ELb0ELb1E19rocblas_complex_numIdEPKS1_PKS3_PKPS1_EviT7_lllT6_T8_lllPii
; %bb.0:
	s_load_dwordx4 s[0:3], s[4:5], 0x8
	s_mov_b32 s24, s7
	s_mov_b32 s25, 0
	s_lshl_b64 s[8:9], s[24:25], 3
	s_waitcnt lgkmcnt(0)
	s_add_u32 s0, s0, s8
	s_addc_u32 s1, s1, s9
	s_load_dwordx2 s[10:11], s[0:1], 0x0
	s_load_dword s33, s[4:5], 0x0
	s_load_dwordx8 s[12:19], s[4:5], 0x28
	s_load_dwordx2 s[26:27], s[4:5], 0x18
	s_lshl_b64 s[0:1], s[2:3], 4
	s_waitcnt lgkmcnt(0)
	s_add_u32 s84, s10, s0
	s_addc_u32 s85, s11, s1
	s_add_u32 s0, s14, s8
	s_addc_u32 s1, s15, s9
	s_load_dwordx2 s[30:31], s[0:1], 0x0
	s_load_dwordx4 s[20:23], s[12:13], 0x0
	s_load_dword s86, s[4:5], 0x6c
	s_cmp_eq_u32 s6, 0
	s_cbranch_scc1 .LBB175_6
; %bb.1:
	s_lshl_b32 s2, s6, 5
	v_add_u32_e32 v2, s2, v1
	v_subrev_u32_e32 v6, 32, v2
	v_ashrrev_i32_e32 v2, 31, v6
	v_mul_lo_u32 v7, s26, v2
	v_mul_lo_u32 v8, s27, v6
	v_mad_u64_u32 v[2:3], s[0:1], s26, v6, 0
	v_add_u32_e32 v4, s2, v0
	v_ashrrev_i32_e32 v5, 31, v4
	v_add3_u32 v3, v3, v7, v8
	v_lshlrev_b64 v[2:3], 4, v[2:3]
	v_mov_b32_e32 v7, s85
	v_add_co_u32_e64 v8, s[0:1], s84, v2
	v_addc_co_u32_e64 v7, s[0:1], v7, v3, s[0:1]
	v_lshlrev_b64 v[2:3], 4, v[4:5]
	v_cmp_gt_i32_e32 vcc, s33, v4
	v_add_co_u32_e64 v10, s[0:1], v8, v2
	v_addc_co_u32_e64 v11, s[0:1], v7, v3, s[0:1]
	v_cmp_gt_i32_e64 s[0:1], s33, v6
	v_mov_b32_e32 v8, 0
	v_mov_b32_e32 v2, 0
	;; [unrolled: 1-line block ×6, first 2 shown]
	s_and_b64 s[2:3], vcc, s[0:1]
	s_waitcnt lgkmcnt(0)
	s_barrier
	s_and_saveexec_b64 s[0:1], s[2:3]
	s_cbranch_execz .LBB175_3
; %bb.2:
	flat_load_dwordx4 v[2:5], v[10:11]
.LBB175_3:
	s_or_b64 exec, exec, s[0:1]
	v_add_u32_e32 v6, 16, v6
	v_cmp_gt_i32_e64 s[0:1], s33, v6
	v_mov_b32_e32 v6, 0
	v_mov_b32_e32 v7, 0
	s_and_b64 s[2:3], vcc, s[0:1]
	s_waitcnt vmcnt(0) lgkmcnt(0)
	s_barrier
	s_and_saveexec_b64 s[0:1], s[2:3]
	s_cbranch_execz .LBB175_5
; %bb.4:
	s_lshl_b64 s[2:3], s[26:27], 8
	v_mov_b32_e32 v7, s3
	v_add_co_u32_e32 v6, vcc, s2, v10
	v_addc_co_u32_e32 v7, vcc, v11, v7, vcc
	flat_load_dwordx4 v[6:9], v[6:7]
.LBB175_5:
	s_or_b64 exec, exec, s[0:1]
	s_branch .LBB175_7
.LBB175_6:
                                        ; implicit-def: $vgpr8_vgpr9
                                        ; implicit-def: $vgpr4_vgpr5
.LBB175_7:
	s_ashr_i32 s0, s33, 31
	s_lshr_b32 s0, s0, 27
	s_add_i32 s0, s33, s0
	s_andn2_b32 s0, s0, 31
	s_sub_i32 s7, s33, s0
	s_add_i32 s0, s33, -1
	s_ashr_i32 s1, s0, 31
	s_lshr_b32 s1, s1, 27
	s_add_i32 s0, s0, s1
	s_ashr_i32 s0, s0, 5
	s_cmp_eq_u32 s0, s6
	s_cselect_b64 s[0:1], -1, 0
	s_cmp_lg_u32 s7, 0
	s_cselect_b64 s[2:3], -1, 0
	s_and_b64 s[28:29], s[2:3], s[0:1]
	s_mov_b64 s[2:3], -1
	s_and_b64 vcc, exec, s[28:29]
	v_cmp_le_u32_e64 s[0:1], v0, v1
	v_lshlrev_b32_e32 v21, 4, v0
	v_lshl_add_u32 v22, v1, 5, v0
	s_cbranch_vccnz .LBB175_21
; %bb.8:
	s_add_u32 s2, s26, 1
	s_addc_u32 s3, s27, 0
	s_lshl_b32 s8, s6, 5
	s_ashr_i32 s9, s8, 31
	s_mul_hi_u32 s10, s2, s8
	s_mul_i32 s9, s2, s9
	s_add_i32 s9, s10, s9
	s_mul_i32 s3, s3, s8
	s_add_i32 s3, s9, s3
	s_mul_i32 s2, s2, s8
	s_lshl_b64 s[2:3], s[2:3], 4
	s_add_u32 s2, s84, s2
	s_addc_u32 s3, s85, s3
	v_lshlrev_b32_e32 v10, 4, v0
	v_mov_b32_e32 v11, s3
	v_add_co_u32_e32 v10, vcc, s2, v10
	v_addc_co_u32_e32 v11, vcc, 0, v11, vcc
	s_and_saveexec_b64 s[2:3], s[0:1]
	s_xor_b64 s[0:1], exec, s[2:3]
	s_cbranch_execz .LBB175_12
; %bb.9:
	v_or_b32_e32 v12, v1, v0
	v_cmp_gt_u32_e32 vcc, 32, v12
	s_and_saveexec_b64 s[2:3], vcc
	s_cbranch_execz .LBB175_11
; %bb.10:
	v_mov_b32_e32 v12, 0
	v_lshlrev_b32_e32 v16, 4, v22
	v_mov_b32_e32 v13, v12
	v_mov_b32_e32 v14, v12
	;; [unrolled: 1-line block ×3, first 2 shown]
	ds_write_b128 v16, v[12:15]
.LBB175_11:
	s_or_b64 exec, exec, s[2:3]
.LBB175_12:
	s_andn2_saveexec_b64 s[0:1], s[0:1]
	s_cbranch_execz .LBB175_14
; %bb.13:
	v_mad_u64_u32 v[12:13], s[2:3], s26, v1, 0
	v_lshlrev_b32_e32 v16, 4, v22
	v_mad_u64_u32 v[13:14], s[2:3], s27, v1, v[13:14]
	v_lshlrev_b64 v[12:13], 4, v[12:13]
	v_add_co_u32_e32 v12, vcc, v10, v12
	v_addc_co_u32_e32 v13, vcc, v11, v13, vcc
	flat_load_dwordx4 v[12:15], v[12:13]
	s_waitcnt vmcnt(0) lgkmcnt(0)
	v_xor_b32_e32 v13, 0x80000000, v13
	v_xor_b32_e32 v15, 0x80000000, v15
	ds_write_b128 v16, v[12:15]
.LBB175_14:
	s_or_b64 exec, exec, s[0:1]
	v_add_u32_e32 v13, 16, v1
	v_lshl_add_u32 v12, v13, 5, v0
	v_cmp_le_u32_e32 vcc, v0, v13
	s_and_saveexec_b64 s[0:1], vcc
	s_xor_b64 s[0:1], exec, s[0:1]
	s_cbranch_execz .LBB175_18
; %bb.15:
	v_or_b32_e32 v10, v13, v0
	v_cmp_gt_u32_e32 vcc, 32, v10
	s_and_saveexec_b64 s[2:3], vcc
	s_cbranch_execz .LBB175_17
; %bb.16:
	v_mov_b32_e32 v10, 0
	v_lshlrev_b32_e32 v14, 4, v12
	v_mov_b32_e32 v11, v10
	v_mov_b32_e32 v12, v10
	;; [unrolled: 1-line block ×3, first 2 shown]
	ds_write_b128 v14, v[10:13]
.LBB175_17:
	s_or_b64 exec, exec, s[2:3]
                                        ; implicit-def: $vgpr13
                                        ; implicit-def: $vgpr10
                                        ; implicit-def: $vgpr11
                                        ; implicit-def: $vgpr12
.LBB175_18:
	s_andn2_saveexec_b64 s[0:1], s[0:1]
	s_cbranch_execz .LBB175_20
; %bb.19:
	v_mad_u64_u32 v[14:15], s[2:3], s26, v13, 0
	v_mad_u64_u32 v[15:16], s[2:3], s27, v13, v[15:16]
	v_lshlrev_b64 v[13:14], 4, v[14:15]
	v_add_co_u32_e32 v10, vcc, v10, v13
	v_addc_co_u32_e32 v11, vcc, v11, v14, vcc
	flat_load_dwordx4 v[13:16], v[10:11]
	v_lshlrev_b32_e32 v10, 4, v12
	s_waitcnt vmcnt(0) lgkmcnt(0)
	v_xor_b32_e32 v14, 0x80000000, v14
	v_xor_b32_e32 v16, 0x80000000, v16
	ds_write_b128 v10, v[13:16]
.LBB175_20:
	s_or_b64 exec, exec, s[0:1]
	s_mov_b64 s[2:3], 0
.LBB175_21:
	s_and_b64 vcc, exec, s[2:3]
	s_cbranch_vccz .LBB175_35
; %bb.22:
	s_add_u32 s0, s26, 1
	s_addc_u32 s1, s27, 0
	s_lshl_b32 s2, s6, 5
	s_ashr_i32 s3, s2, 31
	s_mul_hi_u32 s8, s0, s2
	s_mul_i32 s3, s0, s3
	s_add_i32 s3, s8, s3
	s_mul_i32 s1, s1, s2
	s_add_i32 s1, s3, s1
	s_mul_i32 s0, s0, s2
	s_lshl_b64 s[0:1], s[0:1], 4
	s_add_u32 s0, s84, s0
	s_addc_u32 s1, s85, s1
	v_lshlrev_b32_e32 v10, 4, v0
	v_mov_b32_e32 v11, s1
	v_add_co_u32_e64 v10, s[0:1], s0, v10
	v_addc_co_u32_e64 v11, s[0:1], 0, v11, s[0:1]
	v_max_i32_e32 v12, v1, v0
	v_cmp_le_u32_e64 s[0:1], v0, v1
	v_cmp_le_i32_e64 s[2:3], s7, v12
	v_cmp_gt_i32_e32 vcc, s7, v0
	s_or_b64 s[0:1], s[2:3], s[0:1]
	s_and_saveexec_b64 s[2:3], s[0:1]
	s_xor_b64 s[2:3], exec, s[2:3]
	s_cbranch_execz .LBB175_26
; %bb.23:
	v_or_b32_e32 v12, v1, v0
	v_cmp_gt_u32_e64 s[0:1], 32, v12
	s_and_saveexec_b64 s[8:9], s[0:1]
	s_cbranch_execz .LBB175_25
; %bb.24:
	v_mov_b32_e32 v12, 0
	v_lshlrev_b32_e32 v16, 4, v22
	v_mov_b32_e32 v13, v12
	v_mov_b32_e32 v14, v12
	;; [unrolled: 1-line block ×3, first 2 shown]
	ds_write_b128 v16, v[12:15]
.LBB175_25:
	s_or_b64 exec, exec, s[8:9]
.LBB175_26:
	s_andn2_saveexec_b64 s[2:3], s[2:3]
	s_cbranch_execz .LBB175_28
; %bb.27:
	v_mad_u64_u32 v[12:13], s[0:1], s26, v1, 0
	v_lshlrev_b32_e32 v16, 4, v22
	v_mad_u64_u32 v[13:14], s[0:1], s27, v1, v[13:14]
	v_lshlrev_b64 v[12:13], 4, v[12:13]
	v_add_co_u32_e64 v12, s[0:1], v10, v12
	v_addc_co_u32_e64 v13, s[0:1], v11, v13, s[0:1]
	flat_load_dwordx4 v[12:15], v[12:13]
	s_waitcnt vmcnt(0) lgkmcnt(0)
	v_xor_b32_e32 v13, 0x80000000, v13
	v_xor_b32_e32 v15, 0x80000000, v15
	ds_write_b128 v16, v[12:15]
.LBB175_28:
	s_or_b64 exec, exec, s[2:3]
	v_add_u32_e32 v13, 16, v1
	v_cmp_gt_u32_e64 s[0:1], v0, v13
	v_cmp_gt_i32_e64 s[2:3], s7, v13
	s_and_b64 s[0:1], s[0:1], s[2:3]
	s_and_b64 s[0:1], s[0:1], vcc
	v_lshl_add_u32 v12, v13, 5, v0
	s_xor_b64 s[0:1], s[0:1], -1
	s_and_saveexec_b64 s[2:3], s[0:1]
	s_xor_b64 s[0:1], exec, s[2:3]
	s_cbranch_execz .LBB175_32
; %bb.29:
	v_or_b32_e32 v10, v13, v0
	v_cmp_gt_u32_e32 vcc, 32, v10
	s_and_saveexec_b64 s[2:3], vcc
	s_cbranch_execz .LBB175_31
; %bb.30:
	v_mov_b32_e32 v10, 0
	v_lshlrev_b32_e32 v14, 4, v12
	v_mov_b32_e32 v11, v10
	v_mov_b32_e32 v12, v10
	;; [unrolled: 1-line block ×3, first 2 shown]
	ds_write_b128 v14, v[10:13]
.LBB175_31:
	s_or_b64 exec, exec, s[2:3]
                                        ; implicit-def: $vgpr13
                                        ; implicit-def: $vgpr10
                                        ; implicit-def: $vgpr11
                                        ; implicit-def: $vgpr12
.LBB175_32:
	s_andn2_saveexec_b64 s[0:1], s[0:1]
	s_cbranch_execz .LBB175_34
; %bb.33:
	v_mad_u64_u32 v[14:15], s[2:3], s26, v13, 0
	v_mad_u64_u32 v[15:16], s[2:3], s27, v13, v[15:16]
	v_lshlrev_b64 v[13:14], 4, v[14:15]
	v_add_co_u32_e32 v10, vcc, v10, v13
	v_addc_co_u32_e32 v11, vcc, v11, v14, vcc
	flat_load_dwordx4 v[13:16], v[10:11]
	v_lshlrev_b32_e32 v10, 4, v12
	s_waitcnt vmcnt(0) lgkmcnt(0)
	v_xor_b32_e32 v14, 0x80000000, v14
	v_xor_b32_e32 v16, 0x80000000, v16
	ds_write_b128 v10, v[13:16]
.LBB175_34:
	s_or_b64 exec, exec, s[0:1]
.LBB175_35:
	s_cmp_lt_i32 s6, 5
	s_cselect_b64 s[0:1], -1, 0
	s_or_b64 s[34:35], s[0:1], s[28:29]
	s_and_b64 vcc, exec, s[34:35]
	s_waitcnt vmcnt(0) lgkmcnt(0)
	s_barrier
	s_cbranch_vccnz .LBB175_429
; %bb.36:
	v_or_b32_e32 v10, v0, v1
	s_mov_b32 s0, 0
	v_cmp_eq_u32_e32 vcc, 0, v10
	s_and_saveexec_b64 s[8:9], vcc
	s_cbranch_execz .LBB175_38
; %bb.37:
	s_mov_b32 s3, s0
	s_mov_b32 s1, 0x3ff00000
	;; [unrolled: 1-line block ×3, first 2 shown]
	v_mov_b32_e32 v13, s3
	v_mov_b32_e32 v14, 0
	;; [unrolled: 1-line block ×5, first 2 shown]
	ds_write_b128 v14, v[10:13]
	ds_write_b128 v14, v[10:13] offset:528
.LBB175_38:
	s_or_b64 exec, exec, s[8:9]
	v_and_b32_e32 v17, 1, v0
	v_lshrrev_b32_e32 v16, 1, v22
	v_lshlrev_b32_e32 v14, 4, v17
	v_mov_b32_e32 v12, 0
	v_mov_b32_e32 v10, 0
	v_cmp_lt_u32_e64 s[2:3], 3, v22
	v_cmp_gt_u32_e64 s[0:1], 4, v22
	v_mov_b32_e32 v13, 0
	v_mov_b32_e32 v11, 0
	v_lshl_or_b32 v14, v16, 9, v14
	s_waitcnt lgkmcnt(0)
	s_barrier
	s_and_saveexec_b64 s[10:11], s[0:1]
	s_cbranch_execz .LBB175_42
; %bb.39:
	v_mul_u32_u24_e32 v10, 0x210, v16
	ds_read_b128 v[10:13], v10
	ds_read_b128 v[23:26], v14 offset:32
	v_cmp_gt_u32_e64 s[8:9], 2, v22
	s_waitcnt lgkmcnt(0)
	v_mul_f64 v[18:19], v[12:13], v[25:26]
	v_mul_f64 v[25:26], v[10:11], v[25:26]
	v_fma_f64 v[10:11], v[10:11], v[23:24], -v[18:19]
	v_fma_f64 v[12:13], v[12:13], v[23:24], v[25:26]
	v_add_f64 v[10:11], v[10:11], 0
	v_add_f64 v[12:13], v[12:13], 0
	s_and_saveexec_b64 s[12:13], s[8:9]
	s_cbranch_execz .LBB175_41
; %bb.40:
	v_mov_b32_e32 v18, 0
	v_lshlrev_b32_e32 v15, 4, v0
	ds_read_b128 v[23:26], v18 offset:16
	ds_read_b128 v[27:30], v15 offset:544
	s_waitcnt lgkmcnt(0)
	v_mul_f64 v[18:19], v[25:26], v[29:30]
	v_mul_f64 v[29:30], v[23:24], v[29:30]
	v_fma_f64 v[18:19], v[23:24], v[27:28], -v[18:19]
	v_fma_f64 v[23:24], v[25:26], v[27:28], v[29:30]
	v_add_f64 v[10:11], v[10:11], v[18:19]
	v_add_f64 v[12:13], v[12:13], v[23:24]
.LBB175_41:
	s_or_b64 exec, exec, s[12:13]
	v_xor_b32_e32 v11, 0x80000000, v11
	v_xor_b32_e32 v13, 0x80000000, v13
.LBB175_42:
	s_or_b64 exec, exec, s[10:11]
	v_mov_b32_e32 v15, 0x4000
	v_cmp_eq_u32_e64 s[8:9], 0, v17
	s_xor_b64 s[10:11], s[2:3], -1
	v_lshl_add_u32 v15, v16, 4, v15
	s_and_b64 s[38:39], s[8:9], s[10:11]
	s_and_saveexec_b64 s[2:3], s[38:39]
; %bb.43:
	ds_write_b128 v15, v[10:13]
; %bb.44:
	s_or_b64 exec, exec, s[2:3]
	v_cmp_ne_u32_e64 s[2:3], 0, v17
	s_and_b64 s[36:37], s[2:3], s[10:11]
	s_waitcnt lgkmcnt(0)
	s_barrier
	s_and_saveexec_b64 s[2:3], s[36:37]
	s_cbranch_execz .LBB175_46
; %bb.45:
	v_mov_b32_e32 v23, 0
	ds_read_b128 v[17:20], v15
	ds_read_b128 v[23:26], v23 offset:1072
	s_waitcnt lgkmcnt(0)
	v_mul_f64 v[27:28], v[19:20], v[25:26]
	v_mul_f64 v[25:26], v[17:18], v[25:26]
	v_fma_f64 v[17:18], v[17:18], v[23:24], -v[27:28]
	v_fma_f64 v[19:20], v[19:20], v[23:24], v[25:26]
	v_add_f64 v[10:11], v[10:11], v[17:18]
	v_add_f64 v[12:13], v[12:13], v[19:20]
.LBB175_46:
	s_or_b64 exec, exec, s[2:3]
	s_barrier
	s_and_saveexec_b64 s[2:3], s[36:37]
; %bb.47:
	ds_write_b128 v15, v[10:13]
; %bb.48:
	s_or_b64 exec, exec, s[2:3]
	s_waitcnt lgkmcnt(0)
	s_barrier
	s_barrier
	s_and_saveexec_b64 s[2:3], s[0:1]
; %bb.49:
	v_xor_b32_e32 v11, 0x80000000, v11
	v_xor_b32_e32 v13, 0x80000000, v13
	ds_write_b128 v14, v[10:13] offset:32
; %bb.50:
	s_or_b64 exec, exec, s[2:3]
	s_waitcnt lgkmcnt(0)
	s_barrier
	s_barrier
	s_and_saveexec_b64 s[2:3], vcc
	s_cbranch_execz .LBB175_52
; %bb.51:
	s_mov_b32 s8, 0
	s_mov_b32 s11, s8
	;; [unrolled: 1-line block ×4, first 2 shown]
	v_mov_b32_e32 v13, s11
	v_mov_b32_e32 v17, 0
	;; [unrolled: 1-line block ×5, first 2 shown]
	ds_write_b128 v17, v[10:13] offset:1056
	ds_write_b128 v17, v[10:13] offset:1584
.LBB175_52:
	s_or_b64 exec, exec, s[2:3]
	v_and_b32_e32 v20, 3, v0
	v_lshrrev_b32_e32 v23, 2, v22
	v_lshlrev_b32_e32 v18, 4, v20
	v_mov_b32_e32 v12, 0
	v_mov_b32_e32 v10, 0
	v_cmp_lt_u32_e64 s[8:9], 15, v22
	v_cmp_gt_u32_e64 s[2:3], 16, v22
	v_mov_b32_e32 v13, 0
	v_mov_b32_e32 v11, 0
	v_lshl_or_b32 v17, v23, 9, v18
	s_waitcnt lgkmcnt(0)
	s_barrier
	s_and_saveexec_b64 s[12:13], s[2:3]
	s_cbranch_execz .LBB175_58
; %bb.53:
	v_mul_u32_u24_e32 v19, 0x210, v23
	ds_read_b128 v[10:13], v19
	ds_read_b128 v[24:27], v17 offset:64
	v_cmp_gt_u32_e64 s[10:11], 12, v22
	s_waitcnt lgkmcnt(0)
	v_mul_f64 v[28:29], v[12:13], v[26:27]
	v_mul_f64 v[26:27], v[10:11], v[26:27]
	v_fma_f64 v[10:11], v[10:11], v[24:25], -v[28:29]
	v_fma_f64 v[12:13], v[12:13], v[24:25], v[26:27]
	v_add_f64 v[10:11], v[10:11], 0
	v_add_f64 v[12:13], v[12:13], 0
	s_and_saveexec_b64 s[14:15], s[10:11]
	s_cbranch_execnz .LBB175_489
; %bb.54:
	s_or_b64 exec, exec, s[14:15]
	v_cmp_gt_u32_e64 s[10:11], 8, v22
	s_and_saveexec_b64 s[14:15], s[10:11]
	s_cbranch_execnz .LBB175_490
.LBB175_55:
	s_or_b64 exec, exec, s[14:15]
	v_cmp_gt_u32_e64 s[10:11], 4, v22
	s_and_saveexec_b64 s[14:15], s[10:11]
	s_cbranch_execz .LBB175_57
.LBB175_56:
	v_mov_b32_e32 v24, 0
	v_lshlrev_b32_e32 v19, 4, v0
	ds_read_b128 v[24:27], v24 offset:48
	ds_read_b128 v[28:31], v19 offset:1600
	s_waitcnt lgkmcnt(0)
	v_mul_f64 v[32:33], v[26:27], v[30:31]
	v_mul_f64 v[30:31], v[24:25], v[30:31]
	v_fma_f64 v[24:25], v[24:25], v[28:29], -v[32:33]
	v_fma_f64 v[26:27], v[26:27], v[28:29], v[30:31]
	v_add_f64 v[10:11], v[10:11], v[24:25]
	v_add_f64 v[12:13], v[12:13], v[26:27]
.LBB175_57:
	s_or_b64 exec, exec, s[14:15]
	v_xor_b32_e32 v11, 0x80000000, v11
	v_xor_b32_e32 v13, 0x80000000, v13
.LBB175_58:
	s_or_b64 exec, exec, s[12:13]
	v_mov_b32_e32 v19, 0x4000
	v_cmp_eq_u32_e64 s[10:11], 0, v20
	s_xor_b64 s[12:13], s[8:9], -1
	v_lshl_add_u32 v19, v23, 4, v19
	s_and_b64 s[42:43], s[10:11], s[12:13]
	s_and_saveexec_b64 s[8:9], s[42:43]
; %bb.59:
	ds_write_b128 v19, v[10:13]
; %bb.60:
	s_or_b64 exec, exec, s[8:9]
	v_cmp_ne_u32_e64 s[8:9], 0, v20
	s_and_b64 s[44:45], s[8:9], s[12:13]
	s_waitcnt lgkmcnt(0)
	s_barrier
	s_and_saveexec_b64 s[8:9], s[44:45]
	s_cbranch_execz .LBB175_62
; %bb.61:
	ds_read_b128 v[24:27], v19
	ds_read_b128 v[28:31], v18 offset:2112
	s_waitcnt lgkmcnt(0)
	v_mul_f64 v[32:33], v[26:27], v[30:31]
	v_mul_f64 v[30:31], v[24:25], v[30:31]
	v_fma_f64 v[24:25], v[24:25], v[28:29], -v[32:33]
	v_fma_f64 v[26:27], v[26:27], v[28:29], v[30:31]
	v_add_f64 v[10:11], v[10:11], v[24:25]
	v_add_f64 v[12:13], v[12:13], v[26:27]
.LBB175_62:
	s_or_b64 exec, exec, s[8:9]
	v_cmp_eq_u32_e64 s[8:9], 1, v20
	s_and_b64 s[46:47], s[8:9], s[12:13]
	s_barrier
	s_and_saveexec_b64 s[8:9], s[46:47]
; %bb.63:
	ds_write_b128 v19, v[10:13]
; %bb.64:
	s_or_b64 exec, exec, s[8:9]
	v_cmp_lt_u32_e64 s[8:9], 1, v20
	s_and_b64 s[48:49], s[8:9], s[12:13]
	s_waitcnt lgkmcnt(0)
	s_barrier
	s_and_saveexec_b64 s[8:9], s[48:49]
	s_cbranch_execz .LBB175_66
; %bb.65:
	ds_read_b128 v[24:27], v19
	ds_read_b128 v[28:31], v18 offset:2624
	s_waitcnt lgkmcnt(0)
	v_mul_f64 v[32:33], v[26:27], v[30:31]
	v_mul_f64 v[30:31], v[24:25], v[30:31]
	v_fma_f64 v[24:25], v[24:25], v[28:29], -v[32:33]
	v_fma_f64 v[26:27], v[26:27], v[28:29], v[30:31]
	v_add_f64 v[10:11], v[10:11], v[24:25]
	v_add_f64 v[12:13], v[12:13], v[26:27]
.LBB175_66:
	s_or_b64 exec, exec, s[8:9]
	v_cmp_eq_u32_e64 s[8:9], 2, v20
	s_and_b64 s[50:51], s[8:9], s[12:13]
	s_barrier
	s_and_saveexec_b64 s[8:9], s[50:51]
; %bb.67:
	ds_write_b128 v19, v[10:13]
; %bb.68:
	s_or_b64 exec, exec, s[8:9]
	v_cmp_eq_u32_e64 s[8:9], 3, v20
	s_and_b64 s[40:41], s[8:9], s[12:13]
	s_waitcnt lgkmcnt(0)
	s_barrier
	s_and_saveexec_b64 s[8:9], s[40:41]
	s_cbranch_execz .LBB175_70
; %bb.69:
	v_mov_b32_e32 v28, 0
	ds_read_b128 v[24:27], v19
	ds_read_b128 v[28:31], v28 offset:3184
	s_waitcnt lgkmcnt(0)
	v_mul_f64 v[32:33], v[26:27], v[30:31]
	v_mul_f64 v[30:31], v[24:25], v[30:31]
	v_fma_f64 v[24:25], v[24:25], v[28:29], -v[32:33]
	v_fma_f64 v[26:27], v[26:27], v[28:29], v[30:31]
	v_add_f64 v[10:11], v[10:11], v[24:25]
	v_add_f64 v[12:13], v[12:13], v[26:27]
.LBB175_70:
	s_or_b64 exec, exec, s[8:9]
	s_barrier
	s_and_saveexec_b64 s[8:9], s[40:41]
; %bb.71:
	ds_write_b128 v19, v[10:13]
; %bb.72:
	s_or_b64 exec, exec, s[8:9]
	s_waitcnt lgkmcnt(0)
	s_barrier
	s_barrier
	s_and_saveexec_b64 s[8:9], s[2:3]
; %bb.73:
	v_xor_b32_e32 v13, 0x80000000, v13
	v_xor_b32_e32 v11, 0x80000000, v11
	ds_write_b128 v17, v[10:13] offset:64
; %bb.74:
	s_or_b64 exec, exec, s[8:9]
	s_waitcnt lgkmcnt(0)
	s_barrier
	s_barrier
	s_and_saveexec_b64 s[8:9], vcc
	s_cbranch_execz .LBB175_76
; %bb.75:
	s_mov_b32 s12, 0
	s_mov_b32 s13, 0x3ff00000
	;; [unrolled: 1-line block ×4, first 2 shown]
	v_mov_b32_e32 v10, s12
	v_mov_b32_e32 v24, 0
	;; [unrolled: 1-line block ×5, first 2 shown]
	ds_write_b128 v24, v[10:13] offset:2112
	ds_write_b128 v24, v[10:13] offset:2640
.LBB175_76:
	s_or_b64 exec, exec, s[8:9]
	v_mov_b32_e32 v12, 0
	v_mov_b32_e32 v10, 0
	;; [unrolled: 1-line block ×4, first 2 shown]
	s_waitcnt lgkmcnt(0)
	s_barrier
	s_and_saveexec_b64 s[10:11], s[0:1]
	s_cbranch_execz .LBB175_80
; %bb.77:
	v_mul_u32_u24_e32 v10, 0x210, v16
	ds_read_b128 v[10:13], v10 offset:2112
	ds_read_b128 v[24:27], v14 offset:2144
	v_cmp_gt_u32_e64 s[8:9], 2, v22
	s_waitcnt lgkmcnt(0)
	v_mul_f64 v[28:29], v[12:13], v[26:27]
	v_mul_f64 v[26:27], v[10:11], v[26:27]
	v_fma_f64 v[10:11], v[10:11], v[24:25], -v[28:29]
	v_fma_f64 v[12:13], v[12:13], v[24:25], v[26:27]
	v_add_f64 v[10:11], v[10:11], 0
	v_add_f64 v[12:13], v[12:13], 0
	s_and_saveexec_b64 s[12:13], s[8:9]
	s_cbranch_execz .LBB175_79
; %bb.78:
	v_lshlrev_b32_e32 v28, 4, v0
	v_mov_b32_e32 v24, 0
	ds_read_b128 v[24:27], v24 offset:2128
	ds_read_b128 v[28:31], v28 offset:2656
	s_waitcnt lgkmcnt(0)
	v_mul_f64 v[32:33], v[26:27], v[30:31]
	v_mul_f64 v[30:31], v[24:25], v[30:31]
	v_fma_f64 v[24:25], v[24:25], v[28:29], -v[32:33]
	v_fma_f64 v[26:27], v[26:27], v[28:29], v[30:31]
	v_add_f64 v[10:11], v[10:11], v[24:25]
	v_add_f64 v[12:13], v[12:13], v[26:27]
.LBB175_79:
	s_or_b64 exec, exec, s[12:13]
	v_xor_b32_e32 v11, 0x80000000, v11
	v_xor_b32_e32 v13, 0x80000000, v13
.LBB175_80:
	s_or_b64 exec, exec, s[10:11]
	s_and_saveexec_b64 s[8:9], s[38:39]
; %bb.81:
	ds_write_b128 v15, v[10:13]
; %bb.82:
	s_or_b64 exec, exec, s[8:9]
	s_waitcnt lgkmcnt(0)
	s_barrier
	s_and_saveexec_b64 s[8:9], s[36:37]
	s_cbranch_execz .LBB175_84
; %bb.83:
	v_mov_b32_e32 v28, 0
	ds_read_b128 v[24:27], v15
	ds_read_b128 v[28:31], v28 offset:3184
	s_waitcnt lgkmcnt(0)
	v_mul_f64 v[32:33], v[26:27], v[30:31]
	v_mul_f64 v[30:31], v[24:25], v[30:31]
	v_fma_f64 v[24:25], v[24:25], v[28:29], -v[32:33]
	v_fma_f64 v[26:27], v[26:27], v[28:29], v[30:31]
	v_add_f64 v[10:11], v[10:11], v[24:25]
	v_add_f64 v[12:13], v[12:13], v[26:27]
.LBB175_84:
	s_or_b64 exec, exec, s[8:9]
	s_barrier
	s_and_saveexec_b64 s[8:9], s[36:37]
; %bb.85:
	ds_write_b128 v15, v[10:13]
; %bb.86:
	s_or_b64 exec, exec, s[8:9]
	s_waitcnt lgkmcnt(0)
	s_barrier
	s_barrier
	s_and_saveexec_b64 s[8:9], s[0:1]
; %bb.87:
	v_xor_b32_e32 v11, 0x80000000, v11
	v_xor_b32_e32 v13, 0x80000000, v13
	ds_write_b128 v14, v[10:13] offset:2144
; %bb.88:
	s_or_b64 exec, exec, s[8:9]
	s_waitcnt lgkmcnt(0)
	s_barrier
	s_barrier
	s_and_saveexec_b64 s[8:9], vcc
	s_cbranch_execz .LBB175_90
; %bb.89:
	s_mov_b32 s12, 0
	s_mov_b32 s13, 0x3ff00000
	;; [unrolled: 1-line block ×4, first 2 shown]
	v_mov_b32_e32 v10, s12
	v_mov_b32_e32 v24, 0
	;; [unrolled: 1-line block ×5, first 2 shown]
	ds_write_b128 v24, v[10:13] offset:3168
	ds_write_b128 v24, v[10:13] offset:3696
.LBB175_90:
	s_or_b64 exec, exec, s[8:9]
	v_and_b32_e32 v27, 7, v0
	v_lshrrev_b32_e32 v28, 3, v22
	v_lshlrev_b32_e32 v25, 4, v27
	v_mov_b32_e32 v12, 0
	v_mov_b32_e32 v10, 0
	v_cmp_lt_u32_e64 s[8:9], 63, v22
	v_cmp_gt_u32_e64 s[12:13], 64, v22
	v_mov_b32_e32 v13, 0
	v_mov_b32_e32 v11, 0
	v_lshl_or_b32 v24, v28, 9, v25
	s_waitcnt lgkmcnt(0)
	s_barrier
	s_and_saveexec_b64 s[14:15], s[12:13]
	s_cbranch_execz .LBB175_100
; %bb.91:
	v_mul_u32_u24_e32 v26, 0x210, v28
	ds_read_b128 v[10:13], v26
	ds_read_b128 v[29:32], v24 offset:128
	v_cmp_gt_u32_e64 s[10:11], 56, v22
	s_waitcnt lgkmcnt(0)
	v_mul_f64 v[33:34], v[12:13], v[31:32]
	v_mul_f64 v[31:32], v[10:11], v[31:32]
	v_fma_f64 v[10:11], v[10:11], v[29:30], -v[33:34]
	v_fma_f64 v[12:13], v[12:13], v[29:30], v[31:32]
	v_add_f64 v[10:11], v[10:11], 0
	v_add_f64 v[12:13], v[12:13], 0
	s_and_saveexec_b64 s[52:53], s[10:11]
	s_cbranch_execnz .LBB175_491
; %bb.92:
	s_or_b64 exec, exec, s[52:53]
	v_cmp_gt_u32_e64 s[10:11], 48, v22
	s_and_saveexec_b64 s[52:53], s[10:11]
	s_cbranch_execnz .LBB175_492
.LBB175_93:
	s_or_b64 exec, exec, s[52:53]
	v_cmp_gt_u32_e64 s[10:11], 40, v22
	s_and_saveexec_b64 s[52:53], s[10:11]
	s_cbranch_execnz .LBB175_493
.LBB175_94:
	s_or_b64 exec, exec, s[52:53]
	v_cmp_gt_u32_e64 s[10:11], 32, v22
	s_and_saveexec_b64 s[52:53], s[10:11]
	s_cbranch_execnz .LBB175_494
.LBB175_95:
	s_or_b64 exec, exec, s[52:53]
	v_cmp_gt_u32_e64 s[10:11], 24, v22
	s_and_saveexec_b64 s[52:53], s[10:11]
	s_cbranch_execnz .LBB175_495
.LBB175_96:
	s_or_b64 exec, exec, s[52:53]
	v_cmp_gt_u32_e64 s[10:11], 16, v22
	s_and_saveexec_b64 s[52:53], s[10:11]
	s_cbranch_execnz .LBB175_496
.LBB175_97:
	s_or_b64 exec, exec, s[52:53]
	v_cmp_gt_u32_e64 s[10:11], 8, v22
	s_and_saveexec_b64 s[52:53], s[10:11]
	s_cbranch_execz .LBB175_99
.LBB175_98:
	v_mov_b32_e32 v29, 0
	v_lshlrev_b32_e32 v26, 4, v0
	ds_read_b128 v[29:32], v29 offset:112
	ds_read_b128 v[33:36], v26 offset:3712
	s_waitcnt lgkmcnt(0)
	v_mul_f64 v[37:38], v[31:32], v[35:36]
	v_mul_f64 v[35:36], v[29:30], v[35:36]
	v_fma_f64 v[29:30], v[29:30], v[33:34], -v[37:38]
	v_fma_f64 v[31:32], v[31:32], v[33:34], v[35:36]
	v_add_f64 v[10:11], v[10:11], v[29:30]
	v_add_f64 v[12:13], v[12:13], v[31:32]
.LBB175_99:
	s_or_b64 exec, exec, s[52:53]
	v_xor_b32_e32 v11, 0x80000000, v11
	v_xor_b32_e32 v13, 0x80000000, v13
.LBB175_100:
	s_or_b64 exec, exec, s[14:15]
	v_mov_b32_e32 v26, 0x4000
	v_cmp_eq_u32_e64 s[10:11], 0, v27
	s_xor_b64 s[14:15], s[8:9], -1
	v_lshl_add_u32 v26, v28, 4, v26
	s_and_b64 s[54:55], s[10:11], s[14:15]
	s_and_saveexec_b64 s[8:9], s[54:55]
; %bb.101:
	ds_write_b128 v26, v[10:13]
; %bb.102:
	s_or_b64 exec, exec, s[8:9]
	v_cmp_ne_u32_e64 s[8:9], 0, v27
	s_and_b64 s[56:57], s[8:9], s[14:15]
	s_waitcnt lgkmcnt(0)
	s_barrier
	s_and_saveexec_b64 s[8:9], s[56:57]
	s_cbranch_execz .LBB175_104
; %bb.103:
	ds_read_b128 v[29:32], v26
	ds_read_b128 v[33:36], v25 offset:4224
	s_waitcnt lgkmcnt(0)
	v_mul_f64 v[37:38], v[31:32], v[35:36]
	v_mul_f64 v[35:36], v[29:30], v[35:36]
	v_fma_f64 v[29:30], v[29:30], v[33:34], -v[37:38]
	v_fma_f64 v[31:32], v[31:32], v[33:34], v[35:36]
	v_add_f64 v[10:11], v[10:11], v[29:30]
	v_add_f64 v[12:13], v[12:13], v[31:32]
.LBB175_104:
	s_or_b64 exec, exec, s[8:9]
	v_cmp_eq_u32_e64 s[8:9], 1, v27
	s_and_b64 s[58:59], s[8:9], s[14:15]
	s_barrier
	s_and_saveexec_b64 s[8:9], s[58:59]
; %bb.105:
	ds_write_b128 v26, v[10:13]
; %bb.106:
	s_or_b64 exec, exec, s[8:9]
	v_cmp_lt_u32_e64 s[8:9], 1, v27
	s_and_b64 s[60:61], s[8:9], s[14:15]
	s_waitcnt lgkmcnt(0)
	s_barrier
	s_and_saveexec_b64 s[8:9], s[60:61]
	s_cbranch_execz .LBB175_108
; %bb.107:
	ds_read_b128 v[29:32], v26
	ds_read_b128 v[33:36], v25 offset:4736
	s_waitcnt lgkmcnt(0)
	v_mul_f64 v[37:38], v[31:32], v[35:36]
	v_mul_f64 v[35:36], v[29:30], v[35:36]
	v_fma_f64 v[29:30], v[29:30], v[33:34], -v[37:38]
	v_fma_f64 v[31:32], v[31:32], v[33:34], v[35:36]
	v_add_f64 v[10:11], v[10:11], v[29:30]
	v_add_f64 v[12:13], v[12:13], v[31:32]
.LBB175_108:
	s_or_b64 exec, exec, s[8:9]
	v_cmp_eq_u32_e64 s[8:9], 2, v27
	s_and_b64 s[62:63], s[8:9], s[14:15]
	s_barrier
	s_and_saveexec_b64 s[8:9], s[62:63]
; %bb.109:
	ds_write_b128 v26, v[10:13]
; %bb.110:
	s_or_b64 exec, exec, s[8:9]
	v_cmp_lt_u32_e64 s[8:9], 2, v27
	s_and_b64 s[64:65], s[8:9], s[14:15]
	s_waitcnt lgkmcnt(0)
	s_barrier
	s_and_saveexec_b64 s[8:9], s[64:65]
	s_cbranch_execz .LBB175_112
; %bb.111:
	ds_read_b128 v[29:32], v26
	ds_read_b128 v[33:36], v25 offset:5248
	s_waitcnt lgkmcnt(0)
	v_mul_f64 v[37:38], v[31:32], v[35:36]
	v_mul_f64 v[35:36], v[29:30], v[35:36]
	v_fma_f64 v[29:30], v[29:30], v[33:34], -v[37:38]
	v_fma_f64 v[31:32], v[31:32], v[33:34], v[35:36]
	v_add_f64 v[10:11], v[10:11], v[29:30]
	v_add_f64 v[12:13], v[12:13], v[31:32]
.LBB175_112:
	s_or_b64 exec, exec, s[8:9]
	v_cmp_eq_u32_e64 s[8:9], 3, v27
	s_and_b64 s[66:67], s[8:9], s[14:15]
	s_barrier
	s_and_saveexec_b64 s[8:9], s[66:67]
; %bb.113:
	ds_write_b128 v26, v[10:13]
; %bb.114:
	s_or_b64 exec, exec, s[8:9]
	v_cmp_lt_u32_e64 s[8:9], 3, v27
	s_and_b64 s[68:69], s[8:9], s[14:15]
	s_waitcnt lgkmcnt(0)
	s_barrier
	s_and_saveexec_b64 s[8:9], s[68:69]
	s_cbranch_execz .LBB175_116
; %bb.115:
	ds_read_b128 v[29:32], v26
	ds_read_b128 v[33:36], v25 offset:5760
	s_waitcnt lgkmcnt(0)
	v_mul_f64 v[37:38], v[31:32], v[35:36]
	v_mul_f64 v[35:36], v[29:30], v[35:36]
	v_fma_f64 v[29:30], v[29:30], v[33:34], -v[37:38]
	v_fma_f64 v[31:32], v[31:32], v[33:34], v[35:36]
	v_add_f64 v[10:11], v[10:11], v[29:30]
	v_add_f64 v[12:13], v[12:13], v[31:32]
.LBB175_116:
	s_or_b64 exec, exec, s[8:9]
	v_cmp_eq_u32_e64 s[8:9], 4, v27
	s_and_b64 s[70:71], s[8:9], s[14:15]
	s_barrier
	s_and_saveexec_b64 s[8:9], s[70:71]
; %bb.117:
	ds_write_b128 v26, v[10:13]
; %bb.118:
	s_or_b64 exec, exec, s[8:9]
	v_cmp_lt_u32_e64 s[8:9], 4, v27
	s_and_b64 s[72:73], s[8:9], s[14:15]
	s_waitcnt lgkmcnt(0)
	s_barrier
	s_and_saveexec_b64 s[8:9], s[72:73]
	s_cbranch_execz .LBB175_120
; %bb.119:
	ds_read_b128 v[29:32], v26
	ds_read_b128 v[33:36], v25 offset:6272
	s_waitcnt lgkmcnt(0)
	v_mul_f64 v[37:38], v[31:32], v[35:36]
	v_mul_f64 v[35:36], v[29:30], v[35:36]
	v_fma_f64 v[29:30], v[29:30], v[33:34], -v[37:38]
	v_fma_f64 v[31:32], v[31:32], v[33:34], v[35:36]
	v_add_f64 v[10:11], v[10:11], v[29:30]
	v_add_f64 v[12:13], v[12:13], v[31:32]
.LBB175_120:
	s_or_b64 exec, exec, s[8:9]
	v_cmp_eq_u32_e64 s[8:9], 5, v27
	s_and_b64 s[74:75], s[8:9], s[14:15]
	s_barrier
	s_and_saveexec_b64 s[8:9], s[74:75]
; %bb.121:
	ds_write_b128 v26, v[10:13]
; %bb.122:
	s_or_b64 exec, exec, s[8:9]
	v_cmp_lt_u32_e64 s[8:9], 5, v27
	s_and_b64 s[76:77], s[8:9], s[14:15]
	s_waitcnt lgkmcnt(0)
	s_barrier
	s_and_saveexec_b64 s[8:9], s[76:77]
	s_cbranch_execz .LBB175_124
; %bb.123:
	ds_read_b128 v[29:32], v26
	ds_read_b128 v[33:36], v25 offset:6784
	s_waitcnt lgkmcnt(0)
	v_mul_f64 v[37:38], v[31:32], v[35:36]
	v_mul_f64 v[35:36], v[29:30], v[35:36]
	v_fma_f64 v[29:30], v[29:30], v[33:34], -v[37:38]
	v_fma_f64 v[31:32], v[31:32], v[33:34], v[35:36]
	v_add_f64 v[10:11], v[10:11], v[29:30]
	v_add_f64 v[12:13], v[12:13], v[31:32]
.LBB175_124:
	s_or_b64 exec, exec, s[8:9]
	v_cmp_eq_u32_e64 s[8:9], 6, v27
	s_and_b64 s[78:79], s[8:9], s[14:15]
	s_barrier
	s_and_saveexec_b64 s[8:9], s[78:79]
; %bb.125:
	ds_write_b128 v26, v[10:13]
; %bb.126:
	s_or_b64 exec, exec, s[8:9]
	v_cmp_eq_u32_e64 s[8:9], 7, v27
	s_and_b64 s[52:53], s[8:9], s[14:15]
	s_waitcnt lgkmcnt(0)
	s_barrier
	s_and_saveexec_b64 s[8:9], s[52:53]
	s_cbranch_execz .LBB175_128
; %bb.127:
	v_mov_b32_e32 v33, 0
	ds_read_b128 v[29:32], v26
	ds_read_b128 v[33:36], v33 offset:7408
	s_waitcnt lgkmcnt(0)
	v_mul_f64 v[37:38], v[31:32], v[35:36]
	v_mul_f64 v[35:36], v[29:30], v[35:36]
	v_fma_f64 v[29:30], v[29:30], v[33:34], -v[37:38]
	v_fma_f64 v[31:32], v[31:32], v[33:34], v[35:36]
	v_add_f64 v[10:11], v[10:11], v[29:30]
	v_add_f64 v[12:13], v[12:13], v[31:32]
.LBB175_128:
	s_or_b64 exec, exec, s[8:9]
	s_barrier
	s_and_saveexec_b64 s[8:9], s[52:53]
; %bb.129:
	ds_write_b128 v26, v[10:13]
; %bb.130:
	s_or_b64 exec, exec, s[8:9]
	s_waitcnt lgkmcnt(0)
	s_barrier
	s_barrier
	s_and_saveexec_b64 s[8:9], s[12:13]
; %bb.131:
	v_xor_b32_e32 v11, 0x80000000, v11
	v_xor_b32_e32 v13, 0x80000000, v13
	ds_write_b128 v24, v[10:13] offset:128
; %bb.132:
	s_or_b64 exec, exec, s[8:9]
	s_waitcnt lgkmcnt(0)
	s_barrier
	s_barrier
	s_and_saveexec_b64 s[8:9], vcc
	s_cbranch_execz .LBB175_134
; %bb.133:
	s_mov_b32 s80, 0
	s_mov_b32 s81, 0x3ff00000
	;; [unrolled: 1-line block ×4, first 2 shown]
	v_mov_b32_e32 v10, s80
	v_mov_b32_e32 v29, 0
	v_mov_b32_e32 v11, s81
	v_mov_b32_e32 v12, s82
	v_mov_b32_e32 v13, s83
	ds_write_b128 v29, v[10:13] offset:4224
	ds_write_b128 v29, v[10:13] offset:4752
.LBB175_134:
	s_or_b64 exec, exec, s[8:9]
	v_mov_b32_e32 v12, 0
	v_mov_b32_e32 v10, 0
	;; [unrolled: 1-line block ×4, first 2 shown]
	s_waitcnt lgkmcnt(0)
	s_barrier
	s_and_saveexec_b64 s[10:11], s[0:1]
	s_cbranch_execz .LBB175_138
; %bb.135:
	v_mul_u32_u24_e32 v10, 0x210, v16
	ds_read_b128 v[10:13], v10 offset:4224
	ds_read_b128 v[29:32], v14 offset:4256
	v_cmp_gt_u32_e64 s[8:9], 2, v22
	s_waitcnt lgkmcnt(0)
	v_mul_f64 v[33:34], v[12:13], v[31:32]
	v_mul_f64 v[31:32], v[10:11], v[31:32]
	v_fma_f64 v[10:11], v[10:11], v[29:30], -v[33:34]
	v_fma_f64 v[12:13], v[12:13], v[29:30], v[31:32]
	v_add_f64 v[10:11], v[10:11], 0
	v_add_f64 v[12:13], v[12:13], 0
	s_and_saveexec_b64 s[14:15], s[8:9]
	s_cbranch_execz .LBB175_137
; %bb.136:
	v_lshlrev_b32_e32 v33, 4, v0
	v_mov_b32_e32 v29, 0
	ds_read_b128 v[29:32], v29 offset:4240
	ds_read_b128 v[33:36], v33 offset:4768
	s_waitcnt lgkmcnt(0)
	v_mul_f64 v[37:38], v[31:32], v[35:36]
	v_mul_f64 v[35:36], v[29:30], v[35:36]
	v_fma_f64 v[29:30], v[29:30], v[33:34], -v[37:38]
	v_fma_f64 v[31:32], v[31:32], v[33:34], v[35:36]
	v_add_f64 v[10:11], v[10:11], v[29:30]
	v_add_f64 v[12:13], v[12:13], v[31:32]
.LBB175_137:
	s_or_b64 exec, exec, s[14:15]
	v_xor_b32_e32 v11, 0x80000000, v11
	v_xor_b32_e32 v13, 0x80000000, v13
.LBB175_138:
	s_or_b64 exec, exec, s[10:11]
	s_and_saveexec_b64 s[8:9], s[38:39]
; %bb.139:
	ds_write_b128 v15, v[10:13]
; %bb.140:
	s_or_b64 exec, exec, s[8:9]
	s_waitcnt lgkmcnt(0)
	s_barrier
	s_and_saveexec_b64 s[8:9], s[36:37]
	s_cbranch_execz .LBB175_142
; %bb.141:
	v_mov_b32_e32 v33, 0
	ds_read_b128 v[29:32], v15
	ds_read_b128 v[33:36], v33 offset:5296
	s_waitcnt lgkmcnt(0)
	v_mul_f64 v[37:38], v[31:32], v[35:36]
	v_mul_f64 v[35:36], v[29:30], v[35:36]
	v_fma_f64 v[29:30], v[29:30], v[33:34], -v[37:38]
	v_fma_f64 v[31:32], v[31:32], v[33:34], v[35:36]
	v_add_f64 v[10:11], v[10:11], v[29:30]
	v_add_f64 v[12:13], v[12:13], v[31:32]
.LBB175_142:
	s_or_b64 exec, exec, s[8:9]
	s_barrier
	s_and_saveexec_b64 s[8:9], s[36:37]
; %bb.143:
	ds_write_b128 v15, v[10:13]
; %bb.144:
	s_or_b64 exec, exec, s[8:9]
	s_waitcnt lgkmcnt(0)
	s_barrier
	s_barrier
	s_and_saveexec_b64 s[8:9], s[0:1]
; %bb.145:
	v_xor_b32_e32 v11, 0x80000000, v11
	v_xor_b32_e32 v13, 0x80000000, v13
	ds_write_b128 v14, v[10:13] offset:4256
; %bb.146:
	s_or_b64 exec, exec, s[8:9]
	s_waitcnt lgkmcnt(0)
	s_barrier
	s_barrier
	s_and_saveexec_b64 s[8:9], vcc
	s_cbranch_execz .LBB175_148
; %bb.147:
	s_mov_b32 s80, 0
	s_mov_b32 s81, 0x3ff00000
	;; [unrolled: 1-line block ×4, first 2 shown]
	v_mov_b32_e32 v10, s80
	v_mov_b32_e32 v29, 0
	;; [unrolled: 1-line block ×5, first 2 shown]
	ds_write_b128 v29, v[10:13] offset:5280
	ds_write_b128 v29, v[10:13] offset:5808
.LBB175_148:
	s_or_b64 exec, exec, s[8:9]
	v_mov_b32_e32 v12, 0
	v_mov_b32_e32 v10, 0
	;; [unrolled: 1-line block ×4, first 2 shown]
	s_waitcnt lgkmcnt(0)
	s_barrier
	s_and_saveexec_b64 s[10:11], s[2:3]
	s_cbranch_execz .LBB175_154
; %bb.149:
	v_mul_u32_u24_e32 v29, 0x210, v23
	ds_read_b128 v[10:13], v29 offset:4224
	ds_read_b128 v[30:33], v17 offset:4288
	v_cmp_gt_u32_e64 s[8:9], 12, v22
	s_waitcnt lgkmcnt(0)
	v_mul_f64 v[34:35], v[12:13], v[32:33]
	v_mul_f64 v[32:33], v[10:11], v[32:33]
	v_fma_f64 v[10:11], v[10:11], v[30:31], -v[34:35]
	v_fma_f64 v[12:13], v[12:13], v[30:31], v[32:33]
	v_add_f64 v[10:11], v[10:11], 0
	v_add_f64 v[12:13], v[12:13], 0
	s_and_saveexec_b64 s[14:15], s[8:9]
	s_cbranch_execnz .LBB175_497
; %bb.150:
	s_or_b64 exec, exec, s[14:15]
	v_cmp_gt_u32_e64 s[8:9], 8, v22
	s_and_saveexec_b64 s[14:15], s[8:9]
	s_cbranch_execnz .LBB175_498
.LBB175_151:
	s_or_b64 exec, exec, s[14:15]
	v_cmp_gt_u32_e64 s[8:9], 4, v22
	s_and_saveexec_b64 s[14:15], s[8:9]
	s_cbranch_execz .LBB175_153
.LBB175_152:
	v_lshlrev_b32_e32 v33, 4, v0
	v_mov_b32_e32 v29, 0
	ds_read_b128 v[29:32], v29 offset:4272
	ds_read_b128 v[33:36], v33 offset:5824
	s_waitcnt lgkmcnt(0)
	v_mul_f64 v[37:38], v[31:32], v[35:36]
	v_mul_f64 v[35:36], v[29:30], v[35:36]
	v_fma_f64 v[29:30], v[29:30], v[33:34], -v[37:38]
	v_fma_f64 v[31:32], v[31:32], v[33:34], v[35:36]
	v_add_f64 v[10:11], v[10:11], v[29:30]
	v_add_f64 v[12:13], v[12:13], v[31:32]
.LBB175_153:
	s_or_b64 exec, exec, s[14:15]
	v_xor_b32_e32 v11, 0x80000000, v11
	v_xor_b32_e32 v13, 0x80000000, v13
.LBB175_154:
	s_or_b64 exec, exec, s[10:11]
	s_and_saveexec_b64 s[8:9], s[42:43]
; %bb.155:
	ds_write_b128 v19, v[10:13]
; %bb.156:
	s_or_b64 exec, exec, s[8:9]
	s_waitcnt lgkmcnt(0)
	s_barrier
	s_and_saveexec_b64 s[8:9], s[44:45]
	s_cbranch_execz .LBB175_158
; %bb.157:
	ds_read_b128 v[29:32], v19
	ds_read_b128 v[33:36], v18 offset:6336
	s_waitcnt lgkmcnt(0)
	v_mul_f64 v[37:38], v[31:32], v[35:36]
	v_mul_f64 v[35:36], v[29:30], v[35:36]
	v_fma_f64 v[29:30], v[29:30], v[33:34], -v[37:38]
	v_fma_f64 v[31:32], v[31:32], v[33:34], v[35:36]
	v_add_f64 v[10:11], v[10:11], v[29:30]
	v_add_f64 v[12:13], v[12:13], v[31:32]
.LBB175_158:
	s_or_b64 exec, exec, s[8:9]
	s_barrier
	s_and_saveexec_b64 s[8:9], s[46:47]
; %bb.159:
	ds_write_b128 v19, v[10:13]
; %bb.160:
	s_or_b64 exec, exec, s[8:9]
	s_waitcnt lgkmcnt(0)
	s_barrier
	s_and_saveexec_b64 s[8:9], s[48:49]
	s_cbranch_execz .LBB175_162
; %bb.161:
	ds_read_b128 v[29:32], v19
	ds_read_b128 v[33:36], v18 offset:6848
	s_waitcnt lgkmcnt(0)
	v_mul_f64 v[37:38], v[31:32], v[35:36]
	v_mul_f64 v[35:36], v[29:30], v[35:36]
	v_fma_f64 v[29:30], v[29:30], v[33:34], -v[37:38]
	v_fma_f64 v[31:32], v[31:32], v[33:34], v[35:36]
	v_add_f64 v[10:11], v[10:11], v[29:30]
	v_add_f64 v[12:13], v[12:13], v[31:32]
.LBB175_162:
	s_or_b64 exec, exec, s[8:9]
	s_barrier
	s_and_saveexec_b64 s[8:9], s[50:51]
; %bb.163:
	ds_write_b128 v19, v[10:13]
; %bb.164:
	s_or_b64 exec, exec, s[8:9]
	s_waitcnt lgkmcnt(0)
	s_barrier
	s_and_saveexec_b64 s[8:9], s[40:41]
	s_cbranch_execz .LBB175_166
; %bb.165:
	v_mov_b32_e32 v33, 0
	ds_read_b128 v[29:32], v19
	ds_read_b128 v[33:36], v33 offset:7408
	s_waitcnt lgkmcnt(0)
	v_mul_f64 v[37:38], v[31:32], v[35:36]
	v_mul_f64 v[35:36], v[29:30], v[35:36]
	v_fma_f64 v[29:30], v[29:30], v[33:34], -v[37:38]
	v_fma_f64 v[31:32], v[31:32], v[33:34], v[35:36]
	v_add_f64 v[10:11], v[10:11], v[29:30]
	v_add_f64 v[12:13], v[12:13], v[31:32]
.LBB175_166:
	s_or_b64 exec, exec, s[8:9]
	s_barrier
	s_and_saveexec_b64 s[8:9], s[40:41]
; %bb.167:
	ds_write_b128 v19, v[10:13]
; %bb.168:
	s_or_b64 exec, exec, s[8:9]
	s_waitcnt lgkmcnt(0)
	s_barrier
	s_barrier
	s_and_saveexec_b64 s[8:9], s[2:3]
; %bb.169:
	v_xor_b32_e32 v13, 0x80000000, v13
	v_xor_b32_e32 v11, 0x80000000, v11
	ds_write_b128 v17, v[10:13] offset:4288
; %bb.170:
	s_or_b64 exec, exec, s[8:9]
	s_waitcnt lgkmcnt(0)
	s_barrier
	s_barrier
	s_and_saveexec_b64 s[8:9], vcc
	s_cbranch_execz .LBB175_172
; %bb.171:
	s_mov_b32 s80, 0
	s_mov_b32 s81, 0x3ff00000
	;; [unrolled: 1-line block ×4, first 2 shown]
	v_mov_b32_e32 v10, s80
	v_mov_b32_e32 v29, 0
	;; [unrolled: 1-line block ×5, first 2 shown]
	ds_write_b128 v29, v[10:13] offset:6336
	ds_write_b128 v29, v[10:13] offset:6864
.LBB175_172:
	s_or_b64 exec, exec, s[8:9]
	v_mov_b32_e32 v12, 0
	v_mov_b32_e32 v10, 0
	;; [unrolled: 1-line block ×4, first 2 shown]
	s_waitcnt lgkmcnt(0)
	s_barrier
	s_and_saveexec_b64 s[10:11], s[0:1]
	s_cbranch_execz .LBB175_176
; %bb.173:
	v_mul_u32_u24_e32 v10, 0x210, v16
	ds_read_b128 v[10:13], v10 offset:6336
	ds_read_b128 v[29:32], v14 offset:6368
	v_cmp_gt_u32_e64 s[8:9], 2, v22
	s_waitcnt lgkmcnt(0)
	v_mul_f64 v[33:34], v[12:13], v[31:32]
	v_mul_f64 v[31:32], v[10:11], v[31:32]
	v_fma_f64 v[10:11], v[10:11], v[29:30], -v[33:34]
	v_fma_f64 v[12:13], v[12:13], v[29:30], v[31:32]
	v_add_f64 v[10:11], v[10:11], 0
	v_add_f64 v[12:13], v[12:13], 0
	s_and_saveexec_b64 s[14:15], s[8:9]
	s_cbranch_execz .LBB175_175
; %bb.174:
	v_lshlrev_b32_e32 v33, 4, v0
	v_mov_b32_e32 v29, 0
	ds_read_b128 v[29:32], v29 offset:6352
	ds_read_b128 v[33:36], v33 offset:6880
	s_waitcnt lgkmcnt(0)
	v_mul_f64 v[37:38], v[31:32], v[35:36]
	v_mul_f64 v[35:36], v[29:30], v[35:36]
	v_fma_f64 v[29:30], v[29:30], v[33:34], -v[37:38]
	v_fma_f64 v[31:32], v[31:32], v[33:34], v[35:36]
	v_add_f64 v[10:11], v[10:11], v[29:30]
	v_add_f64 v[12:13], v[12:13], v[31:32]
.LBB175_175:
	s_or_b64 exec, exec, s[14:15]
	v_xor_b32_e32 v11, 0x80000000, v11
	v_xor_b32_e32 v13, 0x80000000, v13
.LBB175_176:
	s_or_b64 exec, exec, s[10:11]
	s_and_saveexec_b64 s[8:9], s[38:39]
; %bb.177:
	ds_write_b128 v15, v[10:13]
; %bb.178:
	s_or_b64 exec, exec, s[8:9]
	s_waitcnt lgkmcnt(0)
	s_barrier
	s_and_saveexec_b64 s[8:9], s[36:37]
	s_cbranch_execz .LBB175_180
; %bb.179:
	v_mov_b32_e32 v33, 0
	ds_read_b128 v[29:32], v15
	ds_read_b128 v[33:36], v33 offset:7408
	s_waitcnt lgkmcnt(0)
	v_mul_f64 v[37:38], v[31:32], v[35:36]
	v_mul_f64 v[35:36], v[29:30], v[35:36]
	v_fma_f64 v[29:30], v[29:30], v[33:34], -v[37:38]
	v_fma_f64 v[31:32], v[31:32], v[33:34], v[35:36]
	v_add_f64 v[10:11], v[10:11], v[29:30]
	v_add_f64 v[12:13], v[12:13], v[31:32]
.LBB175_180:
	s_or_b64 exec, exec, s[8:9]
	s_barrier
	s_and_saveexec_b64 s[8:9], s[36:37]
; %bb.181:
	ds_write_b128 v15, v[10:13]
; %bb.182:
	s_or_b64 exec, exec, s[8:9]
	s_waitcnt lgkmcnt(0)
	s_barrier
	s_barrier
	s_and_saveexec_b64 s[8:9], s[0:1]
; %bb.183:
	v_xor_b32_e32 v11, 0x80000000, v11
	v_xor_b32_e32 v13, 0x80000000, v13
	ds_write_b128 v14, v[10:13] offset:6368
; %bb.184:
	s_or_b64 exec, exec, s[8:9]
	s_waitcnt lgkmcnt(0)
	s_barrier
	s_barrier
	s_and_saveexec_b64 s[8:9], vcc
	s_cbranch_execz .LBB175_186
; %bb.185:
	s_mov_b32 s80, 0
	s_mov_b32 s81, 0x3ff00000
	s_mov_b32 s82, s80
	s_mov_b32 s83, s80
	v_mov_b32_e32 v10, s80
	v_mov_b32_e32 v29, 0
	;; [unrolled: 1-line block ×5, first 2 shown]
	ds_write_b128 v29, v[10:13] offset:7392
	ds_write_b128 v29, v[10:13] offset:7920
.LBB175_186:
	s_or_b64 exec, exec, s[8:9]
	v_and_b32_e32 v30, 15, v0
	s_movk_i32 s8, 0xff
	v_lshrrev_b32_e32 v32, 4, v22
	v_cmp_lt_u32_e64 s[10:11], s8, v22
	s_movk_i32 s8, 0x100
	v_lshlrev_b32_e32 v31, 4, v30
	v_mov_b32_e32 v12, 0
	v_mov_b32_e32 v10, 0
	v_cmp_gt_u32_e64 s[8:9], s8, v22
	v_mov_b32_e32 v13, 0
	v_mov_b32_e32 v11, 0
	v_lshl_or_b32 v29, v32, 9, v31
	s_waitcnt lgkmcnt(0)
	s_barrier
	s_and_saveexec_b64 s[80:81], s[8:9]
	s_cbranch_execz .LBB175_214
; %bb.187:
	v_mul_u32_u24_e32 v33, 0x210, v32
	ds_read_b128 v[10:13], v33
	ds_read_b128 v[34:37], v29 offset:256
	s_movk_i32 s14, 0xf0
	v_cmp_gt_u32_e64 s[14:15], s14, v22
	s_waitcnt lgkmcnt(0)
	v_mul_f64 v[38:39], v[12:13], v[36:37]
	v_mul_f64 v[36:37], v[10:11], v[36:37]
	v_fma_f64 v[10:11], v[10:11], v[34:35], -v[38:39]
	v_fma_f64 v[12:13], v[12:13], v[34:35], v[36:37]
	v_add_f64 v[10:11], v[10:11], 0
	v_add_f64 v[12:13], v[12:13], 0
	s_and_saveexec_b64 s[82:83], s[14:15]
	s_cbranch_execz .LBB175_189
; %bb.188:
	ds_read_b128 v[34:37], v33 offset:16
	ds_read_b128 v[38:41], v29 offset:768
	s_waitcnt lgkmcnt(0)
	v_mul_f64 v[42:43], v[36:37], v[40:41]
	v_mul_f64 v[40:41], v[34:35], v[40:41]
	v_fma_f64 v[34:35], v[34:35], v[38:39], -v[42:43]
	v_fma_f64 v[36:37], v[36:37], v[38:39], v[40:41]
	v_add_f64 v[10:11], v[10:11], v[34:35]
	v_add_f64 v[12:13], v[12:13], v[36:37]
.LBB175_189:
	s_or_b64 exec, exec, s[82:83]
	s_movk_i32 s14, 0xe0
	v_cmp_gt_u32_e64 s[14:15], s14, v22
	s_and_saveexec_b64 s[82:83], s[14:15]
	s_cbranch_execz .LBB175_191
; %bb.190:
	ds_read_b128 v[34:37], v33 offset:32
	ds_read_b128 v[38:41], v29 offset:1280
	s_waitcnt lgkmcnt(0)
	v_mul_f64 v[42:43], v[36:37], v[40:41]
	v_mul_f64 v[40:41], v[34:35], v[40:41]
	v_fma_f64 v[34:35], v[34:35], v[38:39], -v[42:43]
	v_fma_f64 v[36:37], v[36:37], v[38:39], v[40:41]
	v_add_f64 v[10:11], v[10:11], v[34:35]
	v_add_f64 v[12:13], v[12:13], v[36:37]
.LBB175_191:
	s_or_b64 exec, exec, s[82:83]
	s_movk_i32 s14, 0xd0
	v_cmp_gt_u32_e64 s[14:15], s14, v22
	;; [unrolled: 16-line block ×10, first 2 shown]
	s_and_saveexec_b64 s[82:83], s[14:15]
	s_cbranch_execnz .LBB175_499
; %bb.208:
	s_or_b64 exec, exec, s[82:83]
	v_cmp_gt_u32_e64 s[14:15], 64, v22
	s_and_saveexec_b64 s[82:83], s[14:15]
	s_cbranch_execnz .LBB175_500
.LBB175_209:
	s_or_b64 exec, exec, s[82:83]
	v_cmp_gt_u32_e64 s[14:15], 48, v22
	s_and_saveexec_b64 s[82:83], s[14:15]
	s_cbranch_execnz .LBB175_501
.LBB175_210:
	s_or_b64 exec, exec, s[82:83]
	v_cmp_gt_u32_e64 s[14:15], 32, v22
	s_and_saveexec_b64 s[82:83], s[14:15]
	s_cbranch_execnz .LBB175_502
.LBB175_211:
	s_or_b64 exec, exec, s[82:83]
	v_cmp_gt_u32_e64 s[14:15], 16, v22
	s_and_saveexec_b64 s[82:83], s[14:15]
	s_cbranch_execz .LBB175_213
.LBB175_212:
	v_lshlrev_b32_e32 v37, 4, v0
	v_mov_b32_e32 v33, 0
	ds_read_b128 v[33:36], v33 offset:240
	ds_read_b128 v[37:40], v37 offset:7936
	s_waitcnt lgkmcnt(0)
	v_mul_f64 v[41:42], v[35:36], v[39:40]
	v_mul_f64 v[39:40], v[33:34], v[39:40]
	v_fma_f64 v[33:34], v[33:34], v[37:38], -v[41:42]
	v_fma_f64 v[35:36], v[35:36], v[37:38], v[39:40]
	v_add_f64 v[10:11], v[10:11], v[33:34]
	v_add_f64 v[12:13], v[12:13], v[35:36]
.LBB175_213:
	s_or_b64 exec, exec, s[82:83]
	v_xor_b32_e32 v11, 0x80000000, v11
	v_xor_b32_e32 v13, 0x80000000, v13
.LBB175_214:
	s_or_b64 exec, exec, s[80:81]
	v_mov_b32_e32 v33, 0x4000
	v_cmp_eq_u32_e64 s[14:15], 0, v30
	s_xor_b64 s[80:81], s[10:11], -1
	v_lshl_add_u32 v32, v32, 4, v33
	s_and_b64 s[14:15], s[14:15], s[80:81]
	s_and_saveexec_b64 s[10:11], s[14:15]
; %bb.215:
	ds_write_b128 v32, v[10:13]
; %bb.216:
	s_or_b64 exec, exec, s[10:11]
	v_cmp_ne_u32_e64 s[10:11], 0, v30
	s_and_b64 s[14:15], s[10:11], s[80:81]
	s_waitcnt lgkmcnt(0)
	s_barrier
	s_and_saveexec_b64 s[10:11], s[14:15]
	s_cbranch_execz .LBB175_218
; %bb.217:
	ds_read_b128 v[33:36], v32
	ds_read_b128 v[37:40], v31 offset:8448
	s_waitcnt lgkmcnt(0)
	v_mul_f64 v[41:42], v[35:36], v[39:40]
	v_mul_f64 v[39:40], v[33:34], v[39:40]
	v_fma_f64 v[33:34], v[33:34], v[37:38], -v[41:42]
	v_fma_f64 v[35:36], v[35:36], v[37:38], v[39:40]
	v_add_f64 v[10:11], v[10:11], v[33:34]
	v_add_f64 v[12:13], v[12:13], v[35:36]
.LBB175_218:
	s_or_b64 exec, exec, s[10:11]
	v_cmp_eq_u32_e64 s[10:11], 1, v30
	s_and_b64 s[14:15], s[10:11], s[80:81]
	s_barrier
	s_and_saveexec_b64 s[10:11], s[14:15]
; %bb.219:
	ds_write_b128 v32, v[10:13]
; %bb.220:
	s_or_b64 exec, exec, s[10:11]
	v_cmp_lt_u32_e64 s[10:11], 1, v30
	s_and_b64 s[14:15], s[10:11], s[80:81]
	s_waitcnt lgkmcnt(0)
	s_barrier
	s_and_saveexec_b64 s[10:11], s[14:15]
	s_cbranch_execz .LBB175_222
; %bb.221:
	ds_read_b128 v[33:36], v32
	ds_read_b128 v[37:40], v31 offset:8960
	s_waitcnt lgkmcnt(0)
	v_mul_f64 v[41:42], v[35:36], v[39:40]
	v_mul_f64 v[39:40], v[33:34], v[39:40]
	v_fma_f64 v[33:34], v[33:34], v[37:38], -v[41:42]
	v_fma_f64 v[35:36], v[35:36], v[37:38], v[39:40]
	v_add_f64 v[10:11], v[10:11], v[33:34]
	v_add_f64 v[12:13], v[12:13], v[35:36]
.LBB175_222:
	s_or_b64 exec, exec, s[10:11]
	v_cmp_eq_u32_e64 s[10:11], 2, v30
	s_and_b64 s[14:15], s[10:11], s[80:81]
	s_barrier
	s_and_saveexec_b64 s[10:11], s[14:15]
; %bb.223:
	ds_write_b128 v32, v[10:13]
; %bb.224:
	s_or_b64 exec, exec, s[10:11]
	v_cmp_lt_u32_e64 s[10:11], 2, v30
	;; [unrolled: 26-line block ×13, first 2 shown]
	s_and_b64 s[14:15], s[10:11], s[80:81]
	s_waitcnt lgkmcnt(0)
	s_barrier
	s_and_saveexec_b64 s[10:11], s[14:15]
	s_cbranch_execz .LBB175_270
; %bb.269:
	ds_read_b128 v[33:36], v32
	ds_read_b128 v[37:40], v31 offset:15104
	s_waitcnt lgkmcnt(0)
	v_mul_f64 v[41:42], v[35:36], v[39:40]
	v_mul_f64 v[39:40], v[33:34], v[39:40]
	v_fma_f64 v[33:34], v[33:34], v[37:38], -v[41:42]
	v_fma_f64 v[35:36], v[35:36], v[37:38], v[39:40]
	v_add_f64 v[10:11], v[10:11], v[33:34]
	v_add_f64 v[12:13], v[12:13], v[35:36]
.LBB175_270:
	s_or_b64 exec, exec, s[10:11]
	v_cmp_eq_u32_e64 s[10:11], 14, v30
	s_and_b64 s[14:15], s[10:11], s[80:81]
	s_barrier
	s_and_saveexec_b64 s[10:11], s[14:15]
; %bb.271:
	ds_write_b128 v32, v[10:13]
; %bb.272:
	s_or_b64 exec, exec, s[10:11]
	v_cmp_eq_u32_e64 s[10:11], 15, v30
	s_and_b64 s[10:11], s[10:11], s[80:81]
	s_waitcnt lgkmcnt(0)
	s_barrier
	s_and_saveexec_b64 s[14:15], s[10:11]
	s_cbranch_execz .LBB175_274
; %bb.273:
	v_mov_b32_e32 v30, 0
	ds_read_b128 v[33:36], v32
	ds_read_b128 v[37:40], v30 offset:15856
	s_waitcnt lgkmcnt(0)
	v_mul_f64 v[30:31], v[35:36], v[39:40]
	v_mul_f64 v[39:40], v[33:34], v[39:40]
	v_fma_f64 v[30:31], v[33:34], v[37:38], -v[30:31]
	v_fma_f64 v[33:34], v[35:36], v[37:38], v[39:40]
	v_add_f64 v[10:11], v[10:11], v[30:31]
	v_add_f64 v[12:13], v[12:13], v[33:34]
.LBB175_274:
	s_or_b64 exec, exec, s[14:15]
	s_barrier
	s_and_saveexec_b64 s[14:15], s[10:11]
; %bb.275:
	ds_write_b128 v32, v[10:13]
; %bb.276:
	s_or_b64 exec, exec, s[14:15]
	s_waitcnt lgkmcnt(0)
	s_barrier
	s_barrier
	s_and_saveexec_b64 s[10:11], s[8:9]
; %bb.277:
	v_xor_b32_e32 v13, 0x80000000, v13
	v_xor_b32_e32 v11, 0x80000000, v11
	ds_write_b128 v29, v[10:13] offset:256
; %bb.278:
	s_or_b64 exec, exec, s[10:11]
	s_waitcnt lgkmcnt(0)
	s_barrier
	s_barrier
	s_and_saveexec_b64 s[8:9], vcc
	s_cbranch_execz .LBB175_280
; %bb.279:
	s_mov_b32 s80, 0
	s_mov_b32 s81, 0x3ff00000
	;; [unrolled: 1-line block ×4, first 2 shown]
	v_mov_b32_e32 v10, s80
	v_mov_b32_e32 v29, 0
	;; [unrolled: 1-line block ×5, first 2 shown]
	ds_write_b128 v29, v[10:13] offset:8448
	ds_write_b128 v29, v[10:13] offset:8976
.LBB175_280:
	s_or_b64 exec, exec, s[8:9]
	v_mov_b32_e32 v12, 0
	v_mov_b32_e32 v10, 0
	;; [unrolled: 1-line block ×4, first 2 shown]
	s_waitcnt lgkmcnt(0)
	s_barrier
	s_and_saveexec_b64 s[10:11], s[0:1]
	s_cbranch_execz .LBB175_284
; %bb.281:
	v_mul_u32_u24_e32 v10, 0x210, v16
	ds_read_b128 v[10:13], v10 offset:8448
	ds_read_b128 v[29:32], v14 offset:8480
	v_cmp_gt_u32_e64 s[8:9], 2, v22
	s_waitcnt lgkmcnt(0)
	v_mul_f64 v[33:34], v[12:13], v[31:32]
	v_mul_f64 v[31:32], v[10:11], v[31:32]
	v_fma_f64 v[10:11], v[10:11], v[29:30], -v[33:34]
	v_fma_f64 v[12:13], v[12:13], v[29:30], v[31:32]
	v_add_f64 v[10:11], v[10:11], 0
	v_add_f64 v[12:13], v[12:13], 0
	s_and_saveexec_b64 s[14:15], s[8:9]
	s_cbranch_execz .LBB175_283
; %bb.282:
	v_lshlrev_b32_e32 v33, 4, v0
	v_mov_b32_e32 v29, 0
	ds_read_b128 v[29:32], v29 offset:8464
	ds_read_b128 v[33:36], v33 offset:8992
	s_waitcnt lgkmcnt(0)
	v_mul_f64 v[37:38], v[31:32], v[35:36]
	v_mul_f64 v[35:36], v[29:30], v[35:36]
	v_fma_f64 v[29:30], v[29:30], v[33:34], -v[37:38]
	v_fma_f64 v[31:32], v[31:32], v[33:34], v[35:36]
	v_add_f64 v[10:11], v[10:11], v[29:30]
	v_add_f64 v[12:13], v[12:13], v[31:32]
.LBB175_283:
	s_or_b64 exec, exec, s[14:15]
	v_xor_b32_e32 v11, 0x80000000, v11
	v_xor_b32_e32 v13, 0x80000000, v13
.LBB175_284:
	s_or_b64 exec, exec, s[10:11]
	s_and_saveexec_b64 s[8:9], s[38:39]
; %bb.285:
	ds_write_b128 v15, v[10:13]
; %bb.286:
	s_or_b64 exec, exec, s[8:9]
	s_waitcnt lgkmcnt(0)
	s_barrier
	s_and_saveexec_b64 s[8:9], s[36:37]
	s_cbranch_execz .LBB175_288
; %bb.287:
	v_mov_b32_e32 v33, 0
	ds_read_b128 v[29:32], v15
	ds_read_b128 v[33:36], v33 offset:9520
	s_waitcnt lgkmcnt(0)
	v_mul_f64 v[37:38], v[31:32], v[35:36]
	v_mul_f64 v[35:36], v[29:30], v[35:36]
	v_fma_f64 v[29:30], v[29:30], v[33:34], -v[37:38]
	v_fma_f64 v[31:32], v[31:32], v[33:34], v[35:36]
	v_add_f64 v[10:11], v[10:11], v[29:30]
	v_add_f64 v[12:13], v[12:13], v[31:32]
.LBB175_288:
	s_or_b64 exec, exec, s[8:9]
	s_barrier
	s_and_saveexec_b64 s[8:9], s[36:37]
; %bb.289:
	ds_write_b128 v15, v[10:13]
; %bb.290:
	s_or_b64 exec, exec, s[8:9]
	s_waitcnt lgkmcnt(0)
	s_barrier
	s_barrier
	s_and_saveexec_b64 s[8:9], s[0:1]
; %bb.291:
	v_xor_b32_e32 v11, 0x80000000, v11
	v_xor_b32_e32 v13, 0x80000000, v13
	ds_write_b128 v14, v[10:13] offset:8480
; %bb.292:
	s_or_b64 exec, exec, s[8:9]
	s_waitcnt lgkmcnt(0)
	s_barrier
	s_barrier
	s_and_saveexec_b64 s[8:9], vcc
	s_cbranch_execz .LBB175_294
; %bb.293:
	s_mov_b32 s80, 0
	s_mov_b32 s81, 0x3ff00000
	;; [unrolled: 1-line block ×4, first 2 shown]
	v_mov_b32_e32 v10, s80
	v_mov_b32_e32 v29, 0
	;; [unrolled: 1-line block ×5, first 2 shown]
	ds_write_b128 v29, v[10:13] offset:9504
	ds_write_b128 v29, v[10:13] offset:10032
.LBB175_294:
	s_or_b64 exec, exec, s[8:9]
	v_mov_b32_e32 v12, 0
	v_mov_b32_e32 v10, 0
	;; [unrolled: 1-line block ×4, first 2 shown]
	s_waitcnt lgkmcnt(0)
	s_barrier
	s_and_saveexec_b64 s[10:11], s[2:3]
	s_cbranch_execz .LBB175_300
; %bb.295:
	v_mul_u32_u24_e32 v29, 0x210, v23
	ds_read_b128 v[10:13], v29 offset:8448
	ds_read_b128 v[30:33], v17 offset:8512
	v_cmp_gt_u32_e64 s[8:9], 12, v22
	s_waitcnt lgkmcnt(0)
	v_mul_f64 v[34:35], v[12:13], v[32:33]
	v_mul_f64 v[32:33], v[10:11], v[32:33]
	v_fma_f64 v[10:11], v[10:11], v[30:31], -v[34:35]
	v_fma_f64 v[12:13], v[12:13], v[30:31], v[32:33]
	v_add_f64 v[10:11], v[10:11], 0
	v_add_f64 v[12:13], v[12:13], 0
	s_and_saveexec_b64 s[14:15], s[8:9]
	s_cbranch_execnz .LBB175_503
; %bb.296:
	s_or_b64 exec, exec, s[14:15]
	v_cmp_gt_u32_e64 s[8:9], 8, v22
	s_and_saveexec_b64 s[14:15], s[8:9]
	s_cbranch_execnz .LBB175_504
.LBB175_297:
	s_or_b64 exec, exec, s[14:15]
	v_cmp_gt_u32_e64 s[8:9], 4, v22
	s_and_saveexec_b64 s[14:15], s[8:9]
	s_cbranch_execz .LBB175_299
.LBB175_298:
	v_lshlrev_b32_e32 v33, 4, v0
	v_mov_b32_e32 v29, 0
	ds_read_b128 v[29:32], v29 offset:8496
	ds_read_b128 v[33:36], v33 offset:10048
	s_waitcnt lgkmcnt(0)
	v_mul_f64 v[37:38], v[31:32], v[35:36]
	v_mul_f64 v[35:36], v[29:30], v[35:36]
	v_fma_f64 v[29:30], v[29:30], v[33:34], -v[37:38]
	v_fma_f64 v[31:32], v[31:32], v[33:34], v[35:36]
	v_add_f64 v[10:11], v[10:11], v[29:30]
	v_add_f64 v[12:13], v[12:13], v[31:32]
.LBB175_299:
	s_or_b64 exec, exec, s[14:15]
	v_xor_b32_e32 v11, 0x80000000, v11
	v_xor_b32_e32 v13, 0x80000000, v13
.LBB175_300:
	s_or_b64 exec, exec, s[10:11]
	s_and_saveexec_b64 s[8:9], s[42:43]
; %bb.301:
	ds_write_b128 v19, v[10:13]
; %bb.302:
	s_or_b64 exec, exec, s[8:9]
	s_waitcnt lgkmcnt(0)
	s_barrier
	s_and_saveexec_b64 s[8:9], s[44:45]
	s_cbranch_execz .LBB175_304
; %bb.303:
	ds_read_b128 v[29:32], v19
	ds_read_b128 v[33:36], v18 offset:10560
	s_waitcnt lgkmcnt(0)
	v_mul_f64 v[37:38], v[31:32], v[35:36]
	v_mul_f64 v[35:36], v[29:30], v[35:36]
	v_fma_f64 v[29:30], v[29:30], v[33:34], -v[37:38]
	v_fma_f64 v[31:32], v[31:32], v[33:34], v[35:36]
	v_add_f64 v[10:11], v[10:11], v[29:30]
	v_add_f64 v[12:13], v[12:13], v[31:32]
.LBB175_304:
	s_or_b64 exec, exec, s[8:9]
	s_barrier
	s_and_saveexec_b64 s[8:9], s[46:47]
; %bb.305:
	ds_write_b128 v19, v[10:13]
; %bb.306:
	s_or_b64 exec, exec, s[8:9]
	s_waitcnt lgkmcnt(0)
	s_barrier
	s_and_saveexec_b64 s[8:9], s[48:49]
	s_cbranch_execz .LBB175_308
; %bb.307:
	ds_read_b128 v[29:32], v19
	ds_read_b128 v[33:36], v18 offset:11072
	s_waitcnt lgkmcnt(0)
	v_mul_f64 v[37:38], v[31:32], v[35:36]
	v_mul_f64 v[35:36], v[29:30], v[35:36]
	v_fma_f64 v[29:30], v[29:30], v[33:34], -v[37:38]
	v_fma_f64 v[31:32], v[31:32], v[33:34], v[35:36]
	v_add_f64 v[10:11], v[10:11], v[29:30]
	v_add_f64 v[12:13], v[12:13], v[31:32]
.LBB175_308:
	s_or_b64 exec, exec, s[8:9]
	s_barrier
	s_and_saveexec_b64 s[8:9], s[50:51]
; %bb.309:
	ds_write_b128 v19, v[10:13]
; %bb.310:
	s_or_b64 exec, exec, s[8:9]
	s_waitcnt lgkmcnt(0)
	s_barrier
	s_and_saveexec_b64 s[8:9], s[40:41]
	s_cbranch_execz .LBB175_312
; %bb.311:
	v_mov_b32_e32 v33, 0
	ds_read_b128 v[29:32], v19
	ds_read_b128 v[33:36], v33 offset:11632
	s_waitcnt lgkmcnt(0)
	v_mul_f64 v[37:38], v[31:32], v[35:36]
	v_mul_f64 v[35:36], v[29:30], v[35:36]
	v_fma_f64 v[29:30], v[29:30], v[33:34], -v[37:38]
	v_fma_f64 v[31:32], v[31:32], v[33:34], v[35:36]
	v_add_f64 v[10:11], v[10:11], v[29:30]
	v_add_f64 v[12:13], v[12:13], v[31:32]
.LBB175_312:
	s_or_b64 exec, exec, s[8:9]
	s_barrier
	s_and_saveexec_b64 s[8:9], s[40:41]
; %bb.313:
	ds_write_b128 v19, v[10:13]
; %bb.314:
	s_or_b64 exec, exec, s[8:9]
	s_waitcnt lgkmcnt(0)
	s_barrier
	s_barrier
	s_and_saveexec_b64 s[8:9], s[2:3]
; %bb.315:
	v_xor_b32_e32 v13, 0x80000000, v13
	v_xor_b32_e32 v11, 0x80000000, v11
	ds_write_b128 v17, v[10:13] offset:8512
; %bb.316:
	s_or_b64 exec, exec, s[8:9]
	s_waitcnt lgkmcnt(0)
	s_barrier
	s_barrier
	s_and_saveexec_b64 s[8:9], vcc
	s_cbranch_execz .LBB175_318
; %bb.317:
	s_mov_b32 s80, 0
	s_mov_b32 s81, 0x3ff00000
	;; [unrolled: 1-line block ×4, first 2 shown]
	v_mov_b32_e32 v10, s80
	v_mov_b32_e32 v29, 0
	;; [unrolled: 1-line block ×5, first 2 shown]
	ds_write_b128 v29, v[10:13] offset:10560
	ds_write_b128 v29, v[10:13] offset:11088
.LBB175_318:
	s_or_b64 exec, exec, s[8:9]
	v_mov_b32_e32 v12, 0
	v_mov_b32_e32 v10, 0
	v_mov_b32_e32 v13, 0
	v_mov_b32_e32 v11, 0
	s_waitcnt lgkmcnt(0)
	s_barrier
	s_and_saveexec_b64 s[10:11], s[0:1]
	s_cbranch_execz .LBB175_322
; %bb.319:
	v_mul_u32_u24_e32 v10, 0x210, v16
	ds_read_b128 v[10:13], v10 offset:10560
	ds_read_b128 v[29:32], v14 offset:10592
	v_cmp_gt_u32_e64 s[8:9], 2, v22
	s_waitcnt lgkmcnt(0)
	v_mul_f64 v[33:34], v[12:13], v[31:32]
	v_mul_f64 v[31:32], v[10:11], v[31:32]
	v_fma_f64 v[10:11], v[10:11], v[29:30], -v[33:34]
	v_fma_f64 v[12:13], v[12:13], v[29:30], v[31:32]
	v_add_f64 v[10:11], v[10:11], 0
	v_add_f64 v[12:13], v[12:13], 0
	s_and_saveexec_b64 s[14:15], s[8:9]
	s_cbranch_execz .LBB175_321
; %bb.320:
	v_lshlrev_b32_e32 v33, 4, v0
	v_mov_b32_e32 v29, 0
	ds_read_b128 v[29:32], v29 offset:10576
	ds_read_b128 v[33:36], v33 offset:11104
	s_waitcnt lgkmcnt(0)
	v_mul_f64 v[37:38], v[31:32], v[35:36]
	v_mul_f64 v[35:36], v[29:30], v[35:36]
	v_fma_f64 v[29:30], v[29:30], v[33:34], -v[37:38]
	v_fma_f64 v[31:32], v[31:32], v[33:34], v[35:36]
	v_add_f64 v[10:11], v[10:11], v[29:30]
	v_add_f64 v[12:13], v[12:13], v[31:32]
.LBB175_321:
	s_or_b64 exec, exec, s[14:15]
	v_xor_b32_e32 v11, 0x80000000, v11
	v_xor_b32_e32 v13, 0x80000000, v13
.LBB175_322:
	s_or_b64 exec, exec, s[10:11]
	s_and_saveexec_b64 s[8:9], s[38:39]
; %bb.323:
	ds_write_b128 v15, v[10:13]
; %bb.324:
	s_or_b64 exec, exec, s[8:9]
	s_waitcnt lgkmcnt(0)
	s_barrier
	s_and_saveexec_b64 s[8:9], s[36:37]
	s_cbranch_execz .LBB175_326
; %bb.325:
	v_mov_b32_e32 v33, 0
	ds_read_b128 v[29:32], v15
	ds_read_b128 v[33:36], v33 offset:11632
	s_waitcnt lgkmcnt(0)
	v_mul_f64 v[37:38], v[31:32], v[35:36]
	v_mul_f64 v[35:36], v[29:30], v[35:36]
	v_fma_f64 v[29:30], v[29:30], v[33:34], -v[37:38]
	v_fma_f64 v[31:32], v[31:32], v[33:34], v[35:36]
	v_add_f64 v[10:11], v[10:11], v[29:30]
	v_add_f64 v[12:13], v[12:13], v[31:32]
.LBB175_326:
	s_or_b64 exec, exec, s[8:9]
	s_barrier
	s_and_saveexec_b64 s[8:9], s[36:37]
; %bb.327:
	ds_write_b128 v15, v[10:13]
; %bb.328:
	s_or_b64 exec, exec, s[8:9]
	s_waitcnt lgkmcnt(0)
	s_barrier
	s_barrier
	s_and_saveexec_b64 s[8:9], s[0:1]
; %bb.329:
	v_xor_b32_e32 v11, 0x80000000, v11
	v_xor_b32_e32 v13, 0x80000000, v13
	ds_write_b128 v14, v[10:13] offset:10592
; %bb.330:
	s_or_b64 exec, exec, s[8:9]
	s_waitcnt lgkmcnt(0)
	s_barrier
	s_barrier
	s_and_saveexec_b64 s[8:9], vcc
	s_cbranch_execz .LBB175_332
; %bb.331:
	s_mov_b32 s80, 0
	s_mov_b32 s81, 0x3ff00000
	;; [unrolled: 1-line block ×4, first 2 shown]
	v_mov_b32_e32 v10, s80
	v_mov_b32_e32 v29, 0
	;; [unrolled: 1-line block ×5, first 2 shown]
	ds_write_b128 v29, v[10:13] offset:11616
	ds_write_b128 v29, v[10:13] offset:12144
.LBB175_332:
	s_or_b64 exec, exec, s[8:9]
	v_mov_b32_e32 v12, 0
	v_mov_b32_e32 v10, 0
	;; [unrolled: 1-line block ×4, first 2 shown]
	s_waitcnt lgkmcnt(0)
	s_barrier
	s_and_saveexec_b64 s[10:11], s[12:13]
	s_cbranch_execz .LBB175_342
; %bb.333:
	v_mul_u32_u24_e32 v29, 0x210, v28
	ds_read_b128 v[10:13], v29 offset:8448
	ds_read_b128 v[30:33], v24 offset:8576
	v_cmp_gt_u32_e64 s[8:9], 56, v22
	s_waitcnt lgkmcnt(0)
	v_mul_f64 v[34:35], v[12:13], v[32:33]
	v_mul_f64 v[32:33], v[10:11], v[32:33]
	v_fma_f64 v[10:11], v[10:11], v[30:31], -v[34:35]
	v_fma_f64 v[12:13], v[12:13], v[30:31], v[32:33]
	v_add_f64 v[10:11], v[10:11], 0
	v_add_f64 v[12:13], v[12:13], 0
	s_and_saveexec_b64 s[14:15], s[8:9]
	s_cbranch_execnz .LBB175_505
; %bb.334:
	s_or_b64 exec, exec, s[14:15]
	v_cmp_gt_u32_e64 s[8:9], 48, v22
	s_and_saveexec_b64 s[14:15], s[8:9]
	s_cbranch_execnz .LBB175_506
.LBB175_335:
	s_or_b64 exec, exec, s[14:15]
	v_cmp_gt_u32_e64 s[8:9], 40, v22
	s_and_saveexec_b64 s[14:15], s[8:9]
	s_cbranch_execnz .LBB175_507
.LBB175_336:
	s_or_b64 exec, exec, s[14:15]
	v_cmp_gt_u32_e64 s[8:9], 32, v22
	s_and_saveexec_b64 s[14:15], s[8:9]
	s_cbranch_execnz .LBB175_508
.LBB175_337:
	s_or_b64 exec, exec, s[14:15]
	v_cmp_gt_u32_e64 s[8:9], 24, v22
	s_and_saveexec_b64 s[14:15], s[8:9]
	s_cbranch_execnz .LBB175_509
.LBB175_338:
	s_or_b64 exec, exec, s[14:15]
	v_cmp_gt_u32_e64 s[8:9], 16, v22
	s_and_saveexec_b64 s[14:15], s[8:9]
	s_cbranch_execnz .LBB175_510
.LBB175_339:
	s_or_b64 exec, exec, s[14:15]
	v_cmp_gt_u32_e64 s[8:9], 8, v22
	s_and_saveexec_b64 s[14:15], s[8:9]
	s_cbranch_execz .LBB175_341
.LBB175_340:
	v_lshlrev_b32_e32 v31, 4, v0
	v_mov_b32_e32 v27, 0
	ds_read_b128 v[27:30], v27 offset:8560
	ds_read_b128 v[31:34], v31 offset:12160
	s_waitcnt lgkmcnt(0)
	v_mul_f64 v[35:36], v[29:30], v[33:34]
	v_mul_f64 v[33:34], v[27:28], v[33:34]
	v_fma_f64 v[27:28], v[27:28], v[31:32], -v[35:36]
	v_fma_f64 v[29:30], v[29:30], v[31:32], v[33:34]
	v_add_f64 v[10:11], v[10:11], v[27:28]
	v_add_f64 v[12:13], v[12:13], v[29:30]
.LBB175_341:
	s_or_b64 exec, exec, s[14:15]
	v_xor_b32_e32 v11, 0x80000000, v11
	v_xor_b32_e32 v13, 0x80000000, v13
.LBB175_342:
	s_or_b64 exec, exec, s[10:11]
	s_and_saveexec_b64 s[8:9], s[54:55]
; %bb.343:
	ds_write_b128 v26, v[10:13]
; %bb.344:
	s_or_b64 exec, exec, s[8:9]
	s_waitcnt lgkmcnt(0)
	s_barrier
	s_and_saveexec_b64 s[8:9], s[56:57]
	s_cbranch_execz .LBB175_346
; %bb.345:
	ds_read_b128 v[27:30], v26
	ds_read_b128 v[31:34], v25 offset:12672
	s_waitcnt lgkmcnt(0)
	v_mul_f64 v[35:36], v[29:30], v[33:34]
	v_mul_f64 v[33:34], v[27:28], v[33:34]
	v_fma_f64 v[27:28], v[27:28], v[31:32], -v[35:36]
	v_fma_f64 v[29:30], v[29:30], v[31:32], v[33:34]
	v_add_f64 v[10:11], v[10:11], v[27:28]
	v_add_f64 v[12:13], v[12:13], v[29:30]
.LBB175_346:
	s_or_b64 exec, exec, s[8:9]
	s_barrier
	s_and_saveexec_b64 s[8:9], s[58:59]
; %bb.347:
	ds_write_b128 v26, v[10:13]
; %bb.348:
	s_or_b64 exec, exec, s[8:9]
	s_waitcnt lgkmcnt(0)
	s_barrier
	s_and_saveexec_b64 s[8:9], s[60:61]
	s_cbranch_execz .LBB175_350
; %bb.349:
	ds_read_b128 v[27:30], v26
	ds_read_b128 v[31:34], v25 offset:13184
	s_waitcnt lgkmcnt(0)
	v_mul_f64 v[35:36], v[29:30], v[33:34]
	v_mul_f64 v[33:34], v[27:28], v[33:34]
	v_fma_f64 v[27:28], v[27:28], v[31:32], -v[35:36]
	v_fma_f64 v[29:30], v[29:30], v[31:32], v[33:34]
	v_add_f64 v[10:11], v[10:11], v[27:28]
	v_add_f64 v[12:13], v[12:13], v[29:30]
.LBB175_350:
	s_or_b64 exec, exec, s[8:9]
	s_barrier
	;; [unrolled: 22-line block ×6, first 2 shown]
	s_and_saveexec_b64 s[8:9], s[78:79]
; %bb.367:
	ds_write_b128 v26, v[10:13]
; %bb.368:
	s_or_b64 exec, exec, s[8:9]
	s_waitcnt lgkmcnt(0)
	s_barrier
	s_and_saveexec_b64 s[8:9], s[52:53]
	s_cbranch_execz .LBB175_370
; %bb.369:
	v_mov_b32_e32 v25, 0
	ds_read_b128 v[27:30], v26
	ds_read_b128 v[31:34], v25 offset:15856
	s_waitcnt lgkmcnt(0)
	v_mul_f64 v[35:36], v[29:30], v[33:34]
	v_mul_f64 v[33:34], v[27:28], v[33:34]
	v_fma_f64 v[27:28], v[27:28], v[31:32], -v[35:36]
	v_fma_f64 v[29:30], v[29:30], v[31:32], v[33:34]
	v_add_f64 v[10:11], v[10:11], v[27:28]
	v_add_f64 v[12:13], v[12:13], v[29:30]
.LBB175_370:
	s_or_b64 exec, exec, s[8:9]
	s_barrier
	s_and_saveexec_b64 s[8:9], s[52:53]
; %bb.371:
	ds_write_b128 v26, v[10:13]
; %bb.372:
	s_or_b64 exec, exec, s[8:9]
	s_waitcnt lgkmcnt(0)
	s_barrier
	s_barrier
	s_and_saveexec_b64 s[8:9], s[12:13]
; %bb.373:
	v_xor_b32_e32 v11, 0x80000000, v11
	v_xor_b32_e32 v13, 0x80000000, v13
	ds_write_b128 v24, v[10:13] offset:8576
; %bb.374:
	s_or_b64 exec, exec, s[8:9]
	s_waitcnt lgkmcnt(0)
	s_barrier
	s_barrier
	s_and_saveexec_b64 s[8:9], vcc
	s_cbranch_execz .LBB175_376
; %bb.375:
	s_mov_b32 s12, 0
	s_mov_b32 s13, 0x3ff00000
	;; [unrolled: 1-line block ×4, first 2 shown]
	v_mov_b32_e32 v10, s12
	v_mov_b32_e32 v24, 0
	;; [unrolled: 1-line block ×5, first 2 shown]
	ds_write_b128 v24, v[10:13] offset:12672
	ds_write_b128 v24, v[10:13] offset:13200
.LBB175_376:
	s_or_b64 exec, exec, s[8:9]
	v_mov_b32_e32 v12, 0
	v_mov_b32_e32 v10, 0
	;; [unrolled: 1-line block ×4, first 2 shown]
	s_waitcnt lgkmcnt(0)
	s_barrier
	s_and_saveexec_b64 s[10:11], s[0:1]
	s_cbranch_execz .LBB175_380
; %bb.377:
	v_mul_u32_u24_e32 v10, 0x210, v16
	ds_read_b128 v[10:13], v10 offset:12672
	ds_read_b128 v[24:27], v14 offset:12704
	v_cmp_gt_u32_e64 s[8:9], 2, v22
	s_waitcnt lgkmcnt(0)
	v_mul_f64 v[28:29], v[12:13], v[26:27]
	v_mul_f64 v[26:27], v[10:11], v[26:27]
	v_fma_f64 v[10:11], v[10:11], v[24:25], -v[28:29]
	v_fma_f64 v[12:13], v[12:13], v[24:25], v[26:27]
	v_add_f64 v[10:11], v[10:11], 0
	v_add_f64 v[12:13], v[12:13], 0
	s_and_saveexec_b64 s[12:13], s[8:9]
	s_cbranch_execz .LBB175_379
; %bb.378:
	v_lshlrev_b32_e32 v28, 4, v0
	v_mov_b32_e32 v24, 0
	ds_read_b128 v[24:27], v24 offset:12688
	ds_read_b128 v[28:31], v28 offset:13216
	s_waitcnt lgkmcnt(0)
	v_mul_f64 v[32:33], v[26:27], v[30:31]
	v_mul_f64 v[30:31], v[24:25], v[30:31]
	v_fma_f64 v[24:25], v[24:25], v[28:29], -v[32:33]
	v_fma_f64 v[26:27], v[26:27], v[28:29], v[30:31]
	v_add_f64 v[10:11], v[10:11], v[24:25]
	v_add_f64 v[12:13], v[12:13], v[26:27]
.LBB175_379:
	s_or_b64 exec, exec, s[12:13]
	v_xor_b32_e32 v11, 0x80000000, v11
	v_xor_b32_e32 v13, 0x80000000, v13
.LBB175_380:
	s_or_b64 exec, exec, s[10:11]
	s_and_saveexec_b64 s[8:9], s[38:39]
; %bb.381:
	ds_write_b128 v15, v[10:13]
; %bb.382:
	s_or_b64 exec, exec, s[8:9]
	s_waitcnt lgkmcnt(0)
	s_barrier
	s_and_saveexec_b64 s[8:9], s[36:37]
	s_cbranch_execz .LBB175_384
; %bb.383:
	v_mov_b32_e32 v28, 0
	ds_read_b128 v[24:27], v15
	ds_read_b128 v[28:31], v28 offset:13744
	s_waitcnt lgkmcnt(0)
	v_mul_f64 v[32:33], v[26:27], v[30:31]
	v_mul_f64 v[30:31], v[24:25], v[30:31]
	v_fma_f64 v[24:25], v[24:25], v[28:29], -v[32:33]
	v_fma_f64 v[26:27], v[26:27], v[28:29], v[30:31]
	v_add_f64 v[10:11], v[10:11], v[24:25]
	v_add_f64 v[12:13], v[12:13], v[26:27]
.LBB175_384:
	s_or_b64 exec, exec, s[8:9]
	s_barrier
	s_and_saveexec_b64 s[8:9], s[36:37]
; %bb.385:
	ds_write_b128 v15, v[10:13]
; %bb.386:
	s_or_b64 exec, exec, s[8:9]
	s_waitcnt lgkmcnt(0)
	s_barrier
	s_barrier
	s_and_saveexec_b64 s[8:9], s[0:1]
; %bb.387:
	v_xor_b32_e32 v11, 0x80000000, v11
	v_xor_b32_e32 v13, 0x80000000, v13
	ds_write_b128 v14, v[10:13] offset:12704
; %bb.388:
	s_or_b64 exec, exec, s[8:9]
	s_waitcnt lgkmcnt(0)
	s_barrier
	s_barrier
	s_and_saveexec_b64 s[8:9], vcc
	s_cbranch_execz .LBB175_390
; %bb.389:
	s_mov_b32 s12, 0
	s_mov_b32 s13, 0x3ff00000
	s_mov_b32 s14, s12
	s_mov_b32 s15, s12
	v_mov_b32_e32 v10, s12
	v_mov_b32_e32 v24, 0
	;; [unrolled: 1-line block ×5, first 2 shown]
	ds_write_b128 v24, v[10:13] offset:13728
	ds_write_b128 v24, v[10:13] offset:14256
.LBB175_390:
	s_or_b64 exec, exec, s[8:9]
	v_mov_b32_e32 v12, 0
	v_mov_b32_e32 v10, 0
	;; [unrolled: 1-line block ×4, first 2 shown]
	s_waitcnt lgkmcnt(0)
	s_barrier
	s_and_saveexec_b64 s[10:11], s[2:3]
	s_cbranch_execz .LBB175_396
; %bb.391:
	v_mul_u32_u24_e32 v24, 0x210, v23
	ds_read_b128 v[10:13], v24 offset:12672
	ds_read_b128 v[25:28], v17 offset:12736
	v_cmp_gt_u32_e64 s[8:9], 12, v22
	s_waitcnt lgkmcnt(0)
	v_mul_f64 v[29:30], v[12:13], v[27:28]
	v_mul_f64 v[27:28], v[10:11], v[27:28]
	v_fma_f64 v[10:11], v[10:11], v[25:26], -v[29:30]
	v_fma_f64 v[12:13], v[12:13], v[25:26], v[27:28]
	v_add_f64 v[10:11], v[10:11], 0
	v_add_f64 v[12:13], v[12:13], 0
	s_and_saveexec_b64 s[12:13], s[8:9]
	s_cbranch_execnz .LBB175_511
; %bb.392:
	s_or_b64 exec, exec, s[12:13]
	v_cmp_gt_u32_e64 s[8:9], 8, v22
	s_and_saveexec_b64 s[12:13], s[8:9]
	s_cbranch_execnz .LBB175_512
.LBB175_393:
	s_or_b64 exec, exec, s[12:13]
	v_cmp_gt_u32_e64 s[8:9], 4, v22
	s_and_saveexec_b64 s[12:13], s[8:9]
	s_cbranch_execz .LBB175_395
.LBB175_394:
	v_mov_b32_e32 v23, 0
	v_lshlrev_b32_e32 v20, 4, v0
	ds_read_b128 v[23:26], v23 offset:12720
	ds_read_b128 v[27:30], v20 offset:14272
	s_waitcnt lgkmcnt(0)
	v_mul_f64 v[31:32], v[25:26], v[29:30]
	v_mul_f64 v[29:30], v[23:24], v[29:30]
	v_fma_f64 v[23:24], v[23:24], v[27:28], -v[31:32]
	v_fma_f64 v[25:26], v[25:26], v[27:28], v[29:30]
	v_add_f64 v[10:11], v[10:11], v[23:24]
	v_add_f64 v[12:13], v[12:13], v[25:26]
.LBB175_395:
	s_or_b64 exec, exec, s[12:13]
	v_xor_b32_e32 v11, 0x80000000, v11
	v_xor_b32_e32 v13, 0x80000000, v13
.LBB175_396:
	s_or_b64 exec, exec, s[10:11]
	s_and_saveexec_b64 s[8:9], s[42:43]
; %bb.397:
	ds_write_b128 v19, v[10:13]
; %bb.398:
	s_or_b64 exec, exec, s[8:9]
	s_waitcnt lgkmcnt(0)
	s_barrier
	s_and_saveexec_b64 s[8:9], s[44:45]
	s_cbranch_execz .LBB175_400
; %bb.399:
	ds_read_b128 v[23:26], v19
	ds_read_b128 v[27:30], v18 offset:14784
	s_waitcnt lgkmcnt(0)
	v_mul_f64 v[31:32], v[25:26], v[29:30]
	v_mul_f64 v[29:30], v[23:24], v[29:30]
	v_fma_f64 v[23:24], v[23:24], v[27:28], -v[31:32]
	v_fma_f64 v[25:26], v[25:26], v[27:28], v[29:30]
	v_add_f64 v[10:11], v[10:11], v[23:24]
	v_add_f64 v[12:13], v[12:13], v[25:26]
.LBB175_400:
	s_or_b64 exec, exec, s[8:9]
	s_barrier
	s_and_saveexec_b64 s[8:9], s[46:47]
; %bb.401:
	ds_write_b128 v19, v[10:13]
; %bb.402:
	s_or_b64 exec, exec, s[8:9]
	s_waitcnt lgkmcnt(0)
	s_barrier
	s_and_saveexec_b64 s[8:9], s[48:49]
	s_cbranch_execz .LBB175_404
; %bb.403:
	ds_read_b128 v[23:26], v19
	ds_read_b128 v[27:30], v18 offset:15296
	s_waitcnt lgkmcnt(0)
	v_mul_f64 v[31:32], v[25:26], v[29:30]
	v_mul_f64 v[29:30], v[23:24], v[29:30]
	v_fma_f64 v[23:24], v[23:24], v[27:28], -v[31:32]
	v_fma_f64 v[25:26], v[25:26], v[27:28], v[29:30]
	v_add_f64 v[10:11], v[10:11], v[23:24]
	v_add_f64 v[12:13], v[12:13], v[25:26]
.LBB175_404:
	s_or_b64 exec, exec, s[8:9]
	s_barrier
	s_and_saveexec_b64 s[8:9], s[50:51]
; %bb.405:
	ds_write_b128 v19, v[10:13]
; %bb.406:
	s_or_b64 exec, exec, s[8:9]
	s_waitcnt lgkmcnt(0)
	s_barrier
	s_and_saveexec_b64 s[8:9], s[40:41]
	s_cbranch_execz .LBB175_408
; %bb.407:
	v_mov_b32_e32 v18, 0
	ds_read_b128 v[23:26], v19
	ds_read_b128 v[27:30], v18 offset:15856
	s_waitcnt lgkmcnt(0)
	v_mul_f64 v[31:32], v[25:26], v[29:30]
	v_mul_f64 v[29:30], v[23:24], v[29:30]
	v_fma_f64 v[23:24], v[23:24], v[27:28], -v[31:32]
	v_fma_f64 v[25:26], v[25:26], v[27:28], v[29:30]
	v_add_f64 v[10:11], v[10:11], v[23:24]
	v_add_f64 v[12:13], v[12:13], v[25:26]
.LBB175_408:
	s_or_b64 exec, exec, s[8:9]
	s_barrier
	s_and_saveexec_b64 s[8:9], s[40:41]
; %bb.409:
	ds_write_b128 v19, v[10:13]
; %bb.410:
	s_or_b64 exec, exec, s[8:9]
	s_waitcnt lgkmcnt(0)
	s_barrier
	s_barrier
	s_and_saveexec_b64 s[8:9], s[2:3]
; %bb.411:
	v_xor_b32_e32 v13, 0x80000000, v13
	v_xor_b32_e32 v11, 0x80000000, v11
	ds_write_b128 v17, v[10:13] offset:12736
; %bb.412:
	s_or_b64 exec, exec, s[8:9]
	s_waitcnt lgkmcnt(0)
	s_barrier
	s_barrier
	s_and_saveexec_b64 s[2:3], vcc
	s_cbranch_execz .LBB175_414
; %bb.413:
	s_mov_b32 s8, 0
	s_mov_b32 s11, s8
	;; [unrolled: 1-line block ×4, first 2 shown]
	v_mov_b32_e32 v13, s11
	v_mov_b32_e32 v17, 0
	;; [unrolled: 1-line block ×5, first 2 shown]
	ds_write_b128 v17, v[10:13] offset:14784
	ds_write_b128 v17, v[10:13] offset:15312
.LBB175_414:
	s_or_b64 exec, exec, s[2:3]
	v_mov_b32_e32 v12, 0
	v_mov_b32_e32 v10, 0
	;; [unrolled: 1-line block ×4, first 2 shown]
	s_waitcnt lgkmcnt(0)
	s_barrier
	s_and_saveexec_b64 s[8:9], s[0:1]
	s_cbranch_execz .LBB175_418
; %bb.415:
	v_mul_u32_u24_e32 v10, 0x210, v16
	ds_read_b128 v[10:13], v10 offset:14784
	ds_read_b128 v[16:19], v14 offset:14816
	v_cmp_gt_u32_e64 s[2:3], 2, v22
	s_waitcnt lgkmcnt(0)
	v_mul_f64 v[23:24], v[12:13], v[18:19]
	v_mul_f64 v[18:19], v[10:11], v[18:19]
	v_fma_f64 v[10:11], v[10:11], v[16:17], -v[23:24]
	v_fma_f64 v[12:13], v[12:13], v[16:17], v[18:19]
	v_add_f64 v[10:11], v[10:11], 0
	v_add_f64 v[12:13], v[12:13], 0
	s_and_saveexec_b64 s[10:11], s[2:3]
	s_cbranch_execz .LBB175_417
; %bb.416:
	v_mov_b32_e32 v16, 0
	v_lshlrev_b32_e32 v20, 4, v0
	ds_read_b128 v[16:19], v16 offset:14800
	ds_read_b128 v[23:26], v20 offset:15328
	s_waitcnt lgkmcnt(0)
	v_mul_f64 v[27:28], v[18:19], v[25:26]
	v_mul_f64 v[25:26], v[16:17], v[25:26]
	v_fma_f64 v[16:17], v[16:17], v[23:24], -v[27:28]
	v_fma_f64 v[18:19], v[18:19], v[23:24], v[25:26]
	v_add_f64 v[10:11], v[10:11], v[16:17]
	v_add_f64 v[12:13], v[12:13], v[18:19]
.LBB175_417:
	s_or_b64 exec, exec, s[10:11]
	v_xor_b32_e32 v11, 0x80000000, v11
	v_xor_b32_e32 v13, 0x80000000, v13
.LBB175_418:
	s_or_b64 exec, exec, s[8:9]
	s_and_saveexec_b64 s[2:3], s[38:39]
; %bb.419:
	ds_write_b128 v15, v[10:13]
; %bb.420:
	s_or_b64 exec, exec, s[2:3]
	s_waitcnt lgkmcnt(0)
	s_barrier
	s_and_saveexec_b64 s[2:3], s[36:37]
	s_cbranch_execz .LBB175_422
; %bb.421:
	v_mov_b32_e32 v20, 0
	ds_read_b128 v[16:19], v15
	ds_read_b128 v[23:26], v20 offset:15856
	s_waitcnt lgkmcnt(0)
	v_mul_f64 v[27:28], v[18:19], v[25:26]
	v_mul_f64 v[25:26], v[16:17], v[25:26]
	v_fma_f64 v[16:17], v[16:17], v[23:24], -v[27:28]
	v_fma_f64 v[18:19], v[18:19], v[23:24], v[25:26]
	v_add_f64 v[10:11], v[10:11], v[16:17]
	v_add_f64 v[12:13], v[12:13], v[18:19]
.LBB175_422:
	s_or_b64 exec, exec, s[2:3]
	s_barrier
	s_and_saveexec_b64 s[2:3], s[36:37]
; %bb.423:
	ds_write_b128 v15, v[10:13]
; %bb.424:
	s_or_b64 exec, exec, s[2:3]
	s_waitcnt lgkmcnt(0)
	s_barrier
	s_barrier
	s_and_saveexec_b64 s[2:3], s[0:1]
; %bb.425:
	v_xor_b32_e32 v11, 0x80000000, v11
	v_xor_b32_e32 v13, 0x80000000, v13
	ds_write_b128 v14, v[10:13] offset:14816
; %bb.426:
	s_or_b64 exec, exec, s[2:3]
	s_waitcnt lgkmcnt(0)
	s_barrier
	s_barrier
	s_and_saveexec_b64 s[0:1], vcc
	s_cbranch_execz .LBB175_428
; %bb.427:
	s_mov_b32 s8, 0
	s_mov_b32 s11, s8
	;; [unrolled: 1-line block ×4, first 2 shown]
	v_mov_b32_e32 v13, s11
	v_mov_b32_e32 v14, 0
	;; [unrolled: 1-line block ×5, first 2 shown]
	ds_write_b128 v14, v[10:13] offset:15840
	ds_write_b128 v14, v[10:13] offset:16368
.LBB175_428:
	s_or_b64 exec, exec, s[0:1]
.LBB175_429:
	s_lshl_b64 s[0:1], s[16:17], 4
	s_add_u32 s30, s30, s0
	v_cmp_le_i32_e32 vcc, s7, v0
	v_mov_b32_e32 v10, 0
	s_addc_u32 s31, s31, s1
	s_and_b64 s[14:15], vcc, s[28:29]
	v_mov_b32_e32 v11, 0
	v_cmp_eq_u32_e64 s[0:1], 0, v1
	s_xor_b64 s[2:3], s[14:15], -1
	v_mov_b32_e32 v13, v11
	s_and_b64 s[8:9], s[0:1], s[2:3]
	v_lshl_add_u32 v15, s6, 5, v0
	v_mov_b32_e32 v12, v10
	s_waitcnt lgkmcnt(0)
	s_barrier
	s_and_saveexec_b64 s[2:3], s[8:9]
	s_cbranch_execz .LBB175_431
; %bb.430:
	v_ashrrev_i32_e32 v12, 31, v15
	v_mul_lo_u32 v13, s19, v15
	v_mad_u64_u32 v[10:11], s[8:9], s18, v15, 0
	v_mul_lo_u32 v12, s18, v12
	v_add3_u32 v11, v11, v12, v13
	v_lshlrev_b64 v[10:11], 4, v[10:11]
	v_mov_b32_e32 v12, s31
	v_add_co_u32_e32 v10, vcc, s30, v10
	v_addc_co_u32_e32 v11, vcc, v12, v11, vcc
	flat_load_dwordx4 v[16:19], v[10:11]
	s_waitcnt vmcnt(0) lgkmcnt(0)
	v_mul_f64 v[10:11], s[20:21], v[16:17]
	v_mul_f64 v[12:13], s[20:21], v[18:19]
	v_fma_f64 v[10:11], s[22:23], v[18:19], -v[10:11]
	v_fma_f64 v[12:13], v[16:17], -s[22:23], -v[12:13]
.LBB175_431:
	s_or_b64 exec, exec, s[2:3]
	s_load_dwordx2 s[12:13], s[4:5], 0x50
	s_and_b32 s2, 0xffff, s86
	v_mad_u32_u24 v23, v1, s2, v0
	v_mov_b32_e32 v14, 0
	s_cmp_lt_i32 s6, 1
	v_cmp_eq_u32_e64 s[2:3], 0, v23
	s_cbranch_scc1 .LBB175_454
; %bb.432:
	v_mov_b32_e32 v16, v14
	v_cmp_gt_i32_e64 s[10:11], s33, v15
	v_lshlrev_b64 v[15:16], 4, v[15:16]
	s_lshl_b64 s[4:5], s[24:25], 2
	v_mov_b32_e32 v17, 0x6000
	s_waitcnt lgkmcnt(0)
	s_add_u32 s16, s12, s4
	v_lshl_add_u32 v24, v23, 4, v17
	v_lshl_or_b32 v25, v1, 4, v17
	v_mov_b32_e32 v17, s85
	v_add_co_u32_e32 v26, vcc, s84, v15
	s_mov_b32 s36, 0
	s_addc_u32 s17, s13, s5
	v_cmp_gt_u32_e64 s[4:5], 32, v23
	s_add_i32 s37, s6, -1
	v_addc_co_u32_e32 v27, vcc, v17, v16, vcc
	s_lshl_b64 s[20:21], s[26:27], 8
	v_mov_b32_e32 v28, -1
	s_branch .LBB175_435
.LBB175_433:                            ;   in Loop: Header=BB175_435 Depth=1
	ds_read_b128 v[29:32], v25 offset:256
	s_waitcnt vmcnt(0) lgkmcnt(0)
	v_mul_f64 v[17:18], v[19:20], v[31:32]
	v_mul_f64 v[31:32], v[15:16], v[31:32]
	v_fma_f64 v[15:16], v[15:16], v[29:30], -v[17:18]
	v_fma_f64 v[17:18], v[19:20], v[29:30], v[31:32]
	v_add_f64 v[10:11], v[10:11], v[15:16]
	v_add_f64 v[12:13], v[12:13], v[17:18]
.LBB175_434:                            ;   in Loop: Header=BB175_435 Depth=1
	s_or_b64 exec, exec, s[22:23]
	s_add_i32 s36, s36, 1
	s_cmp_eq_u32 s36, s6
	s_cbranch_scc1 .LBB175_454
.LBB175_435:                            ; =>This Loop Header: Depth=1
                                        ;     Child Loop BB175_437 Depth 2
	v_cmp_gt_i32_e32 vcc, s36, v28
	s_and_b64 s[22:23], s[2:3], vcc
	s_and_saveexec_b64 s[8:9], s[22:23]
	s_cbranch_execz .LBB175_438
; %bb.436:                              ;   in Loop: Header=BB175_435 Depth=1
	global_load_dword v28, v14, s[16:17]
	s_waitcnt vmcnt(0)
	v_cmp_le_i32_e32 vcc, s36, v28
	s_cbranch_vccnz .LBB175_438
.LBB175_437:                            ;   Parent Loop BB175_435 Depth=1
                                        ; =>  This Inner Loop Header: Depth=2
	buffer_wbinvl1_vol
	global_load_dword v28, v14, s[16:17]
	s_waitcnt vmcnt(0)
	v_cmp_gt_i32_e32 vcc, s36, v28
	s_cbranch_vccnz .LBB175_437
.LBB175_438:                            ;   in Loop: Header=BB175_435 Depth=1
	s_or_b64 exec, exec, s[8:9]
	s_lshl_b32 s38, s36, 5
	buffer_wbinvl1_vol
	s_barrier
	s_and_saveexec_b64 s[8:9], s[4:5]
	s_cbranch_execz .LBB175_443
; %bb.439:                              ;   in Loop: Header=BB175_435 Depth=1
	v_or_b32_e32 v15, s38, v23
	v_cmp_le_i32_e32 vcc, s33, v15
	s_and_saveexec_b64 s[22:23], vcc
	s_xor_b64 s[22:23], exec, s[22:23]
; %bb.440:                              ;   in Loop: Header=BB175_435 Depth=1
	v_mov_b32_e32 v15, v14
	v_mov_b32_e32 v16, v14
	;; [unrolled: 1-line block ×3, first 2 shown]
	ds_write_b128 v24, v[14:17]
                                        ; implicit-def: $vgpr15
; %bb.441:                              ;   in Loop: Header=BB175_435 Depth=1
	s_andn2_saveexec_b64 s[22:23], s[22:23]
	s_cbranch_execz .LBB175_443
; %bb.442:                              ;   in Loop: Header=BB175_435 Depth=1
	v_mad_u64_u32 v[16:17], s[22:23], s18, v15, 0
	v_mad_u64_u32 v[17:18], s[22:23], s19, v15, v[17:18]
	v_mov_b32_e32 v18, s31
	v_lshlrev_b64 v[15:16], 4, v[16:17]
	v_add_co_u32_e32 v15, vcc, s30, v15
	v_addc_co_u32_e32 v16, vcc, v18, v16, vcc
	flat_load_dwordx4 v[15:18], v[15:16]
	s_waitcnt vmcnt(0) lgkmcnt(0)
	ds_write2_b64 v24, v[15:16], v[17:18] offset1:1
.LBB175_443:                            ;   in Loop: Header=BB175_435 Depth=1
	s_or_b64 exec, exec, s[8:9]
	v_add_u32_e32 v29, s38, v1
	v_mad_u64_u32 v[15:16], s[8:9], s26, v29, 0
	s_cmp_lg_u32 s36, s37
	s_waitcnt lgkmcnt(0)
	v_mad_u64_u32 v[16:17], s[8:9], s27, v29, v[16:17]
	s_cselect_b64 s[8:9], -1, 0
	v_cndmask_b32_e64 v17, 0, 1, s[8:9]
	v_lshlrev_b64 v[15:16], 4, v[15:16]
	v_cmp_ne_u32_e64 s[8:9], 1, v17
	v_add_co_u32_e32 v15, vcc, v26, v15
	v_addc_co_u32_e32 v16, vcc, v27, v16, vcc
	v_cmp_gt_i32_e32 vcc, s33, v29
	s_and_b64 s[38:39], s[10:11], vcc
	s_barrier
	s_and_saveexec_b64 s[22:23], s[38:39]
	s_cbranch_execz .LBB175_449
; %bb.444:                              ;   in Loop: Header=BB175_435 Depth=1
	v_mov_b32_e32 v18, v3
	s_and_b64 vcc, exec, s[8:9]
	v_mov_b32_e32 v17, v2
	s_cbranch_vccnz .LBB175_446
; %bb.445:                              ;   in Loop: Header=BB175_435 Depth=1
	flat_load_dwordx2 v[17:18], v[15:16]
.LBB175_446:                            ;   in Loop: Header=BB175_435 Depth=1
	v_mov_b32_e32 v20, v5
	s_and_b64 vcc, exec, s[8:9]
	v_mov_b32_e32 v19, v4
	s_cbranch_vccnz .LBB175_448
; %bb.447:                              ;   in Loop: Header=BB175_435 Depth=1
	flat_load_dwordx2 v[19:20], v[15:16] offset:8
.LBB175_448:                            ;   in Loop: Header=BB175_435 Depth=1
	ds_read_b128 v[30:33], v25
	s_waitcnt vmcnt(0) lgkmcnt(0)
	v_mul_f64 v[34:35], v[19:20], v[32:33]
	v_mul_f64 v[32:33], v[17:18], v[32:33]
	v_fma_f64 v[17:18], v[17:18], v[30:31], -v[34:35]
	v_fma_f64 v[19:20], v[19:20], v[30:31], v[32:33]
	v_add_f64 v[10:11], v[10:11], v[17:18]
	v_add_f64 v[12:13], v[12:13], v[19:20]
.LBB175_449:                            ;   in Loop: Header=BB175_435 Depth=1
	s_or_b64 exec, exec, s[22:23]
	v_add_u32_e32 v17, 16, v29
	v_cmp_gt_i32_e32 vcc, s33, v17
	s_and_b64 s[38:39], s[10:11], vcc
	s_and_saveexec_b64 s[22:23], s[38:39]
	s_cbranch_execz .LBB175_434
; %bb.450:                              ;   in Loop: Header=BB175_435 Depth=1
	v_mov_b32_e32 v18, s21
	v_add_co_u32_e32 v17, vcc, s20, v15
	v_addc_co_u32_e32 v18, vcc, v16, v18, vcc
	v_mov_b32_e32 v16, v7
	s_and_b64 vcc, exec, s[8:9]
	v_mov_b32_e32 v15, v6
	s_cbranch_vccnz .LBB175_452
; %bb.451:                              ;   in Loop: Header=BB175_435 Depth=1
	flat_load_dwordx2 v[15:16], v[17:18]
.LBB175_452:                            ;   in Loop: Header=BB175_435 Depth=1
	v_mov_b32_e32 v20, v9
	s_and_b64 vcc, exec, s[8:9]
	v_mov_b32_e32 v19, v8
	s_cbranch_vccnz .LBB175_433
; %bb.453:                              ;   in Loop: Header=BB175_435 Depth=1
	flat_load_dwordx2 v[19:20], v[17:18] offset:8
	s_branch .LBB175_433
.LBB175_454:
	s_xor_b64 s[2:3], s[28:29], -1
	s_xor_b64 s[4:5], s[34:35], -1
	v_lshlrev_b32_e32 v6, 4, v22
	ds_write_b128 v6, v[10:13] offset:16384
	s_waitcnt lgkmcnt(0)
	s_barrier
	s_and_saveexec_b64 s[8:9], s[0:1]
	s_cbranch_execz .LBB175_456
; %bb.455:
	v_lshlrev_b32_e32 v18, 4, v0
	ds_read_b128 v[2:5], v18 offset:16896
	ds_read_b128 v[14:17], v18 offset:17408
	s_waitcnt lgkmcnt(1)
	v_add_f64 v[2:3], v[10:11], v[2:3]
	v_add_f64 v[4:5], v[12:13], v[4:5]
	s_waitcnt lgkmcnt(0)
	v_add_f64 v[11:12], v[2:3], v[14:15]
	v_add_f64 v[13:14], v[4:5], v[16:17]
	ds_read_b128 v[2:5], v18 offset:17920
	ds_read_b128 v[7:10], v18 offset:18432
	s_waitcnt lgkmcnt(1)
	v_add_f64 v[2:3], v[11:12], v[2:3]
	v_add_f64 v[4:5], v[13:14], v[4:5]
	s_waitcnt lgkmcnt(0)
	v_add_f64 v[11:12], v[2:3], v[7:8]
	v_add_f64 v[13:14], v[4:5], v[9:10]
	;; [unrolled: 8-line block ×7, first 2 shown]
	ds_read_b128 v[2:5], v18 offset:24064
	s_waitcnt lgkmcnt(0)
	v_add_f64 v[2:3], v[7:8], v[2:3]
	v_add_f64 v[4:5], v[9:10], v[4:5]
	v_xor_b32_e32 v3, 0x80000000, v3
	v_xor_b32_e32 v5, 0x80000000, v5
	v_cndmask_b32_e64 v10, v2, 0, s[14:15]
	v_cndmask_b32_e64 v11, v3, 0, s[14:15]
	;; [unrolled: 1-line block ×4, first 2 shown]
.LBB175_456:
	s_or_b64 exec, exec, s[8:9]
	s_andn2_b64 vcc, exec, s[4:5]
	s_cbranch_vccnz .LBB175_465
; %bb.457:
	v_mov_b32_e32 v2, 0x6000
	v_lshl_or_b32 v7, v1, 4, v2
	s_and_saveexec_b64 s[4:5], s[0:1]
; %bb.458:
	v_lshl_add_u32 v2, v0, 4, v7
	ds_write_b128 v2, v[10:13]
; %bb.459:
	s_or_b64 exec, exec, s[4:5]
	v_mov_b32_e32 v2, 0
	v_mov_b32_e32 v4, 0
	;; [unrolled: 1-line block ×4, first 2 shown]
	v_cmp_ge_u32_e32 vcc, v0, v1
	s_waitcnt lgkmcnt(0)
	s_barrier
	s_and_saveexec_b64 s[4:5], vcc
	s_cbranch_execz .LBB175_461
; %bb.460:
	ds_read_b128 v[2:5], v7
	ds_read_b128 v[14:17], v6
	s_waitcnt lgkmcnt(0)
	v_mul_f64 v[8:9], v[4:5], v[16:17]
	v_mul_f64 v[16:17], v[2:3], v[16:17]
	v_fma_f64 v[2:3], v[2:3], v[14:15], -v[8:9]
	v_fma_f64 v[4:5], v[4:5], v[14:15], v[16:17]
	v_add_f64 v[2:3], v[2:3], 0
	v_add_f64 v[4:5], v[4:5], 0
.LBB175_461:
	s_or_b64 exec, exec, s[4:5]
	v_add_u32_e32 v1, 16, v1
	v_add_u32_e32 v8, 0x4000, v6
	v_cmp_ge_u32_e32 vcc, v0, v1
	s_and_saveexec_b64 s[4:5], vcc
	s_cbranch_execz .LBB175_463
; %bb.462:
	ds_read_b128 v[14:17], v7 offset:256
	ds_read_b128 v[24:27], v6 offset:8192
	s_waitcnt lgkmcnt(0)
	v_mul_f64 v[6:7], v[16:17], v[26:27]
	v_mul_f64 v[18:19], v[14:15], v[26:27]
	v_fma_f64 v[6:7], v[14:15], v[24:25], -v[6:7]
	v_fma_f64 v[14:15], v[16:17], v[24:25], v[18:19]
	v_add_f64 v[2:3], v[2:3], v[6:7]
	v_add_f64 v[4:5], v[4:5], v[14:15]
.LBB175_463:
	s_or_b64 exec, exec, s[4:5]
	s_mov_b64 s[8:9], 0
	s_mov_b64 s[4:5], 0
	ds_write_b128 v8, v[2:5]
	s_waitcnt lgkmcnt(0)
	s_barrier
                                        ; implicit-def: $vgpr8_vgpr9
                                        ; implicit-def: $vgpr14_vgpr15
                                        ; implicit-def: $vgpr6_vgpr7
	s_and_saveexec_b64 s[10:11], s[0:1]
	s_cbranch_execz .LBB175_478
; %bb.464:
	v_lshlrev_b32_e32 v18, 4, v0
	ds_read_b128 v[6:9], v18 offset:16896
	ds_read_b128 v[14:17], v18 offset:17408
	s_mov_b64 s[4:5], exec
	s_waitcnt lgkmcnt(1)
	v_add_f64 v[1:2], v[2:3], v[6:7]
	v_add_f64 v[3:4], v[4:5], v[8:9]
	s_waitcnt lgkmcnt(0)
	v_add_f64 v[14:15], v[1:2], v[14:15]
	v_add_f64 v[16:17], v[3:4], v[16:17]
	ds_read_b128 v[1:4], v18 offset:17920
	ds_read_b128 v[5:8], v18 offset:18432
	s_waitcnt lgkmcnt(1)
	v_add_f64 v[1:2], v[14:15], v[1:2]
	v_add_f64 v[3:4], v[16:17], v[3:4]
	s_waitcnt lgkmcnt(0)
	v_add_f64 v[14:15], v[1:2], v[5:6]
	v_add_f64 v[16:17], v[3:4], v[7:8]
	ds_read_b128 v[1:4], v18 offset:18944
	ds_read_b128 v[5:8], v18 offset:19456
	;; [unrolled: 8-line block ×6, first 2 shown]
	s_waitcnt lgkmcnt(1)
	v_add_f64 v[1:2], v[14:15], v[1:2]
	v_add_f64 v[3:4], v[16:17], v[3:4]
	s_waitcnt lgkmcnt(0)
	v_add_f64 v[14:15], v[1:2], v[5:6]
	v_add_f64 v[8:9], v[3:4], v[7:8]
	ds_read_b128 v[1:4], v18 offset:24064
	v_lshl_add_u32 v5, s6, 5, v23
	v_mad_u64_u32 v[6:7], s[14:15], s18, v5, 0
	s_waitcnt lgkmcnt(0)
	v_add_f64 v[14:15], v[14:15], v[1:2]
	v_add_f64 v[8:9], v[8:9], v[3:4]
	v_mov_b32_e32 v1, v7
	v_mad_u64_u32 v[1:2], s[14:15], s19, v5, v[1:2]
	v_mov_b32_e32 v7, v1
	s_or_b64 exec, exec, s[10:11]
	s_and_b64 vcc, exec, s[8:9]
	s_cbranch_vccnz .LBB175_466
	s_branch .LBB175_479
.LBB175_465:
	s_mov_b64 s[4:5], 0
                                        ; implicit-def: $vgpr8_vgpr9
                                        ; implicit-def: $vgpr14_vgpr15
                                        ; implicit-def: $vgpr6_vgpr7
	s_cbranch_execz .LBB175_479
.LBB175_466:
	s_mov_b32 s10, 0
	v_mov_b32_e32 v1, 0
	v_mov_b32_e32 v2, v0
	s_branch .LBB175_468
.LBB175_467:                            ;   in Loop: Header=BB175_468 Depth=1
	s_or_b64 exec, exec, s[8:9]
	s_add_i32 s10, s10, 2
	v_add_u32_e32 v21, 0x400, v21
	s_cmp_lg_u32 s10, 32
	v_add_u32_e32 v2, -2, v2
	s_barrier
	s_cbranch_scc0 .LBB175_476
.LBB175_468:                            ; =>This Inner Loop Header: Depth=1
	v_cmp_eq_u32_e32 vcc, 0, v2
	s_and_b64 s[14:15], s[0:1], vcc
	s_and_saveexec_b64 s[8:9], s[14:15]
; %bb.469:                              ;   in Loop: Header=BB175_468 Depth=1
	ds_write_b128 v1, v[10:13] offset:25088
; %bb.470:                              ;   in Loop: Header=BB175_468 Depth=1
	s_or_b64 exec, exec, s[8:9]
	v_cmp_lt_u32_e32 vcc, s10, v0
	s_and_b64 s[14:15], s[0:1], vcc
	s_waitcnt lgkmcnt(0)
	s_barrier
	s_and_saveexec_b64 s[8:9], s[14:15]
	s_cbranch_execz .LBB175_472
; %bb.471:                              ;   in Loop: Header=BB175_468 Depth=1
	ds_read_b128 v[3:6], v1 offset:25088
	ds_read_b128 v[14:17], v21
	s_waitcnt lgkmcnt(0)
	v_mul_f64 v[7:8], v[5:6], v[16:17]
	v_mul_f64 v[16:17], v[3:4], v[16:17]
	v_fma_f64 v[3:4], v[3:4], v[14:15], -v[7:8]
	v_fma_f64 v[5:6], v[5:6], v[14:15], v[16:17]
	v_add_f64 v[10:11], v[10:11], v[3:4]
	v_add_f64 v[12:13], v[12:13], v[5:6]
.LBB175_472:                            ;   in Loop: Header=BB175_468 Depth=1
	s_or_b64 exec, exec, s[8:9]
	s_or_b32 s11, s10, 1
	v_cmp_eq_u32_e32 vcc, s11, v0
	s_and_b64 s[14:15], s[0:1], vcc
	s_barrier
	s_and_saveexec_b64 s[8:9], s[14:15]
; %bb.473:                              ;   in Loop: Header=BB175_468 Depth=1
	ds_write_b128 v1, v[10:13] offset:25088
; %bb.474:                              ;   in Loop: Header=BB175_468 Depth=1
	s_or_b64 exec, exec, s[8:9]
	v_cmp_lt_u32_e32 vcc, s11, v0
	s_and_b64 s[14:15], s[0:1], vcc
	s_waitcnt lgkmcnt(0)
	s_barrier
	s_and_saveexec_b64 s[8:9], s[14:15]
	s_cbranch_execz .LBB175_467
; %bb.475:                              ;   in Loop: Header=BB175_468 Depth=1
	ds_read_b128 v[3:6], v1 offset:25088
	ds_read_b128 v[14:17], v21 offset:512
	s_waitcnt lgkmcnt(0)
	v_mul_f64 v[7:8], v[5:6], v[16:17]
	v_mul_f64 v[16:17], v[3:4], v[16:17]
	v_fma_f64 v[3:4], v[3:4], v[14:15], -v[7:8]
	v_fma_f64 v[5:6], v[5:6], v[14:15], v[16:17]
	v_add_f64 v[10:11], v[10:11], v[3:4]
	v_add_f64 v[12:13], v[12:13], v[5:6]
	s_branch .LBB175_467
.LBB175_476:
	s_and_b64 vcc, exec, s[2:3]
	s_cbranch_vccz .LBB175_480
; %bb.477:
	s_and_b64 s[2:3], s[0:1], exec
	s_cbranch_execz .LBB175_481
	s_branch .LBB175_482
.LBB175_478:
	s_or_b64 exec, exec, s[10:11]
	s_and_b64 vcc, exec, s[8:9]
	s_cbranch_vccnz .LBB175_466
.LBB175_479:
	v_mov_b32_e32 v13, v9
	v_mov_b32_e32 v10, v14
	;; [unrolled: 1-line block ×4, first 2 shown]
	s_and_saveexec_b64 s[0:1], s[4:5]
	s_cbranch_execnz .LBB175_485
	s_branch .LBB175_486
.LBB175_480:
	s_mov_b64 s[2:3], 0
.LBB175_481:
	v_cmp_gt_i32_e32 vcc, s7, v0
	s_and_b64 s[0:1], s[0:1], vcc
	s_andn2_b64 s[2:3], s[2:3], exec
	s_and_b64 s[0:1], s[0:1], exec
	s_or_b64 s[2:3], s[2:3], s[0:1]
.LBB175_482:
                                        ; implicit-def: $vgpr6_vgpr7
	s_and_saveexec_b64 s[0:1], s[2:3]
	s_cbranch_execz .LBB175_484
; %bb.483:
	s_lshl_b32 s2, s6, 5
	s_ashr_i32 s3, s2, 31
	v_mov_b32_e32 v0, s3
	v_add_co_u32_e32 v1, vcc, s2, v23
	v_addc_co_u32_e32 v0, vcc, 0, v0, vcc
	v_mul_lo_u32 v0, v0, s18
	v_mul_lo_u32 v2, v1, s19
	v_mad_u64_u32 v[6:7], s[2:3], v1, s18, 0
	s_or_b64 s[4:5], s[4:5], exec
	v_add3_u32 v7, v7, v2, v0
.LBB175_484:
	s_or_b64 exec, exec, s[0:1]
	s_and_saveexec_b64 s[0:1], s[4:5]
	s_cbranch_execz .LBB175_486
.LBB175_485:
	v_lshlrev_b64 v[0:1], 4, v[6:7]
	v_mov_b32_e32 v2, s31
	v_add_co_u32_e32 v0, vcc, s30, v0
	v_addc_co_u32_e32 v1, vcc, v2, v1, vcc
	flat_store_dwordx4 v[0:1], v[10:13]
.LBB175_486:
	s_or_b64 exec, exec, s[0:1]
	v_cmp_eq_u32_e32 vcc, 0, v23
	s_waitcnt vmcnt(0) lgkmcnt(0)
	buffer_wbinvl1_vol
	s_barrier
	s_and_saveexec_b64 s[0:1], vcc
	s_cbranch_execz .LBB175_488
; %bb.487:
	s_lshl_b64 s[2:3], s[24:25], 2
	s_add_u32 s2, s12, s2
	s_addc_u32 s3, s13, s3
	v_mov_b32_e32 v0, 0
	global_load_dword v1, v0, s[2:3]
	s_waitcnt vmcnt(0)
	v_add_u32_e32 v1, 1, v1
	global_store_dword v0, v1, s[2:3]
.LBB175_488:
	s_or_b64 exec, exec, s[0:1]
	s_waitcnt vmcnt(0)
	buffer_wbinvl1_vol
	s_endpgm
.LBB175_489:
	v_lshlrev_b32_e32 v24, 4, v23
	v_sub_u32_e32 v24, v19, v24
	v_lshl_add_u32 v28, v20, 4, v24
	ds_read_b128 v[24:27], v19 offset:16
	ds_read_b128 v[28:31], v28 offset:576
	s_waitcnt lgkmcnt(0)
	v_mul_f64 v[32:33], v[26:27], v[30:31]
	v_mul_f64 v[30:31], v[24:25], v[30:31]
	v_fma_f64 v[24:25], v[24:25], v[28:29], -v[32:33]
	v_fma_f64 v[26:27], v[26:27], v[28:29], v[30:31]
	v_add_f64 v[10:11], v[10:11], v[24:25]
	v_add_f64 v[12:13], v[12:13], v[26:27]
	s_or_b64 exec, exec, s[14:15]
	v_cmp_gt_u32_e64 s[10:11], 8, v22
	s_and_saveexec_b64 s[14:15], s[10:11]
	s_cbranch_execz .LBB175_55
.LBB175_490:
	ds_read_b128 v[24:27], v19 offset:32
	ds_read_b128 v[28:31], v17 offset:1088
	s_waitcnt lgkmcnt(0)
	v_mul_f64 v[32:33], v[26:27], v[30:31]
	v_mul_f64 v[30:31], v[24:25], v[30:31]
	v_fma_f64 v[24:25], v[24:25], v[28:29], -v[32:33]
	v_fma_f64 v[26:27], v[26:27], v[28:29], v[30:31]
	v_add_f64 v[10:11], v[10:11], v[24:25]
	v_add_f64 v[12:13], v[12:13], v[26:27]
	s_or_b64 exec, exec, s[14:15]
	v_cmp_gt_u32_e64 s[10:11], 4, v22
	s_and_saveexec_b64 s[14:15], s[10:11]
	s_cbranch_execnz .LBB175_56
	s_branch .LBB175_57
.LBB175_491:
	v_lshlrev_b32_e32 v29, 4, v28
	v_sub_u32_e32 v29, v26, v29
	v_lshl_add_u32 v33, v27, 4, v29
	ds_read_b128 v[29:32], v26 offset:16
	ds_read_b128 v[33:36], v33 offset:640
	s_waitcnt lgkmcnt(0)
	v_mul_f64 v[37:38], v[31:32], v[35:36]
	v_mul_f64 v[35:36], v[29:30], v[35:36]
	v_fma_f64 v[29:30], v[29:30], v[33:34], -v[37:38]
	v_fma_f64 v[31:32], v[31:32], v[33:34], v[35:36]
	v_add_f64 v[10:11], v[10:11], v[29:30]
	v_add_f64 v[12:13], v[12:13], v[31:32]
	s_or_b64 exec, exec, s[52:53]
	v_cmp_gt_u32_e64 s[10:11], 48, v22
	s_and_saveexec_b64 s[52:53], s[10:11]
	s_cbranch_execz .LBB175_93
.LBB175_492:
	v_lshlrev_b32_e32 v29, 4, v28
	v_sub_u32_e32 v29, v26, v29
	v_lshl_add_u32 v33, v27, 4, v29
	ds_read_b128 v[29:32], v26 offset:32
	ds_read_b128 v[33:36], v33 offset:1152
	s_waitcnt lgkmcnt(0)
	v_mul_f64 v[37:38], v[31:32], v[35:36]
	v_mul_f64 v[35:36], v[29:30], v[35:36]
	v_fma_f64 v[29:30], v[29:30], v[33:34], -v[37:38]
	v_fma_f64 v[31:32], v[31:32], v[33:34], v[35:36]
	v_add_f64 v[10:11], v[10:11], v[29:30]
	v_add_f64 v[12:13], v[12:13], v[31:32]
	s_or_b64 exec, exec, s[52:53]
	v_cmp_gt_u32_e64 s[10:11], 40, v22
	s_and_saveexec_b64 s[52:53], s[10:11]
	s_cbranch_execz .LBB175_94
.LBB175_493:
	v_lshlrev_b32_e32 v29, 4, v28
	v_sub_u32_e32 v29, v26, v29
	v_lshl_add_u32 v33, v27, 4, v29
	ds_read_b128 v[29:32], v26 offset:48
	ds_read_b128 v[33:36], v33 offset:1664
	s_waitcnt lgkmcnt(0)
	v_mul_f64 v[37:38], v[31:32], v[35:36]
	v_mul_f64 v[35:36], v[29:30], v[35:36]
	v_fma_f64 v[29:30], v[29:30], v[33:34], -v[37:38]
	v_fma_f64 v[31:32], v[31:32], v[33:34], v[35:36]
	v_add_f64 v[10:11], v[10:11], v[29:30]
	v_add_f64 v[12:13], v[12:13], v[31:32]
	s_or_b64 exec, exec, s[52:53]
	v_cmp_gt_u32_e64 s[10:11], 32, v22
	s_and_saveexec_b64 s[52:53], s[10:11]
	s_cbranch_execz .LBB175_95
.LBB175_494:
	ds_read_b128 v[29:32], v26 offset:64
	ds_read_b128 v[33:36], v24 offset:2176
	s_waitcnt lgkmcnt(0)
	v_mul_f64 v[37:38], v[31:32], v[35:36]
	v_mul_f64 v[35:36], v[29:30], v[35:36]
	v_fma_f64 v[29:30], v[29:30], v[33:34], -v[37:38]
	v_fma_f64 v[31:32], v[31:32], v[33:34], v[35:36]
	v_add_f64 v[10:11], v[10:11], v[29:30]
	v_add_f64 v[12:13], v[12:13], v[31:32]
	s_or_b64 exec, exec, s[52:53]
	v_cmp_gt_u32_e64 s[10:11], 24, v22
	s_and_saveexec_b64 s[52:53], s[10:11]
	s_cbranch_execz .LBB175_96
.LBB175_495:
	v_lshlrev_b32_e32 v29, 4, v28
	v_sub_u32_e32 v29, v26, v29
	v_lshl_add_u32 v33, v27, 4, v29
	ds_read_b128 v[29:32], v26 offset:80
	ds_read_b128 v[33:36], v33 offset:2688
	s_waitcnt lgkmcnt(0)
	v_mul_f64 v[37:38], v[31:32], v[35:36]
	v_mul_f64 v[35:36], v[29:30], v[35:36]
	v_fma_f64 v[29:30], v[29:30], v[33:34], -v[37:38]
	v_fma_f64 v[31:32], v[31:32], v[33:34], v[35:36]
	v_add_f64 v[10:11], v[10:11], v[29:30]
	v_add_f64 v[12:13], v[12:13], v[31:32]
	s_or_b64 exec, exec, s[52:53]
	v_cmp_gt_u32_e64 s[10:11], 16, v22
	s_and_saveexec_b64 s[52:53], s[10:11]
	s_cbranch_execz .LBB175_97
.LBB175_496:
	ds_read_b128 v[29:32], v26 offset:96
	ds_read_b128 v[33:36], v24 offset:3200
	s_waitcnt lgkmcnt(0)
	v_mul_f64 v[37:38], v[31:32], v[35:36]
	v_mul_f64 v[35:36], v[29:30], v[35:36]
	v_fma_f64 v[29:30], v[29:30], v[33:34], -v[37:38]
	v_fma_f64 v[31:32], v[31:32], v[33:34], v[35:36]
	v_add_f64 v[10:11], v[10:11], v[29:30]
	v_add_f64 v[12:13], v[12:13], v[31:32]
	s_or_b64 exec, exec, s[52:53]
	v_cmp_gt_u32_e64 s[10:11], 8, v22
	s_and_saveexec_b64 s[52:53], s[10:11]
	s_cbranch_execnz .LBB175_98
	s_branch .LBB175_99
.LBB175_497:
	v_lshlrev_b32_e32 v30, 4, v23
	v_sub_u32_e32 v30, v29, v30
	v_lshl_add_u32 v34, v20, 4, v30
	ds_read_b128 v[30:33], v29 offset:4240
	ds_read_b128 v[34:37], v34 offset:4800
	s_waitcnt lgkmcnt(0)
	v_mul_f64 v[38:39], v[32:33], v[36:37]
	v_mul_f64 v[36:37], v[30:31], v[36:37]
	v_fma_f64 v[30:31], v[30:31], v[34:35], -v[38:39]
	v_fma_f64 v[32:33], v[32:33], v[34:35], v[36:37]
	v_add_f64 v[10:11], v[10:11], v[30:31]
	v_add_f64 v[12:13], v[12:13], v[32:33]
	s_or_b64 exec, exec, s[14:15]
	v_cmp_gt_u32_e64 s[8:9], 8, v22
	s_and_saveexec_b64 s[14:15], s[8:9]
	s_cbranch_execz .LBB175_151
.LBB175_498:
	ds_read_b128 v[29:32], v29 offset:4256
	ds_read_b128 v[33:36], v17 offset:5312
	s_waitcnt lgkmcnt(0)
	v_mul_f64 v[37:38], v[31:32], v[35:36]
	v_mul_f64 v[35:36], v[29:30], v[35:36]
	v_fma_f64 v[29:30], v[29:30], v[33:34], -v[37:38]
	v_fma_f64 v[31:32], v[31:32], v[33:34], v[35:36]
	v_add_f64 v[10:11], v[10:11], v[29:30]
	v_add_f64 v[12:13], v[12:13], v[31:32]
	s_or_b64 exec, exec, s[14:15]
	v_cmp_gt_u32_e64 s[8:9], 4, v22
	s_and_saveexec_b64 s[14:15], s[8:9]
	s_cbranch_execnz .LBB175_152
	s_branch .LBB175_153
.LBB175_499:
	ds_read_b128 v[34:37], v33 offset:176
	ds_read_b128 v[38:41], v29 offset:5888
	s_waitcnt lgkmcnt(0)
	v_mul_f64 v[42:43], v[36:37], v[40:41]
	v_mul_f64 v[40:41], v[34:35], v[40:41]
	v_fma_f64 v[34:35], v[34:35], v[38:39], -v[42:43]
	v_fma_f64 v[36:37], v[36:37], v[38:39], v[40:41]
	v_add_f64 v[10:11], v[10:11], v[34:35]
	v_add_f64 v[12:13], v[12:13], v[36:37]
	s_or_b64 exec, exec, s[82:83]
	v_cmp_gt_u32_e64 s[14:15], 64, v22
	s_and_saveexec_b64 s[82:83], s[14:15]
	s_cbranch_execz .LBB175_209
.LBB175_500:
	ds_read_b128 v[34:37], v33 offset:192
	ds_read_b128 v[38:41], v29 offset:6400
	s_waitcnt lgkmcnt(0)
	v_mul_f64 v[42:43], v[36:37], v[40:41]
	v_mul_f64 v[40:41], v[34:35], v[40:41]
	v_fma_f64 v[34:35], v[34:35], v[38:39], -v[42:43]
	v_fma_f64 v[36:37], v[36:37], v[38:39], v[40:41]
	v_add_f64 v[10:11], v[10:11], v[34:35]
	v_add_f64 v[12:13], v[12:13], v[36:37]
	s_or_b64 exec, exec, s[82:83]
	v_cmp_gt_u32_e64 s[14:15], 48, v22
	s_and_saveexec_b64 s[82:83], s[14:15]
	s_cbranch_execz .LBB175_210
.LBB175_501:
	ds_read_b128 v[34:37], v33 offset:208
	ds_read_b128 v[38:41], v29 offset:6912
	s_waitcnt lgkmcnt(0)
	v_mul_f64 v[42:43], v[36:37], v[40:41]
	v_mul_f64 v[40:41], v[34:35], v[40:41]
	v_fma_f64 v[34:35], v[34:35], v[38:39], -v[42:43]
	v_fma_f64 v[36:37], v[36:37], v[38:39], v[40:41]
	v_add_f64 v[10:11], v[10:11], v[34:35]
	v_add_f64 v[12:13], v[12:13], v[36:37]
	s_or_b64 exec, exec, s[82:83]
	v_cmp_gt_u32_e64 s[14:15], 32, v22
	s_and_saveexec_b64 s[82:83], s[14:15]
	s_cbranch_execz .LBB175_211
.LBB175_502:
	ds_read_b128 v[33:36], v33 offset:224
	ds_read_b128 v[37:40], v29 offset:7424
	s_waitcnt lgkmcnt(0)
	v_mul_f64 v[41:42], v[35:36], v[39:40]
	v_mul_f64 v[39:40], v[33:34], v[39:40]
	v_fma_f64 v[33:34], v[33:34], v[37:38], -v[41:42]
	v_fma_f64 v[35:36], v[35:36], v[37:38], v[39:40]
	v_add_f64 v[10:11], v[10:11], v[33:34]
	v_add_f64 v[12:13], v[12:13], v[35:36]
	s_or_b64 exec, exec, s[82:83]
	v_cmp_gt_u32_e64 s[14:15], 16, v22
	s_and_saveexec_b64 s[82:83], s[14:15]
	s_cbranch_execnz .LBB175_212
	s_branch .LBB175_213
.LBB175_503:
	v_lshlrev_b32_e32 v30, 4, v23
	v_sub_u32_e32 v30, v29, v30
	v_lshl_add_u32 v34, v20, 4, v30
	ds_read_b128 v[30:33], v29 offset:8464
	ds_read_b128 v[34:37], v34 offset:9024
	s_waitcnt lgkmcnt(0)
	v_mul_f64 v[38:39], v[32:33], v[36:37]
	v_mul_f64 v[36:37], v[30:31], v[36:37]
	v_fma_f64 v[30:31], v[30:31], v[34:35], -v[38:39]
	v_fma_f64 v[32:33], v[32:33], v[34:35], v[36:37]
	v_add_f64 v[10:11], v[10:11], v[30:31]
	v_add_f64 v[12:13], v[12:13], v[32:33]
	s_or_b64 exec, exec, s[14:15]
	v_cmp_gt_u32_e64 s[8:9], 8, v22
	s_and_saveexec_b64 s[14:15], s[8:9]
	s_cbranch_execz .LBB175_297
.LBB175_504:
	ds_read_b128 v[29:32], v29 offset:8480
	ds_read_b128 v[33:36], v17 offset:9536
	s_waitcnt lgkmcnt(0)
	v_mul_f64 v[37:38], v[31:32], v[35:36]
	v_mul_f64 v[35:36], v[29:30], v[35:36]
	v_fma_f64 v[29:30], v[29:30], v[33:34], -v[37:38]
	v_fma_f64 v[31:32], v[31:32], v[33:34], v[35:36]
	v_add_f64 v[10:11], v[10:11], v[29:30]
	v_add_f64 v[12:13], v[12:13], v[31:32]
	s_or_b64 exec, exec, s[14:15]
	v_cmp_gt_u32_e64 s[8:9], 4, v22
	s_and_saveexec_b64 s[14:15], s[8:9]
	s_cbranch_execnz .LBB175_298
	s_branch .LBB175_299
.LBB175_505:
	v_lshlrev_b32_e32 v30, 4, v28
	v_sub_u32_e32 v30, v29, v30
	v_lshl_add_u32 v34, v27, 4, v30
	ds_read_b128 v[30:33], v29 offset:8464
	ds_read_b128 v[34:37], v34 offset:9088
	s_waitcnt lgkmcnt(0)
	v_mul_f64 v[38:39], v[32:33], v[36:37]
	v_mul_f64 v[36:37], v[30:31], v[36:37]
	v_fma_f64 v[30:31], v[30:31], v[34:35], -v[38:39]
	v_fma_f64 v[32:33], v[32:33], v[34:35], v[36:37]
	v_add_f64 v[10:11], v[10:11], v[30:31]
	v_add_f64 v[12:13], v[12:13], v[32:33]
	s_or_b64 exec, exec, s[14:15]
	v_cmp_gt_u32_e64 s[8:9], 48, v22
	s_and_saveexec_b64 s[14:15], s[8:9]
	s_cbranch_execz .LBB175_335
.LBB175_506:
	v_lshlrev_b32_e32 v30, 4, v28
	v_sub_u32_e32 v30, v29, v30
	v_lshl_add_u32 v34, v27, 4, v30
	ds_read_b128 v[30:33], v29 offset:8480
	ds_read_b128 v[34:37], v34 offset:9600
	s_waitcnt lgkmcnt(0)
	v_mul_f64 v[38:39], v[32:33], v[36:37]
	v_mul_f64 v[36:37], v[30:31], v[36:37]
	v_fma_f64 v[30:31], v[30:31], v[34:35], -v[38:39]
	v_fma_f64 v[32:33], v[32:33], v[34:35], v[36:37]
	v_add_f64 v[10:11], v[10:11], v[30:31]
	v_add_f64 v[12:13], v[12:13], v[32:33]
	s_or_b64 exec, exec, s[14:15]
	v_cmp_gt_u32_e64 s[8:9], 40, v22
	s_and_saveexec_b64 s[14:15], s[8:9]
	s_cbranch_execz .LBB175_336
.LBB175_507:
	v_lshlrev_b32_e32 v30, 4, v28
	v_sub_u32_e32 v30, v29, v30
	v_lshl_add_u32 v34, v27, 4, v30
	ds_read_b128 v[30:33], v29 offset:8496
	ds_read_b128 v[34:37], v34 offset:10112
	s_waitcnt lgkmcnt(0)
	v_mul_f64 v[38:39], v[32:33], v[36:37]
	v_mul_f64 v[36:37], v[30:31], v[36:37]
	v_fma_f64 v[30:31], v[30:31], v[34:35], -v[38:39]
	v_fma_f64 v[32:33], v[32:33], v[34:35], v[36:37]
	v_add_f64 v[10:11], v[10:11], v[30:31]
	v_add_f64 v[12:13], v[12:13], v[32:33]
	s_or_b64 exec, exec, s[14:15]
	v_cmp_gt_u32_e64 s[8:9], 32, v22
	s_and_saveexec_b64 s[14:15], s[8:9]
	s_cbranch_execz .LBB175_337
.LBB175_508:
	ds_read_b128 v[30:33], v29 offset:8512
	ds_read_b128 v[34:37], v24 offset:10624
	s_waitcnt lgkmcnt(0)
	v_mul_f64 v[38:39], v[32:33], v[36:37]
	v_mul_f64 v[36:37], v[30:31], v[36:37]
	v_fma_f64 v[30:31], v[30:31], v[34:35], -v[38:39]
	v_fma_f64 v[32:33], v[32:33], v[34:35], v[36:37]
	v_add_f64 v[10:11], v[10:11], v[30:31]
	v_add_f64 v[12:13], v[12:13], v[32:33]
	s_or_b64 exec, exec, s[14:15]
	v_cmp_gt_u32_e64 s[8:9], 24, v22
	s_and_saveexec_b64 s[14:15], s[8:9]
	s_cbranch_execz .LBB175_338
.LBB175_509:
	v_lshlrev_b32_e32 v28, 4, v28
	v_sub_u32_e32 v28, v29, v28
	v_lshl_add_u32 v27, v27, 4, v28
	ds_read_b128 v[30:33], v29 offset:8528
	ds_read_b128 v[34:37], v27 offset:11136
	s_waitcnt lgkmcnt(0)
	v_mul_f64 v[27:28], v[32:33], v[36:37]
	v_mul_f64 v[36:37], v[30:31], v[36:37]
	v_fma_f64 v[27:28], v[30:31], v[34:35], -v[27:28]
	v_fma_f64 v[30:31], v[32:33], v[34:35], v[36:37]
	v_add_f64 v[10:11], v[10:11], v[27:28]
	v_add_f64 v[12:13], v[12:13], v[30:31]
	s_or_b64 exec, exec, s[14:15]
	v_cmp_gt_u32_e64 s[8:9], 16, v22
	s_and_saveexec_b64 s[14:15], s[8:9]
	s_cbranch_execz .LBB175_339
.LBB175_510:
	ds_read_b128 v[27:30], v29 offset:8544
	ds_read_b128 v[31:34], v24 offset:11648
	s_waitcnt lgkmcnt(0)
	v_mul_f64 v[35:36], v[29:30], v[33:34]
	v_mul_f64 v[33:34], v[27:28], v[33:34]
	v_fma_f64 v[27:28], v[27:28], v[31:32], -v[35:36]
	v_fma_f64 v[29:30], v[29:30], v[31:32], v[33:34]
	v_add_f64 v[10:11], v[10:11], v[27:28]
	v_add_f64 v[12:13], v[12:13], v[29:30]
	s_or_b64 exec, exec, s[14:15]
	v_cmp_gt_u32_e64 s[8:9], 8, v22
	s_and_saveexec_b64 s[14:15], s[8:9]
	s_cbranch_execnz .LBB175_340
	s_branch .LBB175_341
.LBB175_511:
	v_lshlrev_b32_e32 v23, 4, v23
	v_sub_u32_e32 v23, v24, v23
	v_lshl_add_u32 v20, v20, 4, v23
	ds_read_b128 v[25:28], v24 offset:12688
	ds_read_b128 v[29:32], v20 offset:13248
	s_waitcnt lgkmcnt(0)
	v_mul_f64 v[33:34], v[27:28], v[31:32]
	v_mul_f64 v[31:32], v[25:26], v[31:32]
	v_fma_f64 v[25:26], v[25:26], v[29:30], -v[33:34]
	v_fma_f64 v[27:28], v[27:28], v[29:30], v[31:32]
	v_add_f64 v[10:11], v[10:11], v[25:26]
	v_add_f64 v[12:13], v[12:13], v[27:28]
	s_or_b64 exec, exec, s[12:13]
	v_cmp_gt_u32_e64 s[8:9], 8, v22
	s_and_saveexec_b64 s[12:13], s[8:9]
	s_cbranch_execz .LBB175_393
.LBB175_512:
	ds_read_b128 v[23:26], v24 offset:12704
	ds_read_b128 v[27:30], v17 offset:13760
	s_waitcnt lgkmcnt(0)
	v_mul_f64 v[31:32], v[25:26], v[29:30]
	v_mul_f64 v[29:30], v[23:24], v[29:30]
	v_fma_f64 v[23:24], v[23:24], v[27:28], -v[31:32]
	v_fma_f64 v[25:26], v[25:26], v[27:28], v[29:30]
	v_add_f64 v[10:11], v[10:11], v[23:24]
	v_add_f64 v[12:13], v[12:13], v[25:26]
	s_or_b64 exec, exec, s[12:13]
	v_cmp_gt_u32_e64 s[8:9], 4, v22
	s_and_saveexec_b64 s[12:13], s[8:9]
	s_cbranch_execnz .LBB175_394
	s_branch .LBB175_395
	.section	.rodata,"a",@progbits
	.p2align	6, 0x0
	.amdhsa_kernel _ZL19rocblas_trsv_deviceILi32ELi16ELb1ELb0ELb0ELb1E19rocblas_complex_numIdEPKS1_PKS3_PKPS1_EviT7_lllT6_T8_lllPii
		.amdhsa_group_segment_fixed_size 25104
		.amdhsa_private_segment_fixed_size 0
		.amdhsa_kernarg_size 352
		.amdhsa_user_sgpr_count 6
		.amdhsa_user_sgpr_private_segment_buffer 1
		.amdhsa_user_sgpr_dispatch_ptr 0
		.amdhsa_user_sgpr_queue_ptr 0
		.amdhsa_user_sgpr_kernarg_segment_ptr 1
		.amdhsa_user_sgpr_dispatch_id 0
		.amdhsa_user_sgpr_flat_scratch_init 0
		.amdhsa_user_sgpr_private_segment_size 0
		.amdhsa_uses_dynamic_stack 0
		.amdhsa_system_sgpr_private_segment_wavefront_offset 0
		.amdhsa_system_sgpr_workgroup_id_x 1
		.amdhsa_system_sgpr_workgroup_id_y 0
		.amdhsa_system_sgpr_workgroup_id_z 1
		.amdhsa_system_sgpr_workgroup_info 0
		.amdhsa_system_vgpr_workitem_id 1
		.amdhsa_next_free_vgpr 49
		.amdhsa_next_free_sgpr 98
		.amdhsa_reserve_vcc 1
		.amdhsa_reserve_flat_scratch 0
		.amdhsa_float_round_mode_32 0
		.amdhsa_float_round_mode_16_64 0
		.amdhsa_float_denorm_mode_32 3
		.amdhsa_float_denorm_mode_16_64 3
		.amdhsa_dx10_clamp 1
		.amdhsa_ieee_mode 1
		.amdhsa_fp16_overflow 0
		.amdhsa_exception_fp_ieee_invalid_op 0
		.amdhsa_exception_fp_denorm_src 0
		.amdhsa_exception_fp_ieee_div_zero 0
		.amdhsa_exception_fp_ieee_overflow 0
		.amdhsa_exception_fp_ieee_underflow 0
		.amdhsa_exception_fp_ieee_inexact 0
		.amdhsa_exception_int_div_zero 0
	.end_amdhsa_kernel
	.section	.text._ZL19rocblas_trsv_deviceILi32ELi16ELb1ELb0ELb0ELb1E19rocblas_complex_numIdEPKS1_PKS3_PKPS1_EviT7_lllT6_T8_lllPii,"axG",@progbits,_ZL19rocblas_trsv_deviceILi32ELi16ELb1ELb0ELb0ELb1E19rocblas_complex_numIdEPKS1_PKS3_PKPS1_EviT7_lllT6_T8_lllPii,comdat
.Lfunc_end175:
	.size	_ZL19rocblas_trsv_deviceILi32ELi16ELb1ELb0ELb0ELb1E19rocblas_complex_numIdEPKS1_PKS3_PKPS1_EviT7_lllT6_T8_lllPii, .Lfunc_end175-_ZL19rocblas_trsv_deviceILi32ELi16ELb1ELb0ELb0ELb1E19rocblas_complex_numIdEPKS1_PKS3_PKPS1_EviT7_lllT6_T8_lllPii
                                        ; -- End function
	.set _ZL19rocblas_trsv_deviceILi32ELi16ELb1ELb0ELb0ELb1E19rocblas_complex_numIdEPKS1_PKS3_PKPS1_EviT7_lllT6_T8_lllPii.num_vgpr, 44
	.set _ZL19rocblas_trsv_deviceILi32ELi16ELb1ELb0ELb0ELb1E19rocblas_complex_numIdEPKS1_PKS3_PKPS1_EviT7_lllT6_T8_lllPii.num_agpr, 0
	.set _ZL19rocblas_trsv_deviceILi32ELi16ELb1ELb0ELb0ELb1E19rocblas_complex_numIdEPKS1_PKS3_PKPS1_EviT7_lllT6_T8_lllPii.numbered_sgpr, 87
	.set _ZL19rocblas_trsv_deviceILi32ELi16ELb1ELb0ELb0ELb1E19rocblas_complex_numIdEPKS1_PKS3_PKPS1_EviT7_lllT6_T8_lllPii.num_named_barrier, 0
	.set _ZL19rocblas_trsv_deviceILi32ELi16ELb1ELb0ELb0ELb1E19rocblas_complex_numIdEPKS1_PKS3_PKPS1_EviT7_lllT6_T8_lllPii.private_seg_size, 0
	.set _ZL19rocblas_trsv_deviceILi32ELi16ELb1ELb0ELb0ELb1E19rocblas_complex_numIdEPKS1_PKS3_PKPS1_EviT7_lllT6_T8_lllPii.uses_vcc, 1
	.set _ZL19rocblas_trsv_deviceILi32ELi16ELb1ELb0ELb0ELb1E19rocblas_complex_numIdEPKS1_PKS3_PKPS1_EviT7_lllT6_T8_lllPii.uses_flat_scratch, 0
	.set _ZL19rocblas_trsv_deviceILi32ELi16ELb1ELb0ELb0ELb1E19rocblas_complex_numIdEPKS1_PKS3_PKPS1_EviT7_lllT6_T8_lllPii.has_dyn_sized_stack, 0
	.set _ZL19rocblas_trsv_deviceILi32ELi16ELb1ELb0ELb0ELb1E19rocblas_complex_numIdEPKS1_PKS3_PKPS1_EviT7_lllT6_T8_lllPii.has_recursion, 0
	.set _ZL19rocblas_trsv_deviceILi32ELi16ELb1ELb0ELb0ELb1E19rocblas_complex_numIdEPKS1_PKS3_PKPS1_EviT7_lllT6_T8_lllPii.has_indirect_call, 0
	.section	.AMDGPU.csdata,"",@progbits
; Kernel info:
; codeLenInByte = 19528
; TotalNumSgprs: 91
; NumVgprs: 44
; ScratchSize: 0
; MemoryBound: 1
; FloatMode: 240
; IeeeMode: 1
; LDSByteSize: 25104 bytes/workgroup (compile time only)
; SGPRBlocks: 12
; VGPRBlocks: 12
; NumSGPRsForWavesPerEU: 102
; NumVGPRsForWavesPerEU: 49
; Occupancy: 4
; WaveLimiterHint : 1
; COMPUTE_PGM_RSRC2:SCRATCH_EN: 0
; COMPUTE_PGM_RSRC2:USER_SGPR: 6
; COMPUTE_PGM_RSRC2:TRAP_HANDLER: 0
; COMPUTE_PGM_RSRC2:TGID_X_EN: 1
; COMPUTE_PGM_RSRC2:TGID_Y_EN: 0
; COMPUTE_PGM_RSRC2:TGID_Z_EN: 1
; COMPUTE_PGM_RSRC2:TIDIG_COMP_CNT: 1
	.section	.text._ZL19rocblas_trsv_deviceILi32ELi16ELb1ELb1ELb0ELb1E19rocblas_complex_numIdEPKS1_PKS3_PKPS1_EviT7_lllT6_T8_lllPii,"axG",@progbits,_ZL19rocblas_trsv_deviceILi32ELi16ELb1ELb1ELb0ELb1E19rocblas_complex_numIdEPKS1_PKS3_PKPS1_EviT7_lllT6_T8_lllPii,comdat
	.globl	_ZL19rocblas_trsv_deviceILi32ELi16ELb1ELb1ELb0ELb1E19rocblas_complex_numIdEPKS1_PKS3_PKPS1_EviT7_lllT6_T8_lllPii ; -- Begin function _ZL19rocblas_trsv_deviceILi32ELi16ELb1ELb1ELb0ELb1E19rocblas_complex_numIdEPKS1_PKS3_PKPS1_EviT7_lllT6_T8_lllPii
	.p2align	8
	.type	_ZL19rocblas_trsv_deviceILi32ELi16ELb1ELb1ELb0ELb1E19rocblas_complex_numIdEPKS1_PKS3_PKPS1_EviT7_lllT6_T8_lllPii,@function
_ZL19rocblas_trsv_deviceILi32ELi16ELb1ELb1ELb0ELb1E19rocblas_complex_numIdEPKS1_PKS3_PKPS1_EviT7_lllT6_T8_lllPii: ; @_ZL19rocblas_trsv_deviceILi32ELi16ELb1ELb1ELb0ELb1E19rocblas_complex_numIdEPKS1_PKS3_PKPS1_EviT7_lllT6_T8_lllPii
; %bb.0:
	s_load_dwordx4 s[0:3], s[4:5], 0x8
	s_mov_b32 s28, s7
	s_mov_b32 s29, 0
	s_lshl_b64 s[8:9], s[28:29], 3
	s_waitcnt lgkmcnt(0)
	s_add_u32 s0, s0, s8
	s_addc_u32 s1, s1, s9
	s_load_dwordx2 s[10:11], s[0:1], 0x0
	s_load_dword s30, s[4:5], 0x0
	s_load_dwordx8 s[16:23], s[4:5], 0x28
	s_load_dwordx2 s[36:37], s[4:5], 0x18
	s_lshl_b64 s[0:1], s[2:3], 4
	s_waitcnt lgkmcnt(0)
	s_add_u32 s95, s10, s0
	s_addc_u32 s62, s11, s1
	s_add_u32 s0, s18, s8
	s_load_dword s7, s[4:5], 0x60
	s_addc_u32 s1, s19, s9
	s_load_dwordx2 s[38:39], s[0:1], 0x0
	s_load_dwordx4 s[24:27], s[16:17], 0x0
	s_load_dword s63, s[4:5], 0x6c
	s_waitcnt lgkmcnt(0)
	s_add_i32 s7, s7, -1
	s_sub_i32 s33, s7, s6
	s_cmp_eq_u32 s6, 0
	s_cbranch_scc1 .LBB176_6
; %bb.1:
	s_lshl_b32 s2, s33, 5
	v_add_u32_e32 v6, s2, v0
	v_ashrrev_i32_e32 v2, 31, v6
	v_mul_lo_u32 v7, s36, v2
	v_mul_lo_u32 v8, s37, v6
	v_mad_u64_u32 v[4:5], s[0:1], s36, v6, 0
	v_add3_u32 v2, v1, s2, 32
	v_ashrrev_i32_e32 v3, 31, v2
	v_add3_u32 v5, v5, v7, v8
	v_lshlrev_b64 v[4:5], 4, v[4:5]
	v_cmp_gt_i32_e32 vcc, s30, v6
	v_mov_b32_e32 v6, s62
	v_add_co_u32_e64 v7, s[0:1], s95, v4
	v_lshlrev_b64 v[3:4], 4, v[2:3]
	v_addc_co_u32_e64 v5, s[0:1], v6, v5, s[0:1]
	v_add_co_u32_e64 v10, s[0:1], v7, v3
	v_addc_co_u32_e64 v11, s[0:1], v5, v4, s[0:1]
	v_cmp_gt_i32_e64 s[0:1], s30, v2
	v_mov_b32_e32 v4, 0
	v_mov_b32_e32 v6, 0
	;; [unrolled: 1-line block ×6, first 2 shown]
	s_and_b64 s[2:3], s[0:1], vcc
	s_barrier
	s_and_saveexec_b64 s[0:1], s[2:3]
	s_cbranch_execz .LBB176_3
; %bb.2:
	flat_load_dwordx4 v[6:9], v[10:11]
.LBB176_3:
	s_or_b64 exec, exec, s[0:1]
	v_add_u32_e32 v2, 16, v2
	v_cmp_gt_i32_e64 s[0:1], s30, v2
	v_mov_b32_e32 v2, 0
	v_mov_b32_e32 v3, 0
	s_and_b64 s[2:3], s[0:1], vcc
	s_waitcnt vmcnt(0) lgkmcnt(0)
	s_barrier
	s_and_saveexec_b64 s[0:1], s[2:3]
	s_cbranch_execz .LBB176_5
; %bb.4:
	flat_load_dwordx4 v[2:5], v[10:11] offset:256
.LBB176_5:
	s_or_b64 exec, exec, s[0:1]
	s_branch .LBB176_7
.LBB176_6:
                                        ; implicit-def: $vgpr4_vgpr5
                                        ; implicit-def: $vgpr8_vgpr9
.LBB176_7:
	s_ashr_i32 s31, s30, 31
	s_lshr_b32 s0, s31, 27
	s_add_i32 s0, s30, s0
	s_andn2_b32 s0, s0, 31
	s_sub_i32 s94, s30, s0
	s_add_i32 s0, s30, -1
	s_ashr_i32 s1, s0, 31
	s_lshr_b32 s1, s1, 27
	s_add_i32 s0, s0, s1
	s_ashr_i32 s0, s0, 5
	s_cmp_eq_u32 s0, s33
	s_cselect_b64 s[0:1], -1, 0
	s_cmp_lg_u32 s94, 0
	s_cselect_b64 s[2:3], -1, 0
	s_and_b64 s[34:35], s[2:3], s[0:1]
	s_cmp_lt_i32 s6, 5
	s_cselect_b64 s[2:3], -1, 0
	v_lshlrev_b32_e32 v10, 5, v0
	s_mov_b64 s[12:13], -1
	s_or_b64 s[0:1], s[2:3], s[34:35]
	s_and_b64 vcc, exec, s[34:35]
	v_add_u32_e32 v11, v1, v10
	v_cmp_le_u32_e64 s[8:9], v0, v1
	v_lshl_add_u32 v22, v1, 5, v0
	s_cbranch_vccnz .LBB176_21
; %bb.8:
	s_add_u32 s10, s36, 1
	s_addc_u32 s11, s37, 0
	s_lshl_b32 s12, s33, 5
	s_ashr_i32 s13, s12, 31
	s_mul_hi_u32 s14, s10, s12
	s_mul_i32 s13, s10, s13
	s_add_i32 s13, s14, s13
	s_mul_i32 s11, s11, s12
	s_add_i32 s11, s13, s11
	s_mul_i32 s10, s10, s12
	s_lshl_b64 s[10:11], s[10:11], 4
	s_add_u32 s10, s95, s10
	s_addc_u32 s11, s62, s11
	v_lshlrev_b32_e32 v12, 4, v0
	v_mov_b32_e32 v13, s11
	v_add_co_u32_e32 v12, vcc, s10, v12
	v_addc_co_u32_e32 v13, vcc, 0, v13, vcc
	v_cndmask_b32_e64 v14, v22, v11, s[2:3]
	s_and_saveexec_b64 s[2:3], s[8:9]
	s_xor_b64 s[2:3], exec, s[2:3]
	s_cbranch_execz .LBB176_12
; %bb.9:
	v_or_b32_e32 v15, v1, v0
	v_cmp_gt_u32_e32 vcc, 32, v15
	s_and_saveexec_b64 s[8:9], vcc
	s_cbranch_execz .LBB176_11
; %bb.10:
	v_lshlrev_b32_e32 v18, 4, v14
	v_mov_b32_e32 v14, 0
	v_mov_b32_e32 v15, v14
	;; [unrolled: 1-line block ×4, first 2 shown]
	ds_write_b128 v18, v[14:17]
.LBB176_11:
	s_or_b64 exec, exec, s[8:9]
                                        ; implicit-def: $vgpr14
.LBB176_12:
	s_andn2_saveexec_b64 s[2:3], s[2:3]
	s_cbranch_execz .LBB176_14
; %bb.13:
	v_mad_u64_u32 v[15:16], s[8:9], s36, v1, 0
	v_lshlrev_b32_e32 v14, 4, v14
	v_mad_u64_u32 v[16:17], s[8:9], s37, v1, v[16:17]
	v_lshlrev_b64 v[15:16], 4, v[15:16]
	v_add_co_u32_e32 v15, vcc, v12, v15
	v_addc_co_u32_e32 v16, vcc, v13, v16, vcc
	flat_load_dwordx4 v[15:18], v[15:16]
	s_waitcnt vmcnt(0) lgkmcnt(0)
	v_xor_b32_e32 v16, 0x80000000, v16
	v_xor_b32_e32 v18, 0x80000000, v18
	ds_write_b128 v14, v[15:18]
.LBB176_14:
	s_or_b64 exec, exec, s[2:3]
	v_add_u32_e32 v15, 16, v1
	v_add_u32_e32 v14, v15, v10
	v_lshl_add_u32 v16, v15, 5, v0
	v_cndmask_b32_e64 v14, v16, v14, s[0:1]
	v_cmp_le_u32_e32 vcc, v0, v15
	s_and_saveexec_b64 s[2:3], vcc
	s_xor_b64 s[2:3], exec, s[2:3]
	s_cbranch_execz .LBB176_18
; %bb.15:
	v_or_b32_e32 v12, v15, v0
	v_cmp_gt_u32_e32 vcc, 32, v12
	s_and_saveexec_b64 s[8:9], vcc
	s_cbranch_execz .LBB176_17
; %bb.16:
	v_mov_b32_e32 v12, 0
	v_lshlrev_b32_e32 v16, 4, v14
	v_mov_b32_e32 v13, v12
	v_mov_b32_e32 v14, v12
	;; [unrolled: 1-line block ×3, first 2 shown]
	ds_write_b128 v16, v[12:15]
.LBB176_17:
	s_or_b64 exec, exec, s[8:9]
                                        ; implicit-def: $vgpr15
                                        ; implicit-def: $vgpr12
                                        ; implicit-def: $vgpr13
                                        ; implicit-def: $vgpr14
.LBB176_18:
	s_andn2_saveexec_b64 s[2:3], s[2:3]
	s_cbranch_execz .LBB176_20
; %bb.19:
	v_mad_u64_u32 v[16:17], s[8:9], s36, v15, 0
	v_mad_u64_u32 v[17:18], s[8:9], s37, v15, v[17:18]
	v_lshlrev_b64 v[15:16], 4, v[16:17]
	v_add_co_u32_e32 v12, vcc, v12, v15
	v_addc_co_u32_e32 v13, vcc, v13, v16, vcc
	flat_load_dwordx4 v[15:18], v[12:13]
	v_lshlrev_b32_e32 v12, 4, v14
	s_waitcnt vmcnt(0) lgkmcnt(0)
	v_xor_b32_e32 v16, 0x80000000, v16
	v_xor_b32_e32 v18, 0x80000000, v18
	ds_write_b128 v12, v[15:18]
.LBB176_20:
	s_or_b64 exec, exec, s[2:3]
	s_mov_b64 s[12:13], 0
.LBB176_21:
	s_xor_b64 s[10:11], s[0:1], -1
	s_and_b64 vcc, exec, s[12:13]
	s_cbranch_vccz .LBB176_35
; %bb.22:
	s_add_u32 s2, s36, 1
	s_addc_u32 s3, s37, 0
	s_lshl_b32 s8, s33, 5
	s_ashr_i32 s9, s8, 31
	s_mul_hi_u32 s12, s2, s8
	s_mul_i32 s9, s2, s9
	s_add_i32 s9, s12, s9
	s_mul_i32 s3, s3, s8
	s_add_i32 s3, s9, s3
	s_mul_i32 s2, s2, s8
	s_lshl_b64 s[2:3], s[2:3], 4
	s_add_u32 s2, s95, s2
	s_addc_u32 s3, s62, s3
	v_lshlrev_b32_e32 v12, 4, v0
	v_mov_b32_e32 v13, s3
	v_add_co_u32_e64 v12, s[2:3], s2, v12
	v_addc_co_u32_e64 v13, s[2:3], 0, v13, s[2:3]
	v_max_i32_e32 v14, v1, v0
	v_cmp_le_u32_e64 s[2:3], v0, v1
	v_cmp_le_i32_e64 s[8:9], s94, v14
	v_cmp_gt_i32_e32 vcc, s94, v0
	s_or_b64 s[2:3], s[8:9], s[2:3]
	s_and_saveexec_b64 s[8:9], s[2:3]
	s_xor_b64 s[8:9], exec, s[8:9]
	s_cbranch_execz .LBB176_26
; %bb.23:
	v_or_b32_e32 v14, v1, v0
	v_cmp_gt_u32_e64 s[2:3], 32, v14
	s_and_saveexec_b64 s[12:13], s[2:3]
	s_cbranch_execz .LBB176_25
; %bb.24:
	v_mov_b32_e32 v14, 0
	v_lshlrev_b32_e32 v11, 4, v11
	v_mov_b32_e32 v15, v14
	v_mov_b32_e32 v16, v14
	v_mov_b32_e32 v17, v14
	ds_write_b128 v11, v[14:17]
.LBB176_25:
	s_or_b64 exec, exec, s[12:13]
                                        ; implicit-def: $vgpr11
.LBB176_26:
	s_andn2_saveexec_b64 s[8:9], s[8:9]
	s_cbranch_execz .LBB176_28
; %bb.27:
	v_mad_u64_u32 v[14:15], s[2:3], s36, v1, 0
	v_lshlrev_b32_e32 v11, 4, v11
	v_mad_u64_u32 v[15:16], s[2:3], s37, v1, v[15:16]
	v_lshlrev_b64 v[14:15], 4, v[14:15]
	v_add_co_u32_e64 v14, s[2:3], v12, v14
	v_addc_co_u32_e64 v15, s[2:3], v13, v15, s[2:3]
	flat_load_dwordx4 v[14:17], v[14:15]
	s_waitcnt vmcnt(0) lgkmcnt(0)
	v_xor_b32_e32 v15, 0x80000000, v15
	v_xor_b32_e32 v17, 0x80000000, v17
	ds_write_b128 v11, v[14:17]
.LBB176_28:
	s_or_b64 exec, exec, s[8:9]
	v_add_u32_e32 v11, 16, v1
	v_add_u32_e32 v10, v11, v10
	v_lshl_add_u32 v14, v11, 5, v0
	v_cndmask_b32_e64 v10, v14, v10, s[0:1]
	v_cmp_gt_u32_e64 s[0:1], v0, v11
	v_cmp_gt_i32_e64 s[2:3], s94, v11
	s_and_b64 s[0:1], s[0:1], s[2:3]
	s_and_b64 s[0:1], s[0:1], vcc
	s_xor_b64 s[0:1], s[0:1], -1
	s_and_saveexec_b64 s[2:3], s[0:1]
	s_xor_b64 s[0:1], exec, s[2:3]
	s_cbranch_execz .LBB176_32
; %bb.29:
	v_or_b32_e32 v11, v11, v0
	v_cmp_gt_u32_e32 vcc, 32, v11
	s_and_saveexec_b64 s[2:3], vcc
	s_cbranch_execz .LBB176_31
; %bb.30:
	v_lshlrev_b32_e32 v14, 4, v10
	v_mov_b32_e32 v10, 0
	v_mov_b32_e32 v11, v10
	v_mov_b32_e32 v12, v10
	v_mov_b32_e32 v13, v10
	ds_write_b128 v14, v[10:13]
.LBB176_31:
	s_or_b64 exec, exec, s[2:3]
                                        ; implicit-def: $vgpr11
                                        ; implicit-def: $vgpr12
                                        ; implicit-def: $vgpr13
                                        ; implicit-def: $vgpr10
.LBB176_32:
	s_andn2_saveexec_b64 s[0:1], s[0:1]
	s_cbranch_execz .LBB176_34
; %bb.33:
	v_mad_u64_u32 v[14:15], s[2:3], s36, v11, 0
	v_lshlrev_b32_e32 v10, 4, v10
	v_mad_u64_u32 v[15:16], s[2:3], s37, v11, v[15:16]
	v_lshlrev_b64 v[14:15], 4, v[14:15]
	v_add_co_u32_e32 v11, vcc, v12, v14
	v_addc_co_u32_e32 v12, vcc, v13, v15, vcc
	flat_load_dwordx4 v[11:14], v[11:12]
	s_waitcnt vmcnt(0) lgkmcnt(0)
	v_xor_b32_e32 v12, 0x80000000, v12
	v_xor_b32_e32 v14, 0x80000000, v14
	ds_write_b128 v10, v[11:14]
.LBB176_34:
	s_or_b64 exec, exec, s[0:1]
.LBB176_35:
	v_cndmask_b32_e64 v10, 0, 1, s[10:11]
	v_cmp_ne_u32_e64 s[42:43], 1, v10
	s_andn2_b64 vcc, exec, s[10:11]
	s_waitcnt vmcnt(0) lgkmcnt(0)
	s_barrier
	s_cbranch_vccnz .LBB176_459
; %bb.36:
	v_or_b32_e32 v10, v0, v1
	s_mov_b32 s8, 0
	v_cmp_eq_u32_e32 vcc, 0, v10
	s_and_saveexec_b64 s[2:3], vcc
	s_cbranch_execz .LBB176_38
; %bb.37:
	v_mov_b32_e32 v18, 0
	ds_read_b128 v[10:13], v18 offset:16
	s_mov_b32 s11, s8
	s_mov_b32 s9, 0x3ff00000
	;; [unrolled: 1-line block ×3, first 2 shown]
	v_mov_b32_e32 v17, s11
	v_mov_b32_e32 v16, s10
	;; [unrolled: 1-line block ×4, first 2 shown]
	ds_write_b128 v18, v[14:17]
	ds_write_b128 v18, v[14:17] offset:528
	s_waitcnt lgkmcnt(2)
	ds_write_b128 v18, v[10:13] offset:512
.LBB176_38:
	s_or_b64 exec, exec, s[2:3]
	v_and_b32_e32 v17, 1, v0
	v_lshrrev_b32_e32 v16, 1, v22
	v_lshlrev_b32_e32 v14, 4, v17
	v_mov_b32_e32 v12, 0
	v_mov_b32_e32 v10, 0
	v_cmp_lt_u32_e64 s[8:9], 3, v22
	v_cmp_gt_u32_e64 s[2:3], 4, v22
	v_mov_b32_e32 v13, 0
	v_mov_b32_e32 v11, 0
	v_lshl_or_b32 v14, v16, 9, v14
	s_waitcnt lgkmcnt(0)
	s_barrier
	s_and_saveexec_b64 s[12:13], s[2:3]
	s_cbranch_execz .LBB176_42
; %bb.39:
	v_mul_u32_u24_e32 v10, 0x210, v16
	ds_read_b128 v[10:13], v10
	ds_read_b128 v[18:21], v14 offset:32
	v_cmp_gt_u32_e64 s[10:11], 2, v22
	s_waitcnt lgkmcnt(0)
	v_mul_f64 v[23:24], v[12:13], v[20:21]
	v_mul_f64 v[20:21], v[10:11], v[20:21]
	v_fma_f64 v[10:11], v[10:11], v[18:19], -v[23:24]
	v_fma_f64 v[12:13], v[12:13], v[18:19], v[20:21]
	v_add_f64 v[10:11], v[10:11], 0
	v_add_f64 v[12:13], v[12:13], 0
	s_and_saveexec_b64 s[14:15], s[10:11]
	s_cbranch_execz .LBB176_41
; %bb.40:
	v_mov_b32_e32 v18, 0
	v_lshlrev_b32_e32 v15, 4, v0
	ds_read_b128 v[18:21], v18 offset:16
	ds_read_b128 v[23:26], v15 offset:544
	s_waitcnt lgkmcnt(0)
	v_mul_f64 v[27:28], v[20:21], v[25:26]
	v_mul_f64 v[25:26], v[18:19], v[25:26]
	v_fma_f64 v[18:19], v[18:19], v[23:24], -v[27:28]
	v_fma_f64 v[20:21], v[20:21], v[23:24], v[25:26]
	v_add_f64 v[10:11], v[10:11], v[18:19]
	v_add_f64 v[12:13], v[12:13], v[20:21]
.LBB176_41:
	s_or_b64 exec, exec, s[14:15]
	v_xor_b32_e32 v11, 0x80000000, v11
	v_xor_b32_e32 v13, 0x80000000, v13
.LBB176_42:
                                        ; implicit-def: $vgpr43 : SGPR spill to VGPR lane
	v_writelane_b32 v43, s42, 0
	v_writelane_b32 v43, s43, 1
	s_or_b64 exec, exec, s[12:13]
	v_mov_b32_e32 v15, 0x4000
	v_cmp_eq_u32_e64 s[10:11], 0, v17
	s_xor_b64 s[12:13], s[8:9], -1
	v_lshl_add_u32 v15, v16, 4, v15
	s_and_b64 s[42:43], s[10:11], s[12:13]
	s_and_saveexec_b64 s[8:9], s[42:43]
; %bb.43:
	ds_write_b128 v15, v[10:13]
; %bb.44:
	s_or_b64 exec, exec, s[8:9]
	v_cmp_ne_u32_e64 s[8:9], 0, v17
	s_and_b64 s[40:41], s[8:9], s[12:13]
	s_waitcnt lgkmcnt(0)
	s_barrier
	s_and_saveexec_b64 s[8:9], s[40:41]
	s_cbranch_execz .LBB176_46
; %bb.45:
	v_mov_b32_e32 v21, 0
	ds_read_b128 v[17:20], v15
	ds_read_b128 v[23:26], v21 offset:1072
	s_waitcnt lgkmcnt(0)
	v_mul_f64 v[27:28], v[19:20], v[25:26]
	v_mul_f64 v[25:26], v[17:18], v[25:26]
	v_fma_f64 v[17:18], v[17:18], v[23:24], -v[27:28]
	v_fma_f64 v[19:20], v[19:20], v[23:24], v[25:26]
	v_add_f64 v[10:11], v[10:11], v[17:18]
	v_add_f64 v[12:13], v[12:13], v[19:20]
.LBB176_46:
	s_or_b64 exec, exec, s[8:9]
	s_barrier
	s_and_saveexec_b64 s[8:9], s[40:41]
; %bb.47:
	ds_write_b128 v15, v[10:13]
; %bb.48:
	s_or_b64 exec, exec, s[8:9]
	s_waitcnt lgkmcnt(0)
	s_barrier
	s_barrier
	s_and_saveexec_b64 s[8:9], s[2:3]
; %bb.49:
	v_xor_b32_e32 v11, 0x80000000, v11
	v_xor_b32_e32 v13, 0x80000000, v13
	ds_write_b128 v14, v[10:13] offset:32
; %bb.50:
	s_or_b64 exec, exec, s[8:9]
	v_cmp_eq_u32_e64 s[10:11], 0, v1
	v_cmp_gt_u32_e64 s[8:9], 2, v0
	s_and_b64 s[44:45], s[10:11], s[8:9]
	s_waitcnt lgkmcnt(0)
	s_barrier
	s_barrier
	s_and_saveexec_b64 s[8:9], s[44:45]
	s_cbranch_execz .LBB176_52
; %bb.51:
	v_lshlrev_b32_e32 v17, 9, v0
	ds_read_b128 v[10:13], v17 offset:32
	s_movk_i32 s0, 0xfe10
	v_mad_i32_i24 v18, v0, s0, v17
	s_waitcnt lgkmcnt(0)
	ds_write_b128 v18, v[10:13] offset:1024
	ds_read_b128 v[10:13], v17 offset:48
	s_waitcnt lgkmcnt(0)
	ds_write_b128 v18, v[10:13] offset:1536
.LBB176_52:
	s_or_b64 exec, exec, s[8:9]
	s_waitcnt lgkmcnt(0)
	s_barrier
	s_and_saveexec_b64 s[8:9], vcc
	s_cbranch_execz .LBB176_54
; %bb.53:
	s_mov_b32 s12, 0
	v_mov_b32_e32 v21, 0
	ds_read_b128 v[10:13], v21 offset:1072
	s_mov_b32 s15, s12
	s_mov_b32 s13, 0x3ff00000
	;; [unrolled: 1-line block ×3, first 2 shown]
	v_mov_b32_e32 v20, s15
	v_mov_b32_e32 v19, s14
	;; [unrolled: 1-line block ×4, first 2 shown]
	ds_write_b128 v21, v[17:20] offset:1056
	ds_write_b128 v21, v[17:20] offset:1584
	s_waitcnt lgkmcnt(2)
	ds_write_b128 v21, v[10:13] offset:1568
.LBB176_54:
	s_or_b64 exec, exec, s[8:9]
	v_and_b32_e32 v20, 3, v0
	v_lshrrev_b32_e32 v21, 2, v22
	v_lshlrev_b32_e32 v18, 4, v20
	v_mov_b32_e32 v12, 0
	v_mov_b32_e32 v10, 0
	v_cmp_lt_u32_e64 s[8:9], 15, v22
	v_cmp_gt_u32_e64 s[16:17], 16, v22
	v_mov_b32_e32 v13, 0
	v_mov_b32_e32 v11, 0
	v_lshl_or_b32 v17, v21, 9, v18
	s_waitcnt lgkmcnt(0)
	s_barrier
	s_and_saveexec_b64 s[14:15], s[16:17]
	s_cbranch_execz .LBB176_60
; %bb.55:
	v_mul_u32_u24_e32 v19, 0x210, v21
	ds_read_b128 v[10:13], v19
	ds_read_b128 v[23:26], v17 offset:64
	v_cmp_gt_u32_e64 s[12:13], 12, v22
	s_waitcnt lgkmcnt(0)
	v_mul_f64 v[27:28], v[12:13], v[25:26]
	v_mul_f64 v[25:26], v[10:11], v[25:26]
	v_fma_f64 v[10:11], v[10:11], v[23:24], -v[27:28]
	v_fma_f64 v[12:13], v[12:13], v[23:24], v[25:26]
	v_add_f64 v[10:11], v[10:11], 0
	v_add_f64 v[12:13], v[12:13], 0
	s_and_saveexec_b64 s[18:19], s[12:13]
	s_cbranch_execnz .LBB176_517
; %bb.56:
	s_or_b64 exec, exec, s[18:19]
	v_cmp_gt_u32_e64 s[12:13], 8, v22
	s_and_saveexec_b64 s[18:19], s[12:13]
	s_cbranch_execnz .LBB176_518
.LBB176_57:
	s_or_b64 exec, exec, s[18:19]
	v_cmp_gt_u32_e64 s[12:13], 4, v22
	s_and_saveexec_b64 s[18:19], s[12:13]
	s_cbranch_execz .LBB176_59
.LBB176_58:
	v_mov_b32_e32 v23, 0
	v_lshlrev_b32_e32 v19, 4, v0
	ds_read_b128 v[23:26], v23 offset:48
	ds_read_b128 v[27:30], v19 offset:1600
	s_waitcnt lgkmcnt(0)
	v_mul_f64 v[31:32], v[25:26], v[29:30]
	v_mul_f64 v[29:30], v[23:24], v[29:30]
	v_fma_f64 v[23:24], v[23:24], v[27:28], -v[31:32]
	v_fma_f64 v[25:26], v[25:26], v[27:28], v[29:30]
	v_add_f64 v[10:11], v[10:11], v[23:24]
	v_add_f64 v[12:13], v[12:13], v[25:26]
.LBB176_59:
	s_or_b64 exec, exec, s[18:19]
	v_xor_b32_e32 v11, 0x80000000, v11
	v_xor_b32_e32 v13, 0x80000000, v13
.LBB176_60:
	s_or_b64 exec, exec, s[14:15]
	v_mov_b32_e32 v19, 0x4000
	v_cmp_eq_u32_e64 s[12:13], 0, v20
	s_xor_b64 s[14:15], s[8:9], -1
	v_lshl_add_u32 v19, v21, 4, v19
	s_and_b64 s[48:49], s[12:13], s[14:15]
	s_and_saveexec_b64 s[8:9], s[48:49]
; %bb.61:
	ds_write_b128 v19, v[10:13]
; %bb.62:
	s_or_b64 exec, exec, s[8:9]
	v_cmp_ne_u32_e64 s[8:9], 0, v20
	s_and_b64 s[50:51], s[8:9], s[14:15]
	s_waitcnt lgkmcnt(0)
	s_barrier
	s_and_saveexec_b64 s[8:9], s[50:51]
	s_cbranch_execz .LBB176_64
; %bb.63:
	ds_read_b128 v[23:26], v19
	ds_read_b128 v[27:30], v18 offset:2112
	s_waitcnt lgkmcnt(0)
	v_mul_f64 v[31:32], v[25:26], v[29:30]
	v_mul_f64 v[29:30], v[23:24], v[29:30]
	v_fma_f64 v[23:24], v[23:24], v[27:28], -v[31:32]
	v_fma_f64 v[25:26], v[25:26], v[27:28], v[29:30]
	v_add_f64 v[10:11], v[10:11], v[23:24]
	v_add_f64 v[12:13], v[12:13], v[25:26]
.LBB176_64:
	s_or_b64 exec, exec, s[8:9]
	v_cmp_eq_u32_e64 s[8:9], 1, v20
	s_and_b64 s[52:53], s[8:9], s[14:15]
	s_barrier
	s_and_saveexec_b64 s[8:9], s[52:53]
; %bb.65:
	ds_write_b128 v19, v[10:13]
; %bb.66:
	s_or_b64 exec, exec, s[8:9]
	v_cmp_lt_u32_e64 s[8:9], 1, v20
	s_and_b64 s[54:55], s[8:9], s[14:15]
	s_waitcnt lgkmcnt(0)
	s_barrier
	s_and_saveexec_b64 s[8:9], s[54:55]
	s_cbranch_execz .LBB176_68
; %bb.67:
	ds_read_b128 v[23:26], v19
	ds_read_b128 v[27:30], v18 offset:2624
	s_waitcnt lgkmcnt(0)
	v_mul_f64 v[31:32], v[25:26], v[29:30]
	v_mul_f64 v[29:30], v[23:24], v[29:30]
	v_fma_f64 v[23:24], v[23:24], v[27:28], -v[31:32]
	v_fma_f64 v[25:26], v[25:26], v[27:28], v[29:30]
	v_add_f64 v[10:11], v[10:11], v[23:24]
	v_add_f64 v[12:13], v[12:13], v[25:26]
.LBB176_68:
	s_or_b64 exec, exec, s[8:9]
	v_cmp_eq_u32_e64 s[8:9], 2, v20
	s_and_b64 s[56:57], s[8:9], s[14:15]
	s_barrier
	s_and_saveexec_b64 s[8:9], s[56:57]
; %bb.69:
	ds_write_b128 v19, v[10:13]
; %bb.70:
	s_or_b64 exec, exec, s[8:9]
	v_cmp_eq_u32_e64 s[8:9], 3, v20
	s_and_b64 s[46:47], s[8:9], s[14:15]
	s_waitcnt lgkmcnt(0)
	s_barrier
	s_and_saveexec_b64 s[8:9], s[46:47]
	s_cbranch_execz .LBB176_72
; %bb.71:
	v_mov_b32_e32 v27, 0
	ds_read_b128 v[23:26], v19
	ds_read_b128 v[27:30], v27 offset:3184
	s_waitcnt lgkmcnt(0)
	v_mul_f64 v[31:32], v[25:26], v[29:30]
	v_mul_f64 v[29:30], v[23:24], v[29:30]
	v_fma_f64 v[23:24], v[23:24], v[27:28], -v[31:32]
	v_fma_f64 v[25:26], v[25:26], v[27:28], v[29:30]
	v_add_f64 v[10:11], v[10:11], v[23:24]
	v_add_f64 v[12:13], v[12:13], v[25:26]
.LBB176_72:
	s_or_b64 exec, exec, s[8:9]
	s_barrier
	s_and_saveexec_b64 s[8:9], s[46:47]
; %bb.73:
	ds_write_b128 v19, v[10:13]
; %bb.74:
	s_or_b64 exec, exec, s[8:9]
	s_waitcnt lgkmcnt(0)
	s_barrier
	s_barrier
	s_and_saveexec_b64 s[8:9], s[16:17]
; %bb.75:
	v_xor_b32_e32 v13, 0x80000000, v13
	v_xor_b32_e32 v11, 0x80000000, v11
	ds_write_b128 v17, v[10:13] offset:64
; %bb.76:
	s_or_b64 exec, exec, s[8:9]
	v_cmp_gt_u32_e64 s[8:9], 4, v0
	s_and_b64 s[58:59], s[10:11], s[8:9]
	s_waitcnt lgkmcnt(0)
	s_barrier
	s_barrier
	s_and_saveexec_b64 s[8:9], s[58:59]
	s_cbranch_execz .LBB176_78
; %bb.77:
	v_lshlrev_b32_e32 v23, 4, v0
	s_movk_i32 s0, 0x1f0
	v_mad_u32_u24 v24, v0, s0, v23
	ds_read_b128 v[10:13], v24 offset:64
	s_waitcnt lgkmcnt(0)
	ds_write_b128 v23, v[10:13] offset:2048
	ds_read_b128 v[10:13], v24 offset:80
	s_waitcnt lgkmcnt(0)
	ds_write_b128 v23, v[10:13] offset:2560
	ds_read_b128 v[10:13], v24 offset:96
	s_waitcnt lgkmcnt(0)
	ds_write_b128 v23, v[10:13] offset:3072
	ds_read_b128 v[10:13], v24 offset:112
	s_waitcnt lgkmcnt(0)
	ds_write_b128 v23, v[10:13] offset:3584
.LBB176_78:
	s_or_b64 exec, exec, s[8:9]
	s_waitcnt lgkmcnt(0)
	s_barrier
	s_and_saveexec_b64 s[8:9], vcc
	s_cbranch_execz .LBB176_80
; %bb.79:
	s_mov_b32 s12, 0
	v_mov_b32_e32 v27, 0
	ds_read_b128 v[10:13], v27 offset:2128
	s_mov_b32 s15, s12
	s_mov_b32 s13, 0x3ff00000
	;; [unrolled: 1-line block ×3, first 2 shown]
	v_mov_b32_e32 v26, s15
	v_mov_b32_e32 v25, s14
	;; [unrolled: 1-line block ×4, first 2 shown]
	ds_write_b128 v27, v[23:26] offset:2112
	ds_write_b128 v27, v[23:26] offset:2640
	s_waitcnt lgkmcnt(2)
	ds_write_b128 v27, v[10:13] offset:2624
.LBB176_80:
	s_or_b64 exec, exec, s[8:9]
	v_mov_b32_e32 v12, 0
	v_mov_b32_e32 v10, 0
	;; [unrolled: 1-line block ×4, first 2 shown]
	s_waitcnt lgkmcnt(0)
	s_barrier
	s_and_saveexec_b64 s[12:13], s[2:3]
	s_cbranch_execz .LBB176_84
; %bb.81:
	v_mul_u32_u24_e32 v10, 0x210, v16
	ds_read_b128 v[10:13], v10 offset:2112
	ds_read_b128 v[23:26], v14 offset:2144
	v_cmp_gt_u32_e64 s[8:9], 2, v22
	s_waitcnt lgkmcnt(0)
	v_mul_f64 v[27:28], v[12:13], v[25:26]
	v_mul_f64 v[25:26], v[10:11], v[25:26]
	v_fma_f64 v[10:11], v[10:11], v[23:24], -v[27:28]
	v_fma_f64 v[12:13], v[12:13], v[23:24], v[25:26]
	v_add_f64 v[10:11], v[10:11], 0
	v_add_f64 v[12:13], v[12:13], 0
	s_and_saveexec_b64 s[14:15], s[8:9]
	s_cbranch_execz .LBB176_83
; %bb.82:
	v_lshlrev_b32_e32 v27, 4, v0
	v_mov_b32_e32 v23, 0
	ds_read_b128 v[23:26], v23 offset:2128
	ds_read_b128 v[27:30], v27 offset:2656
	s_waitcnt lgkmcnt(0)
	v_mul_f64 v[31:32], v[25:26], v[29:30]
	v_mul_f64 v[29:30], v[23:24], v[29:30]
	v_fma_f64 v[23:24], v[23:24], v[27:28], -v[31:32]
	v_fma_f64 v[25:26], v[25:26], v[27:28], v[29:30]
	v_add_f64 v[10:11], v[10:11], v[23:24]
	v_add_f64 v[12:13], v[12:13], v[25:26]
.LBB176_83:
	s_or_b64 exec, exec, s[14:15]
	v_xor_b32_e32 v11, 0x80000000, v11
	v_xor_b32_e32 v13, 0x80000000, v13
.LBB176_84:
	s_or_b64 exec, exec, s[12:13]
	s_and_saveexec_b64 s[8:9], s[42:43]
; %bb.85:
	ds_write_b128 v15, v[10:13]
; %bb.86:
	s_or_b64 exec, exec, s[8:9]
	s_waitcnt lgkmcnt(0)
	s_barrier
	s_and_saveexec_b64 s[8:9], s[40:41]
	s_cbranch_execz .LBB176_88
; %bb.87:
	v_mov_b32_e32 v27, 0
	ds_read_b128 v[23:26], v15
	ds_read_b128 v[27:30], v27 offset:3184
	s_waitcnt lgkmcnt(0)
	v_mul_f64 v[31:32], v[25:26], v[29:30]
	v_mul_f64 v[29:30], v[23:24], v[29:30]
	v_fma_f64 v[23:24], v[23:24], v[27:28], -v[31:32]
	v_fma_f64 v[25:26], v[25:26], v[27:28], v[29:30]
	v_add_f64 v[10:11], v[10:11], v[23:24]
	v_add_f64 v[12:13], v[12:13], v[25:26]
.LBB176_88:
	s_or_b64 exec, exec, s[8:9]
	s_barrier
	s_and_saveexec_b64 s[8:9], s[40:41]
; %bb.89:
	ds_write_b128 v15, v[10:13]
; %bb.90:
	s_or_b64 exec, exec, s[8:9]
	s_waitcnt lgkmcnt(0)
	s_barrier
	s_barrier
	s_and_saveexec_b64 s[8:9], s[2:3]
; %bb.91:
	v_xor_b32_e32 v11, 0x80000000, v11
	v_xor_b32_e32 v13, 0x80000000, v13
	ds_write_b128 v14, v[10:13] offset:2144
; %bb.92:
	s_or_b64 exec, exec, s[8:9]
	s_waitcnt lgkmcnt(0)
	s_barrier
	s_barrier
	s_and_saveexec_b64 s[8:9], s[44:45]
	s_cbranch_execz .LBB176_94
; %bb.93:
	v_lshlrev_b32_e32 v23, 9, v0
	ds_read_b128 v[10:13], v23 offset:2144
	s_movk_i32 s0, 0xfe10
	v_mad_i32_i24 v24, v0, s0, v23
	s_waitcnt lgkmcnt(0)
	ds_write_b128 v24, v[10:13] offset:3136
	ds_read_b128 v[10:13], v23 offset:2160
	s_waitcnt lgkmcnt(0)
	ds_write_b128 v24, v[10:13] offset:3648
.LBB176_94:
	s_or_b64 exec, exec, s[8:9]
	s_waitcnt lgkmcnt(0)
	s_barrier
	s_and_saveexec_b64 s[8:9], vcc
	s_cbranch_execz .LBB176_96
; %bb.95:
	s_mov_b32 s12, 0
	v_mov_b32_e32 v27, 0
	ds_read_b128 v[10:13], v27 offset:3184
	s_mov_b32 s15, s12
	s_mov_b32 s13, 0x3ff00000
	;; [unrolled: 1-line block ×3, first 2 shown]
	v_mov_b32_e32 v26, s15
	v_mov_b32_e32 v25, s14
	v_mov_b32_e32 v24, s13
	v_mov_b32_e32 v23, s12
	ds_write_b128 v27, v[23:26] offset:3168
	ds_write_b128 v27, v[23:26] offset:3696
	s_waitcnt lgkmcnt(2)
	ds_write_b128 v27, v[10:13] offset:3680
.LBB176_96:
	s_or_b64 exec, exec, s[8:9]
	v_and_b32_e32 v26, 7, v0
	v_lshrrev_b32_e32 v27, 3, v22
	v_lshlrev_b32_e32 v24, 4, v26
	v_mov_b32_e32 v12, 0
	v_mov_b32_e32 v10, 0
	v_cmp_lt_u32_e64 s[12:13], 63, v22
	v_cmp_gt_u32_e64 s[8:9], 64, v22
	v_mov_b32_e32 v13, 0
	v_mov_b32_e32 v11, 0
	v_lshl_or_b32 v23, v27, 9, v24
	s_waitcnt lgkmcnt(0)
	s_barrier
	s_and_saveexec_b64 s[18:19], s[8:9]
	s_cbranch_execz .LBB176_106
; %bb.97:
	v_mul_u32_u24_e32 v25, 0x210, v27
	ds_read_b128 v[10:13], v25
	ds_read_b128 v[28:31], v23 offset:128
	v_cmp_gt_u32_e64 s[14:15], 56, v22
	s_waitcnt lgkmcnt(0)
	v_mul_f64 v[32:33], v[12:13], v[30:31]
	v_mul_f64 v[30:31], v[10:11], v[30:31]
	v_fma_f64 v[10:11], v[10:11], v[28:29], -v[32:33]
	v_fma_f64 v[12:13], v[12:13], v[28:29], v[30:31]
	v_add_f64 v[10:11], v[10:11], 0
	v_add_f64 v[12:13], v[12:13], 0
	s_and_saveexec_b64 s[60:61], s[14:15]
	s_cbranch_execnz .LBB176_519
; %bb.98:
	s_or_b64 exec, exec, s[60:61]
	v_cmp_gt_u32_e64 s[14:15], 48, v22
	s_and_saveexec_b64 s[60:61], s[14:15]
	s_cbranch_execnz .LBB176_520
.LBB176_99:
	s_or_b64 exec, exec, s[60:61]
	v_cmp_gt_u32_e64 s[14:15], 40, v22
	s_and_saveexec_b64 s[60:61], s[14:15]
	s_cbranch_execnz .LBB176_521
.LBB176_100:
	s_or_b64 exec, exec, s[60:61]
	v_cmp_gt_u32_e64 s[14:15], 32, v22
	s_and_saveexec_b64 s[60:61], s[14:15]
	s_cbranch_execnz .LBB176_522
.LBB176_101:
	s_or_b64 exec, exec, s[60:61]
	v_cmp_gt_u32_e64 s[14:15], 24, v22
	s_and_saveexec_b64 s[60:61], s[14:15]
	s_cbranch_execnz .LBB176_523
.LBB176_102:
	s_or_b64 exec, exec, s[60:61]
	v_cmp_gt_u32_e64 s[14:15], 16, v22
	s_and_saveexec_b64 s[60:61], s[14:15]
	s_cbranch_execnz .LBB176_524
.LBB176_103:
	s_or_b64 exec, exec, s[60:61]
	v_cmp_gt_u32_e64 s[14:15], 8, v22
	s_and_saveexec_b64 s[60:61], s[14:15]
	s_cbranch_execz .LBB176_105
.LBB176_104:
	v_mov_b32_e32 v28, 0
	v_lshlrev_b32_e32 v25, 4, v0
	ds_read_b128 v[28:31], v28 offset:112
	ds_read_b128 v[32:35], v25 offset:3712
	s_waitcnt lgkmcnt(0)
	v_mul_f64 v[36:37], v[30:31], v[34:35]
	v_mul_f64 v[34:35], v[28:29], v[34:35]
	v_fma_f64 v[28:29], v[28:29], v[32:33], -v[36:37]
	v_fma_f64 v[30:31], v[30:31], v[32:33], v[34:35]
	v_add_f64 v[10:11], v[10:11], v[28:29]
	v_add_f64 v[12:13], v[12:13], v[30:31]
.LBB176_105:
	s_or_b64 exec, exec, s[60:61]
	v_xor_b32_e32 v11, 0x80000000, v11
	v_xor_b32_e32 v13, 0x80000000, v13
.LBB176_106:
	s_or_b64 exec, exec, s[18:19]
	v_mov_b32_e32 v25, 0x4000
	v_lshl_add_u32 v25, v27, 4, v25
	v_cmp_eq_u32_e64 s[14:15], 0, v26
	s_xor_b64 s[18:19], s[12:13], -1
	s_and_b64 s[0:1], s[14:15], s[18:19]
	s_mov_b64 s[12:13], exec
	v_writelane_b32 v43, s0, 2
	v_writelane_b32 v43, s1, 3
	s_and_b64 s[0:1], s[12:13], s[0:1]
	s_mov_b64 exec, s[0:1]
; %bb.107:
	ds_write_b128 v25, v[10:13]
; %bb.108:
	s_or_b64 exec, exec, s[12:13]
	v_cmp_ne_u32_e64 s[12:13], 0, v26
	s_waitcnt lgkmcnt(0)
	s_barrier
	s_and_b64 s[0:1], s[12:13], s[18:19]
	s_mov_b64 s[12:13], exec
	v_writelane_b32 v43, s0, 4
	v_writelane_b32 v43, s1, 5
	s_and_b64 s[0:1], s[12:13], s[0:1]
	s_mov_b64 exec, s[0:1]
	s_cbranch_execz .LBB176_110
; %bb.109:
	ds_read_b128 v[28:31], v25
	ds_read_b128 v[32:35], v24 offset:4224
	s_waitcnt lgkmcnt(0)
	v_mul_f64 v[36:37], v[30:31], v[34:35]
	v_mul_f64 v[34:35], v[28:29], v[34:35]
	v_fma_f64 v[28:29], v[28:29], v[32:33], -v[36:37]
	v_fma_f64 v[30:31], v[30:31], v[32:33], v[34:35]
	v_add_f64 v[10:11], v[10:11], v[28:29]
	v_add_f64 v[12:13], v[12:13], v[30:31]
.LBB176_110:
	s_or_b64 exec, exec, s[12:13]
	v_cmp_eq_u32_e64 s[12:13], 1, v26
	s_and_b64 s[0:1], s[12:13], s[18:19]
	s_barrier
	s_and_saveexec_b64 s[12:13], s[0:1]
; %bb.111:
	ds_write_b128 v25, v[10:13]
; %bb.112:
	s_or_b64 exec, exec, s[12:13]
	v_cmp_lt_u32_e64 s[12:13], 1, v26
	s_and_b64 s[68:69], s[12:13], s[18:19]
	s_waitcnt lgkmcnt(0)
	s_barrier
	s_and_saveexec_b64 s[12:13], s[68:69]
	s_cbranch_execz .LBB176_114
; %bb.113:
	ds_read_b128 v[28:31], v25
	ds_read_b128 v[32:35], v24 offset:4736
	s_waitcnt lgkmcnt(0)
	v_mul_f64 v[36:37], v[30:31], v[34:35]
	v_mul_f64 v[34:35], v[28:29], v[34:35]
	v_fma_f64 v[28:29], v[28:29], v[32:33], -v[36:37]
	v_fma_f64 v[30:31], v[30:31], v[32:33], v[34:35]
	v_add_f64 v[10:11], v[10:11], v[28:29]
	v_add_f64 v[12:13], v[12:13], v[30:31]
.LBB176_114:
	s_or_b64 exec, exec, s[12:13]
	v_cmp_eq_u32_e64 s[12:13], 2, v26
	s_and_b64 s[70:71], s[12:13], s[18:19]
	s_barrier
	s_and_saveexec_b64 s[12:13], s[70:71]
; %bb.115:
	ds_write_b128 v25, v[10:13]
; %bb.116:
	s_or_b64 exec, exec, s[12:13]
	v_cmp_lt_u32_e64 s[12:13], 2, v26
	s_and_b64 s[72:73], s[12:13], s[18:19]
	s_waitcnt lgkmcnt(0)
	s_barrier
	s_and_saveexec_b64 s[12:13], s[72:73]
	;; [unrolled: 26-line block ×5, first 2 shown]
	s_cbranch_execz .LBB176_130
; %bb.129:
	ds_read_b128 v[28:31], v25
	ds_read_b128 v[32:35], v24 offset:6784
	s_waitcnt lgkmcnt(0)
	v_mul_f64 v[36:37], v[30:31], v[34:35]
	v_mul_f64 v[34:35], v[28:29], v[34:35]
	v_fma_f64 v[28:29], v[28:29], v[32:33], -v[36:37]
	v_fma_f64 v[30:31], v[30:31], v[32:33], v[34:35]
	v_add_f64 v[10:11], v[10:11], v[28:29]
	v_add_f64 v[12:13], v[12:13], v[30:31]
.LBB176_130:
	s_or_b64 exec, exec, s[12:13]
	v_cmp_eq_u32_e64 s[12:13], 6, v26
	s_and_b64 s[86:87], s[12:13], s[18:19]
	s_barrier
	s_and_saveexec_b64 s[12:13], s[86:87]
; %bb.131:
	ds_write_b128 v25, v[10:13]
; %bb.132:
	s_or_b64 exec, exec, s[12:13]
	v_cmp_eq_u32_e64 s[12:13], 7, v26
	s_and_b64 s[60:61], s[12:13], s[18:19]
	s_waitcnt lgkmcnt(0)
	s_barrier
	s_and_saveexec_b64 s[12:13], s[60:61]
	s_cbranch_execz .LBB176_134
; %bb.133:
	v_mov_b32_e32 v32, 0
	ds_read_b128 v[28:31], v25
	ds_read_b128 v[32:35], v32 offset:7408
	s_waitcnt lgkmcnt(0)
	v_mul_f64 v[36:37], v[30:31], v[34:35]
	v_mul_f64 v[34:35], v[28:29], v[34:35]
	v_fma_f64 v[28:29], v[28:29], v[32:33], -v[36:37]
	v_fma_f64 v[30:31], v[30:31], v[32:33], v[34:35]
	v_add_f64 v[10:11], v[10:11], v[28:29]
	v_add_f64 v[12:13], v[12:13], v[30:31]
.LBB176_134:
	s_or_b64 exec, exec, s[12:13]
	s_barrier
	s_and_saveexec_b64 s[12:13], s[60:61]
; %bb.135:
	ds_write_b128 v25, v[10:13]
; %bb.136:
	s_or_b64 exec, exec, s[12:13]
	s_waitcnt lgkmcnt(0)
	s_barrier
	s_barrier
	s_and_saveexec_b64 s[12:13], s[8:9]
; %bb.137:
	v_xor_b32_e32 v11, 0x80000000, v11
	v_xor_b32_e32 v13, 0x80000000, v13
	ds_write_b128 v23, v[10:13] offset:128
; %bb.138:
	s_or_b64 exec, exec, s[12:13]
	v_cmp_gt_u32_e64 s[12:13], 8, v0
	s_and_b64 s[88:89], s[10:11], s[12:13]
	s_waitcnt lgkmcnt(0)
	s_barrier
	s_barrier
	s_and_saveexec_b64 s[12:13], s[88:89]
	s_cbranch_execz .LBB176_140
; %bb.139:
	v_lshlrev_b32_e32 v28, 9, v0
	ds_read_b128 v[10:13], v28 offset:128
	s_movk_i32 s14, 0xfe10
	v_mad_i32_i24 v29, v0, s14, v28
	s_waitcnt lgkmcnt(0)
	ds_write_b128 v29, v[10:13] offset:4096
	ds_read_b128 v[10:13], v28 offset:144
	s_waitcnt lgkmcnt(0)
	ds_write_b128 v29, v[10:13] offset:4608
	ds_read_b128 v[10:13], v28 offset:160
	s_waitcnt lgkmcnt(0)
	ds_write_b128 v29, v[10:13] offset:5120
	ds_read_b128 v[10:13], v28 offset:176
	s_waitcnt lgkmcnt(0)
	ds_write_b128 v29, v[10:13] offset:5632
	ds_read_b128 v[10:13], v28 offset:192
	s_waitcnt lgkmcnt(0)
	ds_write_b128 v29, v[10:13] offset:6144
	ds_read_b128 v[10:13], v28 offset:208
	s_waitcnt lgkmcnt(0)
	ds_write_b128 v29, v[10:13] offset:6656
	ds_read_b128 v[10:13], v28 offset:224
	s_waitcnt lgkmcnt(0)
	ds_write_b128 v29, v[10:13] offset:7168
	ds_read_b128 v[10:13], v28 offset:240
	s_waitcnt lgkmcnt(0)
	ds_write_b128 v29, v[10:13] offset:7680
.LBB176_140:
	s_or_b64 exec, exec, s[12:13]
	s_waitcnt lgkmcnt(0)
	s_barrier
	s_and_saveexec_b64 s[12:13], vcc
	s_cbranch_execz .LBB176_142
; %bb.141:
	v_mov_b32_e32 v32, 0
	s_mov_b32 s64, 0
	ds_read_b128 v[10:13], v32 offset:4240
	s_mov_b32 s65, 0x3ff00000
	s_mov_b32 s66, s64
	;; [unrolled: 1-line block ×3, first 2 shown]
	v_mov_b32_e32 v28, s64
	v_mov_b32_e32 v29, s65
	;; [unrolled: 1-line block ×4, first 2 shown]
	ds_write_b128 v32, v[28:31] offset:4224
	ds_write_b128 v32, v[28:31] offset:4752
	s_waitcnt lgkmcnt(2)
	ds_write_b128 v32, v[10:13] offset:4736
.LBB176_142:
	s_or_b64 exec, exec, s[12:13]
	v_mov_b32_e32 v12, 0
	v_mov_b32_e32 v10, 0
	;; [unrolled: 1-line block ×4, first 2 shown]
	s_waitcnt lgkmcnt(0)
	s_barrier
	s_and_saveexec_b64 s[14:15], s[2:3]
	s_cbranch_execz .LBB176_146
; %bb.143:
	v_mul_u32_u24_e32 v10, 0x210, v16
	ds_read_b128 v[10:13], v10 offset:4224
	ds_read_b128 v[28:31], v14 offset:4256
	v_cmp_gt_u32_e64 s[12:13], 2, v22
	s_waitcnt lgkmcnt(0)
	v_mul_f64 v[32:33], v[12:13], v[30:31]
	v_mul_f64 v[30:31], v[10:11], v[30:31]
	v_fma_f64 v[10:11], v[10:11], v[28:29], -v[32:33]
	v_fma_f64 v[12:13], v[12:13], v[28:29], v[30:31]
	v_add_f64 v[10:11], v[10:11], 0
	v_add_f64 v[12:13], v[12:13], 0
	s_and_saveexec_b64 s[18:19], s[12:13]
	s_cbranch_execz .LBB176_145
; %bb.144:
	v_lshlrev_b32_e32 v32, 4, v0
	v_mov_b32_e32 v28, 0
	ds_read_b128 v[28:31], v28 offset:4240
	ds_read_b128 v[32:35], v32 offset:4768
	s_waitcnt lgkmcnt(0)
	v_mul_f64 v[36:37], v[30:31], v[34:35]
	v_mul_f64 v[34:35], v[28:29], v[34:35]
	v_fma_f64 v[28:29], v[28:29], v[32:33], -v[36:37]
	v_fma_f64 v[30:31], v[30:31], v[32:33], v[34:35]
	v_add_f64 v[10:11], v[10:11], v[28:29]
	v_add_f64 v[12:13], v[12:13], v[30:31]
.LBB176_145:
	s_or_b64 exec, exec, s[18:19]
	v_xor_b32_e32 v11, 0x80000000, v11
	v_xor_b32_e32 v13, 0x80000000, v13
.LBB176_146:
	s_or_b64 exec, exec, s[14:15]
	s_and_saveexec_b64 s[12:13], s[42:43]
; %bb.147:
	ds_write_b128 v15, v[10:13]
; %bb.148:
	s_or_b64 exec, exec, s[12:13]
	s_waitcnt lgkmcnt(0)
	s_barrier
	s_and_saveexec_b64 s[12:13], s[40:41]
	s_cbranch_execz .LBB176_150
; %bb.149:
	v_mov_b32_e32 v32, 0
	ds_read_b128 v[28:31], v15
	ds_read_b128 v[32:35], v32 offset:5296
	s_waitcnt lgkmcnt(0)
	v_mul_f64 v[36:37], v[30:31], v[34:35]
	v_mul_f64 v[34:35], v[28:29], v[34:35]
	v_fma_f64 v[28:29], v[28:29], v[32:33], -v[36:37]
	v_fma_f64 v[30:31], v[30:31], v[32:33], v[34:35]
	v_add_f64 v[10:11], v[10:11], v[28:29]
	v_add_f64 v[12:13], v[12:13], v[30:31]
.LBB176_150:
	s_or_b64 exec, exec, s[12:13]
	s_barrier
	s_and_saveexec_b64 s[12:13], s[40:41]
; %bb.151:
	ds_write_b128 v15, v[10:13]
; %bb.152:
	s_or_b64 exec, exec, s[12:13]
	s_waitcnt lgkmcnt(0)
	s_barrier
	s_barrier
	s_and_saveexec_b64 s[12:13], s[2:3]
; %bb.153:
	v_xor_b32_e32 v11, 0x80000000, v11
	v_xor_b32_e32 v13, 0x80000000, v13
	ds_write_b128 v14, v[10:13] offset:4256
; %bb.154:
	s_or_b64 exec, exec, s[12:13]
	s_waitcnt lgkmcnt(0)
	s_barrier
	s_barrier
	s_and_saveexec_b64 s[12:13], s[44:45]
	s_cbranch_execz .LBB176_156
; %bb.155:
	v_lshlrev_b32_e32 v28, 9, v0
	ds_read_b128 v[10:13], v28 offset:4256
	s_movk_i32 s14, 0xfe10
	v_mad_i32_i24 v29, v0, s14, v28
	s_waitcnt lgkmcnt(0)
	ds_write_b128 v29, v[10:13] offset:5248
	ds_read_b128 v[10:13], v28 offset:4272
	s_waitcnt lgkmcnt(0)
	ds_write_b128 v29, v[10:13] offset:5760
.LBB176_156:
	s_or_b64 exec, exec, s[12:13]
	s_waitcnt lgkmcnt(0)
	s_barrier
	s_and_saveexec_b64 s[12:13], vcc
	s_cbranch_execz .LBB176_158
; %bb.157:
	v_mov_b32_e32 v32, 0
	s_mov_b32 s64, 0
	ds_read_b128 v[10:13], v32 offset:5296
	s_mov_b32 s65, 0x3ff00000
	s_mov_b32 s66, s64
	;; [unrolled: 1-line block ×3, first 2 shown]
	v_mov_b32_e32 v28, s64
	v_mov_b32_e32 v29, s65
	;; [unrolled: 1-line block ×4, first 2 shown]
	ds_write_b128 v32, v[28:31] offset:5280
	ds_write_b128 v32, v[28:31] offset:5808
	s_waitcnt lgkmcnt(2)
	ds_write_b128 v32, v[10:13] offset:5792
.LBB176_158:
	s_or_b64 exec, exec, s[12:13]
	v_mov_b32_e32 v12, 0
	v_mov_b32_e32 v10, 0
	;; [unrolled: 1-line block ×4, first 2 shown]
	s_waitcnt lgkmcnt(0)
	s_barrier
	s_and_saveexec_b64 s[14:15], s[16:17]
	s_cbranch_execz .LBB176_164
; %bb.159:
	v_mul_u32_u24_e32 v28, 0x210, v21
	ds_read_b128 v[10:13], v28 offset:4224
	ds_read_b128 v[29:32], v17 offset:4288
	v_cmp_gt_u32_e64 s[12:13], 12, v22
	s_waitcnt lgkmcnt(0)
	v_mul_f64 v[33:34], v[12:13], v[31:32]
	v_mul_f64 v[31:32], v[10:11], v[31:32]
	v_fma_f64 v[10:11], v[10:11], v[29:30], -v[33:34]
	v_fma_f64 v[12:13], v[12:13], v[29:30], v[31:32]
	v_add_f64 v[10:11], v[10:11], 0
	v_add_f64 v[12:13], v[12:13], 0
	s_and_saveexec_b64 s[18:19], s[12:13]
	s_cbranch_execnz .LBB176_525
; %bb.160:
	s_or_b64 exec, exec, s[18:19]
	v_cmp_gt_u32_e64 s[12:13], 8, v22
	s_and_saveexec_b64 s[18:19], s[12:13]
	s_cbranch_execnz .LBB176_526
.LBB176_161:
	s_or_b64 exec, exec, s[18:19]
	v_cmp_gt_u32_e64 s[12:13], 4, v22
	s_and_saveexec_b64 s[18:19], s[12:13]
	s_cbranch_execz .LBB176_163
.LBB176_162:
	v_lshlrev_b32_e32 v32, 4, v0
	v_mov_b32_e32 v28, 0
	ds_read_b128 v[28:31], v28 offset:4272
	ds_read_b128 v[32:35], v32 offset:5824
	s_waitcnt lgkmcnt(0)
	v_mul_f64 v[36:37], v[30:31], v[34:35]
	v_mul_f64 v[34:35], v[28:29], v[34:35]
	v_fma_f64 v[28:29], v[28:29], v[32:33], -v[36:37]
	v_fma_f64 v[30:31], v[30:31], v[32:33], v[34:35]
	v_add_f64 v[10:11], v[10:11], v[28:29]
	v_add_f64 v[12:13], v[12:13], v[30:31]
.LBB176_163:
	s_or_b64 exec, exec, s[18:19]
	v_xor_b32_e32 v11, 0x80000000, v11
	v_xor_b32_e32 v13, 0x80000000, v13
.LBB176_164:
	s_or_b64 exec, exec, s[14:15]
	s_and_saveexec_b64 s[12:13], s[48:49]
; %bb.165:
	ds_write_b128 v19, v[10:13]
; %bb.166:
	s_or_b64 exec, exec, s[12:13]
	s_waitcnt lgkmcnt(0)
	s_barrier
	s_and_saveexec_b64 s[12:13], s[50:51]
	s_cbranch_execz .LBB176_168
; %bb.167:
	ds_read_b128 v[28:31], v19
	ds_read_b128 v[32:35], v18 offset:6336
	s_waitcnt lgkmcnt(0)
	v_mul_f64 v[36:37], v[30:31], v[34:35]
	v_mul_f64 v[34:35], v[28:29], v[34:35]
	v_fma_f64 v[28:29], v[28:29], v[32:33], -v[36:37]
	v_fma_f64 v[30:31], v[30:31], v[32:33], v[34:35]
	v_add_f64 v[10:11], v[10:11], v[28:29]
	v_add_f64 v[12:13], v[12:13], v[30:31]
.LBB176_168:
	s_or_b64 exec, exec, s[12:13]
	s_barrier
	s_and_saveexec_b64 s[12:13], s[52:53]
; %bb.169:
	ds_write_b128 v19, v[10:13]
; %bb.170:
	s_or_b64 exec, exec, s[12:13]
	s_waitcnt lgkmcnt(0)
	s_barrier
	s_and_saveexec_b64 s[12:13], s[54:55]
	s_cbranch_execz .LBB176_172
; %bb.171:
	ds_read_b128 v[28:31], v19
	ds_read_b128 v[32:35], v18 offset:6848
	s_waitcnt lgkmcnt(0)
	v_mul_f64 v[36:37], v[30:31], v[34:35]
	v_mul_f64 v[34:35], v[28:29], v[34:35]
	v_fma_f64 v[28:29], v[28:29], v[32:33], -v[36:37]
	v_fma_f64 v[30:31], v[30:31], v[32:33], v[34:35]
	v_add_f64 v[10:11], v[10:11], v[28:29]
	v_add_f64 v[12:13], v[12:13], v[30:31]
.LBB176_172:
	s_or_b64 exec, exec, s[12:13]
	s_barrier
	s_and_saveexec_b64 s[12:13], s[56:57]
; %bb.173:
	ds_write_b128 v19, v[10:13]
; %bb.174:
	s_or_b64 exec, exec, s[12:13]
	s_waitcnt lgkmcnt(0)
	s_barrier
	s_and_saveexec_b64 s[12:13], s[46:47]
	s_cbranch_execz .LBB176_176
; %bb.175:
	v_mov_b32_e32 v32, 0
	ds_read_b128 v[28:31], v19
	ds_read_b128 v[32:35], v32 offset:7408
	s_waitcnt lgkmcnt(0)
	v_mul_f64 v[36:37], v[30:31], v[34:35]
	v_mul_f64 v[34:35], v[28:29], v[34:35]
	v_fma_f64 v[28:29], v[28:29], v[32:33], -v[36:37]
	v_fma_f64 v[30:31], v[30:31], v[32:33], v[34:35]
	v_add_f64 v[10:11], v[10:11], v[28:29]
	v_add_f64 v[12:13], v[12:13], v[30:31]
.LBB176_176:
	s_or_b64 exec, exec, s[12:13]
	s_barrier
	s_and_saveexec_b64 s[12:13], s[46:47]
; %bb.177:
	ds_write_b128 v19, v[10:13]
; %bb.178:
	s_or_b64 exec, exec, s[12:13]
	s_waitcnt lgkmcnt(0)
	s_barrier
	s_barrier
	s_and_saveexec_b64 s[12:13], s[16:17]
; %bb.179:
	v_xor_b32_e32 v13, 0x80000000, v13
	v_xor_b32_e32 v11, 0x80000000, v11
	ds_write_b128 v17, v[10:13] offset:4288
; %bb.180:
	s_or_b64 exec, exec, s[12:13]
	s_waitcnt lgkmcnt(0)
	s_barrier
	s_barrier
	s_and_saveexec_b64 s[12:13], s[58:59]
	s_cbranch_execz .LBB176_182
; %bb.181:
	v_lshlrev_b32_e32 v28, 4, v0
	s_movk_i32 s14, 0x1f0
	v_mad_u32_u24 v29, v0, s14, v28
	ds_read_b128 v[10:13], v29 offset:4288
	s_waitcnt lgkmcnt(0)
	ds_write_b128 v28, v[10:13] offset:6272
	ds_read_b128 v[10:13], v29 offset:4304
	s_waitcnt lgkmcnt(0)
	ds_write_b128 v28, v[10:13] offset:6784
	;; [unrolled: 3-line block ×4, first 2 shown]
.LBB176_182:
	s_or_b64 exec, exec, s[12:13]
	s_waitcnt lgkmcnt(0)
	s_barrier
	s_and_saveexec_b64 s[12:13], vcc
	s_cbranch_execz .LBB176_184
; %bb.183:
	v_mov_b32_e32 v32, 0
	s_mov_b32 s64, 0
	ds_read_b128 v[10:13], v32 offset:6352
	s_mov_b32 s65, 0x3ff00000
	s_mov_b32 s66, s64
	;; [unrolled: 1-line block ×3, first 2 shown]
	v_mov_b32_e32 v28, s64
	v_mov_b32_e32 v29, s65
	;; [unrolled: 1-line block ×4, first 2 shown]
	ds_write_b128 v32, v[28:31] offset:6336
	ds_write_b128 v32, v[28:31] offset:6864
	s_waitcnt lgkmcnt(2)
	ds_write_b128 v32, v[10:13] offset:6848
.LBB176_184:
	s_or_b64 exec, exec, s[12:13]
	v_mov_b32_e32 v12, 0
	v_mov_b32_e32 v10, 0
	v_mov_b32_e32 v13, 0
	v_mov_b32_e32 v11, 0
	s_waitcnt lgkmcnt(0)
	s_barrier
	s_and_saveexec_b64 s[14:15], s[2:3]
	s_cbranch_execz .LBB176_188
; %bb.185:
	v_mul_u32_u24_e32 v10, 0x210, v16
	ds_read_b128 v[10:13], v10 offset:6336
	ds_read_b128 v[28:31], v14 offset:6368
	v_cmp_gt_u32_e64 s[12:13], 2, v22
	s_waitcnt lgkmcnt(0)
	v_mul_f64 v[32:33], v[12:13], v[30:31]
	v_mul_f64 v[30:31], v[10:11], v[30:31]
	v_fma_f64 v[10:11], v[10:11], v[28:29], -v[32:33]
	v_fma_f64 v[12:13], v[12:13], v[28:29], v[30:31]
	v_add_f64 v[10:11], v[10:11], 0
	v_add_f64 v[12:13], v[12:13], 0
	s_and_saveexec_b64 s[18:19], s[12:13]
	s_cbranch_execz .LBB176_187
; %bb.186:
	v_lshlrev_b32_e32 v32, 4, v0
	v_mov_b32_e32 v28, 0
	ds_read_b128 v[28:31], v28 offset:6352
	ds_read_b128 v[32:35], v32 offset:6880
	s_waitcnt lgkmcnt(0)
	v_mul_f64 v[36:37], v[30:31], v[34:35]
	v_mul_f64 v[34:35], v[28:29], v[34:35]
	v_fma_f64 v[28:29], v[28:29], v[32:33], -v[36:37]
	v_fma_f64 v[30:31], v[30:31], v[32:33], v[34:35]
	v_add_f64 v[10:11], v[10:11], v[28:29]
	v_add_f64 v[12:13], v[12:13], v[30:31]
.LBB176_187:
	s_or_b64 exec, exec, s[18:19]
	v_xor_b32_e32 v11, 0x80000000, v11
	v_xor_b32_e32 v13, 0x80000000, v13
.LBB176_188:
	s_or_b64 exec, exec, s[14:15]
	s_and_saveexec_b64 s[12:13], s[42:43]
; %bb.189:
	ds_write_b128 v15, v[10:13]
; %bb.190:
	s_or_b64 exec, exec, s[12:13]
	s_waitcnt lgkmcnt(0)
	s_barrier
	s_and_saveexec_b64 s[12:13], s[40:41]
	s_cbranch_execz .LBB176_192
; %bb.191:
	v_mov_b32_e32 v32, 0
	ds_read_b128 v[28:31], v15
	ds_read_b128 v[32:35], v32 offset:7408
	s_waitcnt lgkmcnt(0)
	v_mul_f64 v[36:37], v[30:31], v[34:35]
	v_mul_f64 v[34:35], v[28:29], v[34:35]
	v_fma_f64 v[28:29], v[28:29], v[32:33], -v[36:37]
	v_fma_f64 v[30:31], v[30:31], v[32:33], v[34:35]
	v_add_f64 v[10:11], v[10:11], v[28:29]
	v_add_f64 v[12:13], v[12:13], v[30:31]
.LBB176_192:
	s_or_b64 exec, exec, s[12:13]
	s_barrier
	s_and_saveexec_b64 s[12:13], s[40:41]
; %bb.193:
	ds_write_b128 v15, v[10:13]
; %bb.194:
	s_or_b64 exec, exec, s[12:13]
	s_waitcnt lgkmcnt(0)
	s_barrier
	s_barrier
	s_and_saveexec_b64 s[12:13], s[2:3]
; %bb.195:
	v_xor_b32_e32 v11, 0x80000000, v11
	v_xor_b32_e32 v13, 0x80000000, v13
	ds_write_b128 v14, v[10:13] offset:6368
; %bb.196:
	s_or_b64 exec, exec, s[12:13]
	s_waitcnt lgkmcnt(0)
	s_barrier
	s_barrier
	s_and_saveexec_b64 s[12:13], s[44:45]
	s_cbranch_execz .LBB176_198
; %bb.197:
	v_lshlrev_b32_e32 v28, 9, v0
	ds_read_b128 v[10:13], v28 offset:6368
	s_movk_i32 s14, 0xfe10
	v_mad_i32_i24 v29, v0, s14, v28
	s_waitcnt lgkmcnt(0)
	ds_write_b128 v29, v[10:13] offset:7360
	ds_read_b128 v[10:13], v28 offset:6384
	s_waitcnt lgkmcnt(0)
	ds_write_b128 v29, v[10:13] offset:7872
.LBB176_198:
	s_or_b64 exec, exec, s[12:13]
	s_waitcnt lgkmcnt(0)
	s_barrier
	s_and_saveexec_b64 s[12:13], vcc
	s_cbranch_execz .LBB176_200
; %bb.199:
	v_mov_b32_e32 v32, 0
	s_mov_b32 s64, 0
	ds_read_b128 v[10:13], v32 offset:7408
	s_mov_b32 s65, 0x3ff00000
	s_mov_b32 s66, s64
	s_mov_b32 s67, s64
	v_mov_b32_e32 v28, s64
	v_mov_b32_e32 v29, s65
	;; [unrolled: 1-line block ×4, first 2 shown]
	ds_write_b128 v32, v[28:31] offset:7392
	ds_write_b128 v32, v[28:31] offset:7920
	s_waitcnt lgkmcnt(2)
	ds_write_b128 v32, v[10:13] offset:7904
.LBB176_200:
	s_or_b64 exec, exec, s[12:13]
	v_and_b32_e32 v29, 15, v0
	s_movk_i32 s12, 0xff
	v_lshrrev_b32_e32 v31, 4, v22
	v_cmp_lt_u32_e64 s[14:15], s12, v22
	s_movk_i32 s12, 0x100
	v_lshlrev_b32_e32 v30, 4, v29
	v_mov_b32_e32 v12, 0
	v_mov_b32_e32 v10, 0
	v_cmp_gt_u32_e64 s[12:13], s12, v22
	v_mov_b32_e32 v13, 0
	v_mov_b32_e32 v11, 0
	v_lshl_or_b32 v28, v31, 9, v30
	s_waitcnt lgkmcnt(0)
	s_barrier
	s_and_saveexec_b64 s[90:91], s[12:13]
	s_cbranch_execz .LBB176_228
; %bb.201:
	v_mul_u32_u24_e32 v32, 0x210, v31
	ds_read_b128 v[10:13], v32
	ds_read_b128 v[33:36], v28 offset:256
	s_movk_i32 s18, 0xf0
	v_cmp_gt_u32_e64 s[18:19], s18, v22
	s_waitcnt lgkmcnt(0)
	v_mul_f64 v[37:38], v[12:13], v[35:36]
	v_mul_f64 v[35:36], v[10:11], v[35:36]
	v_fma_f64 v[10:11], v[10:11], v[33:34], -v[37:38]
	v_fma_f64 v[12:13], v[12:13], v[33:34], v[35:36]
	v_add_f64 v[10:11], v[10:11], 0
	v_add_f64 v[12:13], v[12:13], 0
	s_and_saveexec_b64 s[92:93], s[18:19]
	s_cbranch_execz .LBB176_203
; %bb.202:
	ds_read_b128 v[33:36], v32 offset:16
	ds_read_b128 v[37:40], v28 offset:768
	s_waitcnt lgkmcnt(0)
	v_mul_f64 v[41:42], v[35:36], v[39:40]
	v_mul_f64 v[39:40], v[33:34], v[39:40]
	v_fma_f64 v[33:34], v[33:34], v[37:38], -v[41:42]
	v_fma_f64 v[35:36], v[35:36], v[37:38], v[39:40]
	v_add_f64 v[10:11], v[10:11], v[33:34]
	v_add_f64 v[12:13], v[12:13], v[35:36]
.LBB176_203:
	s_or_b64 exec, exec, s[92:93]
	s_movk_i32 s18, 0xe0
	v_cmp_gt_u32_e64 s[18:19], s18, v22
	s_and_saveexec_b64 s[92:93], s[18:19]
	s_cbranch_execz .LBB176_205
; %bb.204:
	ds_read_b128 v[33:36], v32 offset:32
	ds_read_b128 v[37:40], v28 offset:1280
	s_waitcnt lgkmcnt(0)
	v_mul_f64 v[41:42], v[35:36], v[39:40]
	v_mul_f64 v[39:40], v[33:34], v[39:40]
	v_fma_f64 v[33:34], v[33:34], v[37:38], -v[41:42]
	v_fma_f64 v[35:36], v[35:36], v[37:38], v[39:40]
	v_add_f64 v[10:11], v[10:11], v[33:34]
	v_add_f64 v[12:13], v[12:13], v[35:36]
.LBB176_205:
	s_or_b64 exec, exec, s[92:93]
	s_movk_i32 s18, 0xd0
	v_cmp_gt_u32_e64 s[18:19], s18, v22
	;; [unrolled: 16-line block ×10, first 2 shown]
	s_and_saveexec_b64 s[92:93], s[18:19]
	s_cbranch_execnz .LBB176_527
; %bb.222:
	s_or_b64 exec, exec, s[92:93]
	v_cmp_gt_u32_e64 s[18:19], 64, v22
	s_and_saveexec_b64 s[92:93], s[18:19]
	s_cbranch_execnz .LBB176_528
.LBB176_223:
	s_or_b64 exec, exec, s[92:93]
	v_cmp_gt_u32_e64 s[18:19], 48, v22
	s_and_saveexec_b64 s[92:93], s[18:19]
	s_cbranch_execnz .LBB176_529
.LBB176_224:
	s_or_b64 exec, exec, s[92:93]
	v_cmp_gt_u32_e64 s[18:19], 32, v22
	s_and_saveexec_b64 s[92:93], s[18:19]
	s_cbranch_execnz .LBB176_530
.LBB176_225:
	s_or_b64 exec, exec, s[92:93]
	v_cmp_gt_u32_e64 s[18:19], 16, v22
	s_and_saveexec_b64 s[92:93], s[18:19]
	s_cbranch_execz .LBB176_227
.LBB176_226:
	v_lshlrev_b32_e32 v36, 4, v0
	v_mov_b32_e32 v32, 0
	ds_read_b128 v[32:35], v32 offset:240
	ds_read_b128 v[36:39], v36 offset:7936
	s_waitcnt lgkmcnt(0)
	v_mul_f64 v[40:41], v[34:35], v[38:39]
	v_mul_f64 v[38:39], v[32:33], v[38:39]
	v_fma_f64 v[32:33], v[32:33], v[36:37], -v[40:41]
	v_fma_f64 v[34:35], v[34:35], v[36:37], v[38:39]
	v_add_f64 v[10:11], v[10:11], v[32:33]
	v_add_f64 v[12:13], v[12:13], v[34:35]
.LBB176_227:
	s_or_b64 exec, exec, s[92:93]
	v_xor_b32_e32 v11, 0x80000000, v11
	v_xor_b32_e32 v13, 0x80000000, v13
.LBB176_228:
	s_or_b64 exec, exec, s[90:91]
	v_mov_b32_e32 v32, 0x4000
	v_cmp_eq_u32_e64 s[18:19], 0, v29
	s_xor_b64 s[90:91], s[14:15], -1
	v_lshl_add_u32 v31, v31, 4, v32
	s_and_b64 s[18:19], s[18:19], s[90:91]
	s_and_saveexec_b64 s[14:15], s[18:19]
; %bb.229:
	ds_write_b128 v31, v[10:13]
; %bb.230:
	s_or_b64 exec, exec, s[14:15]
	v_cmp_ne_u32_e64 s[14:15], 0, v29
	s_and_b64 s[18:19], s[14:15], s[90:91]
	s_waitcnt lgkmcnt(0)
	s_barrier
	s_and_saveexec_b64 s[14:15], s[18:19]
	s_cbranch_execz .LBB176_232
; %bb.231:
	ds_read_b128 v[32:35], v31
	ds_read_b128 v[36:39], v30 offset:8448
	s_waitcnt lgkmcnt(0)
	v_mul_f64 v[40:41], v[34:35], v[38:39]
	v_mul_f64 v[38:39], v[32:33], v[38:39]
	v_fma_f64 v[32:33], v[32:33], v[36:37], -v[40:41]
	v_fma_f64 v[34:35], v[34:35], v[36:37], v[38:39]
	v_add_f64 v[10:11], v[10:11], v[32:33]
	v_add_f64 v[12:13], v[12:13], v[34:35]
.LBB176_232:
	s_or_b64 exec, exec, s[14:15]
	v_cmp_eq_u32_e64 s[14:15], 1, v29
	s_and_b64 s[18:19], s[14:15], s[90:91]
	s_barrier
	s_and_saveexec_b64 s[14:15], s[18:19]
; %bb.233:
	ds_write_b128 v31, v[10:13]
; %bb.234:
	s_or_b64 exec, exec, s[14:15]
	v_cmp_lt_u32_e64 s[14:15], 1, v29
	s_and_b64 s[18:19], s[14:15], s[90:91]
	s_waitcnt lgkmcnt(0)
	s_barrier
	s_and_saveexec_b64 s[14:15], s[18:19]
	s_cbranch_execz .LBB176_236
; %bb.235:
	ds_read_b128 v[32:35], v31
	ds_read_b128 v[36:39], v30 offset:8960
	s_waitcnt lgkmcnt(0)
	v_mul_f64 v[40:41], v[34:35], v[38:39]
	v_mul_f64 v[38:39], v[32:33], v[38:39]
	v_fma_f64 v[32:33], v[32:33], v[36:37], -v[40:41]
	v_fma_f64 v[34:35], v[34:35], v[36:37], v[38:39]
	v_add_f64 v[10:11], v[10:11], v[32:33]
	v_add_f64 v[12:13], v[12:13], v[34:35]
.LBB176_236:
	s_or_b64 exec, exec, s[14:15]
	v_cmp_eq_u32_e64 s[14:15], 2, v29
	s_and_b64 s[18:19], s[14:15], s[90:91]
	s_barrier
	s_and_saveexec_b64 s[14:15], s[18:19]
; %bb.237:
	ds_write_b128 v31, v[10:13]
; %bb.238:
	s_or_b64 exec, exec, s[14:15]
	v_cmp_lt_u32_e64 s[14:15], 2, v29
	;; [unrolled: 26-line block ×13, first 2 shown]
	s_and_b64 s[18:19], s[14:15], s[90:91]
	s_waitcnt lgkmcnt(0)
	s_barrier
	s_and_saveexec_b64 s[14:15], s[18:19]
	s_cbranch_execz .LBB176_284
; %bb.283:
	ds_read_b128 v[32:35], v31
	ds_read_b128 v[36:39], v30 offset:15104
	s_waitcnt lgkmcnt(0)
	v_mul_f64 v[40:41], v[34:35], v[38:39]
	v_mul_f64 v[38:39], v[32:33], v[38:39]
	v_fma_f64 v[32:33], v[32:33], v[36:37], -v[40:41]
	v_fma_f64 v[34:35], v[34:35], v[36:37], v[38:39]
	v_add_f64 v[10:11], v[10:11], v[32:33]
	v_add_f64 v[12:13], v[12:13], v[34:35]
.LBB176_284:
	s_or_b64 exec, exec, s[14:15]
	v_cmp_eq_u32_e64 s[14:15], 14, v29
	s_and_b64 s[18:19], s[14:15], s[90:91]
	s_barrier
	s_and_saveexec_b64 s[14:15], s[18:19]
; %bb.285:
	ds_write_b128 v31, v[10:13]
; %bb.286:
	s_or_b64 exec, exec, s[14:15]
	v_cmp_eq_u32_e64 s[14:15], 15, v29
	s_and_b64 s[14:15], s[14:15], s[90:91]
	s_waitcnt lgkmcnt(0)
	s_barrier
	s_and_saveexec_b64 s[18:19], s[14:15]
	s_cbranch_execz .LBB176_288
; %bb.287:
	v_mov_b32_e32 v29, 0
	ds_read_b128 v[32:35], v31
	ds_read_b128 v[36:39], v29 offset:15856
	s_waitcnt lgkmcnt(0)
	v_mul_f64 v[29:30], v[34:35], v[38:39]
	v_mul_f64 v[38:39], v[32:33], v[38:39]
	v_fma_f64 v[29:30], v[32:33], v[36:37], -v[29:30]
	v_fma_f64 v[32:33], v[34:35], v[36:37], v[38:39]
	v_add_f64 v[10:11], v[10:11], v[29:30]
	v_add_f64 v[12:13], v[12:13], v[32:33]
.LBB176_288:
	s_or_b64 exec, exec, s[18:19]
	s_barrier
	s_and_saveexec_b64 s[18:19], s[14:15]
; %bb.289:
	ds_write_b128 v31, v[10:13]
; %bb.290:
	s_or_b64 exec, exec, s[18:19]
	s_waitcnt lgkmcnt(0)
	s_barrier
	s_barrier
	s_and_saveexec_b64 s[14:15], s[12:13]
; %bb.291:
	v_xor_b32_e32 v13, 0x80000000, v13
	v_xor_b32_e32 v11, 0x80000000, v11
	ds_write_b128 v28, v[10:13] offset:256
; %bb.292:
	s_or_b64 exec, exec, s[14:15]
	v_cmp_gt_u32_e64 s[12:13], 16, v0
	s_and_b64 s[12:13], s[10:11], s[12:13]
	s_waitcnt lgkmcnt(0)
	s_barrier
	s_barrier
	s_and_saveexec_b64 s[10:11], s[12:13]
	s_cbranch_execz .LBB176_294
; %bb.293:
	v_lshlrev_b32_e32 v28, 9, v0
	ds_read_b128 v[10:13], v28 offset:256
	s_movk_i32 s12, 0xfe10
	v_mad_i32_i24 v29, v0, s12, v28
	s_waitcnt lgkmcnt(0)
	ds_write_b128 v29, v[10:13] offset:8192
	ds_read_b128 v[10:13], v28 offset:272
	s_waitcnt lgkmcnt(0)
	ds_write_b128 v29, v[10:13] offset:8704
	ds_read_b128 v[10:13], v28 offset:288
	;; [unrolled: 3-line block ×15, first 2 shown]
	s_waitcnt lgkmcnt(0)
	ds_write_b128 v29, v[10:13] offset:15872
.LBB176_294:
	s_or_b64 exec, exec, s[10:11]
	s_waitcnt lgkmcnt(0)
	s_barrier
	s_and_saveexec_b64 s[10:11], vcc
	s_cbranch_execz .LBB176_296
; %bb.295:
	s_mov_b32 s12, 0
	v_mov_b32_e32 v32, 0
	ds_read_b128 v[10:13], v32 offset:8464
	s_mov_b32 s15, s12
	s_mov_b32 s13, 0x3ff00000
	;; [unrolled: 1-line block ×3, first 2 shown]
	v_mov_b32_e32 v31, s15
	v_mov_b32_e32 v30, s14
	v_mov_b32_e32 v29, s13
	v_mov_b32_e32 v28, s12
	ds_write_b128 v32, v[28:31] offset:8448
	ds_write_b128 v32, v[28:31] offset:8976
	s_waitcnt lgkmcnt(2)
	ds_write_b128 v32, v[10:13] offset:8960
.LBB176_296:
	s_or_b64 exec, exec, s[10:11]
	v_mov_b32_e32 v12, 0
	v_mov_b32_e32 v10, 0
	;; [unrolled: 1-line block ×4, first 2 shown]
	s_waitcnt lgkmcnt(0)
	s_barrier
	s_and_saveexec_b64 s[12:13], s[2:3]
	s_cbranch_execz .LBB176_300
; %bb.297:
	v_mul_u32_u24_e32 v10, 0x210, v16
	ds_read_b128 v[10:13], v10 offset:8448
	ds_read_b128 v[28:31], v14 offset:8480
	v_cmp_gt_u32_e64 s[10:11], 2, v22
	s_waitcnt lgkmcnt(0)
	v_mul_f64 v[32:33], v[12:13], v[30:31]
	v_mul_f64 v[30:31], v[10:11], v[30:31]
	v_fma_f64 v[10:11], v[10:11], v[28:29], -v[32:33]
	v_fma_f64 v[12:13], v[12:13], v[28:29], v[30:31]
	v_add_f64 v[10:11], v[10:11], 0
	v_add_f64 v[12:13], v[12:13], 0
	s_and_saveexec_b64 s[14:15], s[10:11]
	s_cbranch_execz .LBB176_299
; %bb.298:
	v_lshlrev_b32_e32 v32, 4, v0
	v_mov_b32_e32 v28, 0
	ds_read_b128 v[28:31], v28 offset:8464
	ds_read_b128 v[32:35], v32 offset:8992
	s_waitcnt lgkmcnt(0)
	v_mul_f64 v[36:37], v[30:31], v[34:35]
	v_mul_f64 v[34:35], v[28:29], v[34:35]
	v_fma_f64 v[28:29], v[28:29], v[32:33], -v[36:37]
	v_fma_f64 v[30:31], v[30:31], v[32:33], v[34:35]
	v_add_f64 v[10:11], v[10:11], v[28:29]
	v_add_f64 v[12:13], v[12:13], v[30:31]
.LBB176_299:
	s_or_b64 exec, exec, s[14:15]
	v_xor_b32_e32 v11, 0x80000000, v11
	v_xor_b32_e32 v13, 0x80000000, v13
.LBB176_300:
	s_or_b64 exec, exec, s[12:13]
	s_and_saveexec_b64 s[10:11], s[42:43]
; %bb.301:
	ds_write_b128 v15, v[10:13]
; %bb.302:
	s_or_b64 exec, exec, s[10:11]
	s_waitcnt lgkmcnt(0)
	s_barrier
	s_and_saveexec_b64 s[10:11], s[40:41]
	s_cbranch_execz .LBB176_304
; %bb.303:
	v_mov_b32_e32 v32, 0
	ds_read_b128 v[28:31], v15
	ds_read_b128 v[32:35], v32 offset:9520
	s_waitcnt lgkmcnt(0)
	v_mul_f64 v[36:37], v[30:31], v[34:35]
	v_mul_f64 v[34:35], v[28:29], v[34:35]
	v_fma_f64 v[28:29], v[28:29], v[32:33], -v[36:37]
	v_fma_f64 v[30:31], v[30:31], v[32:33], v[34:35]
	v_add_f64 v[10:11], v[10:11], v[28:29]
	v_add_f64 v[12:13], v[12:13], v[30:31]
.LBB176_304:
	s_or_b64 exec, exec, s[10:11]
	s_barrier
	s_and_saveexec_b64 s[10:11], s[40:41]
; %bb.305:
	ds_write_b128 v15, v[10:13]
; %bb.306:
	s_or_b64 exec, exec, s[10:11]
	s_waitcnt lgkmcnt(0)
	s_barrier
	s_barrier
	s_and_saveexec_b64 s[10:11], s[2:3]
; %bb.307:
	v_xor_b32_e32 v11, 0x80000000, v11
	v_xor_b32_e32 v13, 0x80000000, v13
	ds_write_b128 v14, v[10:13] offset:8480
; %bb.308:
	s_or_b64 exec, exec, s[10:11]
	s_waitcnt lgkmcnt(0)
	s_barrier
	s_barrier
	s_and_saveexec_b64 s[10:11], s[44:45]
	s_cbranch_execz .LBB176_310
; %bb.309:
	v_lshlrev_b32_e32 v28, 9, v0
	ds_read_b128 v[10:13], v28 offset:8480
	s_movk_i32 s12, 0xfe10
	v_mad_i32_i24 v29, v0, s12, v28
	s_waitcnt lgkmcnt(0)
	ds_write_b128 v29, v[10:13] offset:9472
	ds_read_b128 v[10:13], v28 offset:8496
	s_waitcnt lgkmcnt(0)
	ds_write_b128 v29, v[10:13] offset:9984
.LBB176_310:
	s_or_b64 exec, exec, s[10:11]
	s_waitcnt lgkmcnt(0)
	s_barrier
	s_and_saveexec_b64 s[10:11], vcc
	s_cbranch_execz .LBB176_312
; %bb.311:
	s_mov_b32 s12, 0
	v_mov_b32_e32 v32, 0
	ds_read_b128 v[10:13], v32 offset:9520
	s_mov_b32 s15, s12
	s_mov_b32 s13, 0x3ff00000
	;; [unrolled: 1-line block ×3, first 2 shown]
	v_mov_b32_e32 v31, s15
	v_mov_b32_e32 v30, s14
	;; [unrolled: 1-line block ×4, first 2 shown]
	ds_write_b128 v32, v[28:31] offset:9504
	ds_write_b128 v32, v[28:31] offset:10032
	s_waitcnt lgkmcnt(2)
	ds_write_b128 v32, v[10:13] offset:10016
.LBB176_312:
	s_or_b64 exec, exec, s[10:11]
	v_mov_b32_e32 v12, 0
	v_mov_b32_e32 v10, 0
	;; [unrolled: 1-line block ×4, first 2 shown]
	s_waitcnt lgkmcnt(0)
	s_barrier
	s_and_saveexec_b64 s[12:13], s[16:17]
	s_cbranch_execz .LBB176_318
; %bb.313:
	v_mul_u32_u24_e32 v28, 0x210, v21
	ds_read_b128 v[10:13], v28 offset:8448
	ds_read_b128 v[29:32], v17 offset:8512
	v_cmp_gt_u32_e64 s[10:11], 12, v22
	s_waitcnt lgkmcnt(0)
	v_mul_f64 v[33:34], v[12:13], v[31:32]
	v_mul_f64 v[31:32], v[10:11], v[31:32]
	v_fma_f64 v[10:11], v[10:11], v[29:30], -v[33:34]
	v_fma_f64 v[12:13], v[12:13], v[29:30], v[31:32]
	v_add_f64 v[10:11], v[10:11], 0
	v_add_f64 v[12:13], v[12:13], 0
	s_and_saveexec_b64 s[14:15], s[10:11]
	s_cbranch_execnz .LBB176_531
; %bb.314:
	s_or_b64 exec, exec, s[14:15]
	v_cmp_gt_u32_e64 s[10:11], 8, v22
	s_and_saveexec_b64 s[14:15], s[10:11]
	s_cbranch_execnz .LBB176_532
.LBB176_315:
	s_or_b64 exec, exec, s[14:15]
	v_cmp_gt_u32_e64 s[10:11], 4, v22
	s_and_saveexec_b64 s[14:15], s[10:11]
	s_cbranch_execz .LBB176_317
.LBB176_316:
	v_lshlrev_b32_e32 v32, 4, v0
	v_mov_b32_e32 v28, 0
	ds_read_b128 v[28:31], v28 offset:8496
	ds_read_b128 v[32:35], v32 offset:10048
	s_waitcnt lgkmcnt(0)
	v_mul_f64 v[36:37], v[30:31], v[34:35]
	v_mul_f64 v[34:35], v[28:29], v[34:35]
	v_fma_f64 v[28:29], v[28:29], v[32:33], -v[36:37]
	v_fma_f64 v[30:31], v[30:31], v[32:33], v[34:35]
	v_add_f64 v[10:11], v[10:11], v[28:29]
	v_add_f64 v[12:13], v[12:13], v[30:31]
.LBB176_317:
	s_or_b64 exec, exec, s[14:15]
	v_xor_b32_e32 v11, 0x80000000, v11
	v_xor_b32_e32 v13, 0x80000000, v13
.LBB176_318:
	s_or_b64 exec, exec, s[12:13]
	s_and_saveexec_b64 s[10:11], s[48:49]
; %bb.319:
	ds_write_b128 v19, v[10:13]
; %bb.320:
	s_or_b64 exec, exec, s[10:11]
	s_waitcnt lgkmcnt(0)
	s_barrier
	s_and_saveexec_b64 s[10:11], s[50:51]
	s_cbranch_execz .LBB176_322
; %bb.321:
	ds_read_b128 v[28:31], v19
	ds_read_b128 v[32:35], v18 offset:10560
	s_waitcnt lgkmcnt(0)
	v_mul_f64 v[36:37], v[30:31], v[34:35]
	v_mul_f64 v[34:35], v[28:29], v[34:35]
	v_fma_f64 v[28:29], v[28:29], v[32:33], -v[36:37]
	v_fma_f64 v[30:31], v[30:31], v[32:33], v[34:35]
	v_add_f64 v[10:11], v[10:11], v[28:29]
	v_add_f64 v[12:13], v[12:13], v[30:31]
.LBB176_322:
	s_or_b64 exec, exec, s[10:11]
	s_barrier
	s_and_saveexec_b64 s[10:11], s[52:53]
; %bb.323:
	ds_write_b128 v19, v[10:13]
; %bb.324:
	s_or_b64 exec, exec, s[10:11]
	s_waitcnt lgkmcnt(0)
	s_barrier
	s_and_saveexec_b64 s[10:11], s[54:55]
	s_cbranch_execz .LBB176_326
; %bb.325:
	ds_read_b128 v[28:31], v19
	ds_read_b128 v[32:35], v18 offset:11072
	s_waitcnt lgkmcnt(0)
	v_mul_f64 v[36:37], v[30:31], v[34:35]
	v_mul_f64 v[34:35], v[28:29], v[34:35]
	v_fma_f64 v[28:29], v[28:29], v[32:33], -v[36:37]
	v_fma_f64 v[30:31], v[30:31], v[32:33], v[34:35]
	v_add_f64 v[10:11], v[10:11], v[28:29]
	v_add_f64 v[12:13], v[12:13], v[30:31]
.LBB176_326:
	s_or_b64 exec, exec, s[10:11]
	s_barrier
	s_and_saveexec_b64 s[10:11], s[56:57]
; %bb.327:
	ds_write_b128 v19, v[10:13]
; %bb.328:
	s_or_b64 exec, exec, s[10:11]
	s_waitcnt lgkmcnt(0)
	s_barrier
	s_and_saveexec_b64 s[10:11], s[46:47]
	s_cbranch_execz .LBB176_330
; %bb.329:
	v_mov_b32_e32 v32, 0
	ds_read_b128 v[28:31], v19
	ds_read_b128 v[32:35], v32 offset:11632
	s_waitcnt lgkmcnt(0)
	v_mul_f64 v[36:37], v[30:31], v[34:35]
	v_mul_f64 v[34:35], v[28:29], v[34:35]
	v_fma_f64 v[28:29], v[28:29], v[32:33], -v[36:37]
	v_fma_f64 v[30:31], v[30:31], v[32:33], v[34:35]
	v_add_f64 v[10:11], v[10:11], v[28:29]
	v_add_f64 v[12:13], v[12:13], v[30:31]
.LBB176_330:
	s_or_b64 exec, exec, s[10:11]
	s_barrier
	s_and_saveexec_b64 s[10:11], s[46:47]
; %bb.331:
	ds_write_b128 v19, v[10:13]
; %bb.332:
	s_or_b64 exec, exec, s[10:11]
	s_waitcnt lgkmcnt(0)
	s_barrier
	s_barrier
	s_and_saveexec_b64 s[10:11], s[16:17]
; %bb.333:
	v_xor_b32_e32 v13, 0x80000000, v13
	v_xor_b32_e32 v11, 0x80000000, v11
	ds_write_b128 v17, v[10:13] offset:8512
; %bb.334:
	s_or_b64 exec, exec, s[10:11]
	s_waitcnt lgkmcnt(0)
	s_barrier
	s_barrier
	s_and_saveexec_b64 s[10:11], s[58:59]
	s_cbranch_execz .LBB176_336
; %bb.335:
	v_lshlrev_b32_e32 v28, 4, v0
	s_movk_i32 s12, 0x1f0
	v_mad_u32_u24 v29, v0, s12, v28
	ds_read_b128 v[10:13], v29 offset:8512
	s_waitcnt lgkmcnt(0)
	ds_write_b128 v28, v[10:13] offset:10496
	ds_read_b128 v[10:13], v29 offset:8528
	s_waitcnt lgkmcnt(0)
	ds_write_b128 v28, v[10:13] offset:11008
	;; [unrolled: 3-line block ×4, first 2 shown]
.LBB176_336:
	s_or_b64 exec, exec, s[10:11]
	s_waitcnt lgkmcnt(0)
	s_barrier
	s_and_saveexec_b64 s[10:11], vcc
	s_cbranch_execz .LBB176_338
; %bb.337:
	s_mov_b32 s12, 0
	v_mov_b32_e32 v32, 0
	ds_read_b128 v[10:13], v32 offset:10576
	s_mov_b32 s15, s12
	s_mov_b32 s13, 0x3ff00000
	;; [unrolled: 1-line block ×3, first 2 shown]
	v_mov_b32_e32 v31, s15
	v_mov_b32_e32 v30, s14
	v_mov_b32_e32 v29, s13
	v_mov_b32_e32 v28, s12
	ds_write_b128 v32, v[28:31] offset:10560
	ds_write_b128 v32, v[28:31] offset:11088
	s_waitcnt lgkmcnt(2)
	ds_write_b128 v32, v[10:13] offset:11072
.LBB176_338:
	s_or_b64 exec, exec, s[10:11]
	v_mov_b32_e32 v12, 0
	v_mov_b32_e32 v10, 0
	;; [unrolled: 1-line block ×4, first 2 shown]
	s_waitcnt lgkmcnt(0)
	s_barrier
	s_and_saveexec_b64 s[12:13], s[2:3]
	s_cbranch_execz .LBB176_342
; %bb.339:
	v_mul_u32_u24_e32 v10, 0x210, v16
	ds_read_b128 v[10:13], v10 offset:10560
	ds_read_b128 v[28:31], v14 offset:10592
	v_cmp_gt_u32_e64 s[10:11], 2, v22
	s_waitcnt lgkmcnt(0)
	v_mul_f64 v[32:33], v[12:13], v[30:31]
	v_mul_f64 v[30:31], v[10:11], v[30:31]
	v_fma_f64 v[10:11], v[10:11], v[28:29], -v[32:33]
	v_fma_f64 v[12:13], v[12:13], v[28:29], v[30:31]
	v_add_f64 v[10:11], v[10:11], 0
	v_add_f64 v[12:13], v[12:13], 0
	s_and_saveexec_b64 s[14:15], s[10:11]
	s_cbranch_execz .LBB176_341
; %bb.340:
	v_lshlrev_b32_e32 v32, 4, v0
	v_mov_b32_e32 v28, 0
	ds_read_b128 v[28:31], v28 offset:10576
	ds_read_b128 v[32:35], v32 offset:11104
	s_waitcnt lgkmcnt(0)
	v_mul_f64 v[36:37], v[30:31], v[34:35]
	v_mul_f64 v[34:35], v[28:29], v[34:35]
	v_fma_f64 v[28:29], v[28:29], v[32:33], -v[36:37]
	v_fma_f64 v[30:31], v[30:31], v[32:33], v[34:35]
	v_add_f64 v[10:11], v[10:11], v[28:29]
	v_add_f64 v[12:13], v[12:13], v[30:31]
.LBB176_341:
	s_or_b64 exec, exec, s[14:15]
	v_xor_b32_e32 v11, 0x80000000, v11
	v_xor_b32_e32 v13, 0x80000000, v13
.LBB176_342:
	s_or_b64 exec, exec, s[12:13]
	s_and_saveexec_b64 s[10:11], s[42:43]
; %bb.343:
	ds_write_b128 v15, v[10:13]
; %bb.344:
	s_or_b64 exec, exec, s[10:11]
	s_waitcnt lgkmcnt(0)
	s_barrier
	s_and_saveexec_b64 s[10:11], s[40:41]
	s_cbranch_execz .LBB176_346
; %bb.345:
	v_mov_b32_e32 v32, 0
	ds_read_b128 v[28:31], v15
	ds_read_b128 v[32:35], v32 offset:11632
	s_waitcnt lgkmcnt(0)
	v_mul_f64 v[36:37], v[30:31], v[34:35]
	v_mul_f64 v[34:35], v[28:29], v[34:35]
	v_fma_f64 v[28:29], v[28:29], v[32:33], -v[36:37]
	v_fma_f64 v[30:31], v[30:31], v[32:33], v[34:35]
	v_add_f64 v[10:11], v[10:11], v[28:29]
	v_add_f64 v[12:13], v[12:13], v[30:31]
.LBB176_346:
	s_or_b64 exec, exec, s[10:11]
	s_barrier
	s_and_saveexec_b64 s[10:11], s[40:41]
; %bb.347:
	ds_write_b128 v15, v[10:13]
; %bb.348:
	s_or_b64 exec, exec, s[10:11]
	s_waitcnt lgkmcnt(0)
	s_barrier
	s_barrier
	s_and_saveexec_b64 s[10:11], s[2:3]
; %bb.349:
	v_xor_b32_e32 v11, 0x80000000, v11
	v_xor_b32_e32 v13, 0x80000000, v13
	ds_write_b128 v14, v[10:13] offset:10592
; %bb.350:
	s_or_b64 exec, exec, s[10:11]
	s_waitcnt lgkmcnt(0)
	s_barrier
	s_barrier
	s_and_saveexec_b64 s[10:11], s[44:45]
	s_cbranch_execz .LBB176_352
; %bb.351:
	v_lshlrev_b32_e32 v28, 9, v0
	ds_read_b128 v[10:13], v28 offset:10592
	s_movk_i32 s12, 0xfe10
	v_mad_i32_i24 v29, v0, s12, v28
	s_waitcnt lgkmcnt(0)
	ds_write_b128 v29, v[10:13] offset:11584
	ds_read_b128 v[10:13], v28 offset:10608
	s_waitcnt lgkmcnt(0)
	ds_write_b128 v29, v[10:13] offset:12096
.LBB176_352:
	s_or_b64 exec, exec, s[10:11]
	s_waitcnt lgkmcnt(0)
	s_barrier
	s_and_saveexec_b64 s[10:11], vcc
	s_cbranch_execz .LBB176_354
; %bb.353:
	s_mov_b32 s12, 0
	v_mov_b32_e32 v32, 0
	ds_read_b128 v[10:13], v32 offset:11632
	s_mov_b32 s15, s12
	s_mov_b32 s13, 0x3ff00000
	;; [unrolled: 1-line block ×3, first 2 shown]
	v_mov_b32_e32 v31, s15
	v_mov_b32_e32 v30, s14
	;; [unrolled: 1-line block ×4, first 2 shown]
	ds_write_b128 v32, v[28:31] offset:11616
	ds_write_b128 v32, v[28:31] offset:12144
	s_waitcnt lgkmcnt(2)
	ds_write_b128 v32, v[10:13] offset:12128
.LBB176_354:
	s_or_b64 exec, exec, s[10:11]
	v_mov_b32_e32 v12, 0
	v_mov_b32_e32 v10, 0
	;; [unrolled: 1-line block ×4, first 2 shown]
	s_waitcnt lgkmcnt(0)
	s_barrier
	s_and_saveexec_b64 s[12:13], s[8:9]
	s_cbranch_execz .LBB176_364
; %bb.355:
	v_mul_u32_u24_e32 v28, 0x210, v27
	ds_read_b128 v[10:13], v28 offset:8448
	ds_read_b128 v[29:32], v23 offset:8576
	v_cmp_gt_u32_e64 s[10:11], 56, v22
	s_waitcnt lgkmcnt(0)
	v_mul_f64 v[33:34], v[12:13], v[31:32]
	v_mul_f64 v[31:32], v[10:11], v[31:32]
	v_fma_f64 v[10:11], v[10:11], v[29:30], -v[33:34]
	v_fma_f64 v[12:13], v[12:13], v[29:30], v[31:32]
	v_add_f64 v[10:11], v[10:11], 0
	v_add_f64 v[12:13], v[12:13], 0
	s_and_saveexec_b64 s[14:15], s[10:11]
	s_cbranch_execnz .LBB176_533
; %bb.356:
	s_or_b64 exec, exec, s[14:15]
	v_cmp_gt_u32_e64 s[10:11], 48, v22
	s_and_saveexec_b64 s[14:15], s[10:11]
	s_cbranch_execnz .LBB176_534
.LBB176_357:
	s_or_b64 exec, exec, s[14:15]
	v_cmp_gt_u32_e64 s[10:11], 40, v22
	s_and_saveexec_b64 s[14:15], s[10:11]
	s_cbranch_execnz .LBB176_535
.LBB176_358:
	s_or_b64 exec, exec, s[14:15]
	v_cmp_gt_u32_e64 s[10:11], 32, v22
	s_and_saveexec_b64 s[14:15], s[10:11]
	s_cbranch_execnz .LBB176_536
.LBB176_359:
	s_or_b64 exec, exec, s[14:15]
	v_cmp_gt_u32_e64 s[10:11], 24, v22
	s_and_saveexec_b64 s[14:15], s[10:11]
	s_cbranch_execnz .LBB176_537
.LBB176_360:
	s_or_b64 exec, exec, s[14:15]
	v_cmp_gt_u32_e64 s[10:11], 16, v22
	s_and_saveexec_b64 s[14:15], s[10:11]
	s_cbranch_execnz .LBB176_538
.LBB176_361:
	s_or_b64 exec, exec, s[14:15]
	v_cmp_gt_u32_e64 s[10:11], 8, v22
	s_and_saveexec_b64 s[14:15], s[10:11]
	s_cbranch_execz .LBB176_363
.LBB176_362:
	v_lshlrev_b32_e32 v30, 4, v0
	v_mov_b32_e32 v26, 0
	ds_read_b128 v[26:29], v26 offset:8560
	ds_read_b128 v[30:33], v30 offset:12160
	s_waitcnt lgkmcnt(0)
	v_mul_f64 v[34:35], v[28:29], v[32:33]
	v_mul_f64 v[32:33], v[26:27], v[32:33]
	v_fma_f64 v[26:27], v[26:27], v[30:31], -v[34:35]
	v_fma_f64 v[28:29], v[28:29], v[30:31], v[32:33]
	v_add_f64 v[10:11], v[10:11], v[26:27]
	v_add_f64 v[12:13], v[12:13], v[28:29]
.LBB176_363:
	s_or_b64 exec, exec, s[14:15]
	v_xor_b32_e32 v11, 0x80000000, v11
	v_xor_b32_e32 v13, 0x80000000, v13
.LBB176_364:
	s_or_b64 exec, exec, s[12:13]
	s_mov_b64 s[10:11], exec
	v_readlane_b32 s12, v43, 2
	v_readlane_b32 s13, v43, 3
	s_and_b64 s[12:13], s[10:11], s[12:13]
	s_mov_b64 exec, s[12:13]
; %bb.365:
	ds_write_b128 v25, v[10:13]
; %bb.366:
	s_or_b64 exec, exec, s[10:11]
	s_waitcnt lgkmcnt(0)
	s_barrier
	s_mov_b64 s[10:11], exec
	v_readlane_b32 s12, v43, 4
	v_readlane_b32 s13, v43, 5
	s_and_b64 s[12:13], s[10:11], s[12:13]
	s_mov_b64 exec, s[12:13]
	s_cbranch_execz .LBB176_368
; %bb.367:
	ds_read_b128 v[26:29], v25
	ds_read_b128 v[30:33], v24 offset:12672
	s_waitcnt lgkmcnt(0)
	v_mul_f64 v[34:35], v[28:29], v[32:33]
	v_mul_f64 v[32:33], v[26:27], v[32:33]
	v_fma_f64 v[26:27], v[26:27], v[30:31], -v[34:35]
	v_fma_f64 v[28:29], v[28:29], v[30:31], v[32:33]
	v_add_f64 v[10:11], v[10:11], v[26:27]
	v_add_f64 v[12:13], v[12:13], v[28:29]
.LBB176_368:
	s_or_b64 exec, exec, s[10:11]
	s_barrier
	s_and_saveexec_b64 s[10:11], s[0:1]
; %bb.369:
	ds_write_b128 v25, v[10:13]
; %bb.370:
	s_or_b64 exec, exec, s[10:11]
	s_waitcnt lgkmcnt(0)
	s_barrier
	s_and_saveexec_b64 s[10:11], s[68:69]
	s_cbranch_execz .LBB176_372
; %bb.371:
	ds_read_b128 v[26:29], v25
	ds_read_b128 v[30:33], v24 offset:13184
	s_waitcnt lgkmcnt(0)
	v_mul_f64 v[34:35], v[28:29], v[32:33]
	v_mul_f64 v[32:33], v[26:27], v[32:33]
	v_fma_f64 v[26:27], v[26:27], v[30:31], -v[34:35]
	v_fma_f64 v[28:29], v[28:29], v[30:31], v[32:33]
	v_add_f64 v[10:11], v[10:11], v[26:27]
	v_add_f64 v[12:13], v[12:13], v[28:29]
.LBB176_372:
	s_or_b64 exec, exec, s[10:11]
	s_barrier
	s_and_saveexec_b64 s[10:11], s[70:71]
; %bb.373:
	ds_write_b128 v25, v[10:13]
; %bb.374:
	s_or_b64 exec, exec, s[10:11]
	s_waitcnt lgkmcnt(0)
	s_barrier
	s_and_saveexec_b64 s[10:11], s[72:73]
	;; [unrolled: 22-line block ×6, first 2 shown]
	s_cbranch_execz .LBB176_392
; %bb.391:
	v_mov_b32_e32 v24, 0
	ds_read_b128 v[26:29], v25
	ds_read_b128 v[30:33], v24 offset:15856
	s_waitcnt lgkmcnt(0)
	v_mul_f64 v[34:35], v[28:29], v[32:33]
	v_mul_f64 v[32:33], v[26:27], v[32:33]
	v_fma_f64 v[26:27], v[26:27], v[30:31], -v[34:35]
	v_fma_f64 v[28:29], v[28:29], v[30:31], v[32:33]
	v_add_f64 v[10:11], v[10:11], v[26:27]
	v_add_f64 v[12:13], v[12:13], v[28:29]
.LBB176_392:
	s_or_b64 exec, exec, s[10:11]
	s_barrier
	s_and_saveexec_b64 s[10:11], s[60:61]
; %bb.393:
	ds_write_b128 v25, v[10:13]
; %bb.394:
	s_or_b64 exec, exec, s[10:11]
	s_waitcnt lgkmcnt(0)
	s_barrier
	s_barrier
	s_and_saveexec_b64 s[10:11], s[8:9]
; %bb.395:
	v_xor_b32_e32 v11, 0x80000000, v11
	v_xor_b32_e32 v13, 0x80000000, v13
	ds_write_b128 v23, v[10:13] offset:8576
; %bb.396:
	s_or_b64 exec, exec, s[10:11]
	s_waitcnt lgkmcnt(0)
	s_barrier
	s_barrier
	s_and_saveexec_b64 s[8:9], s[88:89]
	s_cbranch_execz .LBB176_398
; %bb.397:
	v_lshlrev_b32_e32 v23, 9, v0
	ds_read_b128 v[10:13], v23 offset:8576
	s_movk_i32 s0, 0xfe10
	v_mad_i32_i24 v24, v0, s0, v23
	s_waitcnt lgkmcnt(0)
	ds_write_b128 v24, v[10:13] offset:12544
	ds_read_b128 v[10:13], v23 offset:8592
	s_waitcnt lgkmcnt(0)
	ds_write_b128 v24, v[10:13] offset:13056
	ds_read_b128 v[10:13], v23 offset:8608
	;; [unrolled: 3-line block ×7, first 2 shown]
	s_waitcnt lgkmcnt(0)
	ds_write_b128 v24, v[10:13] offset:16128
.LBB176_398:
	s_or_b64 exec, exec, s[8:9]
	s_waitcnt lgkmcnt(0)
	s_barrier
	s_and_saveexec_b64 s[8:9], vcc
	s_cbranch_execz .LBB176_400
; %bb.399:
	s_mov_b32 s12, 0
	v_mov_b32_e32 v27, 0
	ds_read_b128 v[10:13], v27 offset:12688
	s_mov_b32 s15, s12
	s_mov_b32 s13, 0x3ff00000
	;; [unrolled: 1-line block ×3, first 2 shown]
	v_mov_b32_e32 v26, s15
	v_mov_b32_e32 v25, s14
	;; [unrolled: 1-line block ×4, first 2 shown]
	ds_write_b128 v27, v[23:26] offset:12672
	ds_write_b128 v27, v[23:26] offset:13200
	s_waitcnt lgkmcnt(2)
	ds_write_b128 v27, v[10:13] offset:13184
.LBB176_400:
	s_or_b64 exec, exec, s[8:9]
	v_mov_b32_e32 v12, 0
	v_mov_b32_e32 v10, 0
	;; [unrolled: 1-line block ×4, first 2 shown]
	s_waitcnt lgkmcnt(0)
	s_barrier
	s_and_saveexec_b64 s[10:11], s[2:3]
	s_cbranch_execz .LBB176_404
; %bb.401:
	v_mul_u32_u24_e32 v10, 0x210, v16
	ds_read_b128 v[10:13], v10 offset:12672
	ds_read_b128 v[23:26], v14 offset:12704
	v_cmp_gt_u32_e64 s[8:9], 2, v22
	s_waitcnt lgkmcnt(0)
	v_mul_f64 v[27:28], v[12:13], v[25:26]
	v_mul_f64 v[25:26], v[10:11], v[25:26]
	v_fma_f64 v[10:11], v[10:11], v[23:24], -v[27:28]
	v_fma_f64 v[12:13], v[12:13], v[23:24], v[25:26]
	v_add_f64 v[10:11], v[10:11], 0
	v_add_f64 v[12:13], v[12:13], 0
	s_and_saveexec_b64 s[12:13], s[8:9]
	s_cbranch_execz .LBB176_403
; %bb.402:
	v_lshlrev_b32_e32 v27, 4, v0
	v_mov_b32_e32 v23, 0
	ds_read_b128 v[23:26], v23 offset:12688
	ds_read_b128 v[27:30], v27 offset:13216
	s_waitcnt lgkmcnt(0)
	v_mul_f64 v[31:32], v[25:26], v[29:30]
	v_mul_f64 v[29:30], v[23:24], v[29:30]
	v_fma_f64 v[23:24], v[23:24], v[27:28], -v[31:32]
	v_fma_f64 v[25:26], v[25:26], v[27:28], v[29:30]
	v_add_f64 v[10:11], v[10:11], v[23:24]
	v_add_f64 v[12:13], v[12:13], v[25:26]
.LBB176_403:
	s_or_b64 exec, exec, s[12:13]
	v_xor_b32_e32 v11, 0x80000000, v11
	v_xor_b32_e32 v13, 0x80000000, v13
.LBB176_404:
	s_or_b64 exec, exec, s[10:11]
	s_and_saveexec_b64 s[8:9], s[42:43]
; %bb.405:
	ds_write_b128 v15, v[10:13]
; %bb.406:
	s_or_b64 exec, exec, s[8:9]
	s_waitcnt lgkmcnt(0)
	s_barrier
	s_and_saveexec_b64 s[8:9], s[40:41]
	s_cbranch_execz .LBB176_408
; %bb.407:
	v_mov_b32_e32 v27, 0
	ds_read_b128 v[23:26], v15
	ds_read_b128 v[27:30], v27 offset:13744
	s_waitcnt lgkmcnt(0)
	v_mul_f64 v[31:32], v[25:26], v[29:30]
	v_mul_f64 v[29:30], v[23:24], v[29:30]
	v_fma_f64 v[23:24], v[23:24], v[27:28], -v[31:32]
	v_fma_f64 v[25:26], v[25:26], v[27:28], v[29:30]
	v_add_f64 v[10:11], v[10:11], v[23:24]
	v_add_f64 v[12:13], v[12:13], v[25:26]
.LBB176_408:
	s_or_b64 exec, exec, s[8:9]
	s_barrier
	s_and_saveexec_b64 s[8:9], s[40:41]
; %bb.409:
	ds_write_b128 v15, v[10:13]
; %bb.410:
	s_or_b64 exec, exec, s[8:9]
	s_waitcnt lgkmcnt(0)
	s_barrier
	s_barrier
	s_and_saveexec_b64 s[8:9], s[2:3]
; %bb.411:
	v_xor_b32_e32 v11, 0x80000000, v11
	v_xor_b32_e32 v13, 0x80000000, v13
	ds_write_b128 v14, v[10:13] offset:12704
; %bb.412:
	s_or_b64 exec, exec, s[8:9]
	s_waitcnt lgkmcnt(0)
	s_barrier
	s_barrier
	s_and_saveexec_b64 s[8:9], s[44:45]
	s_cbranch_execz .LBB176_414
; %bb.413:
	v_lshlrev_b32_e32 v23, 9, v0
	ds_read_b128 v[10:13], v23 offset:12704
	s_movk_i32 s0, 0xfe10
	v_mad_i32_i24 v24, v0, s0, v23
	s_waitcnt lgkmcnt(0)
	ds_write_b128 v24, v[10:13] offset:13696
	ds_read_b128 v[10:13], v23 offset:12720
	s_waitcnt lgkmcnt(0)
	ds_write_b128 v24, v[10:13] offset:14208
.LBB176_414:
	s_or_b64 exec, exec, s[8:9]
	s_waitcnt lgkmcnt(0)
	s_barrier
	s_and_saveexec_b64 s[8:9], vcc
	s_cbranch_execz .LBB176_416
; %bb.415:
	s_mov_b32 s12, 0
	v_mov_b32_e32 v27, 0
	ds_read_b128 v[10:13], v27 offset:13744
	s_mov_b32 s15, s12
	s_mov_b32 s13, 0x3ff00000
	;; [unrolled: 1-line block ×3, first 2 shown]
	v_mov_b32_e32 v26, s15
	v_mov_b32_e32 v25, s14
	;; [unrolled: 1-line block ×4, first 2 shown]
	ds_write_b128 v27, v[23:26] offset:13728
	ds_write_b128 v27, v[23:26] offset:14256
	s_waitcnt lgkmcnt(2)
	ds_write_b128 v27, v[10:13] offset:14240
.LBB176_416:
	s_or_b64 exec, exec, s[8:9]
	v_mov_b32_e32 v12, 0
	v_mov_b32_e32 v10, 0
	;; [unrolled: 1-line block ×4, first 2 shown]
	s_waitcnt lgkmcnt(0)
	s_barrier
	s_and_saveexec_b64 s[10:11], s[16:17]
	s_cbranch_execz .LBB176_422
; %bb.417:
	v_mul_u32_u24_e32 v23, 0x210, v21
	ds_read_b128 v[10:13], v23 offset:12672
	ds_read_b128 v[24:27], v17 offset:12736
	v_cmp_gt_u32_e64 s[8:9], 12, v22
	s_waitcnt lgkmcnt(0)
	v_mul_f64 v[28:29], v[12:13], v[26:27]
	v_mul_f64 v[26:27], v[10:11], v[26:27]
	v_fma_f64 v[10:11], v[10:11], v[24:25], -v[28:29]
	v_fma_f64 v[12:13], v[12:13], v[24:25], v[26:27]
	v_add_f64 v[10:11], v[10:11], 0
	v_add_f64 v[12:13], v[12:13], 0
	s_and_saveexec_b64 s[12:13], s[8:9]
	s_cbranch_execnz .LBB176_539
; %bb.418:
	s_or_b64 exec, exec, s[12:13]
	v_cmp_gt_u32_e64 s[8:9], 8, v22
	s_and_saveexec_b64 s[12:13], s[8:9]
	s_cbranch_execnz .LBB176_540
.LBB176_419:
	s_or_b64 exec, exec, s[12:13]
	v_cmp_gt_u32_e64 s[8:9], 4, v22
	s_and_saveexec_b64 s[12:13], s[8:9]
	s_cbranch_execz .LBB176_421
.LBB176_420:
	v_mov_b32_e32 v21, 0
	v_lshlrev_b32_e32 v20, 4, v0
	ds_read_b128 v[23:26], v21 offset:12720
	ds_read_b128 v[27:30], v20 offset:14272
	s_waitcnt lgkmcnt(0)
	v_mul_f64 v[20:21], v[25:26], v[29:30]
	v_mul_f64 v[29:30], v[23:24], v[29:30]
	v_fma_f64 v[20:21], v[23:24], v[27:28], -v[20:21]
	v_fma_f64 v[23:24], v[25:26], v[27:28], v[29:30]
	v_add_f64 v[10:11], v[10:11], v[20:21]
	v_add_f64 v[12:13], v[12:13], v[23:24]
.LBB176_421:
	s_or_b64 exec, exec, s[12:13]
	v_xor_b32_e32 v11, 0x80000000, v11
	v_xor_b32_e32 v13, 0x80000000, v13
.LBB176_422:
	s_or_b64 exec, exec, s[10:11]
	s_and_saveexec_b64 s[8:9], s[48:49]
; %bb.423:
	ds_write_b128 v19, v[10:13]
; %bb.424:
	s_or_b64 exec, exec, s[8:9]
	s_waitcnt lgkmcnt(0)
	s_barrier
	s_and_saveexec_b64 s[8:9], s[50:51]
	s_cbranch_execz .LBB176_426
; %bb.425:
	ds_read_b128 v[23:26], v19
	ds_read_b128 v[27:30], v18 offset:14784
	s_waitcnt lgkmcnt(0)
	v_mul_f64 v[20:21], v[25:26], v[29:30]
	v_mul_f64 v[29:30], v[23:24], v[29:30]
	v_fma_f64 v[20:21], v[23:24], v[27:28], -v[20:21]
	v_fma_f64 v[23:24], v[25:26], v[27:28], v[29:30]
	v_add_f64 v[10:11], v[10:11], v[20:21]
	v_add_f64 v[12:13], v[12:13], v[23:24]
.LBB176_426:
	s_or_b64 exec, exec, s[8:9]
	s_barrier
	s_and_saveexec_b64 s[8:9], s[52:53]
; %bb.427:
	ds_write_b128 v19, v[10:13]
; %bb.428:
	s_or_b64 exec, exec, s[8:9]
	s_waitcnt lgkmcnt(0)
	s_barrier
	s_and_saveexec_b64 s[8:9], s[54:55]
	s_cbranch_execz .LBB176_430
; %bb.429:
	ds_read_b128 v[23:26], v19
	ds_read_b128 v[27:30], v18 offset:15296
	s_waitcnt lgkmcnt(0)
	v_mul_f64 v[20:21], v[25:26], v[29:30]
	v_mul_f64 v[29:30], v[23:24], v[29:30]
	v_fma_f64 v[20:21], v[23:24], v[27:28], -v[20:21]
	v_fma_f64 v[23:24], v[25:26], v[27:28], v[29:30]
	v_add_f64 v[10:11], v[10:11], v[20:21]
	v_add_f64 v[12:13], v[12:13], v[23:24]
.LBB176_430:
	s_or_b64 exec, exec, s[8:9]
	s_barrier
	s_and_saveexec_b64 s[8:9], s[56:57]
; %bb.431:
	ds_write_b128 v19, v[10:13]
; %bb.432:
	s_or_b64 exec, exec, s[8:9]
	s_waitcnt lgkmcnt(0)
	s_barrier
	s_and_saveexec_b64 s[8:9], s[46:47]
	s_cbranch_execz .LBB176_434
; %bb.433:
	v_mov_b32_e32 v18, 0
	ds_read_b128 v[23:26], v19
	ds_read_b128 v[27:30], v18 offset:15856
	s_waitcnt lgkmcnt(0)
	v_mul_f64 v[20:21], v[25:26], v[29:30]
	v_mul_f64 v[29:30], v[23:24], v[29:30]
	v_fma_f64 v[20:21], v[23:24], v[27:28], -v[20:21]
	v_fma_f64 v[23:24], v[25:26], v[27:28], v[29:30]
	v_add_f64 v[10:11], v[10:11], v[20:21]
	v_add_f64 v[12:13], v[12:13], v[23:24]
.LBB176_434:
	s_or_b64 exec, exec, s[8:9]
	s_barrier
	s_and_saveexec_b64 s[8:9], s[46:47]
; %bb.435:
	ds_write_b128 v19, v[10:13]
; %bb.436:
	s_or_b64 exec, exec, s[8:9]
	s_waitcnt lgkmcnt(0)
	s_barrier
	s_barrier
	s_and_saveexec_b64 s[8:9], s[16:17]
; %bb.437:
	v_xor_b32_e32 v13, 0x80000000, v13
	v_xor_b32_e32 v11, 0x80000000, v11
	ds_write_b128 v17, v[10:13] offset:12736
; %bb.438:
	s_or_b64 exec, exec, s[8:9]
	s_waitcnt lgkmcnt(0)
	s_barrier
	s_barrier
	s_and_saveexec_b64 s[8:9], s[58:59]
	s_cbranch_execz .LBB176_440
; %bb.439:
	v_lshlrev_b32_e32 v17, 4, v0
	s_movk_i32 s0, 0x1f0
	v_mad_u32_u24 v18, v0, s0, v17
	ds_read_b128 v[10:13], v18 offset:12736
	s_waitcnt lgkmcnt(0)
	ds_write_b128 v17, v[10:13] offset:14720
	ds_read_b128 v[10:13], v18 offset:12752
	s_waitcnt lgkmcnt(0)
	ds_write_b128 v17, v[10:13] offset:15232
	;; [unrolled: 3-line block ×4, first 2 shown]
.LBB176_440:
	s_or_b64 exec, exec, s[8:9]
	s_waitcnt lgkmcnt(0)
	s_barrier
	s_and_saveexec_b64 s[8:9], vcc
	s_cbranch_execz .LBB176_442
; %bb.441:
	s_mov_b32 s12, 0
	v_mov_b32_e32 v21, 0
	ds_read_b128 v[10:13], v21 offset:14800
	s_mov_b32 s15, s12
	s_mov_b32 s13, 0x3ff00000
	s_mov_b32 s14, s12
	v_mov_b32_e32 v20, s15
	v_mov_b32_e32 v19, s14
	;; [unrolled: 1-line block ×4, first 2 shown]
	ds_write_b128 v21, v[17:20] offset:14784
	ds_write_b128 v21, v[17:20] offset:15312
	s_waitcnt lgkmcnt(2)
	ds_write_b128 v21, v[10:13] offset:15296
.LBB176_442:
	s_or_b64 exec, exec, s[8:9]
	v_mov_b32_e32 v12, 0
	v_mov_b32_e32 v10, 0
	;; [unrolled: 1-line block ×4, first 2 shown]
	s_waitcnt lgkmcnt(0)
	s_barrier
	s_and_saveexec_b64 s[10:11], s[2:3]
	s_cbranch_execz .LBB176_446
; %bb.443:
	v_mul_u32_u24_e32 v10, 0x210, v16
	ds_read_b128 v[10:13], v10 offset:14784
	ds_read_b128 v[16:19], v14 offset:14816
	v_cmp_gt_u32_e64 s[8:9], 2, v22
	s_waitcnt lgkmcnt(0)
	v_mul_f64 v[20:21], v[12:13], v[18:19]
	v_mul_f64 v[18:19], v[10:11], v[18:19]
	v_fma_f64 v[10:11], v[10:11], v[16:17], -v[20:21]
	v_fma_f64 v[12:13], v[12:13], v[16:17], v[18:19]
	v_add_f64 v[10:11], v[10:11], 0
	v_add_f64 v[12:13], v[12:13], 0
	s_and_saveexec_b64 s[12:13], s[8:9]
	s_cbranch_execz .LBB176_445
; %bb.444:
	v_mov_b32_e32 v16, 0
	v_lshlrev_b32_e32 v20, 4, v0
	ds_read_b128 v[16:19], v16 offset:14800
	ds_read_b128 v[23:26], v20 offset:15328
	s_waitcnt lgkmcnt(0)
	v_mul_f64 v[20:21], v[18:19], v[25:26]
	v_mul_f64 v[25:26], v[16:17], v[25:26]
	v_fma_f64 v[16:17], v[16:17], v[23:24], -v[20:21]
	v_fma_f64 v[18:19], v[18:19], v[23:24], v[25:26]
	v_add_f64 v[10:11], v[10:11], v[16:17]
	v_add_f64 v[12:13], v[12:13], v[18:19]
.LBB176_445:
	s_or_b64 exec, exec, s[12:13]
	v_xor_b32_e32 v11, 0x80000000, v11
	v_xor_b32_e32 v13, 0x80000000, v13
.LBB176_446:
	s_or_b64 exec, exec, s[10:11]
	s_and_saveexec_b64 s[8:9], s[42:43]
; %bb.447:
	ds_write_b128 v15, v[10:13]
; %bb.448:
	s_or_b64 exec, exec, s[8:9]
	s_waitcnt lgkmcnt(0)
	s_barrier
	s_and_saveexec_b64 s[8:9], s[40:41]
	v_readlane_b32 s42, v43, 0
	v_readlane_b32 s43, v43, 1
	s_cbranch_execz .LBB176_450
; %bb.449:
	v_mov_b32_e32 v20, 0
	ds_read_b128 v[16:19], v15
	ds_read_b128 v[23:26], v20 offset:15856
	s_waitcnt lgkmcnt(0)
	v_mul_f64 v[20:21], v[18:19], v[25:26]
	v_mul_f64 v[25:26], v[16:17], v[25:26]
	v_fma_f64 v[16:17], v[16:17], v[23:24], -v[20:21]
	v_fma_f64 v[18:19], v[18:19], v[23:24], v[25:26]
	v_add_f64 v[10:11], v[10:11], v[16:17]
	v_add_f64 v[12:13], v[12:13], v[18:19]
.LBB176_450:
	s_or_b64 exec, exec, s[8:9]
	s_barrier
	s_and_saveexec_b64 s[8:9], s[40:41]
; %bb.451:
	ds_write_b128 v15, v[10:13]
; %bb.452:
	s_or_b64 exec, exec, s[8:9]
	s_waitcnt lgkmcnt(0)
	s_barrier
	s_barrier
	s_and_saveexec_b64 s[8:9], s[2:3]
; %bb.453:
	v_xor_b32_e32 v11, 0x80000000, v11
	v_xor_b32_e32 v13, 0x80000000, v13
	ds_write_b128 v14, v[10:13] offset:14816
; %bb.454:
	s_or_b64 exec, exec, s[8:9]
	s_waitcnt lgkmcnt(0)
	s_barrier
	s_barrier
	s_and_saveexec_b64 s[2:3], s[44:45]
	s_cbranch_execz .LBB176_456
; %bb.455:
	v_lshlrev_b32_e32 v14, 9, v0
	ds_read_b128 v[10:13], v14 offset:14816
	s_movk_i32 s0, 0xfe10
	v_mad_i32_i24 v15, v0, s0, v14
	s_waitcnt lgkmcnt(0)
	ds_write_b128 v15, v[10:13] offset:15808
	ds_read_b128 v[10:13], v14 offset:14832
	s_waitcnt lgkmcnt(0)
	ds_write_b128 v15, v[10:13] offset:16320
.LBB176_456:
	s_or_b64 exec, exec, s[2:3]
	s_waitcnt lgkmcnt(0)
	s_barrier
	s_and_saveexec_b64 s[2:3], vcc
	s_cbranch_execz .LBB176_458
; %bb.457:
	s_mov_b32 s8, 0
	v_mov_b32_e32 v18, 0
	ds_read_b128 v[10:13], v18 offset:15856
	s_mov_b32 s11, s8
	s_mov_b32 s9, 0x3ff00000
	;; [unrolled: 1-line block ×3, first 2 shown]
	v_mov_b32_e32 v17, s11
	v_mov_b32_e32 v16, s10
	;; [unrolled: 1-line block ×4, first 2 shown]
	ds_write_b128 v18, v[14:17] offset:15840
	ds_write_b128 v18, v[14:17] offset:16368
	s_waitcnt lgkmcnt(2)
	ds_write_b128 v18, v[10:13] offset:16352
.LBB176_458:
	s_or_b64 exec, exec, s[2:3]
.LBB176_459:
	s_lshl_b64 s[0:1], s[20:21], 4
	s_add_u32 s38, s38, s0
	v_cmp_le_i32_e32 vcc, s94, v0
	v_mov_b32_e32 v10, 0
	s_addc_u32 s39, s39, s1
	s_and_b64 s[16:17], vcc, s[34:35]
	v_mov_b32_e32 v11, 0
	v_cmp_eq_u32_e64 s[2:3], 0, v1
	s_xor_b64 s[0:1], s[16:17], -1
	v_mov_b32_e32 v13, v11
	s_and_b64 s[0:1], s[2:3], s[0:1]
	v_lshl_add_u32 v15, s33, 5, v0
	v_mov_b32_e32 v12, v10
	s_waitcnt lgkmcnt(0)
	s_barrier
	s_and_saveexec_b64 s[8:9], s[0:1]
	s_cbranch_execz .LBB176_461
; %bb.460:
	v_ashrrev_i32_e32 v12, 31, v15
	v_mul_lo_u32 v13, s23, v15
	v_mad_u64_u32 v[10:11], s[0:1], s22, v15, 0
	v_mul_lo_u32 v12, s22, v12
	v_add3_u32 v11, v11, v12, v13
	v_lshlrev_b64 v[10:11], 4, v[10:11]
	v_mov_b32_e32 v12, s39
	v_add_co_u32_e32 v10, vcc, s38, v10
	v_addc_co_u32_e32 v11, vcc, v12, v11, vcc
	flat_load_dwordx4 v[16:19], v[10:11]
	s_waitcnt vmcnt(0) lgkmcnt(0)
	v_mul_f64 v[10:11], s[24:25], v[16:17]
	v_mul_f64 v[12:13], s[24:25], v[18:19]
	v_fma_f64 v[10:11], s[26:27], v[18:19], -v[10:11]
	v_fma_f64 v[12:13], v[16:17], -s[26:27], -v[12:13]
.LBB176_461:
	s_or_b64 exec, exec, s[8:9]
	s_load_dwordx2 s[14:15], s[4:5], 0x50
	s_and_b32 s0, 0xffff, s63
	v_mad_u32_u24 v23, v1, s0, v0
	v_mov_b32_e32 v14, 0
	s_cmp_lt_i32 s6, 1
	v_cmp_eq_u32_e64 s[4:5], 0, v23
	s_cbranch_scc1 .LBB176_484
; %bb.462:
	v_ashrrev_i32_e32 v18, 31, v15
	v_mul_lo_u32 v19, s37, v15
	v_mad_u64_u32 v[16:17], s[0:1], s36, v15, 0
	v_mul_lo_u32 v18, s36, v18
	s_lshl_b64 s[8:9], s[28:29], 2
	s_waitcnt lgkmcnt(0)
	s_add_u32 s18, s14, s8
	s_addc_u32 s19, s15, s9
	v_add3_u32 v17, v17, v18, v19
	v_cmp_gt_i32_e64 s[8:9], s30, v15
	v_lshlrev_b64 v[15:16], 4, v[16:17]
	v_mov_b32_e32 v18, 0x6000
	v_mov_b32_e32 v17, s62
	v_add_co_u32_e32 v26, vcc, s95, v15
	s_mov_b32 s0, 0
	v_cmp_gt_u32_e64 s[12:13], 32, v23
	v_lshl_add_u32 v24, v23, 4, v18
	v_lshl_or_b32 v25, v1, 4, v18
	s_add_i32 s1, s33, 1
	v_addc_co_u32_e32 v27, vcc, v17, v16, vcc
	v_mov_b32_e32 v28, -1
	s_branch .LBB176_465
.LBB176_463:                            ;   in Loop: Header=BB176_465 Depth=1
	ds_read_b128 v[29:32], v25 offset:256
	s_waitcnt vmcnt(0) lgkmcnt(0)
	v_mul_f64 v[15:16], v[19:20], v[31:32]
	v_mul_f64 v[31:32], v[17:18], v[31:32]
	v_fma_f64 v[15:16], v[17:18], v[29:30], -v[15:16]
	v_fma_f64 v[17:18], v[19:20], v[29:30], v[31:32]
	v_add_f64 v[10:11], v[10:11], v[15:16]
	v_add_f64 v[12:13], v[12:13], v[17:18]
.LBB176_464:                            ;   in Loop: Header=BB176_465 Depth=1
	s_or_b64 exec, exec, s[20:21]
	s_add_i32 s0, s0, 1
	s_cmp_eq_u32 s0, s6
	s_cbranch_scc1 .LBB176_484
.LBB176_465:                            ; =>This Loop Header: Depth=1
                                        ;     Child Loop BB176_467 Depth 2
	v_cmp_gt_i32_e32 vcc, s0, v28
	s_and_b64 s[20:21], s[4:5], vcc
	s_and_saveexec_b64 s[10:11], s[20:21]
	s_cbranch_execz .LBB176_468
; %bb.466:                              ;   in Loop: Header=BB176_465 Depth=1
	global_load_dword v28, v14, s[18:19]
	s_waitcnt vmcnt(0)
	v_cmp_le_i32_e32 vcc, s0, v28
	s_cbranch_vccnz .LBB176_468
.LBB176_467:                            ;   Parent Loop BB176_465 Depth=1
                                        ; =>  This Inner Loop Header: Depth=2
	buffer_wbinvl1_vol
	global_load_dword v28, v14, s[18:19]
	s_waitcnt vmcnt(0)
	v_cmp_gt_i32_e32 vcc, s0, v28
	s_cbranch_vccnz .LBB176_467
.LBB176_468:                            ;   in Loop: Header=BB176_465 Depth=1
	s_or_b64 exec, exec, s[10:11]
	s_sub_i32 s24, s7, s0
	s_lshl_b32 s25, s24, 5
	buffer_wbinvl1_vol
	s_barrier
	s_and_saveexec_b64 s[10:11], s[12:13]
	s_cbranch_execz .LBB176_473
; %bb.469:                              ;   in Loop: Header=BB176_465 Depth=1
	s_ashr_i32 s20, s25, 31
	v_mov_b32_e32 v16, s20
	v_or_b32_e32 v15, s25, v23
	v_cmp_le_i64_e32 vcc, s[30:31], v[15:16]
	s_and_saveexec_b64 s[20:21], vcc
	s_xor_b64 s[20:21], exec, s[20:21]
; %bb.470:                              ;   in Loop: Header=BB176_465 Depth=1
	v_mov_b32_e32 v15, v14
	v_mov_b32_e32 v16, v14
	;; [unrolled: 1-line block ×3, first 2 shown]
	ds_write_b128 v24, v[14:17]
                                        ; implicit-def: $vgpr15_vgpr16
; %bb.471:                              ;   in Loop: Header=BB176_465 Depth=1
	s_andn2_saveexec_b64 s[20:21], s[20:21]
	s_cbranch_execz .LBB176_473
; %bb.472:                              ;   in Loop: Header=BB176_465 Depth=1
	v_mul_lo_u32 v17, v16, s22
	v_mul_lo_u32 v18, v15, s23
	v_mad_u64_u32 v[15:16], s[20:21], v15, s22, 0
	v_add3_u32 v16, v16, v18, v17
	v_lshlrev_b64 v[15:16], 4, v[15:16]
	v_mov_b32_e32 v17, s39
	v_add_co_u32_e32 v15, vcc, s38, v15
	v_addc_co_u32_e32 v16, vcc, v17, v16, vcc
	flat_load_dwordx4 v[15:18], v[15:16]
	s_waitcnt vmcnt(0) lgkmcnt(0)
	ds_write2_b64 v24, v[15:16], v[17:18] offset1:1
.LBB176_473:                            ;   in Loop: Header=BB176_465 Depth=1
	s_or_b64 exec, exec, s[10:11]
	v_add_u32_e32 v17, s25, v1
	v_ashrrev_i32_e32 v18, 31, v17
	v_lshlrev_b64 v[15:16], 4, v[17:18]
	s_cmp_lg_u32 s24, s1
	v_add_co_u32_e32 v15, vcc, v26, v15
	s_cselect_b64 s[10:11], -1, 0
	v_addc_co_u32_e32 v16, vcc, v27, v16, vcc
	v_cmp_gt_i32_e32 vcc, s30, v17
	v_cndmask_b32_e64 v18, 0, 1, s[10:11]
	s_and_b64 s[24:25], vcc, s[8:9]
	v_cmp_ne_u32_e64 s[10:11], 1, v18
	s_waitcnt lgkmcnt(0)
	s_barrier
	s_and_saveexec_b64 s[20:21], s[24:25]
	s_cbranch_execz .LBB176_479
; %bb.474:                              ;   in Loop: Header=BB176_465 Depth=1
	v_mov_b32_e32 v19, v7
	s_and_b64 vcc, exec, s[10:11]
	v_mov_b32_e32 v18, v6
	s_cbranch_vccnz .LBB176_476
; %bb.475:                              ;   in Loop: Header=BB176_465 Depth=1
	flat_load_dwordx2 v[18:19], v[15:16]
.LBB176_476:                            ;   in Loop: Header=BB176_465 Depth=1
	v_mov_b32_e32 v21, v9
	s_and_b64 vcc, exec, s[10:11]
	v_mov_b32_e32 v20, v8
	s_cbranch_vccnz .LBB176_478
; %bb.477:                              ;   in Loop: Header=BB176_465 Depth=1
	flat_load_dwordx2 v[20:21], v[15:16] offset:8
.LBB176_478:                            ;   in Loop: Header=BB176_465 Depth=1
	ds_read_b128 v[29:32], v25
	s_waitcnt vmcnt(0) lgkmcnt(0)
	v_mul_f64 v[33:34], v[20:21], v[31:32]
	v_mul_f64 v[31:32], v[18:19], v[31:32]
	v_fma_f64 v[18:19], v[18:19], v[29:30], -v[33:34]
	v_fma_f64 v[20:21], v[20:21], v[29:30], v[31:32]
	v_add_f64 v[10:11], v[10:11], v[18:19]
	v_add_f64 v[12:13], v[12:13], v[20:21]
.LBB176_479:                            ;   in Loop: Header=BB176_465 Depth=1
	s_or_b64 exec, exec, s[20:21]
	v_add_u32_e32 v17, 16, v17
	v_cmp_gt_i32_e32 vcc, s30, v17
	s_and_b64 s[24:25], vcc, s[8:9]
	s_and_saveexec_b64 s[20:21], s[24:25]
	s_cbranch_execz .LBB176_464
; %bb.480:                              ;   in Loop: Header=BB176_465 Depth=1
	v_mov_b32_e32 v18, v3
	s_and_b64 vcc, exec, s[10:11]
	v_mov_b32_e32 v17, v2
	s_cbranch_vccnz .LBB176_482
; %bb.481:                              ;   in Loop: Header=BB176_465 Depth=1
	flat_load_dwordx2 v[17:18], v[15:16] offset:256
.LBB176_482:                            ;   in Loop: Header=BB176_465 Depth=1
	v_mov_b32_e32 v20, v5
	s_and_b64 vcc, exec, s[10:11]
	v_mov_b32_e32 v19, v4
	s_cbranch_vccnz .LBB176_463
; %bb.483:                              ;   in Loop: Header=BB176_465 Depth=1
	flat_load_dwordx2 v[19:20], v[15:16] offset:264
	s_branch .LBB176_463
.LBB176_484:
	s_xor_b64 s[4:5], s[34:35], -1
	v_lshlrev_b32_e32 v6, 4, v22
	ds_write_b128 v6, v[10:13] offset:16384
	s_waitcnt lgkmcnt(0)
	s_barrier
	s_and_saveexec_b64 s[6:7], s[2:3]
	s_cbranch_execz .LBB176_486
; %bb.485:
	v_lshlrev_b32_e32 v18, 4, v0
	ds_read_b128 v[2:5], v18 offset:16896
	ds_read_b128 v[14:17], v18 offset:17408
	s_waitcnt lgkmcnt(1)
	v_add_f64 v[2:3], v[10:11], v[2:3]
	v_add_f64 v[4:5], v[12:13], v[4:5]
	s_waitcnt lgkmcnt(0)
	v_add_f64 v[11:12], v[2:3], v[14:15]
	v_add_f64 v[13:14], v[4:5], v[16:17]
	ds_read_b128 v[2:5], v18 offset:17920
	ds_read_b128 v[7:10], v18 offset:18432
	s_waitcnt lgkmcnt(1)
	v_add_f64 v[2:3], v[11:12], v[2:3]
	v_add_f64 v[4:5], v[13:14], v[4:5]
	s_waitcnt lgkmcnt(0)
	v_add_f64 v[11:12], v[2:3], v[7:8]
	v_add_f64 v[13:14], v[4:5], v[9:10]
	;; [unrolled: 8-line block ×7, first 2 shown]
	ds_read_b128 v[2:5], v18 offset:24064
	s_waitcnt lgkmcnt(0)
	v_add_f64 v[2:3], v[7:8], v[2:3]
	v_add_f64 v[4:5], v[9:10], v[4:5]
	v_xor_b32_e32 v3, 0x80000000, v3
	v_xor_b32_e32 v5, 0x80000000, v5
	v_cndmask_b32_e64 v10, v2, 0, s[16:17]
	v_cndmask_b32_e64 v11, v3, 0, s[16:17]
	;; [unrolled: 1-line block ×4, first 2 shown]
.LBB176_486:
	s_or_b64 exec, exec, s[6:7]
	s_and_b64 vcc, exec, s[42:43]
	s_cbranch_vccnz .LBB176_495
; %bb.487:
	v_mov_b32_e32 v2, 0x6000
	v_lshl_or_b32 v7, v1, 4, v2
	s_and_saveexec_b64 s[0:1], s[2:3]
; %bb.488:
	v_lshl_add_u32 v2, v0, 4, v7
	ds_write_b128 v2, v[10:13]
; %bb.489:
	s_or_b64 exec, exec, s[0:1]
	v_mov_b32_e32 v2, 0
	v_mov_b32_e32 v4, 0
	;; [unrolled: 1-line block ×4, first 2 shown]
	v_cmp_le_u32_e32 vcc, v0, v1
	s_waitcnt lgkmcnt(0)
	s_barrier
	s_and_saveexec_b64 s[0:1], vcc
	s_cbranch_execz .LBB176_491
; %bb.490:
	ds_read_b128 v[2:5], v7
	ds_read_b128 v[14:17], v6
	s_waitcnt lgkmcnt(0)
	v_mul_f64 v[8:9], v[4:5], v[16:17]
	v_mul_f64 v[16:17], v[2:3], v[16:17]
	v_fma_f64 v[2:3], v[2:3], v[14:15], -v[8:9]
	v_fma_f64 v[4:5], v[4:5], v[14:15], v[16:17]
	v_add_f64 v[2:3], v[2:3], 0
	v_add_f64 v[4:5], v[4:5], 0
.LBB176_491:
	s_or_b64 exec, exec, s[0:1]
	v_add_u32_e32 v1, 16, v1
	v_add_u32_e32 v8, 0x4000, v6
	v_cmp_le_u32_e32 vcc, v0, v1
	s_and_saveexec_b64 s[0:1], vcc
	s_cbranch_execz .LBB176_493
; %bb.492:
	ds_read_b128 v[14:17], v7 offset:256
	ds_read_b128 v[18:21], v6 offset:8192
	s_waitcnt lgkmcnt(0)
	v_mul_f64 v[6:7], v[16:17], v[20:21]
	v_mul_f64 v[20:21], v[14:15], v[20:21]
	v_fma_f64 v[6:7], v[14:15], v[18:19], -v[6:7]
	v_fma_f64 v[14:15], v[16:17], v[18:19], v[20:21]
	v_add_f64 v[2:3], v[2:3], v[6:7]
	v_add_f64 v[4:5], v[4:5], v[14:15]
.LBB176_493:
	s_or_b64 exec, exec, s[0:1]
	s_mov_b64 s[6:7], 0
	s_mov_b64 s[0:1], 0
	ds_write_b128 v8, v[2:5]
	s_waitcnt lgkmcnt(0)
	s_barrier
                                        ; implicit-def: $vgpr6_vgpr7
                                        ; implicit-def: $vgpr8_vgpr9
	s_and_saveexec_b64 s[8:9], s[2:3]
	s_cbranch_execz .LBB176_513
; %bb.494:
	v_lshlrev_b32_e32 v18, 4, v0
	ds_read_b128 v[6:9], v18 offset:16896
	ds_read_b128 v[14:17], v18 offset:17408
	s_mov_b64 s[0:1], exec
	s_waitcnt lgkmcnt(1)
	v_add_f64 v[1:2], v[2:3], v[6:7]
	v_add_f64 v[3:4], v[4:5], v[8:9]
	s_waitcnt lgkmcnt(0)
	v_add_f64 v[14:15], v[1:2], v[14:15]
	v_add_f64 v[16:17], v[3:4], v[16:17]
	ds_read_b128 v[1:4], v18 offset:17920
	ds_read_b128 v[5:8], v18 offset:18432
	s_waitcnt lgkmcnt(1)
	v_add_f64 v[1:2], v[14:15], v[1:2]
	v_add_f64 v[3:4], v[16:17], v[3:4]
	s_waitcnt lgkmcnt(0)
	v_add_f64 v[14:15], v[1:2], v[5:6]
	v_add_f64 v[16:17], v[3:4], v[7:8]
	ds_read_b128 v[1:4], v18 offset:18944
	ds_read_b128 v[5:8], v18 offset:19456
	s_waitcnt lgkmcnt(1)
	v_add_f64 v[1:2], v[14:15], v[1:2]
	v_add_f64 v[3:4], v[16:17], v[3:4]
	s_waitcnt lgkmcnt(0)
	v_add_f64 v[14:15], v[1:2], v[5:6]
	v_add_f64 v[16:17], v[3:4], v[7:8]
	ds_read_b128 v[1:4], v18 offset:19968
	ds_read_b128 v[5:8], v18 offset:20480
	s_waitcnt lgkmcnt(1)
	v_add_f64 v[1:2], v[14:15], v[1:2]
	v_add_f64 v[3:4], v[16:17], v[3:4]
	s_waitcnt lgkmcnt(0)
	v_add_f64 v[14:15], v[1:2], v[5:6]
	v_add_f64 v[16:17], v[3:4], v[7:8]
	ds_read_b128 v[1:4], v18 offset:20992
	ds_read_b128 v[5:8], v18 offset:21504
	s_waitcnt lgkmcnt(1)
	v_add_f64 v[1:2], v[14:15], v[1:2]
	v_add_f64 v[3:4], v[16:17], v[3:4]
	s_waitcnt lgkmcnt(0)
	v_add_f64 v[14:15], v[1:2], v[5:6]
	v_add_f64 v[16:17], v[3:4], v[7:8]
	ds_read_b128 v[1:4], v18 offset:22016
	ds_read_b128 v[5:8], v18 offset:22528
	s_waitcnt lgkmcnt(1)
	v_add_f64 v[1:2], v[14:15], v[1:2]
	v_add_f64 v[3:4], v[16:17], v[3:4]
	s_waitcnt lgkmcnt(0)
	v_add_f64 v[14:15], v[1:2], v[5:6]
	v_add_f64 v[16:17], v[3:4], v[7:8]
	ds_read_b128 v[1:4], v18 offset:23040
	ds_read_b128 v[5:8], v18 offset:23552
	s_waitcnt lgkmcnt(1)
	v_add_f64 v[1:2], v[14:15], v[1:2]
	v_add_f64 v[3:4], v[16:17], v[3:4]
	s_waitcnt lgkmcnt(0)
	v_add_f64 v[5:6], v[1:2], v[5:6]
	v_add_f64 v[14:15], v[3:4], v[7:8]
	ds_read_b128 v[1:4], v18 offset:24064
	s_waitcnt lgkmcnt(0)
	v_add_f64 v[8:9], v[5:6], v[1:2]
	v_add_f64 v[6:7], v[14:15], v[3:4]
	s_or_b64 exec, exec, s[8:9]
	s_and_b64 vcc, exec, s[6:7]
	s_cbranch_vccnz .LBB176_496
	s_branch .LBB176_514
.LBB176_495:
	s_mov_b64 s[0:1], 0
                                        ; implicit-def: $vgpr6_vgpr7
                                        ; implicit-def: $vgpr8_vgpr9
	s_cbranch_execz .LBB176_514
.LBB176_496:
	v_mov_b32_e32 v1, 0x3c00
	v_lshl_add_u32 v1, v0, 4, v1
	v_mov_b32_e32 v3, 31
	v_mov_b32_e32 v2, 0
	s_branch .LBB176_498
.LBB176_497:                            ;   in Loop: Header=BB176_498 Depth=1
	s_or_b64 exec, exec, s[6:7]
	v_subrev_co_u32_e32 v3, vcc, 1, v3
	s_andn2_b64 vcc, exec, vcc
	v_add_u32_e32 v1, 0xfffffc00, v1
	s_barrier
	s_cbranch_vccz .LBB176_506
.LBB176_498:                            ; =>This Inner Loop Header: Depth=1
	v_cmp_eq_u32_e32 vcc, v0, v3
	s_and_b64 s[8:9], s[2:3], vcc
	s_and_saveexec_b64 s[6:7], s[8:9]
; %bb.499:                              ;   in Loop: Header=BB176_498 Depth=1
	ds_write_b128 v2, v[10:13] offset:25088
; %bb.500:                              ;   in Loop: Header=BB176_498 Depth=1
	s_or_b64 exec, exec, s[6:7]
	v_cmp_lt_u32_e32 vcc, v0, v3
	s_and_b64 s[8:9], s[2:3], vcc
	s_waitcnt lgkmcnt(0)
	s_barrier
	s_and_saveexec_b64 s[6:7], s[8:9]
	s_cbranch_execz .LBB176_502
; %bb.501:                              ;   in Loop: Header=BB176_498 Depth=1
	ds_read_b128 v[4:7], v2 offset:25088
	ds_read_b128 v[14:17], v1 offset:512
	s_waitcnt lgkmcnt(0)
	v_mul_f64 v[8:9], v[6:7], v[16:17]
	v_mul_f64 v[16:17], v[4:5], v[16:17]
	v_fma_f64 v[4:5], v[4:5], v[14:15], -v[8:9]
	v_fma_f64 v[6:7], v[6:7], v[14:15], v[16:17]
	v_add_f64 v[10:11], v[10:11], v[4:5]
	v_add_f64 v[12:13], v[12:13], v[6:7]
.LBB176_502:                            ;   in Loop: Header=BB176_498 Depth=1
	s_or_b64 exec, exec, s[6:7]
	v_add_u32_e32 v3, -1, v3
	v_cmp_eq_u32_e32 vcc, v0, v3
	s_and_b64 s[8:9], s[2:3], vcc
	s_barrier
	s_and_saveexec_b64 s[6:7], s[8:9]
; %bb.503:                              ;   in Loop: Header=BB176_498 Depth=1
	ds_write_b128 v2, v[10:13] offset:25088
; %bb.504:                              ;   in Loop: Header=BB176_498 Depth=1
	s_or_b64 exec, exec, s[6:7]
	v_cmp_lt_u32_e32 vcc, v0, v3
	s_and_b64 s[8:9], s[2:3], vcc
	s_waitcnt lgkmcnt(0)
	s_barrier
	s_and_saveexec_b64 s[6:7], s[8:9]
	s_cbranch_execz .LBB176_497
; %bb.505:                              ;   in Loop: Header=BB176_498 Depth=1
	ds_read_b128 v[4:7], v2 offset:25088
	ds_read_b128 v[14:17], v1
	s_waitcnt lgkmcnt(0)
	v_mul_f64 v[8:9], v[6:7], v[16:17]
	v_mul_f64 v[16:17], v[4:5], v[16:17]
	v_fma_f64 v[4:5], v[4:5], v[14:15], -v[8:9]
	v_fma_f64 v[6:7], v[6:7], v[14:15], v[16:17]
	v_add_f64 v[10:11], v[10:11], v[4:5]
	v_add_f64 v[12:13], v[12:13], v[6:7]
	s_branch .LBB176_497
.LBB176_506:
	s_mov_b64 s[6:7], -1
	s_and_b64 vcc, exec, s[4:5]
	s_cbranch_vccnz .LBB176_515
; %bb.507:
	s_andn2_b64 vcc, exec, s[6:7]
	s_cbranch_vccz .LBB176_516
.LBB176_508:
	s_and_saveexec_b64 s[2:3], s[0:1]
	s_cbranch_execz .LBB176_510
.LBB176_509:
	s_lshl_b32 s0, s33, 5
	s_ashr_i32 s1, s0, 31
	v_mov_b32_e32 v0, s1
	v_add_co_u32_e32 v1, vcc, s0, v23
	v_addc_co_u32_e32 v0, vcc, 0, v0, vcc
	v_mul_lo_u32 v2, v0, s22
	v_mul_lo_u32 v3, v1, s23
	v_mad_u64_u32 v[0:1], s[0:1], v1, s22, 0
	v_add3_u32 v1, v1, v3, v2
	v_lshlrev_b64 v[0:1], 4, v[0:1]
	v_mov_b32_e32 v2, s39
	v_add_co_u32_e32 v0, vcc, s38, v0
	v_addc_co_u32_e32 v1, vcc, v2, v1, vcc
	flat_store_dwordx4 v[0:1], v[10:13]
.LBB176_510:
	s_or_b64 exec, exec, s[2:3]
	v_cmp_eq_u32_e32 vcc, 0, v23
	s_waitcnt vmcnt(0) lgkmcnt(0)
	buffer_wbinvl1_vol
	s_barrier
	s_and_saveexec_b64 s[0:1], vcc
	s_cbranch_execz .LBB176_512
; %bb.511:
	s_lshl_b64 s[2:3], s[28:29], 2
	s_add_u32 s2, s14, s2
	s_addc_u32 s3, s15, s3
	v_mov_b32_e32 v0, 0
	global_load_dword v1, v0, s[2:3]
	s_waitcnt vmcnt(0)
	v_add_u32_e32 v1, 1, v1
	global_store_dword v0, v1, s[2:3]
.LBB176_512:
	s_or_b64 exec, exec, s[0:1]
	s_waitcnt vmcnt(0)
	buffer_wbinvl1_vol
	s_endpgm
.LBB176_513:
	s_or_b64 exec, exec, s[8:9]
	s_and_b64 vcc, exec, s[6:7]
	s_cbranch_vccnz .LBB176_496
.LBB176_514:
	v_mov_b32_e32 v13, v7
	v_mov_b32_e32 v11, v9
	;; [unrolled: 1-line block ×4, first 2 shown]
	s_and_saveexec_b64 s[2:3], s[0:1]
	s_cbranch_execnz .LBB176_509
	s_branch .LBB176_510
.LBB176_515:
	s_andn2_b64 s[0:1], s[0:1], exec
	s_and_b64 s[4:5], s[2:3], exec
	s_or_b64 s[0:1], s[0:1], s[4:5]
	s_cbranch_execnz .LBB176_508
.LBB176_516:
	v_cmp_gt_i32_e32 vcc, s94, v0
	s_and_b64 s[2:3], s[2:3], vcc
	s_andn2_b64 s[0:1], s[0:1], exec
	s_and_b64 s[2:3], s[2:3], exec
	s_or_b64 s[0:1], s[0:1], s[2:3]
	s_and_saveexec_b64 s[2:3], s[0:1]
	s_cbranch_execnz .LBB176_509
	s_branch .LBB176_510
.LBB176_517:
	v_lshlrev_b32_e32 v23, 4, v21
	v_sub_u32_e32 v23, v19, v23
	v_lshl_add_u32 v27, v20, 4, v23
	ds_read_b128 v[23:26], v19 offset:16
	ds_read_b128 v[27:30], v27 offset:576
	s_waitcnt lgkmcnt(0)
	v_mul_f64 v[31:32], v[25:26], v[29:30]
	v_mul_f64 v[29:30], v[23:24], v[29:30]
	v_fma_f64 v[23:24], v[23:24], v[27:28], -v[31:32]
	v_fma_f64 v[25:26], v[25:26], v[27:28], v[29:30]
	v_add_f64 v[10:11], v[10:11], v[23:24]
	v_add_f64 v[12:13], v[12:13], v[25:26]
	s_or_b64 exec, exec, s[18:19]
	v_cmp_gt_u32_e64 s[12:13], 8, v22
	s_and_saveexec_b64 s[18:19], s[12:13]
	s_cbranch_execz .LBB176_57
.LBB176_518:
	ds_read_b128 v[23:26], v19 offset:32
	ds_read_b128 v[27:30], v17 offset:1088
	s_waitcnt lgkmcnt(0)
	v_mul_f64 v[31:32], v[25:26], v[29:30]
	v_mul_f64 v[29:30], v[23:24], v[29:30]
	v_fma_f64 v[23:24], v[23:24], v[27:28], -v[31:32]
	v_fma_f64 v[25:26], v[25:26], v[27:28], v[29:30]
	v_add_f64 v[10:11], v[10:11], v[23:24]
	v_add_f64 v[12:13], v[12:13], v[25:26]
	s_or_b64 exec, exec, s[18:19]
	v_cmp_gt_u32_e64 s[12:13], 4, v22
	s_and_saveexec_b64 s[18:19], s[12:13]
	s_cbranch_execnz .LBB176_58
	s_branch .LBB176_59
.LBB176_519:
	v_lshlrev_b32_e32 v28, 4, v27
	v_sub_u32_e32 v28, v25, v28
	v_lshl_add_u32 v32, v26, 4, v28
	ds_read_b128 v[28:31], v25 offset:16
	ds_read_b128 v[32:35], v32 offset:640
	s_waitcnt lgkmcnt(0)
	v_mul_f64 v[36:37], v[30:31], v[34:35]
	v_mul_f64 v[34:35], v[28:29], v[34:35]
	v_fma_f64 v[28:29], v[28:29], v[32:33], -v[36:37]
	v_fma_f64 v[30:31], v[30:31], v[32:33], v[34:35]
	v_add_f64 v[10:11], v[10:11], v[28:29]
	v_add_f64 v[12:13], v[12:13], v[30:31]
	s_or_b64 exec, exec, s[60:61]
	v_cmp_gt_u32_e64 s[14:15], 48, v22
	s_and_saveexec_b64 s[60:61], s[14:15]
	s_cbranch_execz .LBB176_99
.LBB176_520:
	v_lshlrev_b32_e32 v28, 4, v27
	v_sub_u32_e32 v28, v25, v28
	v_lshl_add_u32 v32, v26, 4, v28
	ds_read_b128 v[28:31], v25 offset:32
	ds_read_b128 v[32:35], v32 offset:1152
	s_waitcnt lgkmcnt(0)
	v_mul_f64 v[36:37], v[30:31], v[34:35]
	v_mul_f64 v[34:35], v[28:29], v[34:35]
	v_fma_f64 v[28:29], v[28:29], v[32:33], -v[36:37]
	v_fma_f64 v[30:31], v[30:31], v[32:33], v[34:35]
	v_add_f64 v[10:11], v[10:11], v[28:29]
	v_add_f64 v[12:13], v[12:13], v[30:31]
	s_or_b64 exec, exec, s[60:61]
	v_cmp_gt_u32_e64 s[14:15], 40, v22
	s_and_saveexec_b64 s[60:61], s[14:15]
	s_cbranch_execz .LBB176_100
.LBB176_521:
	v_lshlrev_b32_e32 v28, 4, v27
	v_sub_u32_e32 v28, v25, v28
	v_lshl_add_u32 v32, v26, 4, v28
	ds_read_b128 v[28:31], v25 offset:48
	ds_read_b128 v[32:35], v32 offset:1664
	s_waitcnt lgkmcnt(0)
	v_mul_f64 v[36:37], v[30:31], v[34:35]
	v_mul_f64 v[34:35], v[28:29], v[34:35]
	v_fma_f64 v[28:29], v[28:29], v[32:33], -v[36:37]
	v_fma_f64 v[30:31], v[30:31], v[32:33], v[34:35]
	v_add_f64 v[10:11], v[10:11], v[28:29]
	v_add_f64 v[12:13], v[12:13], v[30:31]
	s_or_b64 exec, exec, s[60:61]
	v_cmp_gt_u32_e64 s[14:15], 32, v22
	s_and_saveexec_b64 s[60:61], s[14:15]
	s_cbranch_execz .LBB176_101
.LBB176_522:
	ds_read_b128 v[28:31], v25 offset:64
	ds_read_b128 v[32:35], v23 offset:2176
	s_waitcnt lgkmcnt(0)
	v_mul_f64 v[36:37], v[30:31], v[34:35]
	v_mul_f64 v[34:35], v[28:29], v[34:35]
	v_fma_f64 v[28:29], v[28:29], v[32:33], -v[36:37]
	v_fma_f64 v[30:31], v[30:31], v[32:33], v[34:35]
	v_add_f64 v[10:11], v[10:11], v[28:29]
	v_add_f64 v[12:13], v[12:13], v[30:31]
	s_or_b64 exec, exec, s[60:61]
	v_cmp_gt_u32_e64 s[14:15], 24, v22
	s_and_saveexec_b64 s[60:61], s[14:15]
	s_cbranch_execz .LBB176_102
.LBB176_523:
	v_lshlrev_b32_e32 v28, 4, v27
	v_sub_u32_e32 v28, v25, v28
	v_lshl_add_u32 v32, v26, 4, v28
	ds_read_b128 v[28:31], v25 offset:80
	ds_read_b128 v[32:35], v32 offset:2688
	s_waitcnt lgkmcnt(0)
	v_mul_f64 v[36:37], v[30:31], v[34:35]
	v_mul_f64 v[34:35], v[28:29], v[34:35]
	v_fma_f64 v[28:29], v[28:29], v[32:33], -v[36:37]
	v_fma_f64 v[30:31], v[30:31], v[32:33], v[34:35]
	v_add_f64 v[10:11], v[10:11], v[28:29]
	v_add_f64 v[12:13], v[12:13], v[30:31]
	s_or_b64 exec, exec, s[60:61]
	v_cmp_gt_u32_e64 s[14:15], 16, v22
	s_and_saveexec_b64 s[60:61], s[14:15]
	s_cbranch_execz .LBB176_103
.LBB176_524:
	ds_read_b128 v[28:31], v25 offset:96
	ds_read_b128 v[32:35], v23 offset:3200
	s_waitcnt lgkmcnt(0)
	v_mul_f64 v[36:37], v[30:31], v[34:35]
	v_mul_f64 v[34:35], v[28:29], v[34:35]
	v_fma_f64 v[28:29], v[28:29], v[32:33], -v[36:37]
	v_fma_f64 v[30:31], v[30:31], v[32:33], v[34:35]
	v_add_f64 v[10:11], v[10:11], v[28:29]
	v_add_f64 v[12:13], v[12:13], v[30:31]
	s_or_b64 exec, exec, s[60:61]
	v_cmp_gt_u32_e64 s[14:15], 8, v22
	s_and_saveexec_b64 s[60:61], s[14:15]
	s_cbranch_execnz .LBB176_104
	s_branch .LBB176_105
.LBB176_525:
	v_lshlrev_b32_e32 v29, 4, v21
	v_sub_u32_e32 v29, v28, v29
	v_lshl_add_u32 v33, v20, 4, v29
	ds_read_b128 v[29:32], v28 offset:4240
	ds_read_b128 v[33:36], v33 offset:4800
	s_waitcnt lgkmcnt(0)
	v_mul_f64 v[37:38], v[31:32], v[35:36]
	v_mul_f64 v[35:36], v[29:30], v[35:36]
	v_fma_f64 v[29:30], v[29:30], v[33:34], -v[37:38]
	v_fma_f64 v[31:32], v[31:32], v[33:34], v[35:36]
	v_add_f64 v[10:11], v[10:11], v[29:30]
	v_add_f64 v[12:13], v[12:13], v[31:32]
	s_or_b64 exec, exec, s[18:19]
	v_cmp_gt_u32_e64 s[12:13], 8, v22
	s_and_saveexec_b64 s[18:19], s[12:13]
	s_cbranch_execz .LBB176_161
.LBB176_526:
	ds_read_b128 v[28:31], v28 offset:4256
	ds_read_b128 v[32:35], v17 offset:5312
	s_waitcnt lgkmcnt(0)
	v_mul_f64 v[36:37], v[30:31], v[34:35]
	v_mul_f64 v[34:35], v[28:29], v[34:35]
	v_fma_f64 v[28:29], v[28:29], v[32:33], -v[36:37]
	v_fma_f64 v[30:31], v[30:31], v[32:33], v[34:35]
	v_add_f64 v[10:11], v[10:11], v[28:29]
	v_add_f64 v[12:13], v[12:13], v[30:31]
	s_or_b64 exec, exec, s[18:19]
	v_cmp_gt_u32_e64 s[12:13], 4, v22
	s_and_saveexec_b64 s[18:19], s[12:13]
	s_cbranch_execnz .LBB176_162
	s_branch .LBB176_163
.LBB176_527:
	ds_read_b128 v[33:36], v32 offset:176
	ds_read_b128 v[37:40], v28 offset:5888
	s_waitcnt lgkmcnt(0)
	v_mul_f64 v[41:42], v[35:36], v[39:40]
	v_mul_f64 v[39:40], v[33:34], v[39:40]
	v_fma_f64 v[33:34], v[33:34], v[37:38], -v[41:42]
	v_fma_f64 v[35:36], v[35:36], v[37:38], v[39:40]
	v_add_f64 v[10:11], v[10:11], v[33:34]
	v_add_f64 v[12:13], v[12:13], v[35:36]
	s_or_b64 exec, exec, s[92:93]
	v_cmp_gt_u32_e64 s[18:19], 64, v22
	s_and_saveexec_b64 s[92:93], s[18:19]
	s_cbranch_execz .LBB176_223
.LBB176_528:
	ds_read_b128 v[33:36], v32 offset:192
	ds_read_b128 v[37:40], v28 offset:6400
	s_waitcnt lgkmcnt(0)
	v_mul_f64 v[41:42], v[35:36], v[39:40]
	v_mul_f64 v[39:40], v[33:34], v[39:40]
	v_fma_f64 v[33:34], v[33:34], v[37:38], -v[41:42]
	v_fma_f64 v[35:36], v[35:36], v[37:38], v[39:40]
	v_add_f64 v[10:11], v[10:11], v[33:34]
	v_add_f64 v[12:13], v[12:13], v[35:36]
	s_or_b64 exec, exec, s[92:93]
	v_cmp_gt_u32_e64 s[18:19], 48, v22
	s_and_saveexec_b64 s[92:93], s[18:19]
	s_cbranch_execz .LBB176_224
.LBB176_529:
	ds_read_b128 v[33:36], v32 offset:208
	ds_read_b128 v[37:40], v28 offset:6912
	s_waitcnt lgkmcnt(0)
	v_mul_f64 v[41:42], v[35:36], v[39:40]
	v_mul_f64 v[39:40], v[33:34], v[39:40]
	v_fma_f64 v[33:34], v[33:34], v[37:38], -v[41:42]
	v_fma_f64 v[35:36], v[35:36], v[37:38], v[39:40]
	v_add_f64 v[10:11], v[10:11], v[33:34]
	v_add_f64 v[12:13], v[12:13], v[35:36]
	s_or_b64 exec, exec, s[92:93]
	v_cmp_gt_u32_e64 s[18:19], 32, v22
	s_and_saveexec_b64 s[92:93], s[18:19]
	s_cbranch_execz .LBB176_225
.LBB176_530:
	ds_read_b128 v[32:35], v32 offset:224
	ds_read_b128 v[36:39], v28 offset:7424
	s_waitcnt lgkmcnt(0)
	v_mul_f64 v[40:41], v[34:35], v[38:39]
	v_mul_f64 v[38:39], v[32:33], v[38:39]
	v_fma_f64 v[32:33], v[32:33], v[36:37], -v[40:41]
	v_fma_f64 v[34:35], v[34:35], v[36:37], v[38:39]
	v_add_f64 v[10:11], v[10:11], v[32:33]
	v_add_f64 v[12:13], v[12:13], v[34:35]
	s_or_b64 exec, exec, s[92:93]
	v_cmp_gt_u32_e64 s[18:19], 16, v22
	s_and_saveexec_b64 s[92:93], s[18:19]
	s_cbranch_execnz .LBB176_226
	s_branch .LBB176_227
.LBB176_531:
	v_lshlrev_b32_e32 v29, 4, v21
	v_sub_u32_e32 v29, v28, v29
	v_lshl_add_u32 v33, v20, 4, v29
	ds_read_b128 v[29:32], v28 offset:8464
	ds_read_b128 v[33:36], v33 offset:9024
	s_waitcnt lgkmcnt(0)
	v_mul_f64 v[37:38], v[31:32], v[35:36]
	v_mul_f64 v[35:36], v[29:30], v[35:36]
	v_fma_f64 v[29:30], v[29:30], v[33:34], -v[37:38]
	v_fma_f64 v[31:32], v[31:32], v[33:34], v[35:36]
	v_add_f64 v[10:11], v[10:11], v[29:30]
	v_add_f64 v[12:13], v[12:13], v[31:32]
	s_or_b64 exec, exec, s[14:15]
	v_cmp_gt_u32_e64 s[10:11], 8, v22
	s_and_saveexec_b64 s[14:15], s[10:11]
	s_cbranch_execz .LBB176_315
.LBB176_532:
	ds_read_b128 v[28:31], v28 offset:8480
	ds_read_b128 v[32:35], v17 offset:9536
	s_waitcnt lgkmcnt(0)
	v_mul_f64 v[36:37], v[30:31], v[34:35]
	v_mul_f64 v[34:35], v[28:29], v[34:35]
	v_fma_f64 v[28:29], v[28:29], v[32:33], -v[36:37]
	v_fma_f64 v[30:31], v[30:31], v[32:33], v[34:35]
	v_add_f64 v[10:11], v[10:11], v[28:29]
	v_add_f64 v[12:13], v[12:13], v[30:31]
	s_or_b64 exec, exec, s[14:15]
	v_cmp_gt_u32_e64 s[10:11], 4, v22
	s_and_saveexec_b64 s[14:15], s[10:11]
	s_cbranch_execnz .LBB176_316
	s_branch .LBB176_317
.LBB176_533:
	v_lshlrev_b32_e32 v29, 4, v27
	v_sub_u32_e32 v29, v28, v29
	v_lshl_add_u32 v33, v26, 4, v29
	ds_read_b128 v[29:32], v28 offset:8464
	ds_read_b128 v[33:36], v33 offset:9088
	s_waitcnt lgkmcnt(0)
	v_mul_f64 v[37:38], v[31:32], v[35:36]
	v_mul_f64 v[35:36], v[29:30], v[35:36]
	v_fma_f64 v[29:30], v[29:30], v[33:34], -v[37:38]
	v_fma_f64 v[31:32], v[31:32], v[33:34], v[35:36]
	v_add_f64 v[10:11], v[10:11], v[29:30]
	v_add_f64 v[12:13], v[12:13], v[31:32]
	s_or_b64 exec, exec, s[14:15]
	v_cmp_gt_u32_e64 s[10:11], 48, v22
	s_and_saveexec_b64 s[14:15], s[10:11]
	s_cbranch_execz .LBB176_357
.LBB176_534:
	v_lshlrev_b32_e32 v29, 4, v27
	v_sub_u32_e32 v29, v28, v29
	v_lshl_add_u32 v33, v26, 4, v29
	ds_read_b128 v[29:32], v28 offset:8480
	ds_read_b128 v[33:36], v33 offset:9600
	s_waitcnt lgkmcnt(0)
	v_mul_f64 v[37:38], v[31:32], v[35:36]
	v_mul_f64 v[35:36], v[29:30], v[35:36]
	v_fma_f64 v[29:30], v[29:30], v[33:34], -v[37:38]
	v_fma_f64 v[31:32], v[31:32], v[33:34], v[35:36]
	v_add_f64 v[10:11], v[10:11], v[29:30]
	v_add_f64 v[12:13], v[12:13], v[31:32]
	s_or_b64 exec, exec, s[14:15]
	v_cmp_gt_u32_e64 s[10:11], 40, v22
	s_and_saveexec_b64 s[14:15], s[10:11]
	s_cbranch_execz .LBB176_358
.LBB176_535:
	v_lshlrev_b32_e32 v29, 4, v27
	v_sub_u32_e32 v29, v28, v29
	v_lshl_add_u32 v33, v26, 4, v29
	ds_read_b128 v[29:32], v28 offset:8496
	ds_read_b128 v[33:36], v33 offset:10112
	s_waitcnt lgkmcnt(0)
	v_mul_f64 v[37:38], v[31:32], v[35:36]
	v_mul_f64 v[35:36], v[29:30], v[35:36]
	v_fma_f64 v[29:30], v[29:30], v[33:34], -v[37:38]
	v_fma_f64 v[31:32], v[31:32], v[33:34], v[35:36]
	v_add_f64 v[10:11], v[10:11], v[29:30]
	v_add_f64 v[12:13], v[12:13], v[31:32]
	s_or_b64 exec, exec, s[14:15]
	v_cmp_gt_u32_e64 s[10:11], 32, v22
	s_and_saveexec_b64 s[14:15], s[10:11]
	s_cbranch_execz .LBB176_359
.LBB176_536:
	ds_read_b128 v[29:32], v28 offset:8512
	ds_read_b128 v[33:36], v23 offset:10624
	s_waitcnt lgkmcnt(0)
	v_mul_f64 v[37:38], v[31:32], v[35:36]
	v_mul_f64 v[35:36], v[29:30], v[35:36]
	v_fma_f64 v[29:30], v[29:30], v[33:34], -v[37:38]
	v_fma_f64 v[31:32], v[31:32], v[33:34], v[35:36]
	v_add_f64 v[10:11], v[10:11], v[29:30]
	v_add_f64 v[12:13], v[12:13], v[31:32]
	s_or_b64 exec, exec, s[14:15]
	v_cmp_gt_u32_e64 s[10:11], 24, v22
	s_and_saveexec_b64 s[14:15], s[10:11]
	s_cbranch_execz .LBB176_360
.LBB176_537:
	v_lshlrev_b32_e32 v27, 4, v27
	v_sub_u32_e32 v27, v28, v27
	v_lshl_add_u32 v26, v26, 4, v27
	ds_read_b128 v[29:32], v28 offset:8528
	ds_read_b128 v[33:36], v26 offset:11136
	s_waitcnt lgkmcnt(0)
	v_mul_f64 v[26:27], v[31:32], v[35:36]
	v_mul_f64 v[35:36], v[29:30], v[35:36]
	v_fma_f64 v[26:27], v[29:30], v[33:34], -v[26:27]
	v_fma_f64 v[29:30], v[31:32], v[33:34], v[35:36]
	v_add_f64 v[10:11], v[10:11], v[26:27]
	v_add_f64 v[12:13], v[12:13], v[29:30]
	s_or_b64 exec, exec, s[14:15]
	v_cmp_gt_u32_e64 s[10:11], 16, v22
	s_and_saveexec_b64 s[14:15], s[10:11]
	s_cbranch_execz .LBB176_361
.LBB176_538:
	ds_read_b128 v[26:29], v28 offset:8544
	ds_read_b128 v[30:33], v23 offset:11648
	s_waitcnt lgkmcnt(0)
	v_mul_f64 v[34:35], v[28:29], v[32:33]
	v_mul_f64 v[32:33], v[26:27], v[32:33]
	v_fma_f64 v[26:27], v[26:27], v[30:31], -v[34:35]
	v_fma_f64 v[28:29], v[28:29], v[30:31], v[32:33]
	v_add_f64 v[10:11], v[10:11], v[26:27]
	v_add_f64 v[12:13], v[12:13], v[28:29]
	s_or_b64 exec, exec, s[14:15]
	v_cmp_gt_u32_e64 s[10:11], 8, v22
	s_and_saveexec_b64 s[14:15], s[10:11]
	s_cbranch_execnz .LBB176_362
	s_branch .LBB176_363
.LBB176_539:
	v_lshlrev_b32_e32 v21, 4, v21
	v_sub_u32_e32 v21, v23, v21
	v_lshl_add_u32 v20, v20, 4, v21
	ds_read_b128 v[24:27], v23 offset:12688
	ds_read_b128 v[28:31], v20 offset:13248
	s_waitcnt lgkmcnt(0)
	v_mul_f64 v[20:21], v[26:27], v[30:31]
	v_mul_f64 v[30:31], v[24:25], v[30:31]
	v_fma_f64 v[20:21], v[24:25], v[28:29], -v[20:21]
	v_fma_f64 v[24:25], v[26:27], v[28:29], v[30:31]
	v_add_f64 v[10:11], v[10:11], v[20:21]
	v_add_f64 v[12:13], v[12:13], v[24:25]
	s_or_b64 exec, exec, s[12:13]
	v_cmp_gt_u32_e64 s[8:9], 8, v22
	s_and_saveexec_b64 s[12:13], s[8:9]
	s_cbranch_execz .LBB176_419
.LBB176_540:
	ds_read_b128 v[23:26], v23 offset:12704
	ds_read_b128 v[27:30], v17 offset:13760
	s_waitcnt lgkmcnt(0)
	v_mul_f64 v[20:21], v[25:26], v[29:30]
	v_mul_f64 v[29:30], v[23:24], v[29:30]
	v_fma_f64 v[20:21], v[23:24], v[27:28], -v[20:21]
	v_fma_f64 v[23:24], v[25:26], v[27:28], v[29:30]
	v_add_f64 v[10:11], v[10:11], v[20:21]
	v_add_f64 v[12:13], v[12:13], v[23:24]
	s_or_b64 exec, exec, s[12:13]
	v_cmp_gt_u32_e64 s[8:9], 4, v22
	s_and_saveexec_b64 s[12:13], s[8:9]
	s_cbranch_execnz .LBB176_420
	s_branch .LBB176_421
	.section	.rodata,"a",@progbits
	.p2align	6, 0x0
	.amdhsa_kernel _ZL19rocblas_trsv_deviceILi32ELi16ELb1ELb1ELb0ELb1E19rocblas_complex_numIdEPKS1_PKS3_PKPS1_EviT7_lllT6_T8_lllPii
		.amdhsa_group_segment_fixed_size 25104
		.amdhsa_private_segment_fixed_size 0
		.amdhsa_kernarg_size 352
		.amdhsa_user_sgpr_count 6
		.amdhsa_user_sgpr_private_segment_buffer 1
		.amdhsa_user_sgpr_dispatch_ptr 0
		.amdhsa_user_sgpr_queue_ptr 0
		.amdhsa_user_sgpr_kernarg_segment_ptr 1
		.amdhsa_user_sgpr_dispatch_id 0
		.amdhsa_user_sgpr_flat_scratch_init 0
		.amdhsa_user_sgpr_private_segment_size 0
		.amdhsa_uses_dynamic_stack 0
		.amdhsa_system_sgpr_private_segment_wavefront_offset 0
		.amdhsa_system_sgpr_workgroup_id_x 1
		.amdhsa_system_sgpr_workgroup_id_y 0
		.amdhsa_system_sgpr_workgroup_id_z 1
		.amdhsa_system_sgpr_workgroup_info 0
		.amdhsa_system_vgpr_workitem_id 1
		.amdhsa_next_free_vgpr 49
		.amdhsa_next_free_sgpr 98
		.amdhsa_reserve_vcc 1
		.amdhsa_reserve_flat_scratch 0
		.amdhsa_float_round_mode_32 0
		.amdhsa_float_round_mode_16_64 0
		.amdhsa_float_denorm_mode_32 3
		.amdhsa_float_denorm_mode_16_64 3
		.amdhsa_dx10_clamp 1
		.amdhsa_ieee_mode 1
		.amdhsa_fp16_overflow 0
		.amdhsa_exception_fp_ieee_invalid_op 0
		.amdhsa_exception_fp_denorm_src 0
		.amdhsa_exception_fp_ieee_div_zero 0
		.amdhsa_exception_fp_ieee_overflow 0
		.amdhsa_exception_fp_ieee_underflow 0
		.amdhsa_exception_fp_ieee_inexact 0
		.amdhsa_exception_int_div_zero 0
	.end_amdhsa_kernel
	.section	.text._ZL19rocblas_trsv_deviceILi32ELi16ELb1ELb1ELb0ELb1E19rocblas_complex_numIdEPKS1_PKS3_PKPS1_EviT7_lllT6_T8_lllPii,"axG",@progbits,_ZL19rocblas_trsv_deviceILi32ELi16ELb1ELb1ELb0ELb1E19rocblas_complex_numIdEPKS1_PKS3_PKPS1_EviT7_lllT6_T8_lllPii,comdat
.Lfunc_end176:
	.size	_ZL19rocblas_trsv_deviceILi32ELi16ELb1ELb1ELb0ELb1E19rocblas_complex_numIdEPKS1_PKS3_PKPS1_EviT7_lllT6_T8_lllPii, .Lfunc_end176-_ZL19rocblas_trsv_deviceILi32ELi16ELb1ELb1ELb0ELb1E19rocblas_complex_numIdEPKS1_PKS3_PKPS1_EviT7_lllT6_T8_lllPii
                                        ; -- End function
	.set _ZL19rocblas_trsv_deviceILi32ELi16ELb1ELb1ELb0ELb1E19rocblas_complex_numIdEPKS1_PKS3_PKPS1_EviT7_lllT6_T8_lllPii.num_vgpr, 44
	.set _ZL19rocblas_trsv_deviceILi32ELi16ELb1ELb1ELb0ELb1E19rocblas_complex_numIdEPKS1_PKS3_PKPS1_EviT7_lllT6_T8_lllPii.num_agpr, 0
	.set _ZL19rocblas_trsv_deviceILi32ELi16ELb1ELb1ELb0ELb1E19rocblas_complex_numIdEPKS1_PKS3_PKPS1_EviT7_lllT6_T8_lllPii.numbered_sgpr, 96
	.set _ZL19rocblas_trsv_deviceILi32ELi16ELb1ELb1ELb0ELb1E19rocblas_complex_numIdEPKS1_PKS3_PKPS1_EviT7_lllT6_T8_lllPii.num_named_barrier, 0
	.set _ZL19rocblas_trsv_deviceILi32ELi16ELb1ELb1ELb0ELb1E19rocblas_complex_numIdEPKS1_PKS3_PKPS1_EviT7_lllT6_T8_lllPii.private_seg_size, 0
	.set _ZL19rocblas_trsv_deviceILi32ELi16ELb1ELb1ELb0ELb1E19rocblas_complex_numIdEPKS1_PKS3_PKPS1_EviT7_lllT6_T8_lllPii.uses_vcc, 1
	.set _ZL19rocblas_trsv_deviceILi32ELi16ELb1ELb1ELb0ELb1E19rocblas_complex_numIdEPKS1_PKS3_PKPS1_EviT7_lllT6_T8_lllPii.uses_flat_scratch, 0
	.set _ZL19rocblas_trsv_deviceILi32ELi16ELb1ELb1ELb0ELb1E19rocblas_complex_numIdEPKS1_PKS3_PKPS1_EviT7_lllT6_T8_lllPii.has_dyn_sized_stack, 0
	.set _ZL19rocblas_trsv_deviceILi32ELi16ELb1ELb1ELb0ELb1E19rocblas_complex_numIdEPKS1_PKS3_PKPS1_EviT7_lllT6_T8_lllPii.has_recursion, 0
	.set _ZL19rocblas_trsv_deviceILi32ELi16ELb1ELb1ELb0ELb1E19rocblas_complex_numIdEPKS1_PKS3_PKPS1_EviT7_lllT6_T8_lllPii.has_indirect_call, 0
	.section	.AMDGPU.csdata,"",@progbits
; Kernel info:
; codeLenInByte = 21920
; TotalNumSgprs: 100
; NumVgprs: 44
; ScratchSize: 0
; MemoryBound: 1
; FloatMode: 240
; IeeeMode: 1
; LDSByteSize: 25104 bytes/workgroup (compile time only)
; SGPRBlocks: 12
; VGPRBlocks: 12
; NumSGPRsForWavesPerEU: 102
; NumVGPRsForWavesPerEU: 49
; Occupancy: 4
; WaveLimiterHint : 1
; COMPUTE_PGM_RSRC2:SCRATCH_EN: 0
; COMPUTE_PGM_RSRC2:USER_SGPR: 6
; COMPUTE_PGM_RSRC2:TRAP_HANDLER: 0
; COMPUTE_PGM_RSRC2:TGID_X_EN: 1
; COMPUTE_PGM_RSRC2:TGID_Y_EN: 0
; COMPUTE_PGM_RSRC2:TGID_Z_EN: 1
; COMPUTE_PGM_RSRC2:TIDIG_COMP_CNT: 1
	.section	.text._ZL19rocblas_trsv_deviceILi32ELi16ELb1ELb1ELb1ELb1E19rocblas_complex_numIdEPKS1_PKS3_PKPS1_EviT7_lllT6_T8_lllPii,"axG",@progbits,_ZL19rocblas_trsv_deviceILi32ELi16ELb1ELb1ELb1ELb1E19rocblas_complex_numIdEPKS1_PKS3_PKPS1_EviT7_lllT6_T8_lllPii,comdat
	.globl	_ZL19rocblas_trsv_deviceILi32ELi16ELb1ELb1ELb1ELb1E19rocblas_complex_numIdEPKS1_PKS3_PKPS1_EviT7_lllT6_T8_lllPii ; -- Begin function _ZL19rocblas_trsv_deviceILi32ELi16ELb1ELb1ELb1ELb1E19rocblas_complex_numIdEPKS1_PKS3_PKPS1_EviT7_lllT6_T8_lllPii
	.p2align	8
	.type	_ZL19rocblas_trsv_deviceILi32ELi16ELb1ELb1ELb1ELb1E19rocblas_complex_numIdEPKS1_PKS3_PKPS1_EviT7_lllT6_T8_lllPii,@function
_ZL19rocblas_trsv_deviceILi32ELi16ELb1ELb1ELb1ELb1E19rocblas_complex_numIdEPKS1_PKS3_PKPS1_EviT7_lllT6_T8_lllPii: ; @_ZL19rocblas_trsv_deviceILi32ELi16ELb1ELb1ELb1ELb1E19rocblas_complex_numIdEPKS1_PKS3_PKPS1_EviT7_lllT6_T8_lllPii
; %bb.0:
	s_load_dwordx4 s[0:3], s[4:5], 0x8
	s_mov_b32 s28, s7
	s_mov_b32 s29, 0
	s_lshl_b64 s[8:9], s[28:29], 3
	s_waitcnt lgkmcnt(0)
	s_add_u32 s0, s0, s8
	s_addc_u32 s1, s1, s9
	s_load_dwordx2 s[10:11], s[0:1], 0x0
	s_load_dword s30, s[4:5], 0x0
	s_load_dwordx8 s[16:23], s[4:5], 0x28
	s_load_dwordx2 s[36:37], s[4:5], 0x18
	s_lshl_b64 s[0:1], s[2:3], 4
	s_waitcnt lgkmcnt(0)
	s_add_u32 s95, s10, s0
	s_addc_u32 s62, s11, s1
	s_add_u32 s0, s18, s8
	s_load_dword s7, s[4:5], 0x60
	s_addc_u32 s1, s19, s9
	s_load_dwordx2 s[38:39], s[0:1], 0x0
	s_load_dwordx4 s[24:27], s[16:17], 0x0
	s_load_dword s63, s[4:5], 0x6c
	s_waitcnt lgkmcnt(0)
	s_add_i32 s7, s7, -1
	s_sub_i32 s33, s7, s6
	s_cmp_eq_u32 s6, 0
	s_cbranch_scc1 .LBB177_6
; %bb.1:
	s_lshl_b32 s2, s33, 5
	v_add_u32_e32 v6, s2, v0
	v_ashrrev_i32_e32 v2, 31, v6
	v_mul_lo_u32 v7, s36, v2
	v_mul_lo_u32 v8, s37, v6
	v_mad_u64_u32 v[4:5], s[0:1], s36, v6, 0
	v_add3_u32 v2, v1, s2, 32
	v_ashrrev_i32_e32 v3, 31, v2
	v_add3_u32 v5, v5, v7, v8
	v_lshlrev_b64 v[4:5], 4, v[4:5]
	v_cmp_gt_i32_e32 vcc, s30, v6
	v_mov_b32_e32 v6, s62
	v_add_co_u32_e64 v7, s[0:1], s95, v4
	v_lshlrev_b64 v[3:4], 4, v[2:3]
	v_addc_co_u32_e64 v5, s[0:1], v6, v5, s[0:1]
	v_add_co_u32_e64 v10, s[0:1], v7, v3
	v_addc_co_u32_e64 v11, s[0:1], v5, v4, s[0:1]
	v_cmp_gt_i32_e64 s[0:1], s30, v2
	v_mov_b32_e32 v4, 0
	v_mov_b32_e32 v6, 0
	;; [unrolled: 1-line block ×6, first 2 shown]
	s_and_b64 s[2:3], s[0:1], vcc
	s_barrier
	s_and_saveexec_b64 s[0:1], s[2:3]
	s_cbranch_execz .LBB177_3
; %bb.2:
	flat_load_dwordx4 v[6:9], v[10:11]
.LBB177_3:
	s_or_b64 exec, exec, s[0:1]
	v_add_u32_e32 v2, 16, v2
	v_cmp_gt_i32_e64 s[0:1], s30, v2
	v_mov_b32_e32 v2, 0
	v_mov_b32_e32 v3, 0
	s_and_b64 s[2:3], s[0:1], vcc
	s_waitcnt vmcnt(0) lgkmcnt(0)
	s_barrier
	s_and_saveexec_b64 s[0:1], s[2:3]
	s_cbranch_execz .LBB177_5
; %bb.4:
	flat_load_dwordx4 v[2:5], v[10:11] offset:256
.LBB177_5:
	s_or_b64 exec, exec, s[0:1]
	s_branch .LBB177_7
.LBB177_6:
                                        ; implicit-def: $vgpr4_vgpr5
                                        ; implicit-def: $vgpr8_vgpr9
.LBB177_7:
	s_ashr_i32 s31, s30, 31
	s_lshr_b32 s0, s31, 27
	s_add_i32 s0, s30, s0
	s_andn2_b32 s0, s0, 31
	s_sub_i32 s94, s30, s0
	s_add_i32 s0, s30, -1
	s_ashr_i32 s1, s0, 31
	s_lshr_b32 s1, s1, 27
	s_add_i32 s0, s0, s1
	s_ashr_i32 s0, s0, 5
	s_cmp_eq_u32 s0, s33
	s_cselect_b64 s[0:1], -1, 0
	s_cmp_lg_u32 s94, 0
	s_cselect_b64 s[2:3], -1, 0
	s_and_b64 s[34:35], s[2:3], s[0:1]
	s_cmp_lt_i32 s6, 5
	s_cselect_b64 s[2:3], -1, 0
	v_lshlrev_b32_e32 v10, 5, v0
	s_mov_b64 s[12:13], -1
	s_or_b64 s[0:1], s[2:3], s[34:35]
	s_and_b64 vcc, exec, s[34:35]
	v_add_u32_e32 v11, v1, v10
	v_cmp_le_u32_e64 s[8:9], v0, v1
	v_lshl_add_u32 v22, v1, 5, v0
	s_cbranch_vccnz .LBB177_21
; %bb.8:
	s_add_u32 s10, s36, 1
	s_addc_u32 s11, s37, 0
	s_lshl_b32 s12, s33, 5
	s_ashr_i32 s13, s12, 31
	s_mul_hi_u32 s14, s10, s12
	s_mul_i32 s13, s10, s13
	s_add_i32 s13, s14, s13
	s_mul_i32 s11, s11, s12
	s_add_i32 s11, s13, s11
	s_mul_i32 s10, s10, s12
	s_lshl_b64 s[10:11], s[10:11], 4
	s_add_u32 s10, s95, s10
	s_addc_u32 s11, s62, s11
	v_lshlrev_b32_e32 v12, 4, v0
	v_mov_b32_e32 v13, s11
	v_add_co_u32_e32 v12, vcc, s10, v12
	v_addc_co_u32_e32 v13, vcc, 0, v13, vcc
	v_cndmask_b32_e64 v14, v22, v11, s[2:3]
	s_and_saveexec_b64 s[2:3], s[8:9]
	s_xor_b64 s[2:3], exec, s[2:3]
	s_cbranch_execz .LBB177_12
; %bb.9:
	v_or_b32_e32 v15, v1, v0
	v_cmp_gt_u32_e32 vcc, 32, v15
	s_and_saveexec_b64 s[8:9], vcc
	s_cbranch_execz .LBB177_11
; %bb.10:
	v_lshlrev_b32_e32 v18, 4, v14
	v_mov_b32_e32 v14, 0
	v_mov_b32_e32 v15, v14
	;; [unrolled: 1-line block ×4, first 2 shown]
	ds_write_b128 v18, v[14:17]
.LBB177_11:
	s_or_b64 exec, exec, s[8:9]
                                        ; implicit-def: $vgpr14
.LBB177_12:
	s_andn2_saveexec_b64 s[2:3], s[2:3]
	s_cbranch_execz .LBB177_14
; %bb.13:
	v_mad_u64_u32 v[15:16], s[8:9], s36, v1, 0
	v_lshlrev_b32_e32 v14, 4, v14
	v_mad_u64_u32 v[16:17], s[8:9], s37, v1, v[16:17]
	v_lshlrev_b64 v[15:16], 4, v[15:16]
	v_add_co_u32_e32 v15, vcc, v12, v15
	v_addc_co_u32_e32 v16, vcc, v13, v16, vcc
	flat_load_dwordx4 v[15:18], v[15:16]
	s_waitcnt vmcnt(0) lgkmcnt(0)
	v_xor_b32_e32 v16, 0x80000000, v16
	ds_write_b128 v14, v[15:18]
.LBB177_14:
	s_or_b64 exec, exec, s[2:3]
	v_add_u32_e32 v15, 16, v1
	v_add_u32_e32 v14, v15, v10
	v_lshl_add_u32 v16, v15, 5, v0
	v_cndmask_b32_e64 v14, v16, v14, s[0:1]
	v_cmp_le_u32_e32 vcc, v0, v15
	s_and_saveexec_b64 s[2:3], vcc
	s_xor_b64 s[2:3], exec, s[2:3]
	s_cbranch_execz .LBB177_18
; %bb.15:
	v_or_b32_e32 v12, v15, v0
	v_cmp_gt_u32_e32 vcc, 32, v12
	s_and_saveexec_b64 s[8:9], vcc
	s_cbranch_execz .LBB177_17
; %bb.16:
	v_mov_b32_e32 v12, 0
	v_lshlrev_b32_e32 v16, 4, v14
	v_mov_b32_e32 v13, v12
	v_mov_b32_e32 v14, v12
	;; [unrolled: 1-line block ×3, first 2 shown]
	ds_write_b128 v16, v[12:15]
.LBB177_17:
	s_or_b64 exec, exec, s[8:9]
                                        ; implicit-def: $vgpr15
                                        ; implicit-def: $vgpr12
                                        ; implicit-def: $vgpr13
                                        ; implicit-def: $vgpr14
.LBB177_18:
	s_andn2_saveexec_b64 s[2:3], s[2:3]
	s_cbranch_execz .LBB177_20
; %bb.19:
	v_mad_u64_u32 v[16:17], s[8:9], s36, v15, 0
	v_mad_u64_u32 v[17:18], s[8:9], s37, v15, v[17:18]
	v_lshlrev_b64 v[15:16], 4, v[16:17]
	v_add_co_u32_e32 v12, vcc, v12, v15
	v_addc_co_u32_e32 v13, vcc, v13, v16, vcc
	flat_load_dwordx4 v[15:18], v[12:13]
	v_lshlrev_b32_e32 v12, 4, v14
	s_waitcnt vmcnt(0) lgkmcnt(0)
	v_xor_b32_e32 v16, 0x80000000, v16
	ds_write_b128 v12, v[15:18]
.LBB177_20:
	s_or_b64 exec, exec, s[2:3]
	s_mov_b64 s[12:13], 0
.LBB177_21:
	s_xor_b64 s[10:11], s[0:1], -1
	s_and_b64 vcc, exec, s[12:13]
	s_cbranch_vccz .LBB177_35
; %bb.22:
	s_add_u32 s2, s36, 1
	s_addc_u32 s3, s37, 0
	s_lshl_b32 s8, s33, 5
	s_ashr_i32 s9, s8, 31
	s_mul_hi_u32 s12, s2, s8
	s_mul_i32 s9, s2, s9
	s_add_i32 s9, s12, s9
	s_mul_i32 s3, s3, s8
	s_add_i32 s3, s9, s3
	s_mul_i32 s2, s2, s8
	s_lshl_b64 s[2:3], s[2:3], 4
	s_add_u32 s2, s95, s2
	s_addc_u32 s3, s62, s3
	v_lshlrev_b32_e32 v12, 4, v0
	v_mov_b32_e32 v13, s3
	v_add_co_u32_e64 v12, s[2:3], s2, v12
	v_addc_co_u32_e64 v13, s[2:3], 0, v13, s[2:3]
	v_max_i32_e32 v14, v1, v0
	v_cmp_le_u32_e64 s[2:3], v0, v1
	v_cmp_le_i32_e64 s[8:9], s94, v14
	v_cmp_gt_i32_e32 vcc, s94, v0
	s_or_b64 s[2:3], s[8:9], s[2:3]
	s_and_saveexec_b64 s[8:9], s[2:3]
	s_xor_b64 s[8:9], exec, s[8:9]
	s_cbranch_execz .LBB177_26
; %bb.23:
	v_or_b32_e32 v14, v1, v0
	v_cmp_gt_u32_e64 s[2:3], 32, v14
	s_and_saveexec_b64 s[12:13], s[2:3]
	s_cbranch_execz .LBB177_25
; %bb.24:
	v_mov_b32_e32 v14, 0
	v_lshlrev_b32_e32 v11, 4, v11
	v_mov_b32_e32 v15, v14
	v_mov_b32_e32 v16, v14
	;; [unrolled: 1-line block ×3, first 2 shown]
	ds_write_b128 v11, v[14:17]
.LBB177_25:
	s_or_b64 exec, exec, s[12:13]
                                        ; implicit-def: $vgpr11
.LBB177_26:
	s_andn2_saveexec_b64 s[8:9], s[8:9]
	s_cbranch_execz .LBB177_28
; %bb.27:
	v_mad_u64_u32 v[14:15], s[2:3], s36, v1, 0
	v_lshlrev_b32_e32 v11, 4, v11
	v_mad_u64_u32 v[15:16], s[2:3], s37, v1, v[15:16]
	v_lshlrev_b64 v[14:15], 4, v[14:15]
	v_add_co_u32_e64 v14, s[2:3], v12, v14
	v_addc_co_u32_e64 v15, s[2:3], v13, v15, s[2:3]
	flat_load_dwordx4 v[14:17], v[14:15]
	s_waitcnt vmcnt(0) lgkmcnt(0)
	v_xor_b32_e32 v15, 0x80000000, v15
	ds_write_b128 v11, v[14:17]
.LBB177_28:
	s_or_b64 exec, exec, s[8:9]
	v_add_u32_e32 v11, 16, v1
	v_add_u32_e32 v10, v11, v10
	v_lshl_add_u32 v14, v11, 5, v0
	v_cndmask_b32_e64 v10, v14, v10, s[0:1]
	v_cmp_gt_u32_e64 s[0:1], v0, v11
	v_cmp_gt_i32_e64 s[2:3], s94, v11
	s_and_b64 s[0:1], s[0:1], s[2:3]
	s_and_b64 s[0:1], s[0:1], vcc
	s_xor_b64 s[0:1], s[0:1], -1
	s_and_saveexec_b64 s[2:3], s[0:1]
	s_xor_b64 s[0:1], exec, s[2:3]
	s_cbranch_execz .LBB177_32
; %bb.29:
	v_or_b32_e32 v11, v11, v0
	v_cmp_gt_u32_e32 vcc, 32, v11
	s_and_saveexec_b64 s[2:3], vcc
	s_cbranch_execz .LBB177_31
; %bb.30:
	v_lshlrev_b32_e32 v14, 4, v10
	v_mov_b32_e32 v10, 0
	v_mov_b32_e32 v11, v10
	;; [unrolled: 1-line block ×4, first 2 shown]
	ds_write_b128 v14, v[10:13]
.LBB177_31:
	s_or_b64 exec, exec, s[2:3]
                                        ; implicit-def: $vgpr11
                                        ; implicit-def: $vgpr12
                                        ; implicit-def: $vgpr13
                                        ; implicit-def: $vgpr10
.LBB177_32:
	s_andn2_saveexec_b64 s[0:1], s[0:1]
	s_cbranch_execz .LBB177_34
; %bb.33:
	v_mad_u64_u32 v[14:15], s[2:3], s36, v11, 0
	v_lshlrev_b32_e32 v10, 4, v10
	v_mad_u64_u32 v[15:16], s[2:3], s37, v11, v[15:16]
	v_lshlrev_b64 v[14:15], 4, v[14:15]
	v_add_co_u32_e32 v11, vcc, v12, v14
	v_addc_co_u32_e32 v12, vcc, v13, v15, vcc
	flat_load_dwordx4 v[11:14], v[11:12]
	s_waitcnt vmcnt(0) lgkmcnt(0)
	v_xor_b32_e32 v12, 0x80000000, v12
	ds_write_b128 v10, v[11:14]
.LBB177_34:
	s_or_b64 exec, exec, s[0:1]
.LBB177_35:
	v_cndmask_b32_e64 v10, 0, 1, s[10:11]
	v_cmp_ne_u32_e64 s[42:43], 1, v10
	s_andn2_b64 vcc, exec, s[10:11]
	s_waitcnt vmcnt(0) lgkmcnt(0)
	s_barrier
	s_cbranch_vccnz .LBB177_459
; %bb.36:
	v_or_b32_e32 v10, v0, v1
	s_mov_b32 s8, 0
	v_cmp_eq_u32_e32 vcc, 0, v10
	s_and_saveexec_b64 s[2:3], vcc
	s_cbranch_execz .LBB177_38
; %bb.37:
	v_mov_b32_e32 v18, 0
	ds_read_b128 v[10:13], v18 offset:16
	s_mov_b32 s11, s8
	s_mov_b32 s9, 0x3ff00000
	s_mov_b32 s10, s8
	v_mov_b32_e32 v17, s11
	v_mov_b32_e32 v16, s10
	v_mov_b32_e32 v15, s9
	v_mov_b32_e32 v14, s8
	ds_write_b128 v18, v[14:17]
	ds_write_b128 v18, v[14:17] offset:528
	s_waitcnt lgkmcnt(2)
	ds_write_b128 v18, v[10:13] offset:512
.LBB177_38:
	s_or_b64 exec, exec, s[2:3]
	v_and_b32_e32 v17, 1, v0
	v_lshrrev_b32_e32 v16, 1, v22
	v_lshlrev_b32_e32 v14, 4, v17
	v_mov_b32_e32 v12, 0
	v_mov_b32_e32 v10, 0
	v_cmp_lt_u32_e64 s[8:9], 3, v22
	v_cmp_gt_u32_e64 s[2:3], 4, v22
	v_mov_b32_e32 v13, 0
	v_mov_b32_e32 v11, 0
	v_lshl_or_b32 v14, v16, 9, v14
	s_waitcnt lgkmcnt(0)
	s_barrier
	s_and_saveexec_b64 s[12:13], s[2:3]
	s_cbranch_execz .LBB177_42
; %bb.39:
	v_mul_u32_u24_e32 v10, 0x210, v16
	ds_read_b128 v[10:13], v10
	ds_read_b128 v[18:21], v14 offset:32
	v_cmp_gt_u32_e64 s[10:11], 2, v22
	s_waitcnt lgkmcnt(0)
	v_mul_f64 v[23:24], v[12:13], v[20:21]
	v_mul_f64 v[20:21], v[10:11], v[20:21]
	v_fma_f64 v[10:11], v[10:11], v[18:19], -v[23:24]
	v_fma_f64 v[12:13], v[12:13], v[18:19], v[20:21]
	v_add_f64 v[10:11], v[10:11], 0
	v_add_f64 v[12:13], v[12:13], 0
	s_and_saveexec_b64 s[14:15], s[10:11]
	s_cbranch_execz .LBB177_41
; %bb.40:
	v_mov_b32_e32 v18, 0
	v_lshlrev_b32_e32 v15, 4, v0
	ds_read_b128 v[18:21], v18 offset:16
	ds_read_b128 v[23:26], v15 offset:544
	s_waitcnt lgkmcnt(0)
	v_mul_f64 v[27:28], v[20:21], v[25:26]
	v_mul_f64 v[25:26], v[18:19], v[25:26]
	v_fma_f64 v[18:19], v[18:19], v[23:24], -v[27:28]
	v_fma_f64 v[20:21], v[20:21], v[23:24], v[25:26]
	v_add_f64 v[10:11], v[10:11], v[18:19]
	v_add_f64 v[12:13], v[12:13], v[20:21]
.LBB177_41:
	s_or_b64 exec, exec, s[14:15]
	v_xor_b32_e32 v11, 0x80000000, v11
	v_xor_b32_e32 v13, 0x80000000, v13
.LBB177_42:
                                        ; implicit-def: $vgpr43 : SGPR spill to VGPR lane
	v_writelane_b32 v43, s42, 0
	v_writelane_b32 v43, s43, 1
	s_or_b64 exec, exec, s[12:13]
	v_mov_b32_e32 v15, 0x4000
	v_cmp_eq_u32_e64 s[10:11], 0, v17
	s_xor_b64 s[12:13], s[8:9], -1
	v_lshl_add_u32 v15, v16, 4, v15
	s_and_b64 s[42:43], s[10:11], s[12:13]
	s_and_saveexec_b64 s[8:9], s[42:43]
; %bb.43:
	ds_write_b128 v15, v[10:13]
; %bb.44:
	s_or_b64 exec, exec, s[8:9]
	v_cmp_ne_u32_e64 s[8:9], 0, v17
	s_and_b64 s[40:41], s[8:9], s[12:13]
	s_waitcnt lgkmcnt(0)
	s_barrier
	s_and_saveexec_b64 s[8:9], s[40:41]
	s_cbranch_execz .LBB177_46
; %bb.45:
	v_mov_b32_e32 v21, 0
	ds_read_b128 v[17:20], v15
	ds_read_b128 v[23:26], v21 offset:1072
	s_waitcnt lgkmcnt(0)
	v_mul_f64 v[27:28], v[19:20], v[25:26]
	v_mul_f64 v[25:26], v[17:18], v[25:26]
	v_fma_f64 v[17:18], v[17:18], v[23:24], -v[27:28]
	v_fma_f64 v[19:20], v[19:20], v[23:24], v[25:26]
	v_add_f64 v[10:11], v[10:11], v[17:18]
	v_add_f64 v[12:13], v[12:13], v[19:20]
.LBB177_46:
	s_or_b64 exec, exec, s[8:9]
	s_barrier
	s_and_saveexec_b64 s[8:9], s[40:41]
; %bb.47:
	ds_write_b128 v15, v[10:13]
; %bb.48:
	s_or_b64 exec, exec, s[8:9]
	s_waitcnt lgkmcnt(0)
	s_barrier
	s_barrier
	s_and_saveexec_b64 s[8:9], s[2:3]
; %bb.49:
	v_xor_b32_e32 v11, 0x80000000, v11
	v_xor_b32_e32 v13, 0x80000000, v13
	ds_write_b128 v14, v[10:13] offset:32
; %bb.50:
	s_or_b64 exec, exec, s[8:9]
	v_cmp_eq_u32_e64 s[10:11], 0, v1
	v_cmp_gt_u32_e64 s[8:9], 2, v0
	s_and_b64 s[44:45], s[10:11], s[8:9]
	s_waitcnt lgkmcnt(0)
	s_barrier
	s_barrier
	s_and_saveexec_b64 s[8:9], s[44:45]
	s_cbranch_execz .LBB177_52
; %bb.51:
	v_lshlrev_b32_e32 v17, 9, v0
	ds_read_b128 v[10:13], v17 offset:32
	s_movk_i32 s0, 0xfe10
	v_mad_i32_i24 v18, v0, s0, v17
	s_waitcnt lgkmcnt(0)
	ds_write_b128 v18, v[10:13] offset:1024
	ds_read_b128 v[10:13], v17 offset:48
	s_waitcnt lgkmcnt(0)
	ds_write_b128 v18, v[10:13] offset:1536
.LBB177_52:
	s_or_b64 exec, exec, s[8:9]
	s_waitcnt lgkmcnt(0)
	s_barrier
	s_and_saveexec_b64 s[8:9], vcc
	s_cbranch_execz .LBB177_54
; %bb.53:
	s_mov_b32 s12, 0
	v_mov_b32_e32 v21, 0
	ds_read_b128 v[10:13], v21 offset:1072
	s_mov_b32 s15, s12
	s_mov_b32 s13, 0x3ff00000
	;; [unrolled: 1-line block ×3, first 2 shown]
	v_mov_b32_e32 v20, s15
	v_mov_b32_e32 v19, s14
	;; [unrolled: 1-line block ×4, first 2 shown]
	ds_write_b128 v21, v[17:20] offset:1056
	ds_write_b128 v21, v[17:20] offset:1584
	s_waitcnt lgkmcnt(2)
	ds_write_b128 v21, v[10:13] offset:1568
.LBB177_54:
	s_or_b64 exec, exec, s[8:9]
	v_and_b32_e32 v20, 3, v0
	v_lshrrev_b32_e32 v21, 2, v22
	v_lshlrev_b32_e32 v18, 4, v20
	v_mov_b32_e32 v12, 0
	v_mov_b32_e32 v10, 0
	v_cmp_lt_u32_e64 s[8:9], 15, v22
	v_cmp_gt_u32_e64 s[16:17], 16, v22
	v_mov_b32_e32 v13, 0
	v_mov_b32_e32 v11, 0
	v_lshl_or_b32 v17, v21, 9, v18
	s_waitcnt lgkmcnt(0)
	s_barrier
	s_and_saveexec_b64 s[14:15], s[16:17]
	s_cbranch_execz .LBB177_60
; %bb.55:
	v_mul_u32_u24_e32 v19, 0x210, v21
	ds_read_b128 v[10:13], v19
	ds_read_b128 v[23:26], v17 offset:64
	v_cmp_gt_u32_e64 s[12:13], 12, v22
	s_waitcnt lgkmcnt(0)
	v_mul_f64 v[27:28], v[12:13], v[25:26]
	v_mul_f64 v[25:26], v[10:11], v[25:26]
	v_fma_f64 v[10:11], v[10:11], v[23:24], -v[27:28]
	v_fma_f64 v[12:13], v[12:13], v[23:24], v[25:26]
	v_add_f64 v[10:11], v[10:11], 0
	v_add_f64 v[12:13], v[12:13], 0
	s_and_saveexec_b64 s[18:19], s[12:13]
	s_cbranch_execnz .LBB177_517
; %bb.56:
	s_or_b64 exec, exec, s[18:19]
	v_cmp_gt_u32_e64 s[12:13], 8, v22
	s_and_saveexec_b64 s[18:19], s[12:13]
	s_cbranch_execnz .LBB177_518
.LBB177_57:
	s_or_b64 exec, exec, s[18:19]
	v_cmp_gt_u32_e64 s[12:13], 4, v22
	s_and_saveexec_b64 s[18:19], s[12:13]
	s_cbranch_execz .LBB177_59
.LBB177_58:
	v_mov_b32_e32 v23, 0
	v_lshlrev_b32_e32 v19, 4, v0
	ds_read_b128 v[23:26], v23 offset:48
	ds_read_b128 v[27:30], v19 offset:1600
	s_waitcnt lgkmcnt(0)
	v_mul_f64 v[31:32], v[25:26], v[29:30]
	v_mul_f64 v[29:30], v[23:24], v[29:30]
	v_fma_f64 v[23:24], v[23:24], v[27:28], -v[31:32]
	v_fma_f64 v[25:26], v[25:26], v[27:28], v[29:30]
	v_add_f64 v[10:11], v[10:11], v[23:24]
	v_add_f64 v[12:13], v[12:13], v[25:26]
.LBB177_59:
	s_or_b64 exec, exec, s[18:19]
	v_xor_b32_e32 v11, 0x80000000, v11
	v_xor_b32_e32 v13, 0x80000000, v13
.LBB177_60:
	s_or_b64 exec, exec, s[14:15]
	v_mov_b32_e32 v19, 0x4000
	v_cmp_eq_u32_e64 s[12:13], 0, v20
	s_xor_b64 s[14:15], s[8:9], -1
	v_lshl_add_u32 v19, v21, 4, v19
	s_and_b64 s[48:49], s[12:13], s[14:15]
	s_and_saveexec_b64 s[8:9], s[48:49]
; %bb.61:
	ds_write_b128 v19, v[10:13]
; %bb.62:
	s_or_b64 exec, exec, s[8:9]
	v_cmp_ne_u32_e64 s[8:9], 0, v20
	s_and_b64 s[50:51], s[8:9], s[14:15]
	s_waitcnt lgkmcnt(0)
	s_barrier
	s_and_saveexec_b64 s[8:9], s[50:51]
	s_cbranch_execz .LBB177_64
; %bb.63:
	ds_read_b128 v[23:26], v19
	ds_read_b128 v[27:30], v18 offset:2112
	s_waitcnt lgkmcnt(0)
	v_mul_f64 v[31:32], v[25:26], v[29:30]
	v_mul_f64 v[29:30], v[23:24], v[29:30]
	v_fma_f64 v[23:24], v[23:24], v[27:28], -v[31:32]
	v_fma_f64 v[25:26], v[25:26], v[27:28], v[29:30]
	v_add_f64 v[10:11], v[10:11], v[23:24]
	v_add_f64 v[12:13], v[12:13], v[25:26]
.LBB177_64:
	s_or_b64 exec, exec, s[8:9]
	v_cmp_eq_u32_e64 s[8:9], 1, v20
	s_and_b64 s[52:53], s[8:9], s[14:15]
	s_barrier
	s_and_saveexec_b64 s[8:9], s[52:53]
; %bb.65:
	ds_write_b128 v19, v[10:13]
; %bb.66:
	s_or_b64 exec, exec, s[8:9]
	v_cmp_lt_u32_e64 s[8:9], 1, v20
	s_and_b64 s[54:55], s[8:9], s[14:15]
	s_waitcnt lgkmcnt(0)
	s_barrier
	s_and_saveexec_b64 s[8:9], s[54:55]
	s_cbranch_execz .LBB177_68
; %bb.67:
	ds_read_b128 v[23:26], v19
	ds_read_b128 v[27:30], v18 offset:2624
	s_waitcnt lgkmcnt(0)
	v_mul_f64 v[31:32], v[25:26], v[29:30]
	v_mul_f64 v[29:30], v[23:24], v[29:30]
	v_fma_f64 v[23:24], v[23:24], v[27:28], -v[31:32]
	v_fma_f64 v[25:26], v[25:26], v[27:28], v[29:30]
	v_add_f64 v[10:11], v[10:11], v[23:24]
	v_add_f64 v[12:13], v[12:13], v[25:26]
.LBB177_68:
	s_or_b64 exec, exec, s[8:9]
	v_cmp_eq_u32_e64 s[8:9], 2, v20
	s_and_b64 s[56:57], s[8:9], s[14:15]
	s_barrier
	s_and_saveexec_b64 s[8:9], s[56:57]
; %bb.69:
	ds_write_b128 v19, v[10:13]
; %bb.70:
	s_or_b64 exec, exec, s[8:9]
	v_cmp_eq_u32_e64 s[8:9], 3, v20
	s_and_b64 s[46:47], s[8:9], s[14:15]
	s_waitcnt lgkmcnt(0)
	s_barrier
	s_and_saveexec_b64 s[8:9], s[46:47]
	s_cbranch_execz .LBB177_72
; %bb.71:
	v_mov_b32_e32 v27, 0
	ds_read_b128 v[23:26], v19
	ds_read_b128 v[27:30], v27 offset:3184
	s_waitcnt lgkmcnt(0)
	v_mul_f64 v[31:32], v[25:26], v[29:30]
	v_mul_f64 v[29:30], v[23:24], v[29:30]
	v_fma_f64 v[23:24], v[23:24], v[27:28], -v[31:32]
	v_fma_f64 v[25:26], v[25:26], v[27:28], v[29:30]
	v_add_f64 v[10:11], v[10:11], v[23:24]
	v_add_f64 v[12:13], v[12:13], v[25:26]
.LBB177_72:
	s_or_b64 exec, exec, s[8:9]
	s_barrier
	s_and_saveexec_b64 s[8:9], s[46:47]
; %bb.73:
	ds_write_b128 v19, v[10:13]
; %bb.74:
	s_or_b64 exec, exec, s[8:9]
	s_waitcnt lgkmcnt(0)
	s_barrier
	s_barrier
	s_and_saveexec_b64 s[8:9], s[16:17]
; %bb.75:
	v_xor_b32_e32 v13, 0x80000000, v13
	v_xor_b32_e32 v11, 0x80000000, v11
	ds_write_b128 v17, v[10:13] offset:64
; %bb.76:
	s_or_b64 exec, exec, s[8:9]
	v_cmp_gt_u32_e64 s[8:9], 4, v0
	s_and_b64 s[58:59], s[10:11], s[8:9]
	s_waitcnt lgkmcnt(0)
	s_barrier
	s_barrier
	s_and_saveexec_b64 s[8:9], s[58:59]
	s_cbranch_execz .LBB177_78
; %bb.77:
	v_lshlrev_b32_e32 v23, 4, v0
	s_movk_i32 s0, 0x1f0
	v_mad_u32_u24 v24, v0, s0, v23
	ds_read_b128 v[10:13], v24 offset:64
	s_waitcnt lgkmcnt(0)
	ds_write_b128 v23, v[10:13] offset:2048
	ds_read_b128 v[10:13], v24 offset:80
	s_waitcnt lgkmcnt(0)
	ds_write_b128 v23, v[10:13] offset:2560
	;; [unrolled: 3-line block ×4, first 2 shown]
.LBB177_78:
	s_or_b64 exec, exec, s[8:9]
	s_waitcnt lgkmcnt(0)
	s_barrier
	s_and_saveexec_b64 s[8:9], vcc
	s_cbranch_execz .LBB177_80
; %bb.79:
	s_mov_b32 s12, 0
	v_mov_b32_e32 v27, 0
	ds_read_b128 v[10:13], v27 offset:2128
	s_mov_b32 s15, s12
	s_mov_b32 s13, 0x3ff00000
	;; [unrolled: 1-line block ×3, first 2 shown]
	v_mov_b32_e32 v26, s15
	v_mov_b32_e32 v25, s14
	;; [unrolled: 1-line block ×4, first 2 shown]
	ds_write_b128 v27, v[23:26] offset:2112
	ds_write_b128 v27, v[23:26] offset:2640
	s_waitcnt lgkmcnt(2)
	ds_write_b128 v27, v[10:13] offset:2624
.LBB177_80:
	s_or_b64 exec, exec, s[8:9]
	v_mov_b32_e32 v12, 0
	v_mov_b32_e32 v10, 0
	v_mov_b32_e32 v13, 0
	v_mov_b32_e32 v11, 0
	s_waitcnt lgkmcnt(0)
	s_barrier
	s_and_saveexec_b64 s[12:13], s[2:3]
	s_cbranch_execz .LBB177_84
; %bb.81:
	v_mul_u32_u24_e32 v10, 0x210, v16
	ds_read_b128 v[10:13], v10 offset:2112
	ds_read_b128 v[23:26], v14 offset:2144
	v_cmp_gt_u32_e64 s[8:9], 2, v22
	s_waitcnt lgkmcnt(0)
	v_mul_f64 v[27:28], v[12:13], v[25:26]
	v_mul_f64 v[25:26], v[10:11], v[25:26]
	v_fma_f64 v[10:11], v[10:11], v[23:24], -v[27:28]
	v_fma_f64 v[12:13], v[12:13], v[23:24], v[25:26]
	v_add_f64 v[10:11], v[10:11], 0
	v_add_f64 v[12:13], v[12:13], 0
	s_and_saveexec_b64 s[14:15], s[8:9]
	s_cbranch_execz .LBB177_83
; %bb.82:
	v_lshlrev_b32_e32 v27, 4, v0
	v_mov_b32_e32 v23, 0
	ds_read_b128 v[23:26], v23 offset:2128
	ds_read_b128 v[27:30], v27 offset:2656
	s_waitcnt lgkmcnt(0)
	v_mul_f64 v[31:32], v[25:26], v[29:30]
	v_mul_f64 v[29:30], v[23:24], v[29:30]
	v_fma_f64 v[23:24], v[23:24], v[27:28], -v[31:32]
	v_fma_f64 v[25:26], v[25:26], v[27:28], v[29:30]
	v_add_f64 v[10:11], v[10:11], v[23:24]
	v_add_f64 v[12:13], v[12:13], v[25:26]
.LBB177_83:
	s_or_b64 exec, exec, s[14:15]
	v_xor_b32_e32 v11, 0x80000000, v11
	v_xor_b32_e32 v13, 0x80000000, v13
.LBB177_84:
	s_or_b64 exec, exec, s[12:13]
	s_and_saveexec_b64 s[8:9], s[42:43]
; %bb.85:
	ds_write_b128 v15, v[10:13]
; %bb.86:
	s_or_b64 exec, exec, s[8:9]
	s_waitcnt lgkmcnt(0)
	s_barrier
	s_and_saveexec_b64 s[8:9], s[40:41]
	s_cbranch_execz .LBB177_88
; %bb.87:
	v_mov_b32_e32 v27, 0
	ds_read_b128 v[23:26], v15
	ds_read_b128 v[27:30], v27 offset:3184
	s_waitcnt lgkmcnt(0)
	v_mul_f64 v[31:32], v[25:26], v[29:30]
	v_mul_f64 v[29:30], v[23:24], v[29:30]
	v_fma_f64 v[23:24], v[23:24], v[27:28], -v[31:32]
	v_fma_f64 v[25:26], v[25:26], v[27:28], v[29:30]
	v_add_f64 v[10:11], v[10:11], v[23:24]
	v_add_f64 v[12:13], v[12:13], v[25:26]
.LBB177_88:
	s_or_b64 exec, exec, s[8:9]
	s_barrier
	s_and_saveexec_b64 s[8:9], s[40:41]
; %bb.89:
	ds_write_b128 v15, v[10:13]
; %bb.90:
	s_or_b64 exec, exec, s[8:9]
	s_waitcnt lgkmcnt(0)
	s_barrier
	s_barrier
	s_and_saveexec_b64 s[8:9], s[2:3]
; %bb.91:
	v_xor_b32_e32 v11, 0x80000000, v11
	v_xor_b32_e32 v13, 0x80000000, v13
	ds_write_b128 v14, v[10:13] offset:2144
; %bb.92:
	s_or_b64 exec, exec, s[8:9]
	s_waitcnt lgkmcnt(0)
	s_barrier
	s_barrier
	s_and_saveexec_b64 s[8:9], s[44:45]
	s_cbranch_execz .LBB177_94
; %bb.93:
	v_lshlrev_b32_e32 v23, 9, v0
	ds_read_b128 v[10:13], v23 offset:2144
	s_movk_i32 s0, 0xfe10
	v_mad_i32_i24 v24, v0, s0, v23
	s_waitcnt lgkmcnt(0)
	ds_write_b128 v24, v[10:13] offset:3136
	ds_read_b128 v[10:13], v23 offset:2160
	s_waitcnt lgkmcnt(0)
	ds_write_b128 v24, v[10:13] offset:3648
.LBB177_94:
	s_or_b64 exec, exec, s[8:9]
	s_waitcnt lgkmcnt(0)
	s_barrier
	s_and_saveexec_b64 s[8:9], vcc
	s_cbranch_execz .LBB177_96
; %bb.95:
	s_mov_b32 s12, 0
	v_mov_b32_e32 v27, 0
	ds_read_b128 v[10:13], v27 offset:3184
	s_mov_b32 s15, s12
	s_mov_b32 s13, 0x3ff00000
	;; [unrolled: 1-line block ×3, first 2 shown]
	v_mov_b32_e32 v26, s15
	v_mov_b32_e32 v25, s14
	;; [unrolled: 1-line block ×4, first 2 shown]
	ds_write_b128 v27, v[23:26] offset:3168
	ds_write_b128 v27, v[23:26] offset:3696
	s_waitcnt lgkmcnt(2)
	ds_write_b128 v27, v[10:13] offset:3680
.LBB177_96:
	s_or_b64 exec, exec, s[8:9]
	v_and_b32_e32 v26, 7, v0
	v_lshrrev_b32_e32 v27, 3, v22
	v_lshlrev_b32_e32 v24, 4, v26
	v_mov_b32_e32 v12, 0
	v_mov_b32_e32 v10, 0
	v_cmp_lt_u32_e64 s[12:13], 63, v22
	v_cmp_gt_u32_e64 s[8:9], 64, v22
	v_mov_b32_e32 v13, 0
	v_mov_b32_e32 v11, 0
	v_lshl_or_b32 v23, v27, 9, v24
	s_waitcnt lgkmcnt(0)
	s_barrier
	s_and_saveexec_b64 s[18:19], s[8:9]
	s_cbranch_execz .LBB177_106
; %bb.97:
	v_mul_u32_u24_e32 v25, 0x210, v27
	ds_read_b128 v[10:13], v25
	ds_read_b128 v[28:31], v23 offset:128
	v_cmp_gt_u32_e64 s[14:15], 56, v22
	s_waitcnt lgkmcnt(0)
	v_mul_f64 v[32:33], v[12:13], v[30:31]
	v_mul_f64 v[30:31], v[10:11], v[30:31]
	v_fma_f64 v[10:11], v[10:11], v[28:29], -v[32:33]
	v_fma_f64 v[12:13], v[12:13], v[28:29], v[30:31]
	v_add_f64 v[10:11], v[10:11], 0
	v_add_f64 v[12:13], v[12:13], 0
	s_and_saveexec_b64 s[60:61], s[14:15]
	s_cbranch_execnz .LBB177_519
; %bb.98:
	s_or_b64 exec, exec, s[60:61]
	v_cmp_gt_u32_e64 s[14:15], 48, v22
	s_and_saveexec_b64 s[60:61], s[14:15]
	s_cbranch_execnz .LBB177_520
.LBB177_99:
	s_or_b64 exec, exec, s[60:61]
	v_cmp_gt_u32_e64 s[14:15], 40, v22
	s_and_saveexec_b64 s[60:61], s[14:15]
	s_cbranch_execnz .LBB177_521
.LBB177_100:
	s_or_b64 exec, exec, s[60:61]
	v_cmp_gt_u32_e64 s[14:15], 32, v22
	s_and_saveexec_b64 s[60:61], s[14:15]
	s_cbranch_execnz .LBB177_522
.LBB177_101:
	s_or_b64 exec, exec, s[60:61]
	v_cmp_gt_u32_e64 s[14:15], 24, v22
	s_and_saveexec_b64 s[60:61], s[14:15]
	s_cbranch_execnz .LBB177_523
.LBB177_102:
	s_or_b64 exec, exec, s[60:61]
	v_cmp_gt_u32_e64 s[14:15], 16, v22
	s_and_saveexec_b64 s[60:61], s[14:15]
	s_cbranch_execnz .LBB177_524
.LBB177_103:
	s_or_b64 exec, exec, s[60:61]
	v_cmp_gt_u32_e64 s[14:15], 8, v22
	s_and_saveexec_b64 s[60:61], s[14:15]
	s_cbranch_execz .LBB177_105
.LBB177_104:
	v_mov_b32_e32 v28, 0
	v_lshlrev_b32_e32 v25, 4, v0
	ds_read_b128 v[28:31], v28 offset:112
	ds_read_b128 v[32:35], v25 offset:3712
	s_waitcnt lgkmcnt(0)
	v_mul_f64 v[36:37], v[30:31], v[34:35]
	v_mul_f64 v[34:35], v[28:29], v[34:35]
	v_fma_f64 v[28:29], v[28:29], v[32:33], -v[36:37]
	v_fma_f64 v[30:31], v[30:31], v[32:33], v[34:35]
	v_add_f64 v[10:11], v[10:11], v[28:29]
	v_add_f64 v[12:13], v[12:13], v[30:31]
.LBB177_105:
	s_or_b64 exec, exec, s[60:61]
	v_xor_b32_e32 v11, 0x80000000, v11
	v_xor_b32_e32 v13, 0x80000000, v13
.LBB177_106:
	s_or_b64 exec, exec, s[18:19]
	v_mov_b32_e32 v25, 0x4000
	v_lshl_add_u32 v25, v27, 4, v25
	v_cmp_eq_u32_e64 s[14:15], 0, v26
	s_xor_b64 s[18:19], s[12:13], -1
	s_and_b64 s[0:1], s[14:15], s[18:19]
	s_mov_b64 s[12:13], exec
	v_writelane_b32 v43, s0, 2
	v_writelane_b32 v43, s1, 3
	s_and_b64 s[0:1], s[12:13], s[0:1]
	s_mov_b64 exec, s[0:1]
; %bb.107:
	ds_write_b128 v25, v[10:13]
; %bb.108:
	s_or_b64 exec, exec, s[12:13]
	v_cmp_ne_u32_e64 s[12:13], 0, v26
	s_waitcnt lgkmcnt(0)
	s_barrier
	s_and_b64 s[0:1], s[12:13], s[18:19]
	s_mov_b64 s[12:13], exec
	v_writelane_b32 v43, s0, 4
	v_writelane_b32 v43, s1, 5
	s_and_b64 s[0:1], s[12:13], s[0:1]
	s_mov_b64 exec, s[0:1]
	s_cbranch_execz .LBB177_110
; %bb.109:
	ds_read_b128 v[28:31], v25
	ds_read_b128 v[32:35], v24 offset:4224
	s_waitcnt lgkmcnt(0)
	v_mul_f64 v[36:37], v[30:31], v[34:35]
	v_mul_f64 v[34:35], v[28:29], v[34:35]
	v_fma_f64 v[28:29], v[28:29], v[32:33], -v[36:37]
	v_fma_f64 v[30:31], v[30:31], v[32:33], v[34:35]
	v_add_f64 v[10:11], v[10:11], v[28:29]
	v_add_f64 v[12:13], v[12:13], v[30:31]
.LBB177_110:
	s_or_b64 exec, exec, s[12:13]
	v_cmp_eq_u32_e64 s[12:13], 1, v26
	s_and_b64 s[0:1], s[12:13], s[18:19]
	s_barrier
	s_and_saveexec_b64 s[12:13], s[0:1]
; %bb.111:
	ds_write_b128 v25, v[10:13]
; %bb.112:
	s_or_b64 exec, exec, s[12:13]
	v_cmp_lt_u32_e64 s[12:13], 1, v26
	s_and_b64 s[68:69], s[12:13], s[18:19]
	s_waitcnt lgkmcnt(0)
	s_barrier
	s_and_saveexec_b64 s[12:13], s[68:69]
	s_cbranch_execz .LBB177_114
; %bb.113:
	ds_read_b128 v[28:31], v25
	ds_read_b128 v[32:35], v24 offset:4736
	s_waitcnt lgkmcnt(0)
	v_mul_f64 v[36:37], v[30:31], v[34:35]
	v_mul_f64 v[34:35], v[28:29], v[34:35]
	v_fma_f64 v[28:29], v[28:29], v[32:33], -v[36:37]
	v_fma_f64 v[30:31], v[30:31], v[32:33], v[34:35]
	v_add_f64 v[10:11], v[10:11], v[28:29]
	v_add_f64 v[12:13], v[12:13], v[30:31]
.LBB177_114:
	s_or_b64 exec, exec, s[12:13]
	v_cmp_eq_u32_e64 s[12:13], 2, v26
	s_and_b64 s[70:71], s[12:13], s[18:19]
	s_barrier
	s_and_saveexec_b64 s[12:13], s[70:71]
; %bb.115:
	ds_write_b128 v25, v[10:13]
; %bb.116:
	s_or_b64 exec, exec, s[12:13]
	v_cmp_lt_u32_e64 s[12:13], 2, v26
	s_and_b64 s[72:73], s[12:13], s[18:19]
	s_waitcnt lgkmcnt(0)
	s_barrier
	s_and_saveexec_b64 s[12:13], s[72:73]
	;; [unrolled: 26-line block ×5, first 2 shown]
	s_cbranch_execz .LBB177_130
; %bb.129:
	ds_read_b128 v[28:31], v25
	ds_read_b128 v[32:35], v24 offset:6784
	s_waitcnt lgkmcnt(0)
	v_mul_f64 v[36:37], v[30:31], v[34:35]
	v_mul_f64 v[34:35], v[28:29], v[34:35]
	v_fma_f64 v[28:29], v[28:29], v[32:33], -v[36:37]
	v_fma_f64 v[30:31], v[30:31], v[32:33], v[34:35]
	v_add_f64 v[10:11], v[10:11], v[28:29]
	v_add_f64 v[12:13], v[12:13], v[30:31]
.LBB177_130:
	s_or_b64 exec, exec, s[12:13]
	v_cmp_eq_u32_e64 s[12:13], 6, v26
	s_and_b64 s[86:87], s[12:13], s[18:19]
	s_barrier
	s_and_saveexec_b64 s[12:13], s[86:87]
; %bb.131:
	ds_write_b128 v25, v[10:13]
; %bb.132:
	s_or_b64 exec, exec, s[12:13]
	v_cmp_eq_u32_e64 s[12:13], 7, v26
	s_and_b64 s[60:61], s[12:13], s[18:19]
	s_waitcnt lgkmcnt(0)
	s_barrier
	s_and_saveexec_b64 s[12:13], s[60:61]
	s_cbranch_execz .LBB177_134
; %bb.133:
	v_mov_b32_e32 v32, 0
	ds_read_b128 v[28:31], v25
	ds_read_b128 v[32:35], v32 offset:7408
	s_waitcnt lgkmcnt(0)
	v_mul_f64 v[36:37], v[30:31], v[34:35]
	v_mul_f64 v[34:35], v[28:29], v[34:35]
	v_fma_f64 v[28:29], v[28:29], v[32:33], -v[36:37]
	v_fma_f64 v[30:31], v[30:31], v[32:33], v[34:35]
	v_add_f64 v[10:11], v[10:11], v[28:29]
	v_add_f64 v[12:13], v[12:13], v[30:31]
.LBB177_134:
	s_or_b64 exec, exec, s[12:13]
	s_barrier
	s_and_saveexec_b64 s[12:13], s[60:61]
; %bb.135:
	ds_write_b128 v25, v[10:13]
; %bb.136:
	s_or_b64 exec, exec, s[12:13]
	s_waitcnt lgkmcnt(0)
	s_barrier
	s_barrier
	s_and_saveexec_b64 s[12:13], s[8:9]
; %bb.137:
	v_xor_b32_e32 v11, 0x80000000, v11
	v_xor_b32_e32 v13, 0x80000000, v13
	ds_write_b128 v23, v[10:13] offset:128
; %bb.138:
	s_or_b64 exec, exec, s[12:13]
	v_cmp_gt_u32_e64 s[12:13], 8, v0
	s_and_b64 s[88:89], s[10:11], s[12:13]
	s_waitcnt lgkmcnt(0)
	s_barrier
	s_barrier
	s_and_saveexec_b64 s[12:13], s[88:89]
	s_cbranch_execz .LBB177_140
; %bb.139:
	v_lshlrev_b32_e32 v28, 9, v0
	ds_read_b128 v[10:13], v28 offset:128
	s_movk_i32 s14, 0xfe10
	v_mad_i32_i24 v29, v0, s14, v28
	s_waitcnt lgkmcnt(0)
	ds_write_b128 v29, v[10:13] offset:4096
	ds_read_b128 v[10:13], v28 offset:144
	s_waitcnt lgkmcnt(0)
	ds_write_b128 v29, v[10:13] offset:4608
	ds_read_b128 v[10:13], v28 offset:160
	;; [unrolled: 3-line block ×7, first 2 shown]
	s_waitcnt lgkmcnt(0)
	ds_write_b128 v29, v[10:13] offset:7680
.LBB177_140:
	s_or_b64 exec, exec, s[12:13]
	s_waitcnt lgkmcnt(0)
	s_barrier
	s_and_saveexec_b64 s[12:13], vcc
	s_cbranch_execz .LBB177_142
; %bb.141:
	v_mov_b32_e32 v32, 0
	s_mov_b32 s64, 0
	ds_read_b128 v[10:13], v32 offset:4240
	s_mov_b32 s65, 0x3ff00000
	s_mov_b32 s66, s64
	;; [unrolled: 1-line block ×3, first 2 shown]
	v_mov_b32_e32 v28, s64
	v_mov_b32_e32 v29, s65
	;; [unrolled: 1-line block ×4, first 2 shown]
	ds_write_b128 v32, v[28:31] offset:4224
	ds_write_b128 v32, v[28:31] offset:4752
	s_waitcnt lgkmcnt(2)
	ds_write_b128 v32, v[10:13] offset:4736
.LBB177_142:
	s_or_b64 exec, exec, s[12:13]
	v_mov_b32_e32 v12, 0
	v_mov_b32_e32 v10, 0
	;; [unrolled: 1-line block ×4, first 2 shown]
	s_waitcnt lgkmcnt(0)
	s_barrier
	s_and_saveexec_b64 s[14:15], s[2:3]
	s_cbranch_execz .LBB177_146
; %bb.143:
	v_mul_u32_u24_e32 v10, 0x210, v16
	ds_read_b128 v[10:13], v10 offset:4224
	ds_read_b128 v[28:31], v14 offset:4256
	v_cmp_gt_u32_e64 s[12:13], 2, v22
	s_waitcnt lgkmcnt(0)
	v_mul_f64 v[32:33], v[12:13], v[30:31]
	v_mul_f64 v[30:31], v[10:11], v[30:31]
	v_fma_f64 v[10:11], v[10:11], v[28:29], -v[32:33]
	v_fma_f64 v[12:13], v[12:13], v[28:29], v[30:31]
	v_add_f64 v[10:11], v[10:11], 0
	v_add_f64 v[12:13], v[12:13], 0
	s_and_saveexec_b64 s[18:19], s[12:13]
	s_cbranch_execz .LBB177_145
; %bb.144:
	v_lshlrev_b32_e32 v32, 4, v0
	v_mov_b32_e32 v28, 0
	ds_read_b128 v[28:31], v28 offset:4240
	ds_read_b128 v[32:35], v32 offset:4768
	s_waitcnt lgkmcnt(0)
	v_mul_f64 v[36:37], v[30:31], v[34:35]
	v_mul_f64 v[34:35], v[28:29], v[34:35]
	v_fma_f64 v[28:29], v[28:29], v[32:33], -v[36:37]
	v_fma_f64 v[30:31], v[30:31], v[32:33], v[34:35]
	v_add_f64 v[10:11], v[10:11], v[28:29]
	v_add_f64 v[12:13], v[12:13], v[30:31]
.LBB177_145:
	s_or_b64 exec, exec, s[18:19]
	v_xor_b32_e32 v11, 0x80000000, v11
	v_xor_b32_e32 v13, 0x80000000, v13
.LBB177_146:
	s_or_b64 exec, exec, s[14:15]
	s_and_saveexec_b64 s[12:13], s[42:43]
; %bb.147:
	ds_write_b128 v15, v[10:13]
; %bb.148:
	s_or_b64 exec, exec, s[12:13]
	s_waitcnt lgkmcnt(0)
	s_barrier
	s_and_saveexec_b64 s[12:13], s[40:41]
	s_cbranch_execz .LBB177_150
; %bb.149:
	v_mov_b32_e32 v32, 0
	ds_read_b128 v[28:31], v15
	ds_read_b128 v[32:35], v32 offset:5296
	s_waitcnt lgkmcnt(0)
	v_mul_f64 v[36:37], v[30:31], v[34:35]
	v_mul_f64 v[34:35], v[28:29], v[34:35]
	v_fma_f64 v[28:29], v[28:29], v[32:33], -v[36:37]
	v_fma_f64 v[30:31], v[30:31], v[32:33], v[34:35]
	v_add_f64 v[10:11], v[10:11], v[28:29]
	v_add_f64 v[12:13], v[12:13], v[30:31]
.LBB177_150:
	s_or_b64 exec, exec, s[12:13]
	s_barrier
	s_and_saveexec_b64 s[12:13], s[40:41]
; %bb.151:
	ds_write_b128 v15, v[10:13]
; %bb.152:
	s_or_b64 exec, exec, s[12:13]
	s_waitcnt lgkmcnt(0)
	s_barrier
	s_barrier
	s_and_saveexec_b64 s[12:13], s[2:3]
; %bb.153:
	v_xor_b32_e32 v11, 0x80000000, v11
	v_xor_b32_e32 v13, 0x80000000, v13
	ds_write_b128 v14, v[10:13] offset:4256
; %bb.154:
	s_or_b64 exec, exec, s[12:13]
	s_waitcnt lgkmcnt(0)
	s_barrier
	s_barrier
	s_and_saveexec_b64 s[12:13], s[44:45]
	s_cbranch_execz .LBB177_156
; %bb.155:
	v_lshlrev_b32_e32 v28, 9, v0
	ds_read_b128 v[10:13], v28 offset:4256
	s_movk_i32 s14, 0xfe10
	v_mad_i32_i24 v29, v0, s14, v28
	s_waitcnt lgkmcnt(0)
	ds_write_b128 v29, v[10:13] offset:5248
	ds_read_b128 v[10:13], v28 offset:4272
	s_waitcnt lgkmcnt(0)
	ds_write_b128 v29, v[10:13] offset:5760
.LBB177_156:
	s_or_b64 exec, exec, s[12:13]
	s_waitcnt lgkmcnt(0)
	s_barrier
	s_and_saveexec_b64 s[12:13], vcc
	s_cbranch_execz .LBB177_158
; %bb.157:
	v_mov_b32_e32 v32, 0
	s_mov_b32 s64, 0
	ds_read_b128 v[10:13], v32 offset:5296
	s_mov_b32 s65, 0x3ff00000
	s_mov_b32 s66, s64
	s_mov_b32 s67, s64
	v_mov_b32_e32 v28, s64
	v_mov_b32_e32 v29, s65
	;; [unrolled: 1-line block ×4, first 2 shown]
	ds_write_b128 v32, v[28:31] offset:5280
	ds_write_b128 v32, v[28:31] offset:5808
	s_waitcnt lgkmcnt(2)
	ds_write_b128 v32, v[10:13] offset:5792
.LBB177_158:
	s_or_b64 exec, exec, s[12:13]
	v_mov_b32_e32 v12, 0
	v_mov_b32_e32 v10, 0
	;; [unrolled: 1-line block ×4, first 2 shown]
	s_waitcnt lgkmcnt(0)
	s_barrier
	s_and_saveexec_b64 s[14:15], s[16:17]
	s_cbranch_execz .LBB177_164
; %bb.159:
	v_mul_u32_u24_e32 v28, 0x210, v21
	ds_read_b128 v[10:13], v28 offset:4224
	ds_read_b128 v[29:32], v17 offset:4288
	v_cmp_gt_u32_e64 s[12:13], 12, v22
	s_waitcnt lgkmcnt(0)
	v_mul_f64 v[33:34], v[12:13], v[31:32]
	v_mul_f64 v[31:32], v[10:11], v[31:32]
	v_fma_f64 v[10:11], v[10:11], v[29:30], -v[33:34]
	v_fma_f64 v[12:13], v[12:13], v[29:30], v[31:32]
	v_add_f64 v[10:11], v[10:11], 0
	v_add_f64 v[12:13], v[12:13], 0
	s_and_saveexec_b64 s[18:19], s[12:13]
	s_cbranch_execnz .LBB177_525
; %bb.160:
	s_or_b64 exec, exec, s[18:19]
	v_cmp_gt_u32_e64 s[12:13], 8, v22
	s_and_saveexec_b64 s[18:19], s[12:13]
	s_cbranch_execnz .LBB177_526
.LBB177_161:
	s_or_b64 exec, exec, s[18:19]
	v_cmp_gt_u32_e64 s[12:13], 4, v22
	s_and_saveexec_b64 s[18:19], s[12:13]
	s_cbranch_execz .LBB177_163
.LBB177_162:
	v_lshlrev_b32_e32 v32, 4, v0
	v_mov_b32_e32 v28, 0
	ds_read_b128 v[28:31], v28 offset:4272
	ds_read_b128 v[32:35], v32 offset:5824
	s_waitcnt lgkmcnt(0)
	v_mul_f64 v[36:37], v[30:31], v[34:35]
	v_mul_f64 v[34:35], v[28:29], v[34:35]
	v_fma_f64 v[28:29], v[28:29], v[32:33], -v[36:37]
	v_fma_f64 v[30:31], v[30:31], v[32:33], v[34:35]
	v_add_f64 v[10:11], v[10:11], v[28:29]
	v_add_f64 v[12:13], v[12:13], v[30:31]
.LBB177_163:
	s_or_b64 exec, exec, s[18:19]
	v_xor_b32_e32 v11, 0x80000000, v11
	v_xor_b32_e32 v13, 0x80000000, v13
.LBB177_164:
	s_or_b64 exec, exec, s[14:15]
	s_and_saveexec_b64 s[12:13], s[48:49]
; %bb.165:
	ds_write_b128 v19, v[10:13]
; %bb.166:
	s_or_b64 exec, exec, s[12:13]
	s_waitcnt lgkmcnt(0)
	s_barrier
	s_and_saveexec_b64 s[12:13], s[50:51]
	s_cbranch_execz .LBB177_168
; %bb.167:
	ds_read_b128 v[28:31], v19
	ds_read_b128 v[32:35], v18 offset:6336
	s_waitcnt lgkmcnt(0)
	v_mul_f64 v[36:37], v[30:31], v[34:35]
	v_mul_f64 v[34:35], v[28:29], v[34:35]
	v_fma_f64 v[28:29], v[28:29], v[32:33], -v[36:37]
	v_fma_f64 v[30:31], v[30:31], v[32:33], v[34:35]
	v_add_f64 v[10:11], v[10:11], v[28:29]
	v_add_f64 v[12:13], v[12:13], v[30:31]
.LBB177_168:
	s_or_b64 exec, exec, s[12:13]
	s_barrier
	s_and_saveexec_b64 s[12:13], s[52:53]
; %bb.169:
	ds_write_b128 v19, v[10:13]
; %bb.170:
	s_or_b64 exec, exec, s[12:13]
	s_waitcnt lgkmcnt(0)
	s_barrier
	s_and_saveexec_b64 s[12:13], s[54:55]
	s_cbranch_execz .LBB177_172
; %bb.171:
	ds_read_b128 v[28:31], v19
	ds_read_b128 v[32:35], v18 offset:6848
	s_waitcnt lgkmcnt(0)
	v_mul_f64 v[36:37], v[30:31], v[34:35]
	v_mul_f64 v[34:35], v[28:29], v[34:35]
	v_fma_f64 v[28:29], v[28:29], v[32:33], -v[36:37]
	v_fma_f64 v[30:31], v[30:31], v[32:33], v[34:35]
	v_add_f64 v[10:11], v[10:11], v[28:29]
	v_add_f64 v[12:13], v[12:13], v[30:31]
.LBB177_172:
	s_or_b64 exec, exec, s[12:13]
	s_barrier
	s_and_saveexec_b64 s[12:13], s[56:57]
; %bb.173:
	ds_write_b128 v19, v[10:13]
; %bb.174:
	s_or_b64 exec, exec, s[12:13]
	s_waitcnt lgkmcnt(0)
	s_barrier
	s_and_saveexec_b64 s[12:13], s[46:47]
	s_cbranch_execz .LBB177_176
; %bb.175:
	v_mov_b32_e32 v32, 0
	ds_read_b128 v[28:31], v19
	ds_read_b128 v[32:35], v32 offset:7408
	s_waitcnt lgkmcnt(0)
	v_mul_f64 v[36:37], v[30:31], v[34:35]
	v_mul_f64 v[34:35], v[28:29], v[34:35]
	v_fma_f64 v[28:29], v[28:29], v[32:33], -v[36:37]
	v_fma_f64 v[30:31], v[30:31], v[32:33], v[34:35]
	v_add_f64 v[10:11], v[10:11], v[28:29]
	v_add_f64 v[12:13], v[12:13], v[30:31]
.LBB177_176:
	s_or_b64 exec, exec, s[12:13]
	s_barrier
	s_and_saveexec_b64 s[12:13], s[46:47]
; %bb.177:
	ds_write_b128 v19, v[10:13]
; %bb.178:
	s_or_b64 exec, exec, s[12:13]
	s_waitcnt lgkmcnt(0)
	s_barrier
	s_barrier
	s_and_saveexec_b64 s[12:13], s[16:17]
; %bb.179:
	v_xor_b32_e32 v13, 0x80000000, v13
	v_xor_b32_e32 v11, 0x80000000, v11
	ds_write_b128 v17, v[10:13] offset:4288
; %bb.180:
	s_or_b64 exec, exec, s[12:13]
	s_waitcnt lgkmcnt(0)
	s_barrier
	s_barrier
	s_and_saveexec_b64 s[12:13], s[58:59]
	s_cbranch_execz .LBB177_182
; %bb.181:
	v_lshlrev_b32_e32 v28, 4, v0
	s_movk_i32 s14, 0x1f0
	v_mad_u32_u24 v29, v0, s14, v28
	ds_read_b128 v[10:13], v29 offset:4288
	s_waitcnt lgkmcnt(0)
	ds_write_b128 v28, v[10:13] offset:6272
	ds_read_b128 v[10:13], v29 offset:4304
	s_waitcnt lgkmcnt(0)
	ds_write_b128 v28, v[10:13] offset:6784
	;; [unrolled: 3-line block ×4, first 2 shown]
.LBB177_182:
	s_or_b64 exec, exec, s[12:13]
	s_waitcnt lgkmcnt(0)
	s_barrier
	s_and_saveexec_b64 s[12:13], vcc
	s_cbranch_execz .LBB177_184
; %bb.183:
	v_mov_b32_e32 v32, 0
	s_mov_b32 s64, 0
	ds_read_b128 v[10:13], v32 offset:6352
	s_mov_b32 s65, 0x3ff00000
	s_mov_b32 s66, s64
	;; [unrolled: 1-line block ×3, first 2 shown]
	v_mov_b32_e32 v28, s64
	v_mov_b32_e32 v29, s65
	;; [unrolled: 1-line block ×4, first 2 shown]
	ds_write_b128 v32, v[28:31] offset:6336
	ds_write_b128 v32, v[28:31] offset:6864
	s_waitcnt lgkmcnt(2)
	ds_write_b128 v32, v[10:13] offset:6848
.LBB177_184:
	s_or_b64 exec, exec, s[12:13]
	v_mov_b32_e32 v12, 0
	v_mov_b32_e32 v10, 0
	;; [unrolled: 1-line block ×4, first 2 shown]
	s_waitcnt lgkmcnt(0)
	s_barrier
	s_and_saveexec_b64 s[14:15], s[2:3]
	s_cbranch_execz .LBB177_188
; %bb.185:
	v_mul_u32_u24_e32 v10, 0x210, v16
	ds_read_b128 v[10:13], v10 offset:6336
	ds_read_b128 v[28:31], v14 offset:6368
	v_cmp_gt_u32_e64 s[12:13], 2, v22
	s_waitcnt lgkmcnt(0)
	v_mul_f64 v[32:33], v[12:13], v[30:31]
	v_mul_f64 v[30:31], v[10:11], v[30:31]
	v_fma_f64 v[10:11], v[10:11], v[28:29], -v[32:33]
	v_fma_f64 v[12:13], v[12:13], v[28:29], v[30:31]
	v_add_f64 v[10:11], v[10:11], 0
	v_add_f64 v[12:13], v[12:13], 0
	s_and_saveexec_b64 s[18:19], s[12:13]
	s_cbranch_execz .LBB177_187
; %bb.186:
	v_lshlrev_b32_e32 v32, 4, v0
	v_mov_b32_e32 v28, 0
	ds_read_b128 v[28:31], v28 offset:6352
	ds_read_b128 v[32:35], v32 offset:6880
	s_waitcnt lgkmcnt(0)
	v_mul_f64 v[36:37], v[30:31], v[34:35]
	v_mul_f64 v[34:35], v[28:29], v[34:35]
	v_fma_f64 v[28:29], v[28:29], v[32:33], -v[36:37]
	v_fma_f64 v[30:31], v[30:31], v[32:33], v[34:35]
	v_add_f64 v[10:11], v[10:11], v[28:29]
	v_add_f64 v[12:13], v[12:13], v[30:31]
.LBB177_187:
	s_or_b64 exec, exec, s[18:19]
	v_xor_b32_e32 v11, 0x80000000, v11
	v_xor_b32_e32 v13, 0x80000000, v13
.LBB177_188:
	s_or_b64 exec, exec, s[14:15]
	s_and_saveexec_b64 s[12:13], s[42:43]
; %bb.189:
	ds_write_b128 v15, v[10:13]
; %bb.190:
	s_or_b64 exec, exec, s[12:13]
	s_waitcnt lgkmcnt(0)
	s_barrier
	s_and_saveexec_b64 s[12:13], s[40:41]
	s_cbranch_execz .LBB177_192
; %bb.191:
	v_mov_b32_e32 v32, 0
	ds_read_b128 v[28:31], v15
	ds_read_b128 v[32:35], v32 offset:7408
	s_waitcnt lgkmcnt(0)
	v_mul_f64 v[36:37], v[30:31], v[34:35]
	v_mul_f64 v[34:35], v[28:29], v[34:35]
	v_fma_f64 v[28:29], v[28:29], v[32:33], -v[36:37]
	v_fma_f64 v[30:31], v[30:31], v[32:33], v[34:35]
	v_add_f64 v[10:11], v[10:11], v[28:29]
	v_add_f64 v[12:13], v[12:13], v[30:31]
.LBB177_192:
	s_or_b64 exec, exec, s[12:13]
	s_barrier
	s_and_saveexec_b64 s[12:13], s[40:41]
; %bb.193:
	ds_write_b128 v15, v[10:13]
; %bb.194:
	s_or_b64 exec, exec, s[12:13]
	s_waitcnt lgkmcnt(0)
	s_barrier
	s_barrier
	s_and_saveexec_b64 s[12:13], s[2:3]
; %bb.195:
	v_xor_b32_e32 v11, 0x80000000, v11
	v_xor_b32_e32 v13, 0x80000000, v13
	ds_write_b128 v14, v[10:13] offset:6368
; %bb.196:
	s_or_b64 exec, exec, s[12:13]
	s_waitcnt lgkmcnt(0)
	s_barrier
	s_barrier
	s_and_saveexec_b64 s[12:13], s[44:45]
	s_cbranch_execz .LBB177_198
; %bb.197:
	v_lshlrev_b32_e32 v28, 9, v0
	ds_read_b128 v[10:13], v28 offset:6368
	s_movk_i32 s14, 0xfe10
	v_mad_i32_i24 v29, v0, s14, v28
	s_waitcnt lgkmcnt(0)
	ds_write_b128 v29, v[10:13] offset:7360
	ds_read_b128 v[10:13], v28 offset:6384
	s_waitcnt lgkmcnt(0)
	ds_write_b128 v29, v[10:13] offset:7872
.LBB177_198:
	s_or_b64 exec, exec, s[12:13]
	s_waitcnt lgkmcnt(0)
	s_barrier
	s_and_saveexec_b64 s[12:13], vcc
	s_cbranch_execz .LBB177_200
; %bb.199:
	v_mov_b32_e32 v32, 0
	s_mov_b32 s64, 0
	ds_read_b128 v[10:13], v32 offset:7408
	s_mov_b32 s65, 0x3ff00000
	s_mov_b32 s66, s64
	;; [unrolled: 1-line block ×3, first 2 shown]
	v_mov_b32_e32 v28, s64
	v_mov_b32_e32 v29, s65
	v_mov_b32_e32 v30, s66
	v_mov_b32_e32 v31, s67
	ds_write_b128 v32, v[28:31] offset:7392
	ds_write_b128 v32, v[28:31] offset:7920
	s_waitcnt lgkmcnt(2)
	ds_write_b128 v32, v[10:13] offset:7904
.LBB177_200:
	s_or_b64 exec, exec, s[12:13]
	v_and_b32_e32 v29, 15, v0
	s_movk_i32 s12, 0xff
	v_lshrrev_b32_e32 v31, 4, v22
	v_cmp_lt_u32_e64 s[14:15], s12, v22
	s_movk_i32 s12, 0x100
	v_lshlrev_b32_e32 v30, 4, v29
	v_mov_b32_e32 v12, 0
	v_mov_b32_e32 v10, 0
	v_cmp_gt_u32_e64 s[12:13], s12, v22
	v_mov_b32_e32 v13, 0
	v_mov_b32_e32 v11, 0
	v_lshl_or_b32 v28, v31, 9, v30
	s_waitcnt lgkmcnt(0)
	s_barrier
	s_and_saveexec_b64 s[90:91], s[12:13]
	s_cbranch_execz .LBB177_228
; %bb.201:
	v_mul_u32_u24_e32 v32, 0x210, v31
	ds_read_b128 v[10:13], v32
	ds_read_b128 v[33:36], v28 offset:256
	s_movk_i32 s18, 0xf0
	v_cmp_gt_u32_e64 s[18:19], s18, v22
	s_waitcnt lgkmcnt(0)
	v_mul_f64 v[37:38], v[12:13], v[35:36]
	v_mul_f64 v[35:36], v[10:11], v[35:36]
	v_fma_f64 v[10:11], v[10:11], v[33:34], -v[37:38]
	v_fma_f64 v[12:13], v[12:13], v[33:34], v[35:36]
	v_add_f64 v[10:11], v[10:11], 0
	v_add_f64 v[12:13], v[12:13], 0
	s_and_saveexec_b64 s[92:93], s[18:19]
	s_cbranch_execz .LBB177_203
; %bb.202:
	ds_read_b128 v[33:36], v32 offset:16
	ds_read_b128 v[37:40], v28 offset:768
	s_waitcnt lgkmcnt(0)
	v_mul_f64 v[41:42], v[35:36], v[39:40]
	v_mul_f64 v[39:40], v[33:34], v[39:40]
	v_fma_f64 v[33:34], v[33:34], v[37:38], -v[41:42]
	v_fma_f64 v[35:36], v[35:36], v[37:38], v[39:40]
	v_add_f64 v[10:11], v[10:11], v[33:34]
	v_add_f64 v[12:13], v[12:13], v[35:36]
.LBB177_203:
	s_or_b64 exec, exec, s[92:93]
	s_movk_i32 s18, 0xe0
	v_cmp_gt_u32_e64 s[18:19], s18, v22
	s_and_saveexec_b64 s[92:93], s[18:19]
	s_cbranch_execz .LBB177_205
; %bb.204:
	ds_read_b128 v[33:36], v32 offset:32
	ds_read_b128 v[37:40], v28 offset:1280
	s_waitcnt lgkmcnt(0)
	v_mul_f64 v[41:42], v[35:36], v[39:40]
	v_mul_f64 v[39:40], v[33:34], v[39:40]
	v_fma_f64 v[33:34], v[33:34], v[37:38], -v[41:42]
	v_fma_f64 v[35:36], v[35:36], v[37:38], v[39:40]
	v_add_f64 v[10:11], v[10:11], v[33:34]
	v_add_f64 v[12:13], v[12:13], v[35:36]
.LBB177_205:
	s_or_b64 exec, exec, s[92:93]
	s_movk_i32 s18, 0xd0
	v_cmp_gt_u32_e64 s[18:19], s18, v22
	;; [unrolled: 16-line block ×10, first 2 shown]
	s_and_saveexec_b64 s[92:93], s[18:19]
	s_cbranch_execnz .LBB177_527
; %bb.222:
	s_or_b64 exec, exec, s[92:93]
	v_cmp_gt_u32_e64 s[18:19], 64, v22
	s_and_saveexec_b64 s[92:93], s[18:19]
	s_cbranch_execnz .LBB177_528
.LBB177_223:
	s_or_b64 exec, exec, s[92:93]
	v_cmp_gt_u32_e64 s[18:19], 48, v22
	s_and_saveexec_b64 s[92:93], s[18:19]
	s_cbranch_execnz .LBB177_529
.LBB177_224:
	s_or_b64 exec, exec, s[92:93]
	v_cmp_gt_u32_e64 s[18:19], 32, v22
	s_and_saveexec_b64 s[92:93], s[18:19]
	s_cbranch_execnz .LBB177_530
.LBB177_225:
	s_or_b64 exec, exec, s[92:93]
	v_cmp_gt_u32_e64 s[18:19], 16, v22
	s_and_saveexec_b64 s[92:93], s[18:19]
	s_cbranch_execz .LBB177_227
.LBB177_226:
	v_lshlrev_b32_e32 v36, 4, v0
	v_mov_b32_e32 v32, 0
	ds_read_b128 v[32:35], v32 offset:240
	ds_read_b128 v[36:39], v36 offset:7936
	s_waitcnt lgkmcnt(0)
	v_mul_f64 v[40:41], v[34:35], v[38:39]
	v_mul_f64 v[38:39], v[32:33], v[38:39]
	v_fma_f64 v[32:33], v[32:33], v[36:37], -v[40:41]
	v_fma_f64 v[34:35], v[34:35], v[36:37], v[38:39]
	v_add_f64 v[10:11], v[10:11], v[32:33]
	v_add_f64 v[12:13], v[12:13], v[34:35]
.LBB177_227:
	s_or_b64 exec, exec, s[92:93]
	v_xor_b32_e32 v11, 0x80000000, v11
	v_xor_b32_e32 v13, 0x80000000, v13
.LBB177_228:
	s_or_b64 exec, exec, s[90:91]
	v_mov_b32_e32 v32, 0x4000
	v_cmp_eq_u32_e64 s[18:19], 0, v29
	s_xor_b64 s[90:91], s[14:15], -1
	v_lshl_add_u32 v31, v31, 4, v32
	s_and_b64 s[18:19], s[18:19], s[90:91]
	s_and_saveexec_b64 s[14:15], s[18:19]
; %bb.229:
	ds_write_b128 v31, v[10:13]
; %bb.230:
	s_or_b64 exec, exec, s[14:15]
	v_cmp_ne_u32_e64 s[14:15], 0, v29
	s_and_b64 s[18:19], s[14:15], s[90:91]
	s_waitcnt lgkmcnt(0)
	s_barrier
	s_and_saveexec_b64 s[14:15], s[18:19]
	s_cbranch_execz .LBB177_232
; %bb.231:
	ds_read_b128 v[32:35], v31
	ds_read_b128 v[36:39], v30 offset:8448
	s_waitcnt lgkmcnt(0)
	v_mul_f64 v[40:41], v[34:35], v[38:39]
	v_mul_f64 v[38:39], v[32:33], v[38:39]
	v_fma_f64 v[32:33], v[32:33], v[36:37], -v[40:41]
	v_fma_f64 v[34:35], v[34:35], v[36:37], v[38:39]
	v_add_f64 v[10:11], v[10:11], v[32:33]
	v_add_f64 v[12:13], v[12:13], v[34:35]
.LBB177_232:
	s_or_b64 exec, exec, s[14:15]
	v_cmp_eq_u32_e64 s[14:15], 1, v29
	s_and_b64 s[18:19], s[14:15], s[90:91]
	s_barrier
	s_and_saveexec_b64 s[14:15], s[18:19]
; %bb.233:
	ds_write_b128 v31, v[10:13]
; %bb.234:
	s_or_b64 exec, exec, s[14:15]
	v_cmp_lt_u32_e64 s[14:15], 1, v29
	s_and_b64 s[18:19], s[14:15], s[90:91]
	s_waitcnt lgkmcnt(0)
	s_barrier
	s_and_saveexec_b64 s[14:15], s[18:19]
	s_cbranch_execz .LBB177_236
; %bb.235:
	ds_read_b128 v[32:35], v31
	ds_read_b128 v[36:39], v30 offset:8960
	s_waitcnt lgkmcnt(0)
	v_mul_f64 v[40:41], v[34:35], v[38:39]
	v_mul_f64 v[38:39], v[32:33], v[38:39]
	v_fma_f64 v[32:33], v[32:33], v[36:37], -v[40:41]
	v_fma_f64 v[34:35], v[34:35], v[36:37], v[38:39]
	v_add_f64 v[10:11], v[10:11], v[32:33]
	v_add_f64 v[12:13], v[12:13], v[34:35]
.LBB177_236:
	s_or_b64 exec, exec, s[14:15]
	v_cmp_eq_u32_e64 s[14:15], 2, v29
	s_and_b64 s[18:19], s[14:15], s[90:91]
	s_barrier
	s_and_saveexec_b64 s[14:15], s[18:19]
; %bb.237:
	ds_write_b128 v31, v[10:13]
; %bb.238:
	s_or_b64 exec, exec, s[14:15]
	v_cmp_lt_u32_e64 s[14:15], 2, v29
	;; [unrolled: 26-line block ×13, first 2 shown]
	s_and_b64 s[18:19], s[14:15], s[90:91]
	s_waitcnt lgkmcnt(0)
	s_barrier
	s_and_saveexec_b64 s[14:15], s[18:19]
	s_cbranch_execz .LBB177_284
; %bb.283:
	ds_read_b128 v[32:35], v31
	ds_read_b128 v[36:39], v30 offset:15104
	s_waitcnt lgkmcnt(0)
	v_mul_f64 v[40:41], v[34:35], v[38:39]
	v_mul_f64 v[38:39], v[32:33], v[38:39]
	v_fma_f64 v[32:33], v[32:33], v[36:37], -v[40:41]
	v_fma_f64 v[34:35], v[34:35], v[36:37], v[38:39]
	v_add_f64 v[10:11], v[10:11], v[32:33]
	v_add_f64 v[12:13], v[12:13], v[34:35]
.LBB177_284:
	s_or_b64 exec, exec, s[14:15]
	v_cmp_eq_u32_e64 s[14:15], 14, v29
	s_and_b64 s[18:19], s[14:15], s[90:91]
	s_barrier
	s_and_saveexec_b64 s[14:15], s[18:19]
; %bb.285:
	ds_write_b128 v31, v[10:13]
; %bb.286:
	s_or_b64 exec, exec, s[14:15]
	v_cmp_eq_u32_e64 s[14:15], 15, v29
	s_and_b64 s[14:15], s[14:15], s[90:91]
	s_waitcnt lgkmcnt(0)
	s_barrier
	s_and_saveexec_b64 s[18:19], s[14:15]
	s_cbranch_execz .LBB177_288
; %bb.287:
	v_mov_b32_e32 v29, 0
	ds_read_b128 v[32:35], v31
	ds_read_b128 v[36:39], v29 offset:15856
	s_waitcnt lgkmcnt(0)
	v_mul_f64 v[29:30], v[34:35], v[38:39]
	v_mul_f64 v[38:39], v[32:33], v[38:39]
	v_fma_f64 v[29:30], v[32:33], v[36:37], -v[29:30]
	v_fma_f64 v[32:33], v[34:35], v[36:37], v[38:39]
	v_add_f64 v[10:11], v[10:11], v[29:30]
	v_add_f64 v[12:13], v[12:13], v[32:33]
.LBB177_288:
	s_or_b64 exec, exec, s[18:19]
	s_barrier
	s_and_saveexec_b64 s[18:19], s[14:15]
; %bb.289:
	ds_write_b128 v31, v[10:13]
; %bb.290:
	s_or_b64 exec, exec, s[18:19]
	s_waitcnt lgkmcnt(0)
	s_barrier
	s_barrier
	s_and_saveexec_b64 s[14:15], s[12:13]
; %bb.291:
	v_xor_b32_e32 v13, 0x80000000, v13
	v_xor_b32_e32 v11, 0x80000000, v11
	ds_write_b128 v28, v[10:13] offset:256
; %bb.292:
	s_or_b64 exec, exec, s[14:15]
	v_cmp_gt_u32_e64 s[12:13], 16, v0
	s_and_b64 s[12:13], s[10:11], s[12:13]
	s_waitcnt lgkmcnt(0)
	s_barrier
	s_barrier
	s_and_saveexec_b64 s[10:11], s[12:13]
	s_cbranch_execz .LBB177_294
; %bb.293:
	v_lshlrev_b32_e32 v28, 9, v0
	ds_read_b128 v[10:13], v28 offset:256
	s_movk_i32 s12, 0xfe10
	v_mad_i32_i24 v29, v0, s12, v28
	s_waitcnt lgkmcnt(0)
	ds_write_b128 v29, v[10:13] offset:8192
	ds_read_b128 v[10:13], v28 offset:272
	s_waitcnt lgkmcnt(0)
	ds_write_b128 v29, v[10:13] offset:8704
	ds_read_b128 v[10:13], v28 offset:288
	s_waitcnt lgkmcnt(0)
	ds_write_b128 v29, v[10:13] offset:9216
	ds_read_b128 v[10:13], v28 offset:304
	s_waitcnt lgkmcnt(0)
	ds_write_b128 v29, v[10:13] offset:9728
	ds_read_b128 v[10:13], v28 offset:320
	s_waitcnt lgkmcnt(0)
	ds_write_b128 v29, v[10:13] offset:10240
	ds_read_b128 v[10:13], v28 offset:336
	s_waitcnt lgkmcnt(0)
	ds_write_b128 v29, v[10:13] offset:10752
	ds_read_b128 v[10:13], v28 offset:352
	s_waitcnt lgkmcnt(0)
	ds_write_b128 v29, v[10:13] offset:11264
	ds_read_b128 v[10:13], v28 offset:368
	s_waitcnt lgkmcnt(0)
	ds_write_b128 v29, v[10:13] offset:11776
	ds_read_b128 v[10:13], v28 offset:384
	s_waitcnt lgkmcnt(0)
	ds_write_b128 v29, v[10:13] offset:12288
	ds_read_b128 v[10:13], v28 offset:400
	s_waitcnt lgkmcnt(0)
	ds_write_b128 v29, v[10:13] offset:12800
	ds_read_b128 v[10:13], v28 offset:416
	s_waitcnt lgkmcnt(0)
	ds_write_b128 v29, v[10:13] offset:13312
	ds_read_b128 v[10:13], v28 offset:432
	s_waitcnt lgkmcnt(0)
	ds_write_b128 v29, v[10:13] offset:13824
	ds_read_b128 v[10:13], v28 offset:448
	s_waitcnt lgkmcnt(0)
	ds_write_b128 v29, v[10:13] offset:14336
	ds_read_b128 v[10:13], v28 offset:464
	s_waitcnt lgkmcnt(0)
	ds_write_b128 v29, v[10:13] offset:14848
	ds_read_b128 v[10:13], v28 offset:480
	s_waitcnt lgkmcnt(0)
	ds_write_b128 v29, v[10:13] offset:15360
	ds_read_b128 v[10:13], v28 offset:496
	s_waitcnt lgkmcnt(0)
	ds_write_b128 v29, v[10:13] offset:15872
.LBB177_294:
	s_or_b64 exec, exec, s[10:11]
	s_waitcnt lgkmcnt(0)
	s_barrier
	s_and_saveexec_b64 s[10:11], vcc
	s_cbranch_execz .LBB177_296
; %bb.295:
	s_mov_b32 s12, 0
	v_mov_b32_e32 v32, 0
	ds_read_b128 v[10:13], v32 offset:8464
	s_mov_b32 s15, s12
	s_mov_b32 s13, 0x3ff00000
	;; [unrolled: 1-line block ×3, first 2 shown]
	v_mov_b32_e32 v31, s15
	v_mov_b32_e32 v30, s14
	;; [unrolled: 1-line block ×4, first 2 shown]
	ds_write_b128 v32, v[28:31] offset:8448
	ds_write_b128 v32, v[28:31] offset:8976
	s_waitcnt lgkmcnt(2)
	ds_write_b128 v32, v[10:13] offset:8960
.LBB177_296:
	s_or_b64 exec, exec, s[10:11]
	v_mov_b32_e32 v12, 0
	v_mov_b32_e32 v10, 0
	;; [unrolled: 1-line block ×4, first 2 shown]
	s_waitcnt lgkmcnt(0)
	s_barrier
	s_and_saveexec_b64 s[12:13], s[2:3]
	s_cbranch_execz .LBB177_300
; %bb.297:
	v_mul_u32_u24_e32 v10, 0x210, v16
	ds_read_b128 v[10:13], v10 offset:8448
	ds_read_b128 v[28:31], v14 offset:8480
	v_cmp_gt_u32_e64 s[10:11], 2, v22
	s_waitcnt lgkmcnt(0)
	v_mul_f64 v[32:33], v[12:13], v[30:31]
	v_mul_f64 v[30:31], v[10:11], v[30:31]
	v_fma_f64 v[10:11], v[10:11], v[28:29], -v[32:33]
	v_fma_f64 v[12:13], v[12:13], v[28:29], v[30:31]
	v_add_f64 v[10:11], v[10:11], 0
	v_add_f64 v[12:13], v[12:13], 0
	s_and_saveexec_b64 s[14:15], s[10:11]
	s_cbranch_execz .LBB177_299
; %bb.298:
	v_lshlrev_b32_e32 v32, 4, v0
	v_mov_b32_e32 v28, 0
	ds_read_b128 v[28:31], v28 offset:8464
	ds_read_b128 v[32:35], v32 offset:8992
	s_waitcnt lgkmcnt(0)
	v_mul_f64 v[36:37], v[30:31], v[34:35]
	v_mul_f64 v[34:35], v[28:29], v[34:35]
	v_fma_f64 v[28:29], v[28:29], v[32:33], -v[36:37]
	v_fma_f64 v[30:31], v[30:31], v[32:33], v[34:35]
	v_add_f64 v[10:11], v[10:11], v[28:29]
	v_add_f64 v[12:13], v[12:13], v[30:31]
.LBB177_299:
	s_or_b64 exec, exec, s[14:15]
	v_xor_b32_e32 v11, 0x80000000, v11
	v_xor_b32_e32 v13, 0x80000000, v13
.LBB177_300:
	s_or_b64 exec, exec, s[12:13]
	s_and_saveexec_b64 s[10:11], s[42:43]
; %bb.301:
	ds_write_b128 v15, v[10:13]
; %bb.302:
	s_or_b64 exec, exec, s[10:11]
	s_waitcnt lgkmcnt(0)
	s_barrier
	s_and_saveexec_b64 s[10:11], s[40:41]
	s_cbranch_execz .LBB177_304
; %bb.303:
	v_mov_b32_e32 v32, 0
	ds_read_b128 v[28:31], v15
	ds_read_b128 v[32:35], v32 offset:9520
	s_waitcnt lgkmcnt(0)
	v_mul_f64 v[36:37], v[30:31], v[34:35]
	v_mul_f64 v[34:35], v[28:29], v[34:35]
	v_fma_f64 v[28:29], v[28:29], v[32:33], -v[36:37]
	v_fma_f64 v[30:31], v[30:31], v[32:33], v[34:35]
	v_add_f64 v[10:11], v[10:11], v[28:29]
	v_add_f64 v[12:13], v[12:13], v[30:31]
.LBB177_304:
	s_or_b64 exec, exec, s[10:11]
	s_barrier
	s_and_saveexec_b64 s[10:11], s[40:41]
; %bb.305:
	ds_write_b128 v15, v[10:13]
; %bb.306:
	s_or_b64 exec, exec, s[10:11]
	s_waitcnt lgkmcnt(0)
	s_barrier
	s_barrier
	s_and_saveexec_b64 s[10:11], s[2:3]
; %bb.307:
	v_xor_b32_e32 v11, 0x80000000, v11
	v_xor_b32_e32 v13, 0x80000000, v13
	ds_write_b128 v14, v[10:13] offset:8480
; %bb.308:
	s_or_b64 exec, exec, s[10:11]
	s_waitcnt lgkmcnt(0)
	s_barrier
	s_barrier
	s_and_saveexec_b64 s[10:11], s[44:45]
	s_cbranch_execz .LBB177_310
; %bb.309:
	v_lshlrev_b32_e32 v28, 9, v0
	ds_read_b128 v[10:13], v28 offset:8480
	s_movk_i32 s12, 0xfe10
	v_mad_i32_i24 v29, v0, s12, v28
	s_waitcnt lgkmcnt(0)
	ds_write_b128 v29, v[10:13] offset:9472
	ds_read_b128 v[10:13], v28 offset:8496
	s_waitcnt lgkmcnt(0)
	ds_write_b128 v29, v[10:13] offset:9984
.LBB177_310:
	s_or_b64 exec, exec, s[10:11]
	s_waitcnt lgkmcnt(0)
	s_barrier
	s_and_saveexec_b64 s[10:11], vcc
	s_cbranch_execz .LBB177_312
; %bb.311:
	s_mov_b32 s12, 0
	v_mov_b32_e32 v32, 0
	ds_read_b128 v[10:13], v32 offset:9520
	s_mov_b32 s15, s12
	s_mov_b32 s13, 0x3ff00000
	;; [unrolled: 1-line block ×3, first 2 shown]
	v_mov_b32_e32 v31, s15
	v_mov_b32_e32 v30, s14
	;; [unrolled: 1-line block ×4, first 2 shown]
	ds_write_b128 v32, v[28:31] offset:9504
	ds_write_b128 v32, v[28:31] offset:10032
	s_waitcnt lgkmcnt(2)
	ds_write_b128 v32, v[10:13] offset:10016
.LBB177_312:
	s_or_b64 exec, exec, s[10:11]
	v_mov_b32_e32 v12, 0
	v_mov_b32_e32 v10, 0
	v_mov_b32_e32 v13, 0
	v_mov_b32_e32 v11, 0
	s_waitcnt lgkmcnt(0)
	s_barrier
	s_and_saveexec_b64 s[12:13], s[16:17]
	s_cbranch_execz .LBB177_318
; %bb.313:
	v_mul_u32_u24_e32 v28, 0x210, v21
	ds_read_b128 v[10:13], v28 offset:8448
	ds_read_b128 v[29:32], v17 offset:8512
	v_cmp_gt_u32_e64 s[10:11], 12, v22
	s_waitcnt lgkmcnt(0)
	v_mul_f64 v[33:34], v[12:13], v[31:32]
	v_mul_f64 v[31:32], v[10:11], v[31:32]
	v_fma_f64 v[10:11], v[10:11], v[29:30], -v[33:34]
	v_fma_f64 v[12:13], v[12:13], v[29:30], v[31:32]
	v_add_f64 v[10:11], v[10:11], 0
	v_add_f64 v[12:13], v[12:13], 0
	s_and_saveexec_b64 s[14:15], s[10:11]
	s_cbranch_execnz .LBB177_531
; %bb.314:
	s_or_b64 exec, exec, s[14:15]
	v_cmp_gt_u32_e64 s[10:11], 8, v22
	s_and_saveexec_b64 s[14:15], s[10:11]
	s_cbranch_execnz .LBB177_532
.LBB177_315:
	s_or_b64 exec, exec, s[14:15]
	v_cmp_gt_u32_e64 s[10:11], 4, v22
	s_and_saveexec_b64 s[14:15], s[10:11]
	s_cbranch_execz .LBB177_317
.LBB177_316:
	v_lshlrev_b32_e32 v32, 4, v0
	v_mov_b32_e32 v28, 0
	ds_read_b128 v[28:31], v28 offset:8496
	ds_read_b128 v[32:35], v32 offset:10048
	s_waitcnt lgkmcnt(0)
	v_mul_f64 v[36:37], v[30:31], v[34:35]
	v_mul_f64 v[34:35], v[28:29], v[34:35]
	v_fma_f64 v[28:29], v[28:29], v[32:33], -v[36:37]
	v_fma_f64 v[30:31], v[30:31], v[32:33], v[34:35]
	v_add_f64 v[10:11], v[10:11], v[28:29]
	v_add_f64 v[12:13], v[12:13], v[30:31]
.LBB177_317:
	s_or_b64 exec, exec, s[14:15]
	v_xor_b32_e32 v11, 0x80000000, v11
	v_xor_b32_e32 v13, 0x80000000, v13
.LBB177_318:
	s_or_b64 exec, exec, s[12:13]
	s_and_saveexec_b64 s[10:11], s[48:49]
; %bb.319:
	ds_write_b128 v19, v[10:13]
; %bb.320:
	s_or_b64 exec, exec, s[10:11]
	s_waitcnt lgkmcnt(0)
	s_barrier
	s_and_saveexec_b64 s[10:11], s[50:51]
	s_cbranch_execz .LBB177_322
; %bb.321:
	ds_read_b128 v[28:31], v19
	ds_read_b128 v[32:35], v18 offset:10560
	s_waitcnt lgkmcnt(0)
	v_mul_f64 v[36:37], v[30:31], v[34:35]
	v_mul_f64 v[34:35], v[28:29], v[34:35]
	v_fma_f64 v[28:29], v[28:29], v[32:33], -v[36:37]
	v_fma_f64 v[30:31], v[30:31], v[32:33], v[34:35]
	v_add_f64 v[10:11], v[10:11], v[28:29]
	v_add_f64 v[12:13], v[12:13], v[30:31]
.LBB177_322:
	s_or_b64 exec, exec, s[10:11]
	s_barrier
	s_and_saveexec_b64 s[10:11], s[52:53]
; %bb.323:
	ds_write_b128 v19, v[10:13]
; %bb.324:
	s_or_b64 exec, exec, s[10:11]
	s_waitcnt lgkmcnt(0)
	s_barrier
	s_and_saveexec_b64 s[10:11], s[54:55]
	s_cbranch_execz .LBB177_326
; %bb.325:
	ds_read_b128 v[28:31], v19
	ds_read_b128 v[32:35], v18 offset:11072
	s_waitcnt lgkmcnt(0)
	v_mul_f64 v[36:37], v[30:31], v[34:35]
	v_mul_f64 v[34:35], v[28:29], v[34:35]
	v_fma_f64 v[28:29], v[28:29], v[32:33], -v[36:37]
	v_fma_f64 v[30:31], v[30:31], v[32:33], v[34:35]
	v_add_f64 v[10:11], v[10:11], v[28:29]
	v_add_f64 v[12:13], v[12:13], v[30:31]
.LBB177_326:
	s_or_b64 exec, exec, s[10:11]
	s_barrier
	s_and_saveexec_b64 s[10:11], s[56:57]
; %bb.327:
	ds_write_b128 v19, v[10:13]
; %bb.328:
	s_or_b64 exec, exec, s[10:11]
	s_waitcnt lgkmcnt(0)
	s_barrier
	s_and_saveexec_b64 s[10:11], s[46:47]
	s_cbranch_execz .LBB177_330
; %bb.329:
	v_mov_b32_e32 v32, 0
	ds_read_b128 v[28:31], v19
	ds_read_b128 v[32:35], v32 offset:11632
	s_waitcnt lgkmcnt(0)
	v_mul_f64 v[36:37], v[30:31], v[34:35]
	v_mul_f64 v[34:35], v[28:29], v[34:35]
	v_fma_f64 v[28:29], v[28:29], v[32:33], -v[36:37]
	v_fma_f64 v[30:31], v[30:31], v[32:33], v[34:35]
	v_add_f64 v[10:11], v[10:11], v[28:29]
	v_add_f64 v[12:13], v[12:13], v[30:31]
.LBB177_330:
	s_or_b64 exec, exec, s[10:11]
	s_barrier
	s_and_saveexec_b64 s[10:11], s[46:47]
; %bb.331:
	ds_write_b128 v19, v[10:13]
; %bb.332:
	s_or_b64 exec, exec, s[10:11]
	s_waitcnt lgkmcnt(0)
	s_barrier
	s_barrier
	s_and_saveexec_b64 s[10:11], s[16:17]
; %bb.333:
	v_xor_b32_e32 v13, 0x80000000, v13
	v_xor_b32_e32 v11, 0x80000000, v11
	ds_write_b128 v17, v[10:13] offset:8512
; %bb.334:
	s_or_b64 exec, exec, s[10:11]
	s_waitcnt lgkmcnt(0)
	s_barrier
	s_barrier
	s_and_saveexec_b64 s[10:11], s[58:59]
	s_cbranch_execz .LBB177_336
; %bb.335:
	v_lshlrev_b32_e32 v28, 4, v0
	s_movk_i32 s12, 0x1f0
	v_mad_u32_u24 v29, v0, s12, v28
	ds_read_b128 v[10:13], v29 offset:8512
	s_waitcnt lgkmcnt(0)
	ds_write_b128 v28, v[10:13] offset:10496
	ds_read_b128 v[10:13], v29 offset:8528
	s_waitcnt lgkmcnt(0)
	ds_write_b128 v28, v[10:13] offset:11008
	;; [unrolled: 3-line block ×4, first 2 shown]
.LBB177_336:
	s_or_b64 exec, exec, s[10:11]
	s_waitcnt lgkmcnt(0)
	s_barrier
	s_and_saveexec_b64 s[10:11], vcc
	s_cbranch_execz .LBB177_338
; %bb.337:
	s_mov_b32 s12, 0
	v_mov_b32_e32 v32, 0
	ds_read_b128 v[10:13], v32 offset:10576
	s_mov_b32 s15, s12
	s_mov_b32 s13, 0x3ff00000
	;; [unrolled: 1-line block ×3, first 2 shown]
	v_mov_b32_e32 v31, s15
	v_mov_b32_e32 v30, s14
	;; [unrolled: 1-line block ×4, first 2 shown]
	ds_write_b128 v32, v[28:31] offset:10560
	ds_write_b128 v32, v[28:31] offset:11088
	s_waitcnt lgkmcnt(2)
	ds_write_b128 v32, v[10:13] offset:11072
.LBB177_338:
	s_or_b64 exec, exec, s[10:11]
	v_mov_b32_e32 v12, 0
	v_mov_b32_e32 v10, 0
	;; [unrolled: 1-line block ×4, first 2 shown]
	s_waitcnt lgkmcnt(0)
	s_barrier
	s_and_saveexec_b64 s[12:13], s[2:3]
	s_cbranch_execz .LBB177_342
; %bb.339:
	v_mul_u32_u24_e32 v10, 0x210, v16
	ds_read_b128 v[10:13], v10 offset:10560
	ds_read_b128 v[28:31], v14 offset:10592
	v_cmp_gt_u32_e64 s[10:11], 2, v22
	s_waitcnt lgkmcnt(0)
	v_mul_f64 v[32:33], v[12:13], v[30:31]
	v_mul_f64 v[30:31], v[10:11], v[30:31]
	v_fma_f64 v[10:11], v[10:11], v[28:29], -v[32:33]
	v_fma_f64 v[12:13], v[12:13], v[28:29], v[30:31]
	v_add_f64 v[10:11], v[10:11], 0
	v_add_f64 v[12:13], v[12:13], 0
	s_and_saveexec_b64 s[14:15], s[10:11]
	s_cbranch_execz .LBB177_341
; %bb.340:
	v_lshlrev_b32_e32 v32, 4, v0
	v_mov_b32_e32 v28, 0
	ds_read_b128 v[28:31], v28 offset:10576
	ds_read_b128 v[32:35], v32 offset:11104
	s_waitcnt lgkmcnt(0)
	v_mul_f64 v[36:37], v[30:31], v[34:35]
	v_mul_f64 v[34:35], v[28:29], v[34:35]
	v_fma_f64 v[28:29], v[28:29], v[32:33], -v[36:37]
	v_fma_f64 v[30:31], v[30:31], v[32:33], v[34:35]
	v_add_f64 v[10:11], v[10:11], v[28:29]
	v_add_f64 v[12:13], v[12:13], v[30:31]
.LBB177_341:
	s_or_b64 exec, exec, s[14:15]
	v_xor_b32_e32 v11, 0x80000000, v11
	v_xor_b32_e32 v13, 0x80000000, v13
.LBB177_342:
	s_or_b64 exec, exec, s[12:13]
	s_and_saveexec_b64 s[10:11], s[42:43]
; %bb.343:
	ds_write_b128 v15, v[10:13]
; %bb.344:
	s_or_b64 exec, exec, s[10:11]
	s_waitcnt lgkmcnt(0)
	s_barrier
	s_and_saveexec_b64 s[10:11], s[40:41]
	s_cbranch_execz .LBB177_346
; %bb.345:
	v_mov_b32_e32 v32, 0
	ds_read_b128 v[28:31], v15
	ds_read_b128 v[32:35], v32 offset:11632
	s_waitcnt lgkmcnt(0)
	v_mul_f64 v[36:37], v[30:31], v[34:35]
	v_mul_f64 v[34:35], v[28:29], v[34:35]
	v_fma_f64 v[28:29], v[28:29], v[32:33], -v[36:37]
	v_fma_f64 v[30:31], v[30:31], v[32:33], v[34:35]
	v_add_f64 v[10:11], v[10:11], v[28:29]
	v_add_f64 v[12:13], v[12:13], v[30:31]
.LBB177_346:
	s_or_b64 exec, exec, s[10:11]
	s_barrier
	s_and_saveexec_b64 s[10:11], s[40:41]
; %bb.347:
	ds_write_b128 v15, v[10:13]
; %bb.348:
	s_or_b64 exec, exec, s[10:11]
	s_waitcnt lgkmcnt(0)
	s_barrier
	s_barrier
	s_and_saveexec_b64 s[10:11], s[2:3]
; %bb.349:
	v_xor_b32_e32 v11, 0x80000000, v11
	v_xor_b32_e32 v13, 0x80000000, v13
	ds_write_b128 v14, v[10:13] offset:10592
; %bb.350:
	s_or_b64 exec, exec, s[10:11]
	s_waitcnt lgkmcnt(0)
	s_barrier
	s_barrier
	s_and_saveexec_b64 s[10:11], s[44:45]
	s_cbranch_execz .LBB177_352
; %bb.351:
	v_lshlrev_b32_e32 v28, 9, v0
	ds_read_b128 v[10:13], v28 offset:10592
	s_movk_i32 s12, 0xfe10
	v_mad_i32_i24 v29, v0, s12, v28
	s_waitcnt lgkmcnt(0)
	ds_write_b128 v29, v[10:13] offset:11584
	ds_read_b128 v[10:13], v28 offset:10608
	s_waitcnt lgkmcnt(0)
	ds_write_b128 v29, v[10:13] offset:12096
.LBB177_352:
	s_or_b64 exec, exec, s[10:11]
	s_waitcnt lgkmcnt(0)
	s_barrier
	s_and_saveexec_b64 s[10:11], vcc
	s_cbranch_execz .LBB177_354
; %bb.353:
	s_mov_b32 s12, 0
	v_mov_b32_e32 v32, 0
	ds_read_b128 v[10:13], v32 offset:11632
	s_mov_b32 s15, s12
	s_mov_b32 s13, 0x3ff00000
	s_mov_b32 s14, s12
	v_mov_b32_e32 v31, s15
	v_mov_b32_e32 v30, s14
	;; [unrolled: 1-line block ×4, first 2 shown]
	ds_write_b128 v32, v[28:31] offset:11616
	ds_write_b128 v32, v[28:31] offset:12144
	s_waitcnt lgkmcnt(2)
	ds_write_b128 v32, v[10:13] offset:12128
.LBB177_354:
	s_or_b64 exec, exec, s[10:11]
	v_mov_b32_e32 v12, 0
	v_mov_b32_e32 v10, 0
	;; [unrolled: 1-line block ×4, first 2 shown]
	s_waitcnt lgkmcnt(0)
	s_barrier
	s_and_saveexec_b64 s[12:13], s[8:9]
	s_cbranch_execz .LBB177_364
; %bb.355:
	v_mul_u32_u24_e32 v28, 0x210, v27
	ds_read_b128 v[10:13], v28 offset:8448
	ds_read_b128 v[29:32], v23 offset:8576
	v_cmp_gt_u32_e64 s[10:11], 56, v22
	s_waitcnt lgkmcnt(0)
	v_mul_f64 v[33:34], v[12:13], v[31:32]
	v_mul_f64 v[31:32], v[10:11], v[31:32]
	v_fma_f64 v[10:11], v[10:11], v[29:30], -v[33:34]
	v_fma_f64 v[12:13], v[12:13], v[29:30], v[31:32]
	v_add_f64 v[10:11], v[10:11], 0
	v_add_f64 v[12:13], v[12:13], 0
	s_and_saveexec_b64 s[14:15], s[10:11]
	s_cbranch_execnz .LBB177_533
; %bb.356:
	s_or_b64 exec, exec, s[14:15]
	v_cmp_gt_u32_e64 s[10:11], 48, v22
	s_and_saveexec_b64 s[14:15], s[10:11]
	s_cbranch_execnz .LBB177_534
.LBB177_357:
	s_or_b64 exec, exec, s[14:15]
	v_cmp_gt_u32_e64 s[10:11], 40, v22
	s_and_saveexec_b64 s[14:15], s[10:11]
	s_cbranch_execnz .LBB177_535
.LBB177_358:
	s_or_b64 exec, exec, s[14:15]
	v_cmp_gt_u32_e64 s[10:11], 32, v22
	s_and_saveexec_b64 s[14:15], s[10:11]
	s_cbranch_execnz .LBB177_536
.LBB177_359:
	s_or_b64 exec, exec, s[14:15]
	v_cmp_gt_u32_e64 s[10:11], 24, v22
	s_and_saveexec_b64 s[14:15], s[10:11]
	s_cbranch_execnz .LBB177_537
.LBB177_360:
	s_or_b64 exec, exec, s[14:15]
	v_cmp_gt_u32_e64 s[10:11], 16, v22
	s_and_saveexec_b64 s[14:15], s[10:11]
	s_cbranch_execnz .LBB177_538
.LBB177_361:
	s_or_b64 exec, exec, s[14:15]
	v_cmp_gt_u32_e64 s[10:11], 8, v22
	s_and_saveexec_b64 s[14:15], s[10:11]
	s_cbranch_execz .LBB177_363
.LBB177_362:
	v_lshlrev_b32_e32 v30, 4, v0
	v_mov_b32_e32 v26, 0
	ds_read_b128 v[26:29], v26 offset:8560
	ds_read_b128 v[30:33], v30 offset:12160
	s_waitcnt lgkmcnt(0)
	v_mul_f64 v[34:35], v[28:29], v[32:33]
	v_mul_f64 v[32:33], v[26:27], v[32:33]
	v_fma_f64 v[26:27], v[26:27], v[30:31], -v[34:35]
	v_fma_f64 v[28:29], v[28:29], v[30:31], v[32:33]
	v_add_f64 v[10:11], v[10:11], v[26:27]
	v_add_f64 v[12:13], v[12:13], v[28:29]
.LBB177_363:
	s_or_b64 exec, exec, s[14:15]
	v_xor_b32_e32 v11, 0x80000000, v11
	v_xor_b32_e32 v13, 0x80000000, v13
.LBB177_364:
	s_or_b64 exec, exec, s[12:13]
	s_mov_b64 s[10:11], exec
	v_readlane_b32 s12, v43, 2
	v_readlane_b32 s13, v43, 3
	s_and_b64 s[12:13], s[10:11], s[12:13]
	s_mov_b64 exec, s[12:13]
; %bb.365:
	ds_write_b128 v25, v[10:13]
; %bb.366:
	s_or_b64 exec, exec, s[10:11]
	s_waitcnt lgkmcnt(0)
	s_barrier
	s_mov_b64 s[10:11], exec
	v_readlane_b32 s12, v43, 4
	v_readlane_b32 s13, v43, 5
	s_and_b64 s[12:13], s[10:11], s[12:13]
	s_mov_b64 exec, s[12:13]
	s_cbranch_execz .LBB177_368
; %bb.367:
	ds_read_b128 v[26:29], v25
	ds_read_b128 v[30:33], v24 offset:12672
	s_waitcnt lgkmcnt(0)
	v_mul_f64 v[34:35], v[28:29], v[32:33]
	v_mul_f64 v[32:33], v[26:27], v[32:33]
	v_fma_f64 v[26:27], v[26:27], v[30:31], -v[34:35]
	v_fma_f64 v[28:29], v[28:29], v[30:31], v[32:33]
	v_add_f64 v[10:11], v[10:11], v[26:27]
	v_add_f64 v[12:13], v[12:13], v[28:29]
.LBB177_368:
	s_or_b64 exec, exec, s[10:11]
	s_barrier
	s_and_saveexec_b64 s[10:11], s[0:1]
; %bb.369:
	ds_write_b128 v25, v[10:13]
; %bb.370:
	s_or_b64 exec, exec, s[10:11]
	s_waitcnt lgkmcnt(0)
	s_barrier
	s_and_saveexec_b64 s[10:11], s[68:69]
	s_cbranch_execz .LBB177_372
; %bb.371:
	ds_read_b128 v[26:29], v25
	ds_read_b128 v[30:33], v24 offset:13184
	s_waitcnt lgkmcnt(0)
	v_mul_f64 v[34:35], v[28:29], v[32:33]
	v_mul_f64 v[32:33], v[26:27], v[32:33]
	v_fma_f64 v[26:27], v[26:27], v[30:31], -v[34:35]
	v_fma_f64 v[28:29], v[28:29], v[30:31], v[32:33]
	v_add_f64 v[10:11], v[10:11], v[26:27]
	v_add_f64 v[12:13], v[12:13], v[28:29]
.LBB177_372:
	s_or_b64 exec, exec, s[10:11]
	s_barrier
	s_and_saveexec_b64 s[10:11], s[70:71]
; %bb.373:
	ds_write_b128 v25, v[10:13]
; %bb.374:
	s_or_b64 exec, exec, s[10:11]
	s_waitcnt lgkmcnt(0)
	s_barrier
	s_and_saveexec_b64 s[10:11], s[72:73]
	;; [unrolled: 22-line block ×6, first 2 shown]
	s_cbranch_execz .LBB177_392
; %bb.391:
	v_mov_b32_e32 v24, 0
	ds_read_b128 v[26:29], v25
	ds_read_b128 v[30:33], v24 offset:15856
	s_waitcnt lgkmcnt(0)
	v_mul_f64 v[34:35], v[28:29], v[32:33]
	v_mul_f64 v[32:33], v[26:27], v[32:33]
	v_fma_f64 v[26:27], v[26:27], v[30:31], -v[34:35]
	v_fma_f64 v[28:29], v[28:29], v[30:31], v[32:33]
	v_add_f64 v[10:11], v[10:11], v[26:27]
	v_add_f64 v[12:13], v[12:13], v[28:29]
.LBB177_392:
	s_or_b64 exec, exec, s[10:11]
	s_barrier
	s_and_saveexec_b64 s[10:11], s[60:61]
; %bb.393:
	ds_write_b128 v25, v[10:13]
; %bb.394:
	s_or_b64 exec, exec, s[10:11]
	s_waitcnt lgkmcnt(0)
	s_barrier
	s_barrier
	s_and_saveexec_b64 s[10:11], s[8:9]
; %bb.395:
	v_xor_b32_e32 v11, 0x80000000, v11
	v_xor_b32_e32 v13, 0x80000000, v13
	ds_write_b128 v23, v[10:13] offset:8576
; %bb.396:
	s_or_b64 exec, exec, s[10:11]
	s_waitcnt lgkmcnt(0)
	s_barrier
	s_barrier
	s_and_saveexec_b64 s[8:9], s[88:89]
	s_cbranch_execz .LBB177_398
; %bb.397:
	v_lshlrev_b32_e32 v23, 9, v0
	ds_read_b128 v[10:13], v23 offset:8576
	s_movk_i32 s0, 0xfe10
	v_mad_i32_i24 v24, v0, s0, v23
	s_waitcnt lgkmcnt(0)
	ds_write_b128 v24, v[10:13] offset:12544
	ds_read_b128 v[10:13], v23 offset:8592
	s_waitcnt lgkmcnt(0)
	ds_write_b128 v24, v[10:13] offset:13056
	ds_read_b128 v[10:13], v23 offset:8608
	;; [unrolled: 3-line block ×7, first 2 shown]
	s_waitcnt lgkmcnt(0)
	ds_write_b128 v24, v[10:13] offset:16128
.LBB177_398:
	s_or_b64 exec, exec, s[8:9]
	s_waitcnt lgkmcnt(0)
	s_barrier
	s_and_saveexec_b64 s[8:9], vcc
	s_cbranch_execz .LBB177_400
; %bb.399:
	s_mov_b32 s12, 0
	v_mov_b32_e32 v27, 0
	ds_read_b128 v[10:13], v27 offset:12688
	s_mov_b32 s15, s12
	s_mov_b32 s13, 0x3ff00000
	;; [unrolled: 1-line block ×3, first 2 shown]
	v_mov_b32_e32 v26, s15
	v_mov_b32_e32 v25, s14
	;; [unrolled: 1-line block ×4, first 2 shown]
	ds_write_b128 v27, v[23:26] offset:12672
	ds_write_b128 v27, v[23:26] offset:13200
	s_waitcnt lgkmcnt(2)
	ds_write_b128 v27, v[10:13] offset:13184
.LBB177_400:
	s_or_b64 exec, exec, s[8:9]
	v_mov_b32_e32 v12, 0
	v_mov_b32_e32 v10, 0
	;; [unrolled: 1-line block ×4, first 2 shown]
	s_waitcnt lgkmcnt(0)
	s_barrier
	s_and_saveexec_b64 s[10:11], s[2:3]
	s_cbranch_execz .LBB177_404
; %bb.401:
	v_mul_u32_u24_e32 v10, 0x210, v16
	ds_read_b128 v[10:13], v10 offset:12672
	ds_read_b128 v[23:26], v14 offset:12704
	v_cmp_gt_u32_e64 s[8:9], 2, v22
	s_waitcnt lgkmcnt(0)
	v_mul_f64 v[27:28], v[12:13], v[25:26]
	v_mul_f64 v[25:26], v[10:11], v[25:26]
	v_fma_f64 v[10:11], v[10:11], v[23:24], -v[27:28]
	v_fma_f64 v[12:13], v[12:13], v[23:24], v[25:26]
	v_add_f64 v[10:11], v[10:11], 0
	v_add_f64 v[12:13], v[12:13], 0
	s_and_saveexec_b64 s[12:13], s[8:9]
	s_cbranch_execz .LBB177_403
; %bb.402:
	v_lshlrev_b32_e32 v27, 4, v0
	v_mov_b32_e32 v23, 0
	ds_read_b128 v[23:26], v23 offset:12688
	ds_read_b128 v[27:30], v27 offset:13216
	s_waitcnt lgkmcnt(0)
	v_mul_f64 v[31:32], v[25:26], v[29:30]
	v_mul_f64 v[29:30], v[23:24], v[29:30]
	v_fma_f64 v[23:24], v[23:24], v[27:28], -v[31:32]
	v_fma_f64 v[25:26], v[25:26], v[27:28], v[29:30]
	v_add_f64 v[10:11], v[10:11], v[23:24]
	v_add_f64 v[12:13], v[12:13], v[25:26]
.LBB177_403:
	s_or_b64 exec, exec, s[12:13]
	v_xor_b32_e32 v11, 0x80000000, v11
	v_xor_b32_e32 v13, 0x80000000, v13
.LBB177_404:
	s_or_b64 exec, exec, s[10:11]
	s_and_saveexec_b64 s[8:9], s[42:43]
; %bb.405:
	ds_write_b128 v15, v[10:13]
; %bb.406:
	s_or_b64 exec, exec, s[8:9]
	s_waitcnt lgkmcnt(0)
	s_barrier
	s_and_saveexec_b64 s[8:9], s[40:41]
	s_cbranch_execz .LBB177_408
; %bb.407:
	v_mov_b32_e32 v27, 0
	ds_read_b128 v[23:26], v15
	ds_read_b128 v[27:30], v27 offset:13744
	s_waitcnt lgkmcnt(0)
	v_mul_f64 v[31:32], v[25:26], v[29:30]
	v_mul_f64 v[29:30], v[23:24], v[29:30]
	v_fma_f64 v[23:24], v[23:24], v[27:28], -v[31:32]
	v_fma_f64 v[25:26], v[25:26], v[27:28], v[29:30]
	v_add_f64 v[10:11], v[10:11], v[23:24]
	v_add_f64 v[12:13], v[12:13], v[25:26]
.LBB177_408:
	s_or_b64 exec, exec, s[8:9]
	s_barrier
	s_and_saveexec_b64 s[8:9], s[40:41]
; %bb.409:
	ds_write_b128 v15, v[10:13]
; %bb.410:
	s_or_b64 exec, exec, s[8:9]
	s_waitcnt lgkmcnt(0)
	s_barrier
	s_barrier
	s_and_saveexec_b64 s[8:9], s[2:3]
; %bb.411:
	v_xor_b32_e32 v11, 0x80000000, v11
	v_xor_b32_e32 v13, 0x80000000, v13
	ds_write_b128 v14, v[10:13] offset:12704
; %bb.412:
	s_or_b64 exec, exec, s[8:9]
	s_waitcnt lgkmcnt(0)
	s_barrier
	s_barrier
	s_and_saveexec_b64 s[8:9], s[44:45]
	s_cbranch_execz .LBB177_414
; %bb.413:
	v_lshlrev_b32_e32 v23, 9, v0
	ds_read_b128 v[10:13], v23 offset:12704
	s_movk_i32 s0, 0xfe10
	v_mad_i32_i24 v24, v0, s0, v23
	s_waitcnt lgkmcnt(0)
	ds_write_b128 v24, v[10:13] offset:13696
	ds_read_b128 v[10:13], v23 offset:12720
	s_waitcnt lgkmcnt(0)
	ds_write_b128 v24, v[10:13] offset:14208
.LBB177_414:
	s_or_b64 exec, exec, s[8:9]
	s_waitcnt lgkmcnt(0)
	s_barrier
	s_and_saveexec_b64 s[8:9], vcc
	s_cbranch_execz .LBB177_416
; %bb.415:
	s_mov_b32 s12, 0
	v_mov_b32_e32 v27, 0
	ds_read_b128 v[10:13], v27 offset:13744
	s_mov_b32 s15, s12
	s_mov_b32 s13, 0x3ff00000
	;; [unrolled: 1-line block ×3, first 2 shown]
	v_mov_b32_e32 v26, s15
	v_mov_b32_e32 v25, s14
	;; [unrolled: 1-line block ×4, first 2 shown]
	ds_write_b128 v27, v[23:26] offset:13728
	ds_write_b128 v27, v[23:26] offset:14256
	s_waitcnt lgkmcnt(2)
	ds_write_b128 v27, v[10:13] offset:14240
.LBB177_416:
	s_or_b64 exec, exec, s[8:9]
	v_mov_b32_e32 v12, 0
	v_mov_b32_e32 v10, 0
	;; [unrolled: 1-line block ×4, first 2 shown]
	s_waitcnt lgkmcnt(0)
	s_barrier
	s_and_saveexec_b64 s[10:11], s[16:17]
	s_cbranch_execz .LBB177_422
; %bb.417:
	v_mul_u32_u24_e32 v23, 0x210, v21
	ds_read_b128 v[10:13], v23 offset:12672
	ds_read_b128 v[24:27], v17 offset:12736
	v_cmp_gt_u32_e64 s[8:9], 12, v22
	s_waitcnt lgkmcnt(0)
	v_mul_f64 v[28:29], v[12:13], v[26:27]
	v_mul_f64 v[26:27], v[10:11], v[26:27]
	v_fma_f64 v[10:11], v[10:11], v[24:25], -v[28:29]
	v_fma_f64 v[12:13], v[12:13], v[24:25], v[26:27]
	v_add_f64 v[10:11], v[10:11], 0
	v_add_f64 v[12:13], v[12:13], 0
	s_and_saveexec_b64 s[12:13], s[8:9]
	s_cbranch_execnz .LBB177_539
; %bb.418:
	s_or_b64 exec, exec, s[12:13]
	v_cmp_gt_u32_e64 s[8:9], 8, v22
	s_and_saveexec_b64 s[12:13], s[8:9]
	s_cbranch_execnz .LBB177_540
.LBB177_419:
	s_or_b64 exec, exec, s[12:13]
	v_cmp_gt_u32_e64 s[8:9], 4, v22
	s_and_saveexec_b64 s[12:13], s[8:9]
	s_cbranch_execz .LBB177_421
.LBB177_420:
	v_mov_b32_e32 v21, 0
	v_lshlrev_b32_e32 v20, 4, v0
	ds_read_b128 v[23:26], v21 offset:12720
	ds_read_b128 v[27:30], v20 offset:14272
	s_waitcnt lgkmcnt(0)
	v_mul_f64 v[20:21], v[25:26], v[29:30]
	v_mul_f64 v[29:30], v[23:24], v[29:30]
	v_fma_f64 v[20:21], v[23:24], v[27:28], -v[20:21]
	v_fma_f64 v[23:24], v[25:26], v[27:28], v[29:30]
	v_add_f64 v[10:11], v[10:11], v[20:21]
	v_add_f64 v[12:13], v[12:13], v[23:24]
.LBB177_421:
	s_or_b64 exec, exec, s[12:13]
	v_xor_b32_e32 v11, 0x80000000, v11
	v_xor_b32_e32 v13, 0x80000000, v13
.LBB177_422:
	s_or_b64 exec, exec, s[10:11]
	s_and_saveexec_b64 s[8:9], s[48:49]
; %bb.423:
	ds_write_b128 v19, v[10:13]
; %bb.424:
	s_or_b64 exec, exec, s[8:9]
	s_waitcnt lgkmcnt(0)
	s_barrier
	s_and_saveexec_b64 s[8:9], s[50:51]
	s_cbranch_execz .LBB177_426
; %bb.425:
	ds_read_b128 v[23:26], v19
	ds_read_b128 v[27:30], v18 offset:14784
	s_waitcnt lgkmcnt(0)
	v_mul_f64 v[20:21], v[25:26], v[29:30]
	v_mul_f64 v[29:30], v[23:24], v[29:30]
	v_fma_f64 v[20:21], v[23:24], v[27:28], -v[20:21]
	v_fma_f64 v[23:24], v[25:26], v[27:28], v[29:30]
	v_add_f64 v[10:11], v[10:11], v[20:21]
	v_add_f64 v[12:13], v[12:13], v[23:24]
.LBB177_426:
	s_or_b64 exec, exec, s[8:9]
	s_barrier
	s_and_saveexec_b64 s[8:9], s[52:53]
; %bb.427:
	ds_write_b128 v19, v[10:13]
; %bb.428:
	s_or_b64 exec, exec, s[8:9]
	s_waitcnt lgkmcnt(0)
	s_barrier
	s_and_saveexec_b64 s[8:9], s[54:55]
	s_cbranch_execz .LBB177_430
; %bb.429:
	ds_read_b128 v[23:26], v19
	ds_read_b128 v[27:30], v18 offset:15296
	s_waitcnt lgkmcnt(0)
	v_mul_f64 v[20:21], v[25:26], v[29:30]
	v_mul_f64 v[29:30], v[23:24], v[29:30]
	v_fma_f64 v[20:21], v[23:24], v[27:28], -v[20:21]
	v_fma_f64 v[23:24], v[25:26], v[27:28], v[29:30]
	v_add_f64 v[10:11], v[10:11], v[20:21]
	v_add_f64 v[12:13], v[12:13], v[23:24]
.LBB177_430:
	s_or_b64 exec, exec, s[8:9]
	s_barrier
	s_and_saveexec_b64 s[8:9], s[56:57]
; %bb.431:
	ds_write_b128 v19, v[10:13]
; %bb.432:
	s_or_b64 exec, exec, s[8:9]
	s_waitcnt lgkmcnt(0)
	s_barrier
	s_and_saveexec_b64 s[8:9], s[46:47]
	s_cbranch_execz .LBB177_434
; %bb.433:
	v_mov_b32_e32 v18, 0
	ds_read_b128 v[23:26], v19
	ds_read_b128 v[27:30], v18 offset:15856
	s_waitcnt lgkmcnt(0)
	v_mul_f64 v[20:21], v[25:26], v[29:30]
	v_mul_f64 v[29:30], v[23:24], v[29:30]
	v_fma_f64 v[20:21], v[23:24], v[27:28], -v[20:21]
	v_fma_f64 v[23:24], v[25:26], v[27:28], v[29:30]
	v_add_f64 v[10:11], v[10:11], v[20:21]
	v_add_f64 v[12:13], v[12:13], v[23:24]
.LBB177_434:
	s_or_b64 exec, exec, s[8:9]
	s_barrier
	s_and_saveexec_b64 s[8:9], s[46:47]
; %bb.435:
	ds_write_b128 v19, v[10:13]
; %bb.436:
	s_or_b64 exec, exec, s[8:9]
	s_waitcnt lgkmcnt(0)
	s_barrier
	s_barrier
	s_and_saveexec_b64 s[8:9], s[16:17]
; %bb.437:
	v_xor_b32_e32 v13, 0x80000000, v13
	v_xor_b32_e32 v11, 0x80000000, v11
	ds_write_b128 v17, v[10:13] offset:12736
; %bb.438:
	s_or_b64 exec, exec, s[8:9]
	s_waitcnt lgkmcnt(0)
	s_barrier
	s_barrier
	s_and_saveexec_b64 s[8:9], s[58:59]
	s_cbranch_execz .LBB177_440
; %bb.439:
	v_lshlrev_b32_e32 v17, 4, v0
	s_movk_i32 s0, 0x1f0
	v_mad_u32_u24 v18, v0, s0, v17
	ds_read_b128 v[10:13], v18 offset:12736
	s_waitcnt lgkmcnt(0)
	ds_write_b128 v17, v[10:13] offset:14720
	ds_read_b128 v[10:13], v18 offset:12752
	s_waitcnt lgkmcnt(0)
	ds_write_b128 v17, v[10:13] offset:15232
	;; [unrolled: 3-line block ×4, first 2 shown]
.LBB177_440:
	s_or_b64 exec, exec, s[8:9]
	s_waitcnt lgkmcnt(0)
	s_barrier
	s_and_saveexec_b64 s[8:9], vcc
	s_cbranch_execz .LBB177_442
; %bb.441:
	s_mov_b32 s12, 0
	v_mov_b32_e32 v21, 0
	ds_read_b128 v[10:13], v21 offset:14800
	s_mov_b32 s15, s12
	s_mov_b32 s13, 0x3ff00000
	;; [unrolled: 1-line block ×3, first 2 shown]
	v_mov_b32_e32 v20, s15
	v_mov_b32_e32 v19, s14
	;; [unrolled: 1-line block ×4, first 2 shown]
	ds_write_b128 v21, v[17:20] offset:14784
	ds_write_b128 v21, v[17:20] offset:15312
	s_waitcnt lgkmcnt(2)
	ds_write_b128 v21, v[10:13] offset:15296
.LBB177_442:
	s_or_b64 exec, exec, s[8:9]
	v_mov_b32_e32 v12, 0
	v_mov_b32_e32 v10, 0
	;; [unrolled: 1-line block ×4, first 2 shown]
	s_waitcnt lgkmcnt(0)
	s_barrier
	s_and_saveexec_b64 s[10:11], s[2:3]
	s_cbranch_execz .LBB177_446
; %bb.443:
	v_mul_u32_u24_e32 v10, 0x210, v16
	ds_read_b128 v[10:13], v10 offset:14784
	ds_read_b128 v[16:19], v14 offset:14816
	v_cmp_gt_u32_e64 s[8:9], 2, v22
	s_waitcnt lgkmcnt(0)
	v_mul_f64 v[20:21], v[12:13], v[18:19]
	v_mul_f64 v[18:19], v[10:11], v[18:19]
	v_fma_f64 v[10:11], v[10:11], v[16:17], -v[20:21]
	v_fma_f64 v[12:13], v[12:13], v[16:17], v[18:19]
	v_add_f64 v[10:11], v[10:11], 0
	v_add_f64 v[12:13], v[12:13], 0
	s_and_saveexec_b64 s[12:13], s[8:9]
	s_cbranch_execz .LBB177_445
; %bb.444:
	v_mov_b32_e32 v16, 0
	v_lshlrev_b32_e32 v20, 4, v0
	ds_read_b128 v[16:19], v16 offset:14800
	ds_read_b128 v[23:26], v20 offset:15328
	s_waitcnt lgkmcnt(0)
	v_mul_f64 v[20:21], v[18:19], v[25:26]
	v_mul_f64 v[25:26], v[16:17], v[25:26]
	v_fma_f64 v[16:17], v[16:17], v[23:24], -v[20:21]
	v_fma_f64 v[18:19], v[18:19], v[23:24], v[25:26]
	v_add_f64 v[10:11], v[10:11], v[16:17]
	v_add_f64 v[12:13], v[12:13], v[18:19]
.LBB177_445:
	s_or_b64 exec, exec, s[12:13]
	v_xor_b32_e32 v11, 0x80000000, v11
	v_xor_b32_e32 v13, 0x80000000, v13
.LBB177_446:
	s_or_b64 exec, exec, s[10:11]
	s_and_saveexec_b64 s[8:9], s[42:43]
; %bb.447:
	ds_write_b128 v15, v[10:13]
; %bb.448:
	s_or_b64 exec, exec, s[8:9]
	s_waitcnt lgkmcnt(0)
	s_barrier
	s_and_saveexec_b64 s[8:9], s[40:41]
	v_readlane_b32 s42, v43, 0
	v_readlane_b32 s43, v43, 1
	s_cbranch_execz .LBB177_450
; %bb.449:
	v_mov_b32_e32 v20, 0
	ds_read_b128 v[16:19], v15
	ds_read_b128 v[23:26], v20 offset:15856
	s_waitcnt lgkmcnt(0)
	v_mul_f64 v[20:21], v[18:19], v[25:26]
	v_mul_f64 v[25:26], v[16:17], v[25:26]
	v_fma_f64 v[16:17], v[16:17], v[23:24], -v[20:21]
	v_fma_f64 v[18:19], v[18:19], v[23:24], v[25:26]
	v_add_f64 v[10:11], v[10:11], v[16:17]
	v_add_f64 v[12:13], v[12:13], v[18:19]
.LBB177_450:
	s_or_b64 exec, exec, s[8:9]
	s_barrier
	s_and_saveexec_b64 s[8:9], s[40:41]
; %bb.451:
	ds_write_b128 v15, v[10:13]
; %bb.452:
	s_or_b64 exec, exec, s[8:9]
	s_waitcnt lgkmcnt(0)
	s_barrier
	s_barrier
	s_and_saveexec_b64 s[8:9], s[2:3]
; %bb.453:
	v_xor_b32_e32 v11, 0x80000000, v11
	v_xor_b32_e32 v13, 0x80000000, v13
	ds_write_b128 v14, v[10:13] offset:14816
; %bb.454:
	s_or_b64 exec, exec, s[8:9]
	s_waitcnt lgkmcnt(0)
	s_barrier
	s_barrier
	s_and_saveexec_b64 s[2:3], s[44:45]
	s_cbranch_execz .LBB177_456
; %bb.455:
	v_lshlrev_b32_e32 v14, 9, v0
	ds_read_b128 v[10:13], v14 offset:14816
	s_movk_i32 s0, 0xfe10
	v_mad_i32_i24 v15, v0, s0, v14
	s_waitcnt lgkmcnt(0)
	ds_write_b128 v15, v[10:13] offset:15808
	ds_read_b128 v[10:13], v14 offset:14832
	s_waitcnt lgkmcnt(0)
	ds_write_b128 v15, v[10:13] offset:16320
.LBB177_456:
	s_or_b64 exec, exec, s[2:3]
	s_waitcnt lgkmcnt(0)
	s_barrier
	s_and_saveexec_b64 s[2:3], vcc
	s_cbranch_execz .LBB177_458
; %bb.457:
	s_mov_b32 s8, 0
	v_mov_b32_e32 v18, 0
	ds_read_b128 v[10:13], v18 offset:15856
	s_mov_b32 s11, s8
	s_mov_b32 s9, 0x3ff00000
	;; [unrolled: 1-line block ×3, first 2 shown]
	v_mov_b32_e32 v17, s11
	v_mov_b32_e32 v16, s10
	v_mov_b32_e32 v15, s9
	v_mov_b32_e32 v14, s8
	ds_write_b128 v18, v[14:17] offset:15840
	ds_write_b128 v18, v[14:17] offset:16368
	s_waitcnt lgkmcnt(2)
	ds_write_b128 v18, v[10:13] offset:16352
.LBB177_458:
	s_or_b64 exec, exec, s[2:3]
.LBB177_459:
	s_lshl_b64 s[0:1], s[20:21], 4
	s_add_u32 s38, s38, s0
	v_cmp_le_i32_e32 vcc, s94, v0
	v_mov_b32_e32 v10, 0
	s_addc_u32 s39, s39, s1
	s_and_b64 s[16:17], vcc, s[34:35]
	v_mov_b32_e32 v11, 0
	v_cmp_eq_u32_e64 s[2:3], 0, v1
	s_xor_b64 s[0:1], s[16:17], -1
	v_mov_b32_e32 v13, v11
	s_and_b64 s[0:1], s[2:3], s[0:1]
	v_lshl_add_u32 v15, s33, 5, v0
	v_mov_b32_e32 v12, v10
	s_waitcnt lgkmcnt(0)
	s_barrier
	s_and_saveexec_b64 s[8:9], s[0:1]
	s_cbranch_execz .LBB177_461
; %bb.460:
	v_ashrrev_i32_e32 v12, 31, v15
	v_mul_lo_u32 v13, s23, v15
	v_mad_u64_u32 v[10:11], s[0:1], s22, v15, 0
	v_mul_lo_u32 v12, s22, v12
	v_add3_u32 v11, v11, v12, v13
	v_lshlrev_b64 v[10:11], 4, v[10:11]
	v_mov_b32_e32 v12, s39
	v_add_co_u32_e32 v10, vcc, s38, v10
	v_addc_co_u32_e32 v11, vcc, v12, v11, vcc
	flat_load_dwordx4 v[16:19], v[10:11]
	s_waitcnt vmcnt(0) lgkmcnt(0)
	v_mul_f64 v[10:11], s[24:25], v[16:17]
	v_mul_f64 v[12:13], s[24:25], v[18:19]
	v_fma_f64 v[10:11], s[26:27], v[18:19], -v[10:11]
	v_fma_f64 v[12:13], v[16:17], -s[26:27], -v[12:13]
.LBB177_461:
	s_or_b64 exec, exec, s[8:9]
	s_load_dwordx2 s[14:15], s[4:5], 0x50
	s_and_b32 s0, 0xffff, s63
	v_mad_u32_u24 v23, v1, s0, v0
	v_mov_b32_e32 v14, 0
	s_cmp_lt_i32 s6, 1
	v_cmp_eq_u32_e64 s[4:5], 0, v23
	s_cbranch_scc1 .LBB177_484
; %bb.462:
	v_ashrrev_i32_e32 v18, 31, v15
	v_mul_lo_u32 v19, s37, v15
	v_mad_u64_u32 v[16:17], s[0:1], s36, v15, 0
	v_mul_lo_u32 v18, s36, v18
	s_lshl_b64 s[8:9], s[28:29], 2
	s_waitcnt lgkmcnt(0)
	s_add_u32 s18, s14, s8
	s_addc_u32 s19, s15, s9
	v_add3_u32 v17, v17, v18, v19
	v_cmp_gt_i32_e64 s[8:9], s30, v15
	v_lshlrev_b64 v[15:16], 4, v[16:17]
	v_mov_b32_e32 v18, 0x6000
	v_mov_b32_e32 v17, s62
	v_add_co_u32_e32 v26, vcc, s95, v15
	s_mov_b32 s0, 0
	v_cmp_gt_u32_e64 s[12:13], 32, v23
	v_lshl_add_u32 v24, v23, 4, v18
	v_lshl_or_b32 v25, v1, 4, v18
	s_add_i32 s1, s33, 1
	v_addc_co_u32_e32 v27, vcc, v17, v16, vcc
	v_mov_b32_e32 v28, -1
	s_branch .LBB177_465
.LBB177_463:                            ;   in Loop: Header=BB177_465 Depth=1
	ds_read_b128 v[29:32], v25 offset:256
	s_waitcnt vmcnt(0) lgkmcnt(0)
	v_mul_f64 v[15:16], v[19:20], v[31:32]
	v_mul_f64 v[19:20], v[19:20], v[29:30]
	v_fma_f64 v[15:16], v[17:18], v[29:30], v[15:16]
	v_fma_f64 v[17:18], v[17:18], v[31:32], -v[19:20]
	v_add_f64 v[10:11], v[10:11], v[15:16]
	v_add_f64 v[12:13], v[12:13], v[17:18]
.LBB177_464:                            ;   in Loop: Header=BB177_465 Depth=1
	s_or_b64 exec, exec, s[20:21]
	s_add_i32 s0, s0, 1
	s_cmp_eq_u32 s0, s6
	s_cbranch_scc1 .LBB177_484
.LBB177_465:                            ; =>This Loop Header: Depth=1
                                        ;     Child Loop BB177_467 Depth 2
	v_cmp_gt_i32_e32 vcc, s0, v28
	s_and_b64 s[20:21], s[4:5], vcc
	s_and_saveexec_b64 s[10:11], s[20:21]
	s_cbranch_execz .LBB177_468
; %bb.466:                              ;   in Loop: Header=BB177_465 Depth=1
	global_load_dword v28, v14, s[18:19]
	s_waitcnt vmcnt(0)
	v_cmp_le_i32_e32 vcc, s0, v28
	s_cbranch_vccnz .LBB177_468
.LBB177_467:                            ;   Parent Loop BB177_465 Depth=1
                                        ; =>  This Inner Loop Header: Depth=2
	buffer_wbinvl1_vol
	global_load_dword v28, v14, s[18:19]
	s_waitcnt vmcnt(0)
	v_cmp_gt_i32_e32 vcc, s0, v28
	s_cbranch_vccnz .LBB177_467
.LBB177_468:                            ;   in Loop: Header=BB177_465 Depth=1
	s_or_b64 exec, exec, s[10:11]
	s_sub_i32 s24, s7, s0
	s_lshl_b32 s25, s24, 5
	buffer_wbinvl1_vol
	s_barrier
	s_and_saveexec_b64 s[10:11], s[12:13]
	s_cbranch_execz .LBB177_473
; %bb.469:                              ;   in Loop: Header=BB177_465 Depth=1
	s_ashr_i32 s20, s25, 31
	v_mov_b32_e32 v16, s20
	v_or_b32_e32 v15, s25, v23
	v_cmp_le_i64_e32 vcc, s[30:31], v[15:16]
	s_and_saveexec_b64 s[20:21], vcc
	s_xor_b64 s[20:21], exec, s[20:21]
; %bb.470:                              ;   in Loop: Header=BB177_465 Depth=1
	v_mov_b32_e32 v15, v14
	v_mov_b32_e32 v16, v14
	;; [unrolled: 1-line block ×3, first 2 shown]
	ds_write_b128 v24, v[14:17]
                                        ; implicit-def: $vgpr15_vgpr16
; %bb.471:                              ;   in Loop: Header=BB177_465 Depth=1
	s_andn2_saveexec_b64 s[20:21], s[20:21]
	s_cbranch_execz .LBB177_473
; %bb.472:                              ;   in Loop: Header=BB177_465 Depth=1
	v_mul_lo_u32 v17, v16, s22
	v_mul_lo_u32 v18, v15, s23
	v_mad_u64_u32 v[15:16], s[20:21], v15, s22, 0
	v_add3_u32 v16, v16, v18, v17
	v_lshlrev_b64 v[15:16], 4, v[15:16]
	v_mov_b32_e32 v17, s39
	v_add_co_u32_e32 v15, vcc, s38, v15
	v_addc_co_u32_e32 v16, vcc, v17, v16, vcc
	flat_load_dwordx4 v[15:18], v[15:16]
	s_waitcnt vmcnt(0) lgkmcnt(0)
	ds_write2_b64 v24, v[15:16], v[17:18] offset1:1
.LBB177_473:                            ;   in Loop: Header=BB177_465 Depth=1
	s_or_b64 exec, exec, s[10:11]
	v_add_u32_e32 v17, s25, v1
	v_ashrrev_i32_e32 v18, 31, v17
	v_lshlrev_b64 v[15:16], 4, v[17:18]
	s_cmp_lg_u32 s24, s1
	v_add_co_u32_e32 v15, vcc, v26, v15
	s_cselect_b64 s[10:11], -1, 0
	v_addc_co_u32_e32 v16, vcc, v27, v16, vcc
	v_cmp_gt_i32_e32 vcc, s30, v17
	v_cndmask_b32_e64 v18, 0, 1, s[10:11]
	s_and_b64 s[24:25], vcc, s[8:9]
	v_cmp_ne_u32_e64 s[10:11], 1, v18
	s_waitcnt lgkmcnt(0)
	s_barrier
	s_and_saveexec_b64 s[20:21], s[24:25]
	s_cbranch_execz .LBB177_479
; %bb.474:                              ;   in Loop: Header=BB177_465 Depth=1
	v_mov_b32_e32 v19, v7
	s_and_b64 vcc, exec, s[10:11]
	v_mov_b32_e32 v18, v6
	s_cbranch_vccnz .LBB177_476
; %bb.475:                              ;   in Loop: Header=BB177_465 Depth=1
	flat_load_dwordx2 v[18:19], v[15:16]
.LBB177_476:                            ;   in Loop: Header=BB177_465 Depth=1
	v_mov_b32_e32 v21, v9
	s_and_b64 vcc, exec, s[10:11]
	v_mov_b32_e32 v20, v8
	s_cbranch_vccnz .LBB177_478
; %bb.477:                              ;   in Loop: Header=BB177_465 Depth=1
	flat_load_dwordx2 v[20:21], v[15:16] offset:8
.LBB177_478:                            ;   in Loop: Header=BB177_465 Depth=1
	ds_read_b128 v[29:32], v25
	s_waitcnt vmcnt(0) lgkmcnt(0)
	v_mul_f64 v[33:34], v[20:21], v[31:32]
	v_mul_f64 v[20:21], v[20:21], v[29:30]
	v_fma_f64 v[29:30], v[18:19], v[29:30], v[33:34]
	v_fma_f64 v[18:19], v[18:19], v[31:32], -v[20:21]
	v_add_f64 v[10:11], v[10:11], v[29:30]
	v_add_f64 v[12:13], v[12:13], v[18:19]
.LBB177_479:                            ;   in Loop: Header=BB177_465 Depth=1
	s_or_b64 exec, exec, s[20:21]
	v_add_u32_e32 v17, 16, v17
	v_cmp_gt_i32_e32 vcc, s30, v17
	s_and_b64 s[24:25], vcc, s[8:9]
	s_and_saveexec_b64 s[20:21], s[24:25]
	s_cbranch_execz .LBB177_464
; %bb.480:                              ;   in Loop: Header=BB177_465 Depth=1
	v_mov_b32_e32 v18, v3
	s_and_b64 vcc, exec, s[10:11]
	v_mov_b32_e32 v17, v2
	s_cbranch_vccnz .LBB177_482
; %bb.481:                              ;   in Loop: Header=BB177_465 Depth=1
	flat_load_dwordx2 v[17:18], v[15:16] offset:256
.LBB177_482:                            ;   in Loop: Header=BB177_465 Depth=1
	v_mov_b32_e32 v20, v5
	s_and_b64 vcc, exec, s[10:11]
	v_mov_b32_e32 v19, v4
	s_cbranch_vccnz .LBB177_463
; %bb.483:                              ;   in Loop: Header=BB177_465 Depth=1
	flat_load_dwordx2 v[19:20], v[15:16] offset:264
	s_branch .LBB177_463
.LBB177_484:
	s_xor_b64 s[4:5], s[34:35], -1
	v_lshlrev_b32_e32 v6, 4, v22
	ds_write_b128 v6, v[10:13] offset:16384
	s_waitcnt lgkmcnt(0)
	s_barrier
	s_and_saveexec_b64 s[6:7], s[2:3]
	s_cbranch_execz .LBB177_486
; %bb.485:
	v_lshlrev_b32_e32 v18, 4, v0
	ds_read_b128 v[2:5], v18 offset:16896
	ds_read_b128 v[14:17], v18 offset:17408
	s_waitcnt lgkmcnt(1)
	v_add_f64 v[2:3], v[10:11], v[2:3]
	v_add_f64 v[4:5], v[12:13], v[4:5]
	s_waitcnt lgkmcnt(0)
	v_add_f64 v[11:12], v[2:3], v[14:15]
	v_add_f64 v[13:14], v[4:5], v[16:17]
	ds_read_b128 v[2:5], v18 offset:17920
	ds_read_b128 v[7:10], v18 offset:18432
	s_waitcnt lgkmcnt(1)
	v_add_f64 v[2:3], v[11:12], v[2:3]
	v_add_f64 v[4:5], v[13:14], v[4:5]
	s_waitcnt lgkmcnt(0)
	v_add_f64 v[11:12], v[2:3], v[7:8]
	v_add_f64 v[13:14], v[4:5], v[9:10]
	;; [unrolled: 8-line block ×7, first 2 shown]
	ds_read_b128 v[2:5], v18 offset:24064
	s_waitcnt lgkmcnt(0)
	v_add_f64 v[2:3], v[7:8], v[2:3]
	v_add_f64 v[4:5], v[9:10], v[4:5]
	v_xor_b32_e32 v3, 0x80000000, v3
	v_xor_b32_e32 v5, 0x80000000, v5
	v_cndmask_b32_e64 v10, v2, 0, s[16:17]
	v_cndmask_b32_e64 v11, v3, 0, s[16:17]
	;; [unrolled: 1-line block ×4, first 2 shown]
.LBB177_486:
	s_or_b64 exec, exec, s[6:7]
	s_and_b64 vcc, exec, s[42:43]
	s_cbranch_vccnz .LBB177_495
; %bb.487:
	v_mov_b32_e32 v2, 0x6000
	v_lshl_or_b32 v7, v1, 4, v2
	s_and_saveexec_b64 s[0:1], s[2:3]
; %bb.488:
	v_lshl_add_u32 v2, v0, 4, v7
	ds_write_b128 v2, v[10:13]
; %bb.489:
	s_or_b64 exec, exec, s[0:1]
	v_mov_b32_e32 v2, 0
	v_mov_b32_e32 v4, 0
	;; [unrolled: 1-line block ×4, first 2 shown]
	v_cmp_le_u32_e32 vcc, v0, v1
	s_waitcnt lgkmcnt(0)
	s_barrier
	s_and_saveexec_b64 s[0:1], vcc
	s_cbranch_execz .LBB177_491
; %bb.490:
	ds_read_b128 v[2:5], v7
	ds_read_b128 v[14:17], v6
	s_waitcnt lgkmcnt(0)
	v_mul_f64 v[8:9], v[4:5], v[16:17]
	v_mul_f64 v[16:17], v[2:3], v[16:17]
	v_fma_f64 v[2:3], v[2:3], v[14:15], -v[8:9]
	v_fma_f64 v[4:5], v[4:5], v[14:15], v[16:17]
	v_add_f64 v[2:3], v[2:3], 0
	v_add_f64 v[4:5], v[4:5], 0
.LBB177_491:
	s_or_b64 exec, exec, s[0:1]
	v_add_u32_e32 v1, 16, v1
	v_add_u32_e32 v8, 0x4000, v6
	v_cmp_le_u32_e32 vcc, v0, v1
	s_and_saveexec_b64 s[0:1], vcc
	s_cbranch_execz .LBB177_493
; %bb.492:
	ds_read_b128 v[14:17], v7 offset:256
	ds_read_b128 v[18:21], v6 offset:8192
	s_waitcnt lgkmcnt(0)
	v_mul_f64 v[6:7], v[16:17], v[20:21]
	v_mul_f64 v[20:21], v[14:15], v[20:21]
	v_fma_f64 v[6:7], v[14:15], v[18:19], -v[6:7]
	v_fma_f64 v[14:15], v[16:17], v[18:19], v[20:21]
	v_add_f64 v[2:3], v[2:3], v[6:7]
	v_add_f64 v[4:5], v[4:5], v[14:15]
.LBB177_493:
	s_or_b64 exec, exec, s[0:1]
	s_mov_b64 s[6:7], 0
	s_mov_b64 s[0:1], 0
	ds_write_b128 v8, v[2:5]
	s_waitcnt lgkmcnt(0)
	s_barrier
                                        ; implicit-def: $vgpr6_vgpr7
                                        ; implicit-def: $vgpr8_vgpr9
	s_and_saveexec_b64 s[8:9], s[2:3]
	s_cbranch_execz .LBB177_513
; %bb.494:
	v_lshlrev_b32_e32 v18, 4, v0
	ds_read_b128 v[6:9], v18 offset:16896
	ds_read_b128 v[14:17], v18 offset:17408
	s_mov_b64 s[0:1], exec
	s_waitcnt lgkmcnt(1)
	v_add_f64 v[1:2], v[2:3], v[6:7]
	v_add_f64 v[3:4], v[4:5], v[8:9]
	s_waitcnt lgkmcnt(0)
	v_add_f64 v[14:15], v[1:2], v[14:15]
	v_add_f64 v[16:17], v[3:4], v[16:17]
	ds_read_b128 v[1:4], v18 offset:17920
	ds_read_b128 v[5:8], v18 offset:18432
	s_waitcnt lgkmcnt(1)
	v_add_f64 v[1:2], v[14:15], v[1:2]
	v_add_f64 v[3:4], v[16:17], v[3:4]
	s_waitcnt lgkmcnt(0)
	v_add_f64 v[14:15], v[1:2], v[5:6]
	v_add_f64 v[16:17], v[3:4], v[7:8]
	ds_read_b128 v[1:4], v18 offset:18944
	ds_read_b128 v[5:8], v18 offset:19456
	s_waitcnt lgkmcnt(1)
	v_add_f64 v[1:2], v[14:15], v[1:2]
	v_add_f64 v[3:4], v[16:17], v[3:4]
	s_waitcnt lgkmcnt(0)
	v_add_f64 v[14:15], v[1:2], v[5:6]
	v_add_f64 v[16:17], v[3:4], v[7:8]
	ds_read_b128 v[1:4], v18 offset:19968
	ds_read_b128 v[5:8], v18 offset:20480
	s_waitcnt lgkmcnt(1)
	v_add_f64 v[1:2], v[14:15], v[1:2]
	v_add_f64 v[3:4], v[16:17], v[3:4]
	s_waitcnt lgkmcnt(0)
	v_add_f64 v[14:15], v[1:2], v[5:6]
	v_add_f64 v[16:17], v[3:4], v[7:8]
	ds_read_b128 v[1:4], v18 offset:20992
	ds_read_b128 v[5:8], v18 offset:21504
	s_waitcnt lgkmcnt(1)
	v_add_f64 v[1:2], v[14:15], v[1:2]
	v_add_f64 v[3:4], v[16:17], v[3:4]
	s_waitcnt lgkmcnt(0)
	v_add_f64 v[14:15], v[1:2], v[5:6]
	v_add_f64 v[16:17], v[3:4], v[7:8]
	ds_read_b128 v[1:4], v18 offset:22016
	ds_read_b128 v[5:8], v18 offset:22528
	s_waitcnt lgkmcnt(1)
	v_add_f64 v[1:2], v[14:15], v[1:2]
	v_add_f64 v[3:4], v[16:17], v[3:4]
	s_waitcnt lgkmcnt(0)
	v_add_f64 v[14:15], v[1:2], v[5:6]
	v_add_f64 v[16:17], v[3:4], v[7:8]
	ds_read_b128 v[1:4], v18 offset:23040
	ds_read_b128 v[5:8], v18 offset:23552
	s_waitcnt lgkmcnt(1)
	v_add_f64 v[1:2], v[14:15], v[1:2]
	v_add_f64 v[3:4], v[16:17], v[3:4]
	s_waitcnt lgkmcnt(0)
	v_add_f64 v[5:6], v[1:2], v[5:6]
	v_add_f64 v[14:15], v[3:4], v[7:8]
	ds_read_b128 v[1:4], v18 offset:24064
	s_waitcnt lgkmcnt(0)
	v_add_f64 v[8:9], v[5:6], v[1:2]
	v_add_f64 v[6:7], v[14:15], v[3:4]
	s_or_b64 exec, exec, s[8:9]
	s_and_b64 vcc, exec, s[6:7]
	s_cbranch_vccnz .LBB177_496
	s_branch .LBB177_514
.LBB177_495:
	s_mov_b64 s[0:1], 0
                                        ; implicit-def: $vgpr6_vgpr7
                                        ; implicit-def: $vgpr8_vgpr9
	s_cbranch_execz .LBB177_514
.LBB177_496:
	v_mov_b32_e32 v1, 0x3c00
	v_lshl_add_u32 v1, v0, 4, v1
	v_mov_b32_e32 v3, 31
	v_mov_b32_e32 v2, 0
	s_branch .LBB177_498
.LBB177_497:                            ;   in Loop: Header=BB177_498 Depth=1
	s_or_b64 exec, exec, s[6:7]
	v_subrev_co_u32_e32 v3, vcc, 1, v3
	s_andn2_b64 vcc, exec, vcc
	v_add_u32_e32 v1, 0xfffffc00, v1
	s_barrier
	s_cbranch_vccz .LBB177_506
.LBB177_498:                            ; =>This Inner Loop Header: Depth=1
	v_cmp_eq_u32_e32 vcc, v0, v3
	s_and_b64 s[8:9], s[2:3], vcc
	s_and_saveexec_b64 s[6:7], s[8:9]
; %bb.499:                              ;   in Loop: Header=BB177_498 Depth=1
	ds_write_b128 v2, v[10:13] offset:25088
; %bb.500:                              ;   in Loop: Header=BB177_498 Depth=1
	s_or_b64 exec, exec, s[6:7]
	v_cmp_lt_u32_e32 vcc, v0, v3
	s_and_b64 s[8:9], s[2:3], vcc
	s_waitcnt lgkmcnt(0)
	s_barrier
	s_and_saveexec_b64 s[6:7], s[8:9]
	s_cbranch_execz .LBB177_502
; %bb.501:                              ;   in Loop: Header=BB177_498 Depth=1
	ds_read_b128 v[4:7], v2 offset:25088
	ds_read_b128 v[14:17], v1 offset:512
	s_waitcnt lgkmcnt(0)
	v_mul_f64 v[8:9], v[6:7], v[16:17]
	v_mul_f64 v[16:17], v[4:5], v[16:17]
	v_fma_f64 v[4:5], v[4:5], v[14:15], -v[8:9]
	v_fma_f64 v[6:7], v[6:7], v[14:15], v[16:17]
	v_add_f64 v[10:11], v[10:11], v[4:5]
	v_add_f64 v[12:13], v[12:13], v[6:7]
.LBB177_502:                            ;   in Loop: Header=BB177_498 Depth=1
	s_or_b64 exec, exec, s[6:7]
	v_add_u32_e32 v3, -1, v3
	v_cmp_eq_u32_e32 vcc, v0, v3
	s_and_b64 s[8:9], s[2:3], vcc
	s_barrier
	s_and_saveexec_b64 s[6:7], s[8:9]
; %bb.503:                              ;   in Loop: Header=BB177_498 Depth=1
	ds_write_b128 v2, v[10:13] offset:25088
; %bb.504:                              ;   in Loop: Header=BB177_498 Depth=1
	s_or_b64 exec, exec, s[6:7]
	v_cmp_lt_u32_e32 vcc, v0, v3
	s_and_b64 s[8:9], s[2:3], vcc
	s_waitcnt lgkmcnt(0)
	s_barrier
	s_and_saveexec_b64 s[6:7], s[8:9]
	s_cbranch_execz .LBB177_497
; %bb.505:                              ;   in Loop: Header=BB177_498 Depth=1
	ds_read_b128 v[4:7], v2 offset:25088
	ds_read_b128 v[14:17], v1
	s_waitcnt lgkmcnt(0)
	v_mul_f64 v[8:9], v[6:7], v[16:17]
	v_mul_f64 v[16:17], v[4:5], v[16:17]
	v_fma_f64 v[4:5], v[4:5], v[14:15], -v[8:9]
	v_fma_f64 v[6:7], v[6:7], v[14:15], v[16:17]
	v_add_f64 v[10:11], v[10:11], v[4:5]
	v_add_f64 v[12:13], v[12:13], v[6:7]
	s_branch .LBB177_497
.LBB177_506:
	s_mov_b64 s[6:7], -1
	s_and_b64 vcc, exec, s[4:5]
	s_cbranch_vccnz .LBB177_515
; %bb.507:
	s_andn2_b64 vcc, exec, s[6:7]
	s_cbranch_vccz .LBB177_516
.LBB177_508:
	s_and_saveexec_b64 s[2:3], s[0:1]
	s_cbranch_execz .LBB177_510
.LBB177_509:
	s_lshl_b32 s0, s33, 5
	s_ashr_i32 s1, s0, 31
	v_mov_b32_e32 v0, s1
	v_add_co_u32_e32 v1, vcc, s0, v23
	v_addc_co_u32_e32 v0, vcc, 0, v0, vcc
	v_mul_lo_u32 v2, v0, s22
	v_mul_lo_u32 v3, v1, s23
	v_mad_u64_u32 v[0:1], s[0:1], v1, s22, 0
	v_add3_u32 v1, v1, v3, v2
	v_lshlrev_b64 v[0:1], 4, v[0:1]
	v_mov_b32_e32 v2, s39
	v_add_co_u32_e32 v0, vcc, s38, v0
	v_addc_co_u32_e32 v1, vcc, v2, v1, vcc
	flat_store_dwordx4 v[0:1], v[10:13]
.LBB177_510:
	s_or_b64 exec, exec, s[2:3]
	v_cmp_eq_u32_e32 vcc, 0, v23
	s_waitcnt vmcnt(0) lgkmcnt(0)
	buffer_wbinvl1_vol
	s_barrier
	s_and_saveexec_b64 s[0:1], vcc
	s_cbranch_execz .LBB177_512
; %bb.511:
	s_lshl_b64 s[2:3], s[28:29], 2
	s_add_u32 s2, s14, s2
	s_addc_u32 s3, s15, s3
	v_mov_b32_e32 v0, 0
	global_load_dword v1, v0, s[2:3]
	s_waitcnt vmcnt(0)
	v_add_u32_e32 v1, 1, v1
	global_store_dword v0, v1, s[2:3]
.LBB177_512:
	s_or_b64 exec, exec, s[0:1]
	s_waitcnt vmcnt(0)
	buffer_wbinvl1_vol
	s_endpgm
.LBB177_513:
	s_or_b64 exec, exec, s[8:9]
	s_and_b64 vcc, exec, s[6:7]
	s_cbranch_vccnz .LBB177_496
.LBB177_514:
	v_mov_b32_e32 v13, v7
	v_mov_b32_e32 v11, v9
	;; [unrolled: 1-line block ×4, first 2 shown]
	s_and_saveexec_b64 s[2:3], s[0:1]
	s_cbranch_execnz .LBB177_509
	s_branch .LBB177_510
.LBB177_515:
	s_andn2_b64 s[0:1], s[0:1], exec
	s_and_b64 s[4:5], s[2:3], exec
	s_or_b64 s[0:1], s[0:1], s[4:5]
	s_cbranch_execnz .LBB177_508
.LBB177_516:
	v_cmp_gt_i32_e32 vcc, s94, v0
	s_and_b64 s[2:3], s[2:3], vcc
	s_andn2_b64 s[0:1], s[0:1], exec
	s_and_b64 s[2:3], s[2:3], exec
	s_or_b64 s[0:1], s[0:1], s[2:3]
	s_and_saveexec_b64 s[2:3], s[0:1]
	s_cbranch_execnz .LBB177_509
	s_branch .LBB177_510
.LBB177_517:
	v_lshlrev_b32_e32 v23, 4, v21
	v_sub_u32_e32 v23, v19, v23
	v_lshl_add_u32 v27, v20, 4, v23
	ds_read_b128 v[23:26], v19 offset:16
	ds_read_b128 v[27:30], v27 offset:576
	s_waitcnt lgkmcnt(0)
	v_mul_f64 v[31:32], v[25:26], v[29:30]
	v_mul_f64 v[29:30], v[23:24], v[29:30]
	v_fma_f64 v[23:24], v[23:24], v[27:28], -v[31:32]
	v_fma_f64 v[25:26], v[25:26], v[27:28], v[29:30]
	v_add_f64 v[10:11], v[10:11], v[23:24]
	v_add_f64 v[12:13], v[12:13], v[25:26]
	s_or_b64 exec, exec, s[18:19]
	v_cmp_gt_u32_e64 s[12:13], 8, v22
	s_and_saveexec_b64 s[18:19], s[12:13]
	s_cbranch_execz .LBB177_57
.LBB177_518:
	ds_read_b128 v[23:26], v19 offset:32
	ds_read_b128 v[27:30], v17 offset:1088
	s_waitcnt lgkmcnt(0)
	v_mul_f64 v[31:32], v[25:26], v[29:30]
	v_mul_f64 v[29:30], v[23:24], v[29:30]
	v_fma_f64 v[23:24], v[23:24], v[27:28], -v[31:32]
	v_fma_f64 v[25:26], v[25:26], v[27:28], v[29:30]
	v_add_f64 v[10:11], v[10:11], v[23:24]
	v_add_f64 v[12:13], v[12:13], v[25:26]
	s_or_b64 exec, exec, s[18:19]
	v_cmp_gt_u32_e64 s[12:13], 4, v22
	s_and_saveexec_b64 s[18:19], s[12:13]
	s_cbranch_execnz .LBB177_58
	s_branch .LBB177_59
.LBB177_519:
	v_lshlrev_b32_e32 v28, 4, v27
	v_sub_u32_e32 v28, v25, v28
	v_lshl_add_u32 v32, v26, 4, v28
	ds_read_b128 v[28:31], v25 offset:16
	ds_read_b128 v[32:35], v32 offset:640
	s_waitcnt lgkmcnt(0)
	v_mul_f64 v[36:37], v[30:31], v[34:35]
	v_mul_f64 v[34:35], v[28:29], v[34:35]
	v_fma_f64 v[28:29], v[28:29], v[32:33], -v[36:37]
	v_fma_f64 v[30:31], v[30:31], v[32:33], v[34:35]
	v_add_f64 v[10:11], v[10:11], v[28:29]
	v_add_f64 v[12:13], v[12:13], v[30:31]
	s_or_b64 exec, exec, s[60:61]
	v_cmp_gt_u32_e64 s[14:15], 48, v22
	s_and_saveexec_b64 s[60:61], s[14:15]
	s_cbranch_execz .LBB177_99
.LBB177_520:
	v_lshlrev_b32_e32 v28, 4, v27
	v_sub_u32_e32 v28, v25, v28
	v_lshl_add_u32 v32, v26, 4, v28
	ds_read_b128 v[28:31], v25 offset:32
	ds_read_b128 v[32:35], v32 offset:1152
	s_waitcnt lgkmcnt(0)
	v_mul_f64 v[36:37], v[30:31], v[34:35]
	v_mul_f64 v[34:35], v[28:29], v[34:35]
	v_fma_f64 v[28:29], v[28:29], v[32:33], -v[36:37]
	v_fma_f64 v[30:31], v[30:31], v[32:33], v[34:35]
	v_add_f64 v[10:11], v[10:11], v[28:29]
	v_add_f64 v[12:13], v[12:13], v[30:31]
	s_or_b64 exec, exec, s[60:61]
	v_cmp_gt_u32_e64 s[14:15], 40, v22
	s_and_saveexec_b64 s[60:61], s[14:15]
	s_cbranch_execz .LBB177_100
.LBB177_521:
	v_lshlrev_b32_e32 v28, 4, v27
	v_sub_u32_e32 v28, v25, v28
	v_lshl_add_u32 v32, v26, 4, v28
	ds_read_b128 v[28:31], v25 offset:48
	ds_read_b128 v[32:35], v32 offset:1664
	s_waitcnt lgkmcnt(0)
	v_mul_f64 v[36:37], v[30:31], v[34:35]
	v_mul_f64 v[34:35], v[28:29], v[34:35]
	v_fma_f64 v[28:29], v[28:29], v[32:33], -v[36:37]
	v_fma_f64 v[30:31], v[30:31], v[32:33], v[34:35]
	v_add_f64 v[10:11], v[10:11], v[28:29]
	v_add_f64 v[12:13], v[12:13], v[30:31]
	s_or_b64 exec, exec, s[60:61]
	v_cmp_gt_u32_e64 s[14:15], 32, v22
	s_and_saveexec_b64 s[60:61], s[14:15]
	s_cbranch_execz .LBB177_101
.LBB177_522:
	ds_read_b128 v[28:31], v25 offset:64
	ds_read_b128 v[32:35], v23 offset:2176
	s_waitcnt lgkmcnt(0)
	v_mul_f64 v[36:37], v[30:31], v[34:35]
	v_mul_f64 v[34:35], v[28:29], v[34:35]
	v_fma_f64 v[28:29], v[28:29], v[32:33], -v[36:37]
	v_fma_f64 v[30:31], v[30:31], v[32:33], v[34:35]
	v_add_f64 v[10:11], v[10:11], v[28:29]
	v_add_f64 v[12:13], v[12:13], v[30:31]
	s_or_b64 exec, exec, s[60:61]
	v_cmp_gt_u32_e64 s[14:15], 24, v22
	s_and_saveexec_b64 s[60:61], s[14:15]
	s_cbranch_execz .LBB177_102
.LBB177_523:
	v_lshlrev_b32_e32 v28, 4, v27
	v_sub_u32_e32 v28, v25, v28
	v_lshl_add_u32 v32, v26, 4, v28
	ds_read_b128 v[28:31], v25 offset:80
	ds_read_b128 v[32:35], v32 offset:2688
	s_waitcnt lgkmcnt(0)
	v_mul_f64 v[36:37], v[30:31], v[34:35]
	v_mul_f64 v[34:35], v[28:29], v[34:35]
	v_fma_f64 v[28:29], v[28:29], v[32:33], -v[36:37]
	v_fma_f64 v[30:31], v[30:31], v[32:33], v[34:35]
	v_add_f64 v[10:11], v[10:11], v[28:29]
	v_add_f64 v[12:13], v[12:13], v[30:31]
	s_or_b64 exec, exec, s[60:61]
	v_cmp_gt_u32_e64 s[14:15], 16, v22
	s_and_saveexec_b64 s[60:61], s[14:15]
	s_cbranch_execz .LBB177_103
.LBB177_524:
	ds_read_b128 v[28:31], v25 offset:96
	ds_read_b128 v[32:35], v23 offset:3200
	s_waitcnt lgkmcnt(0)
	v_mul_f64 v[36:37], v[30:31], v[34:35]
	v_mul_f64 v[34:35], v[28:29], v[34:35]
	v_fma_f64 v[28:29], v[28:29], v[32:33], -v[36:37]
	v_fma_f64 v[30:31], v[30:31], v[32:33], v[34:35]
	v_add_f64 v[10:11], v[10:11], v[28:29]
	v_add_f64 v[12:13], v[12:13], v[30:31]
	s_or_b64 exec, exec, s[60:61]
	v_cmp_gt_u32_e64 s[14:15], 8, v22
	s_and_saveexec_b64 s[60:61], s[14:15]
	s_cbranch_execnz .LBB177_104
	s_branch .LBB177_105
.LBB177_525:
	v_lshlrev_b32_e32 v29, 4, v21
	v_sub_u32_e32 v29, v28, v29
	v_lshl_add_u32 v33, v20, 4, v29
	ds_read_b128 v[29:32], v28 offset:4240
	ds_read_b128 v[33:36], v33 offset:4800
	s_waitcnt lgkmcnt(0)
	v_mul_f64 v[37:38], v[31:32], v[35:36]
	v_mul_f64 v[35:36], v[29:30], v[35:36]
	v_fma_f64 v[29:30], v[29:30], v[33:34], -v[37:38]
	v_fma_f64 v[31:32], v[31:32], v[33:34], v[35:36]
	v_add_f64 v[10:11], v[10:11], v[29:30]
	v_add_f64 v[12:13], v[12:13], v[31:32]
	s_or_b64 exec, exec, s[18:19]
	v_cmp_gt_u32_e64 s[12:13], 8, v22
	s_and_saveexec_b64 s[18:19], s[12:13]
	s_cbranch_execz .LBB177_161
.LBB177_526:
	ds_read_b128 v[28:31], v28 offset:4256
	ds_read_b128 v[32:35], v17 offset:5312
	s_waitcnt lgkmcnt(0)
	v_mul_f64 v[36:37], v[30:31], v[34:35]
	v_mul_f64 v[34:35], v[28:29], v[34:35]
	v_fma_f64 v[28:29], v[28:29], v[32:33], -v[36:37]
	v_fma_f64 v[30:31], v[30:31], v[32:33], v[34:35]
	v_add_f64 v[10:11], v[10:11], v[28:29]
	v_add_f64 v[12:13], v[12:13], v[30:31]
	s_or_b64 exec, exec, s[18:19]
	v_cmp_gt_u32_e64 s[12:13], 4, v22
	s_and_saveexec_b64 s[18:19], s[12:13]
	s_cbranch_execnz .LBB177_162
	s_branch .LBB177_163
.LBB177_527:
	ds_read_b128 v[33:36], v32 offset:176
	ds_read_b128 v[37:40], v28 offset:5888
	s_waitcnt lgkmcnt(0)
	v_mul_f64 v[41:42], v[35:36], v[39:40]
	v_mul_f64 v[39:40], v[33:34], v[39:40]
	v_fma_f64 v[33:34], v[33:34], v[37:38], -v[41:42]
	v_fma_f64 v[35:36], v[35:36], v[37:38], v[39:40]
	v_add_f64 v[10:11], v[10:11], v[33:34]
	v_add_f64 v[12:13], v[12:13], v[35:36]
	s_or_b64 exec, exec, s[92:93]
	v_cmp_gt_u32_e64 s[18:19], 64, v22
	s_and_saveexec_b64 s[92:93], s[18:19]
	s_cbranch_execz .LBB177_223
.LBB177_528:
	ds_read_b128 v[33:36], v32 offset:192
	ds_read_b128 v[37:40], v28 offset:6400
	s_waitcnt lgkmcnt(0)
	v_mul_f64 v[41:42], v[35:36], v[39:40]
	v_mul_f64 v[39:40], v[33:34], v[39:40]
	v_fma_f64 v[33:34], v[33:34], v[37:38], -v[41:42]
	v_fma_f64 v[35:36], v[35:36], v[37:38], v[39:40]
	v_add_f64 v[10:11], v[10:11], v[33:34]
	v_add_f64 v[12:13], v[12:13], v[35:36]
	s_or_b64 exec, exec, s[92:93]
	v_cmp_gt_u32_e64 s[18:19], 48, v22
	s_and_saveexec_b64 s[92:93], s[18:19]
	s_cbranch_execz .LBB177_224
.LBB177_529:
	ds_read_b128 v[33:36], v32 offset:208
	ds_read_b128 v[37:40], v28 offset:6912
	s_waitcnt lgkmcnt(0)
	v_mul_f64 v[41:42], v[35:36], v[39:40]
	v_mul_f64 v[39:40], v[33:34], v[39:40]
	v_fma_f64 v[33:34], v[33:34], v[37:38], -v[41:42]
	v_fma_f64 v[35:36], v[35:36], v[37:38], v[39:40]
	v_add_f64 v[10:11], v[10:11], v[33:34]
	v_add_f64 v[12:13], v[12:13], v[35:36]
	s_or_b64 exec, exec, s[92:93]
	v_cmp_gt_u32_e64 s[18:19], 32, v22
	s_and_saveexec_b64 s[92:93], s[18:19]
	s_cbranch_execz .LBB177_225
.LBB177_530:
	ds_read_b128 v[32:35], v32 offset:224
	ds_read_b128 v[36:39], v28 offset:7424
	s_waitcnt lgkmcnt(0)
	v_mul_f64 v[40:41], v[34:35], v[38:39]
	v_mul_f64 v[38:39], v[32:33], v[38:39]
	v_fma_f64 v[32:33], v[32:33], v[36:37], -v[40:41]
	v_fma_f64 v[34:35], v[34:35], v[36:37], v[38:39]
	v_add_f64 v[10:11], v[10:11], v[32:33]
	v_add_f64 v[12:13], v[12:13], v[34:35]
	s_or_b64 exec, exec, s[92:93]
	v_cmp_gt_u32_e64 s[18:19], 16, v22
	s_and_saveexec_b64 s[92:93], s[18:19]
	s_cbranch_execnz .LBB177_226
	s_branch .LBB177_227
.LBB177_531:
	v_lshlrev_b32_e32 v29, 4, v21
	v_sub_u32_e32 v29, v28, v29
	v_lshl_add_u32 v33, v20, 4, v29
	ds_read_b128 v[29:32], v28 offset:8464
	ds_read_b128 v[33:36], v33 offset:9024
	s_waitcnt lgkmcnt(0)
	v_mul_f64 v[37:38], v[31:32], v[35:36]
	v_mul_f64 v[35:36], v[29:30], v[35:36]
	v_fma_f64 v[29:30], v[29:30], v[33:34], -v[37:38]
	v_fma_f64 v[31:32], v[31:32], v[33:34], v[35:36]
	v_add_f64 v[10:11], v[10:11], v[29:30]
	v_add_f64 v[12:13], v[12:13], v[31:32]
	s_or_b64 exec, exec, s[14:15]
	v_cmp_gt_u32_e64 s[10:11], 8, v22
	s_and_saveexec_b64 s[14:15], s[10:11]
	s_cbranch_execz .LBB177_315
.LBB177_532:
	ds_read_b128 v[28:31], v28 offset:8480
	ds_read_b128 v[32:35], v17 offset:9536
	s_waitcnt lgkmcnt(0)
	v_mul_f64 v[36:37], v[30:31], v[34:35]
	v_mul_f64 v[34:35], v[28:29], v[34:35]
	v_fma_f64 v[28:29], v[28:29], v[32:33], -v[36:37]
	v_fma_f64 v[30:31], v[30:31], v[32:33], v[34:35]
	v_add_f64 v[10:11], v[10:11], v[28:29]
	v_add_f64 v[12:13], v[12:13], v[30:31]
	s_or_b64 exec, exec, s[14:15]
	v_cmp_gt_u32_e64 s[10:11], 4, v22
	s_and_saveexec_b64 s[14:15], s[10:11]
	s_cbranch_execnz .LBB177_316
	s_branch .LBB177_317
.LBB177_533:
	v_lshlrev_b32_e32 v29, 4, v27
	v_sub_u32_e32 v29, v28, v29
	v_lshl_add_u32 v33, v26, 4, v29
	ds_read_b128 v[29:32], v28 offset:8464
	ds_read_b128 v[33:36], v33 offset:9088
	s_waitcnt lgkmcnt(0)
	v_mul_f64 v[37:38], v[31:32], v[35:36]
	v_mul_f64 v[35:36], v[29:30], v[35:36]
	v_fma_f64 v[29:30], v[29:30], v[33:34], -v[37:38]
	v_fma_f64 v[31:32], v[31:32], v[33:34], v[35:36]
	v_add_f64 v[10:11], v[10:11], v[29:30]
	v_add_f64 v[12:13], v[12:13], v[31:32]
	s_or_b64 exec, exec, s[14:15]
	v_cmp_gt_u32_e64 s[10:11], 48, v22
	s_and_saveexec_b64 s[14:15], s[10:11]
	s_cbranch_execz .LBB177_357
.LBB177_534:
	v_lshlrev_b32_e32 v29, 4, v27
	v_sub_u32_e32 v29, v28, v29
	v_lshl_add_u32 v33, v26, 4, v29
	ds_read_b128 v[29:32], v28 offset:8480
	ds_read_b128 v[33:36], v33 offset:9600
	s_waitcnt lgkmcnt(0)
	v_mul_f64 v[37:38], v[31:32], v[35:36]
	v_mul_f64 v[35:36], v[29:30], v[35:36]
	v_fma_f64 v[29:30], v[29:30], v[33:34], -v[37:38]
	v_fma_f64 v[31:32], v[31:32], v[33:34], v[35:36]
	v_add_f64 v[10:11], v[10:11], v[29:30]
	v_add_f64 v[12:13], v[12:13], v[31:32]
	s_or_b64 exec, exec, s[14:15]
	v_cmp_gt_u32_e64 s[10:11], 40, v22
	s_and_saveexec_b64 s[14:15], s[10:11]
	s_cbranch_execz .LBB177_358
.LBB177_535:
	v_lshlrev_b32_e32 v29, 4, v27
	v_sub_u32_e32 v29, v28, v29
	v_lshl_add_u32 v33, v26, 4, v29
	ds_read_b128 v[29:32], v28 offset:8496
	ds_read_b128 v[33:36], v33 offset:10112
	s_waitcnt lgkmcnt(0)
	v_mul_f64 v[37:38], v[31:32], v[35:36]
	v_mul_f64 v[35:36], v[29:30], v[35:36]
	v_fma_f64 v[29:30], v[29:30], v[33:34], -v[37:38]
	v_fma_f64 v[31:32], v[31:32], v[33:34], v[35:36]
	v_add_f64 v[10:11], v[10:11], v[29:30]
	v_add_f64 v[12:13], v[12:13], v[31:32]
	s_or_b64 exec, exec, s[14:15]
	v_cmp_gt_u32_e64 s[10:11], 32, v22
	s_and_saveexec_b64 s[14:15], s[10:11]
	s_cbranch_execz .LBB177_359
.LBB177_536:
	ds_read_b128 v[29:32], v28 offset:8512
	ds_read_b128 v[33:36], v23 offset:10624
	s_waitcnt lgkmcnt(0)
	v_mul_f64 v[37:38], v[31:32], v[35:36]
	v_mul_f64 v[35:36], v[29:30], v[35:36]
	v_fma_f64 v[29:30], v[29:30], v[33:34], -v[37:38]
	v_fma_f64 v[31:32], v[31:32], v[33:34], v[35:36]
	v_add_f64 v[10:11], v[10:11], v[29:30]
	v_add_f64 v[12:13], v[12:13], v[31:32]
	s_or_b64 exec, exec, s[14:15]
	v_cmp_gt_u32_e64 s[10:11], 24, v22
	s_and_saveexec_b64 s[14:15], s[10:11]
	s_cbranch_execz .LBB177_360
.LBB177_537:
	v_lshlrev_b32_e32 v27, 4, v27
	v_sub_u32_e32 v27, v28, v27
	v_lshl_add_u32 v26, v26, 4, v27
	ds_read_b128 v[29:32], v28 offset:8528
	ds_read_b128 v[33:36], v26 offset:11136
	s_waitcnt lgkmcnt(0)
	v_mul_f64 v[26:27], v[31:32], v[35:36]
	v_mul_f64 v[35:36], v[29:30], v[35:36]
	v_fma_f64 v[26:27], v[29:30], v[33:34], -v[26:27]
	v_fma_f64 v[29:30], v[31:32], v[33:34], v[35:36]
	v_add_f64 v[10:11], v[10:11], v[26:27]
	v_add_f64 v[12:13], v[12:13], v[29:30]
	s_or_b64 exec, exec, s[14:15]
	v_cmp_gt_u32_e64 s[10:11], 16, v22
	s_and_saveexec_b64 s[14:15], s[10:11]
	s_cbranch_execz .LBB177_361
.LBB177_538:
	ds_read_b128 v[26:29], v28 offset:8544
	ds_read_b128 v[30:33], v23 offset:11648
	s_waitcnt lgkmcnt(0)
	v_mul_f64 v[34:35], v[28:29], v[32:33]
	v_mul_f64 v[32:33], v[26:27], v[32:33]
	v_fma_f64 v[26:27], v[26:27], v[30:31], -v[34:35]
	v_fma_f64 v[28:29], v[28:29], v[30:31], v[32:33]
	v_add_f64 v[10:11], v[10:11], v[26:27]
	v_add_f64 v[12:13], v[12:13], v[28:29]
	s_or_b64 exec, exec, s[14:15]
	v_cmp_gt_u32_e64 s[10:11], 8, v22
	s_and_saveexec_b64 s[14:15], s[10:11]
	s_cbranch_execnz .LBB177_362
	s_branch .LBB177_363
.LBB177_539:
	v_lshlrev_b32_e32 v21, 4, v21
	v_sub_u32_e32 v21, v23, v21
	v_lshl_add_u32 v20, v20, 4, v21
	ds_read_b128 v[24:27], v23 offset:12688
	ds_read_b128 v[28:31], v20 offset:13248
	s_waitcnt lgkmcnt(0)
	v_mul_f64 v[20:21], v[26:27], v[30:31]
	v_mul_f64 v[30:31], v[24:25], v[30:31]
	v_fma_f64 v[20:21], v[24:25], v[28:29], -v[20:21]
	v_fma_f64 v[24:25], v[26:27], v[28:29], v[30:31]
	v_add_f64 v[10:11], v[10:11], v[20:21]
	v_add_f64 v[12:13], v[12:13], v[24:25]
	s_or_b64 exec, exec, s[12:13]
	v_cmp_gt_u32_e64 s[8:9], 8, v22
	s_and_saveexec_b64 s[12:13], s[8:9]
	s_cbranch_execz .LBB177_419
.LBB177_540:
	ds_read_b128 v[23:26], v23 offset:12704
	ds_read_b128 v[27:30], v17 offset:13760
	s_waitcnt lgkmcnt(0)
	v_mul_f64 v[20:21], v[25:26], v[29:30]
	v_mul_f64 v[29:30], v[23:24], v[29:30]
	v_fma_f64 v[20:21], v[23:24], v[27:28], -v[20:21]
	v_fma_f64 v[23:24], v[25:26], v[27:28], v[29:30]
	v_add_f64 v[10:11], v[10:11], v[20:21]
	v_add_f64 v[12:13], v[12:13], v[23:24]
	s_or_b64 exec, exec, s[12:13]
	v_cmp_gt_u32_e64 s[8:9], 4, v22
	s_and_saveexec_b64 s[12:13], s[8:9]
	s_cbranch_execnz .LBB177_420
	s_branch .LBB177_421
	.section	.rodata,"a",@progbits
	.p2align	6, 0x0
	.amdhsa_kernel _ZL19rocblas_trsv_deviceILi32ELi16ELb1ELb1ELb1ELb1E19rocblas_complex_numIdEPKS1_PKS3_PKPS1_EviT7_lllT6_T8_lllPii
		.amdhsa_group_segment_fixed_size 25104
		.amdhsa_private_segment_fixed_size 0
		.amdhsa_kernarg_size 352
		.amdhsa_user_sgpr_count 6
		.amdhsa_user_sgpr_private_segment_buffer 1
		.amdhsa_user_sgpr_dispatch_ptr 0
		.amdhsa_user_sgpr_queue_ptr 0
		.amdhsa_user_sgpr_kernarg_segment_ptr 1
		.amdhsa_user_sgpr_dispatch_id 0
		.amdhsa_user_sgpr_flat_scratch_init 0
		.amdhsa_user_sgpr_private_segment_size 0
		.amdhsa_uses_dynamic_stack 0
		.amdhsa_system_sgpr_private_segment_wavefront_offset 0
		.amdhsa_system_sgpr_workgroup_id_x 1
		.amdhsa_system_sgpr_workgroup_id_y 0
		.amdhsa_system_sgpr_workgroup_id_z 1
		.amdhsa_system_sgpr_workgroup_info 0
		.amdhsa_system_vgpr_workitem_id 1
		.amdhsa_next_free_vgpr 49
		.amdhsa_next_free_sgpr 98
		.amdhsa_reserve_vcc 1
		.amdhsa_reserve_flat_scratch 0
		.amdhsa_float_round_mode_32 0
		.amdhsa_float_round_mode_16_64 0
		.amdhsa_float_denorm_mode_32 3
		.amdhsa_float_denorm_mode_16_64 3
		.amdhsa_dx10_clamp 1
		.amdhsa_ieee_mode 1
		.amdhsa_fp16_overflow 0
		.amdhsa_exception_fp_ieee_invalid_op 0
		.amdhsa_exception_fp_denorm_src 0
		.amdhsa_exception_fp_ieee_div_zero 0
		.amdhsa_exception_fp_ieee_overflow 0
		.amdhsa_exception_fp_ieee_underflow 0
		.amdhsa_exception_fp_ieee_inexact 0
		.amdhsa_exception_int_div_zero 0
	.end_amdhsa_kernel
	.section	.text._ZL19rocblas_trsv_deviceILi32ELi16ELb1ELb1ELb1ELb1E19rocblas_complex_numIdEPKS1_PKS3_PKPS1_EviT7_lllT6_T8_lllPii,"axG",@progbits,_ZL19rocblas_trsv_deviceILi32ELi16ELb1ELb1ELb1ELb1E19rocblas_complex_numIdEPKS1_PKS3_PKPS1_EviT7_lllT6_T8_lllPii,comdat
.Lfunc_end177:
	.size	_ZL19rocblas_trsv_deviceILi32ELi16ELb1ELb1ELb1ELb1E19rocblas_complex_numIdEPKS1_PKS3_PKPS1_EviT7_lllT6_T8_lllPii, .Lfunc_end177-_ZL19rocblas_trsv_deviceILi32ELi16ELb1ELb1ELb1ELb1E19rocblas_complex_numIdEPKS1_PKS3_PKPS1_EviT7_lllT6_T8_lllPii
                                        ; -- End function
	.set _ZL19rocblas_trsv_deviceILi32ELi16ELb1ELb1ELb1ELb1E19rocblas_complex_numIdEPKS1_PKS3_PKPS1_EviT7_lllT6_T8_lllPii.num_vgpr, 44
	.set _ZL19rocblas_trsv_deviceILi32ELi16ELb1ELb1ELb1ELb1E19rocblas_complex_numIdEPKS1_PKS3_PKPS1_EviT7_lllT6_T8_lllPii.num_agpr, 0
	.set _ZL19rocblas_trsv_deviceILi32ELi16ELb1ELb1ELb1ELb1E19rocblas_complex_numIdEPKS1_PKS3_PKPS1_EviT7_lllT6_T8_lllPii.numbered_sgpr, 96
	.set _ZL19rocblas_trsv_deviceILi32ELi16ELb1ELb1ELb1ELb1E19rocblas_complex_numIdEPKS1_PKS3_PKPS1_EviT7_lllT6_T8_lllPii.num_named_barrier, 0
	.set _ZL19rocblas_trsv_deviceILi32ELi16ELb1ELb1ELb1ELb1E19rocblas_complex_numIdEPKS1_PKS3_PKPS1_EviT7_lllT6_T8_lllPii.private_seg_size, 0
	.set _ZL19rocblas_trsv_deviceILi32ELi16ELb1ELb1ELb1ELb1E19rocblas_complex_numIdEPKS1_PKS3_PKPS1_EviT7_lllT6_T8_lllPii.uses_vcc, 1
	.set _ZL19rocblas_trsv_deviceILi32ELi16ELb1ELb1ELb1ELb1E19rocblas_complex_numIdEPKS1_PKS3_PKPS1_EviT7_lllT6_T8_lllPii.uses_flat_scratch, 0
	.set _ZL19rocblas_trsv_deviceILi32ELi16ELb1ELb1ELb1ELb1E19rocblas_complex_numIdEPKS1_PKS3_PKPS1_EviT7_lllT6_T8_lllPii.has_dyn_sized_stack, 0
	.set _ZL19rocblas_trsv_deviceILi32ELi16ELb1ELb1ELb1ELb1E19rocblas_complex_numIdEPKS1_PKS3_PKPS1_EviT7_lllT6_T8_lllPii.has_recursion, 0
	.set _ZL19rocblas_trsv_deviceILi32ELi16ELb1ELb1ELb1ELb1E19rocblas_complex_numIdEPKS1_PKS3_PKPS1_EviT7_lllT6_T8_lllPii.has_indirect_call, 0
	.section	.AMDGPU.csdata,"",@progbits
; Kernel info:
; codeLenInByte = 21888
; TotalNumSgprs: 100
; NumVgprs: 44
; ScratchSize: 0
; MemoryBound: 1
; FloatMode: 240
; IeeeMode: 1
; LDSByteSize: 25104 bytes/workgroup (compile time only)
; SGPRBlocks: 12
; VGPRBlocks: 12
; NumSGPRsForWavesPerEU: 102
; NumVGPRsForWavesPerEU: 49
; Occupancy: 4
; WaveLimiterHint : 1
; COMPUTE_PGM_RSRC2:SCRATCH_EN: 0
; COMPUTE_PGM_RSRC2:USER_SGPR: 6
; COMPUTE_PGM_RSRC2:TRAP_HANDLER: 0
; COMPUTE_PGM_RSRC2:TGID_X_EN: 1
; COMPUTE_PGM_RSRC2:TGID_Y_EN: 0
; COMPUTE_PGM_RSRC2:TGID_Z_EN: 1
; COMPUTE_PGM_RSRC2:TIDIG_COMP_CNT: 1
	.section	.text._ZL19rocblas_trsv_deviceILi32ELi16ELb1ELb0ELb0ELb0E19rocblas_complex_numIdEPKS1_PKS3_PKPS1_EviT7_lllT6_T8_lllPii,"axG",@progbits,_ZL19rocblas_trsv_deviceILi32ELi16ELb1ELb0ELb0ELb0E19rocblas_complex_numIdEPKS1_PKS3_PKPS1_EviT7_lllT6_T8_lllPii,comdat
	.globl	_ZL19rocblas_trsv_deviceILi32ELi16ELb1ELb0ELb0ELb0E19rocblas_complex_numIdEPKS1_PKS3_PKPS1_EviT7_lllT6_T8_lllPii ; -- Begin function _ZL19rocblas_trsv_deviceILi32ELi16ELb1ELb0ELb0ELb0E19rocblas_complex_numIdEPKS1_PKS3_PKPS1_EviT7_lllT6_T8_lllPii
	.p2align	8
	.type	_ZL19rocblas_trsv_deviceILi32ELi16ELb1ELb0ELb0ELb0E19rocblas_complex_numIdEPKS1_PKS3_PKPS1_EviT7_lllT6_T8_lllPii,@function
_ZL19rocblas_trsv_deviceILi32ELi16ELb1ELb0ELb0ELb0E19rocblas_complex_numIdEPKS1_PKS3_PKPS1_EviT7_lllT6_T8_lllPii: ; @_ZL19rocblas_trsv_deviceILi32ELi16ELb1ELb0ELb0ELb0E19rocblas_complex_numIdEPKS1_PKS3_PKPS1_EviT7_lllT6_T8_lllPii
; %bb.0:
	s_load_dwordx4 s[0:3], s[4:5], 0x8
	s_mov_b32 s24, s7
	s_mov_b32 s25, 0
	s_lshl_b64 s[8:9], s[24:25], 3
	v_mov_b32_e32 v2, v1
	s_waitcnt lgkmcnt(0)
	s_add_u32 s0, s0, s8
	s_addc_u32 s1, s1, s9
	s_load_dwordx2 s[10:11], s[0:1], 0x0
	s_load_dword s7, s[4:5], 0x0
	s_load_dwordx8 s[12:19], s[4:5], 0x28
	s_load_dwordx2 s[26:27], s[4:5], 0x18
	s_lshl_b64 s[0:1], s[2:3], 4
	s_waitcnt lgkmcnt(0)
	s_add_u32 s86, s10, s0
	s_addc_u32 s87, s11, s1
	s_add_u32 s0, s14, s8
	s_addc_u32 s1, s15, s9
	s_load_dwordx2 s[30:31], s[0:1], 0x0
	s_load_dwordx4 s[20:23], s[12:13], 0x0
	s_load_dword s88, s[4:5], 0x6c
	s_cmp_eq_u32 s6, 0
	s_cbranch_scc1 .LBB178_6
; %bb.1:
	s_lshl_b32 s33, s6, 5
	v_add_u32_e32 v1, s33, v2
	v_subrev_u32_e32 v1, 32, v1
	v_ashrrev_i32_e32 v3, 31, v1
	v_mul_lo_u32 v7, s26, v3
	v_mul_lo_u32 v8, s27, v1
	v_mad_u64_u32 v[3:4], s[0:1], s26, v1, 0
	v_add_u32_e32 v5, s33, v0
	v_ashrrev_i32_e32 v6, 31, v5
	v_add3_u32 v4, v4, v7, v8
	v_lshlrev_b64 v[3:4], 4, v[3:4]
	v_mov_b32_e32 v7, s87
	v_add_co_u32_e64 v8, s[0:1], s86, v3
	v_addc_co_u32_e64 v7, s[0:1], v7, v4, s[0:1]
	v_lshlrev_b64 v[3:4], 4, v[5:6]
	v_cmp_gt_i32_e32 vcc, s7, v5
	v_add_co_u32_e64 v11, s[0:1], v8, v3
	v_addc_co_u32_e64 v12, s[0:1], v7, v4, s[0:1]
	v_cmp_gt_i32_e64 s[0:1], s7, v1
	v_mov_b32_e32 v9, 0
	v_mov_b32_e32 v3, 0
	v_mov_b32_e32 v5, 0
	v_mov_b32_e32 v10, 0
	v_mov_b32_e32 v4, 0
	v_mov_b32_e32 v6, 0
	s_and_b64 s[2:3], vcc, s[0:1]
	s_waitcnt lgkmcnt(0)
	s_barrier
	s_and_saveexec_b64 s[0:1], s[2:3]
	s_cbranch_execz .LBB178_3
; %bb.2:
	flat_load_dwordx4 v[3:6], v[11:12]
.LBB178_3:
	s_or_b64 exec, exec, s[0:1]
	v_add_u32_e32 v1, 16, v1
	v_cmp_gt_i32_e64 s[0:1], s7, v1
	v_mov_b32_e32 v7, 0
	v_mov_b32_e32 v8, 0
	s_and_b64 s[2:3], vcc, s[0:1]
	s_waitcnt vmcnt(0) lgkmcnt(0)
	s_barrier
	s_and_saveexec_b64 s[0:1], s[2:3]
	s_cbranch_execz .LBB178_5
; %bb.4:
	s_lshl_b64 s[2:3], s[26:27], 8
	v_mov_b32_e32 v1, s3
	v_add_co_u32_e32 v7, vcc, s2, v11
	v_addc_co_u32_e32 v8, vcc, v12, v1, vcc
	flat_load_dwordx4 v[7:10], v[7:8]
.LBB178_5:
	s_or_b64 exec, exec, s[0:1]
	s_branch .LBB178_7
.LBB178_6:
                                        ; implicit-def: $vgpr9_vgpr10
                                        ; implicit-def: $vgpr5_vgpr6
	s_mov_b32 s33, s25
.LBB178_7:
	s_ashr_i32 s0, s7, 31
	s_lshr_b32 s0, s0, 27
	s_add_i32 s0, s7, s0
	s_andn2_b32 s0, s0, 31
	s_sub_i32 s85, s7, s0
	s_add_i32 s0, s7, -1
	s_ashr_i32 s1, s0, 31
	s_lshr_b32 s1, s1, 27
	s_add_i32 s0, s0, s1
	s_ashr_i32 s0, s0, 5
	s_cmp_eq_u32 s0, s6
	s_cselect_b64 s[0:1], -1, 0
	s_cmp_lg_u32 s85, 0
	s_cselect_b64 s[2:3], -1, 0
	s_and_b64 s[28:29], s[2:3], s[0:1]
	s_ashr_i32 s84, s33, 31
	s_add_u32 s8, s26, 1
	v_mov_b32_e32 v1, 0
	v_mov_b32_e32 v11, s33
	v_mad_u64_u32 v[19:20], s[0:1], s8, v11, v[0:1]
	s_addc_u32 s9, s27, 0
	s_mul_i32 s0, s8, s84
	s_mul_i32 s9, s9, s33
	s_add_i32 s0, s0, s9
	s_mov_b64 s[2:3], -1
	v_add_u32_e32 v20, s0, v20
	s_and_b64 vcc, exec, s[28:29]
	v_cmp_le_u32_e64 s[0:1], v0, v2
	v_lshl_add_u32 v1, v2, 5, v0
	s_cbranch_vccnz .LBB178_37
; %bb.8:
	v_mad_u64_u32 v[11:12], s[2:3], s26, v2, v[19:20]
	v_mad_u64_u32 v[12:13], s[2:3], s27, v2, v[12:13]
	s_and_saveexec_b64 s[2:3], s[0:1]
	s_xor_b64 s[0:1], exec, s[2:3]
	s_cbranch_execz .LBB178_20
; %bb.9:
	v_cmp_ne_u32_e32 vcc, v0, v2
	s_and_saveexec_b64 s[2:3], vcc
	s_xor_b64 s[2:3], exec, s[2:3]
	s_cbranch_execz .LBB178_13
; %bb.10:
	v_or_b32_e32 v11, v2, v0
	v_cmp_gt_u32_e32 vcc, 32, v11
	s_and_saveexec_b64 s[8:9], vcc
	s_cbranch_execz .LBB178_12
; %bb.11:
	v_mov_b32_e32 v11, 0
	v_lshlrev_b32_e32 v15, 4, v1
	v_mov_b32_e32 v12, v11
	v_mov_b32_e32 v13, v11
	;; [unrolled: 1-line block ×3, first 2 shown]
	ds_write_b128 v15, v[11:14]
.LBB178_12:
	s_or_b64 exec, exec, s[8:9]
                                        ; implicit-def: $vgpr11_vgpr12
.LBB178_13:
	s_andn2_saveexec_b64 s[2:3], s[2:3]
	s_cbranch_execz .LBB178_19
; %bb.14:
	v_lshlrev_b64 v[11:12], 4, v[11:12]
	v_mov_b32_e32 v13, s87
	v_add_co_u32_e32 v11, vcc, s86, v11
	v_addc_co_u32_e32 v12, vcc, v13, v12, vcc
	flat_load_dwordx4 v[11:14], v[11:12]
                                        ; implicit-def: $vgpr15_vgpr16
	s_waitcnt vmcnt(0) lgkmcnt(0)
	v_cmp_ngt_f64_e64 s[8:9], |v[11:12]|, |v[13:14]|
	s_and_saveexec_b64 s[10:11], s[8:9]
	s_xor_b64 s[8:9], exec, s[10:11]
	s_cbranch_execz .LBB178_16
; %bb.15:
	v_div_scale_f64 v[15:16], s[10:11], v[13:14], v[13:14], v[11:12]
	v_rcp_f64_e32 v[17:18], v[15:16]
	v_fma_f64 v[21:22], -v[15:16], v[17:18], 1.0
	v_fma_f64 v[17:18], v[17:18], v[21:22], v[17:18]
	v_div_scale_f64 v[21:22], vcc, v[11:12], v[13:14], v[11:12]
	v_fma_f64 v[23:24], -v[15:16], v[17:18], 1.0
	v_fma_f64 v[17:18], v[17:18], v[23:24], v[17:18]
	v_mul_f64 v[23:24], v[21:22], v[17:18]
	v_fma_f64 v[15:16], -v[15:16], v[23:24], v[21:22]
	v_div_fmas_f64 v[15:16], v[15:16], v[17:18], v[23:24]
	v_div_fixup_f64 v[15:16], v[15:16], v[13:14], v[11:12]
	v_fma_f64 v[11:12], v[11:12], v[15:16], v[13:14]
	v_div_scale_f64 v[13:14], s[10:11], v[11:12], v[11:12], 1.0
	v_div_scale_f64 v[23:24], vcc, 1.0, v[11:12], 1.0
	v_rcp_f64_e32 v[17:18], v[13:14]
	v_fma_f64 v[21:22], -v[13:14], v[17:18], 1.0
	v_fma_f64 v[17:18], v[17:18], v[21:22], v[17:18]
	v_fma_f64 v[21:22], -v[13:14], v[17:18], 1.0
	v_fma_f64 v[17:18], v[17:18], v[21:22], v[17:18]
	v_mul_f64 v[21:22], v[23:24], v[17:18]
	v_fma_f64 v[13:14], -v[13:14], v[21:22], v[23:24]
	v_div_fmas_f64 v[13:14], v[13:14], v[17:18], v[21:22]
	v_div_fixup_f64 v[17:18], v[13:14], v[11:12], 1.0
                                        ; implicit-def: $vgpr11_vgpr12
	v_mul_f64 v[15:16], v[15:16], v[17:18]
	v_xor_b32_e32 v18, 0x80000000, v18
.LBB178_16:
	s_andn2_saveexec_b64 s[8:9], s[8:9]
	s_cbranch_execz .LBB178_18
; %bb.17:
	v_div_scale_f64 v[15:16], s[10:11], v[11:12], v[11:12], v[13:14]
	v_rcp_f64_e32 v[17:18], v[15:16]
	v_fma_f64 v[21:22], -v[15:16], v[17:18], 1.0
	v_fma_f64 v[17:18], v[17:18], v[21:22], v[17:18]
	v_div_scale_f64 v[21:22], vcc, v[13:14], v[11:12], v[13:14]
	v_fma_f64 v[23:24], -v[15:16], v[17:18], 1.0
	v_fma_f64 v[17:18], v[17:18], v[23:24], v[17:18]
	v_mul_f64 v[23:24], v[21:22], v[17:18]
	v_fma_f64 v[15:16], -v[15:16], v[23:24], v[21:22]
	v_div_fmas_f64 v[15:16], v[15:16], v[17:18], v[23:24]
	v_div_fixup_f64 v[17:18], v[15:16], v[11:12], v[13:14]
	v_fma_f64 v[11:12], v[13:14], v[17:18], v[11:12]
	v_div_scale_f64 v[13:14], s[10:11], v[11:12], v[11:12], 1.0
	v_div_scale_f64 v[23:24], vcc, 1.0, v[11:12], 1.0
	v_rcp_f64_e32 v[15:16], v[13:14]
	v_fma_f64 v[21:22], -v[13:14], v[15:16], 1.0
	v_fma_f64 v[15:16], v[15:16], v[21:22], v[15:16]
	v_fma_f64 v[21:22], -v[13:14], v[15:16], 1.0
	v_fma_f64 v[15:16], v[15:16], v[21:22], v[15:16]
	v_mul_f64 v[21:22], v[23:24], v[15:16]
	v_fma_f64 v[13:14], -v[13:14], v[21:22], v[23:24]
	v_div_fmas_f64 v[13:14], v[13:14], v[15:16], v[21:22]
	v_div_fixup_f64 v[15:16], v[13:14], v[11:12], 1.0
	v_mul_f64 v[17:18], v[17:18], -v[15:16]
.LBB178_18:
	s_or_b64 exec, exec, s[8:9]
	v_lshlrev_b32_e32 v11, 4, v1
	ds_write_b128 v11, v[15:18]
.LBB178_19:
	s_or_b64 exec, exec, s[2:3]
                                        ; implicit-def: $vgpr11_vgpr12
.LBB178_20:
	s_andn2_saveexec_b64 s[0:1], s[0:1]
	s_cbranch_execz .LBB178_22
; %bb.21:
	v_lshlrev_b64 v[11:12], 4, v[11:12]
	v_mov_b32_e32 v13, s87
	v_add_co_u32_e32 v11, vcc, s86, v11
	v_addc_co_u32_e32 v12, vcc, v13, v12, vcc
	flat_load_dwordx4 v[11:14], v[11:12]
	v_lshlrev_b32_e32 v15, 4, v1
	s_waitcnt vmcnt(0) lgkmcnt(0)
	v_xor_b32_e32 v12, 0x80000000, v12
	v_xor_b32_e32 v14, 0x80000000, v14
	ds_write_b128 v15, v[11:14]
.LBB178_22:
	s_or_b64 exec, exec, s[0:1]
	v_add_u32_e32 v13, 16, v2
	v_mad_u64_u32 v[11:12], s[0:1], s26, v13, v[19:20]
	v_lshl_add_u32 v21, v13, 5, v0
	v_cmp_le_u32_e32 vcc, v0, v13
	v_mad_u64_u32 v[14:15], s[0:1], s27, v13, v[12:13]
	v_mov_b32_e32 v12, v14
	s_and_saveexec_b64 s[0:1], vcc
	s_xor_b64 s[0:1], exec, s[0:1]
	s_cbranch_execz .LBB178_34
; %bb.23:
	v_cmp_ne_u32_e32 vcc, v0, v13
	s_and_saveexec_b64 s[2:3], vcc
	s_xor_b64 s[2:3], exec, s[2:3]
	s_cbranch_execz .LBB178_27
; %bb.24:
	v_or_b32_e32 v11, v13, v0
	v_cmp_gt_u32_e32 vcc, 32, v11
	s_and_saveexec_b64 s[8:9], vcc
	s_cbranch_execz .LBB178_26
; %bb.25:
	v_mov_b32_e32 v11, 0
	v_lshlrev_b32_e32 v15, 4, v21
	v_mov_b32_e32 v12, v11
	v_mov_b32_e32 v13, v11
	;; [unrolled: 1-line block ×3, first 2 shown]
	ds_write_b128 v15, v[11:14]
.LBB178_26:
	s_or_b64 exec, exec, s[8:9]
                                        ; implicit-def: $vgpr21
                                        ; implicit-def: $vgpr11_vgpr12
.LBB178_27:
	s_andn2_saveexec_b64 s[2:3], s[2:3]
	s_cbranch_execz .LBB178_33
; %bb.28:
	v_lshlrev_b64 v[11:12], 4, v[11:12]
	v_mov_b32_e32 v13, s87
	v_add_co_u32_e32 v11, vcc, s86, v11
	v_addc_co_u32_e32 v12, vcc, v13, v12, vcc
	flat_load_dwordx4 v[11:14], v[11:12]
                                        ; implicit-def: $vgpr15_vgpr16
	s_waitcnt vmcnt(0) lgkmcnt(0)
	v_cmp_ngt_f64_e64 s[8:9], |v[11:12]|, |v[13:14]|
	s_and_saveexec_b64 s[10:11], s[8:9]
	s_xor_b64 s[8:9], exec, s[10:11]
	s_cbranch_execz .LBB178_30
; %bb.29:
	v_div_scale_f64 v[15:16], s[10:11], v[13:14], v[13:14], v[11:12]
	v_rcp_f64_e32 v[17:18], v[15:16]
	v_fma_f64 v[22:23], -v[15:16], v[17:18], 1.0
	v_fma_f64 v[17:18], v[17:18], v[22:23], v[17:18]
	v_div_scale_f64 v[22:23], vcc, v[11:12], v[13:14], v[11:12]
	v_fma_f64 v[24:25], -v[15:16], v[17:18], 1.0
	v_fma_f64 v[17:18], v[17:18], v[24:25], v[17:18]
	v_mul_f64 v[24:25], v[22:23], v[17:18]
	v_fma_f64 v[15:16], -v[15:16], v[24:25], v[22:23]
	v_div_fmas_f64 v[15:16], v[15:16], v[17:18], v[24:25]
	v_div_fixup_f64 v[15:16], v[15:16], v[13:14], v[11:12]
	v_fma_f64 v[11:12], v[11:12], v[15:16], v[13:14]
	v_div_scale_f64 v[13:14], s[10:11], v[11:12], v[11:12], 1.0
	v_div_scale_f64 v[24:25], vcc, 1.0, v[11:12], 1.0
	v_rcp_f64_e32 v[17:18], v[13:14]
	v_fma_f64 v[22:23], -v[13:14], v[17:18], 1.0
	v_fma_f64 v[17:18], v[17:18], v[22:23], v[17:18]
	v_fma_f64 v[22:23], -v[13:14], v[17:18], 1.0
	v_fma_f64 v[17:18], v[17:18], v[22:23], v[17:18]
	v_mul_f64 v[22:23], v[24:25], v[17:18]
	v_fma_f64 v[13:14], -v[13:14], v[22:23], v[24:25]
	v_div_fmas_f64 v[13:14], v[13:14], v[17:18], v[22:23]
	v_div_fixup_f64 v[17:18], v[13:14], v[11:12], 1.0
                                        ; implicit-def: $vgpr11_vgpr12
	v_mul_f64 v[15:16], v[15:16], v[17:18]
	v_xor_b32_e32 v18, 0x80000000, v18
.LBB178_30:
	s_andn2_saveexec_b64 s[8:9], s[8:9]
	s_cbranch_execz .LBB178_32
; %bb.31:
	v_div_scale_f64 v[15:16], s[10:11], v[11:12], v[11:12], v[13:14]
	v_rcp_f64_e32 v[17:18], v[15:16]
	v_fma_f64 v[22:23], -v[15:16], v[17:18], 1.0
	v_fma_f64 v[17:18], v[17:18], v[22:23], v[17:18]
	v_div_scale_f64 v[22:23], vcc, v[13:14], v[11:12], v[13:14]
	v_fma_f64 v[24:25], -v[15:16], v[17:18], 1.0
	v_fma_f64 v[17:18], v[17:18], v[24:25], v[17:18]
	v_mul_f64 v[24:25], v[22:23], v[17:18]
	v_fma_f64 v[15:16], -v[15:16], v[24:25], v[22:23]
	v_div_fmas_f64 v[15:16], v[15:16], v[17:18], v[24:25]
	v_div_fixup_f64 v[17:18], v[15:16], v[11:12], v[13:14]
	v_fma_f64 v[11:12], v[13:14], v[17:18], v[11:12]
	v_div_scale_f64 v[13:14], s[10:11], v[11:12], v[11:12], 1.0
	v_div_scale_f64 v[24:25], vcc, 1.0, v[11:12], 1.0
	v_rcp_f64_e32 v[15:16], v[13:14]
	v_fma_f64 v[22:23], -v[13:14], v[15:16], 1.0
	v_fma_f64 v[15:16], v[15:16], v[22:23], v[15:16]
	v_fma_f64 v[22:23], -v[13:14], v[15:16], 1.0
	v_fma_f64 v[15:16], v[15:16], v[22:23], v[15:16]
	v_mul_f64 v[22:23], v[24:25], v[15:16]
	v_fma_f64 v[13:14], -v[13:14], v[22:23], v[24:25]
	v_div_fmas_f64 v[13:14], v[13:14], v[15:16], v[22:23]
	v_div_fixup_f64 v[15:16], v[13:14], v[11:12], 1.0
	v_mul_f64 v[17:18], v[17:18], -v[15:16]
.LBB178_32:
	s_or_b64 exec, exec, s[8:9]
	v_lshlrev_b32_e32 v11, 4, v21
	ds_write_b128 v11, v[15:18]
.LBB178_33:
	s_or_b64 exec, exec, s[2:3]
                                        ; implicit-def: $vgpr11_vgpr12
                                        ; implicit-def: $vgpr21
.LBB178_34:
	s_andn2_saveexec_b64 s[0:1], s[0:1]
	s_cbranch_execz .LBB178_36
; %bb.35:
	v_lshlrev_b64 v[11:12], 4, v[11:12]
	v_mov_b32_e32 v13, s87
	v_add_co_u32_e32 v11, vcc, s86, v11
	v_addc_co_u32_e32 v12, vcc, v13, v12, vcc
	flat_load_dwordx4 v[11:14], v[11:12]
	v_lshlrev_b32_e32 v15, 4, v21
	s_waitcnt vmcnt(0) lgkmcnt(0)
	v_xor_b32_e32 v12, 0x80000000, v12
	v_xor_b32_e32 v14, 0x80000000, v14
	ds_write_b128 v15, v[11:14]
.LBB178_36:
	s_or_b64 exec, exec, s[0:1]
	s_mov_b64 s[2:3], 0
.LBB178_37:
	s_and_b64 vcc, exec, s[2:3]
	s_cbranch_vccz .LBB178_67
; %bb.38:
	v_mad_u64_u32 v[11:12], s[0:1], s26, v2, v[19:20]
	v_cmp_le_u32_e32 vcc, v0, v2
	v_cmp_gt_i32_e64 s[0:1], s85, v0
	v_mad_u64_u32 v[12:13], s[2:3], s27, v2, v[12:13]
	v_max_i32_e32 v13, v2, v0
	v_cmp_le_i32_e64 s[2:3], s85, v13
	s_or_b64 s[2:3], s[2:3], vcc
	s_and_saveexec_b64 s[8:9], s[2:3]
	s_xor_b64 s[2:3], exec, s[8:9]
	s_cbranch_execz .LBB178_50
; %bb.39:
	v_cmp_ne_u32_e32 vcc, v0, v2
	s_xor_b64 s[8:9], s[0:1], -1
	s_or_b64 s[8:9], s[8:9], vcc
	s_and_saveexec_b64 s[10:11], s[8:9]
	s_xor_b64 s[8:9], exec, s[10:11]
	s_cbranch_execz .LBB178_43
; %bb.40:
	v_or_b32_e32 v11, v2, v0
	v_cmp_gt_u32_e32 vcc, 32, v11
	s_and_saveexec_b64 s[10:11], vcc
	s_cbranch_execz .LBB178_42
; %bb.41:
	v_mov_b32_e32 v11, 0
	v_lshlrev_b32_e32 v15, 4, v1
	v_mov_b32_e32 v12, v11
	v_mov_b32_e32 v13, v11
	;; [unrolled: 1-line block ×3, first 2 shown]
	ds_write_b128 v15, v[11:14]
.LBB178_42:
	s_or_b64 exec, exec, s[10:11]
                                        ; implicit-def: $vgpr11_vgpr12
.LBB178_43:
	s_andn2_saveexec_b64 s[8:9], s[8:9]
	s_cbranch_execz .LBB178_49
; %bb.44:
	v_lshlrev_b64 v[11:12], 4, v[11:12]
	v_mov_b32_e32 v13, s87
	v_add_co_u32_e32 v11, vcc, s86, v11
	v_addc_co_u32_e32 v12, vcc, v13, v12, vcc
	flat_load_dwordx4 v[11:14], v[11:12]
                                        ; implicit-def: $vgpr15_vgpr16
	s_waitcnt vmcnt(0) lgkmcnt(0)
	v_cmp_ngt_f64_e64 s[10:11], |v[11:12]|, |v[13:14]|
	s_and_saveexec_b64 s[12:13], s[10:11]
	s_xor_b64 s[10:11], exec, s[12:13]
	s_cbranch_execz .LBB178_46
; %bb.45:
	v_div_scale_f64 v[15:16], s[12:13], v[13:14], v[13:14], v[11:12]
	v_rcp_f64_e32 v[17:18], v[15:16]
	v_fma_f64 v[21:22], -v[15:16], v[17:18], 1.0
	v_fma_f64 v[17:18], v[17:18], v[21:22], v[17:18]
	v_div_scale_f64 v[21:22], vcc, v[11:12], v[13:14], v[11:12]
	v_fma_f64 v[23:24], -v[15:16], v[17:18], 1.0
	v_fma_f64 v[17:18], v[17:18], v[23:24], v[17:18]
	v_mul_f64 v[23:24], v[21:22], v[17:18]
	v_fma_f64 v[15:16], -v[15:16], v[23:24], v[21:22]
	v_div_fmas_f64 v[15:16], v[15:16], v[17:18], v[23:24]
	v_div_fixup_f64 v[15:16], v[15:16], v[13:14], v[11:12]
	v_fma_f64 v[11:12], v[11:12], v[15:16], v[13:14]
	v_div_scale_f64 v[13:14], s[12:13], v[11:12], v[11:12], 1.0
	v_div_scale_f64 v[23:24], vcc, 1.0, v[11:12], 1.0
	v_rcp_f64_e32 v[17:18], v[13:14]
	v_fma_f64 v[21:22], -v[13:14], v[17:18], 1.0
	v_fma_f64 v[17:18], v[17:18], v[21:22], v[17:18]
	v_fma_f64 v[21:22], -v[13:14], v[17:18], 1.0
	v_fma_f64 v[17:18], v[17:18], v[21:22], v[17:18]
	v_mul_f64 v[21:22], v[23:24], v[17:18]
	v_fma_f64 v[13:14], -v[13:14], v[21:22], v[23:24]
	v_div_fmas_f64 v[13:14], v[13:14], v[17:18], v[21:22]
	v_div_fixup_f64 v[17:18], v[13:14], v[11:12], 1.0
                                        ; implicit-def: $vgpr11_vgpr12
	v_mul_f64 v[15:16], v[15:16], v[17:18]
	v_xor_b32_e32 v18, 0x80000000, v18
.LBB178_46:
	s_andn2_saveexec_b64 s[10:11], s[10:11]
	s_cbranch_execz .LBB178_48
; %bb.47:
	v_div_scale_f64 v[15:16], s[12:13], v[11:12], v[11:12], v[13:14]
	v_rcp_f64_e32 v[17:18], v[15:16]
	v_fma_f64 v[21:22], -v[15:16], v[17:18], 1.0
	v_fma_f64 v[17:18], v[17:18], v[21:22], v[17:18]
	v_div_scale_f64 v[21:22], vcc, v[13:14], v[11:12], v[13:14]
	v_fma_f64 v[23:24], -v[15:16], v[17:18], 1.0
	v_fma_f64 v[17:18], v[17:18], v[23:24], v[17:18]
	v_mul_f64 v[23:24], v[21:22], v[17:18]
	v_fma_f64 v[15:16], -v[15:16], v[23:24], v[21:22]
	v_div_fmas_f64 v[15:16], v[15:16], v[17:18], v[23:24]
	v_div_fixup_f64 v[17:18], v[15:16], v[11:12], v[13:14]
	v_fma_f64 v[11:12], v[13:14], v[17:18], v[11:12]
	v_div_scale_f64 v[13:14], s[12:13], v[11:12], v[11:12], 1.0
	v_div_scale_f64 v[23:24], vcc, 1.0, v[11:12], 1.0
	v_rcp_f64_e32 v[15:16], v[13:14]
	v_fma_f64 v[21:22], -v[13:14], v[15:16], 1.0
	v_fma_f64 v[15:16], v[15:16], v[21:22], v[15:16]
	v_fma_f64 v[21:22], -v[13:14], v[15:16], 1.0
	v_fma_f64 v[15:16], v[15:16], v[21:22], v[15:16]
	v_mul_f64 v[21:22], v[23:24], v[15:16]
	v_fma_f64 v[13:14], -v[13:14], v[21:22], v[23:24]
	v_div_fmas_f64 v[13:14], v[13:14], v[15:16], v[21:22]
	v_div_fixup_f64 v[15:16], v[13:14], v[11:12], 1.0
	v_mul_f64 v[17:18], v[17:18], -v[15:16]
.LBB178_48:
	s_or_b64 exec, exec, s[10:11]
	v_lshlrev_b32_e32 v11, 4, v1
	ds_write_b128 v11, v[15:18]
.LBB178_49:
	s_or_b64 exec, exec, s[8:9]
                                        ; implicit-def: $vgpr11_vgpr12
.LBB178_50:
	s_andn2_saveexec_b64 s[2:3], s[2:3]
	s_cbranch_execz .LBB178_52
; %bb.51:
	v_lshlrev_b64 v[11:12], 4, v[11:12]
	v_mov_b32_e32 v13, s87
	v_add_co_u32_e32 v11, vcc, s86, v11
	v_addc_co_u32_e32 v12, vcc, v13, v12, vcc
	flat_load_dwordx4 v[11:14], v[11:12]
	v_lshlrev_b32_e32 v15, 4, v1
	s_waitcnt vmcnt(0) lgkmcnt(0)
	v_xor_b32_e32 v12, 0x80000000, v12
	v_xor_b32_e32 v14, 0x80000000, v14
	ds_write_b128 v15, v[11:14]
.LBB178_52:
	s_or_b64 exec, exec, s[2:3]
	v_add_u32_e32 v13, 16, v2
	v_mad_u64_u32 v[11:12], s[2:3], s26, v13, v[19:20]
	v_cmp_gt_u32_e32 vcc, v0, v13
	v_lshl_add_u32 v19, v13, 5, v0
	v_mad_u64_u32 v[14:15], s[2:3], s27, v13, v[12:13]
	v_cmp_gt_i32_e64 s[2:3], s85, v13
	s_and_b64 s[2:3], vcc, s[2:3]
	s_and_b64 s[2:3], s[0:1], s[2:3]
	v_mov_b32_e32 v12, v14
	s_xor_b64 s[2:3], s[2:3], -1
	s_and_saveexec_b64 s[8:9], s[2:3]
	s_xor_b64 s[2:3], exec, s[8:9]
	s_cbranch_execz .LBB178_64
; %bb.53:
	v_cmp_ne_u32_e32 vcc, v0, v13
	s_xor_b64 s[0:1], s[0:1], -1
	s_or_b64 s[0:1], s[0:1], vcc
	s_and_saveexec_b64 s[8:9], s[0:1]
	s_xor_b64 s[0:1], exec, s[8:9]
	s_cbranch_execz .LBB178_57
; %bb.54:
	v_or_b32_e32 v11, v13, v0
	v_cmp_gt_u32_e32 vcc, 32, v11
	s_and_saveexec_b64 s[8:9], vcc
	s_cbranch_execz .LBB178_56
; %bb.55:
	v_mov_b32_e32 v11, 0
	v_lshlrev_b32_e32 v15, 4, v19
	v_mov_b32_e32 v12, v11
	v_mov_b32_e32 v13, v11
	;; [unrolled: 1-line block ×3, first 2 shown]
	ds_write_b128 v15, v[11:14]
.LBB178_56:
	s_or_b64 exec, exec, s[8:9]
                                        ; implicit-def: $vgpr19
                                        ; implicit-def: $vgpr11_vgpr12
.LBB178_57:
	s_andn2_saveexec_b64 s[0:1], s[0:1]
	s_cbranch_execz .LBB178_63
; %bb.58:
	v_lshlrev_b64 v[11:12], 4, v[11:12]
	v_mov_b32_e32 v13, s87
	v_add_co_u32_e32 v11, vcc, s86, v11
	v_addc_co_u32_e32 v12, vcc, v13, v12, vcc
	flat_load_dwordx4 v[11:14], v[11:12]
                                        ; implicit-def: $vgpr15_vgpr16
	s_waitcnt vmcnt(0) lgkmcnt(0)
	v_cmp_ngt_f64_e64 s[8:9], |v[11:12]|, |v[13:14]|
	s_and_saveexec_b64 s[10:11], s[8:9]
	s_xor_b64 s[8:9], exec, s[10:11]
	s_cbranch_execz .LBB178_60
; %bb.59:
	v_div_scale_f64 v[15:16], s[10:11], v[13:14], v[13:14], v[11:12]
	v_rcp_f64_e32 v[17:18], v[15:16]
	v_fma_f64 v[20:21], -v[15:16], v[17:18], 1.0
	v_fma_f64 v[17:18], v[17:18], v[20:21], v[17:18]
	v_div_scale_f64 v[20:21], vcc, v[11:12], v[13:14], v[11:12]
	v_fma_f64 v[22:23], -v[15:16], v[17:18], 1.0
	v_fma_f64 v[17:18], v[17:18], v[22:23], v[17:18]
	v_mul_f64 v[22:23], v[20:21], v[17:18]
	v_fma_f64 v[15:16], -v[15:16], v[22:23], v[20:21]
	v_div_fmas_f64 v[15:16], v[15:16], v[17:18], v[22:23]
	v_div_fixup_f64 v[15:16], v[15:16], v[13:14], v[11:12]
	v_fma_f64 v[11:12], v[11:12], v[15:16], v[13:14]
	v_div_scale_f64 v[13:14], s[10:11], v[11:12], v[11:12], 1.0
	v_div_scale_f64 v[22:23], vcc, 1.0, v[11:12], 1.0
	v_rcp_f64_e32 v[17:18], v[13:14]
	v_fma_f64 v[20:21], -v[13:14], v[17:18], 1.0
	v_fma_f64 v[17:18], v[17:18], v[20:21], v[17:18]
	v_fma_f64 v[20:21], -v[13:14], v[17:18], 1.0
	v_fma_f64 v[17:18], v[17:18], v[20:21], v[17:18]
	v_mul_f64 v[20:21], v[22:23], v[17:18]
	v_fma_f64 v[13:14], -v[13:14], v[20:21], v[22:23]
	v_div_fmas_f64 v[13:14], v[13:14], v[17:18], v[20:21]
	v_div_fixup_f64 v[17:18], v[13:14], v[11:12], 1.0
                                        ; implicit-def: $vgpr11_vgpr12
	v_mul_f64 v[15:16], v[15:16], v[17:18]
	v_xor_b32_e32 v18, 0x80000000, v18
.LBB178_60:
	s_andn2_saveexec_b64 s[8:9], s[8:9]
	s_cbranch_execz .LBB178_62
; %bb.61:
	v_div_scale_f64 v[15:16], s[10:11], v[11:12], v[11:12], v[13:14]
	v_rcp_f64_e32 v[17:18], v[15:16]
	v_fma_f64 v[20:21], -v[15:16], v[17:18], 1.0
	v_fma_f64 v[17:18], v[17:18], v[20:21], v[17:18]
	v_div_scale_f64 v[20:21], vcc, v[13:14], v[11:12], v[13:14]
	v_fma_f64 v[22:23], -v[15:16], v[17:18], 1.0
	v_fma_f64 v[17:18], v[17:18], v[22:23], v[17:18]
	v_mul_f64 v[22:23], v[20:21], v[17:18]
	v_fma_f64 v[15:16], -v[15:16], v[22:23], v[20:21]
	v_div_fmas_f64 v[15:16], v[15:16], v[17:18], v[22:23]
	v_div_fixup_f64 v[17:18], v[15:16], v[11:12], v[13:14]
	v_fma_f64 v[11:12], v[13:14], v[17:18], v[11:12]
	v_div_scale_f64 v[13:14], s[10:11], v[11:12], v[11:12], 1.0
	v_div_scale_f64 v[22:23], vcc, 1.0, v[11:12], 1.0
	v_rcp_f64_e32 v[15:16], v[13:14]
	v_fma_f64 v[20:21], -v[13:14], v[15:16], 1.0
	v_fma_f64 v[15:16], v[15:16], v[20:21], v[15:16]
	v_fma_f64 v[20:21], -v[13:14], v[15:16], 1.0
	v_fma_f64 v[15:16], v[15:16], v[20:21], v[15:16]
	v_mul_f64 v[20:21], v[22:23], v[15:16]
	v_fma_f64 v[13:14], -v[13:14], v[20:21], v[22:23]
	v_div_fmas_f64 v[13:14], v[13:14], v[15:16], v[20:21]
	v_div_fixup_f64 v[15:16], v[13:14], v[11:12], 1.0
	v_mul_f64 v[17:18], v[17:18], -v[15:16]
.LBB178_62:
	s_or_b64 exec, exec, s[8:9]
	v_lshlrev_b32_e32 v11, 4, v19
	ds_write_b128 v11, v[15:18]
.LBB178_63:
	s_or_b64 exec, exec, s[0:1]
                                        ; implicit-def: $vgpr11_vgpr12
                                        ; implicit-def: $vgpr19
.LBB178_64:
	s_andn2_saveexec_b64 s[0:1], s[2:3]
	s_cbranch_execz .LBB178_66
; %bb.65:
	v_lshlrev_b64 v[11:12], 4, v[11:12]
	v_mov_b32_e32 v13, s87
	v_add_co_u32_e32 v11, vcc, s86, v11
	v_addc_co_u32_e32 v12, vcc, v13, v12, vcc
	flat_load_dwordx4 v[11:14], v[11:12]
	v_lshlrev_b32_e32 v15, 4, v19
	s_waitcnt vmcnt(0) lgkmcnt(0)
	v_xor_b32_e32 v12, 0x80000000, v12
	v_xor_b32_e32 v14, 0x80000000, v14
	ds_write_b128 v15, v[11:14]
.LBB178_66:
	s_or_b64 exec, exec, s[0:1]
.LBB178_67:
	s_cmp_lt_i32 s6, 5
	s_cselect_b64 s[0:1], -1, 0
	s_or_b64 s[34:35], s[0:1], s[28:29]
	s_and_b64 vcc, exec, s[34:35]
	s_waitcnt vmcnt(0) lgkmcnt(0)
	s_barrier
	s_cbranch_vccnz .LBB178_461
; %bb.68:
	v_or_b32_e32 v11, v0, v2
	v_cmp_eq_u32_e32 vcc, 0, v11
	s_and_saveexec_b64 s[0:1], vcc
	s_cbranch_execz .LBB178_70
; %bb.69:
	v_mov_b32_e32 v25, 0
	ds_read_b128 v[11:14], v25 offset:528
	ds_read_b128 v[15:18], v25
	ds_read_b128 v[19:22], v25 offset:16
	s_waitcnt lgkmcnt(1)
	v_mul_f64 v[23:24], v[11:12], v[17:18]
	v_mul_f64 v[17:18], v[13:14], v[17:18]
	v_fma_f64 v[13:14], v[13:14], v[15:16], v[23:24]
	v_fma_f64 v[11:12], v[11:12], v[15:16], -v[17:18]
	s_waitcnt lgkmcnt(0)
	v_mul_f64 v[15:16], v[13:14], v[21:22]
	v_mul_f64 v[17:18], v[11:12], v[21:22]
	v_fma_f64 v[11:12], v[19:20], v[11:12], -v[15:16]
	v_fma_f64 v[13:14], v[19:20], v[13:14], v[17:18]
	ds_write_b128 v25, v[11:14] offset:16
.LBB178_70:
	s_or_b64 exec, exec, s[0:1]
	v_and_b32_e32 v18, 1, v0
	v_lshrrev_b32_e32 v17, 1, v1
	v_lshlrev_b32_e32 v15, 4, v18
	v_mov_b32_e32 v13, 0
	v_mov_b32_e32 v11, 0
	v_cmp_lt_u32_e64 s[2:3], 3, v1
	v_cmp_gt_u32_e64 s[0:1], 4, v1
	v_mov_b32_e32 v14, 0
	v_mov_b32_e32 v12, 0
	v_lshl_or_b32 v15, v17, 9, v15
	s_waitcnt lgkmcnt(0)
	s_barrier
	s_and_saveexec_b64 s[10:11], s[0:1]
	s_cbranch_execz .LBB178_74
; %bb.71:
	v_mul_u32_u24_e32 v11, 0x210, v17
	ds_read_b128 v[11:14], v11
	ds_read_b128 v[19:22], v15 offset:32
	v_cmp_gt_u32_e64 s[8:9], 2, v1
	s_waitcnt lgkmcnt(0)
	v_mul_f64 v[23:24], v[13:14], v[21:22]
	v_mul_f64 v[21:22], v[11:12], v[21:22]
	v_fma_f64 v[11:12], v[11:12], v[19:20], -v[23:24]
	v_fma_f64 v[13:14], v[13:14], v[19:20], v[21:22]
	v_add_f64 v[11:12], v[11:12], 0
	v_add_f64 v[13:14], v[13:14], 0
	s_and_saveexec_b64 s[12:13], s[8:9]
	s_cbranch_execz .LBB178_73
; %bb.72:
	v_mov_b32_e32 v19, 0
	v_lshlrev_b32_e32 v16, 4, v0
	ds_read_b128 v[19:22], v19 offset:16
	ds_read_b128 v[23:26], v16 offset:544
	s_waitcnt lgkmcnt(0)
	v_mul_f64 v[27:28], v[21:22], v[25:26]
	v_mul_f64 v[25:26], v[19:20], v[25:26]
	v_fma_f64 v[19:20], v[19:20], v[23:24], -v[27:28]
	v_fma_f64 v[21:22], v[21:22], v[23:24], v[25:26]
	v_add_f64 v[11:12], v[11:12], v[19:20]
	v_add_f64 v[13:14], v[13:14], v[21:22]
.LBB178_73:
	s_or_b64 exec, exec, s[12:13]
	v_xor_b32_e32 v12, 0x80000000, v12
	v_xor_b32_e32 v14, 0x80000000, v14
.LBB178_74:
	s_or_b64 exec, exec, s[10:11]
	v_mov_b32_e32 v16, 0x4000
	v_cmp_eq_u32_e64 s[8:9], 0, v18
	s_xor_b64 s[10:11], s[2:3], -1
	v_lshl_add_u32 v16, v17, 4, v16
	s_and_b64 s[38:39], s[8:9], s[10:11]
	s_and_saveexec_b64 s[2:3], s[38:39]
	s_cbranch_execz .LBB178_76
; %bb.75:
	v_mov_b32_e32 v19, 0
	ds_read_b128 v[19:22], v19 offset:1056
	s_waitcnt lgkmcnt(0)
	v_mul_f64 v[23:24], v[13:14], v[21:22]
	v_mul_f64 v[21:22], v[11:12], v[21:22]
	v_fma_f64 v[11:12], v[11:12], v[19:20], -v[23:24]
	v_fma_f64 v[13:14], v[13:14], v[19:20], v[21:22]
	ds_write_b128 v16, v[11:14]
.LBB178_76:
	s_or_b64 exec, exec, s[2:3]
	v_cmp_ne_u32_e64 s[2:3], 0, v18
	s_and_b64 s[36:37], s[2:3], s[10:11]
	s_waitcnt lgkmcnt(0)
	s_barrier
	s_and_saveexec_b64 s[2:3], s[36:37]
	s_cbranch_execz .LBB178_78
; %bb.77:
	v_mov_b32_e32 v22, 0
	ds_read_b128 v[18:21], v16
	ds_read_b128 v[22:25], v22 offset:1072
	s_waitcnt lgkmcnt(0)
	v_mul_f64 v[26:27], v[20:21], v[24:25]
	v_mul_f64 v[24:25], v[18:19], v[24:25]
	v_fma_f64 v[18:19], v[18:19], v[22:23], -v[26:27]
	v_fma_f64 v[20:21], v[20:21], v[22:23], v[24:25]
	v_add_f64 v[11:12], v[11:12], v[18:19]
	v_add_f64 v[13:14], v[13:14], v[20:21]
.LBB178_78:
	s_or_b64 exec, exec, s[2:3]
	s_barrier
	s_and_saveexec_b64 s[2:3], s[36:37]
	s_cbranch_execz .LBB178_80
; %bb.79:
	v_mov_b32_e32 v18, 0
	ds_read_b128 v[18:21], v18 offset:1584
	s_waitcnt lgkmcnt(0)
	v_mul_f64 v[22:23], v[13:14], v[20:21]
	v_mul_f64 v[20:21], v[11:12], v[20:21]
	v_fma_f64 v[11:12], v[11:12], v[18:19], -v[22:23]
	v_fma_f64 v[13:14], v[13:14], v[18:19], v[20:21]
	ds_write_b128 v16, v[11:14]
.LBB178_80:
	s_or_b64 exec, exec, s[2:3]
	s_waitcnt lgkmcnt(0)
	s_barrier
	s_barrier
	s_and_saveexec_b64 s[2:3], s[0:1]
; %bb.81:
	v_xor_b32_e32 v12, 0x80000000, v12
	v_xor_b32_e32 v14, 0x80000000, v14
	ds_write_b128 v15, v[11:14] offset:32
; %bb.82:
	s_or_b64 exec, exec, s[2:3]
	s_waitcnt lgkmcnt(0)
	s_barrier
	s_barrier
	s_and_saveexec_b64 s[2:3], vcc
	s_cbranch_execz .LBB178_84
; %bb.83:
	v_mov_b32_e32 v28, 0
	ds_read_b128 v[11:14], v28 offset:1584
	ds_read_b128 v[18:21], v28 offset:1056
	;; [unrolled: 1-line block ×3, first 2 shown]
	s_waitcnt lgkmcnt(1)
	v_mul_f64 v[26:27], v[11:12], v[20:21]
	v_mul_f64 v[20:21], v[13:14], v[20:21]
	v_fma_f64 v[13:14], v[13:14], v[18:19], v[26:27]
	v_fma_f64 v[11:12], v[11:12], v[18:19], -v[20:21]
	s_waitcnt lgkmcnt(0)
	v_mul_f64 v[18:19], v[13:14], v[24:25]
	v_mul_f64 v[20:21], v[11:12], v[24:25]
	v_fma_f64 v[11:12], v[22:23], v[11:12], -v[18:19]
	v_fma_f64 v[13:14], v[22:23], v[13:14], v[20:21]
	ds_write_b128 v28, v[11:14] offset:1072
.LBB178_84:
	s_or_b64 exec, exec, s[2:3]
	v_and_b32_e32 v21, 3, v0
	v_lshrrev_b32_e32 v22, 2, v1
	v_lshlrev_b32_e32 v19, 4, v21
	v_mov_b32_e32 v13, 0
	v_mov_b32_e32 v11, 0
	v_cmp_lt_u32_e64 s[8:9], 15, v1
	v_cmp_gt_u32_e64 s[2:3], 16, v1
	v_mov_b32_e32 v14, 0
	v_mov_b32_e32 v12, 0
	v_lshl_or_b32 v18, v22, 9, v19
	s_waitcnt lgkmcnt(0)
	s_barrier
	s_and_saveexec_b64 s[12:13], s[2:3]
	s_cbranch_execz .LBB178_90
; %bb.85:
	v_mul_u32_u24_e32 v20, 0x210, v22
	ds_read_b128 v[11:14], v20
	ds_read_b128 v[23:26], v18 offset:64
	v_cmp_gt_u32_e64 s[10:11], 12, v1
	s_waitcnt lgkmcnt(0)
	v_mul_f64 v[27:28], v[13:14], v[25:26]
	v_mul_f64 v[25:26], v[11:12], v[25:26]
	v_fma_f64 v[11:12], v[11:12], v[23:24], -v[27:28]
	v_fma_f64 v[13:14], v[13:14], v[23:24], v[25:26]
	v_add_f64 v[11:12], v[11:12], 0
	v_add_f64 v[13:14], v[13:14], 0
	s_and_saveexec_b64 s[14:15], s[10:11]
	s_cbranch_execnz .LBB178_521
; %bb.86:
	s_or_b64 exec, exec, s[14:15]
	v_cmp_gt_u32_e64 s[10:11], 8, v1
	s_and_saveexec_b64 s[14:15], s[10:11]
	s_cbranch_execnz .LBB178_522
.LBB178_87:
	s_or_b64 exec, exec, s[14:15]
	v_cmp_gt_u32_e64 s[10:11], 4, v1
	s_and_saveexec_b64 s[14:15], s[10:11]
	s_cbranch_execz .LBB178_89
.LBB178_88:
	v_mov_b32_e32 v23, 0
	v_lshlrev_b32_e32 v20, 4, v0
	ds_read_b128 v[23:26], v23 offset:48
	ds_read_b128 v[27:30], v20 offset:1600
	s_waitcnt lgkmcnt(0)
	v_mul_f64 v[31:32], v[25:26], v[29:30]
	v_mul_f64 v[29:30], v[23:24], v[29:30]
	v_fma_f64 v[23:24], v[23:24], v[27:28], -v[31:32]
	v_fma_f64 v[25:26], v[25:26], v[27:28], v[29:30]
	v_add_f64 v[11:12], v[11:12], v[23:24]
	v_add_f64 v[13:14], v[13:14], v[25:26]
.LBB178_89:
	s_or_b64 exec, exec, s[14:15]
	v_xor_b32_e32 v12, 0x80000000, v12
	v_xor_b32_e32 v14, 0x80000000, v14
.LBB178_90:
	s_or_b64 exec, exec, s[12:13]
	v_mov_b32_e32 v20, 0x4000
	v_cmp_eq_u32_e64 s[10:11], 0, v21
	s_xor_b64 s[12:13], s[8:9], -1
	v_lshl_add_u32 v20, v22, 4, v20
	s_and_b64 s[42:43], s[10:11], s[12:13]
	s_and_saveexec_b64 s[8:9], s[42:43]
	s_cbranch_execz .LBB178_92
; %bb.91:
	v_mov_b32_e32 v23, 0
	ds_read_b128 v[23:26], v23 offset:2112
	s_waitcnt lgkmcnt(0)
	v_mul_f64 v[27:28], v[13:14], v[25:26]
	v_mul_f64 v[25:26], v[11:12], v[25:26]
	v_fma_f64 v[11:12], v[11:12], v[23:24], -v[27:28]
	v_fma_f64 v[13:14], v[13:14], v[23:24], v[25:26]
	ds_write_b128 v20, v[11:14]
.LBB178_92:
	s_or_b64 exec, exec, s[8:9]
	v_cmp_ne_u32_e64 s[8:9], 0, v21
	s_and_b64 s[44:45], s[8:9], s[12:13]
	s_waitcnt lgkmcnt(0)
	s_barrier
	s_and_saveexec_b64 s[8:9], s[44:45]
	s_cbranch_execz .LBB178_94
; %bb.93:
	ds_read_b128 v[23:26], v20
	ds_read_b128 v[27:30], v19 offset:2112
	s_waitcnt lgkmcnt(0)
	v_mul_f64 v[31:32], v[25:26], v[29:30]
	v_mul_f64 v[29:30], v[23:24], v[29:30]
	v_fma_f64 v[23:24], v[23:24], v[27:28], -v[31:32]
	v_fma_f64 v[25:26], v[25:26], v[27:28], v[29:30]
	v_add_f64 v[11:12], v[11:12], v[23:24]
	v_add_f64 v[13:14], v[13:14], v[25:26]
.LBB178_94:
	s_or_b64 exec, exec, s[8:9]
	v_cmp_eq_u32_e64 s[8:9], 1, v21
	s_and_b64 s[46:47], s[8:9], s[12:13]
	s_barrier
	s_and_saveexec_b64 s[8:9], s[46:47]
	s_cbranch_execz .LBB178_96
; %bb.95:
	v_mov_b32_e32 v23, 0
	ds_read_b128 v[23:26], v23 offset:2640
	s_waitcnt lgkmcnt(0)
	v_mul_f64 v[27:28], v[13:14], v[25:26]
	v_mul_f64 v[25:26], v[11:12], v[25:26]
	v_fma_f64 v[11:12], v[11:12], v[23:24], -v[27:28]
	v_fma_f64 v[13:14], v[13:14], v[23:24], v[25:26]
	ds_write_b128 v20, v[11:14]
.LBB178_96:
	s_or_b64 exec, exec, s[8:9]
	v_cmp_lt_u32_e64 s[8:9], 1, v21
	s_and_b64 s[48:49], s[8:9], s[12:13]
	s_waitcnt lgkmcnt(0)
	s_barrier
	s_and_saveexec_b64 s[8:9], s[48:49]
	s_cbranch_execz .LBB178_98
; %bb.97:
	ds_read_b128 v[23:26], v20
	ds_read_b128 v[27:30], v19 offset:2624
	s_waitcnt lgkmcnt(0)
	v_mul_f64 v[31:32], v[25:26], v[29:30]
	v_mul_f64 v[29:30], v[23:24], v[29:30]
	v_fma_f64 v[23:24], v[23:24], v[27:28], -v[31:32]
	v_fma_f64 v[25:26], v[25:26], v[27:28], v[29:30]
	v_add_f64 v[11:12], v[11:12], v[23:24]
	v_add_f64 v[13:14], v[13:14], v[25:26]
.LBB178_98:
	s_or_b64 exec, exec, s[8:9]
	v_cmp_eq_u32_e64 s[8:9], 2, v21
	s_and_b64 s[50:51], s[8:9], s[12:13]
	s_barrier
	s_and_saveexec_b64 s[8:9], s[50:51]
	s_cbranch_execz .LBB178_100
; %bb.99:
	v_mov_b32_e32 v23, 0
	ds_read_b128 v[23:26], v23 offset:3168
	s_waitcnt lgkmcnt(0)
	v_mul_f64 v[27:28], v[13:14], v[25:26]
	v_mul_f64 v[25:26], v[11:12], v[25:26]
	v_fma_f64 v[11:12], v[11:12], v[23:24], -v[27:28]
	v_fma_f64 v[13:14], v[13:14], v[23:24], v[25:26]
	ds_write_b128 v20, v[11:14]
.LBB178_100:
	s_or_b64 exec, exec, s[8:9]
	v_cmp_eq_u32_e64 s[8:9], 3, v21
	s_and_b64 s[40:41], s[8:9], s[12:13]
	s_waitcnt lgkmcnt(0)
	s_barrier
	s_and_saveexec_b64 s[8:9], s[40:41]
	s_cbranch_execz .LBB178_102
; %bb.101:
	v_mov_b32_e32 v27, 0
	ds_read_b128 v[23:26], v20
	ds_read_b128 v[27:30], v27 offset:3184
	s_waitcnt lgkmcnt(0)
	v_mul_f64 v[31:32], v[25:26], v[29:30]
	v_mul_f64 v[29:30], v[23:24], v[29:30]
	v_fma_f64 v[23:24], v[23:24], v[27:28], -v[31:32]
	v_fma_f64 v[25:26], v[25:26], v[27:28], v[29:30]
	v_add_f64 v[11:12], v[11:12], v[23:24]
	v_add_f64 v[13:14], v[13:14], v[25:26]
.LBB178_102:
	s_or_b64 exec, exec, s[8:9]
	s_barrier
	s_and_saveexec_b64 s[8:9], s[40:41]
	s_cbranch_execz .LBB178_104
; %bb.103:
	v_mov_b32_e32 v23, 0
	ds_read_b128 v[23:26], v23 offset:3696
	s_waitcnt lgkmcnt(0)
	v_mul_f64 v[27:28], v[13:14], v[25:26]
	v_mul_f64 v[25:26], v[11:12], v[25:26]
	v_fma_f64 v[11:12], v[11:12], v[23:24], -v[27:28]
	v_fma_f64 v[13:14], v[13:14], v[23:24], v[25:26]
	ds_write_b128 v20, v[11:14]
.LBB178_104:
	s_or_b64 exec, exec, s[8:9]
	s_waitcnt lgkmcnt(0)
	s_barrier
	s_barrier
	s_and_saveexec_b64 s[8:9], s[2:3]
; %bb.105:
	v_xor_b32_e32 v14, 0x80000000, v14
	v_xor_b32_e32 v12, 0x80000000, v12
	ds_write_b128 v18, v[11:14] offset:64
; %bb.106:
	s_or_b64 exec, exec, s[8:9]
	s_waitcnt lgkmcnt(0)
	s_barrier
	s_barrier
	s_and_saveexec_b64 s[8:9], vcc
	s_cbranch_execz .LBB178_108
; %bb.107:
	v_mov_b32_e32 v33, 0
	ds_read_b128 v[11:14], v33 offset:2640
	ds_read_b128 v[23:26], v33 offset:2112
	;; [unrolled: 1-line block ×3, first 2 shown]
	s_waitcnt lgkmcnt(1)
	v_mul_f64 v[31:32], v[11:12], v[25:26]
	v_mul_f64 v[25:26], v[13:14], v[25:26]
	v_fma_f64 v[13:14], v[13:14], v[23:24], v[31:32]
	v_fma_f64 v[11:12], v[11:12], v[23:24], -v[25:26]
	s_waitcnt lgkmcnt(0)
	v_mul_f64 v[23:24], v[13:14], v[29:30]
	v_mul_f64 v[25:26], v[11:12], v[29:30]
	v_fma_f64 v[11:12], v[27:28], v[11:12], -v[23:24]
	v_fma_f64 v[13:14], v[27:28], v[13:14], v[25:26]
	ds_write_b128 v33, v[11:14] offset:2128
.LBB178_108:
	s_or_b64 exec, exec, s[8:9]
	v_mov_b32_e32 v13, 0
	v_mov_b32_e32 v11, 0
	;; [unrolled: 1-line block ×4, first 2 shown]
	s_waitcnt lgkmcnt(0)
	s_barrier
	s_and_saveexec_b64 s[10:11], s[0:1]
	s_cbranch_execz .LBB178_112
; %bb.109:
	v_mul_u32_u24_e32 v11, 0x210, v17
	ds_read_b128 v[11:14], v11 offset:2112
	ds_read_b128 v[23:26], v15 offset:2144
	v_cmp_gt_u32_e64 s[8:9], 2, v1
	s_waitcnt lgkmcnt(0)
	v_mul_f64 v[27:28], v[13:14], v[25:26]
	v_mul_f64 v[25:26], v[11:12], v[25:26]
	v_fma_f64 v[11:12], v[11:12], v[23:24], -v[27:28]
	v_fma_f64 v[13:14], v[13:14], v[23:24], v[25:26]
	v_add_f64 v[11:12], v[11:12], 0
	v_add_f64 v[13:14], v[13:14], 0
	s_and_saveexec_b64 s[12:13], s[8:9]
	s_cbranch_execz .LBB178_111
; %bb.110:
	v_lshlrev_b32_e32 v27, 4, v0
	v_mov_b32_e32 v23, 0
	ds_read_b128 v[23:26], v23 offset:2128
	ds_read_b128 v[27:30], v27 offset:2656
	s_waitcnt lgkmcnt(0)
	v_mul_f64 v[31:32], v[25:26], v[29:30]
	v_mul_f64 v[29:30], v[23:24], v[29:30]
	v_fma_f64 v[23:24], v[23:24], v[27:28], -v[31:32]
	v_fma_f64 v[25:26], v[25:26], v[27:28], v[29:30]
	v_add_f64 v[11:12], v[11:12], v[23:24]
	v_add_f64 v[13:14], v[13:14], v[25:26]
.LBB178_111:
	s_or_b64 exec, exec, s[12:13]
	v_xor_b32_e32 v12, 0x80000000, v12
	v_xor_b32_e32 v14, 0x80000000, v14
.LBB178_112:
	s_or_b64 exec, exec, s[10:11]
	s_and_saveexec_b64 s[8:9], s[38:39]
	s_cbranch_execz .LBB178_114
; %bb.113:
	v_mov_b32_e32 v23, 0
	ds_read_b128 v[23:26], v23 offset:3168
	s_waitcnt lgkmcnt(0)
	v_mul_f64 v[27:28], v[13:14], v[25:26]
	v_mul_f64 v[25:26], v[11:12], v[25:26]
	v_fma_f64 v[11:12], v[11:12], v[23:24], -v[27:28]
	v_fma_f64 v[13:14], v[13:14], v[23:24], v[25:26]
	ds_write_b128 v16, v[11:14]
.LBB178_114:
	s_or_b64 exec, exec, s[8:9]
	s_waitcnt lgkmcnt(0)
	s_barrier
	s_and_saveexec_b64 s[8:9], s[36:37]
	s_cbranch_execz .LBB178_116
; %bb.115:
	v_mov_b32_e32 v27, 0
	ds_read_b128 v[23:26], v16
	ds_read_b128 v[27:30], v27 offset:3184
	s_waitcnt lgkmcnt(0)
	v_mul_f64 v[31:32], v[25:26], v[29:30]
	v_mul_f64 v[29:30], v[23:24], v[29:30]
	v_fma_f64 v[23:24], v[23:24], v[27:28], -v[31:32]
	v_fma_f64 v[25:26], v[25:26], v[27:28], v[29:30]
	v_add_f64 v[11:12], v[11:12], v[23:24]
	v_add_f64 v[13:14], v[13:14], v[25:26]
.LBB178_116:
	s_or_b64 exec, exec, s[8:9]
	s_barrier
	s_and_saveexec_b64 s[8:9], s[36:37]
	s_cbranch_execz .LBB178_118
; %bb.117:
	v_mov_b32_e32 v23, 0
	ds_read_b128 v[23:26], v23 offset:3696
	s_waitcnt lgkmcnt(0)
	v_mul_f64 v[27:28], v[13:14], v[25:26]
	v_mul_f64 v[25:26], v[11:12], v[25:26]
	v_fma_f64 v[11:12], v[11:12], v[23:24], -v[27:28]
	v_fma_f64 v[13:14], v[13:14], v[23:24], v[25:26]
	ds_write_b128 v16, v[11:14]
.LBB178_118:
	s_or_b64 exec, exec, s[8:9]
	s_waitcnt lgkmcnt(0)
	s_barrier
	s_barrier
	s_and_saveexec_b64 s[8:9], s[0:1]
; %bb.119:
	v_xor_b32_e32 v12, 0x80000000, v12
	v_xor_b32_e32 v14, 0x80000000, v14
	ds_write_b128 v15, v[11:14] offset:2144
; %bb.120:
	s_or_b64 exec, exec, s[8:9]
	s_waitcnt lgkmcnt(0)
	s_barrier
	s_barrier
	s_and_saveexec_b64 s[8:9], vcc
	s_cbranch_execz .LBB178_122
; %bb.121:
	v_mov_b32_e32 v33, 0
	ds_read_b128 v[11:14], v33 offset:3696
	ds_read_b128 v[23:26], v33 offset:3168
	;; [unrolled: 1-line block ×3, first 2 shown]
	s_waitcnt lgkmcnt(1)
	v_mul_f64 v[31:32], v[11:12], v[25:26]
	v_mul_f64 v[25:26], v[13:14], v[25:26]
	v_fma_f64 v[13:14], v[13:14], v[23:24], v[31:32]
	v_fma_f64 v[11:12], v[11:12], v[23:24], -v[25:26]
	s_waitcnt lgkmcnt(0)
	v_mul_f64 v[23:24], v[13:14], v[29:30]
	v_mul_f64 v[25:26], v[11:12], v[29:30]
	v_fma_f64 v[11:12], v[27:28], v[11:12], -v[23:24]
	v_fma_f64 v[13:14], v[27:28], v[13:14], v[25:26]
	ds_write_b128 v33, v[11:14] offset:3184
.LBB178_122:
	s_or_b64 exec, exec, s[8:9]
	v_and_b32_e32 v26, 7, v0
	v_lshrrev_b32_e32 v27, 3, v1
	v_lshlrev_b32_e32 v24, 4, v26
	v_mov_b32_e32 v13, 0
	v_mov_b32_e32 v11, 0
	v_cmp_lt_u32_e64 s[8:9], 63, v1
	v_cmp_gt_u32_e64 s[12:13], 64, v1
	v_mov_b32_e32 v14, 0
	v_mov_b32_e32 v12, 0
	v_lshl_or_b32 v23, v27, 9, v24
	s_waitcnt lgkmcnt(0)
	s_barrier
	s_and_saveexec_b64 s[14:15], s[12:13]
	s_cbranch_execz .LBB178_132
; %bb.123:
	v_mul_u32_u24_e32 v25, 0x210, v27
	ds_read_b128 v[11:14], v25
	ds_read_b128 v[28:31], v23 offset:128
	v_cmp_gt_u32_e64 s[10:11], 56, v1
	s_waitcnt lgkmcnt(0)
	v_mul_f64 v[32:33], v[13:14], v[30:31]
	v_mul_f64 v[30:31], v[11:12], v[30:31]
	v_fma_f64 v[11:12], v[11:12], v[28:29], -v[32:33]
	v_fma_f64 v[13:14], v[13:14], v[28:29], v[30:31]
	v_add_f64 v[11:12], v[11:12], 0
	v_add_f64 v[13:14], v[13:14], 0
	s_and_saveexec_b64 s[52:53], s[10:11]
	s_cbranch_execnz .LBB178_523
; %bb.124:
	s_or_b64 exec, exec, s[52:53]
	v_cmp_gt_u32_e64 s[10:11], 48, v1
	s_and_saveexec_b64 s[52:53], s[10:11]
	s_cbranch_execnz .LBB178_524
.LBB178_125:
	s_or_b64 exec, exec, s[52:53]
	v_cmp_gt_u32_e64 s[10:11], 40, v1
	s_and_saveexec_b64 s[52:53], s[10:11]
	s_cbranch_execnz .LBB178_525
.LBB178_126:
	s_or_b64 exec, exec, s[52:53]
	v_cmp_gt_u32_e64 s[10:11], 32, v1
	s_and_saveexec_b64 s[52:53], s[10:11]
	s_cbranch_execnz .LBB178_526
.LBB178_127:
	s_or_b64 exec, exec, s[52:53]
	v_cmp_gt_u32_e64 s[10:11], 24, v1
	s_and_saveexec_b64 s[52:53], s[10:11]
	s_cbranch_execnz .LBB178_527
.LBB178_128:
	s_or_b64 exec, exec, s[52:53]
	v_cmp_gt_u32_e64 s[10:11], 16, v1
	s_and_saveexec_b64 s[52:53], s[10:11]
	s_cbranch_execnz .LBB178_528
.LBB178_129:
	s_or_b64 exec, exec, s[52:53]
	v_cmp_gt_u32_e64 s[10:11], 8, v1
	s_and_saveexec_b64 s[52:53], s[10:11]
	s_cbranch_execz .LBB178_131
.LBB178_130:
	v_mov_b32_e32 v28, 0
	v_lshlrev_b32_e32 v25, 4, v0
	ds_read_b128 v[28:31], v28 offset:112
	ds_read_b128 v[32:35], v25 offset:3712
	s_waitcnt lgkmcnt(0)
	v_mul_f64 v[36:37], v[30:31], v[34:35]
	v_mul_f64 v[34:35], v[28:29], v[34:35]
	v_fma_f64 v[28:29], v[28:29], v[32:33], -v[36:37]
	v_fma_f64 v[30:31], v[30:31], v[32:33], v[34:35]
	v_add_f64 v[11:12], v[11:12], v[28:29]
	v_add_f64 v[13:14], v[13:14], v[30:31]
.LBB178_131:
	s_or_b64 exec, exec, s[52:53]
	v_xor_b32_e32 v12, 0x80000000, v12
	v_xor_b32_e32 v14, 0x80000000, v14
.LBB178_132:
	s_or_b64 exec, exec, s[14:15]
	v_mov_b32_e32 v25, 0x4000
	v_cmp_eq_u32_e64 s[10:11], 0, v26
	s_xor_b64 s[14:15], s[8:9], -1
	v_lshl_add_u32 v25, v27, 4, v25
	s_and_b64 s[54:55], s[10:11], s[14:15]
	s_and_saveexec_b64 s[8:9], s[54:55]
	s_cbranch_execz .LBB178_134
; %bb.133:
	v_mov_b32_e32 v28, 0
	ds_read_b128 v[28:31], v28 offset:4224
	s_waitcnt lgkmcnt(0)
	v_mul_f64 v[32:33], v[13:14], v[30:31]
	v_mul_f64 v[30:31], v[11:12], v[30:31]
	v_fma_f64 v[11:12], v[11:12], v[28:29], -v[32:33]
	v_fma_f64 v[13:14], v[13:14], v[28:29], v[30:31]
	ds_write_b128 v25, v[11:14]
.LBB178_134:
	s_or_b64 exec, exec, s[8:9]
	v_cmp_ne_u32_e64 s[8:9], 0, v26
	s_and_b64 s[56:57], s[8:9], s[14:15]
	s_waitcnt lgkmcnt(0)
	s_barrier
	s_and_saveexec_b64 s[8:9], s[56:57]
	s_cbranch_execz .LBB178_136
; %bb.135:
	ds_read_b128 v[28:31], v25
	ds_read_b128 v[32:35], v24 offset:4224
	s_waitcnt lgkmcnt(0)
	v_mul_f64 v[36:37], v[30:31], v[34:35]
	v_mul_f64 v[34:35], v[28:29], v[34:35]
	v_fma_f64 v[28:29], v[28:29], v[32:33], -v[36:37]
	v_fma_f64 v[30:31], v[30:31], v[32:33], v[34:35]
	v_add_f64 v[11:12], v[11:12], v[28:29]
	v_add_f64 v[13:14], v[13:14], v[30:31]
.LBB178_136:
	s_or_b64 exec, exec, s[8:9]
	v_cmp_eq_u32_e64 s[8:9], 1, v26
	s_and_b64 s[58:59], s[8:9], s[14:15]
	s_barrier
	s_and_saveexec_b64 s[8:9], s[58:59]
	s_cbranch_execz .LBB178_138
; %bb.137:
	v_mov_b32_e32 v28, 0
	ds_read_b128 v[28:31], v28 offset:4752
	s_waitcnt lgkmcnt(0)
	v_mul_f64 v[32:33], v[13:14], v[30:31]
	v_mul_f64 v[30:31], v[11:12], v[30:31]
	v_fma_f64 v[11:12], v[11:12], v[28:29], -v[32:33]
	v_fma_f64 v[13:14], v[13:14], v[28:29], v[30:31]
	ds_write_b128 v25, v[11:14]
.LBB178_138:
	s_or_b64 exec, exec, s[8:9]
	v_cmp_lt_u32_e64 s[8:9], 1, v26
	s_and_b64 s[60:61], s[8:9], s[14:15]
	s_waitcnt lgkmcnt(0)
	s_barrier
	s_and_saveexec_b64 s[8:9], s[60:61]
	s_cbranch_execz .LBB178_140
; %bb.139:
	ds_read_b128 v[28:31], v25
	ds_read_b128 v[32:35], v24 offset:4736
	s_waitcnt lgkmcnt(0)
	v_mul_f64 v[36:37], v[30:31], v[34:35]
	v_mul_f64 v[34:35], v[28:29], v[34:35]
	v_fma_f64 v[28:29], v[28:29], v[32:33], -v[36:37]
	v_fma_f64 v[30:31], v[30:31], v[32:33], v[34:35]
	v_add_f64 v[11:12], v[11:12], v[28:29]
	v_add_f64 v[13:14], v[13:14], v[30:31]
.LBB178_140:
	s_or_b64 exec, exec, s[8:9]
	v_cmp_eq_u32_e64 s[8:9], 2, v26
	s_and_b64 s[62:63], s[8:9], s[14:15]
	s_barrier
	s_and_saveexec_b64 s[8:9], s[62:63]
	s_cbranch_execz .LBB178_142
; %bb.141:
	v_mov_b32_e32 v28, 0
	ds_read_b128 v[28:31], v28 offset:5280
	s_waitcnt lgkmcnt(0)
	v_mul_f64 v[32:33], v[13:14], v[30:31]
	v_mul_f64 v[30:31], v[11:12], v[30:31]
	v_fma_f64 v[11:12], v[11:12], v[28:29], -v[32:33]
	v_fma_f64 v[13:14], v[13:14], v[28:29], v[30:31]
	ds_write_b128 v25, v[11:14]
.LBB178_142:
	s_or_b64 exec, exec, s[8:9]
	v_cmp_lt_u32_e64 s[8:9], 2, v26
	;; [unrolled: 34-line block ×5, first 2 shown]
	s_and_b64 s[76:77], s[8:9], s[14:15]
	s_waitcnt lgkmcnt(0)
	s_barrier
	s_and_saveexec_b64 s[8:9], s[76:77]
	s_cbranch_execz .LBB178_156
; %bb.155:
	ds_read_b128 v[28:31], v25
	ds_read_b128 v[32:35], v24 offset:6784
	s_waitcnt lgkmcnt(0)
	v_mul_f64 v[36:37], v[30:31], v[34:35]
	v_mul_f64 v[34:35], v[28:29], v[34:35]
	v_fma_f64 v[28:29], v[28:29], v[32:33], -v[36:37]
	v_fma_f64 v[30:31], v[30:31], v[32:33], v[34:35]
	v_add_f64 v[11:12], v[11:12], v[28:29]
	v_add_f64 v[13:14], v[13:14], v[30:31]
.LBB178_156:
	s_or_b64 exec, exec, s[8:9]
	v_cmp_eq_u32_e64 s[8:9], 6, v26
	s_and_b64 s[78:79], s[8:9], s[14:15]
	s_barrier
	s_and_saveexec_b64 s[8:9], s[78:79]
	s_cbranch_execz .LBB178_158
; %bb.157:
	v_mov_b32_e32 v28, 0
	ds_read_b128 v[28:31], v28 offset:7392
	s_waitcnt lgkmcnt(0)
	v_mul_f64 v[32:33], v[13:14], v[30:31]
	v_mul_f64 v[30:31], v[11:12], v[30:31]
	v_fma_f64 v[11:12], v[11:12], v[28:29], -v[32:33]
	v_fma_f64 v[13:14], v[13:14], v[28:29], v[30:31]
	ds_write_b128 v25, v[11:14]
.LBB178_158:
	s_or_b64 exec, exec, s[8:9]
	v_cmp_eq_u32_e64 s[8:9], 7, v26
	s_and_b64 s[52:53], s[8:9], s[14:15]
	s_waitcnt lgkmcnt(0)
	s_barrier
	s_and_saveexec_b64 s[8:9], s[52:53]
	s_cbranch_execz .LBB178_160
; %bb.159:
	v_mov_b32_e32 v32, 0
	ds_read_b128 v[28:31], v25
	ds_read_b128 v[32:35], v32 offset:7408
	s_waitcnt lgkmcnt(0)
	v_mul_f64 v[36:37], v[30:31], v[34:35]
	v_mul_f64 v[34:35], v[28:29], v[34:35]
	v_fma_f64 v[28:29], v[28:29], v[32:33], -v[36:37]
	v_fma_f64 v[30:31], v[30:31], v[32:33], v[34:35]
	v_add_f64 v[11:12], v[11:12], v[28:29]
	v_add_f64 v[13:14], v[13:14], v[30:31]
.LBB178_160:
	s_or_b64 exec, exec, s[8:9]
	s_barrier
	s_and_saveexec_b64 s[8:9], s[52:53]
	s_cbranch_execz .LBB178_162
; %bb.161:
	v_mov_b32_e32 v28, 0
	ds_read_b128 v[28:31], v28 offset:7920
	s_waitcnt lgkmcnt(0)
	v_mul_f64 v[32:33], v[13:14], v[30:31]
	v_mul_f64 v[30:31], v[11:12], v[30:31]
	v_fma_f64 v[11:12], v[11:12], v[28:29], -v[32:33]
	v_fma_f64 v[13:14], v[13:14], v[28:29], v[30:31]
	ds_write_b128 v25, v[11:14]
.LBB178_162:
	s_or_b64 exec, exec, s[8:9]
	s_waitcnt lgkmcnt(0)
	s_barrier
	s_barrier
	s_and_saveexec_b64 s[8:9], s[12:13]
; %bb.163:
	v_xor_b32_e32 v12, 0x80000000, v12
	v_xor_b32_e32 v14, 0x80000000, v14
	ds_write_b128 v23, v[11:14] offset:128
; %bb.164:
	s_or_b64 exec, exec, s[8:9]
	s_waitcnt lgkmcnt(0)
	s_barrier
	s_barrier
	s_and_saveexec_b64 s[8:9], vcc
	s_cbranch_execz .LBB178_166
; %bb.165:
	v_mov_b32_e32 v38, 0
	ds_read_b128 v[11:14], v38 offset:4752
	ds_read_b128 v[28:31], v38 offset:4224
	ds_read_b128 v[32:35], v38 offset:4240
	s_waitcnt lgkmcnt(1)
	v_mul_f64 v[36:37], v[11:12], v[30:31]
	v_mul_f64 v[30:31], v[13:14], v[30:31]
	v_fma_f64 v[13:14], v[13:14], v[28:29], v[36:37]
	v_fma_f64 v[11:12], v[11:12], v[28:29], -v[30:31]
	s_waitcnt lgkmcnt(0)
	v_mul_f64 v[28:29], v[13:14], v[34:35]
	v_mul_f64 v[30:31], v[11:12], v[34:35]
	v_fma_f64 v[11:12], v[32:33], v[11:12], -v[28:29]
	v_fma_f64 v[13:14], v[32:33], v[13:14], v[30:31]
	ds_write_b128 v38, v[11:14] offset:4240
.LBB178_166:
	s_or_b64 exec, exec, s[8:9]
	v_mov_b32_e32 v13, 0
	v_mov_b32_e32 v11, 0
	;; [unrolled: 1-line block ×4, first 2 shown]
	s_waitcnt lgkmcnt(0)
	s_barrier
	s_and_saveexec_b64 s[10:11], s[0:1]
	s_cbranch_execz .LBB178_170
; %bb.167:
	v_mul_u32_u24_e32 v11, 0x210, v17
	ds_read_b128 v[11:14], v11 offset:4224
	ds_read_b128 v[28:31], v15 offset:4256
	v_cmp_gt_u32_e64 s[8:9], 2, v1
	s_waitcnt lgkmcnt(0)
	v_mul_f64 v[32:33], v[13:14], v[30:31]
	v_mul_f64 v[30:31], v[11:12], v[30:31]
	v_fma_f64 v[11:12], v[11:12], v[28:29], -v[32:33]
	v_fma_f64 v[13:14], v[13:14], v[28:29], v[30:31]
	v_add_f64 v[11:12], v[11:12], 0
	v_add_f64 v[13:14], v[13:14], 0
	s_and_saveexec_b64 s[14:15], s[8:9]
	s_cbranch_execz .LBB178_169
; %bb.168:
	v_lshlrev_b32_e32 v32, 4, v0
	v_mov_b32_e32 v28, 0
	ds_read_b128 v[28:31], v28 offset:4240
	ds_read_b128 v[32:35], v32 offset:4768
	s_waitcnt lgkmcnt(0)
	v_mul_f64 v[36:37], v[30:31], v[34:35]
	v_mul_f64 v[34:35], v[28:29], v[34:35]
	v_fma_f64 v[28:29], v[28:29], v[32:33], -v[36:37]
	v_fma_f64 v[30:31], v[30:31], v[32:33], v[34:35]
	v_add_f64 v[11:12], v[11:12], v[28:29]
	v_add_f64 v[13:14], v[13:14], v[30:31]
.LBB178_169:
	s_or_b64 exec, exec, s[14:15]
	v_xor_b32_e32 v12, 0x80000000, v12
	v_xor_b32_e32 v14, 0x80000000, v14
.LBB178_170:
	s_or_b64 exec, exec, s[10:11]
	s_and_saveexec_b64 s[8:9], s[38:39]
	s_cbranch_execz .LBB178_172
; %bb.171:
	v_mov_b32_e32 v28, 0
	ds_read_b128 v[28:31], v28 offset:5280
	s_waitcnt lgkmcnt(0)
	v_mul_f64 v[32:33], v[13:14], v[30:31]
	v_mul_f64 v[30:31], v[11:12], v[30:31]
	v_fma_f64 v[11:12], v[11:12], v[28:29], -v[32:33]
	v_fma_f64 v[13:14], v[13:14], v[28:29], v[30:31]
	ds_write_b128 v16, v[11:14]
.LBB178_172:
	s_or_b64 exec, exec, s[8:9]
	s_waitcnt lgkmcnt(0)
	s_barrier
	s_and_saveexec_b64 s[8:9], s[36:37]
	s_cbranch_execz .LBB178_174
; %bb.173:
	v_mov_b32_e32 v32, 0
	ds_read_b128 v[28:31], v16
	ds_read_b128 v[32:35], v32 offset:5296
	s_waitcnt lgkmcnt(0)
	v_mul_f64 v[36:37], v[30:31], v[34:35]
	v_mul_f64 v[34:35], v[28:29], v[34:35]
	v_fma_f64 v[28:29], v[28:29], v[32:33], -v[36:37]
	v_fma_f64 v[30:31], v[30:31], v[32:33], v[34:35]
	v_add_f64 v[11:12], v[11:12], v[28:29]
	v_add_f64 v[13:14], v[13:14], v[30:31]
.LBB178_174:
	s_or_b64 exec, exec, s[8:9]
	s_barrier
	s_and_saveexec_b64 s[8:9], s[36:37]
	s_cbranch_execz .LBB178_176
; %bb.175:
	v_mov_b32_e32 v28, 0
	ds_read_b128 v[28:31], v28 offset:5808
	s_waitcnt lgkmcnt(0)
	v_mul_f64 v[32:33], v[13:14], v[30:31]
	v_mul_f64 v[30:31], v[11:12], v[30:31]
	v_fma_f64 v[11:12], v[11:12], v[28:29], -v[32:33]
	v_fma_f64 v[13:14], v[13:14], v[28:29], v[30:31]
	ds_write_b128 v16, v[11:14]
.LBB178_176:
	s_or_b64 exec, exec, s[8:9]
	s_waitcnt lgkmcnt(0)
	s_barrier
	s_barrier
	s_and_saveexec_b64 s[8:9], s[0:1]
; %bb.177:
	v_xor_b32_e32 v12, 0x80000000, v12
	v_xor_b32_e32 v14, 0x80000000, v14
	ds_write_b128 v15, v[11:14] offset:4256
; %bb.178:
	s_or_b64 exec, exec, s[8:9]
	s_waitcnt lgkmcnt(0)
	s_barrier
	s_barrier
	s_and_saveexec_b64 s[8:9], vcc
	s_cbranch_execz .LBB178_180
; %bb.179:
	v_mov_b32_e32 v38, 0
	ds_read_b128 v[11:14], v38 offset:5808
	ds_read_b128 v[28:31], v38 offset:5280
	;; [unrolled: 1-line block ×3, first 2 shown]
	s_waitcnt lgkmcnt(1)
	v_mul_f64 v[36:37], v[11:12], v[30:31]
	v_mul_f64 v[30:31], v[13:14], v[30:31]
	v_fma_f64 v[13:14], v[13:14], v[28:29], v[36:37]
	v_fma_f64 v[11:12], v[11:12], v[28:29], -v[30:31]
	s_waitcnt lgkmcnt(0)
	v_mul_f64 v[28:29], v[13:14], v[34:35]
	v_mul_f64 v[30:31], v[11:12], v[34:35]
	v_fma_f64 v[11:12], v[32:33], v[11:12], -v[28:29]
	v_fma_f64 v[13:14], v[32:33], v[13:14], v[30:31]
	ds_write_b128 v38, v[11:14] offset:5296
.LBB178_180:
	s_or_b64 exec, exec, s[8:9]
	v_mov_b32_e32 v13, 0
	v_mov_b32_e32 v11, 0
	;; [unrolled: 1-line block ×4, first 2 shown]
	s_waitcnt lgkmcnt(0)
	s_barrier
	s_and_saveexec_b64 s[10:11], s[2:3]
	s_cbranch_execz .LBB178_186
; %bb.181:
	v_mul_u32_u24_e32 v28, 0x210, v22
	ds_read_b128 v[11:14], v28 offset:4224
	ds_read_b128 v[29:32], v18 offset:4288
	v_cmp_gt_u32_e64 s[8:9], 12, v1
	s_waitcnt lgkmcnt(0)
	v_mul_f64 v[33:34], v[13:14], v[31:32]
	v_mul_f64 v[31:32], v[11:12], v[31:32]
	v_fma_f64 v[11:12], v[11:12], v[29:30], -v[33:34]
	v_fma_f64 v[13:14], v[13:14], v[29:30], v[31:32]
	v_add_f64 v[11:12], v[11:12], 0
	v_add_f64 v[13:14], v[13:14], 0
	s_and_saveexec_b64 s[14:15], s[8:9]
	s_cbranch_execnz .LBB178_529
; %bb.182:
	s_or_b64 exec, exec, s[14:15]
	v_cmp_gt_u32_e64 s[8:9], 8, v1
	s_and_saveexec_b64 s[14:15], s[8:9]
	s_cbranch_execnz .LBB178_530
.LBB178_183:
	s_or_b64 exec, exec, s[14:15]
	v_cmp_gt_u32_e64 s[8:9], 4, v1
	s_and_saveexec_b64 s[14:15], s[8:9]
	s_cbranch_execz .LBB178_185
.LBB178_184:
	v_lshlrev_b32_e32 v32, 4, v0
	v_mov_b32_e32 v28, 0
	ds_read_b128 v[28:31], v28 offset:4272
	ds_read_b128 v[32:35], v32 offset:5824
	s_waitcnt lgkmcnt(0)
	v_mul_f64 v[36:37], v[30:31], v[34:35]
	v_mul_f64 v[34:35], v[28:29], v[34:35]
	v_fma_f64 v[28:29], v[28:29], v[32:33], -v[36:37]
	v_fma_f64 v[30:31], v[30:31], v[32:33], v[34:35]
	v_add_f64 v[11:12], v[11:12], v[28:29]
	v_add_f64 v[13:14], v[13:14], v[30:31]
.LBB178_185:
	s_or_b64 exec, exec, s[14:15]
	v_xor_b32_e32 v12, 0x80000000, v12
	v_xor_b32_e32 v14, 0x80000000, v14
.LBB178_186:
	s_or_b64 exec, exec, s[10:11]
	s_and_saveexec_b64 s[8:9], s[42:43]
	s_cbranch_execz .LBB178_188
; %bb.187:
	v_mov_b32_e32 v28, 0
	ds_read_b128 v[28:31], v28 offset:6336
	s_waitcnt lgkmcnt(0)
	v_mul_f64 v[32:33], v[13:14], v[30:31]
	v_mul_f64 v[30:31], v[11:12], v[30:31]
	v_fma_f64 v[11:12], v[11:12], v[28:29], -v[32:33]
	v_fma_f64 v[13:14], v[13:14], v[28:29], v[30:31]
	ds_write_b128 v20, v[11:14]
.LBB178_188:
	s_or_b64 exec, exec, s[8:9]
	s_waitcnt lgkmcnt(0)
	s_barrier
	s_and_saveexec_b64 s[8:9], s[44:45]
	s_cbranch_execz .LBB178_190
; %bb.189:
	ds_read_b128 v[28:31], v20
	ds_read_b128 v[32:35], v19 offset:6336
	s_waitcnt lgkmcnt(0)
	v_mul_f64 v[36:37], v[30:31], v[34:35]
	v_mul_f64 v[34:35], v[28:29], v[34:35]
	v_fma_f64 v[28:29], v[28:29], v[32:33], -v[36:37]
	v_fma_f64 v[30:31], v[30:31], v[32:33], v[34:35]
	v_add_f64 v[11:12], v[11:12], v[28:29]
	v_add_f64 v[13:14], v[13:14], v[30:31]
.LBB178_190:
	s_or_b64 exec, exec, s[8:9]
	s_barrier
	s_and_saveexec_b64 s[8:9], s[46:47]
	s_cbranch_execz .LBB178_192
; %bb.191:
	v_mov_b32_e32 v28, 0
	ds_read_b128 v[28:31], v28 offset:6864
	s_waitcnt lgkmcnt(0)
	v_mul_f64 v[32:33], v[13:14], v[30:31]
	v_mul_f64 v[30:31], v[11:12], v[30:31]
	v_fma_f64 v[11:12], v[11:12], v[28:29], -v[32:33]
	v_fma_f64 v[13:14], v[13:14], v[28:29], v[30:31]
	ds_write_b128 v20, v[11:14]
.LBB178_192:
	s_or_b64 exec, exec, s[8:9]
	s_waitcnt lgkmcnt(0)
	s_barrier
	s_and_saveexec_b64 s[8:9], s[48:49]
	s_cbranch_execz .LBB178_194
; %bb.193:
	ds_read_b128 v[28:31], v20
	ds_read_b128 v[32:35], v19 offset:6848
	s_waitcnt lgkmcnt(0)
	v_mul_f64 v[36:37], v[30:31], v[34:35]
	v_mul_f64 v[34:35], v[28:29], v[34:35]
	v_fma_f64 v[28:29], v[28:29], v[32:33], -v[36:37]
	v_fma_f64 v[30:31], v[30:31], v[32:33], v[34:35]
	v_add_f64 v[11:12], v[11:12], v[28:29]
	v_add_f64 v[13:14], v[13:14], v[30:31]
.LBB178_194:
	s_or_b64 exec, exec, s[8:9]
	s_barrier
	s_and_saveexec_b64 s[8:9], s[50:51]
	s_cbranch_execz .LBB178_196
; %bb.195:
	v_mov_b32_e32 v28, 0
	ds_read_b128 v[28:31], v28 offset:7392
	s_waitcnt lgkmcnt(0)
	v_mul_f64 v[32:33], v[13:14], v[30:31]
	v_mul_f64 v[30:31], v[11:12], v[30:31]
	v_fma_f64 v[11:12], v[11:12], v[28:29], -v[32:33]
	v_fma_f64 v[13:14], v[13:14], v[28:29], v[30:31]
	ds_write_b128 v20, v[11:14]
.LBB178_196:
	s_or_b64 exec, exec, s[8:9]
	s_waitcnt lgkmcnt(0)
	s_barrier
	s_and_saveexec_b64 s[8:9], s[40:41]
	s_cbranch_execz .LBB178_198
; %bb.197:
	v_mov_b32_e32 v32, 0
	ds_read_b128 v[28:31], v20
	ds_read_b128 v[32:35], v32 offset:7408
	s_waitcnt lgkmcnt(0)
	v_mul_f64 v[36:37], v[30:31], v[34:35]
	v_mul_f64 v[34:35], v[28:29], v[34:35]
	v_fma_f64 v[28:29], v[28:29], v[32:33], -v[36:37]
	v_fma_f64 v[30:31], v[30:31], v[32:33], v[34:35]
	v_add_f64 v[11:12], v[11:12], v[28:29]
	v_add_f64 v[13:14], v[13:14], v[30:31]
.LBB178_198:
	s_or_b64 exec, exec, s[8:9]
	s_barrier
	s_and_saveexec_b64 s[8:9], s[40:41]
	s_cbranch_execz .LBB178_200
; %bb.199:
	v_mov_b32_e32 v28, 0
	ds_read_b128 v[28:31], v28 offset:7920
	s_waitcnt lgkmcnt(0)
	v_mul_f64 v[32:33], v[13:14], v[30:31]
	v_mul_f64 v[30:31], v[11:12], v[30:31]
	v_fma_f64 v[11:12], v[11:12], v[28:29], -v[32:33]
	v_fma_f64 v[13:14], v[13:14], v[28:29], v[30:31]
	ds_write_b128 v20, v[11:14]
.LBB178_200:
	s_or_b64 exec, exec, s[8:9]
	s_waitcnt lgkmcnt(0)
	s_barrier
	s_barrier
	s_and_saveexec_b64 s[8:9], s[2:3]
; %bb.201:
	v_xor_b32_e32 v14, 0x80000000, v14
	v_xor_b32_e32 v12, 0x80000000, v12
	ds_write_b128 v18, v[11:14] offset:4288
; %bb.202:
	s_or_b64 exec, exec, s[8:9]
	s_waitcnt lgkmcnt(0)
	s_barrier
	s_barrier
	s_and_saveexec_b64 s[8:9], vcc
	s_cbranch_execz .LBB178_204
; %bb.203:
	v_mov_b32_e32 v38, 0
	ds_read_b128 v[11:14], v38 offset:6864
	ds_read_b128 v[28:31], v38 offset:6336
	;; [unrolled: 1-line block ×3, first 2 shown]
	s_waitcnt lgkmcnt(1)
	v_mul_f64 v[36:37], v[11:12], v[30:31]
	v_mul_f64 v[30:31], v[13:14], v[30:31]
	v_fma_f64 v[13:14], v[13:14], v[28:29], v[36:37]
	v_fma_f64 v[11:12], v[11:12], v[28:29], -v[30:31]
	s_waitcnt lgkmcnt(0)
	v_mul_f64 v[28:29], v[13:14], v[34:35]
	v_mul_f64 v[30:31], v[11:12], v[34:35]
	v_fma_f64 v[11:12], v[32:33], v[11:12], -v[28:29]
	v_fma_f64 v[13:14], v[32:33], v[13:14], v[30:31]
	ds_write_b128 v38, v[11:14] offset:6352
.LBB178_204:
	s_or_b64 exec, exec, s[8:9]
	v_mov_b32_e32 v13, 0
	v_mov_b32_e32 v11, 0
	;; [unrolled: 1-line block ×4, first 2 shown]
	s_waitcnt lgkmcnt(0)
	s_barrier
	s_and_saveexec_b64 s[10:11], s[0:1]
	s_cbranch_execz .LBB178_208
; %bb.205:
	v_mul_u32_u24_e32 v11, 0x210, v17
	ds_read_b128 v[11:14], v11 offset:6336
	ds_read_b128 v[28:31], v15 offset:6368
	v_cmp_gt_u32_e64 s[8:9], 2, v1
	s_waitcnt lgkmcnt(0)
	v_mul_f64 v[32:33], v[13:14], v[30:31]
	v_mul_f64 v[30:31], v[11:12], v[30:31]
	v_fma_f64 v[11:12], v[11:12], v[28:29], -v[32:33]
	v_fma_f64 v[13:14], v[13:14], v[28:29], v[30:31]
	v_add_f64 v[11:12], v[11:12], 0
	v_add_f64 v[13:14], v[13:14], 0
	s_and_saveexec_b64 s[14:15], s[8:9]
	s_cbranch_execz .LBB178_207
; %bb.206:
	v_lshlrev_b32_e32 v32, 4, v0
	v_mov_b32_e32 v28, 0
	ds_read_b128 v[28:31], v28 offset:6352
	ds_read_b128 v[32:35], v32 offset:6880
	s_waitcnt lgkmcnt(0)
	v_mul_f64 v[36:37], v[30:31], v[34:35]
	v_mul_f64 v[34:35], v[28:29], v[34:35]
	v_fma_f64 v[28:29], v[28:29], v[32:33], -v[36:37]
	v_fma_f64 v[30:31], v[30:31], v[32:33], v[34:35]
	v_add_f64 v[11:12], v[11:12], v[28:29]
	v_add_f64 v[13:14], v[13:14], v[30:31]
.LBB178_207:
	s_or_b64 exec, exec, s[14:15]
	v_xor_b32_e32 v12, 0x80000000, v12
	v_xor_b32_e32 v14, 0x80000000, v14
.LBB178_208:
	s_or_b64 exec, exec, s[10:11]
	s_and_saveexec_b64 s[8:9], s[38:39]
	s_cbranch_execz .LBB178_210
; %bb.209:
	v_mov_b32_e32 v28, 0
	ds_read_b128 v[28:31], v28 offset:7392
	s_waitcnt lgkmcnt(0)
	v_mul_f64 v[32:33], v[13:14], v[30:31]
	v_mul_f64 v[30:31], v[11:12], v[30:31]
	v_fma_f64 v[11:12], v[11:12], v[28:29], -v[32:33]
	v_fma_f64 v[13:14], v[13:14], v[28:29], v[30:31]
	ds_write_b128 v16, v[11:14]
.LBB178_210:
	s_or_b64 exec, exec, s[8:9]
	s_waitcnt lgkmcnt(0)
	s_barrier
	s_and_saveexec_b64 s[8:9], s[36:37]
	s_cbranch_execz .LBB178_212
; %bb.211:
	v_mov_b32_e32 v32, 0
	ds_read_b128 v[28:31], v16
	ds_read_b128 v[32:35], v32 offset:7408
	s_waitcnt lgkmcnt(0)
	v_mul_f64 v[36:37], v[30:31], v[34:35]
	v_mul_f64 v[34:35], v[28:29], v[34:35]
	v_fma_f64 v[28:29], v[28:29], v[32:33], -v[36:37]
	v_fma_f64 v[30:31], v[30:31], v[32:33], v[34:35]
	v_add_f64 v[11:12], v[11:12], v[28:29]
	v_add_f64 v[13:14], v[13:14], v[30:31]
.LBB178_212:
	s_or_b64 exec, exec, s[8:9]
	s_barrier
	s_and_saveexec_b64 s[8:9], s[36:37]
	s_cbranch_execz .LBB178_214
; %bb.213:
	v_mov_b32_e32 v28, 0
	ds_read_b128 v[28:31], v28 offset:7920
	s_waitcnt lgkmcnt(0)
	v_mul_f64 v[32:33], v[13:14], v[30:31]
	v_mul_f64 v[30:31], v[11:12], v[30:31]
	v_fma_f64 v[11:12], v[11:12], v[28:29], -v[32:33]
	v_fma_f64 v[13:14], v[13:14], v[28:29], v[30:31]
	ds_write_b128 v16, v[11:14]
.LBB178_214:
	s_or_b64 exec, exec, s[8:9]
	s_waitcnt lgkmcnt(0)
	s_barrier
	s_barrier
	s_and_saveexec_b64 s[8:9], s[0:1]
; %bb.215:
	v_xor_b32_e32 v12, 0x80000000, v12
	v_xor_b32_e32 v14, 0x80000000, v14
	ds_write_b128 v15, v[11:14] offset:6368
; %bb.216:
	s_or_b64 exec, exec, s[8:9]
	s_waitcnt lgkmcnt(0)
	s_barrier
	s_barrier
	s_and_saveexec_b64 s[8:9], vcc
	s_cbranch_execz .LBB178_218
; %bb.217:
	v_mov_b32_e32 v38, 0
	ds_read_b128 v[11:14], v38 offset:7920
	ds_read_b128 v[28:31], v38 offset:7392
	;; [unrolled: 1-line block ×3, first 2 shown]
	s_waitcnt lgkmcnt(1)
	v_mul_f64 v[36:37], v[11:12], v[30:31]
	v_mul_f64 v[30:31], v[13:14], v[30:31]
	v_fma_f64 v[13:14], v[13:14], v[28:29], v[36:37]
	v_fma_f64 v[11:12], v[11:12], v[28:29], -v[30:31]
	s_waitcnt lgkmcnt(0)
	v_mul_f64 v[28:29], v[13:14], v[34:35]
	v_mul_f64 v[30:31], v[11:12], v[34:35]
	v_fma_f64 v[11:12], v[32:33], v[11:12], -v[28:29]
	v_fma_f64 v[13:14], v[32:33], v[13:14], v[30:31]
	ds_write_b128 v38, v[11:14] offset:7408
.LBB178_218:
	s_or_b64 exec, exec, s[8:9]
	v_and_b32_e32 v29, 15, v0
	s_movk_i32 s8, 0xff
	v_lshrrev_b32_e32 v31, 4, v1
	v_cmp_lt_u32_e64 s[10:11], s8, v1
	s_movk_i32 s8, 0x100
	v_lshlrev_b32_e32 v30, 4, v29
	v_mov_b32_e32 v13, 0
	v_mov_b32_e32 v11, 0
	v_cmp_gt_u32_e64 s[8:9], s8, v1
	v_mov_b32_e32 v14, 0
	v_mov_b32_e32 v12, 0
	v_lshl_or_b32 v28, v31, 9, v30
	s_waitcnt lgkmcnt(0)
	s_barrier
	s_and_saveexec_b64 s[80:81], s[8:9]
	s_cbranch_execz .LBB178_246
; %bb.219:
	v_mul_u32_u24_e32 v32, 0x210, v31
	ds_read_b128 v[11:14], v32
	ds_read_b128 v[33:36], v28 offset:256
	s_movk_i32 s14, 0xf0
	v_cmp_gt_u32_e64 s[14:15], s14, v1
	s_waitcnt lgkmcnt(0)
	v_mul_f64 v[37:38], v[13:14], v[35:36]
	v_mul_f64 v[35:36], v[11:12], v[35:36]
	v_fma_f64 v[11:12], v[11:12], v[33:34], -v[37:38]
	v_fma_f64 v[13:14], v[13:14], v[33:34], v[35:36]
	v_add_f64 v[11:12], v[11:12], 0
	v_add_f64 v[13:14], v[13:14], 0
	s_and_saveexec_b64 s[82:83], s[14:15]
	s_cbranch_execz .LBB178_221
; %bb.220:
	ds_read_b128 v[33:36], v32 offset:16
	ds_read_b128 v[37:40], v28 offset:768
	s_waitcnt lgkmcnt(0)
	v_mul_f64 v[41:42], v[35:36], v[39:40]
	v_mul_f64 v[39:40], v[33:34], v[39:40]
	v_fma_f64 v[33:34], v[33:34], v[37:38], -v[41:42]
	v_fma_f64 v[35:36], v[35:36], v[37:38], v[39:40]
	v_add_f64 v[11:12], v[11:12], v[33:34]
	v_add_f64 v[13:14], v[13:14], v[35:36]
.LBB178_221:
	s_or_b64 exec, exec, s[82:83]
	s_movk_i32 s14, 0xe0
	v_cmp_gt_u32_e64 s[14:15], s14, v1
	s_and_saveexec_b64 s[82:83], s[14:15]
	s_cbranch_execz .LBB178_223
; %bb.222:
	ds_read_b128 v[33:36], v32 offset:32
	ds_read_b128 v[37:40], v28 offset:1280
	s_waitcnt lgkmcnt(0)
	v_mul_f64 v[41:42], v[35:36], v[39:40]
	v_mul_f64 v[39:40], v[33:34], v[39:40]
	v_fma_f64 v[33:34], v[33:34], v[37:38], -v[41:42]
	v_fma_f64 v[35:36], v[35:36], v[37:38], v[39:40]
	v_add_f64 v[11:12], v[11:12], v[33:34]
	v_add_f64 v[13:14], v[13:14], v[35:36]
.LBB178_223:
	s_or_b64 exec, exec, s[82:83]
	s_movk_i32 s14, 0xd0
	v_cmp_gt_u32_e64 s[14:15], s14, v1
	;; [unrolled: 16-line block ×10, first 2 shown]
	s_and_saveexec_b64 s[82:83], s[14:15]
	s_cbranch_execnz .LBB178_531
; %bb.240:
	s_or_b64 exec, exec, s[82:83]
	v_cmp_gt_u32_e64 s[14:15], 64, v1
	s_and_saveexec_b64 s[82:83], s[14:15]
	s_cbranch_execnz .LBB178_532
.LBB178_241:
	s_or_b64 exec, exec, s[82:83]
	v_cmp_gt_u32_e64 s[14:15], 48, v1
	s_and_saveexec_b64 s[82:83], s[14:15]
	s_cbranch_execnz .LBB178_533
.LBB178_242:
	s_or_b64 exec, exec, s[82:83]
	v_cmp_gt_u32_e64 s[14:15], 32, v1
	s_and_saveexec_b64 s[82:83], s[14:15]
	s_cbranch_execnz .LBB178_534
.LBB178_243:
	s_or_b64 exec, exec, s[82:83]
	v_cmp_gt_u32_e64 s[14:15], 16, v1
	s_and_saveexec_b64 s[82:83], s[14:15]
	s_cbranch_execz .LBB178_245
.LBB178_244:
	v_lshlrev_b32_e32 v36, 4, v0
	v_mov_b32_e32 v32, 0
	ds_read_b128 v[32:35], v32 offset:240
	ds_read_b128 v[36:39], v36 offset:7936
	s_waitcnt lgkmcnt(0)
	v_mul_f64 v[40:41], v[34:35], v[38:39]
	v_mul_f64 v[38:39], v[32:33], v[38:39]
	v_fma_f64 v[32:33], v[32:33], v[36:37], -v[40:41]
	v_fma_f64 v[34:35], v[34:35], v[36:37], v[38:39]
	v_add_f64 v[11:12], v[11:12], v[32:33]
	v_add_f64 v[13:14], v[13:14], v[34:35]
.LBB178_245:
	s_or_b64 exec, exec, s[82:83]
	v_xor_b32_e32 v12, 0x80000000, v12
	v_xor_b32_e32 v14, 0x80000000, v14
.LBB178_246:
	s_or_b64 exec, exec, s[80:81]
	v_mov_b32_e32 v32, 0x4000
	v_cmp_eq_u32_e64 s[14:15], 0, v29
	s_xor_b64 s[80:81], s[10:11], -1
	v_lshl_add_u32 v31, v31, 4, v32
	s_and_b64 s[14:15], s[14:15], s[80:81]
	s_and_saveexec_b64 s[10:11], s[14:15]
	s_cbranch_execz .LBB178_248
; %bb.247:
	v_mov_b32_e32 v32, 0
	ds_read_b128 v[32:35], v32 offset:8448
	s_waitcnt lgkmcnt(0)
	v_mul_f64 v[36:37], v[13:14], v[34:35]
	v_mul_f64 v[34:35], v[11:12], v[34:35]
	v_fma_f64 v[11:12], v[11:12], v[32:33], -v[36:37]
	v_fma_f64 v[13:14], v[13:14], v[32:33], v[34:35]
	ds_write_b128 v31, v[11:14]
.LBB178_248:
	s_or_b64 exec, exec, s[10:11]
	v_cmp_ne_u32_e64 s[10:11], 0, v29
	s_and_b64 s[14:15], s[10:11], s[80:81]
	s_waitcnt lgkmcnt(0)
	s_barrier
	s_and_saveexec_b64 s[10:11], s[14:15]
	s_cbranch_execz .LBB178_250
; %bb.249:
	ds_read_b128 v[32:35], v31
	ds_read_b128 v[36:39], v30 offset:8448
	s_waitcnt lgkmcnt(0)
	v_mul_f64 v[40:41], v[34:35], v[38:39]
	v_mul_f64 v[38:39], v[32:33], v[38:39]
	v_fma_f64 v[32:33], v[32:33], v[36:37], -v[40:41]
	v_fma_f64 v[34:35], v[34:35], v[36:37], v[38:39]
	v_add_f64 v[11:12], v[11:12], v[32:33]
	v_add_f64 v[13:14], v[13:14], v[34:35]
.LBB178_250:
	s_or_b64 exec, exec, s[10:11]
	v_cmp_eq_u32_e64 s[10:11], 1, v29
	s_and_b64 s[14:15], s[10:11], s[80:81]
	s_barrier
	s_and_saveexec_b64 s[10:11], s[14:15]
	s_cbranch_execz .LBB178_252
; %bb.251:
	v_mov_b32_e32 v32, 0
	ds_read_b128 v[32:35], v32 offset:8976
	s_waitcnt lgkmcnt(0)
	v_mul_f64 v[36:37], v[13:14], v[34:35]
	v_mul_f64 v[34:35], v[11:12], v[34:35]
	v_fma_f64 v[11:12], v[11:12], v[32:33], -v[36:37]
	v_fma_f64 v[13:14], v[13:14], v[32:33], v[34:35]
	ds_write_b128 v31, v[11:14]
.LBB178_252:
	s_or_b64 exec, exec, s[10:11]
	v_cmp_lt_u32_e64 s[10:11], 1, v29
	s_and_b64 s[14:15], s[10:11], s[80:81]
	s_waitcnt lgkmcnt(0)
	s_barrier
	s_and_saveexec_b64 s[10:11], s[14:15]
	s_cbranch_execz .LBB178_254
; %bb.253:
	ds_read_b128 v[32:35], v31
	ds_read_b128 v[36:39], v30 offset:8960
	s_waitcnt lgkmcnt(0)
	v_mul_f64 v[40:41], v[34:35], v[38:39]
	v_mul_f64 v[38:39], v[32:33], v[38:39]
	v_fma_f64 v[32:33], v[32:33], v[36:37], -v[40:41]
	v_fma_f64 v[34:35], v[34:35], v[36:37], v[38:39]
	v_add_f64 v[11:12], v[11:12], v[32:33]
	v_add_f64 v[13:14], v[13:14], v[34:35]
.LBB178_254:
	s_or_b64 exec, exec, s[10:11]
	v_cmp_eq_u32_e64 s[10:11], 2, v29
	s_and_b64 s[14:15], s[10:11], s[80:81]
	s_barrier
	s_and_saveexec_b64 s[10:11], s[14:15]
	s_cbranch_execz .LBB178_256
; %bb.255:
	v_mov_b32_e32 v32, 0
	ds_read_b128 v[32:35], v32 offset:9504
	s_waitcnt lgkmcnt(0)
	v_mul_f64 v[36:37], v[13:14], v[34:35]
	v_mul_f64 v[34:35], v[11:12], v[34:35]
	v_fma_f64 v[11:12], v[11:12], v[32:33], -v[36:37]
	v_fma_f64 v[13:14], v[13:14], v[32:33], v[34:35]
	ds_write_b128 v31, v[11:14]
.LBB178_256:
	s_or_b64 exec, exec, s[10:11]
	v_cmp_lt_u32_e64 s[10:11], 2, v29
	;; [unrolled: 34-line block ×13, first 2 shown]
	s_and_b64 s[14:15], s[10:11], s[80:81]
	s_waitcnt lgkmcnt(0)
	s_barrier
	s_and_saveexec_b64 s[10:11], s[14:15]
	s_cbranch_execz .LBB178_302
; %bb.301:
	ds_read_b128 v[32:35], v31
	ds_read_b128 v[36:39], v30 offset:15104
	s_waitcnt lgkmcnt(0)
	v_mul_f64 v[40:41], v[34:35], v[38:39]
	v_mul_f64 v[38:39], v[32:33], v[38:39]
	v_fma_f64 v[32:33], v[32:33], v[36:37], -v[40:41]
	v_fma_f64 v[34:35], v[34:35], v[36:37], v[38:39]
	v_add_f64 v[11:12], v[11:12], v[32:33]
	v_add_f64 v[13:14], v[13:14], v[34:35]
.LBB178_302:
	s_or_b64 exec, exec, s[10:11]
	v_cmp_eq_u32_e64 s[10:11], 14, v29
	s_and_b64 s[14:15], s[10:11], s[80:81]
	s_barrier
	s_and_saveexec_b64 s[10:11], s[14:15]
	s_cbranch_execz .LBB178_304
; %bb.303:
	v_mov_b32_e32 v30, 0
	ds_read_b128 v[32:35], v30 offset:15840
	s_waitcnt lgkmcnt(0)
	v_mul_f64 v[36:37], v[13:14], v[34:35]
	v_mul_f64 v[34:35], v[11:12], v[34:35]
	v_fma_f64 v[11:12], v[11:12], v[32:33], -v[36:37]
	v_fma_f64 v[13:14], v[13:14], v[32:33], v[34:35]
	ds_write_b128 v31, v[11:14]
.LBB178_304:
	s_or_b64 exec, exec, s[10:11]
	v_cmp_eq_u32_e64 s[10:11], 15, v29
	s_and_b64 s[10:11], s[10:11], s[80:81]
	s_waitcnt lgkmcnt(0)
	s_barrier
	s_and_saveexec_b64 s[14:15], s[10:11]
	s_cbranch_execz .LBB178_306
; %bb.305:
	v_mov_b32_e32 v29, 0
	ds_read_b128 v[32:35], v31
	ds_read_b128 v[36:39], v29 offset:15856
	s_waitcnt lgkmcnt(0)
	v_mul_f64 v[29:30], v[34:35], v[38:39]
	v_mul_f64 v[38:39], v[32:33], v[38:39]
	v_fma_f64 v[29:30], v[32:33], v[36:37], -v[29:30]
	v_fma_f64 v[32:33], v[34:35], v[36:37], v[38:39]
	v_add_f64 v[11:12], v[11:12], v[29:30]
	v_add_f64 v[13:14], v[13:14], v[32:33]
.LBB178_306:
	s_or_b64 exec, exec, s[14:15]
	s_barrier
	s_and_saveexec_b64 s[14:15], s[10:11]
	s_cbranch_execz .LBB178_308
; %bb.307:
	v_mov_b32_e32 v29, 0
	ds_read_b128 v[32:35], v29 offset:16368
	s_waitcnt lgkmcnt(0)
	v_mul_f64 v[29:30], v[13:14], v[34:35]
	v_mul_f64 v[34:35], v[11:12], v[34:35]
	v_fma_f64 v[11:12], v[11:12], v[32:33], -v[29:30]
	v_fma_f64 v[13:14], v[13:14], v[32:33], v[34:35]
	ds_write_b128 v31, v[11:14]
.LBB178_308:
	s_or_b64 exec, exec, s[14:15]
	s_waitcnt lgkmcnt(0)
	s_barrier
	s_barrier
	s_and_saveexec_b64 s[10:11], s[8:9]
; %bb.309:
	v_xor_b32_e32 v14, 0x80000000, v14
	v_xor_b32_e32 v12, 0x80000000, v12
	ds_write_b128 v28, v[11:14] offset:256
; %bb.310:
	s_or_b64 exec, exec, s[10:11]
	s_waitcnt lgkmcnt(0)
	s_barrier
	s_barrier
	s_and_saveexec_b64 s[8:9], vcc
	s_cbranch_execz .LBB178_312
; %bb.311:
	v_mov_b32_e32 v38, 0
	ds_read_b128 v[11:14], v38 offset:8976
	ds_read_b128 v[28:31], v38 offset:8448
	;; [unrolled: 1-line block ×3, first 2 shown]
	s_waitcnt lgkmcnt(1)
	v_mul_f64 v[36:37], v[11:12], v[30:31]
	v_mul_f64 v[30:31], v[13:14], v[30:31]
	v_fma_f64 v[13:14], v[13:14], v[28:29], v[36:37]
	v_fma_f64 v[11:12], v[11:12], v[28:29], -v[30:31]
	s_waitcnt lgkmcnt(0)
	v_mul_f64 v[28:29], v[13:14], v[34:35]
	v_mul_f64 v[30:31], v[11:12], v[34:35]
	v_fma_f64 v[11:12], v[32:33], v[11:12], -v[28:29]
	v_fma_f64 v[13:14], v[32:33], v[13:14], v[30:31]
	ds_write_b128 v38, v[11:14] offset:8464
.LBB178_312:
	s_or_b64 exec, exec, s[8:9]
	v_mov_b32_e32 v13, 0
	v_mov_b32_e32 v11, 0
	;; [unrolled: 1-line block ×4, first 2 shown]
	s_waitcnt lgkmcnt(0)
	s_barrier
	s_and_saveexec_b64 s[10:11], s[0:1]
	s_cbranch_execz .LBB178_316
; %bb.313:
	v_mul_u32_u24_e32 v11, 0x210, v17
	ds_read_b128 v[11:14], v11 offset:8448
	ds_read_b128 v[28:31], v15 offset:8480
	v_cmp_gt_u32_e64 s[8:9], 2, v1
	s_waitcnt lgkmcnt(0)
	v_mul_f64 v[32:33], v[13:14], v[30:31]
	v_mul_f64 v[30:31], v[11:12], v[30:31]
	v_fma_f64 v[11:12], v[11:12], v[28:29], -v[32:33]
	v_fma_f64 v[13:14], v[13:14], v[28:29], v[30:31]
	v_add_f64 v[11:12], v[11:12], 0
	v_add_f64 v[13:14], v[13:14], 0
	s_and_saveexec_b64 s[14:15], s[8:9]
	s_cbranch_execz .LBB178_315
; %bb.314:
	v_lshlrev_b32_e32 v32, 4, v0
	v_mov_b32_e32 v28, 0
	ds_read_b128 v[28:31], v28 offset:8464
	ds_read_b128 v[32:35], v32 offset:8992
	s_waitcnt lgkmcnt(0)
	v_mul_f64 v[36:37], v[30:31], v[34:35]
	v_mul_f64 v[34:35], v[28:29], v[34:35]
	v_fma_f64 v[28:29], v[28:29], v[32:33], -v[36:37]
	v_fma_f64 v[30:31], v[30:31], v[32:33], v[34:35]
	v_add_f64 v[11:12], v[11:12], v[28:29]
	v_add_f64 v[13:14], v[13:14], v[30:31]
.LBB178_315:
	s_or_b64 exec, exec, s[14:15]
	v_xor_b32_e32 v12, 0x80000000, v12
	v_xor_b32_e32 v14, 0x80000000, v14
.LBB178_316:
	s_or_b64 exec, exec, s[10:11]
	s_and_saveexec_b64 s[8:9], s[38:39]
	s_cbranch_execz .LBB178_318
; %bb.317:
	v_mov_b32_e32 v28, 0
	ds_read_b128 v[28:31], v28 offset:9504
	s_waitcnt lgkmcnt(0)
	v_mul_f64 v[32:33], v[13:14], v[30:31]
	v_mul_f64 v[30:31], v[11:12], v[30:31]
	v_fma_f64 v[11:12], v[11:12], v[28:29], -v[32:33]
	v_fma_f64 v[13:14], v[13:14], v[28:29], v[30:31]
	ds_write_b128 v16, v[11:14]
.LBB178_318:
	s_or_b64 exec, exec, s[8:9]
	s_waitcnt lgkmcnt(0)
	s_barrier
	s_and_saveexec_b64 s[8:9], s[36:37]
	s_cbranch_execz .LBB178_320
; %bb.319:
	v_mov_b32_e32 v32, 0
	ds_read_b128 v[28:31], v16
	ds_read_b128 v[32:35], v32 offset:9520
	s_waitcnt lgkmcnt(0)
	v_mul_f64 v[36:37], v[30:31], v[34:35]
	v_mul_f64 v[34:35], v[28:29], v[34:35]
	v_fma_f64 v[28:29], v[28:29], v[32:33], -v[36:37]
	v_fma_f64 v[30:31], v[30:31], v[32:33], v[34:35]
	v_add_f64 v[11:12], v[11:12], v[28:29]
	v_add_f64 v[13:14], v[13:14], v[30:31]
.LBB178_320:
	s_or_b64 exec, exec, s[8:9]
	s_barrier
	s_and_saveexec_b64 s[8:9], s[36:37]
	s_cbranch_execz .LBB178_322
; %bb.321:
	v_mov_b32_e32 v28, 0
	ds_read_b128 v[28:31], v28 offset:10032
	s_waitcnt lgkmcnt(0)
	v_mul_f64 v[32:33], v[13:14], v[30:31]
	v_mul_f64 v[30:31], v[11:12], v[30:31]
	v_fma_f64 v[11:12], v[11:12], v[28:29], -v[32:33]
	v_fma_f64 v[13:14], v[13:14], v[28:29], v[30:31]
	ds_write_b128 v16, v[11:14]
.LBB178_322:
	s_or_b64 exec, exec, s[8:9]
	s_waitcnt lgkmcnt(0)
	s_barrier
	s_barrier
	s_and_saveexec_b64 s[8:9], s[0:1]
; %bb.323:
	v_xor_b32_e32 v12, 0x80000000, v12
	v_xor_b32_e32 v14, 0x80000000, v14
	ds_write_b128 v15, v[11:14] offset:8480
; %bb.324:
	s_or_b64 exec, exec, s[8:9]
	s_waitcnt lgkmcnt(0)
	s_barrier
	s_barrier
	s_and_saveexec_b64 s[8:9], vcc
	s_cbranch_execz .LBB178_326
; %bb.325:
	v_mov_b32_e32 v38, 0
	ds_read_b128 v[11:14], v38 offset:10032
	ds_read_b128 v[28:31], v38 offset:9504
	;; [unrolled: 1-line block ×3, first 2 shown]
	s_waitcnt lgkmcnt(1)
	v_mul_f64 v[36:37], v[11:12], v[30:31]
	v_mul_f64 v[30:31], v[13:14], v[30:31]
	v_fma_f64 v[13:14], v[13:14], v[28:29], v[36:37]
	v_fma_f64 v[11:12], v[11:12], v[28:29], -v[30:31]
	s_waitcnt lgkmcnt(0)
	v_mul_f64 v[28:29], v[13:14], v[34:35]
	v_mul_f64 v[30:31], v[11:12], v[34:35]
	v_fma_f64 v[11:12], v[32:33], v[11:12], -v[28:29]
	v_fma_f64 v[13:14], v[32:33], v[13:14], v[30:31]
	ds_write_b128 v38, v[11:14] offset:9520
.LBB178_326:
	s_or_b64 exec, exec, s[8:9]
	v_mov_b32_e32 v13, 0
	v_mov_b32_e32 v11, 0
	;; [unrolled: 1-line block ×4, first 2 shown]
	s_waitcnt lgkmcnt(0)
	s_barrier
	s_and_saveexec_b64 s[10:11], s[2:3]
	s_cbranch_execz .LBB178_332
; %bb.327:
	v_mul_u32_u24_e32 v28, 0x210, v22
	ds_read_b128 v[11:14], v28 offset:8448
	ds_read_b128 v[29:32], v18 offset:8512
	v_cmp_gt_u32_e64 s[8:9], 12, v1
	s_waitcnt lgkmcnt(0)
	v_mul_f64 v[33:34], v[13:14], v[31:32]
	v_mul_f64 v[31:32], v[11:12], v[31:32]
	v_fma_f64 v[11:12], v[11:12], v[29:30], -v[33:34]
	v_fma_f64 v[13:14], v[13:14], v[29:30], v[31:32]
	v_add_f64 v[11:12], v[11:12], 0
	v_add_f64 v[13:14], v[13:14], 0
	s_and_saveexec_b64 s[14:15], s[8:9]
	s_cbranch_execnz .LBB178_535
; %bb.328:
	s_or_b64 exec, exec, s[14:15]
	v_cmp_gt_u32_e64 s[8:9], 8, v1
	s_and_saveexec_b64 s[14:15], s[8:9]
	s_cbranch_execnz .LBB178_536
.LBB178_329:
	s_or_b64 exec, exec, s[14:15]
	v_cmp_gt_u32_e64 s[8:9], 4, v1
	s_and_saveexec_b64 s[14:15], s[8:9]
	s_cbranch_execz .LBB178_331
.LBB178_330:
	v_lshlrev_b32_e32 v32, 4, v0
	v_mov_b32_e32 v28, 0
	ds_read_b128 v[28:31], v28 offset:8496
	ds_read_b128 v[32:35], v32 offset:10048
	s_waitcnt lgkmcnt(0)
	v_mul_f64 v[36:37], v[30:31], v[34:35]
	v_mul_f64 v[34:35], v[28:29], v[34:35]
	v_fma_f64 v[28:29], v[28:29], v[32:33], -v[36:37]
	v_fma_f64 v[30:31], v[30:31], v[32:33], v[34:35]
	v_add_f64 v[11:12], v[11:12], v[28:29]
	v_add_f64 v[13:14], v[13:14], v[30:31]
.LBB178_331:
	s_or_b64 exec, exec, s[14:15]
	v_xor_b32_e32 v12, 0x80000000, v12
	v_xor_b32_e32 v14, 0x80000000, v14
.LBB178_332:
	s_or_b64 exec, exec, s[10:11]
	s_and_saveexec_b64 s[8:9], s[42:43]
	s_cbranch_execz .LBB178_334
; %bb.333:
	v_mov_b32_e32 v28, 0
	ds_read_b128 v[28:31], v28 offset:10560
	s_waitcnt lgkmcnt(0)
	v_mul_f64 v[32:33], v[13:14], v[30:31]
	v_mul_f64 v[30:31], v[11:12], v[30:31]
	v_fma_f64 v[11:12], v[11:12], v[28:29], -v[32:33]
	v_fma_f64 v[13:14], v[13:14], v[28:29], v[30:31]
	ds_write_b128 v20, v[11:14]
.LBB178_334:
	s_or_b64 exec, exec, s[8:9]
	s_waitcnt lgkmcnt(0)
	s_barrier
	s_and_saveexec_b64 s[8:9], s[44:45]
	s_cbranch_execz .LBB178_336
; %bb.335:
	ds_read_b128 v[28:31], v20
	ds_read_b128 v[32:35], v19 offset:10560
	s_waitcnt lgkmcnt(0)
	v_mul_f64 v[36:37], v[30:31], v[34:35]
	v_mul_f64 v[34:35], v[28:29], v[34:35]
	v_fma_f64 v[28:29], v[28:29], v[32:33], -v[36:37]
	v_fma_f64 v[30:31], v[30:31], v[32:33], v[34:35]
	v_add_f64 v[11:12], v[11:12], v[28:29]
	v_add_f64 v[13:14], v[13:14], v[30:31]
.LBB178_336:
	s_or_b64 exec, exec, s[8:9]
	s_barrier
	s_and_saveexec_b64 s[8:9], s[46:47]
	s_cbranch_execz .LBB178_338
; %bb.337:
	v_mov_b32_e32 v28, 0
	ds_read_b128 v[28:31], v28 offset:11088
	s_waitcnt lgkmcnt(0)
	v_mul_f64 v[32:33], v[13:14], v[30:31]
	v_mul_f64 v[30:31], v[11:12], v[30:31]
	v_fma_f64 v[11:12], v[11:12], v[28:29], -v[32:33]
	v_fma_f64 v[13:14], v[13:14], v[28:29], v[30:31]
	ds_write_b128 v20, v[11:14]
.LBB178_338:
	s_or_b64 exec, exec, s[8:9]
	s_waitcnt lgkmcnt(0)
	s_barrier
	s_and_saveexec_b64 s[8:9], s[48:49]
	s_cbranch_execz .LBB178_340
; %bb.339:
	ds_read_b128 v[28:31], v20
	ds_read_b128 v[32:35], v19 offset:11072
	s_waitcnt lgkmcnt(0)
	v_mul_f64 v[36:37], v[30:31], v[34:35]
	v_mul_f64 v[34:35], v[28:29], v[34:35]
	v_fma_f64 v[28:29], v[28:29], v[32:33], -v[36:37]
	v_fma_f64 v[30:31], v[30:31], v[32:33], v[34:35]
	v_add_f64 v[11:12], v[11:12], v[28:29]
	v_add_f64 v[13:14], v[13:14], v[30:31]
.LBB178_340:
	s_or_b64 exec, exec, s[8:9]
	s_barrier
	s_and_saveexec_b64 s[8:9], s[50:51]
	s_cbranch_execz .LBB178_342
; %bb.341:
	v_mov_b32_e32 v28, 0
	ds_read_b128 v[28:31], v28 offset:11616
	s_waitcnt lgkmcnt(0)
	v_mul_f64 v[32:33], v[13:14], v[30:31]
	v_mul_f64 v[30:31], v[11:12], v[30:31]
	v_fma_f64 v[11:12], v[11:12], v[28:29], -v[32:33]
	v_fma_f64 v[13:14], v[13:14], v[28:29], v[30:31]
	ds_write_b128 v20, v[11:14]
.LBB178_342:
	s_or_b64 exec, exec, s[8:9]
	s_waitcnt lgkmcnt(0)
	s_barrier
	s_and_saveexec_b64 s[8:9], s[40:41]
	s_cbranch_execz .LBB178_344
; %bb.343:
	v_mov_b32_e32 v32, 0
	ds_read_b128 v[28:31], v20
	ds_read_b128 v[32:35], v32 offset:11632
	s_waitcnt lgkmcnt(0)
	v_mul_f64 v[36:37], v[30:31], v[34:35]
	v_mul_f64 v[34:35], v[28:29], v[34:35]
	v_fma_f64 v[28:29], v[28:29], v[32:33], -v[36:37]
	v_fma_f64 v[30:31], v[30:31], v[32:33], v[34:35]
	v_add_f64 v[11:12], v[11:12], v[28:29]
	v_add_f64 v[13:14], v[13:14], v[30:31]
.LBB178_344:
	s_or_b64 exec, exec, s[8:9]
	s_barrier
	s_and_saveexec_b64 s[8:9], s[40:41]
	s_cbranch_execz .LBB178_346
; %bb.345:
	v_mov_b32_e32 v28, 0
	ds_read_b128 v[28:31], v28 offset:12144
	s_waitcnt lgkmcnt(0)
	v_mul_f64 v[32:33], v[13:14], v[30:31]
	v_mul_f64 v[30:31], v[11:12], v[30:31]
	v_fma_f64 v[11:12], v[11:12], v[28:29], -v[32:33]
	v_fma_f64 v[13:14], v[13:14], v[28:29], v[30:31]
	ds_write_b128 v20, v[11:14]
.LBB178_346:
	s_or_b64 exec, exec, s[8:9]
	s_waitcnt lgkmcnt(0)
	s_barrier
	s_barrier
	s_and_saveexec_b64 s[8:9], s[2:3]
; %bb.347:
	v_xor_b32_e32 v14, 0x80000000, v14
	v_xor_b32_e32 v12, 0x80000000, v12
	ds_write_b128 v18, v[11:14] offset:8512
; %bb.348:
	s_or_b64 exec, exec, s[8:9]
	s_waitcnt lgkmcnt(0)
	s_barrier
	s_barrier
	s_and_saveexec_b64 s[8:9], vcc
	s_cbranch_execz .LBB178_350
; %bb.349:
	v_mov_b32_e32 v38, 0
	ds_read_b128 v[11:14], v38 offset:11088
	ds_read_b128 v[28:31], v38 offset:10560
	;; [unrolled: 1-line block ×3, first 2 shown]
	s_waitcnt lgkmcnt(1)
	v_mul_f64 v[36:37], v[11:12], v[30:31]
	v_mul_f64 v[30:31], v[13:14], v[30:31]
	v_fma_f64 v[13:14], v[13:14], v[28:29], v[36:37]
	v_fma_f64 v[11:12], v[11:12], v[28:29], -v[30:31]
	s_waitcnt lgkmcnt(0)
	v_mul_f64 v[28:29], v[13:14], v[34:35]
	v_mul_f64 v[30:31], v[11:12], v[34:35]
	v_fma_f64 v[11:12], v[32:33], v[11:12], -v[28:29]
	v_fma_f64 v[13:14], v[32:33], v[13:14], v[30:31]
	ds_write_b128 v38, v[11:14] offset:10576
.LBB178_350:
	s_or_b64 exec, exec, s[8:9]
	v_mov_b32_e32 v13, 0
	v_mov_b32_e32 v11, 0
	;; [unrolled: 1-line block ×4, first 2 shown]
	s_waitcnt lgkmcnt(0)
	s_barrier
	s_and_saveexec_b64 s[10:11], s[0:1]
	s_cbranch_execz .LBB178_354
; %bb.351:
	v_mul_u32_u24_e32 v11, 0x210, v17
	ds_read_b128 v[11:14], v11 offset:10560
	ds_read_b128 v[28:31], v15 offset:10592
	v_cmp_gt_u32_e64 s[8:9], 2, v1
	s_waitcnt lgkmcnt(0)
	v_mul_f64 v[32:33], v[13:14], v[30:31]
	v_mul_f64 v[30:31], v[11:12], v[30:31]
	v_fma_f64 v[11:12], v[11:12], v[28:29], -v[32:33]
	v_fma_f64 v[13:14], v[13:14], v[28:29], v[30:31]
	v_add_f64 v[11:12], v[11:12], 0
	v_add_f64 v[13:14], v[13:14], 0
	s_and_saveexec_b64 s[14:15], s[8:9]
	s_cbranch_execz .LBB178_353
; %bb.352:
	v_lshlrev_b32_e32 v32, 4, v0
	v_mov_b32_e32 v28, 0
	ds_read_b128 v[28:31], v28 offset:10576
	ds_read_b128 v[32:35], v32 offset:11104
	s_waitcnt lgkmcnt(0)
	v_mul_f64 v[36:37], v[30:31], v[34:35]
	v_mul_f64 v[34:35], v[28:29], v[34:35]
	v_fma_f64 v[28:29], v[28:29], v[32:33], -v[36:37]
	v_fma_f64 v[30:31], v[30:31], v[32:33], v[34:35]
	v_add_f64 v[11:12], v[11:12], v[28:29]
	v_add_f64 v[13:14], v[13:14], v[30:31]
.LBB178_353:
	s_or_b64 exec, exec, s[14:15]
	v_xor_b32_e32 v12, 0x80000000, v12
	v_xor_b32_e32 v14, 0x80000000, v14
.LBB178_354:
	s_or_b64 exec, exec, s[10:11]
	s_and_saveexec_b64 s[8:9], s[38:39]
	s_cbranch_execz .LBB178_356
; %bb.355:
	v_mov_b32_e32 v28, 0
	ds_read_b128 v[28:31], v28 offset:11616
	s_waitcnt lgkmcnt(0)
	v_mul_f64 v[32:33], v[13:14], v[30:31]
	v_mul_f64 v[30:31], v[11:12], v[30:31]
	v_fma_f64 v[11:12], v[11:12], v[28:29], -v[32:33]
	v_fma_f64 v[13:14], v[13:14], v[28:29], v[30:31]
	ds_write_b128 v16, v[11:14]
.LBB178_356:
	s_or_b64 exec, exec, s[8:9]
	s_waitcnt lgkmcnt(0)
	s_barrier
	s_and_saveexec_b64 s[8:9], s[36:37]
	s_cbranch_execz .LBB178_358
; %bb.357:
	v_mov_b32_e32 v32, 0
	ds_read_b128 v[28:31], v16
	ds_read_b128 v[32:35], v32 offset:11632
	s_waitcnt lgkmcnt(0)
	v_mul_f64 v[36:37], v[30:31], v[34:35]
	v_mul_f64 v[34:35], v[28:29], v[34:35]
	v_fma_f64 v[28:29], v[28:29], v[32:33], -v[36:37]
	v_fma_f64 v[30:31], v[30:31], v[32:33], v[34:35]
	v_add_f64 v[11:12], v[11:12], v[28:29]
	v_add_f64 v[13:14], v[13:14], v[30:31]
.LBB178_358:
	s_or_b64 exec, exec, s[8:9]
	s_barrier
	s_and_saveexec_b64 s[8:9], s[36:37]
	s_cbranch_execz .LBB178_360
; %bb.359:
	v_mov_b32_e32 v28, 0
	ds_read_b128 v[28:31], v28 offset:12144
	s_waitcnt lgkmcnt(0)
	v_mul_f64 v[32:33], v[13:14], v[30:31]
	v_mul_f64 v[30:31], v[11:12], v[30:31]
	v_fma_f64 v[11:12], v[11:12], v[28:29], -v[32:33]
	v_fma_f64 v[13:14], v[13:14], v[28:29], v[30:31]
	ds_write_b128 v16, v[11:14]
.LBB178_360:
	s_or_b64 exec, exec, s[8:9]
	s_waitcnt lgkmcnt(0)
	s_barrier
	s_barrier
	s_and_saveexec_b64 s[8:9], s[0:1]
; %bb.361:
	v_xor_b32_e32 v12, 0x80000000, v12
	v_xor_b32_e32 v14, 0x80000000, v14
	ds_write_b128 v15, v[11:14] offset:10592
; %bb.362:
	s_or_b64 exec, exec, s[8:9]
	s_waitcnt lgkmcnt(0)
	s_barrier
	s_barrier
	s_and_saveexec_b64 s[8:9], vcc
	s_cbranch_execz .LBB178_364
; %bb.363:
	v_mov_b32_e32 v38, 0
	ds_read_b128 v[11:14], v38 offset:12144
	ds_read_b128 v[28:31], v38 offset:11616
	;; [unrolled: 1-line block ×3, first 2 shown]
	s_waitcnt lgkmcnt(1)
	v_mul_f64 v[36:37], v[11:12], v[30:31]
	v_mul_f64 v[30:31], v[13:14], v[30:31]
	v_fma_f64 v[13:14], v[13:14], v[28:29], v[36:37]
	v_fma_f64 v[11:12], v[11:12], v[28:29], -v[30:31]
	s_waitcnt lgkmcnt(0)
	v_mul_f64 v[28:29], v[13:14], v[34:35]
	v_mul_f64 v[30:31], v[11:12], v[34:35]
	v_fma_f64 v[11:12], v[32:33], v[11:12], -v[28:29]
	v_fma_f64 v[13:14], v[32:33], v[13:14], v[30:31]
	ds_write_b128 v38, v[11:14] offset:11632
.LBB178_364:
	s_or_b64 exec, exec, s[8:9]
	v_mov_b32_e32 v13, 0
	v_mov_b32_e32 v11, 0
	;; [unrolled: 1-line block ×4, first 2 shown]
	s_waitcnt lgkmcnt(0)
	s_barrier
	s_and_saveexec_b64 s[10:11], s[12:13]
	s_cbranch_execz .LBB178_374
; %bb.365:
	v_mul_u32_u24_e32 v28, 0x210, v27
	ds_read_b128 v[11:14], v28 offset:8448
	ds_read_b128 v[29:32], v23 offset:8576
	v_cmp_gt_u32_e64 s[8:9], 56, v1
	s_waitcnt lgkmcnt(0)
	v_mul_f64 v[33:34], v[13:14], v[31:32]
	v_mul_f64 v[31:32], v[11:12], v[31:32]
	v_fma_f64 v[11:12], v[11:12], v[29:30], -v[33:34]
	v_fma_f64 v[13:14], v[13:14], v[29:30], v[31:32]
	v_add_f64 v[11:12], v[11:12], 0
	v_add_f64 v[13:14], v[13:14], 0
	s_and_saveexec_b64 s[14:15], s[8:9]
	s_cbranch_execnz .LBB178_537
; %bb.366:
	s_or_b64 exec, exec, s[14:15]
	v_cmp_gt_u32_e64 s[8:9], 48, v1
	s_and_saveexec_b64 s[14:15], s[8:9]
	s_cbranch_execnz .LBB178_538
.LBB178_367:
	s_or_b64 exec, exec, s[14:15]
	v_cmp_gt_u32_e64 s[8:9], 40, v1
	s_and_saveexec_b64 s[14:15], s[8:9]
	s_cbranch_execnz .LBB178_539
.LBB178_368:
	s_or_b64 exec, exec, s[14:15]
	v_cmp_gt_u32_e64 s[8:9], 32, v1
	s_and_saveexec_b64 s[14:15], s[8:9]
	s_cbranch_execnz .LBB178_540
.LBB178_369:
	s_or_b64 exec, exec, s[14:15]
	v_cmp_gt_u32_e64 s[8:9], 24, v1
	s_and_saveexec_b64 s[14:15], s[8:9]
	s_cbranch_execnz .LBB178_541
.LBB178_370:
	s_or_b64 exec, exec, s[14:15]
	v_cmp_gt_u32_e64 s[8:9], 16, v1
	s_and_saveexec_b64 s[14:15], s[8:9]
	s_cbranch_execnz .LBB178_542
.LBB178_371:
	s_or_b64 exec, exec, s[14:15]
	v_cmp_gt_u32_e64 s[8:9], 8, v1
	s_and_saveexec_b64 s[14:15], s[8:9]
	s_cbranch_execz .LBB178_373
.LBB178_372:
	v_lshlrev_b32_e32 v30, 4, v0
	v_mov_b32_e32 v26, 0
	ds_read_b128 v[26:29], v26 offset:8560
	ds_read_b128 v[30:33], v30 offset:12160
	s_waitcnt lgkmcnt(0)
	v_mul_f64 v[34:35], v[28:29], v[32:33]
	v_mul_f64 v[32:33], v[26:27], v[32:33]
	v_fma_f64 v[26:27], v[26:27], v[30:31], -v[34:35]
	v_fma_f64 v[28:29], v[28:29], v[30:31], v[32:33]
	v_add_f64 v[11:12], v[11:12], v[26:27]
	v_add_f64 v[13:14], v[13:14], v[28:29]
.LBB178_373:
	s_or_b64 exec, exec, s[14:15]
	v_xor_b32_e32 v12, 0x80000000, v12
	v_xor_b32_e32 v14, 0x80000000, v14
.LBB178_374:
	s_or_b64 exec, exec, s[10:11]
	s_and_saveexec_b64 s[8:9], s[54:55]
	s_cbranch_execz .LBB178_376
; %bb.375:
	v_mov_b32_e32 v26, 0
	ds_read_b128 v[26:29], v26 offset:12672
	s_waitcnt lgkmcnt(0)
	v_mul_f64 v[30:31], v[13:14], v[28:29]
	v_mul_f64 v[28:29], v[11:12], v[28:29]
	v_fma_f64 v[11:12], v[11:12], v[26:27], -v[30:31]
	v_fma_f64 v[13:14], v[13:14], v[26:27], v[28:29]
	ds_write_b128 v25, v[11:14]
.LBB178_376:
	s_or_b64 exec, exec, s[8:9]
	s_waitcnt lgkmcnt(0)
	s_barrier
	s_and_saveexec_b64 s[8:9], s[56:57]
	s_cbranch_execz .LBB178_378
; %bb.377:
	ds_read_b128 v[26:29], v25
	ds_read_b128 v[30:33], v24 offset:12672
	s_waitcnt lgkmcnt(0)
	v_mul_f64 v[34:35], v[28:29], v[32:33]
	v_mul_f64 v[32:33], v[26:27], v[32:33]
	v_fma_f64 v[26:27], v[26:27], v[30:31], -v[34:35]
	v_fma_f64 v[28:29], v[28:29], v[30:31], v[32:33]
	v_add_f64 v[11:12], v[11:12], v[26:27]
	v_add_f64 v[13:14], v[13:14], v[28:29]
.LBB178_378:
	s_or_b64 exec, exec, s[8:9]
	s_barrier
	s_and_saveexec_b64 s[8:9], s[58:59]
	s_cbranch_execz .LBB178_380
; %bb.379:
	v_mov_b32_e32 v26, 0
	ds_read_b128 v[26:29], v26 offset:13200
	s_waitcnt lgkmcnt(0)
	v_mul_f64 v[30:31], v[13:14], v[28:29]
	v_mul_f64 v[28:29], v[11:12], v[28:29]
	v_fma_f64 v[11:12], v[11:12], v[26:27], -v[30:31]
	v_fma_f64 v[13:14], v[13:14], v[26:27], v[28:29]
	ds_write_b128 v25, v[11:14]
.LBB178_380:
	s_or_b64 exec, exec, s[8:9]
	s_waitcnt lgkmcnt(0)
	s_barrier
	s_and_saveexec_b64 s[8:9], s[60:61]
	s_cbranch_execz .LBB178_382
; %bb.381:
	ds_read_b128 v[26:29], v25
	ds_read_b128 v[30:33], v24 offset:13184
	s_waitcnt lgkmcnt(0)
	v_mul_f64 v[34:35], v[28:29], v[32:33]
	v_mul_f64 v[32:33], v[26:27], v[32:33]
	v_fma_f64 v[26:27], v[26:27], v[30:31], -v[34:35]
	v_fma_f64 v[28:29], v[28:29], v[30:31], v[32:33]
	v_add_f64 v[11:12], v[11:12], v[26:27]
	v_add_f64 v[13:14], v[13:14], v[28:29]
.LBB178_382:
	s_or_b64 exec, exec, s[8:9]
	s_barrier
	;; [unrolled: 30-line block ×6, first 2 shown]
	s_and_saveexec_b64 s[8:9], s[78:79]
	s_cbranch_execz .LBB178_400
; %bb.399:
	v_mov_b32_e32 v24, 0
	ds_read_b128 v[26:29], v24 offset:15840
	s_waitcnt lgkmcnt(0)
	v_mul_f64 v[30:31], v[13:14], v[28:29]
	v_mul_f64 v[28:29], v[11:12], v[28:29]
	v_fma_f64 v[11:12], v[11:12], v[26:27], -v[30:31]
	v_fma_f64 v[13:14], v[13:14], v[26:27], v[28:29]
	ds_write_b128 v25, v[11:14]
.LBB178_400:
	s_or_b64 exec, exec, s[8:9]
	s_waitcnt lgkmcnt(0)
	s_barrier
	s_and_saveexec_b64 s[8:9], s[52:53]
	s_cbranch_execz .LBB178_402
; %bb.401:
	v_mov_b32_e32 v24, 0
	ds_read_b128 v[26:29], v25
	ds_read_b128 v[30:33], v24 offset:15856
	s_waitcnt lgkmcnt(0)
	v_mul_f64 v[34:35], v[28:29], v[32:33]
	v_mul_f64 v[32:33], v[26:27], v[32:33]
	v_fma_f64 v[26:27], v[26:27], v[30:31], -v[34:35]
	v_fma_f64 v[28:29], v[28:29], v[30:31], v[32:33]
	v_add_f64 v[11:12], v[11:12], v[26:27]
	v_add_f64 v[13:14], v[13:14], v[28:29]
.LBB178_402:
	s_or_b64 exec, exec, s[8:9]
	s_barrier
	s_and_saveexec_b64 s[8:9], s[52:53]
	s_cbranch_execz .LBB178_404
; %bb.403:
	v_mov_b32_e32 v24, 0
	ds_read_b128 v[26:29], v24 offset:16368
	s_waitcnt lgkmcnt(0)
	v_mul_f64 v[30:31], v[13:14], v[28:29]
	v_mul_f64 v[28:29], v[11:12], v[28:29]
	v_fma_f64 v[11:12], v[11:12], v[26:27], -v[30:31]
	v_fma_f64 v[13:14], v[13:14], v[26:27], v[28:29]
	ds_write_b128 v25, v[11:14]
.LBB178_404:
	s_or_b64 exec, exec, s[8:9]
	s_waitcnt lgkmcnt(0)
	s_barrier
	s_barrier
	s_and_saveexec_b64 s[8:9], s[12:13]
; %bb.405:
	v_xor_b32_e32 v12, 0x80000000, v12
	v_xor_b32_e32 v14, 0x80000000, v14
	ds_write_b128 v23, v[11:14] offset:8576
; %bb.406:
	s_or_b64 exec, exec, s[8:9]
	s_waitcnt lgkmcnt(0)
	s_barrier
	s_barrier
	s_and_saveexec_b64 s[8:9], vcc
	s_cbranch_execz .LBB178_408
; %bb.407:
	v_mov_b32_e32 v33, 0
	ds_read_b128 v[11:14], v33 offset:13200
	ds_read_b128 v[23:26], v33 offset:12672
	;; [unrolled: 1-line block ×3, first 2 shown]
	s_waitcnt lgkmcnt(1)
	v_mul_f64 v[31:32], v[11:12], v[25:26]
	v_mul_f64 v[25:26], v[13:14], v[25:26]
	v_fma_f64 v[13:14], v[13:14], v[23:24], v[31:32]
	v_fma_f64 v[11:12], v[11:12], v[23:24], -v[25:26]
	s_waitcnt lgkmcnt(0)
	v_mul_f64 v[23:24], v[13:14], v[29:30]
	v_mul_f64 v[25:26], v[11:12], v[29:30]
	v_fma_f64 v[11:12], v[27:28], v[11:12], -v[23:24]
	v_fma_f64 v[13:14], v[27:28], v[13:14], v[25:26]
	ds_write_b128 v33, v[11:14] offset:12688
.LBB178_408:
	s_or_b64 exec, exec, s[8:9]
	v_mov_b32_e32 v13, 0
	v_mov_b32_e32 v11, 0
	;; [unrolled: 1-line block ×4, first 2 shown]
	s_waitcnt lgkmcnt(0)
	s_barrier
	s_and_saveexec_b64 s[10:11], s[0:1]
	s_cbranch_execz .LBB178_412
; %bb.409:
	v_mul_u32_u24_e32 v11, 0x210, v17
	ds_read_b128 v[11:14], v11 offset:12672
	ds_read_b128 v[23:26], v15 offset:12704
	v_cmp_gt_u32_e64 s[8:9], 2, v1
	s_waitcnt lgkmcnt(0)
	v_mul_f64 v[27:28], v[13:14], v[25:26]
	v_mul_f64 v[25:26], v[11:12], v[25:26]
	v_fma_f64 v[11:12], v[11:12], v[23:24], -v[27:28]
	v_fma_f64 v[13:14], v[13:14], v[23:24], v[25:26]
	v_add_f64 v[11:12], v[11:12], 0
	v_add_f64 v[13:14], v[13:14], 0
	s_and_saveexec_b64 s[12:13], s[8:9]
	s_cbranch_execz .LBB178_411
; %bb.410:
	v_lshlrev_b32_e32 v27, 4, v0
	v_mov_b32_e32 v23, 0
	ds_read_b128 v[23:26], v23 offset:12688
	ds_read_b128 v[27:30], v27 offset:13216
	s_waitcnt lgkmcnt(0)
	v_mul_f64 v[31:32], v[25:26], v[29:30]
	v_mul_f64 v[29:30], v[23:24], v[29:30]
	v_fma_f64 v[23:24], v[23:24], v[27:28], -v[31:32]
	v_fma_f64 v[25:26], v[25:26], v[27:28], v[29:30]
	v_add_f64 v[11:12], v[11:12], v[23:24]
	v_add_f64 v[13:14], v[13:14], v[25:26]
.LBB178_411:
	s_or_b64 exec, exec, s[12:13]
	v_xor_b32_e32 v12, 0x80000000, v12
	v_xor_b32_e32 v14, 0x80000000, v14
.LBB178_412:
	s_or_b64 exec, exec, s[10:11]
	s_and_saveexec_b64 s[8:9], s[38:39]
	s_cbranch_execz .LBB178_414
; %bb.413:
	v_mov_b32_e32 v23, 0
	ds_read_b128 v[23:26], v23 offset:13728
	s_waitcnt lgkmcnt(0)
	v_mul_f64 v[27:28], v[13:14], v[25:26]
	v_mul_f64 v[25:26], v[11:12], v[25:26]
	v_fma_f64 v[11:12], v[11:12], v[23:24], -v[27:28]
	v_fma_f64 v[13:14], v[13:14], v[23:24], v[25:26]
	ds_write_b128 v16, v[11:14]
.LBB178_414:
	s_or_b64 exec, exec, s[8:9]
	s_waitcnt lgkmcnt(0)
	s_barrier
	s_and_saveexec_b64 s[8:9], s[36:37]
	s_cbranch_execz .LBB178_416
; %bb.415:
	v_mov_b32_e32 v27, 0
	ds_read_b128 v[23:26], v16
	ds_read_b128 v[27:30], v27 offset:13744
	s_waitcnt lgkmcnt(0)
	v_mul_f64 v[31:32], v[25:26], v[29:30]
	v_mul_f64 v[29:30], v[23:24], v[29:30]
	v_fma_f64 v[23:24], v[23:24], v[27:28], -v[31:32]
	v_fma_f64 v[25:26], v[25:26], v[27:28], v[29:30]
	v_add_f64 v[11:12], v[11:12], v[23:24]
	v_add_f64 v[13:14], v[13:14], v[25:26]
.LBB178_416:
	s_or_b64 exec, exec, s[8:9]
	s_barrier
	s_and_saveexec_b64 s[8:9], s[36:37]
	s_cbranch_execz .LBB178_418
; %bb.417:
	v_mov_b32_e32 v23, 0
	ds_read_b128 v[23:26], v23 offset:14256
	s_waitcnt lgkmcnt(0)
	v_mul_f64 v[27:28], v[13:14], v[25:26]
	v_mul_f64 v[25:26], v[11:12], v[25:26]
	v_fma_f64 v[11:12], v[11:12], v[23:24], -v[27:28]
	v_fma_f64 v[13:14], v[13:14], v[23:24], v[25:26]
	ds_write_b128 v16, v[11:14]
.LBB178_418:
	s_or_b64 exec, exec, s[8:9]
	s_waitcnt lgkmcnt(0)
	s_barrier
	s_barrier
	s_and_saveexec_b64 s[8:9], s[0:1]
; %bb.419:
	v_xor_b32_e32 v12, 0x80000000, v12
	v_xor_b32_e32 v14, 0x80000000, v14
	ds_write_b128 v15, v[11:14] offset:12704
; %bb.420:
	s_or_b64 exec, exec, s[8:9]
	s_waitcnt lgkmcnt(0)
	s_barrier
	s_barrier
	s_and_saveexec_b64 s[8:9], vcc
	s_cbranch_execz .LBB178_422
; %bb.421:
	v_mov_b32_e32 v33, 0
	ds_read_b128 v[11:14], v33 offset:14256
	ds_read_b128 v[23:26], v33 offset:13728
	;; [unrolled: 1-line block ×3, first 2 shown]
	s_waitcnt lgkmcnt(1)
	v_mul_f64 v[31:32], v[11:12], v[25:26]
	v_mul_f64 v[25:26], v[13:14], v[25:26]
	v_fma_f64 v[13:14], v[13:14], v[23:24], v[31:32]
	v_fma_f64 v[11:12], v[11:12], v[23:24], -v[25:26]
	s_waitcnt lgkmcnt(0)
	v_mul_f64 v[23:24], v[13:14], v[29:30]
	v_mul_f64 v[25:26], v[11:12], v[29:30]
	v_fma_f64 v[11:12], v[27:28], v[11:12], -v[23:24]
	v_fma_f64 v[13:14], v[27:28], v[13:14], v[25:26]
	ds_write_b128 v33, v[11:14] offset:13744
.LBB178_422:
	s_or_b64 exec, exec, s[8:9]
	v_mov_b32_e32 v13, 0
	v_mov_b32_e32 v11, 0
	;; [unrolled: 1-line block ×4, first 2 shown]
	s_waitcnt lgkmcnt(0)
	s_barrier
	s_and_saveexec_b64 s[10:11], s[2:3]
	s_cbranch_execz .LBB178_428
; %bb.423:
	v_mul_u32_u24_e32 v23, 0x210, v22
	ds_read_b128 v[11:14], v23 offset:12672
	ds_read_b128 v[24:27], v18 offset:12736
	v_cmp_gt_u32_e64 s[8:9], 12, v1
	s_waitcnt lgkmcnt(0)
	v_mul_f64 v[28:29], v[13:14], v[26:27]
	v_mul_f64 v[26:27], v[11:12], v[26:27]
	v_fma_f64 v[11:12], v[11:12], v[24:25], -v[28:29]
	v_fma_f64 v[13:14], v[13:14], v[24:25], v[26:27]
	v_add_f64 v[11:12], v[11:12], 0
	v_add_f64 v[13:14], v[13:14], 0
	s_and_saveexec_b64 s[12:13], s[8:9]
	s_cbranch_execnz .LBB178_543
; %bb.424:
	s_or_b64 exec, exec, s[12:13]
	v_cmp_gt_u32_e64 s[8:9], 8, v1
	s_and_saveexec_b64 s[12:13], s[8:9]
	s_cbranch_execnz .LBB178_544
.LBB178_425:
	s_or_b64 exec, exec, s[12:13]
	v_cmp_gt_u32_e64 s[8:9], 4, v1
	s_and_saveexec_b64 s[12:13], s[8:9]
	s_cbranch_execz .LBB178_427
.LBB178_426:
	v_lshlrev_b32_e32 v25, 4, v0
	v_mov_b32_e32 v21, 0
	ds_read_b128 v[21:24], v21 offset:12720
	ds_read_b128 v[25:28], v25 offset:14272
	s_waitcnt lgkmcnt(0)
	v_mul_f64 v[29:30], v[23:24], v[27:28]
	v_mul_f64 v[27:28], v[21:22], v[27:28]
	v_fma_f64 v[21:22], v[21:22], v[25:26], -v[29:30]
	v_fma_f64 v[23:24], v[23:24], v[25:26], v[27:28]
	v_add_f64 v[11:12], v[11:12], v[21:22]
	v_add_f64 v[13:14], v[13:14], v[23:24]
.LBB178_427:
	s_or_b64 exec, exec, s[12:13]
	v_xor_b32_e32 v12, 0x80000000, v12
	v_xor_b32_e32 v14, 0x80000000, v14
.LBB178_428:
	s_or_b64 exec, exec, s[10:11]
	s_and_saveexec_b64 s[8:9], s[42:43]
	s_cbranch_execz .LBB178_430
; %bb.429:
	v_mov_b32_e32 v21, 0
	ds_read_b128 v[21:24], v21 offset:14784
	s_waitcnt lgkmcnt(0)
	v_mul_f64 v[25:26], v[13:14], v[23:24]
	v_mul_f64 v[23:24], v[11:12], v[23:24]
	v_fma_f64 v[11:12], v[11:12], v[21:22], -v[25:26]
	v_fma_f64 v[13:14], v[13:14], v[21:22], v[23:24]
	ds_write_b128 v20, v[11:14]
.LBB178_430:
	s_or_b64 exec, exec, s[8:9]
	s_waitcnt lgkmcnt(0)
	s_barrier
	s_and_saveexec_b64 s[8:9], s[44:45]
	s_cbranch_execz .LBB178_432
; %bb.431:
	ds_read_b128 v[21:24], v20
	ds_read_b128 v[25:28], v19 offset:14784
	s_waitcnt lgkmcnt(0)
	v_mul_f64 v[29:30], v[23:24], v[27:28]
	v_mul_f64 v[27:28], v[21:22], v[27:28]
	v_fma_f64 v[21:22], v[21:22], v[25:26], -v[29:30]
	v_fma_f64 v[23:24], v[23:24], v[25:26], v[27:28]
	v_add_f64 v[11:12], v[11:12], v[21:22]
	v_add_f64 v[13:14], v[13:14], v[23:24]
.LBB178_432:
	s_or_b64 exec, exec, s[8:9]
	s_barrier
	s_and_saveexec_b64 s[8:9], s[46:47]
	s_cbranch_execz .LBB178_434
; %bb.433:
	v_mov_b32_e32 v21, 0
	ds_read_b128 v[21:24], v21 offset:15312
	s_waitcnt lgkmcnt(0)
	v_mul_f64 v[25:26], v[13:14], v[23:24]
	v_mul_f64 v[23:24], v[11:12], v[23:24]
	v_fma_f64 v[11:12], v[11:12], v[21:22], -v[25:26]
	v_fma_f64 v[13:14], v[13:14], v[21:22], v[23:24]
	ds_write_b128 v20, v[11:14]
.LBB178_434:
	s_or_b64 exec, exec, s[8:9]
	s_waitcnt lgkmcnt(0)
	s_barrier
	s_and_saveexec_b64 s[8:9], s[48:49]
	s_cbranch_execz .LBB178_436
; %bb.435:
	ds_read_b128 v[21:24], v20
	ds_read_b128 v[25:28], v19 offset:15296
	s_waitcnt lgkmcnt(0)
	v_mul_f64 v[29:30], v[23:24], v[27:28]
	v_mul_f64 v[27:28], v[21:22], v[27:28]
	v_fma_f64 v[21:22], v[21:22], v[25:26], -v[29:30]
	v_fma_f64 v[23:24], v[23:24], v[25:26], v[27:28]
	v_add_f64 v[11:12], v[11:12], v[21:22]
	v_add_f64 v[13:14], v[13:14], v[23:24]
.LBB178_436:
	s_or_b64 exec, exec, s[8:9]
	s_barrier
	s_and_saveexec_b64 s[8:9], s[50:51]
	s_cbranch_execz .LBB178_438
; %bb.437:
	v_mov_b32_e32 v19, 0
	ds_read_b128 v[21:24], v19 offset:15840
	s_waitcnt lgkmcnt(0)
	v_mul_f64 v[25:26], v[13:14], v[23:24]
	v_mul_f64 v[23:24], v[11:12], v[23:24]
	v_fma_f64 v[11:12], v[11:12], v[21:22], -v[25:26]
	v_fma_f64 v[13:14], v[13:14], v[21:22], v[23:24]
	ds_write_b128 v20, v[11:14]
.LBB178_438:
	s_or_b64 exec, exec, s[8:9]
	s_waitcnt lgkmcnt(0)
	s_barrier
	s_and_saveexec_b64 s[8:9], s[40:41]
	s_cbranch_execz .LBB178_440
; %bb.439:
	v_mov_b32_e32 v19, 0
	ds_read_b128 v[21:24], v20
	ds_read_b128 v[25:28], v19 offset:15856
	s_waitcnt lgkmcnt(0)
	v_mul_f64 v[29:30], v[23:24], v[27:28]
	v_mul_f64 v[27:28], v[21:22], v[27:28]
	v_fma_f64 v[21:22], v[21:22], v[25:26], -v[29:30]
	v_fma_f64 v[23:24], v[23:24], v[25:26], v[27:28]
	v_add_f64 v[11:12], v[11:12], v[21:22]
	v_add_f64 v[13:14], v[13:14], v[23:24]
.LBB178_440:
	s_or_b64 exec, exec, s[8:9]
	s_barrier
	s_and_saveexec_b64 s[8:9], s[40:41]
	s_cbranch_execz .LBB178_442
; %bb.441:
	v_mov_b32_e32 v19, 0
	ds_read_b128 v[21:24], v19 offset:16368
	s_waitcnt lgkmcnt(0)
	v_mul_f64 v[25:26], v[13:14], v[23:24]
	v_mul_f64 v[23:24], v[11:12], v[23:24]
	v_fma_f64 v[11:12], v[11:12], v[21:22], -v[25:26]
	v_fma_f64 v[13:14], v[13:14], v[21:22], v[23:24]
	ds_write_b128 v20, v[11:14]
.LBB178_442:
	s_or_b64 exec, exec, s[8:9]
	s_waitcnt lgkmcnt(0)
	s_barrier
	s_barrier
	s_and_saveexec_b64 s[8:9], s[2:3]
; %bb.443:
	v_xor_b32_e32 v14, 0x80000000, v14
	v_xor_b32_e32 v12, 0x80000000, v12
	ds_write_b128 v18, v[11:14] offset:12736
; %bb.444:
	s_or_b64 exec, exec, s[8:9]
	s_waitcnt lgkmcnt(0)
	s_barrier
	s_barrier
	s_and_saveexec_b64 s[2:3], vcc
	s_cbranch_execz .LBB178_446
; %bb.445:
	v_mov_b32_e32 v28, 0
	ds_read_b128 v[11:14], v28 offset:15312
	ds_read_b128 v[18:21], v28 offset:14784
	;; [unrolled: 1-line block ×3, first 2 shown]
	s_waitcnt lgkmcnt(1)
	v_mul_f64 v[26:27], v[11:12], v[20:21]
	v_mul_f64 v[20:21], v[13:14], v[20:21]
	v_fma_f64 v[13:14], v[13:14], v[18:19], v[26:27]
	v_fma_f64 v[11:12], v[11:12], v[18:19], -v[20:21]
	s_waitcnt lgkmcnt(0)
	v_mul_f64 v[18:19], v[13:14], v[24:25]
	v_mul_f64 v[20:21], v[11:12], v[24:25]
	v_fma_f64 v[11:12], v[22:23], v[11:12], -v[18:19]
	v_fma_f64 v[13:14], v[22:23], v[13:14], v[20:21]
	ds_write_b128 v28, v[11:14] offset:14800
.LBB178_446:
	s_or_b64 exec, exec, s[2:3]
	v_mov_b32_e32 v13, 0
	v_mov_b32_e32 v11, 0
	v_mov_b32_e32 v14, 0
	v_mov_b32_e32 v12, 0
	s_waitcnt lgkmcnt(0)
	s_barrier
	s_and_saveexec_b64 s[8:9], s[0:1]
	s_cbranch_execz .LBB178_450
; %bb.447:
	v_mul_u32_u24_e32 v11, 0x210, v17
	ds_read_b128 v[11:14], v11 offset:14784
	ds_read_b128 v[17:20], v15 offset:14816
	v_cmp_gt_u32_e64 s[2:3], 2, v1
	s_waitcnt lgkmcnt(0)
	v_mul_f64 v[21:22], v[13:14], v[19:20]
	v_mul_f64 v[19:20], v[11:12], v[19:20]
	v_fma_f64 v[11:12], v[11:12], v[17:18], -v[21:22]
	v_fma_f64 v[13:14], v[13:14], v[17:18], v[19:20]
	v_add_f64 v[11:12], v[11:12], 0
	v_add_f64 v[13:14], v[13:14], 0
	s_and_saveexec_b64 s[10:11], s[2:3]
	s_cbranch_execz .LBB178_449
; %bb.448:
	v_lshlrev_b32_e32 v21, 4, v0
	v_mov_b32_e32 v17, 0
	ds_read_b128 v[17:20], v17 offset:14800
	ds_read_b128 v[21:24], v21 offset:15328
	s_waitcnt lgkmcnt(0)
	v_mul_f64 v[25:26], v[19:20], v[23:24]
	v_mul_f64 v[23:24], v[17:18], v[23:24]
	v_fma_f64 v[17:18], v[17:18], v[21:22], -v[25:26]
	v_fma_f64 v[19:20], v[19:20], v[21:22], v[23:24]
	v_add_f64 v[11:12], v[11:12], v[17:18]
	v_add_f64 v[13:14], v[13:14], v[19:20]
.LBB178_449:
	s_or_b64 exec, exec, s[10:11]
	v_xor_b32_e32 v12, 0x80000000, v12
	v_xor_b32_e32 v14, 0x80000000, v14
.LBB178_450:
	s_or_b64 exec, exec, s[8:9]
	s_and_saveexec_b64 s[2:3], s[38:39]
	s_cbranch_execz .LBB178_452
; %bb.451:
	v_mov_b32_e32 v17, 0
	ds_read_b128 v[17:20], v17 offset:15840
	s_waitcnt lgkmcnt(0)
	v_mul_f64 v[21:22], v[13:14], v[19:20]
	v_mul_f64 v[19:20], v[11:12], v[19:20]
	v_fma_f64 v[11:12], v[11:12], v[17:18], -v[21:22]
	v_fma_f64 v[13:14], v[13:14], v[17:18], v[19:20]
	ds_write_b128 v16, v[11:14]
.LBB178_452:
	s_or_b64 exec, exec, s[2:3]
	s_waitcnt lgkmcnt(0)
	s_barrier
	s_and_saveexec_b64 s[2:3], s[36:37]
	s_cbranch_execz .LBB178_454
; %bb.453:
	v_mov_b32_e32 v21, 0
	ds_read_b128 v[17:20], v16
	ds_read_b128 v[21:24], v21 offset:15856
	s_waitcnt lgkmcnt(0)
	v_mul_f64 v[25:26], v[19:20], v[23:24]
	v_mul_f64 v[23:24], v[17:18], v[23:24]
	v_fma_f64 v[17:18], v[17:18], v[21:22], -v[25:26]
	v_fma_f64 v[19:20], v[19:20], v[21:22], v[23:24]
	v_add_f64 v[11:12], v[11:12], v[17:18]
	v_add_f64 v[13:14], v[13:14], v[19:20]
.LBB178_454:
	s_or_b64 exec, exec, s[2:3]
	s_barrier
	s_and_saveexec_b64 s[2:3], s[36:37]
	s_cbranch_execz .LBB178_456
; %bb.455:
	v_mov_b32_e32 v17, 0
	ds_read_b128 v[17:20], v17 offset:16368
	s_waitcnt lgkmcnt(0)
	v_mul_f64 v[21:22], v[13:14], v[19:20]
	v_mul_f64 v[19:20], v[11:12], v[19:20]
	v_fma_f64 v[11:12], v[11:12], v[17:18], -v[21:22]
	v_fma_f64 v[13:14], v[13:14], v[17:18], v[19:20]
	ds_write_b128 v16, v[11:14]
.LBB178_456:
	s_or_b64 exec, exec, s[2:3]
	s_waitcnt lgkmcnt(0)
	s_barrier
	s_barrier
	s_and_saveexec_b64 s[2:3], s[0:1]
; %bb.457:
	v_xor_b32_e32 v12, 0x80000000, v12
	v_xor_b32_e32 v14, 0x80000000, v14
	ds_write_b128 v15, v[11:14] offset:14816
; %bb.458:
	s_or_b64 exec, exec, s[2:3]
	s_waitcnt lgkmcnt(0)
	s_barrier
	s_barrier
	s_and_saveexec_b64 s[0:1], vcc
	s_cbranch_execz .LBB178_460
; %bb.459:
	v_mov_b32_e32 v25, 0
	ds_read_b128 v[11:14], v25 offset:16368
	ds_read_b128 v[15:18], v25 offset:15840
	;; [unrolled: 1-line block ×3, first 2 shown]
	s_waitcnt lgkmcnt(1)
	v_mul_f64 v[23:24], v[11:12], v[17:18]
	v_mul_f64 v[17:18], v[13:14], v[17:18]
	v_fma_f64 v[13:14], v[13:14], v[15:16], v[23:24]
	v_fma_f64 v[11:12], v[11:12], v[15:16], -v[17:18]
	s_waitcnt lgkmcnt(0)
	v_mul_f64 v[15:16], v[13:14], v[21:22]
	v_mul_f64 v[17:18], v[11:12], v[21:22]
	v_fma_f64 v[11:12], v[19:20], v[11:12], -v[15:16]
	v_fma_f64 v[13:14], v[19:20], v[13:14], v[17:18]
	ds_write_b128 v25, v[11:14] offset:15856
.LBB178_460:
	s_or_b64 exec, exec, s[0:1]
.LBB178_461:
	s_lshl_b64 s[0:1], s[16:17], 4
	s_add_u32 s30, s30, s0
	v_cmp_le_i32_e32 vcc, s85, v0
	s_addc_u32 s31, s31, s1
	s_and_b64 s[14:15], vcc, s[28:29]
	v_cmp_eq_u32_e64 s[0:1], 0, v2
	s_xor_b64 s[2:3], s[14:15], -1
	v_mov_b32_e32 v13, 0
	v_mov_b32_e32 v11, 0
	s_and_b64 s[8:9], s[0:1], s[2:3]
	v_mov_b32_e32 v14, 0
	v_mov_b32_e32 v12, 0
	v_add_u32_e32 v16, s33, v0
	s_waitcnt lgkmcnt(0)
	s_barrier
	s_and_saveexec_b64 s[2:3], s[8:9]
	s_cbranch_execz .LBB178_463
; %bb.462:
	v_ashrrev_i32_e32 v13, 31, v16
	v_mul_lo_u32 v14, s19, v16
	v_mad_u64_u32 v[11:12], s[8:9], s18, v16, 0
	v_mul_lo_u32 v13, s18, v13
	v_add3_u32 v12, v12, v13, v14
	v_lshlrev_b64 v[11:12], 4, v[11:12]
	v_mov_b32_e32 v13, s31
	v_add_co_u32_e32 v11, vcc, s30, v11
	v_addc_co_u32_e32 v12, vcc, v13, v12, vcc
	flat_load_dwordx4 v[11:14], v[11:12]
	s_waitcnt vmcnt(0) lgkmcnt(0)
	v_mul_f64 v[17:18], s[20:21], v[11:12]
	v_mul_f64 v[19:20], s[20:21], v[13:14]
	v_fma_f64 v[13:14], s[22:23], v[13:14], -v[17:18]
	v_fma_f64 v[11:12], v[11:12], -s[22:23], -v[19:20]
.LBB178_463:
	s_or_b64 exec, exec, s[2:3]
	s_load_dwordx2 s[12:13], s[4:5], 0x50
	s_and_b32 s2, 0xffff, s88
	v_mad_u32_u24 v22, v2, s2, v0
	v_mov_b32_e32 v15, 0
	s_cmp_lt_i32 s6, 1
	v_cmp_eq_u32_e64 s[2:3], 0, v22
	s_cbranch_scc1 .LBB178_486
; %bb.464:
	v_mov_b32_e32 v17, v15
	v_cmp_gt_i32_e64 s[10:11], s7, v16
	v_lshlrev_b64 v[16:17], 4, v[16:17]
	s_lshl_b64 s[4:5], s[24:25], 2
	v_mov_b32_e32 v18, 0x6000
	s_waitcnt lgkmcnt(0)
	s_add_u32 s16, s12, s4
	v_lshl_add_u32 v23, v22, 4, v18
	v_lshl_or_b32 v24, v2, 4, v18
	v_mov_b32_e32 v18, s87
	v_add_co_u32_e32 v25, vcc, s86, v16
	s_mov_b32 s36, 0
	s_addc_u32 s17, s13, s5
	v_cmp_gt_u32_e64 s[4:5], 32, v22
	s_add_i32 s37, s6, -1
	v_addc_co_u32_e32 v26, vcc, v18, v17, vcc
	s_lshl_b64 s[20:21], s[26:27], 8
	v_mov_b32_e32 v27, -1
	s_branch .LBB178_467
.LBB178_465:                            ;   in Loop: Header=BB178_467 Depth=1
	ds_read_b128 v[28:31], v24 offset:256
	s_waitcnt vmcnt(0) lgkmcnt(0)
	v_mul_f64 v[18:19], v[20:21], v[30:31]
	v_mul_f64 v[30:31], v[16:17], v[30:31]
	v_fma_f64 v[16:17], v[16:17], v[28:29], -v[18:19]
	v_fma_f64 v[18:19], v[20:21], v[28:29], v[30:31]
	v_add_f64 v[13:14], v[13:14], v[16:17]
	v_add_f64 v[11:12], v[11:12], v[18:19]
.LBB178_466:                            ;   in Loop: Header=BB178_467 Depth=1
	s_or_b64 exec, exec, s[22:23]
	s_add_i32 s36, s36, 1
	s_cmp_eq_u32 s36, s6
	s_cbranch_scc1 .LBB178_486
.LBB178_467:                            ; =>This Loop Header: Depth=1
                                        ;     Child Loop BB178_469 Depth 2
	v_cmp_gt_i32_e32 vcc, s36, v27
	s_and_b64 s[22:23], s[2:3], vcc
	s_and_saveexec_b64 s[8:9], s[22:23]
	s_cbranch_execz .LBB178_470
; %bb.468:                              ;   in Loop: Header=BB178_467 Depth=1
	global_load_dword v27, v15, s[16:17]
	s_waitcnt vmcnt(0)
	v_cmp_le_i32_e32 vcc, s36, v27
	s_cbranch_vccnz .LBB178_470
.LBB178_469:                            ;   Parent Loop BB178_467 Depth=1
                                        ; =>  This Inner Loop Header: Depth=2
	buffer_wbinvl1_vol
	global_load_dword v27, v15, s[16:17]
	s_waitcnt vmcnt(0)
	v_cmp_gt_i32_e32 vcc, s36, v27
	s_cbranch_vccnz .LBB178_469
.LBB178_470:                            ;   in Loop: Header=BB178_467 Depth=1
	s_or_b64 exec, exec, s[8:9]
	s_lshl_b32 s38, s36, 5
	buffer_wbinvl1_vol
	s_barrier
	s_and_saveexec_b64 s[8:9], s[4:5]
	s_cbranch_execz .LBB178_475
; %bb.471:                              ;   in Loop: Header=BB178_467 Depth=1
	v_or_b32_e32 v16, s38, v22
	v_cmp_le_i32_e32 vcc, s7, v16
	s_and_saveexec_b64 s[22:23], vcc
	s_xor_b64 s[22:23], exec, s[22:23]
; %bb.472:                              ;   in Loop: Header=BB178_467 Depth=1
	v_mov_b32_e32 v16, v15
	v_mov_b32_e32 v17, v15
	;; [unrolled: 1-line block ×3, first 2 shown]
	ds_write_b128 v23, v[15:18]
                                        ; implicit-def: $vgpr16
; %bb.473:                              ;   in Loop: Header=BB178_467 Depth=1
	s_andn2_saveexec_b64 s[22:23], s[22:23]
	s_cbranch_execz .LBB178_475
; %bb.474:                              ;   in Loop: Header=BB178_467 Depth=1
	v_mad_u64_u32 v[17:18], s[22:23], s18, v16, 0
	v_mad_u64_u32 v[18:19], s[22:23], s19, v16, v[18:19]
	v_mov_b32_e32 v19, s31
	v_lshlrev_b64 v[16:17], 4, v[17:18]
	v_add_co_u32_e32 v16, vcc, s30, v16
	v_addc_co_u32_e32 v17, vcc, v19, v17, vcc
	flat_load_dwordx4 v[16:19], v[16:17]
	s_waitcnt vmcnt(0) lgkmcnt(0)
	ds_write2_b64 v23, v[16:17], v[18:19] offset1:1
.LBB178_475:                            ;   in Loop: Header=BB178_467 Depth=1
	s_or_b64 exec, exec, s[8:9]
	v_add_u32_e32 v28, s38, v2
	v_mad_u64_u32 v[16:17], s[8:9], s26, v28, 0
	s_cmp_lg_u32 s36, s37
	s_waitcnt lgkmcnt(0)
	v_mad_u64_u32 v[17:18], s[8:9], s27, v28, v[17:18]
	s_cselect_b64 s[8:9], -1, 0
	v_cndmask_b32_e64 v18, 0, 1, s[8:9]
	v_lshlrev_b64 v[16:17], 4, v[16:17]
	v_cmp_ne_u32_e64 s[8:9], 1, v18
	v_add_co_u32_e32 v16, vcc, v25, v16
	v_addc_co_u32_e32 v17, vcc, v26, v17, vcc
	v_cmp_gt_i32_e32 vcc, s7, v28
	s_and_b64 s[38:39], s[10:11], vcc
	s_barrier
	s_and_saveexec_b64 s[22:23], s[38:39]
	s_cbranch_execz .LBB178_481
; %bb.476:                              ;   in Loop: Header=BB178_467 Depth=1
	v_mov_b32_e32 v19, v4
	s_and_b64 vcc, exec, s[8:9]
	v_mov_b32_e32 v18, v3
	s_cbranch_vccnz .LBB178_478
; %bb.477:                              ;   in Loop: Header=BB178_467 Depth=1
	flat_load_dwordx2 v[18:19], v[16:17]
.LBB178_478:                            ;   in Loop: Header=BB178_467 Depth=1
	v_mov_b32_e32 v21, v6
	s_and_b64 vcc, exec, s[8:9]
	v_mov_b32_e32 v20, v5
	s_cbranch_vccnz .LBB178_480
; %bb.479:                              ;   in Loop: Header=BB178_467 Depth=1
	flat_load_dwordx2 v[20:21], v[16:17] offset:8
.LBB178_480:                            ;   in Loop: Header=BB178_467 Depth=1
	ds_read_b128 v[29:32], v24
	s_waitcnt vmcnt(0) lgkmcnt(0)
	v_mul_f64 v[33:34], v[20:21], v[31:32]
	v_mul_f64 v[31:32], v[18:19], v[31:32]
	v_fma_f64 v[18:19], v[18:19], v[29:30], -v[33:34]
	v_fma_f64 v[20:21], v[20:21], v[29:30], v[31:32]
	v_add_f64 v[13:14], v[13:14], v[18:19]
	v_add_f64 v[11:12], v[11:12], v[20:21]
.LBB178_481:                            ;   in Loop: Header=BB178_467 Depth=1
	s_or_b64 exec, exec, s[22:23]
	v_add_u32_e32 v18, 16, v28
	v_cmp_gt_i32_e32 vcc, s7, v18
	s_and_b64 s[38:39], s[10:11], vcc
	s_and_saveexec_b64 s[22:23], s[38:39]
	s_cbranch_execz .LBB178_466
; %bb.482:                              ;   in Loop: Header=BB178_467 Depth=1
	v_mov_b32_e32 v19, s21
	v_add_co_u32_e32 v18, vcc, s20, v16
	v_addc_co_u32_e32 v19, vcc, v17, v19, vcc
	v_mov_b32_e32 v17, v8
	s_and_b64 vcc, exec, s[8:9]
	v_mov_b32_e32 v16, v7
	s_cbranch_vccnz .LBB178_484
; %bb.483:                              ;   in Loop: Header=BB178_467 Depth=1
	flat_load_dwordx2 v[16:17], v[18:19]
.LBB178_484:                            ;   in Loop: Header=BB178_467 Depth=1
	v_mov_b32_e32 v21, v10
	s_and_b64 vcc, exec, s[8:9]
	v_mov_b32_e32 v20, v9
	s_cbranch_vccnz .LBB178_465
; %bb.485:                              ;   in Loop: Header=BB178_467 Depth=1
	flat_load_dwordx2 v[20:21], v[18:19] offset:8
	s_branch .LBB178_465
.LBB178_486:
	s_xor_b64 s[2:3], s[28:29], -1
	s_xor_b64 s[4:5], s[34:35], -1
	v_lshlrev_b32_e32 v1, 4, v1
	v_mov_b32_e32 v15, v11
	v_mov_b32_e32 v16, v12
	ds_write_b128 v1, v[13:16] offset:16384
	s_waitcnt lgkmcnt(0)
	s_barrier
	s_and_saveexec_b64 s[6:7], s[0:1]
	s_cbranch_execz .LBB178_488
; %bb.487:
	v_lshlrev_b32_e32 v15, 4, v0
	ds_read_b128 v[3:6], v15 offset:16896
	ds_read_b128 v[7:10], v15 offset:17408
	s_waitcnt lgkmcnt(1)
	v_add_f64 v[3:4], v[13:14], v[3:4]
	v_add_f64 v[5:6], v[11:12], v[5:6]
	s_waitcnt lgkmcnt(0)
	v_add_f64 v[11:12], v[3:4], v[7:8]
	v_add_f64 v[13:14], v[5:6], v[9:10]
	ds_read_b128 v[3:6], v15 offset:17920
	ds_read_b128 v[7:10], v15 offset:18432
	s_waitcnt lgkmcnt(1)
	v_add_f64 v[3:4], v[11:12], v[3:4]
	v_add_f64 v[5:6], v[13:14], v[5:6]
	s_waitcnt lgkmcnt(0)
	v_add_f64 v[11:12], v[3:4], v[7:8]
	v_add_f64 v[13:14], v[5:6], v[9:10]
	;; [unrolled: 8-line block ×7, first 2 shown]
	ds_read_b128 v[3:6], v15 offset:24064
	s_waitcnt lgkmcnt(0)
	v_add_f64 v[3:4], v[7:8], v[3:4]
	v_add_f64 v[5:6], v[9:10], v[5:6]
	v_xor_b32_e32 v4, 0x80000000, v4
	v_xor_b32_e32 v6, 0x80000000, v6
	v_cndmask_b32_e64 v13, v3, 0, s[14:15]
	v_cndmask_b32_e64 v14, v4, 0, s[14:15]
	;; [unrolled: 1-line block ×4, first 2 shown]
.LBB178_488:
	s_or_b64 exec, exec, s[6:7]
	s_andn2_b64 vcc, exec, s[4:5]
	s_cbranch_vccnz .LBB178_497
; %bb.489:
	v_mov_b32_e32 v3, 0x6000
	v_lshl_or_b32 v7, v2, 4, v3
	s_and_saveexec_b64 s[4:5], s[0:1]
; %bb.490:
	v_lshl_add_u32 v3, v0, 4, v7
	v_mov_b32_e32 v15, v11
	v_mov_b32_e32 v16, v12
	ds_write_b128 v3, v[13:16]
; %bb.491:
	s_or_b64 exec, exec, s[4:5]
	v_mov_b32_e32 v3, 0
	v_mov_b32_e32 v5, 0
	;; [unrolled: 1-line block ×4, first 2 shown]
	v_cmp_ge_u32_e32 vcc, v0, v2
	s_waitcnt lgkmcnt(0)
	s_barrier
	s_and_saveexec_b64 s[4:5], vcc
	s_cbranch_execz .LBB178_493
; %bb.492:
	ds_read_b128 v[3:6], v7
	ds_read_b128 v[15:18], v1
	s_waitcnt lgkmcnt(0)
	v_mul_f64 v[8:9], v[5:6], v[17:18]
	v_mul_f64 v[17:18], v[3:4], v[17:18]
	v_fma_f64 v[3:4], v[3:4], v[15:16], -v[8:9]
	v_fma_f64 v[5:6], v[5:6], v[15:16], v[17:18]
	v_add_f64 v[3:4], v[3:4], 0
	v_add_f64 v[5:6], v[5:6], 0
.LBB178_493:
	s_or_b64 exec, exec, s[4:5]
	v_add_u32_e32 v2, 16, v2
	v_add_u32_e32 v8, 0x4000, v1
	v_cmp_ge_u32_e32 vcc, v0, v2
	s_and_saveexec_b64 s[4:5], vcc
	s_cbranch_execz .LBB178_495
; %bb.494:
	ds_read_b128 v[15:18], v7 offset:256
	ds_read_b128 v[23:26], v1 offset:8192
	s_waitcnt lgkmcnt(0)
	v_mul_f64 v[1:2], v[17:18], v[25:26]
	v_mul_f64 v[9:10], v[15:16], v[25:26]
	v_fma_f64 v[1:2], v[15:16], v[23:24], -v[1:2]
	v_fma_f64 v[9:10], v[17:18], v[23:24], v[9:10]
	v_add_f64 v[3:4], v[3:4], v[1:2]
	v_add_f64 v[5:6], v[5:6], v[9:10]
.LBB178_495:
	s_or_b64 exec, exec, s[4:5]
	s_mov_b64 s[6:7], 0
	s_mov_b64 s[4:5], 0
	ds_write_b128 v8, v[3:6]
	s_waitcnt lgkmcnt(0)
	s_barrier
                                        ; implicit-def: $vgpr7_vgpr8
                                        ; implicit-def: $vgpr9_vgpr10
                                        ; implicit-def: $vgpr1_vgpr2
	s_and_saveexec_b64 s[8:9], s[0:1]
	s_cbranch_execz .LBB178_510
; %bb.496:
	v_lshlrev_b32_e32 v19, 4, v0
	ds_read_b128 v[7:10], v19 offset:16896
	ds_read_b128 v[15:18], v19 offset:17408
	s_mov_b64 s[4:5], exec
	s_waitcnt lgkmcnt(1)
	v_add_f64 v[1:2], v[3:4], v[7:8]
	v_add_f64 v[3:4], v[5:6], v[9:10]
	s_waitcnt lgkmcnt(0)
	v_add_f64 v[9:10], v[1:2], v[15:16]
	v_add_f64 v[15:16], v[3:4], v[17:18]
	ds_read_b128 v[1:4], v19 offset:17920
	ds_read_b128 v[5:8], v19 offset:18432
	s_waitcnt lgkmcnt(1)
	v_add_f64 v[1:2], v[9:10], v[1:2]
	v_add_f64 v[3:4], v[15:16], v[3:4]
	s_waitcnt lgkmcnt(0)
	v_add_f64 v[9:10], v[1:2], v[5:6]
	v_add_f64 v[15:16], v[3:4], v[7:8]
	ds_read_b128 v[1:4], v19 offset:18944
	ds_read_b128 v[5:8], v19 offset:19456
	;; [unrolled: 8-line block ×6, first 2 shown]
	s_waitcnt lgkmcnt(1)
	v_add_f64 v[1:2], v[9:10], v[1:2]
	v_add_f64 v[3:4], v[15:16], v[3:4]
	v_add_u32_e32 v15, s33, v22
	s_waitcnt lgkmcnt(0)
	v_add_f64 v[9:10], v[1:2], v[5:6]
	v_add_f64 v[7:8], v[3:4], v[7:8]
	ds_read_b128 v[3:6], v19 offset:24064
	v_mad_u64_u32 v[1:2], s[10:11], s18, v15, 0
	s_waitcnt lgkmcnt(0)
	v_add_f64 v[9:10], v[9:10], v[3:4]
	v_add_f64 v[7:8], v[7:8], v[5:6]
	v_mad_u64_u32 v[2:3], s[10:11], s19, v15, v[2:3]
	s_or_b64 exec, exec, s[8:9]
	s_and_b64 vcc, exec, s[6:7]
	s_cbranch_vccnz .LBB178_498
	s_branch .LBB178_511
.LBB178_497:
	s_mov_b64 s[4:5], 0
                                        ; implicit-def: $vgpr7_vgpr8
                                        ; implicit-def: $vgpr9_vgpr10
                                        ; implicit-def: $vgpr1_vgpr2
	s_cbranch_execz .LBB178_511
.LBB178_498:
	v_mul_u32_u24_e32 v1, 0x210, v0
	v_lshlrev_b32_e32 v2, 9, v0
	v_sub_u32_e32 v2, v1, v2
	s_mov_b32 s8, 0
	v_mov_b32_e32 v3, 0
	v_mov_b32_e32 v4, v0
	s_branch .LBB178_500
.LBB178_499:                            ;   in Loop: Header=BB178_500 Depth=1
	s_or_b64 exec, exec, s[6:7]
	s_add_i32 s8, s8, 2
	v_add_u32_e32 v2, 0x400, v2
	s_cmp_lg_u32 s8, 32
	v_add_u32_e32 v4, -2, v4
	s_barrier
	s_cbranch_scc0 .LBB178_508
.LBB178_500:                            ; =>This Inner Loop Header: Depth=1
	v_cmp_eq_u32_e32 vcc, 0, v4
	s_and_b64 s[10:11], s[0:1], vcc
	s_and_saveexec_b64 s[6:7], s[10:11]
	s_cbranch_execz .LBB178_502
; %bb.501:                              ;   in Loop: Header=BB178_500 Depth=1
	ds_read_b128 v[5:8], v1
	s_waitcnt lgkmcnt(0)
	v_mul_f64 v[9:10], v[11:12], v[7:8]
	v_mul_f64 v[7:8], v[13:14], v[7:8]
	v_fma_f64 v[9:10], v[13:14], v[5:6], -v[9:10]
	v_fma_f64 v[11:12], v[11:12], v[5:6], v[7:8]
	v_mov_b32_e32 v14, v10
	v_mov_b32_e32 v13, v9
	ds_write_b128 v3, v[9:12] offset:25088
.LBB178_502:                            ;   in Loop: Header=BB178_500 Depth=1
	s_or_b64 exec, exec, s[6:7]
	v_cmp_lt_u32_e32 vcc, s8, v0
	s_and_b64 s[10:11], s[0:1], vcc
	s_waitcnt lgkmcnt(0)
	s_barrier
	s_and_saveexec_b64 s[6:7], s[10:11]
	s_cbranch_execz .LBB178_504
; %bb.503:                              ;   in Loop: Header=BB178_500 Depth=1
	ds_read_b128 v[5:8], v3 offset:25088
	ds_read_b128 v[15:18], v2
	s_waitcnt lgkmcnt(0)
	v_mul_f64 v[9:10], v[7:8], v[17:18]
	v_mul_f64 v[17:18], v[5:6], v[17:18]
	v_fma_f64 v[5:6], v[5:6], v[15:16], -v[9:10]
	v_fma_f64 v[7:8], v[7:8], v[15:16], v[17:18]
	v_add_f64 v[13:14], v[13:14], v[5:6]
	v_add_f64 v[11:12], v[11:12], v[7:8]
.LBB178_504:                            ;   in Loop: Header=BB178_500 Depth=1
	s_or_b64 exec, exec, s[6:7]
	s_or_b32 s9, s8, 1
	v_cmp_eq_u32_e32 vcc, s9, v0
	s_and_b64 s[10:11], s[0:1], vcc
	s_barrier
	s_and_saveexec_b64 s[6:7], s[10:11]
	s_cbranch_execz .LBB178_506
; %bb.505:                              ;   in Loop: Header=BB178_500 Depth=1
	ds_read_b128 v[5:8], v1
	s_waitcnt lgkmcnt(0)
	v_mul_f64 v[9:10], v[11:12], v[7:8]
	v_mul_f64 v[7:8], v[13:14], v[7:8]
	v_fma_f64 v[9:10], v[13:14], v[5:6], -v[9:10]
	v_fma_f64 v[11:12], v[11:12], v[5:6], v[7:8]
	v_mov_b32_e32 v14, v10
	v_mov_b32_e32 v13, v9
	ds_write_b128 v3, v[9:12] offset:25088
.LBB178_506:                            ;   in Loop: Header=BB178_500 Depth=1
	s_or_b64 exec, exec, s[6:7]
	v_cmp_lt_u32_e32 vcc, s9, v0
	s_and_b64 s[10:11], s[0:1], vcc
	s_waitcnt lgkmcnt(0)
	s_barrier
	s_and_saveexec_b64 s[6:7], s[10:11]
	s_cbranch_execz .LBB178_499
; %bb.507:                              ;   in Loop: Header=BB178_500 Depth=1
	ds_read_b128 v[5:8], v3 offset:25088
	ds_read_b128 v[15:18], v2 offset:512
	s_waitcnt lgkmcnt(0)
	v_mul_f64 v[9:10], v[7:8], v[17:18]
	v_mul_f64 v[17:18], v[5:6], v[17:18]
	v_fma_f64 v[5:6], v[5:6], v[15:16], -v[9:10]
	v_fma_f64 v[7:8], v[7:8], v[15:16], v[17:18]
	v_add_f64 v[13:14], v[13:14], v[5:6]
	v_add_f64 v[11:12], v[11:12], v[7:8]
	s_branch .LBB178_499
.LBB178_508:
	s_and_b64 vcc, exec, s[2:3]
	s_cbranch_vccz .LBB178_512
; %bb.509:
	s_and_b64 s[2:3], s[0:1], exec
	s_cbranch_execz .LBB178_513
	s_branch .LBB178_514
.LBB178_510:
	s_or_b64 exec, exec, s[8:9]
	s_and_b64 vcc, exec, s[6:7]
	s_cbranch_vccnz .LBB178_498
.LBB178_511:
	v_mov_b32_e32 v12, v8
	v_mov_b32_e32 v14, v10
	;; [unrolled: 1-line block ×4, first 2 shown]
	s_and_saveexec_b64 s[0:1], s[4:5]
	s_cbranch_execnz .LBB178_517
	s_branch .LBB178_518
.LBB178_512:
	s_mov_b64 s[2:3], 0
.LBB178_513:
	v_cmp_gt_i32_e32 vcc, s85, v0
	s_and_b64 s[0:1], s[0:1], vcc
	s_andn2_b64 s[2:3], s[2:3], exec
	s_and_b64 s[0:1], s[0:1], exec
	s_or_b64 s[2:3], s[2:3], s[0:1]
.LBB178_514:
                                        ; implicit-def: $vgpr1_vgpr2
	s_and_saveexec_b64 s[0:1], s[2:3]
	s_cbranch_execz .LBB178_516
; %bb.515:
	v_mov_b32_e32 v0, s84
	v_add_co_u32_e32 v1, vcc, s33, v22
	v_addc_co_u32_e32 v0, vcc, 0, v0, vcc
	v_mul_lo_u32 v0, v0, s18
	v_mul_lo_u32 v3, v1, s19
	v_mad_u64_u32 v[1:2], s[2:3], v1, s18, 0
	s_or_b64 s[4:5], s[4:5], exec
	v_add3_u32 v2, v2, v3, v0
.LBB178_516:
	s_or_b64 exec, exec, s[0:1]
	s_and_saveexec_b64 s[0:1], s[4:5]
	s_cbranch_execz .LBB178_518
.LBB178_517:
	v_lshlrev_b64 v[0:1], 4, v[1:2]
	v_mov_b32_e32 v2, s31
	v_add_co_u32_e32 v0, vcc, s30, v0
	v_addc_co_u32_e32 v1, vcc, v2, v1, vcc
	v_mov_b32_e32 v15, v11
	v_mov_b32_e32 v16, v12
	flat_store_dwordx4 v[0:1], v[13:16]
.LBB178_518:
	s_or_b64 exec, exec, s[0:1]
	v_cmp_eq_u32_e32 vcc, 0, v22
	s_waitcnt vmcnt(0) lgkmcnt(0)
	buffer_wbinvl1_vol
	s_barrier
	s_and_saveexec_b64 s[0:1], vcc
	s_cbranch_execz .LBB178_520
; %bb.519:
	s_lshl_b64 s[2:3], s[24:25], 2
	s_add_u32 s2, s12, s2
	s_addc_u32 s3, s13, s3
	v_mov_b32_e32 v0, 0
	global_load_dword v1, v0, s[2:3]
	s_waitcnt vmcnt(0)
	v_add_u32_e32 v1, 1, v1
	global_store_dword v0, v1, s[2:3]
.LBB178_520:
	s_or_b64 exec, exec, s[0:1]
	s_waitcnt vmcnt(0)
	buffer_wbinvl1_vol
	s_endpgm
.LBB178_521:
	v_lshlrev_b32_e32 v23, 4, v22
	v_sub_u32_e32 v23, v20, v23
	v_lshl_add_u32 v27, v21, 4, v23
	ds_read_b128 v[23:26], v20 offset:16
	ds_read_b128 v[27:30], v27 offset:576
	s_waitcnt lgkmcnt(0)
	v_mul_f64 v[31:32], v[25:26], v[29:30]
	v_mul_f64 v[29:30], v[23:24], v[29:30]
	v_fma_f64 v[23:24], v[23:24], v[27:28], -v[31:32]
	v_fma_f64 v[25:26], v[25:26], v[27:28], v[29:30]
	v_add_f64 v[11:12], v[11:12], v[23:24]
	v_add_f64 v[13:14], v[13:14], v[25:26]
	s_or_b64 exec, exec, s[14:15]
	v_cmp_gt_u32_e64 s[10:11], 8, v1
	s_and_saveexec_b64 s[14:15], s[10:11]
	s_cbranch_execz .LBB178_87
.LBB178_522:
	ds_read_b128 v[23:26], v20 offset:32
	ds_read_b128 v[27:30], v18 offset:1088
	s_waitcnt lgkmcnt(0)
	v_mul_f64 v[31:32], v[25:26], v[29:30]
	v_mul_f64 v[29:30], v[23:24], v[29:30]
	v_fma_f64 v[23:24], v[23:24], v[27:28], -v[31:32]
	v_fma_f64 v[25:26], v[25:26], v[27:28], v[29:30]
	v_add_f64 v[11:12], v[11:12], v[23:24]
	v_add_f64 v[13:14], v[13:14], v[25:26]
	s_or_b64 exec, exec, s[14:15]
	v_cmp_gt_u32_e64 s[10:11], 4, v1
	s_and_saveexec_b64 s[14:15], s[10:11]
	s_cbranch_execnz .LBB178_88
	s_branch .LBB178_89
.LBB178_523:
	v_lshlrev_b32_e32 v28, 4, v27
	v_sub_u32_e32 v28, v25, v28
	v_lshl_add_u32 v32, v26, 4, v28
	ds_read_b128 v[28:31], v25 offset:16
	ds_read_b128 v[32:35], v32 offset:640
	s_waitcnt lgkmcnt(0)
	v_mul_f64 v[36:37], v[30:31], v[34:35]
	v_mul_f64 v[34:35], v[28:29], v[34:35]
	v_fma_f64 v[28:29], v[28:29], v[32:33], -v[36:37]
	v_fma_f64 v[30:31], v[30:31], v[32:33], v[34:35]
	v_add_f64 v[11:12], v[11:12], v[28:29]
	v_add_f64 v[13:14], v[13:14], v[30:31]
	s_or_b64 exec, exec, s[52:53]
	v_cmp_gt_u32_e64 s[10:11], 48, v1
	s_and_saveexec_b64 s[52:53], s[10:11]
	s_cbranch_execz .LBB178_125
.LBB178_524:
	v_lshlrev_b32_e32 v28, 4, v27
	v_sub_u32_e32 v28, v25, v28
	v_lshl_add_u32 v32, v26, 4, v28
	ds_read_b128 v[28:31], v25 offset:32
	ds_read_b128 v[32:35], v32 offset:1152
	s_waitcnt lgkmcnt(0)
	v_mul_f64 v[36:37], v[30:31], v[34:35]
	v_mul_f64 v[34:35], v[28:29], v[34:35]
	v_fma_f64 v[28:29], v[28:29], v[32:33], -v[36:37]
	v_fma_f64 v[30:31], v[30:31], v[32:33], v[34:35]
	v_add_f64 v[11:12], v[11:12], v[28:29]
	v_add_f64 v[13:14], v[13:14], v[30:31]
	s_or_b64 exec, exec, s[52:53]
	v_cmp_gt_u32_e64 s[10:11], 40, v1
	s_and_saveexec_b64 s[52:53], s[10:11]
	s_cbranch_execz .LBB178_126
.LBB178_525:
	v_lshlrev_b32_e32 v28, 4, v27
	v_sub_u32_e32 v28, v25, v28
	v_lshl_add_u32 v32, v26, 4, v28
	ds_read_b128 v[28:31], v25 offset:48
	ds_read_b128 v[32:35], v32 offset:1664
	s_waitcnt lgkmcnt(0)
	v_mul_f64 v[36:37], v[30:31], v[34:35]
	v_mul_f64 v[34:35], v[28:29], v[34:35]
	v_fma_f64 v[28:29], v[28:29], v[32:33], -v[36:37]
	v_fma_f64 v[30:31], v[30:31], v[32:33], v[34:35]
	v_add_f64 v[11:12], v[11:12], v[28:29]
	v_add_f64 v[13:14], v[13:14], v[30:31]
	s_or_b64 exec, exec, s[52:53]
	v_cmp_gt_u32_e64 s[10:11], 32, v1
	s_and_saveexec_b64 s[52:53], s[10:11]
	s_cbranch_execz .LBB178_127
.LBB178_526:
	ds_read_b128 v[28:31], v25 offset:64
	ds_read_b128 v[32:35], v23 offset:2176
	s_waitcnt lgkmcnt(0)
	v_mul_f64 v[36:37], v[30:31], v[34:35]
	v_mul_f64 v[34:35], v[28:29], v[34:35]
	v_fma_f64 v[28:29], v[28:29], v[32:33], -v[36:37]
	v_fma_f64 v[30:31], v[30:31], v[32:33], v[34:35]
	v_add_f64 v[11:12], v[11:12], v[28:29]
	v_add_f64 v[13:14], v[13:14], v[30:31]
	s_or_b64 exec, exec, s[52:53]
	v_cmp_gt_u32_e64 s[10:11], 24, v1
	s_and_saveexec_b64 s[52:53], s[10:11]
	s_cbranch_execz .LBB178_128
.LBB178_527:
	v_lshlrev_b32_e32 v28, 4, v27
	v_sub_u32_e32 v28, v25, v28
	v_lshl_add_u32 v32, v26, 4, v28
	ds_read_b128 v[28:31], v25 offset:80
	ds_read_b128 v[32:35], v32 offset:2688
	s_waitcnt lgkmcnt(0)
	v_mul_f64 v[36:37], v[30:31], v[34:35]
	v_mul_f64 v[34:35], v[28:29], v[34:35]
	v_fma_f64 v[28:29], v[28:29], v[32:33], -v[36:37]
	v_fma_f64 v[30:31], v[30:31], v[32:33], v[34:35]
	v_add_f64 v[11:12], v[11:12], v[28:29]
	v_add_f64 v[13:14], v[13:14], v[30:31]
	s_or_b64 exec, exec, s[52:53]
	v_cmp_gt_u32_e64 s[10:11], 16, v1
	s_and_saveexec_b64 s[52:53], s[10:11]
	s_cbranch_execz .LBB178_129
.LBB178_528:
	ds_read_b128 v[28:31], v25 offset:96
	ds_read_b128 v[32:35], v23 offset:3200
	s_waitcnt lgkmcnt(0)
	v_mul_f64 v[36:37], v[30:31], v[34:35]
	v_mul_f64 v[34:35], v[28:29], v[34:35]
	v_fma_f64 v[28:29], v[28:29], v[32:33], -v[36:37]
	v_fma_f64 v[30:31], v[30:31], v[32:33], v[34:35]
	v_add_f64 v[11:12], v[11:12], v[28:29]
	v_add_f64 v[13:14], v[13:14], v[30:31]
	s_or_b64 exec, exec, s[52:53]
	v_cmp_gt_u32_e64 s[10:11], 8, v1
	s_and_saveexec_b64 s[52:53], s[10:11]
	s_cbranch_execnz .LBB178_130
	s_branch .LBB178_131
.LBB178_529:
	v_lshlrev_b32_e32 v29, 4, v22
	v_sub_u32_e32 v29, v28, v29
	v_lshl_add_u32 v33, v21, 4, v29
	ds_read_b128 v[29:32], v28 offset:4240
	ds_read_b128 v[33:36], v33 offset:4800
	s_waitcnt lgkmcnt(0)
	v_mul_f64 v[37:38], v[31:32], v[35:36]
	v_mul_f64 v[35:36], v[29:30], v[35:36]
	v_fma_f64 v[29:30], v[29:30], v[33:34], -v[37:38]
	v_fma_f64 v[31:32], v[31:32], v[33:34], v[35:36]
	v_add_f64 v[11:12], v[11:12], v[29:30]
	v_add_f64 v[13:14], v[13:14], v[31:32]
	s_or_b64 exec, exec, s[14:15]
	v_cmp_gt_u32_e64 s[8:9], 8, v1
	s_and_saveexec_b64 s[14:15], s[8:9]
	s_cbranch_execz .LBB178_183
.LBB178_530:
	ds_read_b128 v[28:31], v28 offset:4256
	ds_read_b128 v[32:35], v18 offset:5312
	s_waitcnt lgkmcnt(0)
	v_mul_f64 v[36:37], v[30:31], v[34:35]
	v_mul_f64 v[34:35], v[28:29], v[34:35]
	v_fma_f64 v[28:29], v[28:29], v[32:33], -v[36:37]
	v_fma_f64 v[30:31], v[30:31], v[32:33], v[34:35]
	v_add_f64 v[11:12], v[11:12], v[28:29]
	v_add_f64 v[13:14], v[13:14], v[30:31]
	s_or_b64 exec, exec, s[14:15]
	v_cmp_gt_u32_e64 s[8:9], 4, v1
	s_and_saveexec_b64 s[14:15], s[8:9]
	s_cbranch_execnz .LBB178_184
	s_branch .LBB178_185
.LBB178_531:
	ds_read_b128 v[33:36], v32 offset:176
	ds_read_b128 v[37:40], v28 offset:5888
	s_waitcnt lgkmcnt(0)
	v_mul_f64 v[41:42], v[35:36], v[39:40]
	v_mul_f64 v[39:40], v[33:34], v[39:40]
	v_fma_f64 v[33:34], v[33:34], v[37:38], -v[41:42]
	v_fma_f64 v[35:36], v[35:36], v[37:38], v[39:40]
	v_add_f64 v[11:12], v[11:12], v[33:34]
	v_add_f64 v[13:14], v[13:14], v[35:36]
	s_or_b64 exec, exec, s[82:83]
	v_cmp_gt_u32_e64 s[14:15], 64, v1
	s_and_saveexec_b64 s[82:83], s[14:15]
	s_cbranch_execz .LBB178_241
.LBB178_532:
	ds_read_b128 v[33:36], v32 offset:192
	ds_read_b128 v[37:40], v28 offset:6400
	s_waitcnt lgkmcnt(0)
	v_mul_f64 v[41:42], v[35:36], v[39:40]
	v_mul_f64 v[39:40], v[33:34], v[39:40]
	v_fma_f64 v[33:34], v[33:34], v[37:38], -v[41:42]
	v_fma_f64 v[35:36], v[35:36], v[37:38], v[39:40]
	v_add_f64 v[11:12], v[11:12], v[33:34]
	v_add_f64 v[13:14], v[13:14], v[35:36]
	s_or_b64 exec, exec, s[82:83]
	v_cmp_gt_u32_e64 s[14:15], 48, v1
	s_and_saveexec_b64 s[82:83], s[14:15]
	s_cbranch_execz .LBB178_242
.LBB178_533:
	ds_read_b128 v[33:36], v32 offset:208
	ds_read_b128 v[37:40], v28 offset:6912
	s_waitcnt lgkmcnt(0)
	v_mul_f64 v[41:42], v[35:36], v[39:40]
	v_mul_f64 v[39:40], v[33:34], v[39:40]
	v_fma_f64 v[33:34], v[33:34], v[37:38], -v[41:42]
	v_fma_f64 v[35:36], v[35:36], v[37:38], v[39:40]
	v_add_f64 v[11:12], v[11:12], v[33:34]
	v_add_f64 v[13:14], v[13:14], v[35:36]
	s_or_b64 exec, exec, s[82:83]
	v_cmp_gt_u32_e64 s[14:15], 32, v1
	s_and_saveexec_b64 s[82:83], s[14:15]
	s_cbranch_execz .LBB178_243
.LBB178_534:
	ds_read_b128 v[32:35], v32 offset:224
	ds_read_b128 v[36:39], v28 offset:7424
	s_waitcnt lgkmcnt(0)
	v_mul_f64 v[40:41], v[34:35], v[38:39]
	v_mul_f64 v[38:39], v[32:33], v[38:39]
	v_fma_f64 v[32:33], v[32:33], v[36:37], -v[40:41]
	v_fma_f64 v[34:35], v[34:35], v[36:37], v[38:39]
	v_add_f64 v[11:12], v[11:12], v[32:33]
	v_add_f64 v[13:14], v[13:14], v[34:35]
	s_or_b64 exec, exec, s[82:83]
	v_cmp_gt_u32_e64 s[14:15], 16, v1
	s_and_saveexec_b64 s[82:83], s[14:15]
	s_cbranch_execnz .LBB178_244
	s_branch .LBB178_245
.LBB178_535:
	v_lshlrev_b32_e32 v29, 4, v22
	v_sub_u32_e32 v29, v28, v29
	v_lshl_add_u32 v33, v21, 4, v29
	ds_read_b128 v[29:32], v28 offset:8464
	ds_read_b128 v[33:36], v33 offset:9024
	s_waitcnt lgkmcnt(0)
	v_mul_f64 v[37:38], v[31:32], v[35:36]
	v_mul_f64 v[35:36], v[29:30], v[35:36]
	v_fma_f64 v[29:30], v[29:30], v[33:34], -v[37:38]
	v_fma_f64 v[31:32], v[31:32], v[33:34], v[35:36]
	v_add_f64 v[11:12], v[11:12], v[29:30]
	v_add_f64 v[13:14], v[13:14], v[31:32]
	s_or_b64 exec, exec, s[14:15]
	v_cmp_gt_u32_e64 s[8:9], 8, v1
	s_and_saveexec_b64 s[14:15], s[8:9]
	s_cbranch_execz .LBB178_329
.LBB178_536:
	ds_read_b128 v[28:31], v28 offset:8480
	ds_read_b128 v[32:35], v18 offset:9536
	s_waitcnt lgkmcnt(0)
	v_mul_f64 v[36:37], v[30:31], v[34:35]
	v_mul_f64 v[34:35], v[28:29], v[34:35]
	v_fma_f64 v[28:29], v[28:29], v[32:33], -v[36:37]
	v_fma_f64 v[30:31], v[30:31], v[32:33], v[34:35]
	v_add_f64 v[11:12], v[11:12], v[28:29]
	v_add_f64 v[13:14], v[13:14], v[30:31]
	s_or_b64 exec, exec, s[14:15]
	v_cmp_gt_u32_e64 s[8:9], 4, v1
	s_and_saveexec_b64 s[14:15], s[8:9]
	s_cbranch_execnz .LBB178_330
	s_branch .LBB178_331
.LBB178_537:
	v_lshlrev_b32_e32 v29, 4, v27
	v_sub_u32_e32 v29, v28, v29
	v_lshl_add_u32 v33, v26, 4, v29
	ds_read_b128 v[29:32], v28 offset:8464
	ds_read_b128 v[33:36], v33 offset:9088
	s_waitcnt lgkmcnt(0)
	v_mul_f64 v[37:38], v[31:32], v[35:36]
	v_mul_f64 v[35:36], v[29:30], v[35:36]
	v_fma_f64 v[29:30], v[29:30], v[33:34], -v[37:38]
	v_fma_f64 v[31:32], v[31:32], v[33:34], v[35:36]
	v_add_f64 v[11:12], v[11:12], v[29:30]
	v_add_f64 v[13:14], v[13:14], v[31:32]
	s_or_b64 exec, exec, s[14:15]
	v_cmp_gt_u32_e64 s[8:9], 48, v1
	s_and_saveexec_b64 s[14:15], s[8:9]
	s_cbranch_execz .LBB178_367
.LBB178_538:
	v_lshlrev_b32_e32 v29, 4, v27
	v_sub_u32_e32 v29, v28, v29
	v_lshl_add_u32 v33, v26, 4, v29
	ds_read_b128 v[29:32], v28 offset:8480
	ds_read_b128 v[33:36], v33 offset:9600
	s_waitcnt lgkmcnt(0)
	v_mul_f64 v[37:38], v[31:32], v[35:36]
	v_mul_f64 v[35:36], v[29:30], v[35:36]
	v_fma_f64 v[29:30], v[29:30], v[33:34], -v[37:38]
	v_fma_f64 v[31:32], v[31:32], v[33:34], v[35:36]
	v_add_f64 v[11:12], v[11:12], v[29:30]
	v_add_f64 v[13:14], v[13:14], v[31:32]
	s_or_b64 exec, exec, s[14:15]
	v_cmp_gt_u32_e64 s[8:9], 40, v1
	s_and_saveexec_b64 s[14:15], s[8:9]
	s_cbranch_execz .LBB178_368
.LBB178_539:
	v_lshlrev_b32_e32 v29, 4, v27
	v_sub_u32_e32 v29, v28, v29
	v_lshl_add_u32 v33, v26, 4, v29
	ds_read_b128 v[29:32], v28 offset:8496
	ds_read_b128 v[33:36], v33 offset:10112
	s_waitcnt lgkmcnt(0)
	v_mul_f64 v[37:38], v[31:32], v[35:36]
	v_mul_f64 v[35:36], v[29:30], v[35:36]
	v_fma_f64 v[29:30], v[29:30], v[33:34], -v[37:38]
	v_fma_f64 v[31:32], v[31:32], v[33:34], v[35:36]
	v_add_f64 v[11:12], v[11:12], v[29:30]
	v_add_f64 v[13:14], v[13:14], v[31:32]
	s_or_b64 exec, exec, s[14:15]
	v_cmp_gt_u32_e64 s[8:9], 32, v1
	s_and_saveexec_b64 s[14:15], s[8:9]
	s_cbranch_execz .LBB178_369
.LBB178_540:
	ds_read_b128 v[29:32], v28 offset:8512
	ds_read_b128 v[33:36], v23 offset:10624
	s_waitcnt lgkmcnt(0)
	v_mul_f64 v[37:38], v[31:32], v[35:36]
	v_mul_f64 v[35:36], v[29:30], v[35:36]
	v_fma_f64 v[29:30], v[29:30], v[33:34], -v[37:38]
	v_fma_f64 v[31:32], v[31:32], v[33:34], v[35:36]
	v_add_f64 v[11:12], v[11:12], v[29:30]
	v_add_f64 v[13:14], v[13:14], v[31:32]
	s_or_b64 exec, exec, s[14:15]
	v_cmp_gt_u32_e64 s[8:9], 24, v1
	s_and_saveexec_b64 s[14:15], s[8:9]
	s_cbranch_execz .LBB178_370
.LBB178_541:
	v_lshlrev_b32_e32 v27, 4, v27
	v_sub_u32_e32 v27, v28, v27
	v_lshl_add_u32 v26, v26, 4, v27
	ds_read_b128 v[29:32], v28 offset:8528
	ds_read_b128 v[33:36], v26 offset:11136
	s_waitcnt lgkmcnt(0)
	v_mul_f64 v[26:27], v[31:32], v[35:36]
	v_mul_f64 v[35:36], v[29:30], v[35:36]
	v_fma_f64 v[26:27], v[29:30], v[33:34], -v[26:27]
	v_fma_f64 v[29:30], v[31:32], v[33:34], v[35:36]
	v_add_f64 v[11:12], v[11:12], v[26:27]
	v_add_f64 v[13:14], v[13:14], v[29:30]
	s_or_b64 exec, exec, s[14:15]
	v_cmp_gt_u32_e64 s[8:9], 16, v1
	s_and_saveexec_b64 s[14:15], s[8:9]
	s_cbranch_execz .LBB178_371
.LBB178_542:
	ds_read_b128 v[26:29], v28 offset:8544
	ds_read_b128 v[30:33], v23 offset:11648
	s_waitcnt lgkmcnt(0)
	v_mul_f64 v[34:35], v[28:29], v[32:33]
	v_mul_f64 v[32:33], v[26:27], v[32:33]
	v_fma_f64 v[26:27], v[26:27], v[30:31], -v[34:35]
	v_fma_f64 v[28:29], v[28:29], v[30:31], v[32:33]
	v_add_f64 v[11:12], v[11:12], v[26:27]
	v_add_f64 v[13:14], v[13:14], v[28:29]
	s_or_b64 exec, exec, s[14:15]
	v_cmp_gt_u32_e64 s[8:9], 8, v1
	s_and_saveexec_b64 s[14:15], s[8:9]
	s_cbranch_execnz .LBB178_372
	s_branch .LBB178_373
.LBB178_543:
	v_lshlrev_b32_e32 v22, 4, v22
	v_sub_u32_e32 v22, v23, v22
	v_lshl_add_u32 v21, v21, 4, v22
	ds_read_b128 v[24:27], v23 offset:12688
	ds_read_b128 v[28:31], v21 offset:13248
	s_waitcnt lgkmcnt(0)
	v_mul_f64 v[21:22], v[26:27], v[30:31]
	v_mul_f64 v[30:31], v[24:25], v[30:31]
	v_fma_f64 v[21:22], v[24:25], v[28:29], -v[21:22]
	v_fma_f64 v[24:25], v[26:27], v[28:29], v[30:31]
	v_add_f64 v[11:12], v[11:12], v[21:22]
	v_add_f64 v[13:14], v[13:14], v[24:25]
	s_or_b64 exec, exec, s[12:13]
	v_cmp_gt_u32_e64 s[8:9], 8, v1
	s_and_saveexec_b64 s[12:13], s[8:9]
	s_cbranch_execz .LBB178_425
.LBB178_544:
	ds_read_b128 v[21:24], v23 offset:12704
	ds_read_b128 v[25:28], v18 offset:13760
	s_waitcnt lgkmcnt(0)
	v_mul_f64 v[29:30], v[23:24], v[27:28]
	v_mul_f64 v[27:28], v[21:22], v[27:28]
	v_fma_f64 v[21:22], v[21:22], v[25:26], -v[29:30]
	v_fma_f64 v[23:24], v[23:24], v[25:26], v[27:28]
	v_add_f64 v[11:12], v[11:12], v[21:22]
	v_add_f64 v[13:14], v[13:14], v[23:24]
	s_or_b64 exec, exec, s[12:13]
	v_cmp_gt_u32_e64 s[8:9], 4, v1
	s_and_saveexec_b64 s[12:13], s[8:9]
	s_cbranch_execnz .LBB178_426
	s_branch .LBB178_427
	.section	.rodata,"a",@progbits
	.p2align	6, 0x0
	.amdhsa_kernel _ZL19rocblas_trsv_deviceILi32ELi16ELb1ELb0ELb0ELb0E19rocblas_complex_numIdEPKS1_PKS3_PKPS1_EviT7_lllT6_T8_lllPii
		.amdhsa_group_segment_fixed_size 25104
		.amdhsa_private_segment_fixed_size 0
		.amdhsa_kernarg_size 352
		.amdhsa_user_sgpr_count 6
		.amdhsa_user_sgpr_private_segment_buffer 1
		.amdhsa_user_sgpr_dispatch_ptr 0
		.amdhsa_user_sgpr_queue_ptr 0
		.amdhsa_user_sgpr_kernarg_segment_ptr 1
		.amdhsa_user_sgpr_dispatch_id 0
		.amdhsa_user_sgpr_flat_scratch_init 0
		.amdhsa_user_sgpr_private_segment_size 0
		.amdhsa_uses_dynamic_stack 0
		.amdhsa_system_sgpr_private_segment_wavefront_offset 0
		.amdhsa_system_sgpr_workgroup_id_x 1
		.amdhsa_system_sgpr_workgroup_id_y 0
		.amdhsa_system_sgpr_workgroup_id_z 1
		.amdhsa_system_sgpr_workgroup_info 0
		.amdhsa_system_vgpr_workitem_id 1
		.amdhsa_next_free_vgpr 49
		.amdhsa_next_free_sgpr 98
		.amdhsa_reserve_vcc 1
		.amdhsa_reserve_flat_scratch 0
		.amdhsa_float_round_mode_32 0
		.amdhsa_float_round_mode_16_64 0
		.amdhsa_float_denorm_mode_32 3
		.amdhsa_float_denorm_mode_16_64 3
		.amdhsa_dx10_clamp 1
		.amdhsa_ieee_mode 1
		.amdhsa_fp16_overflow 0
		.amdhsa_exception_fp_ieee_invalid_op 0
		.amdhsa_exception_fp_denorm_src 0
		.amdhsa_exception_fp_ieee_div_zero 0
		.amdhsa_exception_fp_ieee_overflow 0
		.amdhsa_exception_fp_ieee_underflow 0
		.amdhsa_exception_fp_ieee_inexact 0
		.amdhsa_exception_int_div_zero 0
	.end_amdhsa_kernel
	.section	.text._ZL19rocblas_trsv_deviceILi32ELi16ELb1ELb0ELb0ELb0E19rocblas_complex_numIdEPKS1_PKS3_PKPS1_EviT7_lllT6_T8_lllPii,"axG",@progbits,_ZL19rocblas_trsv_deviceILi32ELi16ELb1ELb0ELb0ELb0E19rocblas_complex_numIdEPKS1_PKS3_PKPS1_EviT7_lllT6_T8_lllPii,comdat
.Lfunc_end178:
	.size	_ZL19rocblas_trsv_deviceILi32ELi16ELb1ELb0ELb0ELb0E19rocblas_complex_numIdEPKS1_PKS3_PKPS1_EviT7_lllT6_T8_lllPii, .Lfunc_end178-_ZL19rocblas_trsv_deviceILi32ELi16ELb1ELb0ELb0ELb0E19rocblas_complex_numIdEPKS1_PKS3_PKPS1_EviT7_lllT6_T8_lllPii
                                        ; -- End function
	.set _ZL19rocblas_trsv_deviceILi32ELi16ELb1ELb0ELb0ELb0E19rocblas_complex_numIdEPKS1_PKS3_PKPS1_EviT7_lllT6_T8_lllPii.num_vgpr, 43
	.set _ZL19rocblas_trsv_deviceILi32ELi16ELb1ELb0ELb0ELb0E19rocblas_complex_numIdEPKS1_PKS3_PKPS1_EviT7_lllT6_T8_lllPii.num_agpr, 0
	.set _ZL19rocblas_trsv_deviceILi32ELi16ELb1ELb0ELb0ELb0E19rocblas_complex_numIdEPKS1_PKS3_PKPS1_EviT7_lllT6_T8_lllPii.numbered_sgpr, 89
	.set _ZL19rocblas_trsv_deviceILi32ELi16ELb1ELb0ELb0ELb0E19rocblas_complex_numIdEPKS1_PKS3_PKPS1_EviT7_lllT6_T8_lllPii.num_named_barrier, 0
	.set _ZL19rocblas_trsv_deviceILi32ELi16ELb1ELb0ELb0ELb0E19rocblas_complex_numIdEPKS1_PKS3_PKPS1_EviT7_lllT6_T8_lllPii.private_seg_size, 0
	.set _ZL19rocblas_trsv_deviceILi32ELi16ELb1ELb0ELb0ELb0E19rocblas_complex_numIdEPKS1_PKS3_PKPS1_EviT7_lllT6_T8_lllPii.uses_vcc, 1
	.set _ZL19rocblas_trsv_deviceILi32ELi16ELb1ELb0ELb0ELb0E19rocblas_complex_numIdEPKS1_PKS3_PKPS1_EviT7_lllT6_T8_lllPii.uses_flat_scratch, 0
	.set _ZL19rocblas_trsv_deviceILi32ELi16ELb1ELb0ELb0ELb0E19rocblas_complex_numIdEPKS1_PKS3_PKPS1_EviT7_lllT6_T8_lllPii.has_dyn_sized_stack, 0
	.set _ZL19rocblas_trsv_deviceILi32ELi16ELb1ELb0ELb0ELb0E19rocblas_complex_numIdEPKS1_PKS3_PKPS1_EviT7_lllT6_T8_lllPii.has_recursion, 0
	.set _ZL19rocblas_trsv_deviceILi32ELi16ELb1ELb0ELb0ELb0E19rocblas_complex_numIdEPKS1_PKS3_PKPS1_EviT7_lllT6_T8_lllPii.has_indirect_call, 0
	.section	.AMDGPU.csdata,"",@progbits
; Kernel info:
; codeLenInByte = 25664
; TotalNumSgprs: 93
; NumVgprs: 43
; ScratchSize: 0
; MemoryBound: 1
; FloatMode: 240
; IeeeMode: 1
; LDSByteSize: 25104 bytes/workgroup (compile time only)
; SGPRBlocks: 12
; VGPRBlocks: 12
; NumSGPRsForWavesPerEU: 102
; NumVGPRsForWavesPerEU: 49
; Occupancy: 4
; WaveLimiterHint : 1
; COMPUTE_PGM_RSRC2:SCRATCH_EN: 0
; COMPUTE_PGM_RSRC2:USER_SGPR: 6
; COMPUTE_PGM_RSRC2:TRAP_HANDLER: 0
; COMPUTE_PGM_RSRC2:TGID_X_EN: 1
; COMPUTE_PGM_RSRC2:TGID_Y_EN: 0
; COMPUTE_PGM_RSRC2:TGID_Z_EN: 1
; COMPUTE_PGM_RSRC2:TIDIG_COMP_CNT: 1
	.section	.text._ZL19rocblas_trsv_deviceILi32ELi16ELb1ELb1ELb0ELb0E19rocblas_complex_numIdEPKS1_PKS3_PKPS1_EviT7_lllT6_T8_lllPii,"axG",@progbits,_ZL19rocblas_trsv_deviceILi32ELi16ELb1ELb1ELb0ELb0E19rocblas_complex_numIdEPKS1_PKS3_PKPS1_EviT7_lllT6_T8_lllPii,comdat
	.globl	_ZL19rocblas_trsv_deviceILi32ELi16ELb1ELb1ELb0ELb0E19rocblas_complex_numIdEPKS1_PKS3_PKPS1_EviT7_lllT6_T8_lllPii ; -- Begin function _ZL19rocblas_trsv_deviceILi32ELi16ELb1ELb1ELb0ELb0E19rocblas_complex_numIdEPKS1_PKS3_PKPS1_EviT7_lllT6_T8_lllPii
	.p2align	8
	.type	_ZL19rocblas_trsv_deviceILi32ELi16ELb1ELb1ELb0ELb0E19rocblas_complex_numIdEPKS1_PKS3_PKPS1_EviT7_lllT6_T8_lllPii,@function
_ZL19rocblas_trsv_deviceILi32ELi16ELb1ELb1ELb0ELb0E19rocblas_complex_numIdEPKS1_PKS3_PKPS1_EviT7_lllT6_T8_lllPii: ; @_ZL19rocblas_trsv_deviceILi32ELi16ELb1ELb1ELb0ELb0E19rocblas_complex_numIdEPKS1_PKS3_PKPS1_EviT7_lllT6_T8_lllPii
; %bb.0:
	s_load_dwordx4 s[0:3], s[4:5], 0x8
	s_mov_b32 s28, s7
	s_mov_b32 s29, 0
	s_lshl_b64 s[8:9], s[28:29], 3
	v_mov_b32_e32 v2, v1
	s_waitcnt lgkmcnt(0)
	s_add_u32 s0, s0, s8
	s_addc_u32 s1, s1, s9
	s_load_dwordx2 s[10:11], s[0:1], 0x0
	s_load_dword s30, s[4:5], 0x0
	s_load_dwordx8 s[16:23], s[4:5], 0x28
	s_load_dwordx2 s[36:37], s[4:5], 0x18
	s_lshl_b64 s[0:1], s[2:3], 4
	s_waitcnt lgkmcnt(0)
	s_add_u32 s94, s10, s0
	s_addc_u32 s62, s11, s1
	s_add_u32 s0, s18, s8
	s_load_dword s7, s[4:5], 0x60
	s_addc_u32 s1, s19, s9
	s_load_dwordx2 s[38:39], s[0:1], 0x0
	s_load_dwordx4 s[24:27], s[16:17], 0x0
	s_load_dword s43, s[4:5], 0x6c
	s_waitcnt lgkmcnt(0)
	s_add_i32 s7, s7, -1
	s_sub_i32 s63, s7, s6
	s_cmp_lg_u32 s6, 0
	s_cbranch_scc0 .LBB179_545
; %bb.1:
	s_lshl_b32 s33, s63, 5
	v_add_u32_e32 v1, s33, v0
	v_ashrrev_i32_e32 v3, 31, v1
	v_mul_lo_u32 v7, s36, v3
	v_mul_lo_u32 v8, s37, v1
	v_mad_u64_u32 v[5:6], s[0:1], s36, v1, 0
	v_add3_u32 v3, v2, s33, 32
	v_ashrrev_i32_e32 v4, 31, v3
	v_add3_u32 v6, v6, v7, v8
	v_lshlrev_b64 v[5:6], 4, v[5:6]
	v_cmp_gt_i32_e32 vcc, s30, v1
	v_mov_b32_e32 v1, s62
	v_add_co_u32_e64 v7, s[0:1], s94, v5
	v_lshlrev_b64 v[4:5], 4, v[3:4]
	v_addc_co_u32_e64 v1, s[0:1], v1, v6, s[0:1]
	v_add_co_u32_e64 v11, s[0:1], v7, v4
	v_addc_co_u32_e64 v12, s[0:1], v1, v5, s[0:1]
	v_cmp_gt_i32_e64 s[0:1], s30, v3
	v_mov_b32_e32 v5, 0
	v_mov_b32_e32 v7, 0
	;; [unrolled: 1-line block ×6, first 2 shown]
	s_and_b64 s[2:3], s[0:1], vcc
	s_barrier
	s_and_saveexec_b64 s[0:1], s[2:3]
	s_cbranch_execz .LBB179_3
; %bb.2:
	flat_load_dwordx4 v[7:10], v[11:12]
.LBB179_3:
	s_or_b64 exec, exec, s[0:1]
	v_add_u32_e32 v1, 16, v3
	v_cmp_gt_i32_e64 s[0:1], s30, v1
	v_mov_b32_e32 v3, 0
	v_mov_b32_e32 v4, 0
	s_and_b64 s[2:3], s[0:1], vcc
	s_waitcnt vmcnt(0) lgkmcnt(0)
	s_barrier
	s_and_saveexec_b64 s[0:1], s[2:3]
	s_cbranch_execz .LBB179_5
; %bb.4:
	flat_load_dwordx4 v[3:6], v[11:12] offset:256
.LBB179_5:
	s_or_b64 exec, exec, s[0:1]
	s_branch .LBB179_7
.LBB179_6:
	s_lshl_b32 s33, s63, 5
                                        ; implicit-def: $vgpr7_vgpr8
                                        ; implicit-def: $vgpr3_vgpr4
.LBB179_7:
	s_ashr_i32 s31, s30, 31
	s_lshr_b32 s0, s31, 27
	s_add_i32 s0, s30, s0
	s_andn2_b32 s0, s0, 31
	s_sub_i32 s95, s30, s0
	s_add_i32 s0, s30, -1
	s_ashr_i32 s1, s0, 31
	s_lshr_b32 s1, s1, 27
	s_add_i32 s0, s0, s1
	s_ashr_i32 s0, s0, 5
	s_cmp_eq_u32 s0, s63
	s_cselect_b64 s[0:1], -1, 0
	s_cmp_lg_u32 s95, 0
	s_cselect_b64 s[2:3], -1, 0
	s_and_b64 s[34:35], s[2:3], s[0:1]
	s_cmp_lt_i32 s6, 5
	s_cselect_b64 s[2:3], -1, 0
	s_or_b64 s[0:1], s[2:3], s[34:35]
	s_ashr_i32 s42, s33, 31
	s_add_u32 s10, s36, 1
	v_mov_b32_e32 v1, 0
	v_mov_b32_e32 v11, s33
	v_mad_u64_u32 v[19:20], s[8:9], s10, v11, v[0:1]
	s_addc_u32 s11, s37, 0
	s_mul_i32 s8, s10, s42
	s_mul_i32 s11, s11, s33
	v_lshlrev_b32_e32 v21, 5, v0
	s_add_i32 s8, s8, s11
	s_mov_b64 s[12:13], -1
	v_add_u32_e32 v20, s8, v20
	s_and_b64 vcc, exec, s[34:35]
	v_add_u32_e32 v22, v2, v21
	v_cmp_le_u32_e64 s[8:9], v0, v2
	v_lshl_add_u32 v1, v2, 5, v0
	s_cbranch_vccnz .LBB179_37
; %bb.8:
	v_mad_u64_u32 v[11:12], s[10:11], s36, v2, v[19:20]
	v_cndmask_b32_e64 v23, v1, v22, s[2:3]
	v_mad_u64_u32 v[12:13], s[10:11], s37, v2, v[12:13]
	s_and_saveexec_b64 s[2:3], s[8:9]
	s_xor_b64 s[2:3], exec, s[2:3]
	s_cbranch_execz .LBB179_20
; %bb.9:
	v_cmp_ne_u32_e32 vcc, v0, v2
	s_and_saveexec_b64 s[8:9], vcc
	s_xor_b64 s[8:9], exec, s[8:9]
	s_cbranch_execz .LBB179_13
; %bb.10:
	v_or_b32_e32 v11, v2, v0
	v_cmp_gt_u32_e32 vcc, 32, v11
	s_and_saveexec_b64 s[10:11], vcc
	s_cbranch_execz .LBB179_12
; %bb.11:
	v_mov_b32_e32 v11, 0
	v_lshlrev_b32_e32 v15, 4, v23
	v_mov_b32_e32 v12, v11
	v_mov_b32_e32 v13, v11
	;; [unrolled: 1-line block ×3, first 2 shown]
	ds_write_b128 v15, v[11:14]
.LBB179_12:
	s_or_b64 exec, exec, s[10:11]
                                        ; implicit-def: $vgpr23
                                        ; implicit-def: $vgpr11_vgpr12
.LBB179_13:
	s_andn2_saveexec_b64 s[8:9], s[8:9]
	s_cbranch_execz .LBB179_19
; %bb.14:
	v_lshlrev_b64 v[11:12], 4, v[11:12]
	v_mov_b32_e32 v13, s62
	v_add_co_u32_e32 v11, vcc, s94, v11
	v_addc_co_u32_e32 v12, vcc, v13, v12, vcc
	flat_load_dwordx4 v[11:14], v[11:12]
                                        ; implicit-def: $vgpr15_vgpr16
	s_waitcnt vmcnt(0) lgkmcnt(0)
	v_cmp_ngt_f64_e64 s[10:11], |v[11:12]|, |v[13:14]|
	s_and_saveexec_b64 s[12:13], s[10:11]
	s_xor_b64 s[10:11], exec, s[12:13]
	s_cbranch_execz .LBB179_16
; %bb.15:
	v_div_scale_f64 v[15:16], s[12:13], v[13:14], v[13:14], v[11:12]
	v_rcp_f64_e32 v[17:18], v[15:16]
	v_fma_f64 v[24:25], -v[15:16], v[17:18], 1.0
	v_fma_f64 v[17:18], v[17:18], v[24:25], v[17:18]
	v_div_scale_f64 v[24:25], vcc, v[11:12], v[13:14], v[11:12]
	v_fma_f64 v[26:27], -v[15:16], v[17:18], 1.0
	v_fma_f64 v[17:18], v[17:18], v[26:27], v[17:18]
	v_mul_f64 v[26:27], v[24:25], v[17:18]
	v_fma_f64 v[15:16], -v[15:16], v[26:27], v[24:25]
	v_div_fmas_f64 v[15:16], v[15:16], v[17:18], v[26:27]
	v_div_fixup_f64 v[15:16], v[15:16], v[13:14], v[11:12]
	v_fma_f64 v[11:12], v[11:12], v[15:16], v[13:14]
	v_div_scale_f64 v[13:14], s[12:13], v[11:12], v[11:12], 1.0
	v_div_scale_f64 v[26:27], vcc, 1.0, v[11:12], 1.0
	v_rcp_f64_e32 v[17:18], v[13:14]
	v_fma_f64 v[24:25], -v[13:14], v[17:18], 1.0
	v_fma_f64 v[17:18], v[17:18], v[24:25], v[17:18]
	v_fma_f64 v[24:25], -v[13:14], v[17:18], 1.0
	v_fma_f64 v[17:18], v[17:18], v[24:25], v[17:18]
	v_mul_f64 v[24:25], v[26:27], v[17:18]
	v_fma_f64 v[13:14], -v[13:14], v[24:25], v[26:27]
	v_div_fmas_f64 v[13:14], v[13:14], v[17:18], v[24:25]
	v_div_fixup_f64 v[17:18], v[13:14], v[11:12], 1.0
                                        ; implicit-def: $vgpr11_vgpr12
	v_mul_f64 v[15:16], v[15:16], v[17:18]
	v_xor_b32_e32 v18, 0x80000000, v18
.LBB179_16:
	s_andn2_saveexec_b64 s[10:11], s[10:11]
	s_cbranch_execz .LBB179_18
; %bb.17:
	v_div_scale_f64 v[15:16], s[12:13], v[11:12], v[11:12], v[13:14]
	v_rcp_f64_e32 v[17:18], v[15:16]
	v_fma_f64 v[24:25], -v[15:16], v[17:18], 1.0
	v_fma_f64 v[17:18], v[17:18], v[24:25], v[17:18]
	v_div_scale_f64 v[24:25], vcc, v[13:14], v[11:12], v[13:14]
	v_fma_f64 v[26:27], -v[15:16], v[17:18], 1.0
	v_fma_f64 v[17:18], v[17:18], v[26:27], v[17:18]
	v_mul_f64 v[26:27], v[24:25], v[17:18]
	v_fma_f64 v[15:16], -v[15:16], v[26:27], v[24:25]
	v_div_fmas_f64 v[15:16], v[15:16], v[17:18], v[26:27]
	v_div_fixup_f64 v[17:18], v[15:16], v[11:12], v[13:14]
	v_fma_f64 v[11:12], v[13:14], v[17:18], v[11:12]
	v_div_scale_f64 v[13:14], s[12:13], v[11:12], v[11:12], 1.0
	v_div_scale_f64 v[26:27], vcc, 1.0, v[11:12], 1.0
	v_rcp_f64_e32 v[15:16], v[13:14]
	v_fma_f64 v[24:25], -v[13:14], v[15:16], 1.0
	v_fma_f64 v[15:16], v[15:16], v[24:25], v[15:16]
	v_fma_f64 v[24:25], -v[13:14], v[15:16], 1.0
	v_fma_f64 v[15:16], v[15:16], v[24:25], v[15:16]
	v_mul_f64 v[24:25], v[26:27], v[15:16]
	v_fma_f64 v[13:14], -v[13:14], v[24:25], v[26:27]
	v_div_fmas_f64 v[13:14], v[13:14], v[15:16], v[24:25]
	v_div_fixup_f64 v[15:16], v[13:14], v[11:12], 1.0
	v_mul_f64 v[17:18], v[17:18], -v[15:16]
.LBB179_18:
	s_or_b64 exec, exec, s[10:11]
	v_lshlrev_b32_e32 v11, 4, v23
	ds_write_b128 v11, v[15:18]
.LBB179_19:
	s_or_b64 exec, exec, s[8:9]
                                        ; implicit-def: $vgpr11_vgpr12
                                        ; implicit-def: $vgpr23
.LBB179_20:
	s_andn2_saveexec_b64 s[2:3], s[2:3]
	s_cbranch_execz .LBB179_22
; %bb.21:
	v_lshlrev_b64 v[11:12], 4, v[11:12]
	v_mov_b32_e32 v13, s62
	v_add_co_u32_e32 v11, vcc, s94, v11
	v_addc_co_u32_e32 v12, vcc, v13, v12, vcc
	flat_load_dwordx4 v[11:14], v[11:12]
	v_lshlrev_b32_e32 v15, 4, v23
	s_waitcnt vmcnt(0) lgkmcnt(0)
	v_xor_b32_e32 v12, 0x80000000, v12
	v_xor_b32_e32 v14, 0x80000000, v14
	ds_write_b128 v15, v[11:14]
.LBB179_22:
	s_or_b64 exec, exec, s[2:3]
	v_add_u32_e32 v13, 16, v2
	v_mad_u64_u32 v[11:12], s[2:3], s36, v13, v[19:20]
	v_cmp_le_u32_e32 vcc, v0, v13
	v_mad_u64_u32 v[14:15], s[2:3], s37, v13, v[12:13]
	v_add_u32_e32 v12, v13, v21
	v_lshl_add_u32 v15, v13, 5, v0
	v_cndmask_b32_e64 v23, v15, v12, s[0:1]
	v_mov_b32_e32 v12, v14
	s_and_saveexec_b64 s[2:3], vcc
	s_xor_b64 s[2:3], exec, s[2:3]
	s_cbranch_execz .LBB179_34
; %bb.23:
	v_cmp_ne_u32_e32 vcc, v0, v13
	s_and_saveexec_b64 s[8:9], vcc
	s_xor_b64 s[8:9], exec, s[8:9]
	s_cbranch_execz .LBB179_27
; %bb.24:
	v_or_b32_e32 v11, v13, v0
	v_cmp_gt_u32_e32 vcc, 32, v11
	s_and_saveexec_b64 s[10:11], vcc
	s_cbranch_execz .LBB179_26
; %bb.25:
	v_mov_b32_e32 v11, 0
	v_lshlrev_b32_e32 v15, 4, v23
	v_mov_b32_e32 v12, v11
	v_mov_b32_e32 v13, v11
	v_mov_b32_e32 v14, v11
	ds_write_b128 v15, v[11:14]
.LBB179_26:
	s_or_b64 exec, exec, s[10:11]
                                        ; implicit-def: $vgpr23
                                        ; implicit-def: $vgpr11_vgpr12
.LBB179_27:
	s_andn2_saveexec_b64 s[8:9], s[8:9]
	s_cbranch_execz .LBB179_33
; %bb.28:
	v_lshlrev_b64 v[11:12], 4, v[11:12]
	v_mov_b32_e32 v13, s62
	v_add_co_u32_e32 v11, vcc, s94, v11
	v_addc_co_u32_e32 v12, vcc, v13, v12, vcc
	flat_load_dwordx4 v[11:14], v[11:12]
                                        ; implicit-def: $vgpr15_vgpr16
	s_waitcnt vmcnt(0) lgkmcnt(0)
	v_cmp_ngt_f64_e64 s[10:11], |v[11:12]|, |v[13:14]|
	s_and_saveexec_b64 s[12:13], s[10:11]
	s_xor_b64 s[10:11], exec, s[12:13]
	s_cbranch_execz .LBB179_30
; %bb.29:
	v_div_scale_f64 v[15:16], s[12:13], v[13:14], v[13:14], v[11:12]
	v_rcp_f64_e32 v[17:18], v[15:16]
	v_fma_f64 v[24:25], -v[15:16], v[17:18], 1.0
	v_fma_f64 v[17:18], v[17:18], v[24:25], v[17:18]
	v_div_scale_f64 v[24:25], vcc, v[11:12], v[13:14], v[11:12]
	v_fma_f64 v[26:27], -v[15:16], v[17:18], 1.0
	v_fma_f64 v[17:18], v[17:18], v[26:27], v[17:18]
	v_mul_f64 v[26:27], v[24:25], v[17:18]
	v_fma_f64 v[15:16], -v[15:16], v[26:27], v[24:25]
	v_div_fmas_f64 v[15:16], v[15:16], v[17:18], v[26:27]
	v_div_fixup_f64 v[15:16], v[15:16], v[13:14], v[11:12]
	v_fma_f64 v[11:12], v[11:12], v[15:16], v[13:14]
	v_div_scale_f64 v[13:14], s[12:13], v[11:12], v[11:12], 1.0
	v_div_scale_f64 v[26:27], vcc, 1.0, v[11:12], 1.0
	v_rcp_f64_e32 v[17:18], v[13:14]
	v_fma_f64 v[24:25], -v[13:14], v[17:18], 1.0
	v_fma_f64 v[17:18], v[17:18], v[24:25], v[17:18]
	v_fma_f64 v[24:25], -v[13:14], v[17:18], 1.0
	v_fma_f64 v[17:18], v[17:18], v[24:25], v[17:18]
	v_mul_f64 v[24:25], v[26:27], v[17:18]
	v_fma_f64 v[13:14], -v[13:14], v[24:25], v[26:27]
	v_div_fmas_f64 v[13:14], v[13:14], v[17:18], v[24:25]
	v_div_fixup_f64 v[17:18], v[13:14], v[11:12], 1.0
                                        ; implicit-def: $vgpr11_vgpr12
	v_mul_f64 v[15:16], v[15:16], v[17:18]
	v_xor_b32_e32 v18, 0x80000000, v18
.LBB179_30:
	s_andn2_saveexec_b64 s[10:11], s[10:11]
	s_cbranch_execz .LBB179_32
; %bb.31:
	v_div_scale_f64 v[15:16], s[12:13], v[11:12], v[11:12], v[13:14]
	v_rcp_f64_e32 v[17:18], v[15:16]
	v_fma_f64 v[24:25], -v[15:16], v[17:18], 1.0
	v_fma_f64 v[17:18], v[17:18], v[24:25], v[17:18]
	v_div_scale_f64 v[24:25], vcc, v[13:14], v[11:12], v[13:14]
	v_fma_f64 v[26:27], -v[15:16], v[17:18], 1.0
	v_fma_f64 v[17:18], v[17:18], v[26:27], v[17:18]
	v_mul_f64 v[26:27], v[24:25], v[17:18]
	v_fma_f64 v[15:16], -v[15:16], v[26:27], v[24:25]
	v_div_fmas_f64 v[15:16], v[15:16], v[17:18], v[26:27]
	v_div_fixup_f64 v[17:18], v[15:16], v[11:12], v[13:14]
	v_fma_f64 v[11:12], v[13:14], v[17:18], v[11:12]
	v_div_scale_f64 v[13:14], s[12:13], v[11:12], v[11:12], 1.0
	v_div_scale_f64 v[26:27], vcc, 1.0, v[11:12], 1.0
	v_rcp_f64_e32 v[15:16], v[13:14]
	v_fma_f64 v[24:25], -v[13:14], v[15:16], 1.0
	v_fma_f64 v[15:16], v[15:16], v[24:25], v[15:16]
	v_fma_f64 v[24:25], -v[13:14], v[15:16], 1.0
	v_fma_f64 v[15:16], v[15:16], v[24:25], v[15:16]
	v_mul_f64 v[24:25], v[26:27], v[15:16]
	v_fma_f64 v[13:14], -v[13:14], v[24:25], v[26:27]
	v_div_fmas_f64 v[13:14], v[13:14], v[15:16], v[24:25]
	v_div_fixup_f64 v[15:16], v[13:14], v[11:12], 1.0
	v_mul_f64 v[17:18], v[17:18], -v[15:16]
.LBB179_32:
	s_or_b64 exec, exec, s[10:11]
	v_lshlrev_b32_e32 v11, 4, v23
	ds_write_b128 v11, v[15:18]
.LBB179_33:
	s_or_b64 exec, exec, s[8:9]
                                        ; implicit-def: $vgpr11_vgpr12
                                        ; implicit-def: $vgpr23
.LBB179_34:
	s_andn2_saveexec_b64 s[2:3], s[2:3]
	s_cbranch_execz .LBB179_36
; %bb.35:
	v_lshlrev_b64 v[11:12], 4, v[11:12]
	v_mov_b32_e32 v13, s62
	v_add_co_u32_e32 v11, vcc, s94, v11
	v_addc_co_u32_e32 v12, vcc, v13, v12, vcc
	flat_load_dwordx4 v[11:14], v[11:12]
	v_lshlrev_b32_e32 v15, 4, v23
	s_waitcnt vmcnt(0) lgkmcnt(0)
	v_xor_b32_e32 v12, 0x80000000, v12
	v_xor_b32_e32 v14, 0x80000000, v14
	ds_write_b128 v15, v[11:14]
.LBB179_36:
	s_or_b64 exec, exec, s[2:3]
	s_mov_b64 s[12:13], 0
.LBB179_37:
	s_xor_b64 s[10:11], s[0:1], -1
	s_and_b64 vcc, exec, s[12:13]
	s_cbranch_vccz .LBB179_67
; %bb.38:
	v_mad_u64_u32 v[11:12], s[2:3], s36, v2, v[19:20]
	v_cmp_le_u32_e32 vcc, v0, v2
	v_cmp_gt_i32_e64 s[2:3], s95, v0
	v_mad_u64_u32 v[12:13], s[8:9], s37, v2, v[12:13]
	v_max_i32_e32 v13, v2, v0
	v_cmp_le_i32_e64 s[8:9], s95, v13
	s_or_b64 s[8:9], s[8:9], vcc
	s_and_saveexec_b64 s[12:13], s[8:9]
	s_xor_b64 s[8:9], exec, s[12:13]
	s_cbranch_execz .LBB179_50
; %bb.39:
	v_cmp_ne_u32_e32 vcc, v0, v2
	s_xor_b64 s[12:13], s[2:3], -1
	s_or_b64 s[12:13], s[12:13], vcc
	s_and_saveexec_b64 s[14:15], s[12:13]
	s_xor_b64 s[12:13], exec, s[14:15]
	s_cbranch_execz .LBB179_43
; %bb.40:
	v_or_b32_e32 v11, v2, v0
	v_cmp_gt_u32_e32 vcc, 32, v11
	s_and_saveexec_b64 s[14:15], vcc
	s_cbranch_execz .LBB179_42
; %bb.41:
	v_mov_b32_e32 v11, 0
	v_lshlrev_b32_e32 v15, 4, v22
	v_mov_b32_e32 v12, v11
	v_mov_b32_e32 v13, v11
	;; [unrolled: 1-line block ×3, first 2 shown]
	ds_write_b128 v15, v[11:14]
.LBB179_42:
	s_or_b64 exec, exec, s[14:15]
                                        ; implicit-def: $vgpr22
                                        ; implicit-def: $vgpr11_vgpr12
.LBB179_43:
	s_andn2_saveexec_b64 s[12:13], s[12:13]
	s_cbranch_execz .LBB179_49
; %bb.44:
	v_lshlrev_b64 v[11:12], 4, v[11:12]
	v_mov_b32_e32 v13, s62
	v_add_co_u32_e32 v11, vcc, s94, v11
	v_addc_co_u32_e32 v12, vcc, v13, v12, vcc
	flat_load_dwordx4 v[11:14], v[11:12]
                                        ; implicit-def: $vgpr15_vgpr16
	s_waitcnt vmcnt(0) lgkmcnt(0)
	v_cmp_ngt_f64_e64 s[14:15], |v[11:12]|, |v[13:14]|
	s_and_saveexec_b64 s[16:17], s[14:15]
	s_xor_b64 s[14:15], exec, s[16:17]
	s_cbranch_execz .LBB179_46
; %bb.45:
	v_div_scale_f64 v[15:16], s[16:17], v[13:14], v[13:14], v[11:12]
	v_rcp_f64_e32 v[17:18], v[15:16]
	v_fma_f64 v[23:24], -v[15:16], v[17:18], 1.0
	v_fma_f64 v[17:18], v[17:18], v[23:24], v[17:18]
	v_div_scale_f64 v[23:24], vcc, v[11:12], v[13:14], v[11:12]
	v_fma_f64 v[25:26], -v[15:16], v[17:18], 1.0
	v_fma_f64 v[17:18], v[17:18], v[25:26], v[17:18]
	v_mul_f64 v[25:26], v[23:24], v[17:18]
	v_fma_f64 v[15:16], -v[15:16], v[25:26], v[23:24]
	v_div_fmas_f64 v[15:16], v[15:16], v[17:18], v[25:26]
	v_div_fixup_f64 v[15:16], v[15:16], v[13:14], v[11:12]
	v_fma_f64 v[11:12], v[11:12], v[15:16], v[13:14]
	v_div_scale_f64 v[13:14], s[16:17], v[11:12], v[11:12], 1.0
	v_div_scale_f64 v[25:26], vcc, 1.0, v[11:12], 1.0
	v_rcp_f64_e32 v[17:18], v[13:14]
	v_fma_f64 v[23:24], -v[13:14], v[17:18], 1.0
	v_fma_f64 v[17:18], v[17:18], v[23:24], v[17:18]
	v_fma_f64 v[23:24], -v[13:14], v[17:18], 1.0
	v_fma_f64 v[17:18], v[17:18], v[23:24], v[17:18]
	v_mul_f64 v[23:24], v[25:26], v[17:18]
	v_fma_f64 v[13:14], -v[13:14], v[23:24], v[25:26]
	v_div_fmas_f64 v[13:14], v[13:14], v[17:18], v[23:24]
	v_div_fixup_f64 v[17:18], v[13:14], v[11:12], 1.0
                                        ; implicit-def: $vgpr11_vgpr12
	v_mul_f64 v[15:16], v[15:16], v[17:18]
	v_xor_b32_e32 v18, 0x80000000, v18
.LBB179_46:
	s_andn2_saveexec_b64 s[14:15], s[14:15]
	s_cbranch_execz .LBB179_48
; %bb.47:
	v_div_scale_f64 v[15:16], s[16:17], v[11:12], v[11:12], v[13:14]
	v_rcp_f64_e32 v[17:18], v[15:16]
	v_fma_f64 v[23:24], -v[15:16], v[17:18], 1.0
	v_fma_f64 v[17:18], v[17:18], v[23:24], v[17:18]
	v_div_scale_f64 v[23:24], vcc, v[13:14], v[11:12], v[13:14]
	v_fma_f64 v[25:26], -v[15:16], v[17:18], 1.0
	v_fma_f64 v[17:18], v[17:18], v[25:26], v[17:18]
	v_mul_f64 v[25:26], v[23:24], v[17:18]
	v_fma_f64 v[15:16], -v[15:16], v[25:26], v[23:24]
	v_div_fmas_f64 v[15:16], v[15:16], v[17:18], v[25:26]
	v_div_fixup_f64 v[17:18], v[15:16], v[11:12], v[13:14]
	v_fma_f64 v[11:12], v[13:14], v[17:18], v[11:12]
	v_div_scale_f64 v[13:14], s[16:17], v[11:12], v[11:12], 1.0
	v_div_scale_f64 v[25:26], vcc, 1.0, v[11:12], 1.0
	v_rcp_f64_e32 v[15:16], v[13:14]
	v_fma_f64 v[23:24], -v[13:14], v[15:16], 1.0
	v_fma_f64 v[15:16], v[15:16], v[23:24], v[15:16]
	v_fma_f64 v[23:24], -v[13:14], v[15:16], 1.0
	v_fma_f64 v[15:16], v[15:16], v[23:24], v[15:16]
	v_mul_f64 v[23:24], v[25:26], v[15:16]
	v_fma_f64 v[13:14], -v[13:14], v[23:24], v[25:26]
	v_div_fmas_f64 v[13:14], v[13:14], v[15:16], v[23:24]
	v_div_fixup_f64 v[15:16], v[13:14], v[11:12], 1.0
	v_mul_f64 v[17:18], v[17:18], -v[15:16]
.LBB179_48:
	s_or_b64 exec, exec, s[14:15]
	v_lshlrev_b32_e32 v11, 4, v22
	ds_write_b128 v11, v[15:18]
.LBB179_49:
	s_or_b64 exec, exec, s[12:13]
                                        ; implicit-def: $vgpr11_vgpr12
                                        ; implicit-def: $vgpr22
.LBB179_50:
	s_andn2_saveexec_b64 s[8:9], s[8:9]
	s_cbranch_execz .LBB179_52
; %bb.51:
	v_lshlrev_b64 v[11:12], 4, v[11:12]
	v_mov_b32_e32 v13, s62
	v_add_co_u32_e32 v11, vcc, s94, v11
	v_addc_co_u32_e32 v12, vcc, v13, v12, vcc
	flat_load_dwordx4 v[11:14], v[11:12]
	v_lshlrev_b32_e32 v15, 4, v22
	s_waitcnt vmcnt(0) lgkmcnt(0)
	v_xor_b32_e32 v12, 0x80000000, v12
	v_xor_b32_e32 v14, 0x80000000, v14
	ds_write_b128 v15, v[11:14]
.LBB179_52:
	s_or_b64 exec, exec, s[8:9]
	v_add_u32_e32 v13, 16, v2
	v_mad_u64_u32 v[11:12], s[8:9], s36, v13, v[19:20]
	v_add_u32_e32 v16, v13, v21
	v_cmp_gt_u32_e32 vcc, v0, v13
	v_mad_u64_u32 v[14:15], s[8:9], s37, v13, v[12:13]
	v_lshl_add_u32 v12, v13, 5, v0
	v_cndmask_b32_e64 v19, v12, v16, s[0:1]
	v_cmp_gt_i32_e64 s[0:1], s95, v13
	s_and_b64 s[0:1], vcc, s[0:1]
	s_and_b64 s[0:1], s[2:3], s[0:1]
	v_mov_b32_e32 v12, v14
	s_xor_b64 s[0:1], s[0:1], -1
	s_and_saveexec_b64 s[8:9], s[0:1]
	s_xor_b64 s[0:1], exec, s[8:9]
	s_cbranch_execz .LBB179_64
; %bb.53:
	v_cmp_ne_u32_e32 vcc, v0, v13
	s_xor_b64 s[2:3], s[2:3], -1
	s_or_b64 s[2:3], s[2:3], vcc
	s_and_saveexec_b64 s[8:9], s[2:3]
	s_xor_b64 s[2:3], exec, s[8:9]
	s_cbranch_execz .LBB179_57
; %bb.54:
	v_or_b32_e32 v11, v13, v0
	v_cmp_gt_u32_e32 vcc, 32, v11
	s_and_saveexec_b64 s[8:9], vcc
	s_cbranch_execz .LBB179_56
; %bb.55:
	v_mov_b32_e32 v11, 0
	v_lshlrev_b32_e32 v15, 4, v19
	v_mov_b32_e32 v12, v11
	v_mov_b32_e32 v13, v11
	;; [unrolled: 1-line block ×3, first 2 shown]
	ds_write_b128 v15, v[11:14]
.LBB179_56:
	s_or_b64 exec, exec, s[8:9]
                                        ; implicit-def: $vgpr19
                                        ; implicit-def: $vgpr11_vgpr12
.LBB179_57:
	s_andn2_saveexec_b64 s[2:3], s[2:3]
	s_cbranch_execz .LBB179_63
; %bb.58:
	v_lshlrev_b64 v[11:12], 4, v[11:12]
	v_mov_b32_e32 v13, s62
	v_add_co_u32_e32 v11, vcc, s94, v11
	v_addc_co_u32_e32 v12, vcc, v13, v12, vcc
	flat_load_dwordx4 v[11:14], v[11:12]
                                        ; implicit-def: $vgpr15_vgpr16
	s_waitcnt vmcnt(0) lgkmcnt(0)
	v_cmp_ngt_f64_e64 s[8:9], |v[11:12]|, |v[13:14]|
	s_and_saveexec_b64 s[12:13], s[8:9]
	s_xor_b64 s[8:9], exec, s[12:13]
	s_cbranch_execz .LBB179_60
; %bb.59:
	v_div_scale_f64 v[15:16], s[12:13], v[13:14], v[13:14], v[11:12]
	v_rcp_f64_e32 v[17:18], v[15:16]
	v_fma_f64 v[20:21], -v[15:16], v[17:18], 1.0
	v_fma_f64 v[17:18], v[17:18], v[20:21], v[17:18]
	v_div_scale_f64 v[20:21], vcc, v[11:12], v[13:14], v[11:12]
	v_fma_f64 v[22:23], -v[15:16], v[17:18], 1.0
	v_fma_f64 v[17:18], v[17:18], v[22:23], v[17:18]
	v_mul_f64 v[22:23], v[20:21], v[17:18]
	v_fma_f64 v[15:16], -v[15:16], v[22:23], v[20:21]
	v_div_fmas_f64 v[15:16], v[15:16], v[17:18], v[22:23]
	v_div_fixup_f64 v[15:16], v[15:16], v[13:14], v[11:12]
	v_fma_f64 v[11:12], v[11:12], v[15:16], v[13:14]
	v_div_scale_f64 v[13:14], s[12:13], v[11:12], v[11:12], 1.0
	v_div_scale_f64 v[22:23], vcc, 1.0, v[11:12], 1.0
	v_rcp_f64_e32 v[17:18], v[13:14]
	v_fma_f64 v[20:21], -v[13:14], v[17:18], 1.0
	v_fma_f64 v[17:18], v[17:18], v[20:21], v[17:18]
	v_fma_f64 v[20:21], -v[13:14], v[17:18], 1.0
	v_fma_f64 v[17:18], v[17:18], v[20:21], v[17:18]
	v_mul_f64 v[20:21], v[22:23], v[17:18]
	v_fma_f64 v[13:14], -v[13:14], v[20:21], v[22:23]
	v_div_fmas_f64 v[13:14], v[13:14], v[17:18], v[20:21]
	v_div_fixup_f64 v[17:18], v[13:14], v[11:12], 1.0
                                        ; implicit-def: $vgpr11_vgpr12
	v_mul_f64 v[15:16], v[15:16], v[17:18]
	v_xor_b32_e32 v18, 0x80000000, v18
.LBB179_60:
	s_andn2_saveexec_b64 s[8:9], s[8:9]
	s_cbranch_execz .LBB179_62
; %bb.61:
	v_div_scale_f64 v[15:16], s[12:13], v[11:12], v[11:12], v[13:14]
	v_rcp_f64_e32 v[17:18], v[15:16]
	v_fma_f64 v[20:21], -v[15:16], v[17:18], 1.0
	v_fma_f64 v[17:18], v[17:18], v[20:21], v[17:18]
	v_div_scale_f64 v[20:21], vcc, v[13:14], v[11:12], v[13:14]
	v_fma_f64 v[22:23], -v[15:16], v[17:18], 1.0
	v_fma_f64 v[17:18], v[17:18], v[22:23], v[17:18]
	v_mul_f64 v[22:23], v[20:21], v[17:18]
	v_fma_f64 v[15:16], -v[15:16], v[22:23], v[20:21]
	v_div_fmas_f64 v[15:16], v[15:16], v[17:18], v[22:23]
	v_div_fixup_f64 v[17:18], v[15:16], v[11:12], v[13:14]
	v_fma_f64 v[11:12], v[13:14], v[17:18], v[11:12]
	v_div_scale_f64 v[13:14], s[12:13], v[11:12], v[11:12], 1.0
	v_div_scale_f64 v[22:23], vcc, 1.0, v[11:12], 1.0
	v_rcp_f64_e32 v[15:16], v[13:14]
	v_fma_f64 v[20:21], -v[13:14], v[15:16], 1.0
	v_fma_f64 v[15:16], v[15:16], v[20:21], v[15:16]
	v_fma_f64 v[20:21], -v[13:14], v[15:16], 1.0
	v_fma_f64 v[15:16], v[15:16], v[20:21], v[15:16]
	v_mul_f64 v[20:21], v[22:23], v[15:16]
	v_fma_f64 v[13:14], -v[13:14], v[20:21], v[22:23]
	v_div_fmas_f64 v[13:14], v[13:14], v[15:16], v[20:21]
	v_div_fixup_f64 v[15:16], v[13:14], v[11:12], 1.0
	v_mul_f64 v[17:18], v[17:18], -v[15:16]
.LBB179_62:
	s_or_b64 exec, exec, s[8:9]
	v_lshlrev_b32_e32 v11, 4, v19
	ds_write_b128 v11, v[15:18]
.LBB179_63:
	s_or_b64 exec, exec, s[2:3]
                                        ; implicit-def: $vgpr11_vgpr12
                                        ; implicit-def: $vgpr19
.LBB179_64:
	s_andn2_saveexec_b64 s[0:1], s[0:1]
	s_cbranch_execz .LBB179_66
; %bb.65:
	v_lshlrev_b64 v[11:12], 4, v[11:12]
	v_mov_b32_e32 v13, s62
	v_add_co_u32_e32 v11, vcc, s94, v11
	v_addc_co_u32_e32 v12, vcc, v13, v12, vcc
	flat_load_dwordx4 v[11:14], v[11:12]
	v_lshlrev_b32_e32 v15, 4, v19
	s_waitcnt vmcnt(0) lgkmcnt(0)
	v_xor_b32_e32 v12, 0x80000000, v12
	v_xor_b32_e32 v14, 0x80000000, v14
	ds_write_b128 v15, v[11:14]
.LBB179_66:
	s_or_b64 exec, exec, s[0:1]
.LBB179_67:
	v_cndmask_b32_e64 v11, 0, 1, s[10:11]
	v_cmp_ne_u32_e64 s[48:49], 1, v11
	s_andn2_b64 vcc, exec, s[10:11]
	s_waitcnt vmcnt(0) lgkmcnt(0)
	s_barrier
	s_cbranch_vccnz .LBB179_491
; %bb.68:
	v_or_b32_e32 v11, v0, v2
	v_cmp_eq_u32_e32 vcc, 0, v11
	s_and_saveexec_b64 s[2:3], vcc
	s_cbranch_execz .LBB179_70
; %bb.69:
	v_mov_b32_e32 v25, 0
	ds_read_b128 v[11:14], v25 offset:528
	ds_read_b128 v[15:18], v25
	ds_read_b128 v[19:22], v25 offset:16
	s_waitcnt lgkmcnt(1)
	v_mul_f64 v[23:24], v[11:12], v[17:18]
	v_mul_f64 v[17:18], v[13:14], v[17:18]
	v_fma_f64 v[13:14], v[13:14], v[15:16], v[23:24]
	v_fma_f64 v[11:12], v[11:12], v[15:16], -v[17:18]
	s_waitcnt lgkmcnt(0)
	v_mul_f64 v[15:16], v[13:14], v[21:22]
	v_mul_f64 v[17:18], v[11:12], v[21:22]
	v_fma_f64 v[11:12], v[19:20], v[11:12], -v[15:16]
	v_fma_f64 v[13:14], v[19:20], v[13:14], v[17:18]
	ds_write_b128 v25, v[11:14] offset:16
	ds_write_b128 v25, v[11:14] offset:512
.LBB179_70:
	s_or_b64 exec, exec, s[2:3]
	v_and_b32_e32 v18, 1, v0
	v_lshrrev_b32_e32 v17, 1, v1
	v_lshlrev_b32_e32 v15, 4, v18
	v_mov_b32_e32 v13, 0
	v_mov_b32_e32 v11, 0
	v_cmp_lt_u32_e64 s[8:9], 3, v1
	v_cmp_gt_u32_e64 s[2:3], 4, v1
	v_mov_b32_e32 v14, 0
	v_mov_b32_e32 v12, 0
	v_lshl_or_b32 v15, v17, 9, v15
	s_waitcnt lgkmcnt(0)
	s_barrier
	s_and_saveexec_b64 s[12:13], s[2:3]
	s_cbranch_execz .LBB179_74
; %bb.71:
	v_mul_u32_u24_e32 v11, 0x210, v17
	ds_read_b128 v[11:14], v11
	ds_read_b128 v[19:22], v15 offset:32
	v_cmp_gt_u32_e64 s[10:11], 2, v1
	s_waitcnt lgkmcnt(0)
	v_mul_f64 v[23:24], v[13:14], v[21:22]
	v_mul_f64 v[21:22], v[11:12], v[21:22]
	v_fma_f64 v[11:12], v[11:12], v[19:20], -v[23:24]
	v_fma_f64 v[13:14], v[13:14], v[19:20], v[21:22]
	v_add_f64 v[11:12], v[11:12], 0
	v_add_f64 v[13:14], v[13:14], 0
	s_and_saveexec_b64 s[14:15], s[10:11]
	s_cbranch_execz .LBB179_73
; %bb.72:
	v_mov_b32_e32 v19, 0
	v_lshlrev_b32_e32 v16, 4, v0
	ds_read_b128 v[19:22], v19 offset:16
	ds_read_b128 v[23:26], v16 offset:544
	s_waitcnt lgkmcnt(0)
	v_mul_f64 v[27:28], v[21:22], v[25:26]
	v_mul_f64 v[25:26], v[19:20], v[25:26]
	v_fma_f64 v[19:20], v[19:20], v[23:24], -v[27:28]
	v_fma_f64 v[21:22], v[21:22], v[23:24], v[25:26]
	v_add_f64 v[11:12], v[11:12], v[19:20]
	v_add_f64 v[13:14], v[13:14], v[21:22]
.LBB179_73:
	s_or_b64 exec, exec, s[14:15]
	v_xor_b32_e32 v12, 0x80000000, v12
	v_xor_b32_e32 v14, 0x80000000, v14
.LBB179_74:
                                        ; implicit-def: $vgpr43 : SGPR spill to VGPR lane
	v_writelane_b32 v43, s42, 0
	s_or_b64 exec, exec, s[12:13]
	v_mov_b32_e32 v16, 0x4000
	v_cmp_eq_u32_e64 s[10:11], 0, v18
	s_xor_b64 s[12:13], s[8:9], -1
	v_lshl_add_u32 v16, v17, 4, v16
	s_and_b64 s[42:43], s[10:11], s[12:13]
	s_and_saveexec_b64 s[8:9], s[42:43]
	s_cbranch_execz .LBB179_76
; %bb.75:
	v_mov_b32_e32 v19, 0
	ds_read_b128 v[19:22], v19 offset:1056
	s_waitcnt lgkmcnt(0)
	v_mul_f64 v[23:24], v[13:14], v[21:22]
	v_mul_f64 v[21:22], v[11:12], v[21:22]
	v_fma_f64 v[11:12], v[11:12], v[19:20], -v[23:24]
	v_fma_f64 v[13:14], v[13:14], v[19:20], v[21:22]
	ds_write_b128 v16, v[11:14]
.LBB179_76:
	s_or_b64 exec, exec, s[8:9]
	v_cmp_ne_u32_e64 s[8:9], 0, v18
	s_and_b64 s[40:41], s[8:9], s[12:13]
	s_waitcnt lgkmcnt(0)
	s_barrier
	s_and_saveexec_b64 s[8:9], s[40:41]
	s_cbranch_execz .LBB179_78
; %bb.77:
	v_mov_b32_e32 v22, 0
	ds_read_b128 v[18:21], v16
	ds_read_b128 v[22:25], v22 offset:1072
	s_waitcnt lgkmcnt(0)
	v_mul_f64 v[26:27], v[20:21], v[24:25]
	v_mul_f64 v[24:25], v[18:19], v[24:25]
	v_fma_f64 v[18:19], v[18:19], v[22:23], -v[26:27]
	v_fma_f64 v[20:21], v[20:21], v[22:23], v[24:25]
	v_add_f64 v[11:12], v[11:12], v[18:19]
	v_add_f64 v[13:14], v[13:14], v[20:21]
.LBB179_78:
	s_or_b64 exec, exec, s[8:9]
	s_barrier
	s_and_saveexec_b64 s[8:9], s[40:41]
	s_cbranch_execz .LBB179_80
; %bb.79:
	v_mov_b32_e32 v18, 0
	ds_read_b128 v[18:21], v18 offset:1584
	s_waitcnt lgkmcnt(0)
	v_mul_f64 v[22:23], v[13:14], v[20:21]
	v_mul_f64 v[20:21], v[11:12], v[20:21]
	v_fma_f64 v[11:12], v[11:12], v[18:19], -v[22:23]
	v_fma_f64 v[13:14], v[13:14], v[18:19], v[20:21]
	ds_write_b128 v16, v[11:14]
.LBB179_80:
	s_or_b64 exec, exec, s[8:9]
	s_waitcnt lgkmcnt(0)
	s_barrier
	s_barrier
	s_and_saveexec_b64 s[8:9], s[2:3]
; %bb.81:
	v_xor_b32_e32 v12, 0x80000000, v12
	v_xor_b32_e32 v14, 0x80000000, v14
	ds_write_b128 v15, v[11:14] offset:32
; %bb.82:
	s_or_b64 exec, exec, s[8:9]
	v_cmp_eq_u32_e64 s[10:11], 0, v2
	v_cmp_gt_u32_e64 s[8:9], 2, v0
	s_and_b64 s[44:45], s[10:11], s[8:9]
	s_waitcnt lgkmcnt(0)
	s_barrier
	s_barrier
	s_and_saveexec_b64 s[8:9], s[44:45]
	s_cbranch_execz .LBB179_84
; %bb.83:
	v_lshlrev_b32_e32 v18, 9, v0
	ds_read_b128 v[11:14], v18 offset:32
	s_movk_i32 s0, 0xfe10
	v_mad_i32_i24 v19, v0, s0, v18
	s_waitcnt lgkmcnt(0)
	ds_write_b128 v19, v[11:14] offset:1024
	ds_read_b128 v[11:14], v18 offset:48
	s_waitcnt lgkmcnt(0)
	ds_write_b128 v19, v[11:14] offset:1536
.LBB179_84:
	s_or_b64 exec, exec, s[8:9]
	s_waitcnt lgkmcnt(0)
	s_barrier
	s_and_saveexec_b64 s[8:9], vcc
	s_cbranch_execz .LBB179_86
; %bb.85:
	v_mov_b32_e32 v28, 0
	ds_read_b128 v[11:14], v28 offset:1584
	ds_read_b128 v[18:21], v28 offset:1056
	;; [unrolled: 1-line block ×3, first 2 shown]
	s_waitcnt lgkmcnt(1)
	v_mul_f64 v[26:27], v[11:12], v[20:21]
	v_mul_f64 v[20:21], v[13:14], v[20:21]
	v_fma_f64 v[13:14], v[13:14], v[18:19], v[26:27]
	v_fma_f64 v[11:12], v[11:12], v[18:19], -v[20:21]
	s_waitcnt lgkmcnt(0)
	v_mul_f64 v[18:19], v[13:14], v[24:25]
	v_mul_f64 v[20:21], v[11:12], v[24:25]
	v_fma_f64 v[11:12], v[22:23], v[11:12], -v[18:19]
	v_fma_f64 v[13:14], v[22:23], v[13:14], v[20:21]
	ds_write_b128 v28, v[11:14] offset:1072
	ds_write_b128 v28, v[11:14] offset:1568
.LBB179_86:
	s_or_b64 exec, exec, s[8:9]
	v_and_b32_e32 v21, 3, v0
	v_lshrrev_b32_e32 v22, 2, v1
	v_lshlrev_b32_e32 v19, 4, v21
	v_mov_b32_e32 v13, 0
	v_mov_b32_e32 v11, 0
	v_cmp_lt_u32_e64 s[8:9], 15, v1
	v_cmp_gt_u32_e64 s[16:17], 16, v1
	v_mov_b32_e32 v14, 0
	v_mov_b32_e32 v12, 0
	v_lshl_or_b32 v18, v22, 9, v19
	s_waitcnt lgkmcnt(0)
	s_barrier
	s_and_saveexec_b64 s[14:15], s[16:17]
	s_cbranch_execz .LBB179_92
; %bb.87:
	v_mul_u32_u24_e32 v20, 0x210, v22
	ds_read_b128 v[11:14], v20
	ds_read_b128 v[23:26], v18 offset:64
	v_cmp_gt_u32_e64 s[12:13], 12, v1
	s_waitcnt lgkmcnt(0)
	v_mul_f64 v[27:28], v[13:14], v[25:26]
	v_mul_f64 v[25:26], v[11:12], v[25:26]
	v_fma_f64 v[11:12], v[11:12], v[23:24], -v[27:28]
	v_fma_f64 v[13:14], v[13:14], v[23:24], v[25:26]
	v_add_f64 v[11:12], v[11:12], 0
	v_add_f64 v[13:14], v[13:14], 0
	s_and_saveexec_b64 s[18:19], s[12:13]
	s_cbranch_execnz .LBB179_550
; %bb.88:
	s_or_b64 exec, exec, s[18:19]
	v_cmp_gt_u32_e64 s[12:13], 8, v1
	s_and_saveexec_b64 s[18:19], s[12:13]
	s_cbranch_execnz .LBB179_551
.LBB179_89:
	s_or_b64 exec, exec, s[18:19]
	v_cmp_gt_u32_e64 s[12:13], 4, v1
	s_and_saveexec_b64 s[18:19], s[12:13]
	s_cbranch_execz .LBB179_91
.LBB179_90:
	v_mov_b32_e32 v23, 0
	v_lshlrev_b32_e32 v20, 4, v0
	ds_read_b128 v[23:26], v23 offset:48
	ds_read_b128 v[27:30], v20 offset:1600
	s_waitcnt lgkmcnt(0)
	v_mul_f64 v[31:32], v[25:26], v[29:30]
	v_mul_f64 v[29:30], v[23:24], v[29:30]
	v_fma_f64 v[23:24], v[23:24], v[27:28], -v[31:32]
	v_fma_f64 v[25:26], v[25:26], v[27:28], v[29:30]
	v_add_f64 v[11:12], v[11:12], v[23:24]
	v_add_f64 v[13:14], v[13:14], v[25:26]
.LBB179_91:
	s_or_b64 exec, exec, s[18:19]
	v_xor_b32_e32 v12, 0x80000000, v12
	v_xor_b32_e32 v14, 0x80000000, v14
.LBB179_92:
	v_writelane_b32 v43, s48, 1
	v_writelane_b32 v43, s49, 2
	s_or_b64 exec, exec, s[14:15]
	v_mov_b32_e32 v20, 0x4000
	v_cmp_eq_u32_e64 s[12:13], 0, v21
	s_xor_b64 s[14:15], s[8:9], -1
	v_lshl_add_u32 v20, v22, 4, v20
	s_and_b64 s[48:49], s[12:13], s[14:15]
	s_and_saveexec_b64 s[8:9], s[48:49]
	s_cbranch_execz .LBB179_94
; %bb.93:
	v_mov_b32_e32 v23, 0
	ds_read_b128 v[23:26], v23 offset:2112
	s_waitcnt lgkmcnt(0)
	v_mul_f64 v[27:28], v[13:14], v[25:26]
	v_mul_f64 v[25:26], v[11:12], v[25:26]
	v_fma_f64 v[11:12], v[11:12], v[23:24], -v[27:28]
	v_fma_f64 v[13:14], v[13:14], v[23:24], v[25:26]
	ds_write_b128 v20, v[11:14]
.LBB179_94:
	s_or_b64 exec, exec, s[8:9]
	v_cmp_ne_u32_e64 s[8:9], 0, v21
	s_and_b64 s[50:51], s[8:9], s[14:15]
	s_waitcnt lgkmcnt(0)
	s_barrier
	s_and_saveexec_b64 s[8:9], s[50:51]
	s_cbranch_execz .LBB179_96
; %bb.95:
	ds_read_b128 v[23:26], v20
	ds_read_b128 v[27:30], v19 offset:2112
	s_waitcnt lgkmcnt(0)
	v_mul_f64 v[31:32], v[25:26], v[29:30]
	v_mul_f64 v[29:30], v[23:24], v[29:30]
	v_fma_f64 v[23:24], v[23:24], v[27:28], -v[31:32]
	v_fma_f64 v[25:26], v[25:26], v[27:28], v[29:30]
	v_add_f64 v[11:12], v[11:12], v[23:24]
	v_add_f64 v[13:14], v[13:14], v[25:26]
.LBB179_96:
	s_or_b64 exec, exec, s[8:9]
	v_cmp_eq_u32_e64 s[8:9], 1, v21
	s_and_b64 s[52:53], s[8:9], s[14:15]
	s_barrier
	s_and_saveexec_b64 s[8:9], s[52:53]
	s_cbranch_execz .LBB179_98
; %bb.97:
	v_mov_b32_e32 v23, 0
	ds_read_b128 v[23:26], v23 offset:2640
	s_waitcnt lgkmcnt(0)
	v_mul_f64 v[27:28], v[13:14], v[25:26]
	v_mul_f64 v[25:26], v[11:12], v[25:26]
	v_fma_f64 v[11:12], v[11:12], v[23:24], -v[27:28]
	v_fma_f64 v[13:14], v[13:14], v[23:24], v[25:26]
	ds_write_b128 v20, v[11:14]
.LBB179_98:
	s_or_b64 exec, exec, s[8:9]
	v_cmp_lt_u32_e64 s[8:9], 1, v21
	s_and_b64 s[54:55], s[8:9], s[14:15]
	s_waitcnt lgkmcnt(0)
	s_barrier
	s_and_saveexec_b64 s[8:9], s[54:55]
	s_cbranch_execz .LBB179_100
; %bb.99:
	ds_read_b128 v[23:26], v20
	ds_read_b128 v[27:30], v19 offset:2624
	s_waitcnt lgkmcnt(0)
	v_mul_f64 v[31:32], v[25:26], v[29:30]
	v_mul_f64 v[29:30], v[23:24], v[29:30]
	v_fma_f64 v[23:24], v[23:24], v[27:28], -v[31:32]
	v_fma_f64 v[25:26], v[25:26], v[27:28], v[29:30]
	v_add_f64 v[11:12], v[11:12], v[23:24]
	v_add_f64 v[13:14], v[13:14], v[25:26]
.LBB179_100:
	s_or_b64 exec, exec, s[8:9]
	v_cmp_eq_u32_e64 s[8:9], 2, v21
	s_and_b64 s[56:57], s[8:9], s[14:15]
	s_barrier
	s_and_saveexec_b64 s[8:9], s[56:57]
	s_cbranch_execz .LBB179_102
; %bb.101:
	v_mov_b32_e32 v23, 0
	ds_read_b128 v[23:26], v23 offset:3168
	s_waitcnt lgkmcnt(0)
	v_mul_f64 v[27:28], v[13:14], v[25:26]
	v_mul_f64 v[25:26], v[11:12], v[25:26]
	v_fma_f64 v[11:12], v[11:12], v[23:24], -v[27:28]
	v_fma_f64 v[13:14], v[13:14], v[23:24], v[25:26]
	ds_write_b128 v20, v[11:14]
.LBB179_102:
	s_or_b64 exec, exec, s[8:9]
	v_cmp_eq_u32_e64 s[8:9], 3, v21
	s_and_b64 s[46:47], s[8:9], s[14:15]
	s_waitcnt lgkmcnt(0)
	s_barrier
	s_and_saveexec_b64 s[8:9], s[46:47]
	s_cbranch_execz .LBB179_104
; %bb.103:
	v_mov_b32_e32 v27, 0
	ds_read_b128 v[23:26], v20
	ds_read_b128 v[27:30], v27 offset:3184
	s_waitcnt lgkmcnt(0)
	v_mul_f64 v[31:32], v[25:26], v[29:30]
	v_mul_f64 v[29:30], v[23:24], v[29:30]
	v_fma_f64 v[23:24], v[23:24], v[27:28], -v[31:32]
	v_fma_f64 v[25:26], v[25:26], v[27:28], v[29:30]
	v_add_f64 v[11:12], v[11:12], v[23:24]
	v_add_f64 v[13:14], v[13:14], v[25:26]
.LBB179_104:
	s_or_b64 exec, exec, s[8:9]
	s_barrier
	s_and_saveexec_b64 s[8:9], s[46:47]
	s_cbranch_execz .LBB179_106
; %bb.105:
	v_mov_b32_e32 v23, 0
	ds_read_b128 v[23:26], v23 offset:3696
	s_waitcnt lgkmcnt(0)
	v_mul_f64 v[27:28], v[13:14], v[25:26]
	v_mul_f64 v[25:26], v[11:12], v[25:26]
	v_fma_f64 v[11:12], v[11:12], v[23:24], -v[27:28]
	v_fma_f64 v[13:14], v[13:14], v[23:24], v[25:26]
	ds_write_b128 v20, v[11:14]
.LBB179_106:
	s_or_b64 exec, exec, s[8:9]
	s_waitcnt lgkmcnt(0)
	s_barrier
	s_barrier
	s_and_saveexec_b64 s[8:9], s[16:17]
; %bb.107:
	v_xor_b32_e32 v14, 0x80000000, v14
	v_xor_b32_e32 v12, 0x80000000, v12
	ds_write_b128 v18, v[11:14] offset:64
; %bb.108:
	s_or_b64 exec, exec, s[8:9]
	v_cmp_gt_u32_e64 s[8:9], 4, v0
	s_and_b64 s[58:59], s[10:11], s[8:9]
	s_waitcnt lgkmcnt(0)
	s_barrier
	s_barrier
	s_and_saveexec_b64 s[8:9], s[58:59]
	s_cbranch_execz .LBB179_110
; %bb.109:
	v_lshlrev_b32_e32 v23, 4, v0
	s_movk_i32 s0, 0x1f0
	v_mad_u32_u24 v24, v0, s0, v23
	ds_read_b128 v[11:14], v24 offset:64
	s_waitcnt lgkmcnt(0)
	ds_write_b128 v23, v[11:14] offset:2048
	ds_read_b128 v[11:14], v24 offset:80
	s_waitcnt lgkmcnt(0)
	ds_write_b128 v23, v[11:14] offset:2560
	;; [unrolled: 3-line block ×4, first 2 shown]
.LBB179_110:
	s_or_b64 exec, exec, s[8:9]
	s_waitcnt lgkmcnt(0)
	s_barrier
	s_and_saveexec_b64 s[8:9], vcc
	s_cbranch_execz .LBB179_112
; %bb.111:
	v_mov_b32_e32 v33, 0
	ds_read_b128 v[11:14], v33 offset:2640
	ds_read_b128 v[23:26], v33 offset:2112
	;; [unrolled: 1-line block ×3, first 2 shown]
	s_waitcnt lgkmcnt(1)
	v_mul_f64 v[31:32], v[11:12], v[25:26]
	v_mul_f64 v[25:26], v[13:14], v[25:26]
	v_fma_f64 v[13:14], v[13:14], v[23:24], v[31:32]
	v_fma_f64 v[11:12], v[11:12], v[23:24], -v[25:26]
	s_waitcnt lgkmcnt(0)
	v_mul_f64 v[23:24], v[13:14], v[29:30]
	v_mul_f64 v[25:26], v[11:12], v[29:30]
	v_fma_f64 v[11:12], v[27:28], v[11:12], -v[23:24]
	v_fma_f64 v[13:14], v[27:28], v[13:14], v[25:26]
	ds_write_b128 v33, v[11:14] offset:2128
	ds_write_b128 v33, v[11:14] offset:2624
.LBB179_112:
	s_or_b64 exec, exec, s[8:9]
	v_mov_b32_e32 v13, 0
	v_mov_b32_e32 v11, 0
	;; [unrolled: 1-line block ×4, first 2 shown]
	s_waitcnt lgkmcnt(0)
	s_barrier
	s_and_saveexec_b64 s[12:13], s[2:3]
	s_cbranch_execz .LBB179_116
; %bb.113:
	v_mul_u32_u24_e32 v11, 0x210, v17
	ds_read_b128 v[11:14], v11 offset:2112
	ds_read_b128 v[23:26], v15 offset:2144
	v_cmp_gt_u32_e64 s[8:9], 2, v1
	s_waitcnt lgkmcnt(0)
	v_mul_f64 v[27:28], v[13:14], v[25:26]
	v_mul_f64 v[25:26], v[11:12], v[25:26]
	v_fma_f64 v[11:12], v[11:12], v[23:24], -v[27:28]
	v_fma_f64 v[13:14], v[13:14], v[23:24], v[25:26]
	v_add_f64 v[11:12], v[11:12], 0
	v_add_f64 v[13:14], v[13:14], 0
	s_and_saveexec_b64 s[14:15], s[8:9]
	s_cbranch_execz .LBB179_115
; %bb.114:
	v_lshlrev_b32_e32 v27, 4, v0
	v_mov_b32_e32 v23, 0
	ds_read_b128 v[23:26], v23 offset:2128
	ds_read_b128 v[27:30], v27 offset:2656
	s_waitcnt lgkmcnt(0)
	v_mul_f64 v[31:32], v[25:26], v[29:30]
	v_mul_f64 v[29:30], v[23:24], v[29:30]
	v_fma_f64 v[23:24], v[23:24], v[27:28], -v[31:32]
	v_fma_f64 v[25:26], v[25:26], v[27:28], v[29:30]
	v_add_f64 v[11:12], v[11:12], v[23:24]
	v_add_f64 v[13:14], v[13:14], v[25:26]
.LBB179_115:
	s_or_b64 exec, exec, s[14:15]
	v_xor_b32_e32 v12, 0x80000000, v12
	v_xor_b32_e32 v14, 0x80000000, v14
.LBB179_116:
	s_or_b64 exec, exec, s[12:13]
	s_and_saveexec_b64 s[8:9], s[42:43]
	s_cbranch_execz .LBB179_118
; %bb.117:
	v_mov_b32_e32 v23, 0
	ds_read_b128 v[23:26], v23 offset:3168
	s_waitcnt lgkmcnt(0)
	v_mul_f64 v[27:28], v[13:14], v[25:26]
	v_mul_f64 v[25:26], v[11:12], v[25:26]
	v_fma_f64 v[11:12], v[11:12], v[23:24], -v[27:28]
	v_fma_f64 v[13:14], v[13:14], v[23:24], v[25:26]
	ds_write_b128 v16, v[11:14]
.LBB179_118:
	s_or_b64 exec, exec, s[8:9]
	s_waitcnt lgkmcnt(0)
	s_barrier
	s_and_saveexec_b64 s[8:9], s[40:41]
	s_cbranch_execz .LBB179_120
; %bb.119:
	v_mov_b32_e32 v27, 0
	ds_read_b128 v[23:26], v16
	ds_read_b128 v[27:30], v27 offset:3184
	s_waitcnt lgkmcnt(0)
	v_mul_f64 v[31:32], v[25:26], v[29:30]
	v_mul_f64 v[29:30], v[23:24], v[29:30]
	v_fma_f64 v[23:24], v[23:24], v[27:28], -v[31:32]
	v_fma_f64 v[25:26], v[25:26], v[27:28], v[29:30]
	v_add_f64 v[11:12], v[11:12], v[23:24]
	v_add_f64 v[13:14], v[13:14], v[25:26]
.LBB179_120:
	s_or_b64 exec, exec, s[8:9]
	s_barrier
	s_and_saveexec_b64 s[8:9], s[40:41]
	s_cbranch_execz .LBB179_122
; %bb.121:
	v_mov_b32_e32 v23, 0
	ds_read_b128 v[23:26], v23 offset:3696
	s_waitcnt lgkmcnt(0)
	v_mul_f64 v[27:28], v[13:14], v[25:26]
	v_mul_f64 v[25:26], v[11:12], v[25:26]
	v_fma_f64 v[11:12], v[11:12], v[23:24], -v[27:28]
	v_fma_f64 v[13:14], v[13:14], v[23:24], v[25:26]
	ds_write_b128 v16, v[11:14]
.LBB179_122:
	s_or_b64 exec, exec, s[8:9]
	s_waitcnt lgkmcnt(0)
	s_barrier
	s_barrier
	s_and_saveexec_b64 s[8:9], s[2:3]
; %bb.123:
	v_xor_b32_e32 v12, 0x80000000, v12
	v_xor_b32_e32 v14, 0x80000000, v14
	ds_write_b128 v15, v[11:14] offset:2144
; %bb.124:
	s_or_b64 exec, exec, s[8:9]
	s_waitcnt lgkmcnt(0)
	s_barrier
	s_barrier
	s_and_saveexec_b64 s[8:9], s[44:45]
	s_cbranch_execz .LBB179_126
; %bb.125:
	v_lshlrev_b32_e32 v23, 9, v0
	ds_read_b128 v[11:14], v23 offset:2144
	s_movk_i32 s0, 0xfe10
	v_mad_i32_i24 v24, v0, s0, v23
	s_waitcnt lgkmcnt(0)
	ds_write_b128 v24, v[11:14] offset:3136
	ds_read_b128 v[11:14], v23 offset:2160
	s_waitcnt lgkmcnt(0)
	ds_write_b128 v24, v[11:14] offset:3648
.LBB179_126:
	s_or_b64 exec, exec, s[8:9]
	s_waitcnt lgkmcnt(0)
	s_barrier
	s_and_saveexec_b64 s[8:9], vcc
	s_cbranch_execz .LBB179_128
; %bb.127:
	v_mov_b32_e32 v33, 0
	ds_read_b128 v[11:14], v33 offset:3696
	ds_read_b128 v[23:26], v33 offset:3168
	ds_read_b128 v[27:30], v33 offset:3184
	s_waitcnt lgkmcnt(1)
	v_mul_f64 v[31:32], v[11:12], v[25:26]
	v_mul_f64 v[25:26], v[13:14], v[25:26]
	v_fma_f64 v[13:14], v[13:14], v[23:24], v[31:32]
	v_fma_f64 v[11:12], v[11:12], v[23:24], -v[25:26]
	s_waitcnt lgkmcnt(0)
	v_mul_f64 v[23:24], v[13:14], v[29:30]
	v_mul_f64 v[25:26], v[11:12], v[29:30]
	v_fma_f64 v[11:12], v[27:28], v[11:12], -v[23:24]
	v_fma_f64 v[13:14], v[27:28], v[13:14], v[25:26]
	ds_write_b128 v33, v[11:14] offset:3184
	ds_write_b128 v33, v[11:14] offset:3680
.LBB179_128:
	s_or_b64 exec, exec, s[8:9]
	v_and_b32_e32 v26, 7, v0
	v_lshrrev_b32_e32 v27, 3, v1
	v_lshlrev_b32_e32 v24, 4, v26
	v_mov_b32_e32 v13, 0
	v_mov_b32_e32 v11, 0
	v_cmp_lt_u32_e64 s[12:13], 63, v1
	v_cmp_gt_u32_e64 s[8:9], 64, v1
	v_mov_b32_e32 v14, 0
	v_mov_b32_e32 v12, 0
	v_lshl_or_b32 v23, v27, 9, v24
	s_waitcnt lgkmcnt(0)
	s_barrier
	s_and_saveexec_b64 s[18:19], s[8:9]
	s_cbranch_execz .LBB179_138
; %bb.129:
	v_mul_u32_u24_e32 v25, 0x210, v27
	ds_read_b128 v[11:14], v25
	ds_read_b128 v[28:31], v23 offset:128
	v_cmp_gt_u32_e64 s[14:15], 56, v1
	s_waitcnt lgkmcnt(0)
	v_mul_f64 v[32:33], v[13:14], v[30:31]
	v_mul_f64 v[30:31], v[11:12], v[30:31]
	v_fma_f64 v[11:12], v[11:12], v[28:29], -v[32:33]
	v_fma_f64 v[13:14], v[13:14], v[28:29], v[30:31]
	v_add_f64 v[11:12], v[11:12], 0
	v_add_f64 v[13:14], v[13:14], 0
	s_and_saveexec_b64 s[60:61], s[14:15]
	s_cbranch_execnz .LBB179_552
; %bb.130:
	s_or_b64 exec, exec, s[60:61]
	v_cmp_gt_u32_e64 s[14:15], 48, v1
	s_and_saveexec_b64 s[60:61], s[14:15]
	s_cbranch_execnz .LBB179_553
.LBB179_131:
	s_or_b64 exec, exec, s[60:61]
	v_cmp_gt_u32_e64 s[14:15], 40, v1
	s_and_saveexec_b64 s[60:61], s[14:15]
	s_cbranch_execnz .LBB179_554
.LBB179_132:
	s_or_b64 exec, exec, s[60:61]
	v_cmp_gt_u32_e64 s[14:15], 32, v1
	s_and_saveexec_b64 s[60:61], s[14:15]
	s_cbranch_execnz .LBB179_555
.LBB179_133:
	s_or_b64 exec, exec, s[60:61]
	v_cmp_gt_u32_e64 s[14:15], 24, v1
	s_and_saveexec_b64 s[60:61], s[14:15]
	s_cbranch_execnz .LBB179_556
.LBB179_134:
	s_or_b64 exec, exec, s[60:61]
	v_cmp_gt_u32_e64 s[14:15], 16, v1
	s_and_saveexec_b64 s[60:61], s[14:15]
	s_cbranch_execnz .LBB179_557
.LBB179_135:
	s_or_b64 exec, exec, s[60:61]
	v_cmp_gt_u32_e64 s[14:15], 8, v1
	s_and_saveexec_b64 s[60:61], s[14:15]
	s_cbranch_execz .LBB179_137
.LBB179_136:
	v_mov_b32_e32 v28, 0
	v_lshlrev_b32_e32 v25, 4, v0
	ds_read_b128 v[28:31], v28 offset:112
	ds_read_b128 v[32:35], v25 offset:3712
	s_waitcnt lgkmcnt(0)
	v_mul_f64 v[36:37], v[30:31], v[34:35]
	v_mul_f64 v[34:35], v[28:29], v[34:35]
	v_fma_f64 v[28:29], v[28:29], v[32:33], -v[36:37]
	v_fma_f64 v[30:31], v[30:31], v[32:33], v[34:35]
	v_add_f64 v[11:12], v[11:12], v[28:29]
	v_add_f64 v[13:14], v[13:14], v[30:31]
.LBB179_137:
	s_or_b64 exec, exec, s[60:61]
	v_xor_b32_e32 v12, 0x80000000, v12
	v_xor_b32_e32 v14, 0x80000000, v14
.LBB179_138:
	s_or_b64 exec, exec, s[18:19]
	v_mov_b32_e32 v25, 0x4000
	v_cmp_eq_u32_e64 s[14:15], 0, v26
	s_xor_b64 s[18:19], s[12:13], -1
	v_lshl_add_u32 v25, v27, 4, v25
	s_and_b64 s[0:1], s[14:15], s[18:19]
	s_and_saveexec_b64 s[12:13], s[0:1]
	s_cbranch_execz .LBB179_140
; %bb.139:
	v_mov_b32_e32 v28, 0
	ds_read_b128 v[28:31], v28 offset:4224
	s_waitcnt lgkmcnt(0)
	v_mul_f64 v[32:33], v[13:14], v[30:31]
	v_mul_f64 v[30:31], v[11:12], v[30:31]
	v_fma_f64 v[11:12], v[11:12], v[28:29], -v[32:33]
	v_fma_f64 v[13:14], v[13:14], v[28:29], v[30:31]
	ds_write_b128 v25, v[11:14]
.LBB179_140:
	s_or_b64 exec, exec, s[12:13]
	v_cmp_ne_u32_e64 s[12:13], 0, v26
	s_and_b64 s[64:65], s[12:13], s[18:19]
	s_waitcnt lgkmcnt(0)
	s_barrier
	s_and_saveexec_b64 s[12:13], s[64:65]
	s_cbranch_execz .LBB179_142
; %bb.141:
	ds_read_b128 v[28:31], v25
	ds_read_b128 v[32:35], v24 offset:4224
	s_waitcnt lgkmcnt(0)
	v_mul_f64 v[36:37], v[30:31], v[34:35]
	v_mul_f64 v[34:35], v[28:29], v[34:35]
	v_fma_f64 v[28:29], v[28:29], v[32:33], -v[36:37]
	v_fma_f64 v[30:31], v[30:31], v[32:33], v[34:35]
	v_add_f64 v[11:12], v[11:12], v[28:29]
	v_add_f64 v[13:14], v[13:14], v[30:31]
.LBB179_142:
	s_or_b64 exec, exec, s[12:13]
	v_cmp_eq_u32_e64 s[12:13], 1, v26
	s_and_b64 s[66:67], s[12:13], s[18:19]
	s_barrier
	s_and_saveexec_b64 s[12:13], s[66:67]
	s_cbranch_execz .LBB179_144
; %bb.143:
	v_mov_b32_e32 v28, 0
	ds_read_b128 v[28:31], v28 offset:4752
	s_waitcnt lgkmcnt(0)
	v_mul_f64 v[32:33], v[13:14], v[30:31]
	v_mul_f64 v[30:31], v[11:12], v[30:31]
	v_fma_f64 v[11:12], v[11:12], v[28:29], -v[32:33]
	v_fma_f64 v[13:14], v[13:14], v[28:29], v[30:31]
	ds_write_b128 v25, v[11:14]
.LBB179_144:
	s_or_b64 exec, exec, s[12:13]
	v_cmp_lt_u32_e64 s[12:13], 1, v26
	s_and_b64 s[68:69], s[12:13], s[18:19]
	s_waitcnt lgkmcnt(0)
	s_barrier
	s_and_saveexec_b64 s[12:13], s[68:69]
	s_cbranch_execz .LBB179_146
; %bb.145:
	ds_read_b128 v[28:31], v25
	ds_read_b128 v[32:35], v24 offset:4736
	s_waitcnt lgkmcnt(0)
	v_mul_f64 v[36:37], v[30:31], v[34:35]
	v_mul_f64 v[34:35], v[28:29], v[34:35]
	v_fma_f64 v[28:29], v[28:29], v[32:33], -v[36:37]
	v_fma_f64 v[30:31], v[30:31], v[32:33], v[34:35]
	v_add_f64 v[11:12], v[11:12], v[28:29]
	v_add_f64 v[13:14], v[13:14], v[30:31]
.LBB179_146:
	s_or_b64 exec, exec, s[12:13]
	v_cmp_eq_u32_e64 s[12:13], 2, v26
	s_and_b64 s[70:71], s[12:13], s[18:19]
	s_barrier
	s_and_saveexec_b64 s[12:13], s[70:71]
	s_cbranch_execz .LBB179_148
; %bb.147:
	v_mov_b32_e32 v28, 0
	ds_read_b128 v[28:31], v28 offset:5280
	s_waitcnt lgkmcnt(0)
	v_mul_f64 v[32:33], v[13:14], v[30:31]
	v_mul_f64 v[30:31], v[11:12], v[30:31]
	v_fma_f64 v[11:12], v[11:12], v[28:29], -v[32:33]
	v_fma_f64 v[13:14], v[13:14], v[28:29], v[30:31]
	ds_write_b128 v25, v[11:14]
.LBB179_148:
	s_or_b64 exec, exec, s[12:13]
	v_cmp_lt_u32_e64 s[12:13], 2, v26
	;; [unrolled: 34-line block ×5, first 2 shown]
	s_and_b64 s[84:85], s[12:13], s[18:19]
	s_waitcnt lgkmcnt(0)
	s_barrier
	s_and_saveexec_b64 s[12:13], s[84:85]
	s_cbranch_execz .LBB179_162
; %bb.161:
	ds_read_b128 v[28:31], v25
	ds_read_b128 v[32:35], v24 offset:6784
	s_waitcnt lgkmcnt(0)
	v_mul_f64 v[36:37], v[30:31], v[34:35]
	v_mul_f64 v[34:35], v[28:29], v[34:35]
	v_fma_f64 v[28:29], v[28:29], v[32:33], -v[36:37]
	v_fma_f64 v[30:31], v[30:31], v[32:33], v[34:35]
	v_add_f64 v[11:12], v[11:12], v[28:29]
	v_add_f64 v[13:14], v[13:14], v[30:31]
.LBB179_162:
	s_or_b64 exec, exec, s[12:13]
	v_cmp_eq_u32_e64 s[12:13], 6, v26
	s_and_b64 s[86:87], s[12:13], s[18:19]
	s_barrier
	s_and_saveexec_b64 s[12:13], s[86:87]
	s_cbranch_execz .LBB179_164
; %bb.163:
	v_mov_b32_e32 v28, 0
	ds_read_b128 v[28:31], v28 offset:7392
	s_waitcnt lgkmcnt(0)
	v_mul_f64 v[32:33], v[13:14], v[30:31]
	v_mul_f64 v[30:31], v[11:12], v[30:31]
	v_fma_f64 v[11:12], v[11:12], v[28:29], -v[32:33]
	v_fma_f64 v[13:14], v[13:14], v[28:29], v[30:31]
	ds_write_b128 v25, v[11:14]
.LBB179_164:
	s_or_b64 exec, exec, s[12:13]
	v_cmp_eq_u32_e64 s[12:13], 7, v26
	s_and_b64 s[60:61], s[12:13], s[18:19]
	s_waitcnt lgkmcnt(0)
	s_barrier
	s_and_saveexec_b64 s[12:13], s[60:61]
	s_cbranch_execz .LBB179_166
; %bb.165:
	v_mov_b32_e32 v32, 0
	ds_read_b128 v[28:31], v25
	ds_read_b128 v[32:35], v32 offset:7408
	s_waitcnt lgkmcnt(0)
	v_mul_f64 v[36:37], v[30:31], v[34:35]
	v_mul_f64 v[34:35], v[28:29], v[34:35]
	v_fma_f64 v[28:29], v[28:29], v[32:33], -v[36:37]
	v_fma_f64 v[30:31], v[30:31], v[32:33], v[34:35]
	v_add_f64 v[11:12], v[11:12], v[28:29]
	v_add_f64 v[13:14], v[13:14], v[30:31]
.LBB179_166:
	s_or_b64 exec, exec, s[12:13]
	s_barrier
	s_and_saveexec_b64 s[12:13], s[60:61]
	s_cbranch_execz .LBB179_168
; %bb.167:
	v_mov_b32_e32 v28, 0
	ds_read_b128 v[28:31], v28 offset:7920
	s_waitcnt lgkmcnt(0)
	v_mul_f64 v[32:33], v[13:14], v[30:31]
	v_mul_f64 v[30:31], v[11:12], v[30:31]
	v_fma_f64 v[11:12], v[11:12], v[28:29], -v[32:33]
	v_fma_f64 v[13:14], v[13:14], v[28:29], v[30:31]
	ds_write_b128 v25, v[11:14]
.LBB179_168:
	s_or_b64 exec, exec, s[12:13]
	s_waitcnt lgkmcnt(0)
	s_barrier
	s_barrier
	s_and_saveexec_b64 s[12:13], s[8:9]
; %bb.169:
	v_xor_b32_e32 v12, 0x80000000, v12
	v_xor_b32_e32 v14, 0x80000000, v14
	ds_write_b128 v23, v[11:14] offset:128
; %bb.170:
	s_or_b64 exec, exec, s[12:13]
	v_cmp_gt_u32_e64 s[12:13], 8, v0
	s_and_b64 s[88:89], s[10:11], s[12:13]
	s_waitcnt lgkmcnt(0)
	s_barrier
	s_barrier
	s_and_saveexec_b64 s[12:13], s[88:89]
	s_cbranch_execz .LBB179_172
; %bb.171:
	v_lshlrev_b32_e32 v28, 9, v0
	ds_read_b128 v[11:14], v28 offset:128
	s_movk_i32 s14, 0xfe10
	v_mad_i32_i24 v29, v0, s14, v28
	s_waitcnt lgkmcnt(0)
	ds_write_b128 v29, v[11:14] offset:4096
	ds_read_b128 v[11:14], v28 offset:144
	s_waitcnt lgkmcnt(0)
	ds_write_b128 v29, v[11:14] offset:4608
	ds_read_b128 v[11:14], v28 offset:160
	;; [unrolled: 3-line block ×7, first 2 shown]
	s_waitcnt lgkmcnt(0)
	ds_write_b128 v29, v[11:14] offset:7680
.LBB179_172:
	s_or_b64 exec, exec, s[12:13]
	s_waitcnt lgkmcnt(0)
	s_barrier
	s_and_saveexec_b64 s[12:13], vcc
	s_cbranch_execz .LBB179_174
; %bb.173:
	v_mov_b32_e32 v38, 0
	ds_read_b128 v[11:14], v38 offset:4752
	ds_read_b128 v[28:31], v38 offset:4224
	;; [unrolled: 1-line block ×3, first 2 shown]
	s_waitcnt lgkmcnt(1)
	v_mul_f64 v[36:37], v[11:12], v[30:31]
	v_mul_f64 v[30:31], v[13:14], v[30:31]
	v_fma_f64 v[13:14], v[13:14], v[28:29], v[36:37]
	v_fma_f64 v[11:12], v[11:12], v[28:29], -v[30:31]
	s_waitcnt lgkmcnt(0)
	v_mul_f64 v[28:29], v[13:14], v[34:35]
	v_mul_f64 v[30:31], v[11:12], v[34:35]
	v_fma_f64 v[11:12], v[32:33], v[11:12], -v[28:29]
	v_fma_f64 v[13:14], v[32:33], v[13:14], v[30:31]
	ds_write_b128 v38, v[11:14] offset:4240
	ds_write_b128 v38, v[11:14] offset:4736
.LBB179_174:
	s_or_b64 exec, exec, s[12:13]
	v_mov_b32_e32 v13, 0
	v_mov_b32_e32 v11, 0
	v_mov_b32_e32 v14, 0
	v_mov_b32_e32 v12, 0
	s_waitcnt lgkmcnt(0)
	s_barrier
	s_and_saveexec_b64 s[14:15], s[2:3]
	s_cbranch_execz .LBB179_178
; %bb.175:
	v_mul_u32_u24_e32 v11, 0x210, v17
	ds_read_b128 v[11:14], v11 offset:4224
	ds_read_b128 v[28:31], v15 offset:4256
	v_cmp_gt_u32_e64 s[12:13], 2, v1
	s_waitcnt lgkmcnt(0)
	v_mul_f64 v[32:33], v[13:14], v[30:31]
	v_mul_f64 v[30:31], v[11:12], v[30:31]
	v_fma_f64 v[11:12], v[11:12], v[28:29], -v[32:33]
	v_fma_f64 v[13:14], v[13:14], v[28:29], v[30:31]
	v_add_f64 v[11:12], v[11:12], 0
	v_add_f64 v[13:14], v[13:14], 0
	s_and_saveexec_b64 s[18:19], s[12:13]
	s_cbranch_execz .LBB179_177
; %bb.176:
	v_lshlrev_b32_e32 v32, 4, v0
	v_mov_b32_e32 v28, 0
	ds_read_b128 v[28:31], v28 offset:4240
	ds_read_b128 v[32:35], v32 offset:4768
	s_waitcnt lgkmcnt(0)
	v_mul_f64 v[36:37], v[30:31], v[34:35]
	v_mul_f64 v[34:35], v[28:29], v[34:35]
	v_fma_f64 v[28:29], v[28:29], v[32:33], -v[36:37]
	v_fma_f64 v[30:31], v[30:31], v[32:33], v[34:35]
	v_add_f64 v[11:12], v[11:12], v[28:29]
	v_add_f64 v[13:14], v[13:14], v[30:31]
.LBB179_177:
	s_or_b64 exec, exec, s[18:19]
	v_xor_b32_e32 v12, 0x80000000, v12
	v_xor_b32_e32 v14, 0x80000000, v14
.LBB179_178:
	s_or_b64 exec, exec, s[14:15]
	s_and_saveexec_b64 s[12:13], s[42:43]
	s_cbranch_execz .LBB179_180
; %bb.179:
	v_mov_b32_e32 v28, 0
	ds_read_b128 v[28:31], v28 offset:5280
	s_waitcnt lgkmcnt(0)
	v_mul_f64 v[32:33], v[13:14], v[30:31]
	v_mul_f64 v[30:31], v[11:12], v[30:31]
	v_fma_f64 v[11:12], v[11:12], v[28:29], -v[32:33]
	v_fma_f64 v[13:14], v[13:14], v[28:29], v[30:31]
	ds_write_b128 v16, v[11:14]
.LBB179_180:
	s_or_b64 exec, exec, s[12:13]
	s_waitcnt lgkmcnt(0)
	s_barrier
	s_and_saveexec_b64 s[12:13], s[40:41]
	s_cbranch_execz .LBB179_182
; %bb.181:
	v_mov_b32_e32 v32, 0
	ds_read_b128 v[28:31], v16
	ds_read_b128 v[32:35], v32 offset:5296
	s_waitcnt lgkmcnt(0)
	v_mul_f64 v[36:37], v[30:31], v[34:35]
	v_mul_f64 v[34:35], v[28:29], v[34:35]
	v_fma_f64 v[28:29], v[28:29], v[32:33], -v[36:37]
	v_fma_f64 v[30:31], v[30:31], v[32:33], v[34:35]
	v_add_f64 v[11:12], v[11:12], v[28:29]
	v_add_f64 v[13:14], v[13:14], v[30:31]
.LBB179_182:
	s_or_b64 exec, exec, s[12:13]
	s_barrier
	s_and_saveexec_b64 s[12:13], s[40:41]
	s_cbranch_execz .LBB179_184
; %bb.183:
	v_mov_b32_e32 v28, 0
	ds_read_b128 v[28:31], v28 offset:5808
	s_waitcnt lgkmcnt(0)
	v_mul_f64 v[32:33], v[13:14], v[30:31]
	v_mul_f64 v[30:31], v[11:12], v[30:31]
	v_fma_f64 v[11:12], v[11:12], v[28:29], -v[32:33]
	v_fma_f64 v[13:14], v[13:14], v[28:29], v[30:31]
	ds_write_b128 v16, v[11:14]
.LBB179_184:
	s_or_b64 exec, exec, s[12:13]
	s_waitcnt lgkmcnt(0)
	s_barrier
	s_barrier
	s_and_saveexec_b64 s[12:13], s[2:3]
; %bb.185:
	v_xor_b32_e32 v12, 0x80000000, v12
	v_xor_b32_e32 v14, 0x80000000, v14
	ds_write_b128 v15, v[11:14] offset:4256
; %bb.186:
	s_or_b64 exec, exec, s[12:13]
	s_waitcnt lgkmcnt(0)
	s_barrier
	s_barrier
	s_and_saveexec_b64 s[12:13], s[44:45]
	s_cbranch_execz .LBB179_188
; %bb.187:
	v_lshlrev_b32_e32 v28, 9, v0
	ds_read_b128 v[11:14], v28 offset:4256
	s_movk_i32 s14, 0xfe10
	v_mad_i32_i24 v29, v0, s14, v28
	s_waitcnt lgkmcnt(0)
	ds_write_b128 v29, v[11:14] offset:5248
	ds_read_b128 v[11:14], v28 offset:4272
	s_waitcnt lgkmcnt(0)
	ds_write_b128 v29, v[11:14] offset:5760
.LBB179_188:
	s_or_b64 exec, exec, s[12:13]
	s_waitcnt lgkmcnt(0)
	s_barrier
	s_and_saveexec_b64 s[12:13], vcc
	s_cbranch_execz .LBB179_190
; %bb.189:
	v_mov_b32_e32 v38, 0
	ds_read_b128 v[11:14], v38 offset:5808
	ds_read_b128 v[28:31], v38 offset:5280
	;; [unrolled: 1-line block ×3, first 2 shown]
	s_waitcnt lgkmcnt(1)
	v_mul_f64 v[36:37], v[11:12], v[30:31]
	v_mul_f64 v[30:31], v[13:14], v[30:31]
	v_fma_f64 v[13:14], v[13:14], v[28:29], v[36:37]
	v_fma_f64 v[11:12], v[11:12], v[28:29], -v[30:31]
	s_waitcnt lgkmcnt(0)
	v_mul_f64 v[28:29], v[13:14], v[34:35]
	v_mul_f64 v[30:31], v[11:12], v[34:35]
	v_fma_f64 v[11:12], v[32:33], v[11:12], -v[28:29]
	v_fma_f64 v[13:14], v[32:33], v[13:14], v[30:31]
	ds_write_b128 v38, v[11:14] offset:5296
	ds_write_b128 v38, v[11:14] offset:5792
.LBB179_190:
	s_or_b64 exec, exec, s[12:13]
	v_mov_b32_e32 v13, 0
	v_mov_b32_e32 v11, 0
	;; [unrolled: 1-line block ×4, first 2 shown]
	s_waitcnt lgkmcnt(0)
	s_barrier
	s_and_saveexec_b64 s[14:15], s[16:17]
	s_cbranch_execz .LBB179_196
; %bb.191:
	v_mul_u32_u24_e32 v28, 0x210, v22
	ds_read_b128 v[11:14], v28 offset:4224
	ds_read_b128 v[29:32], v18 offset:4288
	v_cmp_gt_u32_e64 s[12:13], 12, v1
	s_waitcnt lgkmcnt(0)
	v_mul_f64 v[33:34], v[13:14], v[31:32]
	v_mul_f64 v[31:32], v[11:12], v[31:32]
	v_fma_f64 v[11:12], v[11:12], v[29:30], -v[33:34]
	v_fma_f64 v[13:14], v[13:14], v[29:30], v[31:32]
	v_add_f64 v[11:12], v[11:12], 0
	v_add_f64 v[13:14], v[13:14], 0
	s_and_saveexec_b64 s[18:19], s[12:13]
	s_cbranch_execnz .LBB179_558
; %bb.192:
	s_or_b64 exec, exec, s[18:19]
	v_cmp_gt_u32_e64 s[12:13], 8, v1
	s_and_saveexec_b64 s[18:19], s[12:13]
	s_cbranch_execnz .LBB179_559
.LBB179_193:
	s_or_b64 exec, exec, s[18:19]
	v_cmp_gt_u32_e64 s[12:13], 4, v1
	s_and_saveexec_b64 s[18:19], s[12:13]
	s_cbranch_execz .LBB179_195
.LBB179_194:
	v_lshlrev_b32_e32 v32, 4, v0
	v_mov_b32_e32 v28, 0
	ds_read_b128 v[28:31], v28 offset:4272
	ds_read_b128 v[32:35], v32 offset:5824
	s_waitcnt lgkmcnt(0)
	v_mul_f64 v[36:37], v[30:31], v[34:35]
	v_mul_f64 v[34:35], v[28:29], v[34:35]
	v_fma_f64 v[28:29], v[28:29], v[32:33], -v[36:37]
	v_fma_f64 v[30:31], v[30:31], v[32:33], v[34:35]
	v_add_f64 v[11:12], v[11:12], v[28:29]
	v_add_f64 v[13:14], v[13:14], v[30:31]
.LBB179_195:
	s_or_b64 exec, exec, s[18:19]
	v_xor_b32_e32 v12, 0x80000000, v12
	v_xor_b32_e32 v14, 0x80000000, v14
.LBB179_196:
	s_or_b64 exec, exec, s[14:15]
	s_and_saveexec_b64 s[12:13], s[48:49]
	s_cbranch_execz .LBB179_198
; %bb.197:
	v_mov_b32_e32 v28, 0
	ds_read_b128 v[28:31], v28 offset:6336
	s_waitcnt lgkmcnt(0)
	v_mul_f64 v[32:33], v[13:14], v[30:31]
	v_mul_f64 v[30:31], v[11:12], v[30:31]
	v_fma_f64 v[11:12], v[11:12], v[28:29], -v[32:33]
	v_fma_f64 v[13:14], v[13:14], v[28:29], v[30:31]
	ds_write_b128 v20, v[11:14]
.LBB179_198:
	s_or_b64 exec, exec, s[12:13]
	s_waitcnt lgkmcnt(0)
	s_barrier
	s_and_saveexec_b64 s[12:13], s[50:51]
	s_cbranch_execz .LBB179_200
; %bb.199:
	ds_read_b128 v[28:31], v20
	ds_read_b128 v[32:35], v19 offset:6336
	s_waitcnt lgkmcnt(0)
	v_mul_f64 v[36:37], v[30:31], v[34:35]
	v_mul_f64 v[34:35], v[28:29], v[34:35]
	v_fma_f64 v[28:29], v[28:29], v[32:33], -v[36:37]
	v_fma_f64 v[30:31], v[30:31], v[32:33], v[34:35]
	v_add_f64 v[11:12], v[11:12], v[28:29]
	v_add_f64 v[13:14], v[13:14], v[30:31]
.LBB179_200:
	s_or_b64 exec, exec, s[12:13]
	s_barrier
	s_and_saveexec_b64 s[12:13], s[52:53]
	s_cbranch_execz .LBB179_202
; %bb.201:
	v_mov_b32_e32 v28, 0
	ds_read_b128 v[28:31], v28 offset:6864
	s_waitcnt lgkmcnt(0)
	v_mul_f64 v[32:33], v[13:14], v[30:31]
	v_mul_f64 v[30:31], v[11:12], v[30:31]
	v_fma_f64 v[11:12], v[11:12], v[28:29], -v[32:33]
	v_fma_f64 v[13:14], v[13:14], v[28:29], v[30:31]
	ds_write_b128 v20, v[11:14]
.LBB179_202:
	s_or_b64 exec, exec, s[12:13]
	s_waitcnt lgkmcnt(0)
	s_barrier
	s_and_saveexec_b64 s[12:13], s[54:55]
	s_cbranch_execz .LBB179_204
; %bb.203:
	ds_read_b128 v[28:31], v20
	ds_read_b128 v[32:35], v19 offset:6848
	s_waitcnt lgkmcnt(0)
	v_mul_f64 v[36:37], v[30:31], v[34:35]
	v_mul_f64 v[34:35], v[28:29], v[34:35]
	v_fma_f64 v[28:29], v[28:29], v[32:33], -v[36:37]
	v_fma_f64 v[30:31], v[30:31], v[32:33], v[34:35]
	v_add_f64 v[11:12], v[11:12], v[28:29]
	v_add_f64 v[13:14], v[13:14], v[30:31]
.LBB179_204:
	s_or_b64 exec, exec, s[12:13]
	s_barrier
	s_and_saveexec_b64 s[12:13], s[56:57]
	s_cbranch_execz .LBB179_206
; %bb.205:
	v_mov_b32_e32 v28, 0
	ds_read_b128 v[28:31], v28 offset:7392
	s_waitcnt lgkmcnt(0)
	v_mul_f64 v[32:33], v[13:14], v[30:31]
	v_mul_f64 v[30:31], v[11:12], v[30:31]
	v_fma_f64 v[11:12], v[11:12], v[28:29], -v[32:33]
	v_fma_f64 v[13:14], v[13:14], v[28:29], v[30:31]
	ds_write_b128 v20, v[11:14]
.LBB179_206:
	s_or_b64 exec, exec, s[12:13]
	s_waitcnt lgkmcnt(0)
	s_barrier
	s_and_saveexec_b64 s[12:13], s[46:47]
	s_cbranch_execz .LBB179_208
; %bb.207:
	v_mov_b32_e32 v32, 0
	ds_read_b128 v[28:31], v20
	ds_read_b128 v[32:35], v32 offset:7408
	s_waitcnt lgkmcnt(0)
	v_mul_f64 v[36:37], v[30:31], v[34:35]
	v_mul_f64 v[34:35], v[28:29], v[34:35]
	v_fma_f64 v[28:29], v[28:29], v[32:33], -v[36:37]
	v_fma_f64 v[30:31], v[30:31], v[32:33], v[34:35]
	v_add_f64 v[11:12], v[11:12], v[28:29]
	v_add_f64 v[13:14], v[13:14], v[30:31]
.LBB179_208:
	s_or_b64 exec, exec, s[12:13]
	s_barrier
	s_and_saveexec_b64 s[12:13], s[46:47]
	s_cbranch_execz .LBB179_210
; %bb.209:
	v_mov_b32_e32 v28, 0
	ds_read_b128 v[28:31], v28 offset:7920
	s_waitcnt lgkmcnt(0)
	v_mul_f64 v[32:33], v[13:14], v[30:31]
	v_mul_f64 v[30:31], v[11:12], v[30:31]
	v_fma_f64 v[11:12], v[11:12], v[28:29], -v[32:33]
	v_fma_f64 v[13:14], v[13:14], v[28:29], v[30:31]
	ds_write_b128 v20, v[11:14]
.LBB179_210:
	s_or_b64 exec, exec, s[12:13]
	s_waitcnt lgkmcnt(0)
	s_barrier
	s_barrier
	s_and_saveexec_b64 s[12:13], s[16:17]
; %bb.211:
	v_xor_b32_e32 v14, 0x80000000, v14
	v_xor_b32_e32 v12, 0x80000000, v12
	ds_write_b128 v18, v[11:14] offset:4288
; %bb.212:
	s_or_b64 exec, exec, s[12:13]
	s_waitcnt lgkmcnt(0)
	s_barrier
	s_barrier
	s_and_saveexec_b64 s[12:13], s[58:59]
	s_cbranch_execz .LBB179_214
; %bb.213:
	v_lshlrev_b32_e32 v28, 4, v0
	s_movk_i32 s14, 0x1f0
	v_mad_u32_u24 v29, v0, s14, v28
	ds_read_b128 v[11:14], v29 offset:4288
	s_waitcnt lgkmcnt(0)
	ds_write_b128 v28, v[11:14] offset:6272
	ds_read_b128 v[11:14], v29 offset:4304
	s_waitcnt lgkmcnt(0)
	ds_write_b128 v28, v[11:14] offset:6784
	ds_read_b128 v[11:14], v29 offset:4320
	s_waitcnt lgkmcnt(0)
	ds_write_b128 v28, v[11:14] offset:7296
	ds_read_b128 v[11:14], v29 offset:4336
	s_waitcnt lgkmcnt(0)
	ds_write_b128 v28, v[11:14] offset:7808
.LBB179_214:
	s_or_b64 exec, exec, s[12:13]
	s_waitcnt lgkmcnt(0)
	s_barrier
	s_and_saveexec_b64 s[12:13], vcc
	s_cbranch_execz .LBB179_216
; %bb.215:
	v_mov_b32_e32 v38, 0
	ds_read_b128 v[11:14], v38 offset:6864
	ds_read_b128 v[28:31], v38 offset:6336
	;; [unrolled: 1-line block ×3, first 2 shown]
	s_waitcnt lgkmcnt(1)
	v_mul_f64 v[36:37], v[11:12], v[30:31]
	v_mul_f64 v[30:31], v[13:14], v[30:31]
	v_fma_f64 v[13:14], v[13:14], v[28:29], v[36:37]
	v_fma_f64 v[11:12], v[11:12], v[28:29], -v[30:31]
	s_waitcnt lgkmcnt(0)
	v_mul_f64 v[28:29], v[13:14], v[34:35]
	v_mul_f64 v[30:31], v[11:12], v[34:35]
	v_fma_f64 v[11:12], v[32:33], v[11:12], -v[28:29]
	v_fma_f64 v[13:14], v[32:33], v[13:14], v[30:31]
	ds_write_b128 v38, v[11:14] offset:6352
	ds_write_b128 v38, v[11:14] offset:6848
.LBB179_216:
	s_or_b64 exec, exec, s[12:13]
	v_mov_b32_e32 v13, 0
	v_mov_b32_e32 v11, 0
	;; [unrolled: 1-line block ×4, first 2 shown]
	s_waitcnt lgkmcnt(0)
	s_barrier
	s_and_saveexec_b64 s[14:15], s[2:3]
	s_cbranch_execz .LBB179_220
; %bb.217:
	v_mul_u32_u24_e32 v11, 0x210, v17
	ds_read_b128 v[11:14], v11 offset:6336
	ds_read_b128 v[28:31], v15 offset:6368
	v_cmp_gt_u32_e64 s[12:13], 2, v1
	s_waitcnt lgkmcnt(0)
	v_mul_f64 v[32:33], v[13:14], v[30:31]
	v_mul_f64 v[30:31], v[11:12], v[30:31]
	v_fma_f64 v[11:12], v[11:12], v[28:29], -v[32:33]
	v_fma_f64 v[13:14], v[13:14], v[28:29], v[30:31]
	v_add_f64 v[11:12], v[11:12], 0
	v_add_f64 v[13:14], v[13:14], 0
	s_and_saveexec_b64 s[18:19], s[12:13]
	s_cbranch_execz .LBB179_219
; %bb.218:
	v_lshlrev_b32_e32 v32, 4, v0
	v_mov_b32_e32 v28, 0
	ds_read_b128 v[28:31], v28 offset:6352
	ds_read_b128 v[32:35], v32 offset:6880
	s_waitcnt lgkmcnt(0)
	v_mul_f64 v[36:37], v[30:31], v[34:35]
	v_mul_f64 v[34:35], v[28:29], v[34:35]
	v_fma_f64 v[28:29], v[28:29], v[32:33], -v[36:37]
	v_fma_f64 v[30:31], v[30:31], v[32:33], v[34:35]
	v_add_f64 v[11:12], v[11:12], v[28:29]
	v_add_f64 v[13:14], v[13:14], v[30:31]
.LBB179_219:
	s_or_b64 exec, exec, s[18:19]
	v_xor_b32_e32 v12, 0x80000000, v12
	v_xor_b32_e32 v14, 0x80000000, v14
.LBB179_220:
	s_or_b64 exec, exec, s[14:15]
	s_and_saveexec_b64 s[12:13], s[42:43]
	s_cbranch_execz .LBB179_222
; %bb.221:
	v_mov_b32_e32 v28, 0
	ds_read_b128 v[28:31], v28 offset:7392
	s_waitcnt lgkmcnt(0)
	v_mul_f64 v[32:33], v[13:14], v[30:31]
	v_mul_f64 v[30:31], v[11:12], v[30:31]
	v_fma_f64 v[11:12], v[11:12], v[28:29], -v[32:33]
	v_fma_f64 v[13:14], v[13:14], v[28:29], v[30:31]
	ds_write_b128 v16, v[11:14]
.LBB179_222:
	s_or_b64 exec, exec, s[12:13]
	s_waitcnt lgkmcnt(0)
	s_barrier
	s_and_saveexec_b64 s[12:13], s[40:41]
	s_cbranch_execz .LBB179_224
; %bb.223:
	v_mov_b32_e32 v32, 0
	ds_read_b128 v[28:31], v16
	ds_read_b128 v[32:35], v32 offset:7408
	s_waitcnt lgkmcnt(0)
	v_mul_f64 v[36:37], v[30:31], v[34:35]
	v_mul_f64 v[34:35], v[28:29], v[34:35]
	v_fma_f64 v[28:29], v[28:29], v[32:33], -v[36:37]
	v_fma_f64 v[30:31], v[30:31], v[32:33], v[34:35]
	v_add_f64 v[11:12], v[11:12], v[28:29]
	v_add_f64 v[13:14], v[13:14], v[30:31]
.LBB179_224:
	s_or_b64 exec, exec, s[12:13]
	s_barrier
	s_and_saveexec_b64 s[12:13], s[40:41]
	s_cbranch_execz .LBB179_226
; %bb.225:
	v_mov_b32_e32 v28, 0
	ds_read_b128 v[28:31], v28 offset:7920
	s_waitcnt lgkmcnt(0)
	v_mul_f64 v[32:33], v[13:14], v[30:31]
	v_mul_f64 v[30:31], v[11:12], v[30:31]
	v_fma_f64 v[11:12], v[11:12], v[28:29], -v[32:33]
	v_fma_f64 v[13:14], v[13:14], v[28:29], v[30:31]
	ds_write_b128 v16, v[11:14]
.LBB179_226:
	s_or_b64 exec, exec, s[12:13]
	s_waitcnt lgkmcnt(0)
	s_barrier
	s_barrier
	s_and_saveexec_b64 s[12:13], s[2:3]
; %bb.227:
	v_xor_b32_e32 v12, 0x80000000, v12
	v_xor_b32_e32 v14, 0x80000000, v14
	ds_write_b128 v15, v[11:14] offset:6368
; %bb.228:
	s_or_b64 exec, exec, s[12:13]
	s_waitcnt lgkmcnt(0)
	s_barrier
	s_barrier
	s_and_saveexec_b64 s[12:13], s[44:45]
	s_cbranch_execz .LBB179_230
; %bb.229:
	v_lshlrev_b32_e32 v28, 9, v0
	ds_read_b128 v[11:14], v28 offset:6368
	s_movk_i32 s14, 0xfe10
	v_mad_i32_i24 v29, v0, s14, v28
	s_waitcnt lgkmcnt(0)
	ds_write_b128 v29, v[11:14] offset:7360
	ds_read_b128 v[11:14], v28 offset:6384
	s_waitcnt lgkmcnt(0)
	ds_write_b128 v29, v[11:14] offset:7872
.LBB179_230:
	s_or_b64 exec, exec, s[12:13]
	s_waitcnt lgkmcnt(0)
	s_barrier
	s_and_saveexec_b64 s[12:13], vcc
	s_cbranch_execz .LBB179_232
; %bb.231:
	v_mov_b32_e32 v38, 0
	ds_read_b128 v[11:14], v38 offset:7920
	ds_read_b128 v[28:31], v38 offset:7392
	ds_read_b128 v[32:35], v38 offset:7408
	s_waitcnt lgkmcnt(1)
	v_mul_f64 v[36:37], v[11:12], v[30:31]
	v_mul_f64 v[30:31], v[13:14], v[30:31]
	v_fma_f64 v[13:14], v[13:14], v[28:29], v[36:37]
	v_fma_f64 v[11:12], v[11:12], v[28:29], -v[30:31]
	s_waitcnt lgkmcnt(0)
	v_mul_f64 v[28:29], v[13:14], v[34:35]
	v_mul_f64 v[30:31], v[11:12], v[34:35]
	v_fma_f64 v[11:12], v[32:33], v[11:12], -v[28:29]
	v_fma_f64 v[13:14], v[32:33], v[13:14], v[30:31]
	ds_write_b128 v38, v[11:14] offset:7408
	ds_write_b128 v38, v[11:14] offset:7904
.LBB179_232:
	s_or_b64 exec, exec, s[12:13]
	v_and_b32_e32 v29, 15, v0
	s_movk_i32 s12, 0xff
	v_lshrrev_b32_e32 v31, 4, v1
	v_cmp_lt_u32_e64 s[14:15], s12, v1
	s_movk_i32 s12, 0x100
	v_lshlrev_b32_e32 v30, 4, v29
	v_mov_b32_e32 v13, 0
	v_mov_b32_e32 v11, 0
	v_cmp_gt_u32_e64 s[12:13], s12, v1
	v_mov_b32_e32 v14, 0
	v_mov_b32_e32 v12, 0
	v_lshl_or_b32 v28, v31, 9, v30
	s_waitcnt lgkmcnt(0)
	s_barrier
	s_and_saveexec_b64 s[90:91], s[12:13]
	s_cbranch_execz .LBB179_260
; %bb.233:
	v_mul_u32_u24_e32 v32, 0x210, v31
	ds_read_b128 v[11:14], v32
	ds_read_b128 v[33:36], v28 offset:256
	s_movk_i32 s18, 0xf0
	v_cmp_gt_u32_e64 s[18:19], s18, v1
	s_waitcnt lgkmcnt(0)
	v_mul_f64 v[37:38], v[13:14], v[35:36]
	v_mul_f64 v[35:36], v[11:12], v[35:36]
	v_fma_f64 v[11:12], v[11:12], v[33:34], -v[37:38]
	v_fma_f64 v[13:14], v[13:14], v[33:34], v[35:36]
	v_add_f64 v[11:12], v[11:12], 0
	v_add_f64 v[13:14], v[13:14], 0
	s_and_saveexec_b64 s[92:93], s[18:19]
	s_cbranch_execz .LBB179_235
; %bb.234:
	ds_read_b128 v[33:36], v32 offset:16
	ds_read_b128 v[37:40], v28 offset:768
	s_waitcnt lgkmcnt(0)
	v_mul_f64 v[41:42], v[35:36], v[39:40]
	v_mul_f64 v[39:40], v[33:34], v[39:40]
	v_fma_f64 v[33:34], v[33:34], v[37:38], -v[41:42]
	v_fma_f64 v[35:36], v[35:36], v[37:38], v[39:40]
	v_add_f64 v[11:12], v[11:12], v[33:34]
	v_add_f64 v[13:14], v[13:14], v[35:36]
.LBB179_235:
	s_or_b64 exec, exec, s[92:93]
	s_movk_i32 s18, 0xe0
	v_cmp_gt_u32_e64 s[18:19], s18, v1
	s_and_saveexec_b64 s[92:93], s[18:19]
	s_cbranch_execz .LBB179_237
; %bb.236:
	ds_read_b128 v[33:36], v32 offset:32
	ds_read_b128 v[37:40], v28 offset:1280
	s_waitcnt lgkmcnt(0)
	v_mul_f64 v[41:42], v[35:36], v[39:40]
	v_mul_f64 v[39:40], v[33:34], v[39:40]
	v_fma_f64 v[33:34], v[33:34], v[37:38], -v[41:42]
	v_fma_f64 v[35:36], v[35:36], v[37:38], v[39:40]
	v_add_f64 v[11:12], v[11:12], v[33:34]
	v_add_f64 v[13:14], v[13:14], v[35:36]
.LBB179_237:
	s_or_b64 exec, exec, s[92:93]
	s_movk_i32 s18, 0xd0
	v_cmp_gt_u32_e64 s[18:19], s18, v1
	;; [unrolled: 16-line block ×10, first 2 shown]
	s_and_saveexec_b64 s[92:93], s[18:19]
	s_cbranch_execnz .LBB179_560
; %bb.254:
	s_or_b64 exec, exec, s[92:93]
	v_cmp_gt_u32_e64 s[18:19], 64, v1
	s_and_saveexec_b64 s[92:93], s[18:19]
	s_cbranch_execnz .LBB179_561
.LBB179_255:
	s_or_b64 exec, exec, s[92:93]
	v_cmp_gt_u32_e64 s[18:19], 48, v1
	s_and_saveexec_b64 s[92:93], s[18:19]
	s_cbranch_execnz .LBB179_562
.LBB179_256:
	s_or_b64 exec, exec, s[92:93]
	v_cmp_gt_u32_e64 s[18:19], 32, v1
	s_and_saveexec_b64 s[92:93], s[18:19]
	s_cbranch_execnz .LBB179_563
.LBB179_257:
	s_or_b64 exec, exec, s[92:93]
	v_cmp_gt_u32_e64 s[18:19], 16, v1
	s_and_saveexec_b64 s[92:93], s[18:19]
	s_cbranch_execz .LBB179_259
.LBB179_258:
	v_lshlrev_b32_e32 v36, 4, v0
	v_mov_b32_e32 v32, 0
	ds_read_b128 v[32:35], v32 offset:240
	ds_read_b128 v[36:39], v36 offset:7936
	s_waitcnt lgkmcnt(0)
	v_mul_f64 v[40:41], v[34:35], v[38:39]
	v_mul_f64 v[38:39], v[32:33], v[38:39]
	v_fma_f64 v[32:33], v[32:33], v[36:37], -v[40:41]
	v_fma_f64 v[34:35], v[34:35], v[36:37], v[38:39]
	v_add_f64 v[11:12], v[11:12], v[32:33]
	v_add_f64 v[13:14], v[13:14], v[34:35]
.LBB179_259:
	s_or_b64 exec, exec, s[92:93]
	v_xor_b32_e32 v12, 0x80000000, v12
	v_xor_b32_e32 v14, 0x80000000, v14
.LBB179_260:
	s_or_b64 exec, exec, s[90:91]
	v_mov_b32_e32 v32, 0x4000
	v_cmp_eq_u32_e64 s[18:19], 0, v29
	s_xor_b64 s[90:91], s[14:15], -1
	v_lshl_add_u32 v31, v31, 4, v32
	s_and_b64 s[18:19], s[18:19], s[90:91]
	s_and_saveexec_b64 s[14:15], s[18:19]
	s_cbranch_execz .LBB179_262
; %bb.261:
	v_mov_b32_e32 v32, 0
	ds_read_b128 v[32:35], v32 offset:8448
	s_waitcnt lgkmcnt(0)
	v_mul_f64 v[36:37], v[13:14], v[34:35]
	v_mul_f64 v[34:35], v[11:12], v[34:35]
	v_fma_f64 v[11:12], v[11:12], v[32:33], -v[36:37]
	v_fma_f64 v[13:14], v[13:14], v[32:33], v[34:35]
	ds_write_b128 v31, v[11:14]
.LBB179_262:
	s_or_b64 exec, exec, s[14:15]
	v_cmp_ne_u32_e64 s[14:15], 0, v29
	s_and_b64 s[18:19], s[14:15], s[90:91]
	s_waitcnt lgkmcnt(0)
	s_barrier
	s_and_saveexec_b64 s[14:15], s[18:19]
	s_cbranch_execz .LBB179_264
; %bb.263:
	ds_read_b128 v[32:35], v31
	ds_read_b128 v[36:39], v30 offset:8448
	s_waitcnt lgkmcnt(0)
	v_mul_f64 v[40:41], v[34:35], v[38:39]
	v_mul_f64 v[38:39], v[32:33], v[38:39]
	v_fma_f64 v[32:33], v[32:33], v[36:37], -v[40:41]
	v_fma_f64 v[34:35], v[34:35], v[36:37], v[38:39]
	v_add_f64 v[11:12], v[11:12], v[32:33]
	v_add_f64 v[13:14], v[13:14], v[34:35]
.LBB179_264:
	s_or_b64 exec, exec, s[14:15]
	v_cmp_eq_u32_e64 s[14:15], 1, v29
	s_and_b64 s[18:19], s[14:15], s[90:91]
	s_barrier
	s_and_saveexec_b64 s[14:15], s[18:19]
	s_cbranch_execz .LBB179_266
; %bb.265:
	v_mov_b32_e32 v32, 0
	ds_read_b128 v[32:35], v32 offset:8976
	s_waitcnt lgkmcnt(0)
	v_mul_f64 v[36:37], v[13:14], v[34:35]
	v_mul_f64 v[34:35], v[11:12], v[34:35]
	v_fma_f64 v[11:12], v[11:12], v[32:33], -v[36:37]
	v_fma_f64 v[13:14], v[13:14], v[32:33], v[34:35]
	ds_write_b128 v31, v[11:14]
.LBB179_266:
	s_or_b64 exec, exec, s[14:15]
	v_cmp_lt_u32_e64 s[14:15], 1, v29
	s_and_b64 s[18:19], s[14:15], s[90:91]
	s_waitcnt lgkmcnt(0)
	s_barrier
	s_and_saveexec_b64 s[14:15], s[18:19]
	s_cbranch_execz .LBB179_268
; %bb.267:
	ds_read_b128 v[32:35], v31
	ds_read_b128 v[36:39], v30 offset:8960
	s_waitcnt lgkmcnt(0)
	v_mul_f64 v[40:41], v[34:35], v[38:39]
	v_mul_f64 v[38:39], v[32:33], v[38:39]
	v_fma_f64 v[32:33], v[32:33], v[36:37], -v[40:41]
	v_fma_f64 v[34:35], v[34:35], v[36:37], v[38:39]
	v_add_f64 v[11:12], v[11:12], v[32:33]
	v_add_f64 v[13:14], v[13:14], v[34:35]
.LBB179_268:
	s_or_b64 exec, exec, s[14:15]
	v_cmp_eq_u32_e64 s[14:15], 2, v29
	s_and_b64 s[18:19], s[14:15], s[90:91]
	s_barrier
	s_and_saveexec_b64 s[14:15], s[18:19]
	s_cbranch_execz .LBB179_270
; %bb.269:
	v_mov_b32_e32 v32, 0
	ds_read_b128 v[32:35], v32 offset:9504
	s_waitcnt lgkmcnt(0)
	v_mul_f64 v[36:37], v[13:14], v[34:35]
	v_mul_f64 v[34:35], v[11:12], v[34:35]
	v_fma_f64 v[11:12], v[11:12], v[32:33], -v[36:37]
	v_fma_f64 v[13:14], v[13:14], v[32:33], v[34:35]
	ds_write_b128 v31, v[11:14]
.LBB179_270:
	s_or_b64 exec, exec, s[14:15]
	v_cmp_lt_u32_e64 s[14:15], 2, v29
	;; [unrolled: 34-line block ×13, first 2 shown]
	s_and_b64 s[18:19], s[14:15], s[90:91]
	s_waitcnt lgkmcnt(0)
	s_barrier
	s_and_saveexec_b64 s[14:15], s[18:19]
	s_cbranch_execz .LBB179_316
; %bb.315:
	ds_read_b128 v[32:35], v31
	ds_read_b128 v[36:39], v30 offset:15104
	s_waitcnt lgkmcnt(0)
	v_mul_f64 v[40:41], v[34:35], v[38:39]
	v_mul_f64 v[38:39], v[32:33], v[38:39]
	v_fma_f64 v[32:33], v[32:33], v[36:37], -v[40:41]
	v_fma_f64 v[34:35], v[34:35], v[36:37], v[38:39]
	v_add_f64 v[11:12], v[11:12], v[32:33]
	v_add_f64 v[13:14], v[13:14], v[34:35]
.LBB179_316:
	s_or_b64 exec, exec, s[14:15]
	v_cmp_eq_u32_e64 s[14:15], 14, v29
	s_and_b64 s[18:19], s[14:15], s[90:91]
	s_barrier
	s_and_saveexec_b64 s[14:15], s[18:19]
	s_cbranch_execz .LBB179_318
; %bb.317:
	v_mov_b32_e32 v30, 0
	ds_read_b128 v[32:35], v30 offset:15840
	s_waitcnt lgkmcnt(0)
	v_mul_f64 v[36:37], v[13:14], v[34:35]
	v_mul_f64 v[34:35], v[11:12], v[34:35]
	v_fma_f64 v[11:12], v[11:12], v[32:33], -v[36:37]
	v_fma_f64 v[13:14], v[13:14], v[32:33], v[34:35]
	ds_write_b128 v31, v[11:14]
.LBB179_318:
	s_or_b64 exec, exec, s[14:15]
	v_cmp_eq_u32_e64 s[14:15], 15, v29
	s_and_b64 s[14:15], s[14:15], s[90:91]
	s_waitcnt lgkmcnt(0)
	s_barrier
	s_and_saveexec_b64 s[18:19], s[14:15]
	s_cbranch_execz .LBB179_320
; %bb.319:
	v_mov_b32_e32 v29, 0
	ds_read_b128 v[32:35], v31
	ds_read_b128 v[36:39], v29 offset:15856
	s_waitcnt lgkmcnt(0)
	v_mul_f64 v[29:30], v[34:35], v[38:39]
	v_mul_f64 v[38:39], v[32:33], v[38:39]
	v_fma_f64 v[29:30], v[32:33], v[36:37], -v[29:30]
	v_fma_f64 v[32:33], v[34:35], v[36:37], v[38:39]
	v_add_f64 v[11:12], v[11:12], v[29:30]
	v_add_f64 v[13:14], v[13:14], v[32:33]
.LBB179_320:
	s_or_b64 exec, exec, s[18:19]
	s_barrier
	s_and_saveexec_b64 s[18:19], s[14:15]
	s_cbranch_execz .LBB179_322
; %bb.321:
	v_mov_b32_e32 v29, 0
	ds_read_b128 v[32:35], v29 offset:16368
	s_waitcnt lgkmcnt(0)
	v_mul_f64 v[29:30], v[13:14], v[34:35]
	v_mul_f64 v[34:35], v[11:12], v[34:35]
	v_fma_f64 v[11:12], v[11:12], v[32:33], -v[29:30]
	v_fma_f64 v[13:14], v[13:14], v[32:33], v[34:35]
	ds_write_b128 v31, v[11:14]
.LBB179_322:
	s_or_b64 exec, exec, s[18:19]
	s_waitcnt lgkmcnt(0)
	s_barrier
	s_barrier
	s_and_saveexec_b64 s[14:15], s[12:13]
; %bb.323:
	v_xor_b32_e32 v14, 0x80000000, v14
	v_xor_b32_e32 v12, 0x80000000, v12
	ds_write_b128 v28, v[11:14] offset:256
; %bb.324:
	s_or_b64 exec, exec, s[14:15]
	v_cmp_gt_u32_e64 s[12:13], 16, v0
	s_and_b64 s[12:13], s[10:11], s[12:13]
	s_waitcnt lgkmcnt(0)
	s_barrier
	s_barrier
	s_and_saveexec_b64 s[10:11], s[12:13]
	s_cbranch_execz .LBB179_326
; %bb.325:
	v_lshlrev_b32_e32 v28, 9, v0
	ds_read_b128 v[11:14], v28 offset:256
	s_movk_i32 s12, 0xfe10
	v_mad_i32_i24 v29, v0, s12, v28
	s_waitcnt lgkmcnt(0)
	ds_write_b128 v29, v[11:14] offset:8192
	ds_read_b128 v[11:14], v28 offset:272
	s_waitcnt lgkmcnt(0)
	ds_write_b128 v29, v[11:14] offset:8704
	ds_read_b128 v[11:14], v28 offset:288
	;; [unrolled: 3-line block ×15, first 2 shown]
	s_waitcnt lgkmcnt(0)
	ds_write_b128 v29, v[11:14] offset:15872
.LBB179_326:
	s_or_b64 exec, exec, s[10:11]
	s_waitcnt lgkmcnt(0)
	s_barrier
	s_and_saveexec_b64 s[10:11], vcc
	s_cbranch_execz .LBB179_328
; %bb.327:
	v_mov_b32_e32 v38, 0
	ds_read_b128 v[11:14], v38 offset:8976
	ds_read_b128 v[28:31], v38 offset:8448
	ds_read_b128 v[32:35], v38 offset:8464
	s_waitcnt lgkmcnt(1)
	v_mul_f64 v[36:37], v[11:12], v[30:31]
	v_mul_f64 v[30:31], v[13:14], v[30:31]
	v_fma_f64 v[13:14], v[13:14], v[28:29], v[36:37]
	v_fma_f64 v[11:12], v[11:12], v[28:29], -v[30:31]
	s_waitcnt lgkmcnt(0)
	v_mul_f64 v[28:29], v[13:14], v[34:35]
	v_mul_f64 v[30:31], v[11:12], v[34:35]
	v_fma_f64 v[11:12], v[32:33], v[11:12], -v[28:29]
	v_fma_f64 v[13:14], v[32:33], v[13:14], v[30:31]
	ds_write_b128 v38, v[11:14] offset:8464
	ds_write_b128 v38, v[11:14] offset:8960
.LBB179_328:
	s_or_b64 exec, exec, s[10:11]
	v_mov_b32_e32 v13, 0
	v_mov_b32_e32 v11, 0
	;; [unrolled: 1-line block ×4, first 2 shown]
	s_waitcnt lgkmcnt(0)
	s_barrier
	s_and_saveexec_b64 s[12:13], s[2:3]
	s_cbranch_execz .LBB179_332
; %bb.329:
	v_mul_u32_u24_e32 v11, 0x210, v17
	ds_read_b128 v[11:14], v11 offset:8448
	ds_read_b128 v[28:31], v15 offset:8480
	v_cmp_gt_u32_e64 s[10:11], 2, v1
	s_waitcnt lgkmcnt(0)
	v_mul_f64 v[32:33], v[13:14], v[30:31]
	v_mul_f64 v[30:31], v[11:12], v[30:31]
	v_fma_f64 v[11:12], v[11:12], v[28:29], -v[32:33]
	v_fma_f64 v[13:14], v[13:14], v[28:29], v[30:31]
	v_add_f64 v[11:12], v[11:12], 0
	v_add_f64 v[13:14], v[13:14], 0
	s_and_saveexec_b64 s[14:15], s[10:11]
	s_cbranch_execz .LBB179_331
; %bb.330:
	v_lshlrev_b32_e32 v32, 4, v0
	v_mov_b32_e32 v28, 0
	ds_read_b128 v[28:31], v28 offset:8464
	ds_read_b128 v[32:35], v32 offset:8992
	s_waitcnt lgkmcnt(0)
	v_mul_f64 v[36:37], v[30:31], v[34:35]
	v_mul_f64 v[34:35], v[28:29], v[34:35]
	v_fma_f64 v[28:29], v[28:29], v[32:33], -v[36:37]
	v_fma_f64 v[30:31], v[30:31], v[32:33], v[34:35]
	v_add_f64 v[11:12], v[11:12], v[28:29]
	v_add_f64 v[13:14], v[13:14], v[30:31]
.LBB179_331:
	s_or_b64 exec, exec, s[14:15]
	v_xor_b32_e32 v12, 0x80000000, v12
	v_xor_b32_e32 v14, 0x80000000, v14
.LBB179_332:
	s_or_b64 exec, exec, s[12:13]
	s_and_saveexec_b64 s[10:11], s[42:43]
	s_cbranch_execz .LBB179_334
; %bb.333:
	v_mov_b32_e32 v28, 0
	ds_read_b128 v[28:31], v28 offset:9504
	s_waitcnt lgkmcnt(0)
	v_mul_f64 v[32:33], v[13:14], v[30:31]
	v_mul_f64 v[30:31], v[11:12], v[30:31]
	v_fma_f64 v[11:12], v[11:12], v[28:29], -v[32:33]
	v_fma_f64 v[13:14], v[13:14], v[28:29], v[30:31]
	ds_write_b128 v16, v[11:14]
.LBB179_334:
	s_or_b64 exec, exec, s[10:11]
	s_waitcnt lgkmcnt(0)
	s_barrier
	s_and_saveexec_b64 s[10:11], s[40:41]
	s_cbranch_execz .LBB179_336
; %bb.335:
	v_mov_b32_e32 v32, 0
	ds_read_b128 v[28:31], v16
	ds_read_b128 v[32:35], v32 offset:9520
	s_waitcnt lgkmcnt(0)
	v_mul_f64 v[36:37], v[30:31], v[34:35]
	v_mul_f64 v[34:35], v[28:29], v[34:35]
	v_fma_f64 v[28:29], v[28:29], v[32:33], -v[36:37]
	v_fma_f64 v[30:31], v[30:31], v[32:33], v[34:35]
	v_add_f64 v[11:12], v[11:12], v[28:29]
	v_add_f64 v[13:14], v[13:14], v[30:31]
.LBB179_336:
	s_or_b64 exec, exec, s[10:11]
	s_barrier
	s_and_saveexec_b64 s[10:11], s[40:41]
	s_cbranch_execz .LBB179_338
; %bb.337:
	v_mov_b32_e32 v28, 0
	ds_read_b128 v[28:31], v28 offset:10032
	s_waitcnt lgkmcnt(0)
	v_mul_f64 v[32:33], v[13:14], v[30:31]
	v_mul_f64 v[30:31], v[11:12], v[30:31]
	v_fma_f64 v[11:12], v[11:12], v[28:29], -v[32:33]
	v_fma_f64 v[13:14], v[13:14], v[28:29], v[30:31]
	ds_write_b128 v16, v[11:14]
.LBB179_338:
	s_or_b64 exec, exec, s[10:11]
	s_waitcnt lgkmcnt(0)
	s_barrier
	s_barrier
	s_and_saveexec_b64 s[10:11], s[2:3]
; %bb.339:
	v_xor_b32_e32 v12, 0x80000000, v12
	v_xor_b32_e32 v14, 0x80000000, v14
	ds_write_b128 v15, v[11:14] offset:8480
; %bb.340:
	s_or_b64 exec, exec, s[10:11]
	s_waitcnt lgkmcnt(0)
	s_barrier
	s_barrier
	s_and_saveexec_b64 s[10:11], s[44:45]
	s_cbranch_execz .LBB179_342
; %bb.341:
	v_lshlrev_b32_e32 v28, 9, v0
	ds_read_b128 v[11:14], v28 offset:8480
	s_movk_i32 s12, 0xfe10
	v_mad_i32_i24 v29, v0, s12, v28
	s_waitcnt lgkmcnt(0)
	ds_write_b128 v29, v[11:14] offset:9472
	ds_read_b128 v[11:14], v28 offset:8496
	s_waitcnt lgkmcnt(0)
	ds_write_b128 v29, v[11:14] offset:9984
.LBB179_342:
	s_or_b64 exec, exec, s[10:11]
	s_waitcnt lgkmcnt(0)
	s_barrier
	s_and_saveexec_b64 s[10:11], vcc
	s_cbranch_execz .LBB179_344
; %bb.343:
	v_mov_b32_e32 v38, 0
	ds_read_b128 v[11:14], v38 offset:10032
	ds_read_b128 v[28:31], v38 offset:9504
	;; [unrolled: 1-line block ×3, first 2 shown]
	s_waitcnt lgkmcnt(1)
	v_mul_f64 v[36:37], v[11:12], v[30:31]
	v_mul_f64 v[30:31], v[13:14], v[30:31]
	v_fma_f64 v[13:14], v[13:14], v[28:29], v[36:37]
	v_fma_f64 v[11:12], v[11:12], v[28:29], -v[30:31]
	s_waitcnt lgkmcnt(0)
	v_mul_f64 v[28:29], v[13:14], v[34:35]
	v_mul_f64 v[30:31], v[11:12], v[34:35]
	v_fma_f64 v[11:12], v[32:33], v[11:12], -v[28:29]
	v_fma_f64 v[13:14], v[32:33], v[13:14], v[30:31]
	ds_write_b128 v38, v[11:14] offset:9520
	ds_write_b128 v38, v[11:14] offset:10016
.LBB179_344:
	s_or_b64 exec, exec, s[10:11]
	v_mov_b32_e32 v13, 0
	v_mov_b32_e32 v11, 0
	;; [unrolled: 1-line block ×4, first 2 shown]
	s_waitcnt lgkmcnt(0)
	s_barrier
	s_and_saveexec_b64 s[12:13], s[16:17]
	s_cbranch_execz .LBB179_350
; %bb.345:
	v_mul_u32_u24_e32 v28, 0x210, v22
	ds_read_b128 v[11:14], v28 offset:8448
	ds_read_b128 v[29:32], v18 offset:8512
	v_cmp_gt_u32_e64 s[10:11], 12, v1
	s_waitcnt lgkmcnt(0)
	v_mul_f64 v[33:34], v[13:14], v[31:32]
	v_mul_f64 v[31:32], v[11:12], v[31:32]
	v_fma_f64 v[11:12], v[11:12], v[29:30], -v[33:34]
	v_fma_f64 v[13:14], v[13:14], v[29:30], v[31:32]
	v_add_f64 v[11:12], v[11:12], 0
	v_add_f64 v[13:14], v[13:14], 0
	s_and_saveexec_b64 s[14:15], s[10:11]
	s_cbranch_execnz .LBB179_564
; %bb.346:
	s_or_b64 exec, exec, s[14:15]
	v_cmp_gt_u32_e64 s[10:11], 8, v1
	s_and_saveexec_b64 s[14:15], s[10:11]
	s_cbranch_execnz .LBB179_565
.LBB179_347:
	s_or_b64 exec, exec, s[14:15]
	v_cmp_gt_u32_e64 s[10:11], 4, v1
	s_and_saveexec_b64 s[14:15], s[10:11]
	s_cbranch_execz .LBB179_349
.LBB179_348:
	v_lshlrev_b32_e32 v32, 4, v0
	v_mov_b32_e32 v28, 0
	ds_read_b128 v[28:31], v28 offset:8496
	ds_read_b128 v[32:35], v32 offset:10048
	s_waitcnt lgkmcnt(0)
	v_mul_f64 v[36:37], v[30:31], v[34:35]
	v_mul_f64 v[34:35], v[28:29], v[34:35]
	v_fma_f64 v[28:29], v[28:29], v[32:33], -v[36:37]
	v_fma_f64 v[30:31], v[30:31], v[32:33], v[34:35]
	v_add_f64 v[11:12], v[11:12], v[28:29]
	v_add_f64 v[13:14], v[13:14], v[30:31]
.LBB179_349:
	s_or_b64 exec, exec, s[14:15]
	v_xor_b32_e32 v12, 0x80000000, v12
	v_xor_b32_e32 v14, 0x80000000, v14
.LBB179_350:
	s_or_b64 exec, exec, s[12:13]
	s_and_saveexec_b64 s[10:11], s[48:49]
	s_cbranch_execz .LBB179_352
; %bb.351:
	v_mov_b32_e32 v28, 0
	ds_read_b128 v[28:31], v28 offset:10560
	s_waitcnt lgkmcnt(0)
	v_mul_f64 v[32:33], v[13:14], v[30:31]
	v_mul_f64 v[30:31], v[11:12], v[30:31]
	v_fma_f64 v[11:12], v[11:12], v[28:29], -v[32:33]
	v_fma_f64 v[13:14], v[13:14], v[28:29], v[30:31]
	ds_write_b128 v20, v[11:14]
.LBB179_352:
	s_or_b64 exec, exec, s[10:11]
	s_waitcnt lgkmcnt(0)
	s_barrier
	s_and_saveexec_b64 s[10:11], s[50:51]
	s_cbranch_execz .LBB179_354
; %bb.353:
	ds_read_b128 v[28:31], v20
	ds_read_b128 v[32:35], v19 offset:10560
	s_waitcnt lgkmcnt(0)
	v_mul_f64 v[36:37], v[30:31], v[34:35]
	v_mul_f64 v[34:35], v[28:29], v[34:35]
	v_fma_f64 v[28:29], v[28:29], v[32:33], -v[36:37]
	v_fma_f64 v[30:31], v[30:31], v[32:33], v[34:35]
	v_add_f64 v[11:12], v[11:12], v[28:29]
	v_add_f64 v[13:14], v[13:14], v[30:31]
.LBB179_354:
	s_or_b64 exec, exec, s[10:11]
	s_barrier
	s_and_saveexec_b64 s[10:11], s[52:53]
	s_cbranch_execz .LBB179_356
; %bb.355:
	v_mov_b32_e32 v28, 0
	ds_read_b128 v[28:31], v28 offset:11088
	s_waitcnt lgkmcnt(0)
	v_mul_f64 v[32:33], v[13:14], v[30:31]
	v_mul_f64 v[30:31], v[11:12], v[30:31]
	v_fma_f64 v[11:12], v[11:12], v[28:29], -v[32:33]
	v_fma_f64 v[13:14], v[13:14], v[28:29], v[30:31]
	ds_write_b128 v20, v[11:14]
.LBB179_356:
	s_or_b64 exec, exec, s[10:11]
	s_waitcnt lgkmcnt(0)
	s_barrier
	s_and_saveexec_b64 s[10:11], s[54:55]
	s_cbranch_execz .LBB179_358
; %bb.357:
	ds_read_b128 v[28:31], v20
	ds_read_b128 v[32:35], v19 offset:11072
	s_waitcnt lgkmcnt(0)
	v_mul_f64 v[36:37], v[30:31], v[34:35]
	v_mul_f64 v[34:35], v[28:29], v[34:35]
	v_fma_f64 v[28:29], v[28:29], v[32:33], -v[36:37]
	v_fma_f64 v[30:31], v[30:31], v[32:33], v[34:35]
	v_add_f64 v[11:12], v[11:12], v[28:29]
	v_add_f64 v[13:14], v[13:14], v[30:31]
.LBB179_358:
	s_or_b64 exec, exec, s[10:11]
	s_barrier
	s_and_saveexec_b64 s[10:11], s[56:57]
	s_cbranch_execz .LBB179_360
; %bb.359:
	v_mov_b32_e32 v28, 0
	ds_read_b128 v[28:31], v28 offset:11616
	s_waitcnt lgkmcnt(0)
	v_mul_f64 v[32:33], v[13:14], v[30:31]
	v_mul_f64 v[30:31], v[11:12], v[30:31]
	v_fma_f64 v[11:12], v[11:12], v[28:29], -v[32:33]
	v_fma_f64 v[13:14], v[13:14], v[28:29], v[30:31]
	ds_write_b128 v20, v[11:14]
.LBB179_360:
	s_or_b64 exec, exec, s[10:11]
	s_waitcnt lgkmcnt(0)
	s_barrier
	s_and_saveexec_b64 s[10:11], s[46:47]
	s_cbranch_execz .LBB179_362
; %bb.361:
	v_mov_b32_e32 v32, 0
	ds_read_b128 v[28:31], v20
	ds_read_b128 v[32:35], v32 offset:11632
	s_waitcnt lgkmcnt(0)
	v_mul_f64 v[36:37], v[30:31], v[34:35]
	v_mul_f64 v[34:35], v[28:29], v[34:35]
	v_fma_f64 v[28:29], v[28:29], v[32:33], -v[36:37]
	v_fma_f64 v[30:31], v[30:31], v[32:33], v[34:35]
	v_add_f64 v[11:12], v[11:12], v[28:29]
	v_add_f64 v[13:14], v[13:14], v[30:31]
.LBB179_362:
	s_or_b64 exec, exec, s[10:11]
	s_barrier
	s_and_saveexec_b64 s[10:11], s[46:47]
	s_cbranch_execz .LBB179_364
; %bb.363:
	v_mov_b32_e32 v28, 0
	ds_read_b128 v[28:31], v28 offset:12144
	s_waitcnt lgkmcnt(0)
	v_mul_f64 v[32:33], v[13:14], v[30:31]
	v_mul_f64 v[30:31], v[11:12], v[30:31]
	v_fma_f64 v[11:12], v[11:12], v[28:29], -v[32:33]
	v_fma_f64 v[13:14], v[13:14], v[28:29], v[30:31]
	ds_write_b128 v20, v[11:14]
.LBB179_364:
	s_or_b64 exec, exec, s[10:11]
	s_waitcnt lgkmcnt(0)
	s_barrier
	s_barrier
	s_and_saveexec_b64 s[10:11], s[16:17]
; %bb.365:
	v_xor_b32_e32 v14, 0x80000000, v14
	v_xor_b32_e32 v12, 0x80000000, v12
	ds_write_b128 v18, v[11:14] offset:8512
; %bb.366:
	s_or_b64 exec, exec, s[10:11]
	s_waitcnt lgkmcnt(0)
	s_barrier
	s_barrier
	s_and_saveexec_b64 s[10:11], s[58:59]
	s_cbranch_execz .LBB179_368
; %bb.367:
	v_lshlrev_b32_e32 v28, 4, v0
	s_movk_i32 s12, 0x1f0
	v_mad_u32_u24 v29, v0, s12, v28
	ds_read_b128 v[11:14], v29 offset:8512
	s_waitcnt lgkmcnt(0)
	ds_write_b128 v28, v[11:14] offset:10496
	ds_read_b128 v[11:14], v29 offset:8528
	s_waitcnt lgkmcnt(0)
	ds_write_b128 v28, v[11:14] offset:11008
	;; [unrolled: 3-line block ×4, first 2 shown]
.LBB179_368:
	s_or_b64 exec, exec, s[10:11]
	s_waitcnt lgkmcnt(0)
	s_barrier
	s_and_saveexec_b64 s[10:11], vcc
	s_cbranch_execz .LBB179_370
; %bb.369:
	v_mov_b32_e32 v38, 0
	ds_read_b128 v[11:14], v38 offset:11088
	ds_read_b128 v[28:31], v38 offset:10560
	;; [unrolled: 1-line block ×3, first 2 shown]
	s_waitcnt lgkmcnt(1)
	v_mul_f64 v[36:37], v[11:12], v[30:31]
	v_mul_f64 v[30:31], v[13:14], v[30:31]
	v_fma_f64 v[13:14], v[13:14], v[28:29], v[36:37]
	v_fma_f64 v[11:12], v[11:12], v[28:29], -v[30:31]
	s_waitcnt lgkmcnt(0)
	v_mul_f64 v[28:29], v[13:14], v[34:35]
	v_mul_f64 v[30:31], v[11:12], v[34:35]
	v_fma_f64 v[11:12], v[32:33], v[11:12], -v[28:29]
	v_fma_f64 v[13:14], v[32:33], v[13:14], v[30:31]
	ds_write_b128 v38, v[11:14] offset:10576
	ds_write_b128 v38, v[11:14] offset:11072
.LBB179_370:
	s_or_b64 exec, exec, s[10:11]
	v_mov_b32_e32 v13, 0
	v_mov_b32_e32 v11, 0
	;; [unrolled: 1-line block ×4, first 2 shown]
	s_waitcnt lgkmcnt(0)
	s_barrier
	s_and_saveexec_b64 s[12:13], s[2:3]
	s_cbranch_execz .LBB179_374
; %bb.371:
	v_mul_u32_u24_e32 v11, 0x210, v17
	ds_read_b128 v[11:14], v11 offset:10560
	ds_read_b128 v[28:31], v15 offset:10592
	v_cmp_gt_u32_e64 s[10:11], 2, v1
	s_waitcnt lgkmcnt(0)
	v_mul_f64 v[32:33], v[13:14], v[30:31]
	v_mul_f64 v[30:31], v[11:12], v[30:31]
	v_fma_f64 v[11:12], v[11:12], v[28:29], -v[32:33]
	v_fma_f64 v[13:14], v[13:14], v[28:29], v[30:31]
	v_add_f64 v[11:12], v[11:12], 0
	v_add_f64 v[13:14], v[13:14], 0
	s_and_saveexec_b64 s[14:15], s[10:11]
	s_cbranch_execz .LBB179_373
; %bb.372:
	v_lshlrev_b32_e32 v32, 4, v0
	v_mov_b32_e32 v28, 0
	ds_read_b128 v[28:31], v28 offset:10576
	ds_read_b128 v[32:35], v32 offset:11104
	s_waitcnt lgkmcnt(0)
	v_mul_f64 v[36:37], v[30:31], v[34:35]
	v_mul_f64 v[34:35], v[28:29], v[34:35]
	v_fma_f64 v[28:29], v[28:29], v[32:33], -v[36:37]
	v_fma_f64 v[30:31], v[30:31], v[32:33], v[34:35]
	v_add_f64 v[11:12], v[11:12], v[28:29]
	v_add_f64 v[13:14], v[13:14], v[30:31]
.LBB179_373:
	s_or_b64 exec, exec, s[14:15]
	v_xor_b32_e32 v12, 0x80000000, v12
	v_xor_b32_e32 v14, 0x80000000, v14
.LBB179_374:
	s_or_b64 exec, exec, s[12:13]
	s_and_saveexec_b64 s[10:11], s[42:43]
	s_cbranch_execz .LBB179_376
; %bb.375:
	v_mov_b32_e32 v28, 0
	ds_read_b128 v[28:31], v28 offset:11616
	s_waitcnt lgkmcnt(0)
	v_mul_f64 v[32:33], v[13:14], v[30:31]
	v_mul_f64 v[30:31], v[11:12], v[30:31]
	v_fma_f64 v[11:12], v[11:12], v[28:29], -v[32:33]
	v_fma_f64 v[13:14], v[13:14], v[28:29], v[30:31]
	ds_write_b128 v16, v[11:14]
.LBB179_376:
	s_or_b64 exec, exec, s[10:11]
	s_waitcnt lgkmcnt(0)
	s_barrier
	s_and_saveexec_b64 s[10:11], s[40:41]
	s_cbranch_execz .LBB179_378
; %bb.377:
	v_mov_b32_e32 v32, 0
	ds_read_b128 v[28:31], v16
	ds_read_b128 v[32:35], v32 offset:11632
	s_waitcnt lgkmcnt(0)
	v_mul_f64 v[36:37], v[30:31], v[34:35]
	v_mul_f64 v[34:35], v[28:29], v[34:35]
	v_fma_f64 v[28:29], v[28:29], v[32:33], -v[36:37]
	v_fma_f64 v[30:31], v[30:31], v[32:33], v[34:35]
	v_add_f64 v[11:12], v[11:12], v[28:29]
	v_add_f64 v[13:14], v[13:14], v[30:31]
.LBB179_378:
	s_or_b64 exec, exec, s[10:11]
	s_barrier
	s_and_saveexec_b64 s[10:11], s[40:41]
	s_cbranch_execz .LBB179_380
; %bb.379:
	v_mov_b32_e32 v28, 0
	ds_read_b128 v[28:31], v28 offset:12144
	s_waitcnt lgkmcnt(0)
	v_mul_f64 v[32:33], v[13:14], v[30:31]
	v_mul_f64 v[30:31], v[11:12], v[30:31]
	v_fma_f64 v[11:12], v[11:12], v[28:29], -v[32:33]
	v_fma_f64 v[13:14], v[13:14], v[28:29], v[30:31]
	ds_write_b128 v16, v[11:14]
.LBB179_380:
	s_or_b64 exec, exec, s[10:11]
	s_waitcnt lgkmcnt(0)
	s_barrier
	s_barrier
	s_and_saveexec_b64 s[10:11], s[2:3]
; %bb.381:
	v_xor_b32_e32 v12, 0x80000000, v12
	v_xor_b32_e32 v14, 0x80000000, v14
	ds_write_b128 v15, v[11:14] offset:10592
; %bb.382:
	s_or_b64 exec, exec, s[10:11]
	s_waitcnt lgkmcnt(0)
	s_barrier
	s_barrier
	s_and_saveexec_b64 s[10:11], s[44:45]
	s_cbranch_execz .LBB179_384
; %bb.383:
	v_lshlrev_b32_e32 v28, 9, v0
	ds_read_b128 v[11:14], v28 offset:10592
	s_movk_i32 s12, 0xfe10
	v_mad_i32_i24 v29, v0, s12, v28
	s_waitcnt lgkmcnt(0)
	ds_write_b128 v29, v[11:14] offset:11584
	ds_read_b128 v[11:14], v28 offset:10608
	s_waitcnt lgkmcnt(0)
	ds_write_b128 v29, v[11:14] offset:12096
.LBB179_384:
	s_or_b64 exec, exec, s[10:11]
	s_waitcnt lgkmcnt(0)
	s_barrier
	s_and_saveexec_b64 s[10:11], vcc
	s_cbranch_execz .LBB179_386
; %bb.385:
	v_mov_b32_e32 v38, 0
	ds_read_b128 v[11:14], v38 offset:12144
	ds_read_b128 v[28:31], v38 offset:11616
	;; [unrolled: 1-line block ×3, first 2 shown]
	s_waitcnt lgkmcnt(1)
	v_mul_f64 v[36:37], v[11:12], v[30:31]
	v_mul_f64 v[30:31], v[13:14], v[30:31]
	v_fma_f64 v[13:14], v[13:14], v[28:29], v[36:37]
	v_fma_f64 v[11:12], v[11:12], v[28:29], -v[30:31]
	s_waitcnt lgkmcnt(0)
	v_mul_f64 v[28:29], v[13:14], v[34:35]
	v_mul_f64 v[30:31], v[11:12], v[34:35]
	v_fma_f64 v[11:12], v[32:33], v[11:12], -v[28:29]
	v_fma_f64 v[13:14], v[32:33], v[13:14], v[30:31]
	ds_write_b128 v38, v[11:14] offset:11632
	ds_write_b128 v38, v[11:14] offset:12128
.LBB179_386:
	s_or_b64 exec, exec, s[10:11]
	v_mov_b32_e32 v13, 0
	v_mov_b32_e32 v11, 0
	;; [unrolled: 1-line block ×4, first 2 shown]
	s_waitcnt lgkmcnt(0)
	s_barrier
	s_and_saveexec_b64 s[12:13], s[8:9]
	s_cbranch_execz .LBB179_396
; %bb.387:
	v_mul_u32_u24_e32 v28, 0x210, v27
	ds_read_b128 v[11:14], v28 offset:8448
	ds_read_b128 v[29:32], v23 offset:8576
	v_cmp_gt_u32_e64 s[10:11], 56, v1
	s_waitcnt lgkmcnt(0)
	v_mul_f64 v[33:34], v[13:14], v[31:32]
	v_mul_f64 v[31:32], v[11:12], v[31:32]
	v_fma_f64 v[11:12], v[11:12], v[29:30], -v[33:34]
	v_fma_f64 v[13:14], v[13:14], v[29:30], v[31:32]
	v_add_f64 v[11:12], v[11:12], 0
	v_add_f64 v[13:14], v[13:14], 0
	s_and_saveexec_b64 s[14:15], s[10:11]
	s_cbranch_execnz .LBB179_566
; %bb.388:
	s_or_b64 exec, exec, s[14:15]
	v_cmp_gt_u32_e64 s[10:11], 48, v1
	s_and_saveexec_b64 s[14:15], s[10:11]
	s_cbranch_execnz .LBB179_567
.LBB179_389:
	s_or_b64 exec, exec, s[14:15]
	v_cmp_gt_u32_e64 s[10:11], 40, v1
	s_and_saveexec_b64 s[14:15], s[10:11]
	s_cbranch_execnz .LBB179_568
.LBB179_390:
	s_or_b64 exec, exec, s[14:15]
	v_cmp_gt_u32_e64 s[10:11], 32, v1
	s_and_saveexec_b64 s[14:15], s[10:11]
	s_cbranch_execnz .LBB179_569
.LBB179_391:
	s_or_b64 exec, exec, s[14:15]
	v_cmp_gt_u32_e64 s[10:11], 24, v1
	s_and_saveexec_b64 s[14:15], s[10:11]
	s_cbranch_execnz .LBB179_570
.LBB179_392:
	s_or_b64 exec, exec, s[14:15]
	v_cmp_gt_u32_e64 s[10:11], 16, v1
	s_and_saveexec_b64 s[14:15], s[10:11]
	s_cbranch_execnz .LBB179_571
.LBB179_393:
	s_or_b64 exec, exec, s[14:15]
	v_cmp_gt_u32_e64 s[10:11], 8, v1
	s_and_saveexec_b64 s[14:15], s[10:11]
	s_cbranch_execz .LBB179_395
.LBB179_394:
	v_lshlrev_b32_e32 v30, 4, v0
	v_mov_b32_e32 v26, 0
	ds_read_b128 v[26:29], v26 offset:8560
	ds_read_b128 v[30:33], v30 offset:12160
	s_waitcnt lgkmcnt(0)
	v_mul_f64 v[34:35], v[28:29], v[32:33]
	v_mul_f64 v[32:33], v[26:27], v[32:33]
	v_fma_f64 v[26:27], v[26:27], v[30:31], -v[34:35]
	v_fma_f64 v[28:29], v[28:29], v[30:31], v[32:33]
	v_add_f64 v[11:12], v[11:12], v[26:27]
	v_add_f64 v[13:14], v[13:14], v[28:29]
.LBB179_395:
	s_or_b64 exec, exec, s[14:15]
	v_xor_b32_e32 v12, 0x80000000, v12
	v_xor_b32_e32 v14, 0x80000000, v14
.LBB179_396:
	s_or_b64 exec, exec, s[12:13]
	s_and_saveexec_b64 s[10:11], s[0:1]
	s_cbranch_execz .LBB179_398
; %bb.397:
	v_mov_b32_e32 v26, 0
	ds_read_b128 v[26:29], v26 offset:12672
	s_waitcnt lgkmcnt(0)
	v_mul_f64 v[30:31], v[13:14], v[28:29]
	v_mul_f64 v[28:29], v[11:12], v[28:29]
	v_fma_f64 v[11:12], v[11:12], v[26:27], -v[30:31]
	v_fma_f64 v[13:14], v[13:14], v[26:27], v[28:29]
	ds_write_b128 v25, v[11:14]
.LBB179_398:
	s_or_b64 exec, exec, s[10:11]
	s_waitcnt lgkmcnt(0)
	s_barrier
	s_and_saveexec_b64 s[10:11], s[64:65]
	s_cbranch_execz .LBB179_400
; %bb.399:
	ds_read_b128 v[26:29], v25
	ds_read_b128 v[30:33], v24 offset:12672
	s_waitcnt lgkmcnt(0)
	v_mul_f64 v[34:35], v[28:29], v[32:33]
	v_mul_f64 v[32:33], v[26:27], v[32:33]
	v_fma_f64 v[26:27], v[26:27], v[30:31], -v[34:35]
	v_fma_f64 v[28:29], v[28:29], v[30:31], v[32:33]
	v_add_f64 v[11:12], v[11:12], v[26:27]
	v_add_f64 v[13:14], v[13:14], v[28:29]
.LBB179_400:
	s_or_b64 exec, exec, s[10:11]
	s_barrier
	s_and_saveexec_b64 s[10:11], s[66:67]
	s_cbranch_execz .LBB179_402
; %bb.401:
	v_mov_b32_e32 v26, 0
	ds_read_b128 v[26:29], v26 offset:13200
	s_waitcnt lgkmcnt(0)
	v_mul_f64 v[30:31], v[13:14], v[28:29]
	v_mul_f64 v[28:29], v[11:12], v[28:29]
	v_fma_f64 v[11:12], v[11:12], v[26:27], -v[30:31]
	v_fma_f64 v[13:14], v[13:14], v[26:27], v[28:29]
	ds_write_b128 v25, v[11:14]
.LBB179_402:
	s_or_b64 exec, exec, s[10:11]
	s_waitcnt lgkmcnt(0)
	s_barrier
	s_and_saveexec_b64 s[10:11], s[68:69]
	s_cbranch_execz .LBB179_404
; %bb.403:
	ds_read_b128 v[26:29], v25
	ds_read_b128 v[30:33], v24 offset:13184
	s_waitcnt lgkmcnt(0)
	v_mul_f64 v[34:35], v[28:29], v[32:33]
	v_mul_f64 v[32:33], v[26:27], v[32:33]
	v_fma_f64 v[26:27], v[26:27], v[30:31], -v[34:35]
	v_fma_f64 v[28:29], v[28:29], v[30:31], v[32:33]
	v_add_f64 v[11:12], v[11:12], v[26:27]
	v_add_f64 v[13:14], v[13:14], v[28:29]
.LBB179_404:
	s_or_b64 exec, exec, s[10:11]
	s_barrier
	;; [unrolled: 30-line block ×6, first 2 shown]
	s_and_saveexec_b64 s[10:11], s[86:87]
	s_cbranch_execz .LBB179_422
; %bb.421:
	v_mov_b32_e32 v24, 0
	ds_read_b128 v[26:29], v24 offset:15840
	s_waitcnt lgkmcnt(0)
	v_mul_f64 v[30:31], v[13:14], v[28:29]
	v_mul_f64 v[28:29], v[11:12], v[28:29]
	v_fma_f64 v[11:12], v[11:12], v[26:27], -v[30:31]
	v_fma_f64 v[13:14], v[13:14], v[26:27], v[28:29]
	ds_write_b128 v25, v[11:14]
.LBB179_422:
	s_or_b64 exec, exec, s[10:11]
	s_waitcnt lgkmcnt(0)
	s_barrier
	s_and_saveexec_b64 s[10:11], s[60:61]
	s_cbranch_execz .LBB179_424
; %bb.423:
	v_mov_b32_e32 v24, 0
	ds_read_b128 v[26:29], v25
	ds_read_b128 v[30:33], v24 offset:15856
	s_waitcnt lgkmcnt(0)
	v_mul_f64 v[34:35], v[28:29], v[32:33]
	v_mul_f64 v[32:33], v[26:27], v[32:33]
	v_fma_f64 v[26:27], v[26:27], v[30:31], -v[34:35]
	v_fma_f64 v[28:29], v[28:29], v[30:31], v[32:33]
	v_add_f64 v[11:12], v[11:12], v[26:27]
	v_add_f64 v[13:14], v[13:14], v[28:29]
.LBB179_424:
	s_or_b64 exec, exec, s[10:11]
	s_barrier
	s_and_saveexec_b64 s[10:11], s[60:61]
	s_cbranch_execz .LBB179_426
; %bb.425:
	v_mov_b32_e32 v24, 0
	ds_read_b128 v[26:29], v24 offset:16368
	s_waitcnt lgkmcnt(0)
	v_mul_f64 v[30:31], v[13:14], v[28:29]
	v_mul_f64 v[28:29], v[11:12], v[28:29]
	v_fma_f64 v[11:12], v[11:12], v[26:27], -v[30:31]
	v_fma_f64 v[13:14], v[13:14], v[26:27], v[28:29]
	ds_write_b128 v25, v[11:14]
.LBB179_426:
	s_or_b64 exec, exec, s[10:11]
	s_waitcnt lgkmcnt(0)
	s_barrier
	s_barrier
	s_and_saveexec_b64 s[10:11], s[8:9]
; %bb.427:
	v_xor_b32_e32 v12, 0x80000000, v12
	v_xor_b32_e32 v14, 0x80000000, v14
	ds_write_b128 v23, v[11:14] offset:8576
; %bb.428:
	s_or_b64 exec, exec, s[10:11]
	s_waitcnt lgkmcnt(0)
	s_barrier
	s_barrier
	s_and_saveexec_b64 s[8:9], s[88:89]
	s_cbranch_execz .LBB179_430
; %bb.429:
	v_lshlrev_b32_e32 v23, 9, v0
	ds_read_b128 v[11:14], v23 offset:8576
	s_movk_i32 s0, 0xfe10
	v_mad_i32_i24 v24, v0, s0, v23
	s_waitcnt lgkmcnt(0)
	ds_write_b128 v24, v[11:14] offset:12544
	ds_read_b128 v[11:14], v23 offset:8592
	s_waitcnt lgkmcnt(0)
	ds_write_b128 v24, v[11:14] offset:13056
	ds_read_b128 v[11:14], v23 offset:8608
	;; [unrolled: 3-line block ×7, first 2 shown]
	s_waitcnt lgkmcnt(0)
	ds_write_b128 v24, v[11:14] offset:16128
.LBB179_430:
	s_or_b64 exec, exec, s[8:9]
	s_waitcnt lgkmcnt(0)
	s_barrier
	s_and_saveexec_b64 s[8:9], vcc
	s_cbranch_execz .LBB179_432
; %bb.431:
	v_mov_b32_e32 v33, 0
	ds_read_b128 v[11:14], v33 offset:13200
	ds_read_b128 v[23:26], v33 offset:12672
	ds_read_b128 v[27:30], v33 offset:12688
	s_waitcnt lgkmcnt(1)
	v_mul_f64 v[31:32], v[11:12], v[25:26]
	v_mul_f64 v[25:26], v[13:14], v[25:26]
	v_fma_f64 v[13:14], v[13:14], v[23:24], v[31:32]
	v_fma_f64 v[11:12], v[11:12], v[23:24], -v[25:26]
	s_waitcnt lgkmcnt(0)
	v_mul_f64 v[23:24], v[13:14], v[29:30]
	v_mul_f64 v[25:26], v[11:12], v[29:30]
	v_fma_f64 v[11:12], v[27:28], v[11:12], -v[23:24]
	v_fma_f64 v[13:14], v[27:28], v[13:14], v[25:26]
	ds_write_b128 v33, v[11:14] offset:12688
	ds_write_b128 v33, v[11:14] offset:13184
.LBB179_432:
	s_or_b64 exec, exec, s[8:9]
	v_mov_b32_e32 v13, 0
	v_mov_b32_e32 v11, 0
	;; [unrolled: 1-line block ×4, first 2 shown]
	s_waitcnt lgkmcnt(0)
	s_barrier
	s_and_saveexec_b64 s[10:11], s[2:3]
	s_cbranch_execz .LBB179_436
; %bb.433:
	v_mul_u32_u24_e32 v11, 0x210, v17
	ds_read_b128 v[11:14], v11 offset:12672
	ds_read_b128 v[23:26], v15 offset:12704
	v_cmp_gt_u32_e64 s[8:9], 2, v1
	s_waitcnt lgkmcnt(0)
	v_mul_f64 v[27:28], v[13:14], v[25:26]
	v_mul_f64 v[25:26], v[11:12], v[25:26]
	v_fma_f64 v[11:12], v[11:12], v[23:24], -v[27:28]
	v_fma_f64 v[13:14], v[13:14], v[23:24], v[25:26]
	v_add_f64 v[11:12], v[11:12], 0
	v_add_f64 v[13:14], v[13:14], 0
	s_and_saveexec_b64 s[12:13], s[8:9]
	s_cbranch_execz .LBB179_435
; %bb.434:
	v_lshlrev_b32_e32 v27, 4, v0
	v_mov_b32_e32 v23, 0
	ds_read_b128 v[23:26], v23 offset:12688
	ds_read_b128 v[27:30], v27 offset:13216
	s_waitcnt lgkmcnt(0)
	v_mul_f64 v[31:32], v[25:26], v[29:30]
	v_mul_f64 v[29:30], v[23:24], v[29:30]
	v_fma_f64 v[23:24], v[23:24], v[27:28], -v[31:32]
	v_fma_f64 v[25:26], v[25:26], v[27:28], v[29:30]
	v_add_f64 v[11:12], v[11:12], v[23:24]
	v_add_f64 v[13:14], v[13:14], v[25:26]
.LBB179_435:
	s_or_b64 exec, exec, s[12:13]
	v_xor_b32_e32 v12, 0x80000000, v12
	v_xor_b32_e32 v14, 0x80000000, v14
.LBB179_436:
	s_or_b64 exec, exec, s[10:11]
	s_and_saveexec_b64 s[8:9], s[42:43]
	s_cbranch_execz .LBB179_438
; %bb.437:
	v_mov_b32_e32 v23, 0
	ds_read_b128 v[23:26], v23 offset:13728
	s_waitcnt lgkmcnt(0)
	v_mul_f64 v[27:28], v[13:14], v[25:26]
	v_mul_f64 v[25:26], v[11:12], v[25:26]
	v_fma_f64 v[11:12], v[11:12], v[23:24], -v[27:28]
	v_fma_f64 v[13:14], v[13:14], v[23:24], v[25:26]
	ds_write_b128 v16, v[11:14]
.LBB179_438:
	s_or_b64 exec, exec, s[8:9]
	s_waitcnt lgkmcnt(0)
	s_barrier
	s_and_saveexec_b64 s[8:9], s[40:41]
	s_cbranch_execz .LBB179_440
; %bb.439:
	v_mov_b32_e32 v27, 0
	ds_read_b128 v[23:26], v16
	ds_read_b128 v[27:30], v27 offset:13744
	s_waitcnt lgkmcnt(0)
	v_mul_f64 v[31:32], v[25:26], v[29:30]
	v_mul_f64 v[29:30], v[23:24], v[29:30]
	v_fma_f64 v[23:24], v[23:24], v[27:28], -v[31:32]
	v_fma_f64 v[25:26], v[25:26], v[27:28], v[29:30]
	v_add_f64 v[11:12], v[11:12], v[23:24]
	v_add_f64 v[13:14], v[13:14], v[25:26]
.LBB179_440:
	s_or_b64 exec, exec, s[8:9]
	s_barrier
	s_and_saveexec_b64 s[8:9], s[40:41]
	s_cbranch_execz .LBB179_442
; %bb.441:
	v_mov_b32_e32 v23, 0
	ds_read_b128 v[23:26], v23 offset:14256
	s_waitcnt lgkmcnt(0)
	v_mul_f64 v[27:28], v[13:14], v[25:26]
	v_mul_f64 v[25:26], v[11:12], v[25:26]
	v_fma_f64 v[11:12], v[11:12], v[23:24], -v[27:28]
	v_fma_f64 v[13:14], v[13:14], v[23:24], v[25:26]
	ds_write_b128 v16, v[11:14]
.LBB179_442:
	s_or_b64 exec, exec, s[8:9]
	s_waitcnt lgkmcnt(0)
	s_barrier
	s_barrier
	s_and_saveexec_b64 s[8:9], s[2:3]
; %bb.443:
	v_xor_b32_e32 v12, 0x80000000, v12
	v_xor_b32_e32 v14, 0x80000000, v14
	ds_write_b128 v15, v[11:14] offset:12704
; %bb.444:
	s_or_b64 exec, exec, s[8:9]
	s_waitcnt lgkmcnt(0)
	s_barrier
	s_barrier
	s_and_saveexec_b64 s[8:9], s[44:45]
	s_cbranch_execz .LBB179_446
; %bb.445:
	v_lshlrev_b32_e32 v23, 9, v0
	ds_read_b128 v[11:14], v23 offset:12704
	s_movk_i32 s0, 0xfe10
	v_mad_i32_i24 v24, v0, s0, v23
	s_waitcnt lgkmcnt(0)
	ds_write_b128 v24, v[11:14] offset:13696
	ds_read_b128 v[11:14], v23 offset:12720
	s_waitcnt lgkmcnt(0)
	ds_write_b128 v24, v[11:14] offset:14208
.LBB179_446:
	s_or_b64 exec, exec, s[8:9]
	s_waitcnt lgkmcnt(0)
	s_barrier
	s_and_saveexec_b64 s[8:9], vcc
	s_cbranch_execz .LBB179_448
; %bb.447:
	v_mov_b32_e32 v33, 0
	ds_read_b128 v[11:14], v33 offset:14256
	ds_read_b128 v[23:26], v33 offset:13728
	;; [unrolled: 1-line block ×3, first 2 shown]
	s_waitcnt lgkmcnt(1)
	v_mul_f64 v[31:32], v[11:12], v[25:26]
	v_mul_f64 v[25:26], v[13:14], v[25:26]
	v_fma_f64 v[13:14], v[13:14], v[23:24], v[31:32]
	v_fma_f64 v[11:12], v[11:12], v[23:24], -v[25:26]
	s_waitcnt lgkmcnt(0)
	v_mul_f64 v[23:24], v[13:14], v[29:30]
	v_mul_f64 v[25:26], v[11:12], v[29:30]
	v_fma_f64 v[11:12], v[27:28], v[11:12], -v[23:24]
	v_fma_f64 v[13:14], v[27:28], v[13:14], v[25:26]
	ds_write_b128 v33, v[11:14] offset:13744
	ds_write_b128 v33, v[11:14] offset:14240
.LBB179_448:
	s_or_b64 exec, exec, s[8:9]
	v_mov_b32_e32 v13, 0
	v_mov_b32_e32 v11, 0
	;; [unrolled: 1-line block ×4, first 2 shown]
	s_waitcnt lgkmcnt(0)
	s_barrier
	s_and_saveexec_b64 s[10:11], s[16:17]
	s_cbranch_execz .LBB179_454
; %bb.449:
	v_mul_u32_u24_e32 v23, 0x210, v22
	ds_read_b128 v[11:14], v23 offset:12672
	ds_read_b128 v[24:27], v18 offset:12736
	v_cmp_gt_u32_e64 s[8:9], 12, v1
	s_waitcnt lgkmcnt(0)
	v_mul_f64 v[28:29], v[13:14], v[26:27]
	v_mul_f64 v[26:27], v[11:12], v[26:27]
	v_fma_f64 v[11:12], v[11:12], v[24:25], -v[28:29]
	v_fma_f64 v[13:14], v[13:14], v[24:25], v[26:27]
	v_add_f64 v[11:12], v[11:12], 0
	v_add_f64 v[13:14], v[13:14], 0
	s_and_saveexec_b64 s[12:13], s[8:9]
	s_cbranch_execnz .LBB179_572
; %bb.450:
	s_or_b64 exec, exec, s[12:13]
	v_cmp_gt_u32_e64 s[8:9], 8, v1
	s_and_saveexec_b64 s[12:13], s[8:9]
	s_cbranch_execnz .LBB179_573
.LBB179_451:
	s_or_b64 exec, exec, s[12:13]
	v_cmp_gt_u32_e64 s[8:9], 4, v1
	s_and_saveexec_b64 s[12:13], s[8:9]
	s_cbranch_execz .LBB179_453
.LBB179_452:
	v_lshlrev_b32_e32 v25, 4, v0
	v_mov_b32_e32 v21, 0
	ds_read_b128 v[21:24], v21 offset:12720
	ds_read_b128 v[25:28], v25 offset:14272
	s_waitcnt lgkmcnt(0)
	v_mul_f64 v[29:30], v[23:24], v[27:28]
	v_mul_f64 v[27:28], v[21:22], v[27:28]
	v_fma_f64 v[21:22], v[21:22], v[25:26], -v[29:30]
	v_fma_f64 v[23:24], v[23:24], v[25:26], v[27:28]
	v_add_f64 v[11:12], v[11:12], v[21:22]
	v_add_f64 v[13:14], v[13:14], v[23:24]
.LBB179_453:
	s_or_b64 exec, exec, s[12:13]
	v_xor_b32_e32 v12, 0x80000000, v12
	v_xor_b32_e32 v14, 0x80000000, v14
.LBB179_454:
	s_or_b64 exec, exec, s[10:11]
	s_and_saveexec_b64 s[8:9], s[48:49]
	s_cbranch_execz .LBB179_456
; %bb.455:
	v_mov_b32_e32 v21, 0
	ds_read_b128 v[21:24], v21 offset:14784
	s_waitcnt lgkmcnt(0)
	v_mul_f64 v[25:26], v[13:14], v[23:24]
	v_mul_f64 v[23:24], v[11:12], v[23:24]
	v_fma_f64 v[11:12], v[11:12], v[21:22], -v[25:26]
	v_fma_f64 v[13:14], v[13:14], v[21:22], v[23:24]
	ds_write_b128 v20, v[11:14]
.LBB179_456:
	s_or_b64 exec, exec, s[8:9]
	s_waitcnt lgkmcnt(0)
	s_barrier
	s_and_saveexec_b64 s[8:9], s[50:51]
	v_readlane_b32 s48, v43, 1
	v_readlane_b32 s49, v43, 2
	s_cbranch_execz .LBB179_458
; %bb.457:
	ds_read_b128 v[21:24], v20
	ds_read_b128 v[25:28], v19 offset:14784
	s_waitcnt lgkmcnt(0)
	v_mul_f64 v[29:30], v[23:24], v[27:28]
	v_mul_f64 v[27:28], v[21:22], v[27:28]
	v_fma_f64 v[21:22], v[21:22], v[25:26], -v[29:30]
	v_fma_f64 v[23:24], v[23:24], v[25:26], v[27:28]
	v_add_f64 v[11:12], v[11:12], v[21:22]
	v_add_f64 v[13:14], v[13:14], v[23:24]
.LBB179_458:
	s_or_b64 exec, exec, s[8:9]
	s_barrier
	s_and_saveexec_b64 s[8:9], s[52:53]
	s_cbranch_execz .LBB179_460
; %bb.459:
	v_mov_b32_e32 v21, 0
	ds_read_b128 v[21:24], v21 offset:15312
	s_waitcnt lgkmcnt(0)
	v_mul_f64 v[25:26], v[13:14], v[23:24]
	v_mul_f64 v[23:24], v[11:12], v[23:24]
	v_fma_f64 v[11:12], v[11:12], v[21:22], -v[25:26]
	v_fma_f64 v[13:14], v[13:14], v[21:22], v[23:24]
	ds_write_b128 v20, v[11:14]
.LBB179_460:
	s_or_b64 exec, exec, s[8:9]
	s_waitcnt lgkmcnt(0)
	s_barrier
	s_and_saveexec_b64 s[8:9], s[54:55]
	s_cbranch_execz .LBB179_462
; %bb.461:
	ds_read_b128 v[21:24], v20
	ds_read_b128 v[25:28], v19 offset:15296
	s_waitcnt lgkmcnt(0)
	v_mul_f64 v[29:30], v[23:24], v[27:28]
	v_mul_f64 v[27:28], v[21:22], v[27:28]
	v_fma_f64 v[21:22], v[21:22], v[25:26], -v[29:30]
	v_fma_f64 v[23:24], v[23:24], v[25:26], v[27:28]
	v_add_f64 v[11:12], v[11:12], v[21:22]
	v_add_f64 v[13:14], v[13:14], v[23:24]
.LBB179_462:
	s_or_b64 exec, exec, s[8:9]
	s_barrier
	s_and_saveexec_b64 s[8:9], s[56:57]
	s_cbranch_execz .LBB179_464
; %bb.463:
	v_mov_b32_e32 v19, 0
	ds_read_b128 v[21:24], v19 offset:15840
	s_waitcnt lgkmcnt(0)
	v_mul_f64 v[25:26], v[13:14], v[23:24]
	v_mul_f64 v[23:24], v[11:12], v[23:24]
	v_fma_f64 v[11:12], v[11:12], v[21:22], -v[25:26]
	v_fma_f64 v[13:14], v[13:14], v[21:22], v[23:24]
	ds_write_b128 v20, v[11:14]
.LBB179_464:
	s_or_b64 exec, exec, s[8:9]
	s_waitcnt lgkmcnt(0)
	s_barrier
	s_and_saveexec_b64 s[8:9], s[46:47]
	s_cbranch_execz .LBB179_466
; %bb.465:
	v_mov_b32_e32 v19, 0
	ds_read_b128 v[21:24], v20
	ds_read_b128 v[25:28], v19 offset:15856
	s_waitcnt lgkmcnt(0)
	v_mul_f64 v[29:30], v[23:24], v[27:28]
	v_mul_f64 v[27:28], v[21:22], v[27:28]
	v_fma_f64 v[21:22], v[21:22], v[25:26], -v[29:30]
	v_fma_f64 v[23:24], v[23:24], v[25:26], v[27:28]
	v_add_f64 v[11:12], v[11:12], v[21:22]
	v_add_f64 v[13:14], v[13:14], v[23:24]
.LBB179_466:
	s_or_b64 exec, exec, s[8:9]
	s_barrier
	s_and_saveexec_b64 s[8:9], s[46:47]
	s_cbranch_execz .LBB179_468
; %bb.467:
	v_mov_b32_e32 v19, 0
	ds_read_b128 v[21:24], v19 offset:16368
	s_waitcnt lgkmcnt(0)
	v_mul_f64 v[25:26], v[13:14], v[23:24]
	v_mul_f64 v[23:24], v[11:12], v[23:24]
	v_fma_f64 v[11:12], v[11:12], v[21:22], -v[25:26]
	v_fma_f64 v[13:14], v[13:14], v[21:22], v[23:24]
	ds_write_b128 v20, v[11:14]
.LBB179_468:
	s_or_b64 exec, exec, s[8:9]
	s_waitcnt lgkmcnt(0)
	s_barrier
	s_barrier
	s_and_saveexec_b64 s[8:9], s[16:17]
; %bb.469:
	v_xor_b32_e32 v14, 0x80000000, v14
	v_xor_b32_e32 v12, 0x80000000, v12
	ds_write_b128 v18, v[11:14] offset:12736
; %bb.470:
	s_or_b64 exec, exec, s[8:9]
	s_waitcnt lgkmcnt(0)
	s_barrier
	s_barrier
	s_and_saveexec_b64 s[8:9], s[58:59]
	s_cbranch_execz .LBB179_472
; %bb.471:
	v_lshlrev_b32_e32 v18, 4, v0
	s_movk_i32 s0, 0x1f0
	v_mad_u32_u24 v19, v0, s0, v18
	ds_read_b128 v[11:14], v19 offset:12736
	s_waitcnt lgkmcnt(0)
	ds_write_b128 v18, v[11:14] offset:14720
	ds_read_b128 v[11:14], v19 offset:12752
	s_waitcnt lgkmcnt(0)
	ds_write_b128 v18, v[11:14] offset:15232
	;; [unrolled: 3-line block ×4, first 2 shown]
.LBB179_472:
	s_or_b64 exec, exec, s[8:9]
	s_waitcnt lgkmcnt(0)
	s_barrier
	s_and_saveexec_b64 s[8:9], vcc
	s_cbranch_execz .LBB179_474
; %bb.473:
	v_mov_b32_e32 v28, 0
	ds_read_b128 v[11:14], v28 offset:15312
	ds_read_b128 v[18:21], v28 offset:14784
	;; [unrolled: 1-line block ×3, first 2 shown]
	s_waitcnt lgkmcnt(1)
	v_mul_f64 v[26:27], v[11:12], v[20:21]
	v_mul_f64 v[20:21], v[13:14], v[20:21]
	v_fma_f64 v[13:14], v[13:14], v[18:19], v[26:27]
	v_fma_f64 v[11:12], v[11:12], v[18:19], -v[20:21]
	s_waitcnt lgkmcnt(0)
	v_mul_f64 v[18:19], v[13:14], v[24:25]
	v_mul_f64 v[20:21], v[11:12], v[24:25]
	v_fma_f64 v[11:12], v[22:23], v[11:12], -v[18:19]
	v_fma_f64 v[13:14], v[22:23], v[13:14], v[20:21]
	ds_write_b128 v28, v[11:14] offset:14800
	ds_write_b128 v28, v[11:14] offset:15296
.LBB179_474:
	s_or_b64 exec, exec, s[8:9]
	v_mov_b32_e32 v13, 0
	v_mov_b32_e32 v11, 0
	;; [unrolled: 1-line block ×4, first 2 shown]
	s_waitcnt lgkmcnt(0)
	s_barrier
	s_and_saveexec_b64 s[10:11], s[2:3]
	s_cbranch_execz .LBB179_478
; %bb.475:
	v_mul_u32_u24_e32 v11, 0x210, v17
	ds_read_b128 v[11:14], v11 offset:14784
	ds_read_b128 v[17:20], v15 offset:14816
	v_cmp_gt_u32_e64 s[8:9], 2, v1
	s_waitcnt lgkmcnt(0)
	v_mul_f64 v[21:22], v[13:14], v[19:20]
	v_mul_f64 v[19:20], v[11:12], v[19:20]
	v_fma_f64 v[11:12], v[11:12], v[17:18], -v[21:22]
	v_fma_f64 v[13:14], v[13:14], v[17:18], v[19:20]
	v_add_f64 v[11:12], v[11:12], 0
	v_add_f64 v[13:14], v[13:14], 0
	s_and_saveexec_b64 s[12:13], s[8:9]
	s_cbranch_execz .LBB179_477
; %bb.476:
	v_lshlrev_b32_e32 v21, 4, v0
	v_mov_b32_e32 v17, 0
	ds_read_b128 v[17:20], v17 offset:14800
	ds_read_b128 v[21:24], v21 offset:15328
	s_waitcnt lgkmcnt(0)
	v_mul_f64 v[25:26], v[19:20], v[23:24]
	v_mul_f64 v[23:24], v[17:18], v[23:24]
	v_fma_f64 v[17:18], v[17:18], v[21:22], -v[25:26]
	v_fma_f64 v[19:20], v[19:20], v[21:22], v[23:24]
	v_add_f64 v[11:12], v[11:12], v[17:18]
	v_add_f64 v[13:14], v[13:14], v[19:20]
.LBB179_477:
	s_or_b64 exec, exec, s[12:13]
	v_xor_b32_e32 v12, 0x80000000, v12
	v_xor_b32_e32 v14, 0x80000000, v14
.LBB179_478:
	s_or_b64 exec, exec, s[10:11]
	s_and_saveexec_b64 s[8:9], s[42:43]
	s_cbranch_execz .LBB179_480
; %bb.479:
	v_mov_b32_e32 v17, 0
	ds_read_b128 v[17:20], v17 offset:15840
	s_waitcnt lgkmcnt(0)
	v_mul_f64 v[21:22], v[13:14], v[19:20]
	v_mul_f64 v[19:20], v[11:12], v[19:20]
	v_fma_f64 v[11:12], v[11:12], v[17:18], -v[21:22]
	v_fma_f64 v[13:14], v[13:14], v[17:18], v[19:20]
	ds_write_b128 v16, v[11:14]
.LBB179_480:
	s_or_b64 exec, exec, s[8:9]
	s_waitcnt lgkmcnt(0)
	s_barrier
	s_and_saveexec_b64 s[8:9], s[40:41]
	s_load_dword s43, s[4:5], 0x6c
	v_readlane_b32 s42, v43, 0
	s_cbranch_execz .LBB179_482
; %bb.481:
	v_mov_b32_e32 v21, 0
	ds_read_b128 v[17:20], v16
	ds_read_b128 v[21:24], v21 offset:15856
	s_waitcnt lgkmcnt(0)
	v_mul_f64 v[25:26], v[19:20], v[23:24]
	v_mul_f64 v[23:24], v[17:18], v[23:24]
	v_fma_f64 v[17:18], v[17:18], v[21:22], -v[25:26]
	v_fma_f64 v[19:20], v[19:20], v[21:22], v[23:24]
	v_add_f64 v[11:12], v[11:12], v[17:18]
	v_add_f64 v[13:14], v[13:14], v[19:20]
.LBB179_482:
	s_or_b64 exec, exec, s[8:9]
	s_waitcnt lgkmcnt(0)
	s_barrier
	s_and_saveexec_b64 s[8:9], s[40:41]
	s_cbranch_execz .LBB179_484
; %bb.483:
	v_mov_b32_e32 v17, 0
	ds_read_b128 v[17:20], v17 offset:16368
	s_waitcnt lgkmcnt(0)
	v_mul_f64 v[21:22], v[13:14], v[19:20]
	v_mul_f64 v[19:20], v[11:12], v[19:20]
	v_fma_f64 v[11:12], v[11:12], v[17:18], -v[21:22]
	v_fma_f64 v[13:14], v[13:14], v[17:18], v[19:20]
	ds_write_b128 v16, v[11:14]
.LBB179_484:
	s_or_b64 exec, exec, s[8:9]
	s_waitcnt lgkmcnt(0)
	s_barrier
	s_barrier
	s_and_saveexec_b64 s[8:9], s[2:3]
; %bb.485:
	v_xor_b32_e32 v12, 0x80000000, v12
	v_xor_b32_e32 v14, 0x80000000, v14
	ds_write_b128 v15, v[11:14] offset:14816
; %bb.486:
	s_or_b64 exec, exec, s[8:9]
	s_waitcnt lgkmcnt(0)
	s_barrier
	s_barrier
	s_and_saveexec_b64 s[2:3], s[44:45]
	s_cbranch_execz .LBB179_488
; %bb.487:
	v_lshlrev_b32_e32 v15, 9, v0
	ds_read_b128 v[11:14], v15 offset:14816
	s_movk_i32 s0, 0xfe10
	v_mad_i32_i24 v16, v0, s0, v15
	s_waitcnt lgkmcnt(0)
	ds_write_b128 v16, v[11:14] offset:15808
	ds_read_b128 v[11:14], v15 offset:14832
	s_waitcnt lgkmcnt(0)
	ds_write_b128 v16, v[11:14] offset:16320
.LBB179_488:
	s_or_b64 exec, exec, s[2:3]
	s_waitcnt lgkmcnt(0)
	s_barrier
	s_and_saveexec_b64 s[2:3], vcc
	s_cbranch_execz .LBB179_490
; %bb.489:
	v_mov_b32_e32 v25, 0
	ds_read_b128 v[11:14], v25 offset:16368
	ds_read_b128 v[15:18], v25 offset:15840
	ds_read_b128 v[19:22], v25 offset:15856
	s_waitcnt lgkmcnt(1)
	v_mul_f64 v[23:24], v[11:12], v[17:18]
	v_mul_f64 v[17:18], v[13:14], v[17:18]
	v_fma_f64 v[13:14], v[13:14], v[15:16], v[23:24]
	v_fma_f64 v[11:12], v[11:12], v[15:16], -v[17:18]
	s_waitcnt lgkmcnt(0)
	v_mul_f64 v[15:16], v[13:14], v[21:22]
	v_mul_f64 v[17:18], v[11:12], v[21:22]
	v_fma_f64 v[11:12], v[19:20], v[11:12], -v[15:16]
	v_fma_f64 v[13:14], v[19:20], v[13:14], v[17:18]
	ds_write_b128 v25, v[11:14] offset:15856
	ds_write_b128 v25, v[11:14] offset:16352
.LBB179_490:
	s_or_b64 exec, exec, s[2:3]
.LBB179_491:
	s_lshl_b64 s[0:1], s[20:21], 4
	s_add_u32 s38, s38, s0
	v_cmp_le_i32_e32 vcc, s95, v0
	s_addc_u32 s39, s39, s1
	s_and_b64 s[16:17], vcc, s[34:35]
	v_cmp_eq_u32_e64 s[2:3], 0, v2
	s_xor_b64 s[0:1], s[16:17], -1
	v_mov_b32_e32 v13, 0
	v_mov_b32_e32 v11, 0
	s_and_b64 s[0:1], s[2:3], s[0:1]
	v_mov_b32_e32 v14, 0
	v_mov_b32_e32 v12, 0
	v_add_u32_e32 v16, s33, v0
	s_waitcnt lgkmcnt(0)
	s_barrier
	s_and_saveexec_b64 s[8:9], s[0:1]
	s_cbranch_execz .LBB179_493
; %bb.492:
	v_ashrrev_i32_e32 v13, 31, v16
	v_mul_lo_u32 v14, s23, v16
	v_mad_u64_u32 v[11:12], s[0:1], s22, v16, 0
	v_mul_lo_u32 v13, s22, v13
	v_add3_u32 v12, v12, v13, v14
	v_lshlrev_b64 v[11:12], 4, v[11:12]
	v_mov_b32_e32 v13, s39
	v_add_co_u32_e32 v11, vcc, s38, v11
	v_addc_co_u32_e32 v12, vcc, v13, v12, vcc
	flat_load_dwordx4 v[11:14], v[11:12]
	s_waitcnt vmcnt(0) lgkmcnt(0)
	v_mul_f64 v[17:18], s[24:25], v[11:12]
	v_mul_f64 v[19:20], s[24:25], v[13:14]
	v_fma_f64 v[13:14], s[26:27], v[13:14], -v[17:18]
	v_fma_f64 v[11:12], v[11:12], -s[26:27], -v[19:20]
.LBB179_493:
	s_or_b64 exec, exec, s[8:9]
	s_load_dwordx2 s[14:15], s[4:5], 0x50
	s_and_b32 s0, 0xffff, s43
	v_mad_u32_u24 v23, v2, s0, v0
	v_mov_b32_e32 v15, 0
	s_cmp_lt_i32 s6, 1
	v_cmp_eq_u32_e64 s[4:5], 0, v23
	s_cbranch_scc1 .LBB179_516
; %bb.494:
	v_ashrrev_i32_e32 v19, 31, v16
	v_mul_lo_u32 v20, s37, v16
	v_mad_u64_u32 v[17:18], s[0:1], s36, v16, 0
	v_mul_lo_u32 v19, s36, v19
	s_lshl_b64 s[8:9], s[28:29], 2
	s_waitcnt lgkmcnt(0)
	s_add_u32 s18, s14, s8
	s_addc_u32 s19, s15, s9
	v_add3_u32 v18, v18, v19, v20
	v_cmp_gt_i32_e64 s[8:9], s30, v16
	v_lshlrev_b64 v[16:17], 4, v[17:18]
	v_mov_b32_e32 v19, 0x6000
	v_mov_b32_e32 v18, s62
	v_add_co_u32_e32 v26, vcc, s94, v16
	s_mov_b32 s0, 0
	v_cmp_gt_u32_e64 s[12:13], 32, v23
	v_lshl_add_u32 v24, v23, 4, v19
	v_lshl_or_b32 v25, v2, 4, v19
	s_add_i32 s63, s63, 1
	v_addc_co_u32_e32 v27, vcc, v18, v17, vcc
	v_mov_b32_e32 v28, -1
	s_branch .LBB179_497
.LBB179_495:                            ;   in Loop: Header=BB179_497 Depth=1
	ds_read_b128 v[29:32], v25 offset:256
	s_waitcnt vmcnt(0) lgkmcnt(0)
	v_mul_f64 v[16:17], v[20:21], v[31:32]
	v_mul_f64 v[31:32], v[18:19], v[31:32]
	v_fma_f64 v[16:17], v[18:19], v[29:30], -v[16:17]
	v_fma_f64 v[18:19], v[20:21], v[29:30], v[31:32]
	v_add_f64 v[13:14], v[13:14], v[16:17]
	v_add_f64 v[11:12], v[11:12], v[18:19]
.LBB179_496:                            ;   in Loop: Header=BB179_497 Depth=1
	s_or_b64 exec, exec, s[20:21]
	s_add_i32 s0, s0, 1
	s_cmp_eq_u32 s0, s6
	s_cbranch_scc1 .LBB179_516
.LBB179_497:                            ; =>This Loop Header: Depth=1
                                        ;     Child Loop BB179_499 Depth 2
	v_cmp_gt_i32_e32 vcc, s0, v28
	s_and_b64 s[20:21], s[4:5], vcc
	s_and_saveexec_b64 s[10:11], s[20:21]
	s_cbranch_execz .LBB179_500
; %bb.498:                              ;   in Loop: Header=BB179_497 Depth=1
	global_load_dword v28, v15, s[18:19]
	s_waitcnt vmcnt(0)
	v_cmp_le_i32_e32 vcc, s0, v28
	s_cbranch_vccnz .LBB179_500
.LBB179_499:                            ;   Parent Loop BB179_497 Depth=1
                                        ; =>  This Inner Loop Header: Depth=2
	buffer_wbinvl1_vol
	global_load_dword v28, v15, s[18:19]
	s_waitcnt vmcnt(0)
	v_cmp_gt_i32_e32 vcc, s0, v28
	s_cbranch_vccnz .LBB179_499
.LBB179_500:                            ;   in Loop: Header=BB179_497 Depth=1
	s_or_b64 exec, exec, s[10:11]
	s_sub_i32 s1, s7, s0
	s_lshl_b32 s24, s1, 5
	buffer_wbinvl1_vol
	s_barrier
	s_and_saveexec_b64 s[10:11], s[12:13]
	s_cbranch_execz .LBB179_505
; %bb.501:                              ;   in Loop: Header=BB179_497 Depth=1
	s_ashr_i32 s20, s24, 31
	v_mov_b32_e32 v17, s20
	v_or_b32_e32 v16, s24, v23
	v_cmp_le_i64_e32 vcc, s[30:31], v[16:17]
	s_and_saveexec_b64 s[20:21], vcc
	s_xor_b64 s[20:21], exec, s[20:21]
; %bb.502:                              ;   in Loop: Header=BB179_497 Depth=1
	v_mov_b32_e32 v16, v15
	v_mov_b32_e32 v17, v15
	;; [unrolled: 1-line block ×3, first 2 shown]
	ds_write_b128 v24, v[15:18]
                                        ; implicit-def: $vgpr16_vgpr17
; %bb.503:                              ;   in Loop: Header=BB179_497 Depth=1
	s_andn2_saveexec_b64 s[20:21], s[20:21]
	s_cbranch_execz .LBB179_505
; %bb.504:                              ;   in Loop: Header=BB179_497 Depth=1
	v_mul_lo_u32 v18, v17, s22
	v_mul_lo_u32 v19, v16, s23
	v_mad_u64_u32 v[16:17], s[20:21], v16, s22, 0
	v_add3_u32 v17, v17, v19, v18
	v_lshlrev_b64 v[16:17], 4, v[16:17]
	v_mov_b32_e32 v18, s39
	v_add_co_u32_e32 v16, vcc, s38, v16
	v_addc_co_u32_e32 v17, vcc, v18, v17, vcc
	flat_load_dwordx4 v[16:19], v[16:17]
	s_waitcnt vmcnt(0) lgkmcnt(0)
	ds_write2_b64 v24, v[16:17], v[18:19] offset1:1
.LBB179_505:                            ;   in Loop: Header=BB179_497 Depth=1
	s_or_b64 exec, exec, s[10:11]
	v_add_u32_e32 v18, s24, v2
	v_ashrrev_i32_e32 v19, 31, v18
	v_lshlrev_b64 v[16:17], 4, v[18:19]
	s_cmp_lg_u32 s1, s63
	v_add_co_u32_e32 v16, vcc, v26, v16
	s_cselect_b64 s[10:11], -1, 0
	v_addc_co_u32_e32 v17, vcc, v27, v17, vcc
	v_cmp_gt_i32_e32 vcc, s30, v18
	v_cndmask_b32_e64 v19, 0, 1, s[10:11]
	s_and_b64 s[24:25], vcc, s[8:9]
	v_cmp_ne_u32_e64 s[10:11], 1, v19
	s_waitcnt lgkmcnt(0)
	s_barrier
	s_and_saveexec_b64 s[20:21], s[24:25]
	s_cbranch_execz .LBB179_511
; %bb.506:                              ;   in Loop: Header=BB179_497 Depth=1
	v_mov_b32_e32 v20, v8
	s_and_b64 vcc, exec, s[10:11]
	v_mov_b32_e32 v19, v7
	s_cbranch_vccnz .LBB179_508
; %bb.507:                              ;   in Loop: Header=BB179_497 Depth=1
	flat_load_dwordx2 v[19:20], v[16:17]
.LBB179_508:                            ;   in Loop: Header=BB179_497 Depth=1
	v_mov_b32_e32 v22, v10
	s_and_b64 vcc, exec, s[10:11]
	v_mov_b32_e32 v21, v9
	s_cbranch_vccnz .LBB179_510
; %bb.509:                              ;   in Loop: Header=BB179_497 Depth=1
	flat_load_dwordx2 v[21:22], v[16:17] offset:8
.LBB179_510:                            ;   in Loop: Header=BB179_497 Depth=1
	ds_read_b128 v[29:32], v25
	s_waitcnt vmcnt(0) lgkmcnt(0)
	v_mul_f64 v[33:34], v[21:22], v[31:32]
	v_mul_f64 v[31:32], v[19:20], v[31:32]
	v_fma_f64 v[19:20], v[19:20], v[29:30], -v[33:34]
	v_fma_f64 v[21:22], v[21:22], v[29:30], v[31:32]
	v_add_f64 v[13:14], v[13:14], v[19:20]
	v_add_f64 v[11:12], v[11:12], v[21:22]
.LBB179_511:                            ;   in Loop: Header=BB179_497 Depth=1
	s_or_b64 exec, exec, s[20:21]
	v_add_u32_e32 v18, 16, v18
	v_cmp_gt_i32_e32 vcc, s30, v18
	s_and_b64 s[24:25], vcc, s[8:9]
	s_and_saveexec_b64 s[20:21], s[24:25]
	s_cbranch_execz .LBB179_496
; %bb.512:                              ;   in Loop: Header=BB179_497 Depth=1
	v_mov_b32_e32 v19, v4
	s_and_b64 vcc, exec, s[10:11]
	v_mov_b32_e32 v18, v3
	s_cbranch_vccnz .LBB179_514
; %bb.513:                              ;   in Loop: Header=BB179_497 Depth=1
	flat_load_dwordx2 v[18:19], v[16:17] offset:256
.LBB179_514:                            ;   in Loop: Header=BB179_497 Depth=1
	v_mov_b32_e32 v21, v6
	s_and_b64 vcc, exec, s[10:11]
	v_mov_b32_e32 v20, v5
	s_cbranch_vccnz .LBB179_495
; %bb.515:                              ;   in Loop: Header=BB179_497 Depth=1
	flat_load_dwordx2 v[20:21], v[16:17] offset:264
	s_branch .LBB179_495
.LBB179_516:
	s_xor_b64 s[4:5], s[34:35], -1
	v_lshlrev_b32_e32 v1, 4, v1
	v_mov_b32_e32 v15, v11
	v_mov_b32_e32 v16, v12
	ds_write_b128 v1, v[13:16] offset:16384
	s_waitcnt lgkmcnt(0)
	s_barrier
	s_and_saveexec_b64 s[6:7], s[2:3]
	s_cbranch_execz .LBB179_518
; %bb.517:
	v_lshlrev_b32_e32 v15, 4, v0
	ds_read_b128 v[3:6], v15 offset:16896
	ds_read_b128 v[7:10], v15 offset:17408
	s_waitcnt lgkmcnt(1)
	v_add_f64 v[3:4], v[13:14], v[3:4]
	v_add_f64 v[5:6], v[11:12], v[5:6]
	s_waitcnt lgkmcnt(0)
	v_add_f64 v[11:12], v[3:4], v[7:8]
	v_add_f64 v[13:14], v[5:6], v[9:10]
	ds_read_b128 v[3:6], v15 offset:17920
	ds_read_b128 v[7:10], v15 offset:18432
	s_waitcnt lgkmcnt(1)
	v_add_f64 v[3:4], v[11:12], v[3:4]
	v_add_f64 v[5:6], v[13:14], v[5:6]
	s_waitcnt lgkmcnt(0)
	v_add_f64 v[11:12], v[3:4], v[7:8]
	v_add_f64 v[13:14], v[5:6], v[9:10]
	;; [unrolled: 8-line block ×7, first 2 shown]
	ds_read_b128 v[3:6], v15 offset:24064
	s_waitcnt lgkmcnt(0)
	v_add_f64 v[3:4], v[7:8], v[3:4]
	v_add_f64 v[5:6], v[9:10], v[5:6]
	v_xor_b32_e32 v4, 0x80000000, v4
	v_xor_b32_e32 v6, 0x80000000, v6
	v_cndmask_b32_e64 v13, v3, 0, s[16:17]
	v_cndmask_b32_e64 v14, v4, 0, s[16:17]
	;; [unrolled: 1-line block ×4, first 2 shown]
.LBB179_518:
	s_or_b64 exec, exec, s[6:7]
	s_and_b64 vcc, exec, s[48:49]
	s_cbranch_vccnz .LBB179_527
; %bb.519:
	v_mov_b32_e32 v3, 0x6000
	v_lshl_or_b32 v7, v2, 4, v3
	s_and_saveexec_b64 s[0:1], s[2:3]
; %bb.520:
	v_lshl_add_u32 v3, v0, 4, v7
	v_mov_b32_e32 v15, v11
	v_mov_b32_e32 v16, v12
	ds_write_b128 v3, v[13:16]
; %bb.521:
	s_or_b64 exec, exec, s[0:1]
	v_mov_b32_e32 v3, 0
	v_mov_b32_e32 v5, 0
	;; [unrolled: 1-line block ×4, first 2 shown]
	v_cmp_le_u32_e32 vcc, v0, v2
	s_waitcnt lgkmcnt(0)
	s_barrier
	s_and_saveexec_b64 s[0:1], vcc
	s_cbranch_execz .LBB179_523
; %bb.522:
	ds_read_b128 v[3:6], v7
	ds_read_b128 v[15:18], v1
	s_waitcnt lgkmcnt(0)
	v_mul_f64 v[8:9], v[5:6], v[17:18]
	v_mul_f64 v[17:18], v[3:4], v[17:18]
	v_fma_f64 v[3:4], v[3:4], v[15:16], -v[8:9]
	v_fma_f64 v[5:6], v[5:6], v[15:16], v[17:18]
	v_add_f64 v[3:4], v[3:4], 0
	v_add_f64 v[5:6], v[5:6], 0
.LBB179_523:
	s_or_b64 exec, exec, s[0:1]
	v_add_u32_e32 v2, 16, v2
	v_add_u32_e32 v8, 0x4000, v1
	v_cmp_le_u32_e32 vcc, v0, v2
	s_and_saveexec_b64 s[0:1], vcc
	s_cbranch_execz .LBB179_525
; %bb.524:
	ds_read_b128 v[15:18], v7 offset:256
	ds_read_b128 v[19:22], v1 offset:8192
	s_waitcnt lgkmcnt(0)
	v_mul_f64 v[1:2], v[17:18], v[21:22]
	v_mul_f64 v[9:10], v[15:16], v[21:22]
	v_fma_f64 v[1:2], v[15:16], v[19:20], -v[1:2]
	v_fma_f64 v[9:10], v[17:18], v[19:20], v[9:10]
	v_add_f64 v[3:4], v[3:4], v[1:2]
	v_add_f64 v[5:6], v[5:6], v[9:10]
.LBB179_525:
	s_or_b64 exec, exec, s[0:1]
	s_mov_b64 s[6:7], 0
	s_mov_b64 s[0:1], 0
	ds_write_b128 v8, v[3:6]
	s_waitcnt lgkmcnt(0)
	s_barrier
                                        ; implicit-def: $vgpr1_vgpr2
                                        ; implicit-def: $vgpr7_vgpr8
	s_and_saveexec_b64 s[8:9], s[2:3]
	s_cbranch_execz .LBB179_546
; %bb.526:
	v_lshlrev_b32_e32 v19, 4, v0
	ds_read_b128 v[7:10], v19 offset:16896
	ds_read_b128 v[15:18], v19 offset:17408
	s_mov_b64 s[0:1], exec
	s_waitcnt lgkmcnt(1)
	v_add_f64 v[1:2], v[3:4], v[7:8]
	v_add_f64 v[3:4], v[5:6], v[9:10]
	s_waitcnt lgkmcnt(0)
	v_add_f64 v[9:10], v[1:2], v[15:16]
	v_add_f64 v[15:16], v[3:4], v[17:18]
	ds_read_b128 v[1:4], v19 offset:17920
	ds_read_b128 v[5:8], v19 offset:18432
	s_waitcnt lgkmcnt(1)
	v_add_f64 v[1:2], v[9:10], v[1:2]
	v_add_f64 v[3:4], v[15:16], v[3:4]
	s_waitcnt lgkmcnt(0)
	v_add_f64 v[9:10], v[1:2], v[5:6]
	v_add_f64 v[15:16], v[3:4], v[7:8]
	ds_read_b128 v[1:4], v19 offset:18944
	ds_read_b128 v[5:8], v19 offset:19456
	;; [unrolled: 8-line block ×6, first 2 shown]
	s_waitcnt lgkmcnt(1)
	v_add_f64 v[1:2], v[9:10], v[1:2]
	v_add_f64 v[3:4], v[15:16], v[3:4]
	s_waitcnt lgkmcnt(0)
	v_add_f64 v[5:6], v[1:2], v[5:6]
	v_add_f64 v[9:10], v[3:4], v[7:8]
	ds_read_b128 v[1:4], v19 offset:24064
	s_waitcnt lgkmcnt(0)
	v_add_f64 v[7:8], v[5:6], v[1:2]
	v_add_f64 v[1:2], v[9:10], v[3:4]
	s_or_b64 exec, exec, s[8:9]
	s_and_b64 vcc, exec, s[6:7]
	s_cbranch_vccnz .LBB179_528
	s_branch .LBB179_547
.LBB179_527:
	s_mov_b64 s[0:1], 0
                                        ; implicit-def: $vgpr1_vgpr2
                                        ; implicit-def: $vgpr7_vgpr8
	s_cbranch_execz .LBB179_547
.LBB179_528:
	s_movk_i32 s6, 0x210
	v_lshlrev_b32_e32 v2, 9, v0
	v_mov_b32_e32 v3, 0x3c00
	v_mul_u32_u24_e32 v1, 0x210, v0
	v_sub_u32_e32 v2, 0, v2
	v_mad_u32_u24 v3, v0, s6, v3
	s_mov_b32 s8, 31
	s_movk_i32 s9, 0xc200
	v_mov_b32_e32 v4, 0
	s_branch .LBB179_530
.LBB179_529:                            ;   in Loop: Header=BB179_530 Depth=1
	s_or_b64 exec, exec, s[6:7]
	s_add_i32 s8, s8, -2
	s_cmp_lg_u32 s10, 0
	v_add_u32_e32 v2, 0xfffffc00, v2
	s_barrier
	s_cbranch_scc0 .LBB179_538
.LBB179_530:                            ; =>This Inner Loop Header: Depth=1
	v_cmp_eq_u32_e32 vcc, s9, v2
	s_and_b64 s[10:11], s[2:3], vcc
	s_and_saveexec_b64 s[6:7], s[10:11]
	s_cbranch_execz .LBB179_532
; %bb.531:                              ;   in Loop: Header=BB179_530 Depth=1
	ds_read_b128 v[5:8], v1
	s_waitcnt lgkmcnt(0)
	v_mul_f64 v[9:10], v[11:12], v[7:8]
	v_mul_f64 v[7:8], v[13:14], v[7:8]
	v_fma_f64 v[9:10], v[13:14], v[5:6], -v[9:10]
	v_fma_f64 v[11:12], v[11:12], v[5:6], v[7:8]
	v_mov_b32_e32 v14, v10
	v_mov_b32_e32 v13, v9
	ds_write_b128 v4, v[9:12] offset:25088
.LBB179_532:                            ;   in Loop: Header=BB179_530 Depth=1
	s_or_b64 exec, exec, s[6:7]
	v_cmp_gt_u32_e32 vcc, s8, v0
	s_and_b64 s[10:11], s[2:3], vcc
	v_add_u32_e32 v5, v3, v2
	s_waitcnt lgkmcnt(0)
	s_barrier
	s_and_saveexec_b64 s[6:7], s[10:11]
	s_cbranch_execz .LBB179_534
; %bb.533:                              ;   in Loop: Header=BB179_530 Depth=1
	ds_read_b128 v[6:9], v4 offset:25088
	ds_read_b128 v[15:18], v5 offset:512
	s_waitcnt lgkmcnt(0)
	v_mul_f64 v[19:20], v[8:9], v[17:18]
	v_mul_f64 v[17:18], v[6:7], v[17:18]
	v_fma_f64 v[6:7], v[6:7], v[15:16], -v[19:20]
	v_fma_f64 v[8:9], v[8:9], v[15:16], v[17:18]
	v_add_f64 v[13:14], v[13:14], v[6:7]
	v_add_f64 v[11:12], v[11:12], v[8:9]
.LBB179_534:                            ;   in Loop: Header=BB179_530 Depth=1
	s_or_b64 exec, exec, s[6:7]
	s_add_i32 s10, s8, -1
	v_cmp_eq_u32_e32 vcc, s10, v0
	s_and_b64 s[12:13], s[2:3], vcc
	s_barrier
	s_and_saveexec_b64 s[6:7], s[12:13]
	s_cbranch_execz .LBB179_536
; %bb.535:                              ;   in Loop: Header=BB179_530 Depth=1
	ds_read_b128 v[6:9], v1
	s_waitcnt lgkmcnt(0)
	v_mul_f64 v[15:16], v[11:12], v[8:9]
	v_mul_f64 v[17:18], v[13:14], v[8:9]
	v_fma_f64 v[9:10], v[13:14], v[6:7], -v[15:16]
	v_fma_f64 v[11:12], v[11:12], v[6:7], v[17:18]
	v_mov_b32_e32 v14, v10
	v_mov_b32_e32 v13, v9
	ds_write_b128 v4, v[9:12] offset:25088
.LBB179_536:                            ;   in Loop: Header=BB179_530 Depth=1
	s_or_b64 exec, exec, s[6:7]
	v_cmp_gt_u32_e32 vcc, s10, v0
	s_and_b64 s[12:13], s[2:3], vcc
	s_waitcnt lgkmcnt(0)
	s_barrier
	s_and_saveexec_b64 s[6:7], s[12:13]
	s_cbranch_execz .LBB179_529
; %bb.537:                              ;   in Loop: Header=BB179_530 Depth=1
	ds_read_b128 v[6:9], v4 offset:25088
	ds_read_b128 v[15:18], v5
	s_waitcnt lgkmcnt(0)
	v_mul_f64 v[19:20], v[8:9], v[17:18]
	v_mul_f64 v[17:18], v[6:7], v[17:18]
	v_fma_f64 v[5:6], v[6:7], v[15:16], -v[19:20]
	v_fma_f64 v[7:8], v[8:9], v[15:16], v[17:18]
	v_add_f64 v[13:14], v[13:14], v[5:6]
	v_add_f64 v[11:12], v[11:12], v[7:8]
	s_branch .LBB179_529
.LBB179_538:
	s_mov_b64 s[6:7], -1
	s_and_b64 vcc, exec, s[4:5]
	s_cbranch_vccnz .LBB179_548
; %bb.539:
	s_andn2_b64 vcc, exec, s[6:7]
	s_cbranch_vccz .LBB179_549
.LBB179_540:
	s_and_saveexec_b64 s[2:3], s[0:1]
	s_cbranch_execz .LBB179_542
.LBB179_541:
	v_mov_b32_e32 v0, s42
	v_add_co_u32_e32 v1, vcc, s33, v23
	v_addc_co_u32_e32 v0, vcc, 0, v0, vcc
	v_mul_lo_u32 v2, v0, s22
	v_mul_lo_u32 v3, v1, s23
	v_mad_u64_u32 v[0:1], s[0:1], v1, s22, 0
	v_mov_b32_e32 v15, v11
	v_mov_b32_e32 v16, v12
	v_add3_u32 v1, v1, v3, v2
	v_lshlrev_b64 v[0:1], 4, v[0:1]
	v_mov_b32_e32 v2, s39
	v_add_co_u32_e32 v0, vcc, s38, v0
	v_addc_co_u32_e32 v1, vcc, v2, v1, vcc
	flat_store_dwordx4 v[0:1], v[13:16]
.LBB179_542:
	s_or_b64 exec, exec, s[2:3]
	v_cmp_eq_u32_e32 vcc, 0, v23
	s_waitcnt vmcnt(0) lgkmcnt(0)
	buffer_wbinvl1_vol
	s_barrier
	s_and_saveexec_b64 s[0:1], vcc
	s_cbranch_execz .LBB179_544
; %bb.543:
	s_lshl_b64 s[2:3], s[28:29], 2
	s_add_u32 s2, s14, s2
	s_addc_u32 s3, s15, s3
	v_mov_b32_e32 v0, 0
	global_load_dword v1, v0, s[2:3]
	s_waitcnt vmcnt(0)
	v_add_u32_e32 v1, 1, v1
	global_store_dword v0, v1, s[2:3]
.LBB179_544:
	s_or_b64 exec, exec, s[0:1]
	s_waitcnt vmcnt(0)
	buffer_wbinvl1_vol
	s_endpgm
.LBB179_545:
                                        ; implicit-def: $vgpr5_vgpr6
                                        ; implicit-def: $vgpr9_vgpr10
                                        ; implicit-def: $sgpr33
	s_cbranch_execnz .LBB179_6
	s_branch .LBB179_7
.LBB179_546:
	s_or_b64 exec, exec, s[8:9]
	s_and_b64 vcc, exec, s[6:7]
	s_cbranch_vccnz .LBB179_528
.LBB179_547:
	v_mov_b32_e32 v12, v2
	v_mov_b32_e32 v14, v8
	;; [unrolled: 1-line block ×4, first 2 shown]
	s_and_saveexec_b64 s[2:3], s[0:1]
	s_cbranch_execnz .LBB179_541
	s_branch .LBB179_542
.LBB179_548:
	s_andn2_b64 s[0:1], s[0:1], exec
	s_and_b64 s[4:5], s[2:3], exec
	s_or_b64 s[0:1], s[0:1], s[4:5]
	s_cbranch_execnz .LBB179_540
.LBB179_549:
	v_cmp_gt_i32_e32 vcc, s95, v0
	s_and_b64 s[2:3], s[2:3], vcc
	s_andn2_b64 s[0:1], s[0:1], exec
	s_and_b64 s[2:3], s[2:3], exec
	s_or_b64 s[0:1], s[0:1], s[2:3]
	s_and_saveexec_b64 s[2:3], s[0:1]
	s_cbranch_execnz .LBB179_541
	s_branch .LBB179_542
.LBB179_550:
	v_lshlrev_b32_e32 v23, 4, v22
	v_sub_u32_e32 v23, v20, v23
	v_lshl_add_u32 v27, v21, 4, v23
	ds_read_b128 v[23:26], v20 offset:16
	ds_read_b128 v[27:30], v27 offset:576
	s_waitcnt lgkmcnt(0)
	v_mul_f64 v[31:32], v[25:26], v[29:30]
	v_mul_f64 v[29:30], v[23:24], v[29:30]
	v_fma_f64 v[23:24], v[23:24], v[27:28], -v[31:32]
	v_fma_f64 v[25:26], v[25:26], v[27:28], v[29:30]
	v_add_f64 v[11:12], v[11:12], v[23:24]
	v_add_f64 v[13:14], v[13:14], v[25:26]
	s_or_b64 exec, exec, s[18:19]
	v_cmp_gt_u32_e64 s[12:13], 8, v1
	s_and_saveexec_b64 s[18:19], s[12:13]
	s_cbranch_execz .LBB179_89
.LBB179_551:
	ds_read_b128 v[23:26], v20 offset:32
	ds_read_b128 v[27:30], v18 offset:1088
	s_waitcnt lgkmcnt(0)
	v_mul_f64 v[31:32], v[25:26], v[29:30]
	v_mul_f64 v[29:30], v[23:24], v[29:30]
	v_fma_f64 v[23:24], v[23:24], v[27:28], -v[31:32]
	v_fma_f64 v[25:26], v[25:26], v[27:28], v[29:30]
	v_add_f64 v[11:12], v[11:12], v[23:24]
	v_add_f64 v[13:14], v[13:14], v[25:26]
	s_or_b64 exec, exec, s[18:19]
	v_cmp_gt_u32_e64 s[12:13], 4, v1
	s_and_saveexec_b64 s[18:19], s[12:13]
	s_cbranch_execnz .LBB179_90
	s_branch .LBB179_91
.LBB179_552:
	v_lshlrev_b32_e32 v28, 4, v27
	v_sub_u32_e32 v28, v25, v28
	v_lshl_add_u32 v32, v26, 4, v28
	ds_read_b128 v[28:31], v25 offset:16
	ds_read_b128 v[32:35], v32 offset:640
	s_waitcnt lgkmcnt(0)
	v_mul_f64 v[36:37], v[30:31], v[34:35]
	v_mul_f64 v[34:35], v[28:29], v[34:35]
	v_fma_f64 v[28:29], v[28:29], v[32:33], -v[36:37]
	v_fma_f64 v[30:31], v[30:31], v[32:33], v[34:35]
	v_add_f64 v[11:12], v[11:12], v[28:29]
	v_add_f64 v[13:14], v[13:14], v[30:31]
	s_or_b64 exec, exec, s[60:61]
	v_cmp_gt_u32_e64 s[14:15], 48, v1
	s_and_saveexec_b64 s[60:61], s[14:15]
	s_cbranch_execz .LBB179_131
.LBB179_553:
	v_lshlrev_b32_e32 v28, 4, v27
	v_sub_u32_e32 v28, v25, v28
	v_lshl_add_u32 v32, v26, 4, v28
	ds_read_b128 v[28:31], v25 offset:32
	ds_read_b128 v[32:35], v32 offset:1152
	s_waitcnt lgkmcnt(0)
	v_mul_f64 v[36:37], v[30:31], v[34:35]
	v_mul_f64 v[34:35], v[28:29], v[34:35]
	v_fma_f64 v[28:29], v[28:29], v[32:33], -v[36:37]
	v_fma_f64 v[30:31], v[30:31], v[32:33], v[34:35]
	v_add_f64 v[11:12], v[11:12], v[28:29]
	v_add_f64 v[13:14], v[13:14], v[30:31]
	s_or_b64 exec, exec, s[60:61]
	v_cmp_gt_u32_e64 s[14:15], 40, v1
	s_and_saveexec_b64 s[60:61], s[14:15]
	s_cbranch_execz .LBB179_132
.LBB179_554:
	v_lshlrev_b32_e32 v28, 4, v27
	v_sub_u32_e32 v28, v25, v28
	v_lshl_add_u32 v32, v26, 4, v28
	ds_read_b128 v[28:31], v25 offset:48
	ds_read_b128 v[32:35], v32 offset:1664
	s_waitcnt lgkmcnt(0)
	v_mul_f64 v[36:37], v[30:31], v[34:35]
	v_mul_f64 v[34:35], v[28:29], v[34:35]
	v_fma_f64 v[28:29], v[28:29], v[32:33], -v[36:37]
	v_fma_f64 v[30:31], v[30:31], v[32:33], v[34:35]
	v_add_f64 v[11:12], v[11:12], v[28:29]
	v_add_f64 v[13:14], v[13:14], v[30:31]
	s_or_b64 exec, exec, s[60:61]
	v_cmp_gt_u32_e64 s[14:15], 32, v1
	s_and_saveexec_b64 s[60:61], s[14:15]
	s_cbranch_execz .LBB179_133
.LBB179_555:
	ds_read_b128 v[28:31], v25 offset:64
	ds_read_b128 v[32:35], v23 offset:2176
	s_waitcnt lgkmcnt(0)
	v_mul_f64 v[36:37], v[30:31], v[34:35]
	v_mul_f64 v[34:35], v[28:29], v[34:35]
	v_fma_f64 v[28:29], v[28:29], v[32:33], -v[36:37]
	v_fma_f64 v[30:31], v[30:31], v[32:33], v[34:35]
	v_add_f64 v[11:12], v[11:12], v[28:29]
	v_add_f64 v[13:14], v[13:14], v[30:31]
	s_or_b64 exec, exec, s[60:61]
	v_cmp_gt_u32_e64 s[14:15], 24, v1
	s_and_saveexec_b64 s[60:61], s[14:15]
	s_cbranch_execz .LBB179_134
.LBB179_556:
	v_lshlrev_b32_e32 v28, 4, v27
	v_sub_u32_e32 v28, v25, v28
	v_lshl_add_u32 v32, v26, 4, v28
	ds_read_b128 v[28:31], v25 offset:80
	ds_read_b128 v[32:35], v32 offset:2688
	s_waitcnt lgkmcnt(0)
	v_mul_f64 v[36:37], v[30:31], v[34:35]
	v_mul_f64 v[34:35], v[28:29], v[34:35]
	v_fma_f64 v[28:29], v[28:29], v[32:33], -v[36:37]
	v_fma_f64 v[30:31], v[30:31], v[32:33], v[34:35]
	v_add_f64 v[11:12], v[11:12], v[28:29]
	v_add_f64 v[13:14], v[13:14], v[30:31]
	s_or_b64 exec, exec, s[60:61]
	v_cmp_gt_u32_e64 s[14:15], 16, v1
	s_and_saveexec_b64 s[60:61], s[14:15]
	s_cbranch_execz .LBB179_135
.LBB179_557:
	ds_read_b128 v[28:31], v25 offset:96
	ds_read_b128 v[32:35], v23 offset:3200
	s_waitcnt lgkmcnt(0)
	v_mul_f64 v[36:37], v[30:31], v[34:35]
	v_mul_f64 v[34:35], v[28:29], v[34:35]
	v_fma_f64 v[28:29], v[28:29], v[32:33], -v[36:37]
	v_fma_f64 v[30:31], v[30:31], v[32:33], v[34:35]
	v_add_f64 v[11:12], v[11:12], v[28:29]
	v_add_f64 v[13:14], v[13:14], v[30:31]
	s_or_b64 exec, exec, s[60:61]
	v_cmp_gt_u32_e64 s[14:15], 8, v1
	s_and_saveexec_b64 s[60:61], s[14:15]
	s_cbranch_execnz .LBB179_136
	s_branch .LBB179_137
.LBB179_558:
	v_lshlrev_b32_e32 v29, 4, v22
	v_sub_u32_e32 v29, v28, v29
	v_lshl_add_u32 v33, v21, 4, v29
	ds_read_b128 v[29:32], v28 offset:4240
	ds_read_b128 v[33:36], v33 offset:4800
	s_waitcnt lgkmcnt(0)
	v_mul_f64 v[37:38], v[31:32], v[35:36]
	v_mul_f64 v[35:36], v[29:30], v[35:36]
	v_fma_f64 v[29:30], v[29:30], v[33:34], -v[37:38]
	v_fma_f64 v[31:32], v[31:32], v[33:34], v[35:36]
	v_add_f64 v[11:12], v[11:12], v[29:30]
	v_add_f64 v[13:14], v[13:14], v[31:32]
	s_or_b64 exec, exec, s[18:19]
	v_cmp_gt_u32_e64 s[12:13], 8, v1
	s_and_saveexec_b64 s[18:19], s[12:13]
	s_cbranch_execz .LBB179_193
.LBB179_559:
	ds_read_b128 v[28:31], v28 offset:4256
	ds_read_b128 v[32:35], v18 offset:5312
	s_waitcnt lgkmcnt(0)
	v_mul_f64 v[36:37], v[30:31], v[34:35]
	v_mul_f64 v[34:35], v[28:29], v[34:35]
	v_fma_f64 v[28:29], v[28:29], v[32:33], -v[36:37]
	v_fma_f64 v[30:31], v[30:31], v[32:33], v[34:35]
	v_add_f64 v[11:12], v[11:12], v[28:29]
	v_add_f64 v[13:14], v[13:14], v[30:31]
	s_or_b64 exec, exec, s[18:19]
	v_cmp_gt_u32_e64 s[12:13], 4, v1
	s_and_saveexec_b64 s[18:19], s[12:13]
	s_cbranch_execnz .LBB179_194
	s_branch .LBB179_195
.LBB179_560:
	ds_read_b128 v[33:36], v32 offset:176
	ds_read_b128 v[37:40], v28 offset:5888
	s_waitcnt lgkmcnt(0)
	v_mul_f64 v[41:42], v[35:36], v[39:40]
	v_mul_f64 v[39:40], v[33:34], v[39:40]
	v_fma_f64 v[33:34], v[33:34], v[37:38], -v[41:42]
	v_fma_f64 v[35:36], v[35:36], v[37:38], v[39:40]
	v_add_f64 v[11:12], v[11:12], v[33:34]
	v_add_f64 v[13:14], v[13:14], v[35:36]
	s_or_b64 exec, exec, s[92:93]
	v_cmp_gt_u32_e64 s[18:19], 64, v1
	s_and_saveexec_b64 s[92:93], s[18:19]
	s_cbranch_execz .LBB179_255
.LBB179_561:
	ds_read_b128 v[33:36], v32 offset:192
	ds_read_b128 v[37:40], v28 offset:6400
	s_waitcnt lgkmcnt(0)
	v_mul_f64 v[41:42], v[35:36], v[39:40]
	v_mul_f64 v[39:40], v[33:34], v[39:40]
	v_fma_f64 v[33:34], v[33:34], v[37:38], -v[41:42]
	v_fma_f64 v[35:36], v[35:36], v[37:38], v[39:40]
	v_add_f64 v[11:12], v[11:12], v[33:34]
	v_add_f64 v[13:14], v[13:14], v[35:36]
	s_or_b64 exec, exec, s[92:93]
	v_cmp_gt_u32_e64 s[18:19], 48, v1
	s_and_saveexec_b64 s[92:93], s[18:19]
	s_cbranch_execz .LBB179_256
.LBB179_562:
	ds_read_b128 v[33:36], v32 offset:208
	ds_read_b128 v[37:40], v28 offset:6912
	s_waitcnt lgkmcnt(0)
	v_mul_f64 v[41:42], v[35:36], v[39:40]
	v_mul_f64 v[39:40], v[33:34], v[39:40]
	v_fma_f64 v[33:34], v[33:34], v[37:38], -v[41:42]
	v_fma_f64 v[35:36], v[35:36], v[37:38], v[39:40]
	v_add_f64 v[11:12], v[11:12], v[33:34]
	v_add_f64 v[13:14], v[13:14], v[35:36]
	s_or_b64 exec, exec, s[92:93]
	v_cmp_gt_u32_e64 s[18:19], 32, v1
	s_and_saveexec_b64 s[92:93], s[18:19]
	s_cbranch_execz .LBB179_257
.LBB179_563:
	ds_read_b128 v[32:35], v32 offset:224
	ds_read_b128 v[36:39], v28 offset:7424
	s_waitcnt lgkmcnt(0)
	v_mul_f64 v[40:41], v[34:35], v[38:39]
	v_mul_f64 v[38:39], v[32:33], v[38:39]
	v_fma_f64 v[32:33], v[32:33], v[36:37], -v[40:41]
	v_fma_f64 v[34:35], v[34:35], v[36:37], v[38:39]
	v_add_f64 v[11:12], v[11:12], v[32:33]
	v_add_f64 v[13:14], v[13:14], v[34:35]
	s_or_b64 exec, exec, s[92:93]
	v_cmp_gt_u32_e64 s[18:19], 16, v1
	s_and_saveexec_b64 s[92:93], s[18:19]
	s_cbranch_execnz .LBB179_258
	s_branch .LBB179_259
.LBB179_564:
	v_lshlrev_b32_e32 v29, 4, v22
	v_sub_u32_e32 v29, v28, v29
	v_lshl_add_u32 v33, v21, 4, v29
	ds_read_b128 v[29:32], v28 offset:8464
	ds_read_b128 v[33:36], v33 offset:9024
	s_waitcnt lgkmcnt(0)
	v_mul_f64 v[37:38], v[31:32], v[35:36]
	v_mul_f64 v[35:36], v[29:30], v[35:36]
	v_fma_f64 v[29:30], v[29:30], v[33:34], -v[37:38]
	v_fma_f64 v[31:32], v[31:32], v[33:34], v[35:36]
	v_add_f64 v[11:12], v[11:12], v[29:30]
	v_add_f64 v[13:14], v[13:14], v[31:32]
	s_or_b64 exec, exec, s[14:15]
	v_cmp_gt_u32_e64 s[10:11], 8, v1
	s_and_saveexec_b64 s[14:15], s[10:11]
	s_cbranch_execz .LBB179_347
.LBB179_565:
	ds_read_b128 v[28:31], v28 offset:8480
	ds_read_b128 v[32:35], v18 offset:9536
	s_waitcnt lgkmcnt(0)
	v_mul_f64 v[36:37], v[30:31], v[34:35]
	v_mul_f64 v[34:35], v[28:29], v[34:35]
	v_fma_f64 v[28:29], v[28:29], v[32:33], -v[36:37]
	v_fma_f64 v[30:31], v[30:31], v[32:33], v[34:35]
	v_add_f64 v[11:12], v[11:12], v[28:29]
	v_add_f64 v[13:14], v[13:14], v[30:31]
	s_or_b64 exec, exec, s[14:15]
	v_cmp_gt_u32_e64 s[10:11], 4, v1
	s_and_saveexec_b64 s[14:15], s[10:11]
	s_cbranch_execnz .LBB179_348
	s_branch .LBB179_349
.LBB179_566:
	v_lshlrev_b32_e32 v29, 4, v27
	v_sub_u32_e32 v29, v28, v29
	v_lshl_add_u32 v33, v26, 4, v29
	ds_read_b128 v[29:32], v28 offset:8464
	ds_read_b128 v[33:36], v33 offset:9088
	s_waitcnt lgkmcnt(0)
	v_mul_f64 v[37:38], v[31:32], v[35:36]
	v_mul_f64 v[35:36], v[29:30], v[35:36]
	v_fma_f64 v[29:30], v[29:30], v[33:34], -v[37:38]
	v_fma_f64 v[31:32], v[31:32], v[33:34], v[35:36]
	v_add_f64 v[11:12], v[11:12], v[29:30]
	v_add_f64 v[13:14], v[13:14], v[31:32]
	s_or_b64 exec, exec, s[14:15]
	v_cmp_gt_u32_e64 s[10:11], 48, v1
	s_and_saveexec_b64 s[14:15], s[10:11]
	s_cbranch_execz .LBB179_389
.LBB179_567:
	v_lshlrev_b32_e32 v29, 4, v27
	v_sub_u32_e32 v29, v28, v29
	v_lshl_add_u32 v33, v26, 4, v29
	ds_read_b128 v[29:32], v28 offset:8480
	ds_read_b128 v[33:36], v33 offset:9600
	s_waitcnt lgkmcnt(0)
	v_mul_f64 v[37:38], v[31:32], v[35:36]
	v_mul_f64 v[35:36], v[29:30], v[35:36]
	v_fma_f64 v[29:30], v[29:30], v[33:34], -v[37:38]
	v_fma_f64 v[31:32], v[31:32], v[33:34], v[35:36]
	v_add_f64 v[11:12], v[11:12], v[29:30]
	v_add_f64 v[13:14], v[13:14], v[31:32]
	s_or_b64 exec, exec, s[14:15]
	v_cmp_gt_u32_e64 s[10:11], 40, v1
	s_and_saveexec_b64 s[14:15], s[10:11]
	s_cbranch_execz .LBB179_390
.LBB179_568:
	v_lshlrev_b32_e32 v29, 4, v27
	v_sub_u32_e32 v29, v28, v29
	v_lshl_add_u32 v33, v26, 4, v29
	ds_read_b128 v[29:32], v28 offset:8496
	ds_read_b128 v[33:36], v33 offset:10112
	s_waitcnt lgkmcnt(0)
	v_mul_f64 v[37:38], v[31:32], v[35:36]
	v_mul_f64 v[35:36], v[29:30], v[35:36]
	v_fma_f64 v[29:30], v[29:30], v[33:34], -v[37:38]
	v_fma_f64 v[31:32], v[31:32], v[33:34], v[35:36]
	v_add_f64 v[11:12], v[11:12], v[29:30]
	v_add_f64 v[13:14], v[13:14], v[31:32]
	s_or_b64 exec, exec, s[14:15]
	v_cmp_gt_u32_e64 s[10:11], 32, v1
	s_and_saveexec_b64 s[14:15], s[10:11]
	s_cbranch_execz .LBB179_391
.LBB179_569:
	ds_read_b128 v[29:32], v28 offset:8512
	ds_read_b128 v[33:36], v23 offset:10624
	s_waitcnt lgkmcnt(0)
	v_mul_f64 v[37:38], v[31:32], v[35:36]
	v_mul_f64 v[35:36], v[29:30], v[35:36]
	v_fma_f64 v[29:30], v[29:30], v[33:34], -v[37:38]
	v_fma_f64 v[31:32], v[31:32], v[33:34], v[35:36]
	v_add_f64 v[11:12], v[11:12], v[29:30]
	v_add_f64 v[13:14], v[13:14], v[31:32]
	s_or_b64 exec, exec, s[14:15]
	v_cmp_gt_u32_e64 s[10:11], 24, v1
	s_and_saveexec_b64 s[14:15], s[10:11]
	s_cbranch_execz .LBB179_392
.LBB179_570:
	v_lshlrev_b32_e32 v27, 4, v27
	v_sub_u32_e32 v27, v28, v27
	v_lshl_add_u32 v26, v26, 4, v27
	ds_read_b128 v[29:32], v28 offset:8528
	ds_read_b128 v[33:36], v26 offset:11136
	s_waitcnt lgkmcnt(0)
	v_mul_f64 v[26:27], v[31:32], v[35:36]
	v_mul_f64 v[35:36], v[29:30], v[35:36]
	v_fma_f64 v[26:27], v[29:30], v[33:34], -v[26:27]
	v_fma_f64 v[29:30], v[31:32], v[33:34], v[35:36]
	v_add_f64 v[11:12], v[11:12], v[26:27]
	v_add_f64 v[13:14], v[13:14], v[29:30]
	s_or_b64 exec, exec, s[14:15]
	v_cmp_gt_u32_e64 s[10:11], 16, v1
	s_and_saveexec_b64 s[14:15], s[10:11]
	s_cbranch_execz .LBB179_393
.LBB179_571:
	ds_read_b128 v[26:29], v28 offset:8544
	ds_read_b128 v[30:33], v23 offset:11648
	s_waitcnt lgkmcnt(0)
	v_mul_f64 v[34:35], v[28:29], v[32:33]
	v_mul_f64 v[32:33], v[26:27], v[32:33]
	v_fma_f64 v[26:27], v[26:27], v[30:31], -v[34:35]
	v_fma_f64 v[28:29], v[28:29], v[30:31], v[32:33]
	v_add_f64 v[11:12], v[11:12], v[26:27]
	v_add_f64 v[13:14], v[13:14], v[28:29]
	s_or_b64 exec, exec, s[14:15]
	v_cmp_gt_u32_e64 s[10:11], 8, v1
	s_and_saveexec_b64 s[14:15], s[10:11]
	s_cbranch_execnz .LBB179_394
	s_branch .LBB179_395
.LBB179_572:
	v_lshlrev_b32_e32 v22, 4, v22
	v_sub_u32_e32 v22, v23, v22
	v_lshl_add_u32 v21, v21, 4, v22
	ds_read_b128 v[24:27], v23 offset:12688
	ds_read_b128 v[28:31], v21 offset:13248
	s_waitcnt lgkmcnt(0)
	v_mul_f64 v[21:22], v[26:27], v[30:31]
	v_mul_f64 v[30:31], v[24:25], v[30:31]
	v_fma_f64 v[21:22], v[24:25], v[28:29], -v[21:22]
	v_fma_f64 v[24:25], v[26:27], v[28:29], v[30:31]
	v_add_f64 v[11:12], v[11:12], v[21:22]
	v_add_f64 v[13:14], v[13:14], v[24:25]
	s_or_b64 exec, exec, s[12:13]
	v_cmp_gt_u32_e64 s[8:9], 8, v1
	s_and_saveexec_b64 s[12:13], s[8:9]
	s_cbranch_execz .LBB179_451
.LBB179_573:
	ds_read_b128 v[21:24], v23 offset:12704
	ds_read_b128 v[25:28], v18 offset:13760
	s_waitcnt lgkmcnt(0)
	v_mul_f64 v[29:30], v[23:24], v[27:28]
	v_mul_f64 v[27:28], v[21:22], v[27:28]
	v_fma_f64 v[21:22], v[21:22], v[25:26], -v[29:30]
	v_fma_f64 v[23:24], v[23:24], v[25:26], v[27:28]
	v_add_f64 v[11:12], v[11:12], v[21:22]
	v_add_f64 v[13:14], v[13:14], v[23:24]
	s_or_b64 exec, exec, s[12:13]
	v_cmp_gt_u32_e64 s[8:9], 4, v1
	s_and_saveexec_b64 s[12:13], s[8:9]
	s_cbranch_execnz .LBB179_452
	s_branch .LBB179_453
	.section	.rodata,"a",@progbits
	.p2align	6, 0x0
	.amdhsa_kernel _ZL19rocblas_trsv_deviceILi32ELi16ELb1ELb1ELb0ELb0E19rocblas_complex_numIdEPKS1_PKS3_PKPS1_EviT7_lllT6_T8_lllPii
		.amdhsa_group_segment_fixed_size 25104
		.amdhsa_private_segment_fixed_size 0
		.amdhsa_kernarg_size 352
		.amdhsa_user_sgpr_count 6
		.amdhsa_user_sgpr_private_segment_buffer 1
		.amdhsa_user_sgpr_dispatch_ptr 0
		.amdhsa_user_sgpr_queue_ptr 0
		.amdhsa_user_sgpr_kernarg_segment_ptr 1
		.amdhsa_user_sgpr_dispatch_id 0
		.amdhsa_user_sgpr_flat_scratch_init 0
		.amdhsa_user_sgpr_private_segment_size 0
		.amdhsa_uses_dynamic_stack 0
		.amdhsa_system_sgpr_private_segment_wavefront_offset 0
		.amdhsa_system_sgpr_workgroup_id_x 1
		.amdhsa_system_sgpr_workgroup_id_y 0
		.amdhsa_system_sgpr_workgroup_id_z 1
		.amdhsa_system_sgpr_workgroup_info 0
		.amdhsa_system_vgpr_workitem_id 1
		.amdhsa_next_free_vgpr 49
		.amdhsa_next_free_sgpr 98
		.amdhsa_reserve_vcc 1
		.amdhsa_reserve_flat_scratch 0
		.amdhsa_float_round_mode_32 0
		.amdhsa_float_round_mode_16_64 0
		.amdhsa_float_denorm_mode_32 3
		.amdhsa_float_denorm_mode_16_64 3
		.amdhsa_dx10_clamp 1
		.amdhsa_ieee_mode 1
		.amdhsa_fp16_overflow 0
		.amdhsa_exception_fp_ieee_invalid_op 0
		.amdhsa_exception_fp_denorm_src 0
		.amdhsa_exception_fp_ieee_div_zero 0
		.amdhsa_exception_fp_ieee_overflow 0
		.amdhsa_exception_fp_ieee_underflow 0
		.amdhsa_exception_fp_ieee_inexact 0
		.amdhsa_exception_int_div_zero 0
	.end_amdhsa_kernel
	.section	.text._ZL19rocblas_trsv_deviceILi32ELi16ELb1ELb1ELb0ELb0E19rocblas_complex_numIdEPKS1_PKS3_PKPS1_EviT7_lllT6_T8_lllPii,"axG",@progbits,_ZL19rocblas_trsv_deviceILi32ELi16ELb1ELb1ELb0ELb0E19rocblas_complex_numIdEPKS1_PKS3_PKPS1_EviT7_lllT6_T8_lllPii,comdat
.Lfunc_end179:
	.size	_ZL19rocblas_trsv_deviceILi32ELi16ELb1ELb1ELb0ELb0E19rocblas_complex_numIdEPKS1_PKS3_PKPS1_EviT7_lllT6_T8_lllPii, .Lfunc_end179-_ZL19rocblas_trsv_deviceILi32ELi16ELb1ELb1ELb0ELb0E19rocblas_complex_numIdEPKS1_PKS3_PKPS1_EviT7_lllT6_T8_lllPii
                                        ; -- End function
	.set _ZL19rocblas_trsv_deviceILi32ELi16ELb1ELb1ELb0ELb0E19rocblas_complex_numIdEPKS1_PKS3_PKPS1_EviT7_lllT6_T8_lllPii.num_vgpr, 44
	.set _ZL19rocblas_trsv_deviceILi32ELi16ELb1ELb1ELb0ELb0E19rocblas_complex_numIdEPKS1_PKS3_PKPS1_EviT7_lllT6_T8_lllPii.num_agpr, 0
	.set _ZL19rocblas_trsv_deviceILi32ELi16ELb1ELb1ELb0ELb0E19rocblas_complex_numIdEPKS1_PKS3_PKPS1_EviT7_lllT6_T8_lllPii.numbered_sgpr, 96
	.set _ZL19rocblas_trsv_deviceILi32ELi16ELb1ELb1ELb0ELb0E19rocblas_complex_numIdEPKS1_PKS3_PKPS1_EviT7_lllT6_T8_lllPii.num_named_barrier, 0
	.set _ZL19rocblas_trsv_deviceILi32ELi16ELb1ELb1ELb0ELb0E19rocblas_complex_numIdEPKS1_PKS3_PKPS1_EviT7_lllT6_T8_lllPii.private_seg_size, 0
	.set _ZL19rocblas_trsv_deviceILi32ELi16ELb1ELb1ELb0ELb0E19rocblas_complex_numIdEPKS1_PKS3_PKPS1_EviT7_lllT6_T8_lllPii.uses_vcc, 1
	.set _ZL19rocblas_trsv_deviceILi32ELi16ELb1ELb1ELb0ELb0E19rocblas_complex_numIdEPKS1_PKS3_PKPS1_EviT7_lllT6_T8_lllPii.uses_flat_scratch, 0
	.set _ZL19rocblas_trsv_deviceILi32ELi16ELb1ELb1ELb0ELb0E19rocblas_complex_numIdEPKS1_PKS3_PKPS1_EviT7_lllT6_T8_lllPii.has_dyn_sized_stack, 0
	.set _ZL19rocblas_trsv_deviceILi32ELi16ELb1ELb1ELb0ELb0E19rocblas_complex_numIdEPKS1_PKS3_PKPS1_EviT7_lllT6_T8_lllPii.has_recursion, 0
	.set _ZL19rocblas_trsv_deviceILi32ELi16ELb1ELb1ELb0ELb0E19rocblas_complex_numIdEPKS1_PKS3_PKPS1_EviT7_lllT6_T8_lllPii.has_indirect_call, 0
	.section	.AMDGPU.csdata,"",@progbits
; Kernel info:
; codeLenInByte = 27832
; TotalNumSgprs: 100
; NumVgprs: 44
; ScratchSize: 0
; MemoryBound: 1
; FloatMode: 240
; IeeeMode: 1
; LDSByteSize: 25104 bytes/workgroup (compile time only)
; SGPRBlocks: 12
; VGPRBlocks: 12
; NumSGPRsForWavesPerEU: 102
; NumVGPRsForWavesPerEU: 49
; Occupancy: 4
; WaveLimiterHint : 1
; COMPUTE_PGM_RSRC2:SCRATCH_EN: 0
; COMPUTE_PGM_RSRC2:USER_SGPR: 6
; COMPUTE_PGM_RSRC2:TRAP_HANDLER: 0
; COMPUTE_PGM_RSRC2:TGID_X_EN: 1
; COMPUTE_PGM_RSRC2:TGID_Y_EN: 0
; COMPUTE_PGM_RSRC2:TGID_Z_EN: 1
; COMPUTE_PGM_RSRC2:TIDIG_COMP_CNT: 1
	.section	.text._ZL19rocblas_trsv_deviceILi32ELi16ELb1ELb1ELb1ELb0E19rocblas_complex_numIdEPKS1_PKS3_PKPS1_EviT7_lllT6_T8_lllPii,"axG",@progbits,_ZL19rocblas_trsv_deviceILi32ELi16ELb1ELb1ELb1ELb0E19rocblas_complex_numIdEPKS1_PKS3_PKPS1_EviT7_lllT6_T8_lllPii,comdat
	.globl	_ZL19rocblas_trsv_deviceILi32ELi16ELb1ELb1ELb1ELb0E19rocblas_complex_numIdEPKS1_PKS3_PKPS1_EviT7_lllT6_T8_lllPii ; -- Begin function _ZL19rocblas_trsv_deviceILi32ELi16ELb1ELb1ELb1ELb0E19rocblas_complex_numIdEPKS1_PKS3_PKPS1_EviT7_lllT6_T8_lllPii
	.p2align	8
	.type	_ZL19rocblas_trsv_deviceILi32ELi16ELb1ELb1ELb1ELb0E19rocblas_complex_numIdEPKS1_PKS3_PKPS1_EviT7_lllT6_T8_lllPii,@function
_ZL19rocblas_trsv_deviceILi32ELi16ELb1ELb1ELb1ELb0E19rocblas_complex_numIdEPKS1_PKS3_PKPS1_EviT7_lllT6_T8_lllPii: ; @_ZL19rocblas_trsv_deviceILi32ELi16ELb1ELb1ELb1ELb0E19rocblas_complex_numIdEPKS1_PKS3_PKPS1_EviT7_lllT6_T8_lllPii
; %bb.0:
	s_load_dwordx4 s[0:3], s[4:5], 0x8
	s_mov_b32 s28, s7
	s_mov_b32 s29, 0
	s_lshl_b64 s[8:9], s[28:29], 3
	v_mov_b32_e32 v2, v1
	s_waitcnt lgkmcnt(0)
	s_add_u32 s0, s0, s8
	s_addc_u32 s1, s1, s9
	s_load_dwordx2 s[10:11], s[0:1], 0x0
	s_load_dword s30, s[4:5], 0x0
	s_load_dwordx8 s[16:23], s[4:5], 0x28
	s_load_dwordx2 s[36:37], s[4:5], 0x18
	s_lshl_b64 s[0:1], s[2:3], 4
	s_waitcnt lgkmcnt(0)
	s_add_u32 s94, s10, s0
	s_addc_u32 s62, s11, s1
	s_add_u32 s0, s18, s8
	s_load_dword s7, s[4:5], 0x60
	s_addc_u32 s1, s19, s9
	s_load_dwordx2 s[38:39], s[0:1], 0x0
	s_load_dwordx4 s[24:27], s[16:17], 0x0
	s_load_dword s43, s[4:5], 0x6c
	s_waitcnt lgkmcnt(0)
	s_add_i32 s7, s7, -1
	s_sub_i32 s63, s7, s6
	s_cmp_lg_u32 s6, 0
	s_cbranch_scc0 .LBB180_545
; %bb.1:
	s_lshl_b32 s33, s63, 5
	v_add_u32_e32 v1, s33, v0
	v_ashrrev_i32_e32 v3, 31, v1
	v_mul_lo_u32 v7, s36, v3
	v_mul_lo_u32 v8, s37, v1
	v_mad_u64_u32 v[5:6], s[0:1], s36, v1, 0
	v_add3_u32 v3, v2, s33, 32
	v_ashrrev_i32_e32 v4, 31, v3
	v_add3_u32 v6, v6, v7, v8
	v_lshlrev_b64 v[5:6], 4, v[5:6]
	v_cmp_gt_i32_e32 vcc, s30, v1
	v_mov_b32_e32 v1, s62
	v_add_co_u32_e64 v7, s[0:1], s94, v5
	v_lshlrev_b64 v[4:5], 4, v[3:4]
	v_addc_co_u32_e64 v1, s[0:1], v1, v6, s[0:1]
	v_add_co_u32_e64 v11, s[0:1], v7, v4
	v_addc_co_u32_e64 v12, s[0:1], v1, v5, s[0:1]
	v_cmp_gt_i32_e64 s[0:1], s30, v3
	v_mov_b32_e32 v5, 0
	v_mov_b32_e32 v7, 0
	;; [unrolled: 1-line block ×6, first 2 shown]
	s_and_b64 s[2:3], s[0:1], vcc
	s_barrier
	s_and_saveexec_b64 s[0:1], s[2:3]
	s_cbranch_execz .LBB180_3
; %bb.2:
	flat_load_dwordx4 v[7:10], v[11:12]
.LBB180_3:
	s_or_b64 exec, exec, s[0:1]
	v_add_u32_e32 v1, 16, v3
	v_cmp_gt_i32_e64 s[0:1], s30, v1
	v_mov_b32_e32 v3, 0
	v_mov_b32_e32 v4, 0
	s_and_b64 s[2:3], s[0:1], vcc
	s_waitcnt vmcnt(0) lgkmcnt(0)
	s_barrier
	s_and_saveexec_b64 s[0:1], s[2:3]
	s_cbranch_execz .LBB180_5
; %bb.4:
	flat_load_dwordx4 v[3:6], v[11:12] offset:256
.LBB180_5:
	s_or_b64 exec, exec, s[0:1]
	s_branch .LBB180_7
.LBB180_6:
	s_lshl_b32 s33, s63, 5
                                        ; implicit-def: $vgpr7_vgpr8
                                        ; implicit-def: $vgpr3_vgpr4
.LBB180_7:
	s_ashr_i32 s31, s30, 31
	s_lshr_b32 s0, s31, 27
	s_add_i32 s0, s30, s0
	s_andn2_b32 s0, s0, 31
	s_sub_i32 s95, s30, s0
	s_add_i32 s0, s30, -1
	s_ashr_i32 s1, s0, 31
	s_lshr_b32 s1, s1, 27
	s_add_i32 s0, s0, s1
	s_ashr_i32 s0, s0, 5
	s_cmp_eq_u32 s0, s63
	s_cselect_b64 s[0:1], -1, 0
	s_cmp_lg_u32 s95, 0
	s_cselect_b64 s[2:3], -1, 0
	s_and_b64 s[34:35], s[2:3], s[0:1]
	s_cmp_lt_i32 s6, 5
	s_cselect_b64 s[2:3], -1, 0
	s_or_b64 s[0:1], s[2:3], s[34:35]
	s_ashr_i32 s42, s33, 31
	s_add_u32 s10, s36, 1
	v_mov_b32_e32 v1, 0
	v_mov_b32_e32 v11, s33
	v_mad_u64_u32 v[19:20], s[8:9], s10, v11, v[0:1]
	s_addc_u32 s11, s37, 0
	s_mul_i32 s8, s10, s42
	s_mul_i32 s11, s11, s33
	v_lshlrev_b32_e32 v21, 5, v0
	s_add_i32 s8, s8, s11
	s_mov_b64 s[12:13], -1
	v_add_u32_e32 v20, s8, v20
	s_and_b64 vcc, exec, s[34:35]
	v_add_u32_e32 v22, v2, v21
	v_cmp_le_u32_e64 s[8:9], v0, v2
	v_lshl_add_u32 v1, v2, 5, v0
	s_cbranch_vccnz .LBB180_37
; %bb.8:
	v_mad_u64_u32 v[11:12], s[10:11], s36, v2, v[19:20]
	v_cndmask_b32_e64 v23, v1, v22, s[2:3]
	v_mad_u64_u32 v[12:13], s[10:11], s37, v2, v[12:13]
	s_and_saveexec_b64 s[2:3], s[8:9]
	s_xor_b64 s[2:3], exec, s[2:3]
	s_cbranch_execz .LBB180_20
; %bb.9:
	v_cmp_ne_u32_e32 vcc, v0, v2
	s_and_saveexec_b64 s[8:9], vcc
	s_xor_b64 s[8:9], exec, s[8:9]
	s_cbranch_execz .LBB180_13
; %bb.10:
	v_or_b32_e32 v11, v2, v0
	v_cmp_gt_u32_e32 vcc, 32, v11
	s_and_saveexec_b64 s[10:11], vcc
	s_cbranch_execz .LBB180_12
; %bb.11:
	v_mov_b32_e32 v11, 0
	v_lshlrev_b32_e32 v15, 4, v23
	v_mov_b32_e32 v12, v11
	v_mov_b32_e32 v13, v11
	;; [unrolled: 1-line block ×3, first 2 shown]
	ds_write_b128 v15, v[11:14]
.LBB180_12:
	s_or_b64 exec, exec, s[10:11]
                                        ; implicit-def: $vgpr23
                                        ; implicit-def: $vgpr11_vgpr12
.LBB180_13:
	s_andn2_saveexec_b64 s[8:9], s[8:9]
	s_cbranch_execz .LBB180_19
; %bb.14:
	v_lshlrev_b64 v[11:12], 4, v[11:12]
	v_mov_b32_e32 v13, s62
	v_add_co_u32_e32 v11, vcc, s94, v11
	v_addc_co_u32_e32 v12, vcc, v13, v12, vcc
	flat_load_dwordx4 v[11:14], v[11:12]
                                        ; implicit-def: $vgpr15_vgpr16
	s_waitcnt vmcnt(0) lgkmcnt(0)
	v_cmp_ngt_f64_e64 s[10:11], |v[11:12]|, |v[13:14]|
	s_and_saveexec_b64 s[12:13], s[10:11]
	s_xor_b64 s[10:11], exec, s[12:13]
	s_cbranch_execz .LBB180_16
; %bb.15:
	v_div_scale_f64 v[15:16], s[12:13], -v[13:14], -v[13:14], v[11:12]
	v_rcp_f64_e32 v[17:18], v[15:16]
	v_fma_f64 v[24:25], -v[15:16], v[17:18], 1.0
	v_fma_f64 v[17:18], v[17:18], v[24:25], v[17:18]
	v_div_scale_f64 v[24:25], vcc, v[11:12], -v[13:14], v[11:12]
	v_fma_f64 v[26:27], -v[15:16], v[17:18], 1.0
	v_fma_f64 v[17:18], v[17:18], v[26:27], v[17:18]
	v_mul_f64 v[26:27], v[24:25], v[17:18]
	v_fma_f64 v[15:16], -v[15:16], v[26:27], v[24:25]
	v_div_fmas_f64 v[15:16], v[15:16], v[17:18], v[26:27]
	v_div_fixup_f64 v[15:16], v[15:16], -v[13:14], v[11:12]
	v_fma_f64 v[11:12], v[11:12], v[15:16], -v[13:14]
	v_div_scale_f64 v[13:14], s[12:13], v[11:12], v[11:12], 1.0
	v_div_scale_f64 v[26:27], vcc, 1.0, v[11:12], 1.0
	v_rcp_f64_e32 v[17:18], v[13:14]
	v_fma_f64 v[24:25], -v[13:14], v[17:18], 1.0
	v_fma_f64 v[17:18], v[17:18], v[24:25], v[17:18]
	v_fma_f64 v[24:25], -v[13:14], v[17:18], 1.0
	v_fma_f64 v[17:18], v[17:18], v[24:25], v[17:18]
	v_mul_f64 v[24:25], v[26:27], v[17:18]
	v_fma_f64 v[13:14], -v[13:14], v[24:25], v[26:27]
	v_div_fmas_f64 v[13:14], v[13:14], v[17:18], v[24:25]
	v_div_fixup_f64 v[17:18], v[13:14], v[11:12], 1.0
                                        ; implicit-def: $vgpr11_vgpr12
	v_mul_f64 v[15:16], v[15:16], v[17:18]
	v_xor_b32_e32 v18, 0x80000000, v18
.LBB180_16:
	s_andn2_saveexec_b64 s[10:11], s[10:11]
	s_cbranch_execz .LBB180_18
; %bb.17:
	v_div_scale_f64 v[15:16], s[12:13], v[11:12], v[11:12], -v[13:14]
	v_rcp_f64_e32 v[17:18], v[15:16]
	v_fma_f64 v[24:25], -v[15:16], v[17:18], 1.0
	v_fma_f64 v[17:18], v[17:18], v[24:25], v[17:18]
	v_div_scale_f64 v[24:25], vcc, -v[13:14], v[11:12], -v[13:14]
	v_fma_f64 v[26:27], -v[15:16], v[17:18], 1.0
	v_fma_f64 v[17:18], v[17:18], v[26:27], v[17:18]
	v_mul_f64 v[26:27], v[24:25], v[17:18]
	v_fma_f64 v[15:16], -v[15:16], v[26:27], v[24:25]
	v_div_fmas_f64 v[15:16], v[15:16], v[17:18], v[26:27]
	v_div_fixup_f64 v[17:18], v[15:16], v[11:12], -v[13:14]
	v_fma_f64 v[11:12], -v[13:14], v[17:18], v[11:12]
	v_div_scale_f64 v[13:14], s[12:13], v[11:12], v[11:12], 1.0
	v_div_scale_f64 v[26:27], vcc, 1.0, v[11:12], 1.0
	v_rcp_f64_e32 v[15:16], v[13:14]
	v_fma_f64 v[24:25], -v[13:14], v[15:16], 1.0
	v_fma_f64 v[15:16], v[15:16], v[24:25], v[15:16]
	v_fma_f64 v[24:25], -v[13:14], v[15:16], 1.0
	v_fma_f64 v[15:16], v[15:16], v[24:25], v[15:16]
	v_mul_f64 v[24:25], v[26:27], v[15:16]
	v_fma_f64 v[13:14], -v[13:14], v[24:25], v[26:27]
	v_div_fmas_f64 v[13:14], v[13:14], v[15:16], v[24:25]
	v_div_fixup_f64 v[15:16], v[13:14], v[11:12], 1.0
	v_mul_f64 v[17:18], v[17:18], -v[15:16]
.LBB180_18:
	s_or_b64 exec, exec, s[10:11]
	v_lshlrev_b32_e32 v11, 4, v23
	ds_write_b128 v11, v[15:18]
.LBB180_19:
	s_or_b64 exec, exec, s[8:9]
                                        ; implicit-def: $vgpr11_vgpr12
                                        ; implicit-def: $vgpr23
.LBB180_20:
	s_andn2_saveexec_b64 s[2:3], s[2:3]
	s_cbranch_execz .LBB180_22
; %bb.21:
	v_lshlrev_b64 v[11:12], 4, v[11:12]
	v_mov_b32_e32 v13, s62
	v_add_co_u32_e32 v11, vcc, s94, v11
	v_addc_co_u32_e32 v12, vcc, v13, v12, vcc
	flat_load_dwordx4 v[11:14], v[11:12]
	v_lshlrev_b32_e32 v15, 4, v23
	s_waitcnt vmcnt(0) lgkmcnt(0)
	v_xor_b32_e32 v12, 0x80000000, v12
	ds_write_b128 v15, v[11:14]
.LBB180_22:
	s_or_b64 exec, exec, s[2:3]
	v_add_u32_e32 v13, 16, v2
	v_mad_u64_u32 v[11:12], s[2:3], s36, v13, v[19:20]
	v_cmp_le_u32_e32 vcc, v0, v13
	v_mad_u64_u32 v[14:15], s[2:3], s37, v13, v[12:13]
	v_add_u32_e32 v12, v13, v21
	v_lshl_add_u32 v15, v13, 5, v0
	v_cndmask_b32_e64 v23, v15, v12, s[0:1]
	v_mov_b32_e32 v12, v14
	s_and_saveexec_b64 s[2:3], vcc
	s_xor_b64 s[2:3], exec, s[2:3]
	s_cbranch_execz .LBB180_34
; %bb.23:
	v_cmp_ne_u32_e32 vcc, v0, v13
	s_and_saveexec_b64 s[8:9], vcc
	s_xor_b64 s[8:9], exec, s[8:9]
	s_cbranch_execz .LBB180_27
; %bb.24:
	v_or_b32_e32 v11, v13, v0
	v_cmp_gt_u32_e32 vcc, 32, v11
	s_and_saveexec_b64 s[10:11], vcc
	s_cbranch_execz .LBB180_26
; %bb.25:
	v_mov_b32_e32 v11, 0
	v_lshlrev_b32_e32 v15, 4, v23
	v_mov_b32_e32 v12, v11
	v_mov_b32_e32 v13, v11
	;; [unrolled: 1-line block ×3, first 2 shown]
	ds_write_b128 v15, v[11:14]
.LBB180_26:
	s_or_b64 exec, exec, s[10:11]
                                        ; implicit-def: $vgpr23
                                        ; implicit-def: $vgpr11_vgpr12
.LBB180_27:
	s_andn2_saveexec_b64 s[8:9], s[8:9]
	s_cbranch_execz .LBB180_33
; %bb.28:
	v_lshlrev_b64 v[11:12], 4, v[11:12]
	v_mov_b32_e32 v13, s62
	v_add_co_u32_e32 v11, vcc, s94, v11
	v_addc_co_u32_e32 v12, vcc, v13, v12, vcc
	flat_load_dwordx4 v[11:14], v[11:12]
                                        ; implicit-def: $vgpr15_vgpr16
	s_waitcnt vmcnt(0) lgkmcnt(0)
	v_cmp_ngt_f64_e64 s[10:11], |v[11:12]|, |v[13:14]|
	s_and_saveexec_b64 s[12:13], s[10:11]
	s_xor_b64 s[10:11], exec, s[12:13]
	s_cbranch_execz .LBB180_30
; %bb.29:
	v_div_scale_f64 v[15:16], s[12:13], -v[13:14], -v[13:14], v[11:12]
	v_rcp_f64_e32 v[17:18], v[15:16]
	v_fma_f64 v[24:25], -v[15:16], v[17:18], 1.0
	v_fma_f64 v[17:18], v[17:18], v[24:25], v[17:18]
	v_div_scale_f64 v[24:25], vcc, v[11:12], -v[13:14], v[11:12]
	v_fma_f64 v[26:27], -v[15:16], v[17:18], 1.0
	v_fma_f64 v[17:18], v[17:18], v[26:27], v[17:18]
	v_mul_f64 v[26:27], v[24:25], v[17:18]
	v_fma_f64 v[15:16], -v[15:16], v[26:27], v[24:25]
	v_div_fmas_f64 v[15:16], v[15:16], v[17:18], v[26:27]
	v_div_fixup_f64 v[15:16], v[15:16], -v[13:14], v[11:12]
	v_fma_f64 v[11:12], v[11:12], v[15:16], -v[13:14]
	v_div_scale_f64 v[13:14], s[12:13], v[11:12], v[11:12], 1.0
	v_div_scale_f64 v[26:27], vcc, 1.0, v[11:12], 1.0
	v_rcp_f64_e32 v[17:18], v[13:14]
	v_fma_f64 v[24:25], -v[13:14], v[17:18], 1.0
	v_fma_f64 v[17:18], v[17:18], v[24:25], v[17:18]
	v_fma_f64 v[24:25], -v[13:14], v[17:18], 1.0
	v_fma_f64 v[17:18], v[17:18], v[24:25], v[17:18]
	v_mul_f64 v[24:25], v[26:27], v[17:18]
	v_fma_f64 v[13:14], -v[13:14], v[24:25], v[26:27]
	v_div_fmas_f64 v[13:14], v[13:14], v[17:18], v[24:25]
	v_div_fixup_f64 v[17:18], v[13:14], v[11:12], 1.0
                                        ; implicit-def: $vgpr11_vgpr12
	v_mul_f64 v[15:16], v[15:16], v[17:18]
	v_xor_b32_e32 v18, 0x80000000, v18
.LBB180_30:
	s_andn2_saveexec_b64 s[10:11], s[10:11]
	s_cbranch_execz .LBB180_32
; %bb.31:
	v_div_scale_f64 v[15:16], s[12:13], v[11:12], v[11:12], -v[13:14]
	v_rcp_f64_e32 v[17:18], v[15:16]
	v_fma_f64 v[24:25], -v[15:16], v[17:18], 1.0
	v_fma_f64 v[17:18], v[17:18], v[24:25], v[17:18]
	v_div_scale_f64 v[24:25], vcc, -v[13:14], v[11:12], -v[13:14]
	v_fma_f64 v[26:27], -v[15:16], v[17:18], 1.0
	v_fma_f64 v[17:18], v[17:18], v[26:27], v[17:18]
	v_mul_f64 v[26:27], v[24:25], v[17:18]
	v_fma_f64 v[15:16], -v[15:16], v[26:27], v[24:25]
	v_div_fmas_f64 v[15:16], v[15:16], v[17:18], v[26:27]
	v_div_fixup_f64 v[17:18], v[15:16], v[11:12], -v[13:14]
	v_fma_f64 v[11:12], -v[13:14], v[17:18], v[11:12]
	v_div_scale_f64 v[13:14], s[12:13], v[11:12], v[11:12], 1.0
	v_div_scale_f64 v[26:27], vcc, 1.0, v[11:12], 1.0
	v_rcp_f64_e32 v[15:16], v[13:14]
	v_fma_f64 v[24:25], -v[13:14], v[15:16], 1.0
	v_fma_f64 v[15:16], v[15:16], v[24:25], v[15:16]
	v_fma_f64 v[24:25], -v[13:14], v[15:16], 1.0
	v_fma_f64 v[15:16], v[15:16], v[24:25], v[15:16]
	v_mul_f64 v[24:25], v[26:27], v[15:16]
	v_fma_f64 v[13:14], -v[13:14], v[24:25], v[26:27]
	v_div_fmas_f64 v[13:14], v[13:14], v[15:16], v[24:25]
	v_div_fixup_f64 v[15:16], v[13:14], v[11:12], 1.0
	v_mul_f64 v[17:18], v[17:18], -v[15:16]
.LBB180_32:
	s_or_b64 exec, exec, s[10:11]
	v_lshlrev_b32_e32 v11, 4, v23
	ds_write_b128 v11, v[15:18]
.LBB180_33:
	s_or_b64 exec, exec, s[8:9]
                                        ; implicit-def: $vgpr11_vgpr12
                                        ; implicit-def: $vgpr23
.LBB180_34:
	s_andn2_saveexec_b64 s[2:3], s[2:3]
	s_cbranch_execz .LBB180_36
; %bb.35:
	v_lshlrev_b64 v[11:12], 4, v[11:12]
	v_mov_b32_e32 v13, s62
	v_add_co_u32_e32 v11, vcc, s94, v11
	v_addc_co_u32_e32 v12, vcc, v13, v12, vcc
	flat_load_dwordx4 v[11:14], v[11:12]
	v_lshlrev_b32_e32 v15, 4, v23
	s_waitcnt vmcnt(0) lgkmcnt(0)
	v_xor_b32_e32 v12, 0x80000000, v12
	ds_write_b128 v15, v[11:14]
.LBB180_36:
	s_or_b64 exec, exec, s[2:3]
	s_mov_b64 s[12:13], 0
.LBB180_37:
	s_xor_b64 s[10:11], s[0:1], -1
	s_and_b64 vcc, exec, s[12:13]
	s_cbranch_vccz .LBB180_67
; %bb.38:
	v_mad_u64_u32 v[11:12], s[2:3], s36, v2, v[19:20]
	v_cmp_le_u32_e32 vcc, v0, v2
	v_cmp_gt_i32_e64 s[2:3], s95, v0
	v_mad_u64_u32 v[12:13], s[8:9], s37, v2, v[12:13]
	v_max_i32_e32 v13, v2, v0
	v_cmp_le_i32_e64 s[8:9], s95, v13
	s_or_b64 s[8:9], s[8:9], vcc
	s_and_saveexec_b64 s[12:13], s[8:9]
	s_xor_b64 s[8:9], exec, s[12:13]
	s_cbranch_execz .LBB180_50
; %bb.39:
	v_cmp_ne_u32_e32 vcc, v0, v2
	s_xor_b64 s[12:13], s[2:3], -1
	s_or_b64 s[12:13], s[12:13], vcc
	s_and_saveexec_b64 s[14:15], s[12:13]
	s_xor_b64 s[12:13], exec, s[14:15]
	s_cbranch_execz .LBB180_43
; %bb.40:
	v_or_b32_e32 v11, v2, v0
	v_cmp_gt_u32_e32 vcc, 32, v11
	s_and_saveexec_b64 s[14:15], vcc
	s_cbranch_execz .LBB180_42
; %bb.41:
	v_mov_b32_e32 v11, 0
	v_lshlrev_b32_e32 v15, 4, v22
	v_mov_b32_e32 v12, v11
	v_mov_b32_e32 v13, v11
	;; [unrolled: 1-line block ×3, first 2 shown]
	ds_write_b128 v15, v[11:14]
.LBB180_42:
	s_or_b64 exec, exec, s[14:15]
                                        ; implicit-def: $vgpr22
                                        ; implicit-def: $vgpr11_vgpr12
.LBB180_43:
	s_andn2_saveexec_b64 s[12:13], s[12:13]
	s_cbranch_execz .LBB180_49
; %bb.44:
	v_lshlrev_b64 v[11:12], 4, v[11:12]
	v_mov_b32_e32 v13, s62
	v_add_co_u32_e32 v11, vcc, s94, v11
	v_addc_co_u32_e32 v12, vcc, v13, v12, vcc
	flat_load_dwordx4 v[11:14], v[11:12]
                                        ; implicit-def: $vgpr15_vgpr16
	s_waitcnt vmcnt(0) lgkmcnt(0)
	v_cmp_ngt_f64_e64 s[14:15], |v[11:12]|, |v[13:14]|
	s_and_saveexec_b64 s[16:17], s[14:15]
	s_xor_b64 s[14:15], exec, s[16:17]
	s_cbranch_execz .LBB180_46
; %bb.45:
	v_div_scale_f64 v[15:16], s[16:17], -v[13:14], -v[13:14], v[11:12]
	v_rcp_f64_e32 v[17:18], v[15:16]
	v_fma_f64 v[23:24], -v[15:16], v[17:18], 1.0
	v_fma_f64 v[17:18], v[17:18], v[23:24], v[17:18]
	v_div_scale_f64 v[23:24], vcc, v[11:12], -v[13:14], v[11:12]
	v_fma_f64 v[25:26], -v[15:16], v[17:18], 1.0
	v_fma_f64 v[17:18], v[17:18], v[25:26], v[17:18]
	v_mul_f64 v[25:26], v[23:24], v[17:18]
	v_fma_f64 v[15:16], -v[15:16], v[25:26], v[23:24]
	v_div_fmas_f64 v[15:16], v[15:16], v[17:18], v[25:26]
	v_div_fixup_f64 v[15:16], v[15:16], -v[13:14], v[11:12]
	v_fma_f64 v[11:12], v[11:12], v[15:16], -v[13:14]
	v_div_scale_f64 v[13:14], s[16:17], v[11:12], v[11:12], 1.0
	v_div_scale_f64 v[25:26], vcc, 1.0, v[11:12], 1.0
	v_rcp_f64_e32 v[17:18], v[13:14]
	v_fma_f64 v[23:24], -v[13:14], v[17:18], 1.0
	v_fma_f64 v[17:18], v[17:18], v[23:24], v[17:18]
	v_fma_f64 v[23:24], -v[13:14], v[17:18], 1.0
	v_fma_f64 v[17:18], v[17:18], v[23:24], v[17:18]
	v_mul_f64 v[23:24], v[25:26], v[17:18]
	v_fma_f64 v[13:14], -v[13:14], v[23:24], v[25:26]
	v_div_fmas_f64 v[13:14], v[13:14], v[17:18], v[23:24]
	v_div_fixup_f64 v[17:18], v[13:14], v[11:12], 1.0
                                        ; implicit-def: $vgpr11_vgpr12
	v_mul_f64 v[15:16], v[15:16], v[17:18]
	v_xor_b32_e32 v18, 0x80000000, v18
.LBB180_46:
	s_andn2_saveexec_b64 s[14:15], s[14:15]
	s_cbranch_execz .LBB180_48
; %bb.47:
	v_div_scale_f64 v[15:16], s[16:17], v[11:12], v[11:12], -v[13:14]
	v_rcp_f64_e32 v[17:18], v[15:16]
	v_fma_f64 v[23:24], -v[15:16], v[17:18], 1.0
	v_fma_f64 v[17:18], v[17:18], v[23:24], v[17:18]
	v_div_scale_f64 v[23:24], vcc, -v[13:14], v[11:12], -v[13:14]
	v_fma_f64 v[25:26], -v[15:16], v[17:18], 1.0
	v_fma_f64 v[17:18], v[17:18], v[25:26], v[17:18]
	v_mul_f64 v[25:26], v[23:24], v[17:18]
	v_fma_f64 v[15:16], -v[15:16], v[25:26], v[23:24]
	v_div_fmas_f64 v[15:16], v[15:16], v[17:18], v[25:26]
	v_div_fixup_f64 v[17:18], v[15:16], v[11:12], -v[13:14]
	v_fma_f64 v[11:12], -v[13:14], v[17:18], v[11:12]
	v_div_scale_f64 v[13:14], s[16:17], v[11:12], v[11:12], 1.0
	v_div_scale_f64 v[25:26], vcc, 1.0, v[11:12], 1.0
	v_rcp_f64_e32 v[15:16], v[13:14]
	v_fma_f64 v[23:24], -v[13:14], v[15:16], 1.0
	v_fma_f64 v[15:16], v[15:16], v[23:24], v[15:16]
	v_fma_f64 v[23:24], -v[13:14], v[15:16], 1.0
	v_fma_f64 v[15:16], v[15:16], v[23:24], v[15:16]
	v_mul_f64 v[23:24], v[25:26], v[15:16]
	v_fma_f64 v[13:14], -v[13:14], v[23:24], v[25:26]
	v_div_fmas_f64 v[13:14], v[13:14], v[15:16], v[23:24]
	v_div_fixup_f64 v[15:16], v[13:14], v[11:12], 1.0
	v_mul_f64 v[17:18], v[17:18], -v[15:16]
.LBB180_48:
	s_or_b64 exec, exec, s[14:15]
	v_lshlrev_b32_e32 v11, 4, v22
	ds_write_b128 v11, v[15:18]
.LBB180_49:
	s_or_b64 exec, exec, s[12:13]
                                        ; implicit-def: $vgpr11_vgpr12
                                        ; implicit-def: $vgpr22
.LBB180_50:
	s_andn2_saveexec_b64 s[8:9], s[8:9]
	s_cbranch_execz .LBB180_52
; %bb.51:
	v_lshlrev_b64 v[11:12], 4, v[11:12]
	v_mov_b32_e32 v13, s62
	v_add_co_u32_e32 v11, vcc, s94, v11
	v_addc_co_u32_e32 v12, vcc, v13, v12, vcc
	flat_load_dwordx4 v[11:14], v[11:12]
	v_lshlrev_b32_e32 v15, 4, v22
	s_waitcnt vmcnt(0) lgkmcnt(0)
	v_xor_b32_e32 v12, 0x80000000, v12
	ds_write_b128 v15, v[11:14]
.LBB180_52:
	s_or_b64 exec, exec, s[8:9]
	v_add_u32_e32 v13, 16, v2
	v_mad_u64_u32 v[11:12], s[8:9], s36, v13, v[19:20]
	v_add_u32_e32 v16, v13, v21
	v_cmp_gt_u32_e32 vcc, v0, v13
	v_mad_u64_u32 v[14:15], s[8:9], s37, v13, v[12:13]
	v_lshl_add_u32 v12, v13, 5, v0
	v_cndmask_b32_e64 v19, v12, v16, s[0:1]
	v_cmp_gt_i32_e64 s[0:1], s95, v13
	s_and_b64 s[0:1], vcc, s[0:1]
	s_and_b64 s[0:1], s[2:3], s[0:1]
	v_mov_b32_e32 v12, v14
	s_xor_b64 s[0:1], s[0:1], -1
	s_and_saveexec_b64 s[8:9], s[0:1]
	s_xor_b64 s[0:1], exec, s[8:9]
	s_cbranch_execz .LBB180_64
; %bb.53:
	v_cmp_ne_u32_e32 vcc, v0, v13
	s_xor_b64 s[2:3], s[2:3], -1
	s_or_b64 s[2:3], s[2:3], vcc
	s_and_saveexec_b64 s[8:9], s[2:3]
	s_xor_b64 s[2:3], exec, s[8:9]
	s_cbranch_execz .LBB180_57
; %bb.54:
	v_or_b32_e32 v11, v13, v0
	v_cmp_gt_u32_e32 vcc, 32, v11
	s_and_saveexec_b64 s[8:9], vcc
	s_cbranch_execz .LBB180_56
; %bb.55:
	v_mov_b32_e32 v11, 0
	v_lshlrev_b32_e32 v15, 4, v19
	v_mov_b32_e32 v12, v11
	v_mov_b32_e32 v13, v11
	;; [unrolled: 1-line block ×3, first 2 shown]
	ds_write_b128 v15, v[11:14]
.LBB180_56:
	s_or_b64 exec, exec, s[8:9]
                                        ; implicit-def: $vgpr19
                                        ; implicit-def: $vgpr11_vgpr12
.LBB180_57:
	s_andn2_saveexec_b64 s[2:3], s[2:3]
	s_cbranch_execz .LBB180_63
; %bb.58:
	v_lshlrev_b64 v[11:12], 4, v[11:12]
	v_mov_b32_e32 v13, s62
	v_add_co_u32_e32 v11, vcc, s94, v11
	v_addc_co_u32_e32 v12, vcc, v13, v12, vcc
	flat_load_dwordx4 v[11:14], v[11:12]
                                        ; implicit-def: $vgpr15_vgpr16
	s_waitcnt vmcnt(0) lgkmcnt(0)
	v_cmp_ngt_f64_e64 s[8:9], |v[11:12]|, |v[13:14]|
	s_and_saveexec_b64 s[12:13], s[8:9]
	s_xor_b64 s[8:9], exec, s[12:13]
	s_cbranch_execz .LBB180_60
; %bb.59:
	v_div_scale_f64 v[15:16], s[12:13], -v[13:14], -v[13:14], v[11:12]
	v_rcp_f64_e32 v[17:18], v[15:16]
	v_fma_f64 v[20:21], -v[15:16], v[17:18], 1.0
	v_fma_f64 v[17:18], v[17:18], v[20:21], v[17:18]
	v_div_scale_f64 v[20:21], vcc, v[11:12], -v[13:14], v[11:12]
	v_fma_f64 v[22:23], -v[15:16], v[17:18], 1.0
	v_fma_f64 v[17:18], v[17:18], v[22:23], v[17:18]
	v_mul_f64 v[22:23], v[20:21], v[17:18]
	v_fma_f64 v[15:16], -v[15:16], v[22:23], v[20:21]
	v_div_fmas_f64 v[15:16], v[15:16], v[17:18], v[22:23]
	v_div_fixup_f64 v[15:16], v[15:16], -v[13:14], v[11:12]
	v_fma_f64 v[11:12], v[11:12], v[15:16], -v[13:14]
	v_div_scale_f64 v[13:14], s[12:13], v[11:12], v[11:12], 1.0
	v_div_scale_f64 v[22:23], vcc, 1.0, v[11:12], 1.0
	v_rcp_f64_e32 v[17:18], v[13:14]
	v_fma_f64 v[20:21], -v[13:14], v[17:18], 1.0
	v_fma_f64 v[17:18], v[17:18], v[20:21], v[17:18]
	v_fma_f64 v[20:21], -v[13:14], v[17:18], 1.0
	v_fma_f64 v[17:18], v[17:18], v[20:21], v[17:18]
	v_mul_f64 v[20:21], v[22:23], v[17:18]
	v_fma_f64 v[13:14], -v[13:14], v[20:21], v[22:23]
	v_div_fmas_f64 v[13:14], v[13:14], v[17:18], v[20:21]
	v_div_fixup_f64 v[17:18], v[13:14], v[11:12], 1.0
                                        ; implicit-def: $vgpr11_vgpr12
	v_mul_f64 v[15:16], v[15:16], v[17:18]
	v_xor_b32_e32 v18, 0x80000000, v18
.LBB180_60:
	s_andn2_saveexec_b64 s[8:9], s[8:9]
	s_cbranch_execz .LBB180_62
; %bb.61:
	v_div_scale_f64 v[15:16], s[12:13], v[11:12], v[11:12], -v[13:14]
	v_rcp_f64_e32 v[17:18], v[15:16]
	v_fma_f64 v[20:21], -v[15:16], v[17:18], 1.0
	v_fma_f64 v[17:18], v[17:18], v[20:21], v[17:18]
	v_div_scale_f64 v[20:21], vcc, -v[13:14], v[11:12], -v[13:14]
	v_fma_f64 v[22:23], -v[15:16], v[17:18], 1.0
	v_fma_f64 v[17:18], v[17:18], v[22:23], v[17:18]
	v_mul_f64 v[22:23], v[20:21], v[17:18]
	v_fma_f64 v[15:16], -v[15:16], v[22:23], v[20:21]
	v_div_fmas_f64 v[15:16], v[15:16], v[17:18], v[22:23]
	v_div_fixup_f64 v[17:18], v[15:16], v[11:12], -v[13:14]
	v_fma_f64 v[11:12], -v[13:14], v[17:18], v[11:12]
	v_div_scale_f64 v[13:14], s[12:13], v[11:12], v[11:12], 1.0
	v_div_scale_f64 v[22:23], vcc, 1.0, v[11:12], 1.0
	v_rcp_f64_e32 v[15:16], v[13:14]
	v_fma_f64 v[20:21], -v[13:14], v[15:16], 1.0
	v_fma_f64 v[15:16], v[15:16], v[20:21], v[15:16]
	v_fma_f64 v[20:21], -v[13:14], v[15:16], 1.0
	v_fma_f64 v[15:16], v[15:16], v[20:21], v[15:16]
	v_mul_f64 v[20:21], v[22:23], v[15:16]
	v_fma_f64 v[13:14], -v[13:14], v[20:21], v[22:23]
	v_div_fmas_f64 v[13:14], v[13:14], v[15:16], v[20:21]
	v_div_fixup_f64 v[15:16], v[13:14], v[11:12], 1.0
	v_mul_f64 v[17:18], v[17:18], -v[15:16]
.LBB180_62:
	s_or_b64 exec, exec, s[8:9]
	v_lshlrev_b32_e32 v11, 4, v19
	ds_write_b128 v11, v[15:18]
.LBB180_63:
	s_or_b64 exec, exec, s[2:3]
                                        ; implicit-def: $vgpr11_vgpr12
                                        ; implicit-def: $vgpr19
.LBB180_64:
	s_andn2_saveexec_b64 s[0:1], s[0:1]
	s_cbranch_execz .LBB180_66
; %bb.65:
	v_lshlrev_b64 v[11:12], 4, v[11:12]
	v_mov_b32_e32 v13, s62
	v_add_co_u32_e32 v11, vcc, s94, v11
	v_addc_co_u32_e32 v12, vcc, v13, v12, vcc
	flat_load_dwordx4 v[11:14], v[11:12]
	v_lshlrev_b32_e32 v15, 4, v19
	s_waitcnt vmcnt(0) lgkmcnt(0)
	v_xor_b32_e32 v12, 0x80000000, v12
	ds_write_b128 v15, v[11:14]
.LBB180_66:
	s_or_b64 exec, exec, s[0:1]
.LBB180_67:
	v_cndmask_b32_e64 v11, 0, 1, s[10:11]
	v_cmp_ne_u32_e64 s[48:49], 1, v11
	s_andn2_b64 vcc, exec, s[10:11]
	s_waitcnt vmcnt(0) lgkmcnt(0)
	s_barrier
	s_cbranch_vccnz .LBB180_491
; %bb.68:
	v_or_b32_e32 v11, v0, v2
	v_cmp_eq_u32_e32 vcc, 0, v11
	s_and_saveexec_b64 s[2:3], vcc
	s_cbranch_execz .LBB180_70
; %bb.69:
	v_mov_b32_e32 v25, 0
	ds_read_b128 v[11:14], v25 offset:528
	ds_read_b128 v[15:18], v25
	ds_read_b128 v[19:22], v25 offset:16
	s_waitcnt lgkmcnt(1)
	v_mul_f64 v[23:24], v[11:12], v[17:18]
	v_mul_f64 v[17:18], v[13:14], v[17:18]
	v_fma_f64 v[13:14], v[13:14], v[15:16], v[23:24]
	v_fma_f64 v[11:12], v[11:12], v[15:16], -v[17:18]
	s_waitcnt lgkmcnt(0)
	v_mul_f64 v[15:16], v[13:14], v[21:22]
	v_mul_f64 v[17:18], v[11:12], v[21:22]
	v_fma_f64 v[11:12], v[19:20], v[11:12], -v[15:16]
	v_fma_f64 v[13:14], v[19:20], v[13:14], v[17:18]
	ds_write_b128 v25, v[11:14] offset:16
	ds_write_b128 v25, v[11:14] offset:512
.LBB180_70:
	s_or_b64 exec, exec, s[2:3]
	v_and_b32_e32 v18, 1, v0
	v_lshrrev_b32_e32 v17, 1, v1
	v_lshlrev_b32_e32 v15, 4, v18
	v_mov_b32_e32 v13, 0
	v_mov_b32_e32 v11, 0
	v_cmp_lt_u32_e64 s[8:9], 3, v1
	v_cmp_gt_u32_e64 s[2:3], 4, v1
	v_mov_b32_e32 v14, 0
	v_mov_b32_e32 v12, 0
	v_lshl_or_b32 v15, v17, 9, v15
	s_waitcnt lgkmcnt(0)
	s_barrier
	s_and_saveexec_b64 s[12:13], s[2:3]
	s_cbranch_execz .LBB180_74
; %bb.71:
	v_mul_u32_u24_e32 v11, 0x210, v17
	ds_read_b128 v[11:14], v11
	ds_read_b128 v[19:22], v15 offset:32
	v_cmp_gt_u32_e64 s[10:11], 2, v1
	s_waitcnt lgkmcnt(0)
	v_mul_f64 v[23:24], v[13:14], v[21:22]
	v_mul_f64 v[21:22], v[11:12], v[21:22]
	v_fma_f64 v[11:12], v[11:12], v[19:20], -v[23:24]
	v_fma_f64 v[13:14], v[13:14], v[19:20], v[21:22]
	v_add_f64 v[11:12], v[11:12], 0
	v_add_f64 v[13:14], v[13:14], 0
	s_and_saveexec_b64 s[14:15], s[10:11]
	s_cbranch_execz .LBB180_73
; %bb.72:
	v_mov_b32_e32 v19, 0
	v_lshlrev_b32_e32 v16, 4, v0
	ds_read_b128 v[19:22], v19 offset:16
	ds_read_b128 v[23:26], v16 offset:544
	s_waitcnt lgkmcnt(0)
	v_mul_f64 v[27:28], v[21:22], v[25:26]
	v_mul_f64 v[25:26], v[19:20], v[25:26]
	v_fma_f64 v[19:20], v[19:20], v[23:24], -v[27:28]
	v_fma_f64 v[21:22], v[21:22], v[23:24], v[25:26]
	v_add_f64 v[11:12], v[11:12], v[19:20]
	v_add_f64 v[13:14], v[13:14], v[21:22]
.LBB180_73:
	s_or_b64 exec, exec, s[14:15]
	v_xor_b32_e32 v12, 0x80000000, v12
	v_xor_b32_e32 v14, 0x80000000, v14
.LBB180_74:
                                        ; implicit-def: $vgpr43 : SGPR spill to VGPR lane
	v_writelane_b32 v43, s42, 0
	s_or_b64 exec, exec, s[12:13]
	v_mov_b32_e32 v16, 0x4000
	v_cmp_eq_u32_e64 s[10:11], 0, v18
	s_xor_b64 s[12:13], s[8:9], -1
	v_lshl_add_u32 v16, v17, 4, v16
	s_and_b64 s[42:43], s[10:11], s[12:13]
	s_and_saveexec_b64 s[8:9], s[42:43]
	s_cbranch_execz .LBB180_76
; %bb.75:
	v_mov_b32_e32 v19, 0
	ds_read_b128 v[19:22], v19 offset:1056
	s_waitcnt lgkmcnt(0)
	v_mul_f64 v[23:24], v[13:14], v[21:22]
	v_mul_f64 v[21:22], v[11:12], v[21:22]
	v_fma_f64 v[11:12], v[11:12], v[19:20], -v[23:24]
	v_fma_f64 v[13:14], v[13:14], v[19:20], v[21:22]
	ds_write_b128 v16, v[11:14]
.LBB180_76:
	s_or_b64 exec, exec, s[8:9]
	v_cmp_ne_u32_e64 s[8:9], 0, v18
	s_and_b64 s[40:41], s[8:9], s[12:13]
	s_waitcnt lgkmcnt(0)
	s_barrier
	s_and_saveexec_b64 s[8:9], s[40:41]
	s_cbranch_execz .LBB180_78
; %bb.77:
	v_mov_b32_e32 v22, 0
	ds_read_b128 v[18:21], v16
	ds_read_b128 v[22:25], v22 offset:1072
	s_waitcnt lgkmcnt(0)
	v_mul_f64 v[26:27], v[20:21], v[24:25]
	v_mul_f64 v[24:25], v[18:19], v[24:25]
	v_fma_f64 v[18:19], v[18:19], v[22:23], -v[26:27]
	v_fma_f64 v[20:21], v[20:21], v[22:23], v[24:25]
	v_add_f64 v[11:12], v[11:12], v[18:19]
	v_add_f64 v[13:14], v[13:14], v[20:21]
.LBB180_78:
	s_or_b64 exec, exec, s[8:9]
	s_barrier
	s_and_saveexec_b64 s[8:9], s[40:41]
	s_cbranch_execz .LBB180_80
; %bb.79:
	v_mov_b32_e32 v18, 0
	ds_read_b128 v[18:21], v18 offset:1584
	s_waitcnt lgkmcnt(0)
	v_mul_f64 v[22:23], v[13:14], v[20:21]
	v_mul_f64 v[20:21], v[11:12], v[20:21]
	v_fma_f64 v[11:12], v[11:12], v[18:19], -v[22:23]
	v_fma_f64 v[13:14], v[13:14], v[18:19], v[20:21]
	ds_write_b128 v16, v[11:14]
.LBB180_80:
	s_or_b64 exec, exec, s[8:9]
	s_waitcnt lgkmcnt(0)
	s_barrier
	s_barrier
	s_and_saveexec_b64 s[8:9], s[2:3]
; %bb.81:
	v_xor_b32_e32 v12, 0x80000000, v12
	v_xor_b32_e32 v14, 0x80000000, v14
	ds_write_b128 v15, v[11:14] offset:32
; %bb.82:
	s_or_b64 exec, exec, s[8:9]
	v_cmp_eq_u32_e64 s[10:11], 0, v2
	v_cmp_gt_u32_e64 s[8:9], 2, v0
	s_and_b64 s[44:45], s[10:11], s[8:9]
	s_waitcnt lgkmcnt(0)
	s_barrier
	s_barrier
	s_and_saveexec_b64 s[8:9], s[44:45]
	s_cbranch_execz .LBB180_84
; %bb.83:
	v_lshlrev_b32_e32 v18, 9, v0
	ds_read_b128 v[11:14], v18 offset:32
	s_movk_i32 s0, 0xfe10
	v_mad_i32_i24 v19, v0, s0, v18
	s_waitcnt lgkmcnt(0)
	ds_write_b128 v19, v[11:14] offset:1024
	ds_read_b128 v[11:14], v18 offset:48
	s_waitcnt lgkmcnt(0)
	ds_write_b128 v19, v[11:14] offset:1536
.LBB180_84:
	s_or_b64 exec, exec, s[8:9]
	s_waitcnt lgkmcnt(0)
	s_barrier
	s_and_saveexec_b64 s[8:9], vcc
	s_cbranch_execz .LBB180_86
; %bb.85:
	v_mov_b32_e32 v28, 0
	ds_read_b128 v[11:14], v28 offset:1584
	ds_read_b128 v[18:21], v28 offset:1056
	;; [unrolled: 1-line block ×3, first 2 shown]
	s_waitcnt lgkmcnt(1)
	v_mul_f64 v[26:27], v[11:12], v[20:21]
	v_mul_f64 v[20:21], v[13:14], v[20:21]
	v_fma_f64 v[13:14], v[13:14], v[18:19], v[26:27]
	v_fma_f64 v[11:12], v[11:12], v[18:19], -v[20:21]
	s_waitcnt lgkmcnt(0)
	v_mul_f64 v[18:19], v[13:14], v[24:25]
	v_mul_f64 v[20:21], v[11:12], v[24:25]
	v_fma_f64 v[11:12], v[22:23], v[11:12], -v[18:19]
	v_fma_f64 v[13:14], v[22:23], v[13:14], v[20:21]
	ds_write_b128 v28, v[11:14] offset:1072
	ds_write_b128 v28, v[11:14] offset:1568
.LBB180_86:
	s_or_b64 exec, exec, s[8:9]
	v_and_b32_e32 v21, 3, v0
	v_lshrrev_b32_e32 v22, 2, v1
	v_lshlrev_b32_e32 v19, 4, v21
	v_mov_b32_e32 v13, 0
	v_mov_b32_e32 v11, 0
	v_cmp_lt_u32_e64 s[8:9], 15, v1
	v_cmp_gt_u32_e64 s[16:17], 16, v1
	v_mov_b32_e32 v14, 0
	v_mov_b32_e32 v12, 0
	v_lshl_or_b32 v18, v22, 9, v19
	s_waitcnt lgkmcnt(0)
	s_barrier
	s_and_saveexec_b64 s[14:15], s[16:17]
	s_cbranch_execz .LBB180_92
; %bb.87:
	v_mul_u32_u24_e32 v20, 0x210, v22
	ds_read_b128 v[11:14], v20
	ds_read_b128 v[23:26], v18 offset:64
	v_cmp_gt_u32_e64 s[12:13], 12, v1
	s_waitcnt lgkmcnt(0)
	v_mul_f64 v[27:28], v[13:14], v[25:26]
	v_mul_f64 v[25:26], v[11:12], v[25:26]
	v_fma_f64 v[11:12], v[11:12], v[23:24], -v[27:28]
	v_fma_f64 v[13:14], v[13:14], v[23:24], v[25:26]
	v_add_f64 v[11:12], v[11:12], 0
	v_add_f64 v[13:14], v[13:14], 0
	s_and_saveexec_b64 s[18:19], s[12:13]
	s_cbranch_execnz .LBB180_550
; %bb.88:
	s_or_b64 exec, exec, s[18:19]
	v_cmp_gt_u32_e64 s[12:13], 8, v1
	s_and_saveexec_b64 s[18:19], s[12:13]
	s_cbranch_execnz .LBB180_551
.LBB180_89:
	s_or_b64 exec, exec, s[18:19]
	v_cmp_gt_u32_e64 s[12:13], 4, v1
	s_and_saveexec_b64 s[18:19], s[12:13]
	s_cbranch_execz .LBB180_91
.LBB180_90:
	v_mov_b32_e32 v23, 0
	v_lshlrev_b32_e32 v20, 4, v0
	ds_read_b128 v[23:26], v23 offset:48
	ds_read_b128 v[27:30], v20 offset:1600
	s_waitcnt lgkmcnt(0)
	v_mul_f64 v[31:32], v[25:26], v[29:30]
	v_mul_f64 v[29:30], v[23:24], v[29:30]
	v_fma_f64 v[23:24], v[23:24], v[27:28], -v[31:32]
	v_fma_f64 v[25:26], v[25:26], v[27:28], v[29:30]
	v_add_f64 v[11:12], v[11:12], v[23:24]
	v_add_f64 v[13:14], v[13:14], v[25:26]
.LBB180_91:
	s_or_b64 exec, exec, s[18:19]
	v_xor_b32_e32 v12, 0x80000000, v12
	v_xor_b32_e32 v14, 0x80000000, v14
.LBB180_92:
	v_writelane_b32 v43, s48, 1
	v_writelane_b32 v43, s49, 2
	s_or_b64 exec, exec, s[14:15]
	v_mov_b32_e32 v20, 0x4000
	v_cmp_eq_u32_e64 s[12:13], 0, v21
	s_xor_b64 s[14:15], s[8:9], -1
	v_lshl_add_u32 v20, v22, 4, v20
	s_and_b64 s[48:49], s[12:13], s[14:15]
	s_and_saveexec_b64 s[8:9], s[48:49]
	s_cbranch_execz .LBB180_94
; %bb.93:
	v_mov_b32_e32 v23, 0
	ds_read_b128 v[23:26], v23 offset:2112
	s_waitcnt lgkmcnt(0)
	v_mul_f64 v[27:28], v[13:14], v[25:26]
	v_mul_f64 v[25:26], v[11:12], v[25:26]
	v_fma_f64 v[11:12], v[11:12], v[23:24], -v[27:28]
	v_fma_f64 v[13:14], v[13:14], v[23:24], v[25:26]
	ds_write_b128 v20, v[11:14]
.LBB180_94:
	s_or_b64 exec, exec, s[8:9]
	v_cmp_ne_u32_e64 s[8:9], 0, v21
	s_and_b64 s[50:51], s[8:9], s[14:15]
	s_waitcnt lgkmcnt(0)
	s_barrier
	s_and_saveexec_b64 s[8:9], s[50:51]
	s_cbranch_execz .LBB180_96
; %bb.95:
	ds_read_b128 v[23:26], v20
	ds_read_b128 v[27:30], v19 offset:2112
	s_waitcnt lgkmcnt(0)
	v_mul_f64 v[31:32], v[25:26], v[29:30]
	v_mul_f64 v[29:30], v[23:24], v[29:30]
	v_fma_f64 v[23:24], v[23:24], v[27:28], -v[31:32]
	v_fma_f64 v[25:26], v[25:26], v[27:28], v[29:30]
	v_add_f64 v[11:12], v[11:12], v[23:24]
	v_add_f64 v[13:14], v[13:14], v[25:26]
.LBB180_96:
	s_or_b64 exec, exec, s[8:9]
	v_cmp_eq_u32_e64 s[8:9], 1, v21
	s_and_b64 s[52:53], s[8:9], s[14:15]
	s_barrier
	s_and_saveexec_b64 s[8:9], s[52:53]
	s_cbranch_execz .LBB180_98
; %bb.97:
	v_mov_b32_e32 v23, 0
	ds_read_b128 v[23:26], v23 offset:2640
	s_waitcnt lgkmcnt(0)
	v_mul_f64 v[27:28], v[13:14], v[25:26]
	v_mul_f64 v[25:26], v[11:12], v[25:26]
	v_fma_f64 v[11:12], v[11:12], v[23:24], -v[27:28]
	v_fma_f64 v[13:14], v[13:14], v[23:24], v[25:26]
	ds_write_b128 v20, v[11:14]
.LBB180_98:
	s_or_b64 exec, exec, s[8:9]
	v_cmp_lt_u32_e64 s[8:9], 1, v21
	s_and_b64 s[54:55], s[8:9], s[14:15]
	s_waitcnt lgkmcnt(0)
	s_barrier
	s_and_saveexec_b64 s[8:9], s[54:55]
	s_cbranch_execz .LBB180_100
; %bb.99:
	ds_read_b128 v[23:26], v20
	ds_read_b128 v[27:30], v19 offset:2624
	s_waitcnt lgkmcnt(0)
	v_mul_f64 v[31:32], v[25:26], v[29:30]
	v_mul_f64 v[29:30], v[23:24], v[29:30]
	v_fma_f64 v[23:24], v[23:24], v[27:28], -v[31:32]
	v_fma_f64 v[25:26], v[25:26], v[27:28], v[29:30]
	v_add_f64 v[11:12], v[11:12], v[23:24]
	v_add_f64 v[13:14], v[13:14], v[25:26]
.LBB180_100:
	s_or_b64 exec, exec, s[8:9]
	v_cmp_eq_u32_e64 s[8:9], 2, v21
	s_and_b64 s[56:57], s[8:9], s[14:15]
	s_barrier
	s_and_saveexec_b64 s[8:9], s[56:57]
	s_cbranch_execz .LBB180_102
; %bb.101:
	v_mov_b32_e32 v23, 0
	ds_read_b128 v[23:26], v23 offset:3168
	s_waitcnt lgkmcnt(0)
	v_mul_f64 v[27:28], v[13:14], v[25:26]
	v_mul_f64 v[25:26], v[11:12], v[25:26]
	v_fma_f64 v[11:12], v[11:12], v[23:24], -v[27:28]
	v_fma_f64 v[13:14], v[13:14], v[23:24], v[25:26]
	ds_write_b128 v20, v[11:14]
.LBB180_102:
	s_or_b64 exec, exec, s[8:9]
	v_cmp_eq_u32_e64 s[8:9], 3, v21
	s_and_b64 s[46:47], s[8:9], s[14:15]
	s_waitcnt lgkmcnt(0)
	s_barrier
	s_and_saveexec_b64 s[8:9], s[46:47]
	s_cbranch_execz .LBB180_104
; %bb.103:
	v_mov_b32_e32 v27, 0
	ds_read_b128 v[23:26], v20
	ds_read_b128 v[27:30], v27 offset:3184
	s_waitcnt lgkmcnt(0)
	v_mul_f64 v[31:32], v[25:26], v[29:30]
	v_mul_f64 v[29:30], v[23:24], v[29:30]
	v_fma_f64 v[23:24], v[23:24], v[27:28], -v[31:32]
	v_fma_f64 v[25:26], v[25:26], v[27:28], v[29:30]
	v_add_f64 v[11:12], v[11:12], v[23:24]
	v_add_f64 v[13:14], v[13:14], v[25:26]
.LBB180_104:
	s_or_b64 exec, exec, s[8:9]
	s_barrier
	s_and_saveexec_b64 s[8:9], s[46:47]
	s_cbranch_execz .LBB180_106
; %bb.105:
	v_mov_b32_e32 v23, 0
	ds_read_b128 v[23:26], v23 offset:3696
	s_waitcnt lgkmcnt(0)
	v_mul_f64 v[27:28], v[13:14], v[25:26]
	v_mul_f64 v[25:26], v[11:12], v[25:26]
	v_fma_f64 v[11:12], v[11:12], v[23:24], -v[27:28]
	v_fma_f64 v[13:14], v[13:14], v[23:24], v[25:26]
	ds_write_b128 v20, v[11:14]
.LBB180_106:
	s_or_b64 exec, exec, s[8:9]
	s_waitcnt lgkmcnt(0)
	s_barrier
	s_barrier
	s_and_saveexec_b64 s[8:9], s[16:17]
; %bb.107:
	v_xor_b32_e32 v14, 0x80000000, v14
	v_xor_b32_e32 v12, 0x80000000, v12
	ds_write_b128 v18, v[11:14] offset:64
; %bb.108:
	s_or_b64 exec, exec, s[8:9]
	v_cmp_gt_u32_e64 s[8:9], 4, v0
	s_and_b64 s[58:59], s[10:11], s[8:9]
	s_waitcnt lgkmcnt(0)
	s_barrier
	s_barrier
	s_and_saveexec_b64 s[8:9], s[58:59]
	s_cbranch_execz .LBB180_110
; %bb.109:
	v_lshlrev_b32_e32 v23, 4, v0
	s_movk_i32 s0, 0x1f0
	v_mad_u32_u24 v24, v0, s0, v23
	ds_read_b128 v[11:14], v24 offset:64
	s_waitcnt lgkmcnt(0)
	ds_write_b128 v23, v[11:14] offset:2048
	ds_read_b128 v[11:14], v24 offset:80
	s_waitcnt lgkmcnt(0)
	ds_write_b128 v23, v[11:14] offset:2560
	;; [unrolled: 3-line block ×4, first 2 shown]
.LBB180_110:
	s_or_b64 exec, exec, s[8:9]
	s_waitcnt lgkmcnt(0)
	s_barrier
	s_and_saveexec_b64 s[8:9], vcc
	s_cbranch_execz .LBB180_112
; %bb.111:
	v_mov_b32_e32 v33, 0
	ds_read_b128 v[11:14], v33 offset:2640
	ds_read_b128 v[23:26], v33 offset:2112
	;; [unrolled: 1-line block ×3, first 2 shown]
	s_waitcnt lgkmcnt(1)
	v_mul_f64 v[31:32], v[11:12], v[25:26]
	v_mul_f64 v[25:26], v[13:14], v[25:26]
	v_fma_f64 v[13:14], v[13:14], v[23:24], v[31:32]
	v_fma_f64 v[11:12], v[11:12], v[23:24], -v[25:26]
	s_waitcnt lgkmcnt(0)
	v_mul_f64 v[23:24], v[13:14], v[29:30]
	v_mul_f64 v[25:26], v[11:12], v[29:30]
	v_fma_f64 v[11:12], v[27:28], v[11:12], -v[23:24]
	v_fma_f64 v[13:14], v[27:28], v[13:14], v[25:26]
	ds_write_b128 v33, v[11:14] offset:2128
	ds_write_b128 v33, v[11:14] offset:2624
.LBB180_112:
	s_or_b64 exec, exec, s[8:9]
	v_mov_b32_e32 v13, 0
	v_mov_b32_e32 v11, 0
	;; [unrolled: 1-line block ×4, first 2 shown]
	s_waitcnt lgkmcnt(0)
	s_barrier
	s_and_saveexec_b64 s[12:13], s[2:3]
	s_cbranch_execz .LBB180_116
; %bb.113:
	v_mul_u32_u24_e32 v11, 0x210, v17
	ds_read_b128 v[11:14], v11 offset:2112
	ds_read_b128 v[23:26], v15 offset:2144
	v_cmp_gt_u32_e64 s[8:9], 2, v1
	s_waitcnt lgkmcnt(0)
	v_mul_f64 v[27:28], v[13:14], v[25:26]
	v_mul_f64 v[25:26], v[11:12], v[25:26]
	v_fma_f64 v[11:12], v[11:12], v[23:24], -v[27:28]
	v_fma_f64 v[13:14], v[13:14], v[23:24], v[25:26]
	v_add_f64 v[11:12], v[11:12], 0
	v_add_f64 v[13:14], v[13:14], 0
	s_and_saveexec_b64 s[14:15], s[8:9]
	s_cbranch_execz .LBB180_115
; %bb.114:
	v_lshlrev_b32_e32 v27, 4, v0
	v_mov_b32_e32 v23, 0
	ds_read_b128 v[23:26], v23 offset:2128
	ds_read_b128 v[27:30], v27 offset:2656
	s_waitcnt lgkmcnt(0)
	v_mul_f64 v[31:32], v[25:26], v[29:30]
	v_mul_f64 v[29:30], v[23:24], v[29:30]
	v_fma_f64 v[23:24], v[23:24], v[27:28], -v[31:32]
	v_fma_f64 v[25:26], v[25:26], v[27:28], v[29:30]
	v_add_f64 v[11:12], v[11:12], v[23:24]
	v_add_f64 v[13:14], v[13:14], v[25:26]
.LBB180_115:
	s_or_b64 exec, exec, s[14:15]
	v_xor_b32_e32 v12, 0x80000000, v12
	v_xor_b32_e32 v14, 0x80000000, v14
.LBB180_116:
	s_or_b64 exec, exec, s[12:13]
	s_and_saveexec_b64 s[8:9], s[42:43]
	s_cbranch_execz .LBB180_118
; %bb.117:
	v_mov_b32_e32 v23, 0
	ds_read_b128 v[23:26], v23 offset:3168
	s_waitcnt lgkmcnt(0)
	v_mul_f64 v[27:28], v[13:14], v[25:26]
	v_mul_f64 v[25:26], v[11:12], v[25:26]
	v_fma_f64 v[11:12], v[11:12], v[23:24], -v[27:28]
	v_fma_f64 v[13:14], v[13:14], v[23:24], v[25:26]
	ds_write_b128 v16, v[11:14]
.LBB180_118:
	s_or_b64 exec, exec, s[8:9]
	s_waitcnt lgkmcnt(0)
	s_barrier
	s_and_saveexec_b64 s[8:9], s[40:41]
	s_cbranch_execz .LBB180_120
; %bb.119:
	v_mov_b32_e32 v27, 0
	ds_read_b128 v[23:26], v16
	ds_read_b128 v[27:30], v27 offset:3184
	s_waitcnt lgkmcnt(0)
	v_mul_f64 v[31:32], v[25:26], v[29:30]
	v_mul_f64 v[29:30], v[23:24], v[29:30]
	v_fma_f64 v[23:24], v[23:24], v[27:28], -v[31:32]
	v_fma_f64 v[25:26], v[25:26], v[27:28], v[29:30]
	v_add_f64 v[11:12], v[11:12], v[23:24]
	v_add_f64 v[13:14], v[13:14], v[25:26]
.LBB180_120:
	s_or_b64 exec, exec, s[8:9]
	s_barrier
	s_and_saveexec_b64 s[8:9], s[40:41]
	s_cbranch_execz .LBB180_122
; %bb.121:
	v_mov_b32_e32 v23, 0
	ds_read_b128 v[23:26], v23 offset:3696
	s_waitcnt lgkmcnt(0)
	v_mul_f64 v[27:28], v[13:14], v[25:26]
	v_mul_f64 v[25:26], v[11:12], v[25:26]
	v_fma_f64 v[11:12], v[11:12], v[23:24], -v[27:28]
	v_fma_f64 v[13:14], v[13:14], v[23:24], v[25:26]
	ds_write_b128 v16, v[11:14]
.LBB180_122:
	s_or_b64 exec, exec, s[8:9]
	s_waitcnt lgkmcnt(0)
	s_barrier
	s_barrier
	s_and_saveexec_b64 s[8:9], s[2:3]
; %bb.123:
	v_xor_b32_e32 v12, 0x80000000, v12
	v_xor_b32_e32 v14, 0x80000000, v14
	ds_write_b128 v15, v[11:14] offset:2144
; %bb.124:
	s_or_b64 exec, exec, s[8:9]
	s_waitcnt lgkmcnt(0)
	s_barrier
	s_barrier
	s_and_saveexec_b64 s[8:9], s[44:45]
	s_cbranch_execz .LBB180_126
; %bb.125:
	v_lshlrev_b32_e32 v23, 9, v0
	ds_read_b128 v[11:14], v23 offset:2144
	s_movk_i32 s0, 0xfe10
	v_mad_i32_i24 v24, v0, s0, v23
	s_waitcnt lgkmcnt(0)
	ds_write_b128 v24, v[11:14] offset:3136
	ds_read_b128 v[11:14], v23 offset:2160
	s_waitcnt lgkmcnt(0)
	ds_write_b128 v24, v[11:14] offset:3648
.LBB180_126:
	s_or_b64 exec, exec, s[8:9]
	s_waitcnt lgkmcnt(0)
	s_barrier
	s_and_saveexec_b64 s[8:9], vcc
	s_cbranch_execz .LBB180_128
; %bb.127:
	v_mov_b32_e32 v33, 0
	ds_read_b128 v[11:14], v33 offset:3696
	ds_read_b128 v[23:26], v33 offset:3168
	;; [unrolled: 1-line block ×3, first 2 shown]
	s_waitcnt lgkmcnt(1)
	v_mul_f64 v[31:32], v[11:12], v[25:26]
	v_mul_f64 v[25:26], v[13:14], v[25:26]
	v_fma_f64 v[13:14], v[13:14], v[23:24], v[31:32]
	v_fma_f64 v[11:12], v[11:12], v[23:24], -v[25:26]
	s_waitcnt lgkmcnt(0)
	v_mul_f64 v[23:24], v[13:14], v[29:30]
	v_mul_f64 v[25:26], v[11:12], v[29:30]
	v_fma_f64 v[11:12], v[27:28], v[11:12], -v[23:24]
	v_fma_f64 v[13:14], v[27:28], v[13:14], v[25:26]
	ds_write_b128 v33, v[11:14] offset:3184
	ds_write_b128 v33, v[11:14] offset:3680
.LBB180_128:
	s_or_b64 exec, exec, s[8:9]
	v_and_b32_e32 v26, 7, v0
	v_lshrrev_b32_e32 v27, 3, v1
	v_lshlrev_b32_e32 v24, 4, v26
	v_mov_b32_e32 v13, 0
	v_mov_b32_e32 v11, 0
	v_cmp_lt_u32_e64 s[12:13], 63, v1
	v_cmp_gt_u32_e64 s[8:9], 64, v1
	v_mov_b32_e32 v14, 0
	v_mov_b32_e32 v12, 0
	v_lshl_or_b32 v23, v27, 9, v24
	s_waitcnt lgkmcnt(0)
	s_barrier
	s_and_saveexec_b64 s[18:19], s[8:9]
	s_cbranch_execz .LBB180_138
; %bb.129:
	v_mul_u32_u24_e32 v25, 0x210, v27
	ds_read_b128 v[11:14], v25
	ds_read_b128 v[28:31], v23 offset:128
	v_cmp_gt_u32_e64 s[14:15], 56, v1
	s_waitcnt lgkmcnt(0)
	v_mul_f64 v[32:33], v[13:14], v[30:31]
	v_mul_f64 v[30:31], v[11:12], v[30:31]
	v_fma_f64 v[11:12], v[11:12], v[28:29], -v[32:33]
	v_fma_f64 v[13:14], v[13:14], v[28:29], v[30:31]
	v_add_f64 v[11:12], v[11:12], 0
	v_add_f64 v[13:14], v[13:14], 0
	s_and_saveexec_b64 s[60:61], s[14:15]
	s_cbranch_execnz .LBB180_552
; %bb.130:
	s_or_b64 exec, exec, s[60:61]
	v_cmp_gt_u32_e64 s[14:15], 48, v1
	s_and_saveexec_b64 s[60:61], s[14:15]
	s_cbranch_execnz .LBB180_553
.LBB180_131:
	s_or_b64 exec, exec, s[60:61]
	v_cmp_gt_u32_e64 s[14:15], 40, v1
	s_and_saveexec_b64 s[60:61], s[14:15]
	s_cbranch_execnz .LBB180_554
.LBB180_132:
	s_or_b64 exec, exec, s[60:61]
	v_cmp_gt_u32_e64 s[14:15], 32, v1
	s_and_saveexec_b64 s[60:61], s[14:15]
	s_cbranch_execnz .LBB180_555
.LBB180_133:
	s_or_b64 exec, exec, s[60:61]
	v_cmp_gt_u32_e64 s[14:15], 24, v1
	s_and_saveexec_b64 s[60:61], s[14:15]
	s_cbranch_execnz .LBB180_556
.LBB180_134:
	s_or_b64 exec, exec, s[60:61]
	v_cmp_gt_u32_e64 s[14:15], 16, v1
	s_and_saveexec_b64 s[60:61], s[14:15]
	s_cbranch_execnz .LBB180_557
.LBB180_135:
	s_or_b64 exec, exec, s[60:61]
	v_cmp_gt_u32_e64 s[14:15], 8, v1
	s_and_saveexec_b64 s[60:61], s[14:15]
	s_cbranch_execz .LBB180_137
.LBB180_136:
	v_mov_b32_e32 v28, 0
	v_lshlrev_b32_e32 v25, 4, v0
	ds_read_b128 v[28:31], v28 offset:112
	ds_read_b128 v[32:35], v25 offset:3712
	s_waitcnt lgkmcnt(0)
	v_mul_f64 v[36:37], v[30:31], v[34:35]
	v_mul_f64 v[34:35], v[28:29], v[34:35]
	v_fma_f64 v[28:29], v[28:29], v[32:33], -v[36:37]
	v_fma_f64 v[30:31], v[30:31], v[32:33], v[34:35]
	v_add_f64 v[11:12], v[11:12], v[28:29]
	v_add_f64 v[13:14], v[13:14], v[30:31]
.LBB180_137:
	s_or_b64 exec, exec, s[60:61]
	v_xor_b32_e32 v12, 0x80000000, v12
	v_xor_b32_e32 v14, 0x80000000, v14
.LBB180_138:
	s_or_b64 exec, exec, s[18:19]
	v_mov_b32_e32 v25, 0x4000
	v_cmp_eq_u32_e64 s[14:15], 0, v26
	s_xor_b64 s[18:19], s[12:13], -1
	v_lshl_add_u32 v25, v27, 4, v25
	s_and_b64 s[0:1], s[14:15], s[18:19]
	s_and_saveexec_b64 s[12:13], s[0:1]
	s_cbranch_execz .LBB180_140
; %bb.139:
	v_mov_b32_e32 v28, 0
	ds_read_b128 v[28:31], v28 offset:4224
	s_waitcnt lgkmcnt(0)
	v_mul_f64 v[32:33], v[13:14], v[30:31]
	v_mul_f64 v[30:31], v[11:12], v[30:31]
	v_fma_f64 v[11:12], v[11:12], v[28:29], -v[32:33]
	v_fma_f64 v[13:14], v[13:14], v[28:29], v[30:31]
	ds_write_b128 v25, v[11:14]
.LBB180_140:
	s_or_b64 exec, exec, s[12:13]
	v_cmp_ne_u32_e64 s[12:13], 0, v26
	s_and_b64 s[64:65], s[12:13], s[18:19]
	s_waitcnt lgkmcnt(0)
	s_barrier
	s_and_saveexec_b64 s[12:13], s[64:65]
	s_cbranch_execz .LBB180_142
; %bb.141:
	ds_read_b128 v[28:31], v25
	ds_read_b128 v[32:35], v24 offset:4224
	s_waitcnt lgkmcnt(0)
	v_mul_f64 v[36:37], v[30:31], v[34:35]
	v_mul_f64 v[34:35], v[28:29], v[34:35]
	v_fma_f64 v[28:29], v[28:29], v[32:33], -v[36:37]
	v_fma_f64 v[30:31], v[30:31], v[32:33], v[34:35]
	v_add_f64 v[11:12], v[11:12], v[28:29]
	v_add_f64 v[13:14], v[13:14], v[30:31]
.LBB180_142:
	s_or_b64 exec, exec, s[12:13]
	v_cmp_eq_u32_e64 s[12:13], 1, v26
	s_and_b64 s[66:67], s[12:13], s[18:19]
	s_barrier
	s_and_saveexec_b64 s[12:13], s[66:67]
	s_cbranch_execz .LBB180_144
; %bb.143:
	v_mov_b32_e32 v28, 0
	ds_read_b128 v[28:31], v28 offset:4752
	s_waitcnt lgkmcnt(0)
	v_mul_f64 v[32:33], v[13:14], v[30:31]
	v_mul_f64 v[30:31], v[11:12], v[30:31]
	v_fma_f64 v[11:12], v[11:12], v[28:29], -v[32:33]
	v_fma_f64 v[13:14], v[13:14], v[28:29], v[30:31]
	ds_write_b128 v25, v[11:14]
.LBB180_144:
	s_or_b64 exec, exec, s[12:13]
	v_cmp_lt_u32_e64 s[12:13], 1, v26
	s_and_b64 s[68:69], s[12:13], s[18:19]
	s_waitcnt lgkmcnt(0)
	s_barrier
	s_and_saveexec_b64 s[12:13], s[68:69]
	s_cbranch_execz .LBB180_146
; %bb.145:
	ds_read_b128 v[28:31], v25
	ds_read_b128 v[32:35], v24 offset:4736
	s_waitcnt lgkmcnt(0)
	v_mul_f64 v[36:37], v[30:31], v[34:35]
	v_mul_f64 v[34:35], v[28:29], v[34:35]
	v_fma_f64 v[28:29], v[28:29], v[32:33], -v[36:37]
	v_fma_f64 v[30:31], v[30:31], v[32:33], v[34:35]
	v_add_f64 v[11:12], v[11:12], v[28:29]
	v_add_f64 v[13:14], v[13:14], v[30:31]
.LBB180_146:
	s_or_b64 exec, exec, s[12:13]
	v_cmp_eq_u32_e64 s[12:13], 2, v26
	s_and_b64 s[70:71], s[12:13], s[18:19]
	s_barrier
	s_and_saveexec_b64 s[12:13], s[70:71]
	s_cbranch_execz .LBB180_148
; %bb.147:
	v_mov_b32_e32 v28, 0
	ds_read_b128 v[28:31], v28 offset:5280
	s_waitcnt lgkmcnt(0)
	v_mul_f64 v[32:33], v[13:14], v[30:31]
	v_mul_f64 v[30:31], v[11:12], v[30:31]
	v_fma_f64 v[11:12], v[11:12], v[28:29], -v[32:33]
	v_fma_f64 v[13:14], v[13:14], v[28:29], v[30:31]
	ds_write_b128 v25, v[11:14]
.LBB180_148:
	s_or_b64 exec, exec, s[12:13]
	v_cmp_lt_u32_e64 s[12:13], 2, v26
	;; [unrolled: 34-line block ×5, first 2 shown]
	s_and_b64 s[84:85], s[12:13], s[18:19]
	s_waitcnt lgkmcnt(0)
	s_barrier
	s_and_saveexec_b64 s[12:13], s[84:85]
	s_cbranch_execz .LBB180_162
; %bb.161:
	ds_read_b128 v[28:31], v25
	ds_read_b128 v[32:35], v24 offset:6784
	s_waitcnt lgkmcnt(0)
	v_mul_f64 v[36:37], v[30:31], v[34:35]
	v_mul_f64 v[34:35], v[28:29], v[34:35]
	v_fma_f64 v[28:29], v[28:29], v[32:33], -v[36:37]
	v_fma_f64 v[30:31], v[30:31], v[32:33], v[34:35]
	v_add_f64 v[11:12], v[11:12], v[28:29]
	v_add_f64 v[13:14], v[13:14], v[30:31]
.LBB180_162:
	s_or_b64 exec, exec, s[12:13]
	v_cmp_eq_u32_e64 s[12:13], 6, v26
	s_and_b64 s[86:87], s[12:13], s[18:19]
	s_barrier
	s_and_saveexec_b64 s[12:13], s[86:87]
	s_cbranch_execz .LBB180_164
; %bb.163:
	v_mov_b32_e32 v28, 0
	ds_read_b128 v[28:31], v28 offset:7392
	s_waitcnt lgkmcnt(0)
	v_mul_f64 v[32:33], v[13:14], v[30:31]
	v_mul_f64 v[30:31], v[11:12], v[30:31]
	v_fma_f64 v[11:12], v[11:12], v[28:29], -v[32:33]
	v_fma_f64 v[13:14], v[13:14], v[28:29], v[30:31]
	ds_write_b128 v25, v[11:14]
.LBB180_164:
	s_or_b64 exec, exec, s[12:13]
	v_cmp_eq_u32_e64 s[12:13], 7, v26
	s_and_b64 s[60:61], s[12:13], s[18:19]
	s_waitcnt lgkmcnt(0)
	s_barrier
	s_and_saveexec_b64 s[12:13], s[60:61]
	s_cbranch_execz .LBB180_166
; %bb.165:
	v_mov_b32_e32 v32, 0
	ds_read_b128 v[28:31], v25
	ds_read_b128 v[32:35], v32 offset:7408
	s_waitcnt lgkmcnt(0)
	v_mul_f64 v[36:37], v[30:31], v[34:35]
	v_mul_f64 v[34:35], v[28:29], v[34:35]
	v_fma_f64 v[28:29], v[28:29], v[32:33], -v[36:37]
	v_fma_f64 v[30:31], v[30:31], v[32:33], v[34:35]
	v_add_f64 v[11:12], v[11:12], v[28:29]
	v_add_f64 v[13:14], v[13:14], v[30:31]
.LBB180_166:
	s_or_b64 exec, exec, s[12:13]
	s_barrier
	s_and_saveexec_b64 s[12:13], s[60:61]
	s_cbranch_execz .LBB180_168
; %bb.167:
	v_mov_b32_e32 v28, 0
	ds_read_b128 v[28:31], v28 offset:7920
	s_waitcnt lgkmcnt(0)
	v_mul_f64 v[32:33], v[13:14], v[30:31]
	v_mul_f64 v[30:31], v[11:12], v[30:31]
	v_fma_f64 v[11:12], v[11:12], v[28:29], -v[32:33]
	v_fma_f64 v[13:14], v[13:14], v[28:29], v[30:31]
	ds_write_b128 v25, v[11:14]
.LBB180_168:
	s_or_b64 exec, exec, s[12:13]
	s_waitcnt lgkmcnt(0)
	s_barrier
	s_barrier
	s_and_saveexec_b64 s[12:13], s[8:9]
; %bb.169:
	v_xor_b32_e32 v12, 0x80000000, v12
	v_xor_b32_e32 v14, 0x80000000, v14
	ds_write_b128 v23, v[11:14] offset:128
; %bb.170:
	s_or_b64 exec, exec, s[12:13]
	v_cmp_gt_u32_e64 s[12:13], 8, v0
	s_and_b64 s[88:89], s[10:11], s[12:13]
	s_waitcnt lgkmcnt(0)
	s_barrier
	s_barrier
	s_and_saveexec_b64 s[12:13], s[88:89]
	s_cbranch_execz .LBB180_172
; %bb.171:
	v_lshlrev_b32_e32 v28, 9, v0
	ds_read_b128 v[11:14], v28 offset:128
	s_movk_i32 s14, 0xfe10
	v_mad_i32_i24 v29, v0, s14, v28
	s_waitcnt lgkmcnt(0)
	ds_write_b128 v29, v[11:14] offset:4096
	ds_read_b128 v[11:14], v28 offset:144
	s_waitcnt lgkmcnt(0)
	ds_write_b128 v29, v[11:14] offset:4608
	ds_read_b128 v[11:14], v28 offset:160
	;; [unrolled: 3-line block ×7, first 2 shown]
	s_waitcnt lgkmcnt(0)
	ds_write_b128 v29, v[11:14] offset:7680
.LBB180_172:
	s_or_b64 exec, exec, s[12:13]
	s_waitcnt lgkmcnt(0)
	s_barrier
	s_and_saveexec_b64 s[12:13], vcc
	s_cbranch_execz .LBB180_174
; %bb.173:
	v_mov_b32_e32 v38, 0
	ds_read_b128 v[11:14], v38 offset:4752
	ds_read_b128 v[28:31], v38 offset:4224
	;; [unrolled: 1-line block ×3, first 2 shown]
	s_waitcnt lgkmcnt(1)
	v_mul_f64 v[36:37], v[11:12], v[30:31]
	v_mul_f64 v[30:31], v[13:14], v[30:31]
	v_fma_f64 v[13:14], v[13:14], v[28:29], v[36:37]
	v_fma_f64 v[11:12], v[11:12], v[28:29], -v[30:31]
	s_waitcnt lgkmcnt(0)
	v_mul_f64 v[28:29], v[13:14], v[34:35]
	v_mul_f64 v[30:31], v[11:12], v[34:35]
	v_fma_f64 v[11:12], v[32:33], v[11:12], -v[28:29]
	v_fma_f64 v[13:14], v[32:33], v[13:14], v[30:31]
	ds_write_b128 v38, v[11:14] offset:4240
	ds_write_b128 v38, v[11:14] offset:4736
.LBB180_174:
	s_or_b64 exec, exec, s[12:13]
	v_mov_b32_e32 v13, 0
	v_mov_b32_e32 v11, 0
	;; [unrolled: 1-line block ×4, first 2 shown]
	s_waitcnt lgkmcnt(0)
	s_barrier
	s_and_saveexec_b64 s[14:15], s[2:3]
	s_cbranch_execz .LBB180_178
; %bb.175:
	v_mul_u32_u24_e32 v11, 0x210, v17
	ds_read_b128 v[11:14], v11 offset:4224
	ds_read_b128 v[28:31], v15 offset:4256
	v_cmp_gt_u32_e64 s[12:13], 2, v1
	s_waitcnt lgkmcnt(0)
	v_mul_f64 v[32:33], v[13:14], v[30:31]
	v_mul_f64 v[30:31], v[11:12], v[30:31]
	v_fma_f64 v[11:12], v[11:12], v[28:29], -v[32:33]
	v_fma_f64 v[13:14], v[13:14], v[28:29], v[30:31]
	v_add_f64 v[11:12], v[11:12], 0
	v_add_f64 v[13:14], v[13:14], 0
	s_and_saveexec_b64 s[18:19], s[12:13]
	s_cbranch_execz .LBB180_177
; %bb.176:
	v_lshlrev_b32_e32 v32, 4, v0
	v_mov_b32_e32 v28, 0
	ds_read_b128 v[28:31], v28 offset:4240
	ds_read_b128 v[32:35], v32 offset:4768
	s_waitcnt lgkmcnt(0)
	v_mul_f64 v[36:37], v[30:31], v[34:35]
	v_mul_f64 v[34:35], v[28:29], v[34:35]
	v_fma_f64 v[28:29], v[28:29], v[32:33], -v[36:37]
	v_fma_f64 v[30:31], v[30:31], v[32:33], v[34:35]
	v_add_f64 v[11:12], v[11:12], v[28:29]
	v_add_f64 v[13:14], v[13:14], v[30:31]
.LBB180_177:
	s_or_b64 exec, exec, s[18:19]
	v_xor_b32_e32 v12, 0x80000000, v12
	v_xor_b32_e32 v14, 0x80000000, v14
.LBB180_178:
	s_or_b64 exec, exec, s[14:15]
	s_and_saveexec_b64 s[12:13], s[42:43]
	s_cbranch_execz .LBB180_180
; %bb.179:
	v_mov_b32_e32 v28, 0
	ds_read_b128 v[28:31], v28 offset:5280
	s_waitcnt lgkmcnt(0)
	v_mul_f64 v[32:33], v[13:14], v[30:31]
	v_mul_f64 v[30:31], v[11:12], v[30:31]
	v_fma_f64 v[11:12], v[11:12], v[28:29], -v[32:33]
	v_fma_f64 v[13:14], v[13:14], v[28:29], v[30:31]
	ds_write_b128 v16, v[11:14]
.LBB180_180:
	s_or_b64 exec, exec, s[12:13]
	s_waitcnt lgkmcnt(0)
	s_barrier
	s_and_saveexec_b64 s[12:13], s[40:41]
	s_cbranch_execz .LBB180_182
; %bb.181:
	v_mov_b32_e32 v32, 0
	ds_read_b128 v[28:31], v16
	ds_read_b128 v[32:35], v32 offset:5296
	s_waitcnt lgkmcnt(0)
	v_mul_f64 v[36:37], v[30:31], v[34:35]
	v_mul_f64 v[34:35], v[28:29], v[34:35]
	v_fma_f64 v[28:29], v[28:29], v[32:33], -v[36:37]
	v_fma_f64 v[30:31], v[30:31], v[32:33], v[34:35]
	v_add_f64 v[11:12], v[11:12], v[28:29]
	v_add_f64 v[13:14], v[13:14], v[30:31]
.LBB180_182:
	s_or_b64 exec, exec, s[12:13]
	s_barrier
	s_and_saveexec_b64 s[12:13], s[40:41]
	s_cbranch_execz .LBB180_184
; %bb.183:
	v_mov_b32_e32 v28, 0
	ds_read_b128 v[28:31], v28 offset:5808
	s_waitcnt lgkmcnt(0)
	v_mul_f64 v[32:33], v[13:14], v[30:31]
	v_mul_f64 v[30:31], v[11:12], v[30:31]
	v_fma_f64 v[11:12], v[11:12], v[28:29], -v[32:33]
	v_fma_f64 v[13:14], v[13:14], v[28:29], v[30:31]
	ds_write_b128 v16, v[11:14]
.LBB180_184:
	s_or_b64 exec, exec, s[12:13]
	s_waitcnt lgkmcnt(0)
	s_barrier
	s_barrier
	s_and_saveexec_b64 s[12:13], s[2:3]
; %bb.185:
	v_xor_b32_e32 v12, 0x80000000, v12
	v_xor_b32_e32 v14, 0x80000000, v14
	ds_write_b128 v15, v[11:14] offset:4256
; %bb.186:
	s_or_b64 exec, exec, s[12:13]
	s_waitcnt lgkmcnt(0)
	s_barrier
	s_barrier
	s_and_saveexec_b64 s[12:13], s[44:45]
	s_cbranch_execz .LBB180_188
; %bb.187:
	v_lshlrev_b32_e32 v28, 9, v0
	ds_read_b128 v[11:14], v28 offset:4256
	s_movk_i32 s14, 0xfe10
	v_mad_i32_i24 v29, v0, s14, v28
	s_waitcnt lgkmcnt(0)
	ds_write_b128 v29, v[11:14] offset:5248
	ds_read_b128 v[11:14], v28 offset:4272
	s_waitcnt lgkmcnt(0)
	ds_write_b128 v29, v[11:14] offset:5760
.LBB180_188:
	s_or_b64 exec, exec, s[12:13]
	s_waitcnt lgkmcnt(0)
	s_barrier
	s_and_saveexec_b64 s[12:13], vcc
	s_cbranch_execz .LBB180_190
; %bb.189:
	v_mov_b32_e32 v38, 0
	ds_read_b128 v[11:14], v38 offset:5808
	ds_read_b128 v[28:31], v38 offset:5280
	;; [unrolled: 1-line block ×3, first 2 shown]
	s_waitcnt lgkmcnt(1)
	v_mul_f64 v[36:37], v[11:12], v[30:31]
	v_mul_f64 v[30:31], v[13:14], v[30:31]
	v_fma_f64 v[13:14], v[13:14], v[28:29], v[36:37]
	v_fma_f64 v[11:12], v[11:12], v[28:29], -v[30:31]
	s_waitcnt lgkmcnt(0)
	v_mul_f64 v[28:29], v[13:14], v[34:35]
	v_mul_f64 v[30:31], v[11:12], v[34:35]
	v_fma_f64 v[11:12], v[32:33], v[11:12], -v[28:29]
	v_fma_f64 v[13:14], v[32:33], v[13:14], v[30:31]
	ds_write_b128 v38, v[11:14] offset:5296
	ds_write_b128 v38, v[11:14] offset:5792
.LBB180_190:
	s_or_b64 exec, exec, s[12:13]
	v_mov_b32_e32 v13, 0
	v_mov_b32_e32 v11, 0
	v_mov_b32_e32 v14, 0
	v_mov_b32_e32 v12, 0
	s_waitcnt lgkmcnt(0)
	s_barrier
	s_and_saveexec_b64 s[14:15], s[16:17]
	s_cbranch_execz .LBB180_196
; %bb.191:
	v_mul_u32_u24_e32 v28, 0x210, v22
	ds_read_b128 v[11:14], v28 offset:4224
	ds_read_b128 v[29:32], v18 offset:4288
	v_cmp_gt_u32_e64 s[12:13], 12, v1
	s_waitcnt lgkmcnt(0)
	v_mul_f64 v[33:34], v[13:14], v[31:32]
	v_mul_f64 v[31:32], v[11:12], v[31:32]
	v_fma_f64 v[11:12], v[11:12], v[29:30], -v[33:34]
	v_fma_f64 v[13:14], v[13:14], v[29:30], v[31:32]
	v_add_f64 v[11:12], v[11:12], 0
	v_add_f64 v[13:14], v[13:14], 0
	s_and_saveexec_b64 s[18:19], s[12:13]
	s_cbranch_execnz .LBB180_558
; %bb.192:
	s_or_b64 exec, exec, s[18:19]
	v_cmp_gt_u32_e64 s[12:13], 8, v1
	s_and_saveexec_b64 s[18:19], s[12:13]
	s_cbranch_execnz .LBB180_559
.LBB180_193:
	s_or_b64 exec, exec, s[18:19]
	v_cmp_gt_u32_e64 s[12:13], 4, v1
	s_and_saveexec_b64 s[18:19], s[12:13]
	s_cbranch_execz .LBB180_195
.LBB180_194:
	v_lshlrev_b32_e32 v32, 4, v0
	v_mov_b32_e32 v28, 0
	ds_read_b128 v[28:31], v28 offset:4272
	ds_read_b128 v[32:35], v32 offset:5824
	s_waitcnt lgkmcnt(0)
	v_mul_f64 v[36:37], v[30:31], v[34:35]
	v_mul_f64 v[34:35], v[28:29], v[34:35]
	v_fma_f64 v[28:29], v[28:29], v[32:33], -v[36:37]
	v_fma_f64 v[30:31], v[30:31], v[32:33], v[34:35]
	v_add_f64 v[11:12], v[11:12], v[28:29]
	v_add_f64 v[13:14], v[13:14], v[30:31]
.LBB180_195:
	s_or_b64 exec, exec, s[18:19]
	v_xor_b32_e32 v12, 0x80000000, v12
	v_xor_b32_e32 v14, 0x80000000, v14
.LBB180_196:
	s_or_b64 exec, exec, s[14:15]
	s_and_saveexec_b64 s[12:13], s[48:49]
	s_cbranch_execz .LBB180_198
; %bb.197:
	v_mov_b32_e32 v28, 0
	ds_read_b128 v[28:31], v28 offset:6336
	s_waitcnt lgkmcnt(0)
	v_mul_f64 v[32:33], v[13:14], v[30:31]
	v_mul_f64 v[30:31], v[11:12], v[30:31]
	v_fma_f64 v[11:12], v[11:12], v[28:29], -v[32:33]
	v_fma_f64 v[13:14], v[13:14], v[28:29], v[30:31]
	ds_write_b128 v20, v[11:14]
.LBB180_198:
	s_or_b64 exec, exec, s[12:13]
	s_waitcnt lgkmcnt(0)
	s_barrier
	s_and_saveexec_b64 s[12:13], s[50:51]
	s_cbranch_execz .LBB180_200
; %bb.199:
	ds_read_b128 v[28:31], v20
	ds_read_b128 v[32:35], v19 offset:6336
	s_waitcnt lgkmcnt(0)
	v_mul_f64 v[36:37], v[30:31], v[34:35]
	v_mul_f64 v[34:35], v[28:29], v[34:35]
	v_fma_f64 v[28:29], v[28:29], v[32:33], -v[36:37]
	v_fma_f64 v[30:31], v[30:31], v[32:33], v[34:35]
	v_add_f64 v[11:12], v[11:12], v[28:29]
	v_add_f64 v[13:14], v[13:14], v[30:31]
.LBB180_200:
	s_or_b64 exec, exec, s[12:13]
	s_barrier
	s_and_saveexec_b64 s[12:13], s[52:53]
	s_cbranch_execz .LBB180_202
; %bb.201:
	v_mov_b32_e32 v28, 0
	ds_read_b128 v[28:31], v28 offset:6864
	s_waitcnt lgkmcnt(0)
	v_mul_f64 v[32:33], v[13:14], v[30:31]
	v_mul_f64 v[30:31], v[11:12], v[30:31]
	v_fma_f64 v[11:12], v[11:12], v[28:29], -v[32:33]
	v_fma_f64 v[13:14], v[13:14], v[28:29], v[30:31]
	ds_write_b128 v20, v[11:14]
.LBB180_202:
	s_or_b64 exec, exec, s[12:13]
	s_waitcnt lgkmcnt(0)
	s_barrier
	s_and_saveexec_b64 s[12:13], s[54:55]
	s_cbranch_execz .LBB180_204
; %bb.203:
	ds_read_b128 v[28:31], v20
	ds_read_b128 v[32:35], v19 offset:6848
	s_waitcnt lgkmcnt(0)
	v_mul_f64 v[36:37], v[30:31], v[34:35]
	v_mul_f64 v[34:35], v[28:29], v[34:35]
	v_fma_f64 v[28:29], v[28:29], v[32:33], -v[36:37]
	v_fma_f64 v[30:31], v[30:31], v[32:33], v[34:35]
	v_add_f64 v[11:12], v[11:12], v[28:29]
	v_add_f64 v[13:14], v[13:14], v[30:31]
.LBB180_204:
	s_or_b64 exec, exec, s[12:13]
	s_barrier
	s_and_saveexec_b64 s[12:13], s[56:57]
	s_cbranch_execz .LBB180_206
; %bb.205:
	v_mov_b32_e32 v28, 0
	ds_read_b128 v[28:31], v28 offset:7392
	s_waitcnt lgkmcnt(0)
	v_mul_f64 v[32:33], v[13:14], v[30:31]
	v_mul_f64 v[30:31], v[11:12], v[30:31]
	v_fma_f64 v[11:12], v[11:12], v[28:29], -v[32:33]
	v_fma_f64 v[13:14], v[13:14], v[28:29], v[30:31]
	ds_write_b128 v20, v[11:14]
.LBB180_206:
	s_or_b64 exec, exec, s[12:13]
	s_waitcnt lgkmcnt(0)
	s_barrier
	s_and_saveexec_b64 s[12:13], s[46:47]
	s_cbranch_execz .LBB180_208
; %bb.207:
	v_mov_b32_e32 v32, 0
	ds_read_b128 v[28:31], v20
	ds_read_b128 v[32:35], v32 offset:7408
	s_waitcnt lgkmcnt(0)
	v_mul_f64 v[36:37], v[30:31], v[34:35]
	v_mul_f64 v[34:35], v[28:29], v[34:35]
	v_fma_f64 v[28:29], v[28:29], v[32:33], -v[36:37]
	v_fma_f64 v[30:31], v[30:31], v[32:33], v[34:35]
	v_add_f64 v[11:12], v[11:12], v[28:29]
	v_add_f64 v[13:14], v[13:14], v[30:31]
.LBB180_208:
	s_or_b64 exec, exec, s[12:13]
	s_barrier
	s_and_saveexec_b64 s[12:13], s[46:47]
	s_cbranch_execz .LBB180_210
; %bb.209:
	v_mov_b32_e32 v28, 0
	ds_read_b128 v[28:31], v28 offset:7920
	s_waitcnt lgkmcnt(0)
	v_mul_f64 v[32:33], v[13:14], v[30:31]
	v_mul_f64 v[30:31], v[11:12], v[30:31]
	v_fma_f64 v[11:12], v[11:12], v[28:29], -v[32:33]
	v_fma_f64 v[13:14], v[13:14], v[28:29], v[30:31]
	ds_write_b128 v20, v[11:14]
.LBB180_210:
	s_or_b64 exec, exec, s[12:13]
	s_waitcnt lgkmcnt(0)
	s_barrier
	s_barrier
	s_and_saveexec_b64 s[12:13], s[16:17]
; %bb.211:
	v_xor_b32_e32 v14, 0x80000000, v14
	v_xor_b32_e32 v12, 0x80000000, v12
	ds_write_b128 v18, v[11:14] offset:4288
; %bb.212:
	s_or_b64 exec, exec, s[12:13]
	s_waitcnt lgkmcnt(0)
	s_barrier
	s_barrier
	s_and_saveexec_b64 s[12:13], s[58:59]
	s_cbranch_execz .LBB180_214
; %bb.213:
	v_lshlrev_b32_e32 v28, 4, v0
	s_movk_i32 s14, 0x1f0
	v_mad_u32_u24 v29, v0, s14, v28
	ds_read_b128 v[11:14], v29 offset:4288
	s_waitcnt lgkmcnt(0)
	ds_write_b128 v28, v[11:14] offset:6272
	ds_read_b128 v[11:14], v29 offset:4304
	s_waitcnt lgkmcnt(0)
	ds_write_b128 v28, v[11:14] offset:6784
	ds_read_b128 v[11:14], v29 offset:4320
	s_waitcnt lgkmcnt(0)
	ds_write_b128 v28, v[11:14] offset:7296
	ds_read_b128 v[11:14], v29 offset:4336
	s_waitcnt lgkmcnt(0)
	ds_write_b128 v28, v[11:14] offset:7808
.LBB180_214:
	s_or_b64 exec, exec, s[12:13]
	s_waitcnt lgkmcnt(0)
	s_barrier
	s_and_saveexec_b64 s[12:13], vcc
	s_cbranch_execz .LBB180_216
; %bb.215:
	v_mov_b32_e32 v38, 0
	ds_read_b128 v[11:14], v38 offset:6864
	ds_read_b128 v[28:31], v38 offset:6336
	;; [unrolled: 1-line block ×3, first 2 shown]
	s_waitcnt lgkmcnt(1)
	v_mul_f64 v[36:37], v[11:12], v[30:31]
	v_mul_f64 v[30:31], v[13:14], v[30:31]
	v_fma_f64 v[13:14], v[13:14], v[28:29], v[36:37]
	v_fma_f64 v[11:12], v[11:12], v[28:29], -v[30:31]
	s_waitcnt lgkmcnt(0)
	v_mul_f64 v[28:29], v[13:14], v[34:35]
	v_mul_f64 v[30:31], v[11:12], v[34:35]
	v_fma_f64 v[11:12], v[32:33], v[11:12], -v[28:29]
	v_fma_f64 v[13:14], v[32:33], v[13:14], v[30:31]
	ds_write_b128 v38, v[11:14] offset:6352
	ds_write_b128 v38, v[11:14] offset:6848
.LBB180_216:
	s_or_b64 exec, exec, s[12:13]
	v_mov_b32_e32 v13, 0
	v_mov_b32_e32 v11, 0
	;; [unrolled: 1-line block ×4, first 2 shown]
	s_waitcnt lgkmcnt(0)
	s_barrier
	s_and_saveexec_b64 s[14:15], s[2:3]
	s_cbranch_execz .LBB180_220
; %bb.217:
	v_mul_u32_u24_e32 v11, 0x210, v17
	ds_read_b128 v[11:14], v11 offset:6336
	ds_read_b128 v[28:31], v15 offset:6368
	v_cmp_gt_u32_e64 s[12:13], 2, v1
	s_waitcnt lgkmcnt(0)
	v_mul_f64 v[32:33], v[13:14], v[30:31]
	v_mul_f64 v[30:31], v[11:12], v[30:31]
	v_fma_f64 v[11:12], v[11:12], v[28:29], -v[32:33]
	v_fma_f64 v[13:14], v[13:14], v[28:29], v[30:31]
	v_add_f64 v[11:12], v[11:12], 0
	v_add_f64 v[13:14], v[13:14], 0
	s_and_saveexec_b64 s[18:19], s[12:13]
	s_cbranch_execz .LBB180_219
; %bb.218:
	v_lshlrev_b32_e32 v32, 4, v0
	v_mov_b32_e32 v28, 0
	ds_read_b128 v[28:31], v28 offset:6352
	ds_read_b128 v[32:35], v32 offset:6880
	s_waitcnt lgkmcnt(0)
	v_mul_f64 v[36:37], v[30:31], v[34:35]
	v_mul_f64 v[34:35], v[28:29], v[34:35]
	v_fma_f64 v[28:29], v[28:29], v[32:33], -v[36:37]
	v_fma_f64 v[30:31], v[30:31], v[32:33], v[34:35]
	v_add_f64 v[11:12], v[11:12], v[28:29]
	v_add_f64 v[13:14], v[13:14], v[30:31]
.LBB180_219:
	s_or_b64 exec, exec, s[18:19]
	v_xor_b32_e32 v12, 0x80000000, v12
	v_xor_b32_e32 v14, 0x80000000, v14
.LBB180_220:
	s_or_b64 exec, exec, s[14:15]
	s_and_saveexec_b64 s[12:13], s[42:43]
	s_cbranch_execz .LBB180_222
; %bb.221:
	v_mov_b32_e32 v28, 0
	ds_read_b128 v[28:31], v28 offset:7392
	s_waitcnt lgkmcnt(0)
	v_mul_f64 v[32:33], v[13:14], v[30:31]
	v_mul_f64 v[30:31], v[11:12], v[30:31]
	v_fma_f64 v[11:12], v[11:12], v[28:29], -v[32:33]
	v_fma_f64 v[13:14], v[13:14], v[28:29], v[30:31]
	ds_write_b128 v16, v[11:14]
.LBB180_222:
	s_or_b64 exec, exec, s[12:13]
	s_waitcnt lgkmcnt(0)
	s_barrier
	s_and_saveexec_b64 s[12:13], s[40:41]
	s_cbranch_execz .LBB180_224
; %bb.223:
	v_mov_b32_e32 v32, 0
	ds_read_b128 v[28:31], v16
	ds_read_b128 v[32:35], v32 offset:7408
	s_waitcnt lgkmcnt(0)
	v_mul_f64 v[36:37], v[30:31], v[34:35]
	v_mul_f64 v[34:35], v[28:29], v[34:35]
	v_fma_f64 v[28:29], v[28:29], v[32:33], -v[36:37]
	v_fma_f64 v[30:31], v[30:31], v[32:33], v[34:35]
	v_add_f64 v[11:12], v[11:12], v[28:29]
	v_add_f64 v[13:14], v[13:14], v[30:31]
.LBB180_224:
	s_or_b64 exec, exec, s[12:13]
	s_barrier
	s_and_saveexec_b64 s[12:13], s[40:41]
	s_cbranch_execz .LBB180_226
; %bb.225:
	v_mov_b32_e32 v28, 0
	ds_read_b128 v[28:31], v28 offset:7920
	s_waitcnt lgkmcnt(0)
	v_mul_f64 v[32:33], v[13:14], v[30:31]
	v_mul_f64 v[30:31], v[11:12], v[30:31]
	v_fma_f64 v[11:12], v[11:12], v[28:29], -v[32:33]
	v_fma_f64 v[13:14], v[13:14], v[28:29], v[30:31]
	ds_write_b128 v16, v[11:14]
.LBB180_226:
	s_or_b64 exec, exec, s[12:13]
	s_waitcnt lgkmcnt(0)
	s_barrier
	s_barrier
	s_and_saveexec_b64 s[12:13], s[2:3]
; %bb.227:
	v_xor_b32_e32 v12, 0x80000000, v12
	v_xor_b32_e32 v14, 0x80000000, v14
	ds_write_b128 v15, v[11:14] offset:6368
; %bb.228:
	s_or_b64 exec, exec, s[12:13]
	s_waitcnt lgkmcnt(0)
	s_barrier
	s_barrier
	s_and_saveexec_b64 s[12:13], s[44:45]
	s_cbranch_execz .LBB180_230
; %bb.229:
	v_lshlrev_b32_e32 v28, 9, v0
	ds_read_b128 v[11:14], v28 offset:6368
	s_movk_i32 s14, 0xfe10
	v_mad_i32_i24 v29, v0, s14, v28
	s_waitcnt lgkmcnt(0)
	ds_write_b128 v29, v[11:14] offset:7360
	ds_read_b128 v[11:14], v28 offset:6384
	s_waitcnt lgkmcnt(0)
	ds_write_b128 v29, v[11:14] offset:7872
.LBB180_230:
	s_or_b64 exec, exec, s[12:13]
	s_waitcnt lgkmcnt(0)
	s_barrier
	s_and_saveexec_b64 s[12:13], vcc
	s_cbranch_execz .LBB180_232
; %bb.231:
	v_mov_b32_e32 v38, 0
	ds_read_b128 v[11:14], v38 offset:7920
	ds_read_b128 v[28:31], v38 offset:7392
	;; [unrolled: 1-line block ×3, first 2 shown]
	s_waitcnt lgkmcnt(1)
	v_mul_f64 v[36:37], v[11:12], v[30:31]
	v_mul_f64 v[30:31], v[13:14], v[30:31]
	v_fma_f64 v[13:14], v[13:14], v[28:29], v[36:37]
	v_fma_f64 v[11:12], v[11:12], v[28:29], -v[30:31]
	s_waitcnt lgkmcnt(0)
	v_mul_f64 v[28:29], v[13:14], v[34:35]
	v_mul_f64 v[30:31], v[11:12], v[34:35]
	v_fma_f64 v[11:12], v[32:33], v[11:12], -v[28:29]
	v_fma_f64 v[13:14], v[32:33], v[13:14], v[30:31]
	ds_write_b128 v38, v[11:14] offset:7408
	ds_write_b128 v38, v[11:14] offset:7904
.LBB180_232:
	s_or_b64 exec, exec, s[12:13]
	v_and_b32_e32 v29, 15, v0
	s_movk_i32 s12, 0xff
	v_lshrrev_b32_e32 v31, 4, v1
	v_cmp_lt_u32_e64 s[14:15], s12, v1
	s_movk_i32 s12, 0x100
	v_lshlrev_b32_e32 v30, 4, v29
	v_mov_b32_e32 v13, 0
	v_mov_b32_e32 v11, 0
	v_cmp_gt_u32_e64 s[12:13], s12, v1
	v_mov_b32_e32 v14, 0
	v_mov_b32_e32 v12, 0
	v_lshl_or_b32 v28, v31, 9, v30
	s_waitcnt lgkmcnt(0)
	s_barrier
	s_and_saveexec_b64 s[90:91], s[12:13]
	s_cbranch_execz .LBB180_260
; %bb.233:
	v_mul_u32_u24_e32 v32, 0x210, v31
	ds_read_b128 v[11:14], v32
	ds_read_b128 v[33:36], v28 offset:256
	s_movk_i32 s18, 0xf0
	v_cmp_gt_u32_e64 s[18:19], s18, v1
	s_waitcnt lgkmcnt(0)
	v_mul_f64 v[37:38], v[13:14], v[35:36]
	v_mul_f64 v[35:36], v[11:12], v[35:36]
	v_fma_f64 v[11:12], v[11:12], v[33:34], -v[37:38]
	v_fma_f64 v[13:14], v[13:14], v[33:34], v[35:36]
	v_add_f64 v[11:12], v[11:12], 0
	v_add_f64 v[13:14], v[13:14], 0
	s_and_saveexec_b64 s[92:93], s[18:19]
	s_cbranch_execz .LBB180_235
; %bb.234:
	ds_read_b128 v[33:36], v32 offset:16
	ds_read_b128 v[37:40], v28 offset:768
	s_waitcnt lgkmcnt(0)
	v_mul_f64 v[41:42], v[35:36], v[39:40]
	v_mul_f64 v[39:40], v[33:34], v[39:40]
	v_fma_f64 v[33:34], v[33:34], v[37:38], -v[41:42]
	v_fma_f64 v[35:36], v[35:36], v[37:38], v[39:40]
	v_add_f64 v[11:12], v[11:12], v[33:34]
	v_add_f64 v[13:14], v[13:14], v[35:36]
.LBB180_235:
	s_or_b64 exec, exec, s[92:93]
	s_movk_i32 s18, 0xe0
	v_cmp_gt_u32_e64 s[18:19], s18, v1
	s_and_saveexec_b64 s[92:93], s[18:19]
	s_cbranch_execz .LBB180_237
; %bb.236:
	ds_read_b128 v[33:36], v32 offset:32
	ds_read_b128 v[37:40], v28 offset:1280
	s_waitcnt lgkmcnt(0)
	v_mul_f64 v[41:42], v[35:36], v[39:40]
	v_mul_f64 v[39:40], v[33:34], v[39:40]
	v_fma_f64 v[33:34], v[33:34], v[37:38], -v[41:42]
	v_fma_f64 v[35:36], v[35:36], v[37:38], v[39:40]
	v_add_f64 v[11:12], v[11:12], v[33:34]
	v_add_f64 v[13:14], v[13:14], v[35:36]
.LBB180_237:
	s_or_b64 exec, exec, s[92:93]
	s_movk_i32 s18, 0xd0
	v_cmp_gt_u32_e64 s[18:19], s18, v1
	;; [unrolled: 16-line block ×10, first 2 shown]
	s_and_saveexec_b64 s[92:93], s[18:19]
	s_cbranch_execnz .LBB180_560
; %bb.254:
	s_or_b64 exec, exec, s[92:93]
	v_cmp_gt_u32_e64 s[18:19], 64, v1
	s_and_saveexec_b64 s[92:93], s[18:19]
	s_cbranch_execnz .LBB180_561
.LBB180_255:
	s_or_b64 exec, exec, s[92:93]
	v_cmp_gt_u32_e64 s[18:19], 48, v1
	s_and_saveexec_b64 s[92:93], s[18:19]
	s_cbranch_execnz .LBB180_562
.LBB180_256:
	s_or_b64 exec, exec, s[92:93]
	v_cmp_gt_u32_e64 s[18:19], 32, v1
	s_and_saveexec_b64 s[92:93], s[18:19]
	s_cbranch_execnz .LBB180_563
.LBB180_257:
	s_or_b64 exec, exec, s[92:93]
	v_cmp_gt_u32_e64 s[18:19], 16, v1
	s_and_saveexec_b64 s[92:93], s[18:19]
	s_cbranch_execz .LBB180_259
.LBB180_258:
	v_lshlrev_b32_e32 v36, 4, v0
	v_mov_b32_e32 v32, 0
	ds_read_b128 v[32:35], v32 offset:240
	ds_read_b128 v[36:39], v36 offset:7936
	s_waitcnt lgkmcnt(0)
	v_mul_f64 v[40:41], v[34:35], v[38:39]
	v_mul_f64 v[38:39], v[32:33], v[38:39]
	v_fma_f64 v[32:33], v[32:33], v[36:37], -v[40:41]
	v_fma_f64 v[34:35], v[34:35], v[36:37], v[38:39]
	v_add_f64 v[11:12], v[11:12], v[32:33]
	v_add_f64 v[13:14], v[13:14], v[34:35]
.LBB180_259:
	s_or_b64 exec, exec, s[92:93]
	v_xor_b32_e32 v12, 0x80000000, v12
	v_xor_b32_e32 v14, 0x80000000, v14
.LBB180_260:
	s_or_b64 exec, exec, s[90:91]
	v_mov_b32_e32 v32, 0x4000
	v_cmp_eq_u32_e64 s[18:19], 0, v29
	s_xor_b64 s[90:91], s[14:15], -1
	v_lshl_add_u32 v31, v31, 4, v32
	s_and_b64 s[18:19], s[18:19], s[90:91]
	s_and_saveexec_b64 s[14:15], s[18:19]
	s_cbranch_execz .LBB180_262
; %bb.261:
	v_mov_b32_e32 v32, 0
	ds_read_b128 v[32:35], v32 offset:8448
	s_waitcnt lgkmcnt(0)
	v_mul_f64 v[36:37], v[13:14], v[34:35]
	v_mul_f64 v[34:35], v[11:12], v[34:35]
	v_fma_f64 v[11:12], v[11:12], v[32:33], -v[36:37]
	v_fma_f64 v[13:14], v[13:14], v[32:33], v[34:35]
	ds_write_b128 v31, v[11:14]
.LBB180_262:
	s_or_b64 exec, exec, s[14:15]
	v_cmp_ne_u32_e64 s[14:15], 0, v29
	s_and_b64 s[18:19], s[14:15], s[90:91]
	s_waitcnt lgkmcnt(0)
	s_barrier
	s_and_saveexec_b64 s[14:15], s[18:19]
	s_cbranch_execz .LBB180_264
; %bb.263:
	ds_read_b128 v[32:35], v31
	ds_read_b128 v[36:39], v30 offset:8448
	s_waitcnt lgkmcnt(0)
	v_mul_f64 v[40:41], v[34:35], v[38:39]
	v_mul_f64 v[38:39], v[32:33], v[38:39]
	v_fma_f64 v[32:33], v[32:33], v[36:37], -v[40:41]
	v_fma_f64 v[34:35], v[34:35], v[36:37], v[38:39]
	v_add_f64 v[11:12], v[11:12], v[32:33]
	v_add_f64 v[13:14], v[13:14], v[34:35]
.LBB180_264:
	s_or_b64 exec, exec, s[14:15]
	v_cmp_eq_u32_e64 s[14:15], 1, v29
	s_and_b64 s[18:19], s[14:15], s[90:91]
	s_barrier
	s_and_saveexec_b64 s[14:15], s[18:19]
	s_cbranch_execz .LBB180_266
; %bb.265:
	v_mov_b32_e32 v32, 0
	ds_read_b128 v[32:35], v32 offset:8976
	s_waitcnt lgkmcnt(0)
	v_mul_f64 v[36:37], v[13:14], v[34:35]
	v_mul_f64 v[34:35], v[11:12], v[34:35]
	v_fma_f64 v[11:12], v[11:12], v[32:33], -v[36:37]
	v_fma_f64 v[13:14], v[13:14], v[32:33], v[34:35]
	ds_write_b128 v31, v[11:14]
.LBB180_266:
	s_or_b64 exec, exec, s[14:15]
	v_cmp_lt_u32_e64 s[14:15], 1, v29
	s_and_b64 s[18:19], s[14:15], s[90:91]
	s_waitcnt lgkmcnt(0)
	s_barrier
	s_and_saveexec_b64 s[14:15], s[18:19]
	s_cbranch_execz .LBB180_268
; %bb.267:
	ds_read_b128 v[32:35], v31
	ds_read_b128 v[36:39], v30 offset:8960
	s_waitcnt lgkmcnt(0)
	v_mul_f64 v[40:41], v[34:35], v[38:39]
	v_mul_f64 v[38:39], v[32:33], v[38:39]
	v_fma_f64 v[32:33], v[32:33], v[36:37], -v[40:41]
	v_fma_f64 v[34:35], v[34:35], v[36:37], v[38:39]
	v_add_f64 v[11:12], v[11:12], v[32:33]
	v_add_f64 v[13:14], v[13:14], v[34:35]
.LBB180_268:
	s_or_b64 exec, exec, s[14:15]
	v_cmp_eq_u32_e64 s[14:15], 2, v29
	s_and_b64 s[18:19], s[14:15], s[90:91]
	s_barrier
	s_and_saveexec_b64 s[14:15], s[18:19]
	s_cbranch_execz .LBB180_270
; %bb.269:
	v_mov_b32_e32 v32, 0
	ds_read_b128 v[32:35], v32 offset:9504
	s_waitcnt lgkmcnt(0)
	v_mul_f64 v[36:37], v[13:14], v[34:35]
	v_mul_f64 v[34:35], v[11:12], v[34:35]
	v_fma_f64 v[11:12], v[11:12], v[32:33], -v[36:37]
	v_fma_f64 v[13:14], v[13:14], v[32:33], v[34:35]
	ds_write_b128 v31, v[11:14]
.LBB180_270:
	s_or_b64 exec, exec, s[14:15]
	v_cmp_lt_u32_e64 s[14:15], 2, v29
	;; [unrolled: 34-line block ×13, first 2 shown]
	s_and_b64 s[18:19], s[14:15], s[90:91]
	s_waitcnt lgkmcnt(0)
	s_barrier
	s_and_saveexec_b64 s[14:15], s[18:19]
	s_cbranch_execz .LBB180_316
; %bb.315:
	ds_read_b128 v[32:35], v31
	ds_read_b128 v[36:39], v30 offset:15104
	s_waitcnt lgkmcnt(0)
	v_mul_f64 v[40:41], v[34:35], v[38:39]
	v_mul_f64 v[38:39], v[32:33], v[38:39]
	v_fma_f64 v[32:33], v[32:33], v[36:37], -v[40:41]
	v_fma_f64 v[34:35], v[34:35], v[36:37], v[38:39]
	v_add_f64 v[11:12], v[11:12], v[32:33]
	v_add_f64 v[13:14], v[13:14], v[34:35]
.LBB180_316:
	s_or_b64 exec, exec, s[14:15]
	v_cmp_eq_u32_e64 s[14:15], 14, v29
	s_and_b64 s[18:19], s[14:15], s[90:91]
	s_barrier
	s_and_saveexec_b64 s[14:15], s[18:19]
	s_cbranch_execz .LBB180_318
; %bb.317:
	v_mov_b32_e32 v30, 0
	ds_read_b128 v[32:35], v30 offset:15840
	s_waitcnt lgkmcnt(0)
	v_mul_f64 v[36:37], v[13:14], v[34:35]
	v_mul_f64 v[34:35], v[11:12], v[34:35]
	v_fma_f64 v[11:12], v[11:12], v[32:33], -v[36:37]
	v_fma_f64 v[13:14], v[13:14], v[32:33], v[34:35]
	ds_write_b128 v31, v[11:14]
.LBB180_318:
	s_or_b64 exec, exec, s[14:15]
	v_cmp_eq_u32_e64 s[14:15], 15, v29
	s_and_b64 s[14:15], s[14:15], s[90:91]
	s_waitcnt lgkmcnt(0)
	s_barrier
	s_and_saveexec_b64 s[18:19], s[14:15]
	s_cbranch_execz .LBB180_320
; %bb.319:
	v_mov_b32_e32 v29, 0
	ds_read_b128 v[32:35], v31
	ds_read_b128 v[36:39], v29 offset:15856
	s_waitcnt lgkmcnt(0)
	v_mul_f64 v[29:30], v[34:35], v[38:39]
	v_mul_f64 v[38:39], v[32:33], v[38:39]
	v_fma_f64 v[29:30], v[32:33], v[36:37], -v[29:30]
	v_fma_f64 v[32:33], v[34:35], v[36:37], v[38:39]
	v_add_f64 v[11:12], v[11:12], v[29:30]
	v_add_f64 v[13:14], v[13:14], v[32:33]
.LBB180_320:
	s_or_b64 exec, exec, s[18:19]
	s_barrier
	s_and_saveexec_b64 s[18:19], s[14:15]
	s_cbranch_execz .LBB180_322
; %bb.321:
	v_mov_b32_e32 v29, 0
	ds_read_b128 v[32:35], v29 offset:16368
	s_waitcnt lgkmcnt(0)
	v_mul_f64 v[29:30], v[13:14], v[34:35]
	v_mul_f64 v[34:35], v[11:12], v[34:35]
	v_fma_f64 v[11:12], v[11:12], v[32:33], -v[29:30]
	v_fma_f64 v[13:14], v[13:14], v[32:33], v[34:35]
	ds_write_b128 v31, v[11:14]
.LBB180_322:
	s_or_b64 exec, exec, s[18:19]
	s_waitcnt lgkmcnt(0)
	s_barrier
	s_barrier
	s_and_saveexec_b64 s[14:15], s[12:13]
; %bb.323:
	v_xor_b32_e32 v14, 0x80000000, v14
	v_xor_b32_e32 v12, 0x80000000, v12
	ds_write_b128 v28, v[11:14] offset:256
; %bb.324:
	s_or_b64 exec, exec, s[14:15]
	v_cmp_gt_u32_e64 s[12:13], 16, v0
	s_and_b64 s[12:13], s[10:11], s[12:13]
	s_waitcnt lgkmcnt(0)
	s_barrier
	s_barrier
	s_and_saveexec_b64 s[10:11], s[12:13]
	s_cbranch_execz .LBB180_326
; %bb.325:
	v_lshlrev_b32_e32 v28, 9, v0
	ds_read_b128 v[11:14], v28 offset:256
	s_movk_i32 s12, 0xfe10
	v_mad_i32_i24 v29, v0, s12, v28
	s_waitcnt lgkmcnt(0)
	ds_write_b128 v29, v[11:14] offset:8192
	ds_read_b128 v[11:14], v28 offset:272
	s_waitcnt lgkmcnt(0)
	ds_write_b128 v29, v[11:14] offset:8704
	ds_read_b128 v[11:14], v28 offset:288
	;; [unrolled: 3-line block ×15, first 2 shown]
	s_waitcnt lgkmcnt(0)
	ds_write_b128 v29, v[11:14] offset:15872
.LBB180_326:
	s_or_b64 exec, exec, s[10:11]
	s_waitcnt lgkmcnt(0)
	s_barrier
	s_and_saveexec_b64 s[10:11], vcc
	s_cbranch_execz .LBB180_328
; %bb.327:
	v_mov_b32_e32 v38, 0
	ds_read_b128 v[11:14], v38 offset:8976
	ds_read_b128 v[28:31], v38 offset:8448
	;; [unrolled: 1-line block ×3, first 2 shown]
	s_waitcnt lgkmcnt(1)
	v_mul_f64 v[36:37], v[11:12], v[30:31]
	v_mul_f64 v[30:31], v[13:14], v[30:31]
	v_fma_f64 v[13:14], v[13:14], v[28:29], v[36:37]
	v_fma_f64 v[11:12], v[11:12], v[28:29], -v[30:31]
	s_waitcnt lgkmcnt(0)
	v_mul_f64 v[28:29], v[13:14], v[34:35]
	v_mul_f64 v[30:31], v[11:12], v[34:35]
	v_fma_f64 v[11:12], v[32:33], v[11:12], -v[28:29]
	v_fma_f64 v[13:14], v[32:33], v[13:14], v[30:31]
	ds_write_b128 v38, v[11:14] offset:8464
	ds_write_b128 v38, v[11:14] offset:8960
.LBB180_328:
	s_or_b64 exec, exec, s[10:11]
	v_mov_b32_e32 v13, 0
	v_mov_b32_e32 v11, 0
	;; [unrolled: 1-line block ×4, first 2 shown]
	s_waitcnt lgkmcnt(0)
	s_barrier
	s_and_saveexec_b64 s[12:13], s[2:3]
	s_cbranch_execz .LBB180_332
; %bb.329:
	v_mul_u32_u24_e32 v11, 0x210, v17
	ds_read_b128 v[11:14], v11 offset:8448
	ds_read_b128 v[28:31], v15 offset:8480
	v_cmp_gt_u32_e64 s[10:11], 2, v1
	s_waitcnt lgkmcnt(0)
	v_mul_f64 v[32:33], v[13:14], v[30:31]
	v_mul_f64 v[30:31], v[11:12], v[30:31]
	v_fma_f64 v[11:12], v[11:12], v[28:29], -v[32:33]
	v_fma_f64 v[13:14], v[13:14], v[28:29], v[30:31]
	v_add_f64 v[11:12], v[11:12], 0
	v_add_f64 v[13:14], v[13:14], 0
	s_and_saveexec_b64 s[14:15], s[10:11]
	s_cbranch_execz .LBB180_331
; %bb.330:
	v_lshlrev_b32_e32 v32, 4, v0
	v_mov_b32_e32 v28, 0
	ds_read_b128 v[28:31], v28 offset:8464
	ds_read_b128 v[32:35], v32 offset:8992
	s_waitcnt lgkmcnt(0)
	v_mul_f64 v[36:37], v[30:31], v[34:35]
	v_mul_f64 v[34:35], v[28:29], v[34:35]
	v_fma_f64 v[28:29], v[28:29], v[32:33], -v[36:37]
	v_fma_f64 v[30:31], v[30:31], v[32:33], v[34:35]
	v_add_f64 v[11:12], v[11:12], v[28:29]
	v_add_f64 v[13:14], v[13:14], v[30:31]
.LBB180_331:
	s_or_b64 exec, exec, s[14:15]
	v_xor_b32_e32 v12, 0x80000000, v12
	v_xor_b32_e32 v14, 0x80000000, v14
.LBB180_332:
	s_or_b64 exec, exec, s[12:13]
	s_and_saveexec_b64 s[10:11], s[42:43]
	s_cbranch_execz .LBB180_334
; %bb.333:
	v_mov_b32_e32 v28, 0
	ds_read_b128 v[28:31], v28 offset:9504
	s_waitcnt lgkmcnt(0)
	v_mul_f64 v[32:33], v[13:14], v[30:31]
	v_mul_f64 v[30:31], v[11:12], v[30:31]
	v_fma_f64 v[11:12], v[11:12], v[28:29], -v[32:33]
	v_fma_f64 v[13:14], v[13:14], v[28:29], v[30:31]
	ds_write_b128 v16, v[11:14]
.LBB180_334:
	s_or_b64 exec, exec, s[10:11]
	s_waitcnt lgkmcnt(0)
	s_barrier
	s_and_saveexec_b64 s[10:11], s[40:41]
	s_cbranch_execz .LBB180_336
; %bb.335:
	v_mov_b32_e32 v32, 0
	ds_read_b128 v[28:31], v16
	ds_read_b128 v[32:35], v32 offset:9520
	s_waitcnt lgkmcnt(0)
	v_mul_f64 v[36:37], v[30:31], v[34:35]
	v_mul_f64 v[34:35], v[28:29], v[34:35]
	v_fma_f64 v[28:29], v[28:29], v[32:33], -v[36:37]
	v_fma_f64 v[30:31], v[30:31], v[32:33], v[34:35]
	v_add_f64 v[11:12], v[11:12], v[28:29]
	v_add_f64 v[13:14], v[13:14], v[30:31]
.LBB180_336:
	s_or_b64 exec, exec, s[10:11]
	s_barrier
	s_and_saveexec_b64 s[10:11], s[40:41]
	s_cbranch_execz .LBB180_338
; %bb.337:
	v_mov_b32_e32 v28, 0
	ds_read_b128 v[28:31], v28 offset:10032
	s_waitcnt lgkmcnt(0)
	v_mul_f64 v[32:33], v[13:14], v[30:31]
	v_mul_f64 v[30:31], v[11:12], v[30:31]
	v_fma_f64 v[11:12], v[11:12], v[28:29], -v[32:33]
	v_fma_f64 v[13:14], v[13:14], v[28:29], v[30:31]
	ds_write_b128 v16, v[11:14]
.LBB180_338:
	s_or_b64 exec, exec, s[10:11]
	s_waitcnt lgkmcnt(0)
	s_barrier
	s_barrier
	s_and_saveexec_b64 s[10:11], s[2:3]
; %bb.339:
	v_xor_b32_e32 v12, 0x80000000, v12
	v_xor_b32_e32 v14, 0x80000000, v14
	ds_write_b128 v15, v[11:14] offset:8480
; %bb.340:
	s_or_b64 exec, exec, s[10:11]
	s_waitcnt lgkmcnt(0)
	s_barrier
	s_barrier
	s_and_saveexec_b64 s[10:11], s[44:45]
	s_cbranch_execz .LBB180_342
; %bb.341:
	v_lshlrev_b32_e32 v28, 9, v0
	ds_read_b128 v[11:14], v28 offset:8480
	s_movk_i32 s12, 0xfe10
	v_mad_i32_i24 v29, v0, s12, v28
	s_waitcnt lgkmcnt(0)
	ds_write_b128 v29, v[11:14] offset:9472
	ds_read_b128 v[11:14], v28 offset:8496
	s_waitcnt lgkmcnt(0)
	ds_write_b128 v29, v[11:14] offset:9984
.LBB180_342:
	s_or_b64 exec, exec, s[10:11]
	s_waitcnt lgkmcnt(0)
	s_barrier
	s_and_saveexec_b64 s[10:11], vcc
	s_cbranch_execz .LBB180_344
; %bb.343:
	v_mov_b32_e32 v38, 0
	ds_read_b128 v[11:14], v38 offset:10032
	ds_read_b128 v[28:31], v38 offset:9504
	;; [unrolled: 1-line block ×3, first 2 shown]
	s_waitcnt lgkmcnt(1)
	v_mul_f64 v[36:37], v[11:12], v[30:31]
	v_mul_f64 v[30:31], v[13:14], v[30:31]
	v_fma_f64 v[13:14], v[13:14], v[28:29], v[36:37]
	v_fma_f64 v[11:12], v[11:12], v[28:29], -v[30:31]
	s_waitcnt lgkmcnt(0)
	v_mul_f64 v[28:29], v[13:14], v[34:35]
	v_mul_f64 v[30:31], v[11:12], v[34:35]
	v_fma_f64 v[11:12], v[32:33], v[11:12], -v[28:29]
	v_fma_f64 v[13:14], v[32:33], v[13:14], v[30:31]
	ds_write_b128 v38, v[11:14] offset:9520
	ds_write_b128 v38, v[11:14] offset:10016
.LBB180_344:
	s_or_b64 exec, exec, s[10:11]
	v_mov_b32_e32 v13, 0
	v_mov_b32_e32 v11, 0
	;; [unrolled: 1-line block ×4, first 2 shown]
	s_waitcnt lgkmcnt(0)
	s_barrier
	s_and_saveexec_b64 s[12:13], s[16:17]
	s_cbranch_execz .LBB180_350
; %bb.345:
	v_mul_u32_u24_e32 v28, 0x210, v22
	ds_read_b128 v[11:14], v28 offset:8448
	ds_read_b128 v[29:32], v18 offset:8512
	v_cmp_gt_u32_e64 s[10:11], 12, v1
	s_waitcnt lgkmcnt(0)
	v_mul_f64 v[33:34], v[13:14], v[31:32]
	v_mul_f64 v[31:32], v[11:12], v[31:32]
	v_fma_f64 v[11:12], v[11:12], v[29:30], -v[33:34]
	v_fma_f64 v[13:14], v[13:14], v[29:30], v[31:32]
	v_add_f64 v[11:12], v[11:12], 0
	v_add_f64 v[13:14], v[13:14], 0
	s_and_saveexec_b64 s[14:15], s[10:11]
	s_cbranch_execnz .LBB180_564
; %bb.346:
	s_or_b64 exec, exec, s[14:15]
	v_cmp_gt_u32_e64 s[10:11], 8, v1
	s_and_saveexec_b64 s[14:15], s[10:11]
	s_cbranch_execnz .LBB180_565
.LBB180_347:
	s_or_b64 exec, exec, s[14:15]
	v_cmp_gt_u32_e64 s[10:11], 4, v1
	s_and_saveexec_b64 s[14:15], s[10:11]
	s_cbranch_execz .LBB180_349
.LBB180_348:
	v_lshlrev_b32_e32 v32, 4, v0
	v_mov_b32_e32 v28, 0
	ds_read_b128 v[28:31], v28 offset:8496
	ds_read_b128 v[32:35], v32 offset:10048
	s_waitcnt lgkmcnt(0)
	v_mul_f64 v[36:37], v[30:31], v[34:35]
	v_mul_f64 v[34:35], v[28:29], v[34:35]
	v_fma_f64 v[28:29], v[28:29], v[32:33], -v[36:37]
	v_fma_f64 v[30:31], v[30:31], v[32:33], v[34:35]
	v_add_f64 v[11:12], v[11:12], v[28:29]
	v_add_f64 v[13:14], v[13:14], v[30:31]
.LBB180_349:
	s_or_b64 exec, exec, s[14:15]
	v_xor_b32_e32 v12, 0x80000000, v12
	v_xor_b32_e32 v14, 0x80000000, v14
.LBB180_350:
	s_or_b64 exec, exec, s[12:13]
	s_and_saveexec_b64 s[10:11], s[48:49]
	s_cbranch_execz .LBB180_352
; %bb.351:
	v_mov_b32_e32 v28, 0
	ds_read_b128 v[28:31], v28 offset:10560
	s_waitcnt lgkmcnt(0)
	v_mul_f64 v[32:33], v[13:14], v[30:31]
	v_mul_f64 v[30:31], v[11:12], v[30:31]
	v_fma_f64 v[11:12], v[11:12], v[28:29], -v[32:33]
	v_fma_f64 v[13:14], v[13:14], v[28:29], v[30:31]
	ds_write_b128 v20, v[11:14]
.LBB180_352:
	s_or_b64 exec, exec, s[10:11]
	s_waitcnt lgkmcnt(0)
	s_barrier
	s_and_saveexec_b64 s[10:11], s[50:51]
	s_cbranch_execz .LBB180_354
; %bb.353:
	ds_read_b128 v[28:31], v20
	ds_read_b128 v[32:35], v19 offset:10560
	s_waitcnt lgkmcnt(0)
	v_mul_f64 v[36:37], v[30:31], v[34:35]
	v_mul_f64 v[34:35], v[28:29], v[34:35]
	v_fma_f64 v[28:29], v[28:29], v[32:33], -v[36:37]
	v_fma_f64 v[30:31], v[30:31], v[32:33], v[34:35]
	v_add_f64 v[11:12], v[11:12], v[28:29]
	v_add_f64 v[13:14], v[13:14], v[30:31]
.LBB180_354:
	s_or_b64 exec, exec, s[10:11]
	s_barrier
	s_and_saveexec_b64 s[10:11], s[52:53]
	s_cbranch_execz .LBB180_356
; %bb.355:
	v_mov_b32_e32 v28, 0
	ds_read_b128 v[28:31], v28 offset:11088
	s_waitcnt lgkmcnt(0)
	v_mul_f64 v[32:33], v[13:14], v[30:31]
	v_mul_f64 v[30:31], v[11:12], v[30:31]
	v_fma_f64 v[11:12], v[11:12], v[28:29], -v[32:33]
	v_fma_f64 v[13:14], v[13:14], v[28:29], v[30:31]
	ds_write_b128 v20, v[11:14]
.LBB180_356:
	s_or_b64 exec, exec, s[10:11]
	s_waitcnt lgkmcnt(0)
	s_barrier
	s_and_saveexec_b64 s[10:11], s[54:55]
	s_cbranch_execz .LBB180_358
; %bb.357:
	ds_read_b128 v[28:31], v20
	ds_read_b128 v[32:35], v19 offset:11072
	s_waitcnt lgkmcnt(0)
	v_mul_f64 v[36:37], v[30:31], v[34:35]
	v_mul_f64 v[34:35], v[28:29], v[34:35]
	v_fma_f64 v[28:29], v[28:29], v[32:33], -v[36:37]
	v_fma_f64 v[30:31], v[30:31], v[32:33], v[34:35]
	v_add_f64 v[11:12], v[11:12], v[28:29]
	v_add_f64 v[13:14], v[13:14], v[30:31]
.LBB180_358:
	s_or_b64 exec, exec, s[10:11]
	s_barrier
	s_and_saveexec_b64 s[10:11], s[56:57]
	s_cbranch_execz .LBB180_360
; %bb.359:
	v_mov_b32_e32 v28, 0
	ds_read_b128 v[28:31], v28 offset:11616
	s_waitcnt lgkmcnt(0)
	v_mul_f64 v[32:33], v[13:14], v[30:31]
	v_mul_f64 v[30:31], v[11:12], v[30:31]
	v_fma_f64 v[11:12], v[11:12], v[28:29], -v[32:33]
	v_fma_f64 v[13:14], v[13:14], v[28:29], v[30:31]
	ds_write_b128 v20, v[11:14]
.LBB180_360:
	s_or_b64 exec, exec, s[10:11]
	s_waitcnt lgkmcnt(0)
	s_barrier
	s_and_saveexec_b64 s[10:11], s[46:47]
	s_cbranch_execz .LBB180_362
; %bb.361:
	v_mov_b32_e32 v32, 0
	ds_read_b128 v[28:31], v20
	ds_read_b128 v[32:35], v32 offset:11632
	s_waitcnt lgkmcnt(0)
	v_mul_f64 v[36:37], v[30:31], v[34:35]
	v_mul_f64 v[34:35], v[28:29], v[34:35]
	v_fma_f64 v[28:29], v[28:29], v[32:33], -v[36:37]
	v_fma_f64 v[30:31], v[30:31], v[32:33], v[34:35]
	v_add_f64 v[11:12], v[11:12], v[28:29]
	v_add_f64 v[13:14], v[13:14], v[30:31]
.LBB180_362:
	s_or_b64 exec, exec, s[10:11]
	s_barrier
	s_and_saveexec_b64 s[10:11], s[46:47]
	s_cbranch_execz .LBB180_364
; %bb.363:
	v_mov_b32_e32 v28, 0
	ds_read_b128 v[28:31], v28 offset:12144
	s_waitcnt lgkmcnt(0)
	v_mul_f64 v[32:33], v[13:14], v[30:31]
	v_mul_f64 v[30:31], v[11:12], v[30:31]
	v_fma_f64 v[11:12], v[11:12], v[28:29], -v[32:33]
	v_fma_f64 v[13:14], v[13:14], v[28:29], v[30:31]
	ds_write_b128 v20, v[11:14]
.LBB180_364:
	s_or_b64 exec, exec, s[10:11]
	s_waitcnt lgkmcnt(0)
	s_barrier
	s_barrier
	s_and_saveexec_b64 s[10:11], s[16:17]
; %bb.365:
	v_xor_b32_e32 v14, 0x80000000, v14
	v_xor_b32_e32 v12, 0x80000000, v12
	ds_write_b128 v18, v[11:14] offset:8512
; %bb.366:
	s_or_b64 exec, exec, s[10:11]
	s_waitcnt lgkmcnt(0)
	s_barrier
	s_barrier
	s_and_saveexec_b64 s[10:11], s[58:59]
	s_cbranch_execz .LBB180_368
; %bb.367:
	v_lshlrev_b32_e32 v28, 4, v0
	s_movk_i32 s12, 0x1f0
	v_mad_u32_u24 v29, v0, s12, v28
	ds_read_b128 v[11:14], v29 offset:8512
	s_waitcnt lgkmcnt(0)
	ds_write_b128 v28, v[11:14] offset:10496
	ds_read_b128 v[11:14], v29 offset:8528
	s_waitcnt lgkmcnt(0)
	ds_write_b128 v28, v[11:14] offset:11008
	;; [unrolled: 3-line block ×4, first 2 shown]
.LBB180_368:
	s_or_b64 exec, exec, s[10:11]
	s_waitcnt lgkmcnt(0)
	s_barrier
	s_and_saveexec_b64 s[10:11], vcc
	s_cbranch_execz .LBB180_370
; %bb.369:
	v_mov_b32_e32 v38, 0
	ds_read_b128 v[11:14], v38 offset:11088
	ds_read_b128 v[28:31], v38 offset:10560
	;; [unrolled: 1-line block ×3, first 2 shown]
	s_waitcnt lgkmcnt(1)
	v_mul_f64 v[36:37], v[11:12], v[30:31]
	v_mul_f64 v[30:31], v[13:14], v[30:31]
	v_fma_f64 v[13:14], v[13:14], v[28:29], v[36:37]
	v_fma_f64 v[11:12], v[11:12], v[28:29], -v[30:31]
	s_waitcnt lgkmcnt(0)
	v_mul_f64 v[28:29], v[13:14], v[34:35]
	v_mul_f64 v[30:31], v[11:12], v[34:35]
	v_fma_f64 v[11:12], v[32:33], v[11:12], -v[28:29]
	v_fma_f64 v[13:14], v[32:33], v[13:14], v[30:31]
	ds_write_b128 v38, v[11:14] offset:10576
	ds_write_b128 v38, v[11:14] offset:11072
.LBB180_370:
	s_or_b64 exec, exec, s[10:11]
	v_mov_b32_e32 v13, 0
	v_mov_b32_e32 v11, 0
	v_mov_b32_e32 v14, 0
	v_mov_b32_e32 v12, 0
	s_waitcnt lgkmcnt(0)
	s_barrier
	s_and_saveexec_b64 s[12:13], s[2:3]
	s_cbranch_execz .LBB180_374
; %bb.371:
	v_mul_u32_u24_e32 v11, 0x210, v17
	ds_read_b128 v[11:14], v11 offset:10560
	ds_read_b128 v[28:31], v15 offset:10592
	v_cmp_gt_u32_e64 s[10:11], 2, v1
	s_waitcnt lgkmcnt(0)
	v_mul_f64 v[32:33], v[13:14], v[30:31]
	v_mul_f64 v[30:31], v[11:12], v[30:31]
	v_fma_f64 v[11:12], v[11:12], v[28:29], -v[32:33]
	v_fma_f64 v[13:14], v[13:14], v[28:29], v[30:31]
	v_add_f64 v[11:12], v[11:12], 0
	v_add_f64 v[13:14], v[13:14], 0
	s_and_saveexec_b64 s[14:15], s[10:11]
	s_cbranch_execz .LBB180_373
; %bb.372:
	v_lshlrev_b32_e32 v32, 4, v0
	v_mov_b32_e32 v28, 0
	ds_read_b128 v[28:31], v28 offset:10576
	ds_read_b128 v[32:35], v32 offset:11104
	s_waitcnt lgkmcnt(0)
	v_mul_f64 v[36:37], v[30:31], v[34:35]
	v_mul_f64 v[34:35], v[28:29], v[34:35]
	v_fma_f64 v[28:29], v[28:29], v[32:33], -v[36:37]
	v_fma_f64 v[30:31], v[30:31], v[32:33], v[34:35]
	v_add_f64 v[11:12], v[11:12], v[28:29]
	v_add_f64 v[13:14], v[13:14], v[30:31]
.LBB180_373:
	s_or_b64 exec, exec, s[14:15]
	v_xor_b32_e32 v12, 0x80000000, v12
	v_xor_b32_e32 v14, 0x80000000, v14
.LBB180_374:
	s_or_b64 exec, exec, s[12:13]
	s_and_saveexec_b64 s[10:11], s[42:43]
	s_cbranch_execz .LBB180_376
; %bb.375:
	v_mov_b32_e32 v28, 0
	ds_read_b128 v[28:31], v28 offset:11616
	s_waitcnt lgkmcnt(0)
	v_mul_f64 v[32:33], v[13:14], v[30:31]
	v_mul_f64 v[30:31], v[11:12], v[30:31]
	v_fma_f64 v[11:12], v[11:12], v[28:29], -v[32:33]
	v_fma_f64 v[13:14], v[13:14], v[28:29], v[30:31]
	ds_write_b128 v16, v[11:14]
.LBB180_376:
	s_or_b64 exec, exec, s[10:11]
	s_waitcnt lgkmcnt(0)
	s_barrier
	s_and_saveexec_b64 s[10:11], s[40:41]
	s_cbranch_execz .LBB180_378
; %bb.377:
	v_mov_b32_e32 v32, 0
	ds_read_b128 v[28:31], v16
	ds_read_b128 v[32:35], v32 offset:11632
	s_waitcnt lgkmcnt(0)
	v_mul_f64 v[36:37], v[30:31], v[34:35]
	v_mul_f64 v[34:35], v[28:29], v[34:35]
	v_fma_f64 v[28:29], v[28:29], v[32:33], -v[36:37]
	v_fma_f64 v[30:31], v[30:31], v[32:33], v[34:35]
	v_add_f64 v[11:12], v[11:12], v[28:29]
	v_add_f64 v[13:14], v[13:14], v[30:31]
.LBB180_378:
	s_or_b64 exec, exec, s[10:11]
	s_barrier
	s_and_saveexec_b64 s[10:11], s[40:41]
	s_cbranch_execz .LBB180_380
; %bb.379:
	v_mov_b32_e32 v28, 0
	ds_read_b128 v[28:31], v28 offset:12144
	s_waitcnt lgkmcnt(0)
	v_mul_f64 v[32:33], v[13:14], v[30:31]
	v_mul_f64 v[30:31], v[11:12], v[30:31]
	v_fma_f64 v[11:12], v[11:12], v[28:29], -v[32:33]
	v_fma_f64 v[13:14], v[13:14], v[28:29], v[30:31]
	ds_write_b128 v16, v[11:14]
.LBB180_380:
	s_or_b64 exec, exec, s[10:11]
	s_waitcnt lgkmcnt(0)
	s_barrier
	s_barrier
	s_and_saveexec_b64 s[10:11], s[2:3]
; %bb.381:
	v_xor_b32_e32 v12, 0x80000000, v12
	v_xor_b32_e32 v14, 0x80000000, v14
	ds_write_b128 v15, v[11:14] offset:10592
; %bb.382:
	s_or_b64 exec, exec, s[10:11]
	s_waitcnt lgkmcnt(0)
	s_barrier
	s_barrier
	s_and_saveexec_b64 s[10:11], s[44:45]
	s_cbranch_execz .LBB180_384
; %bb.383:
	v_lshlrev_b32_e32 v28, 9, v0
	ds_read_b128 v[11:14], v28 offset:10592
	s_movk_i32 s12, 0xfe10
	v_mad_i32_i24 v29, v0, s12, v28
	s_waitcnt lgkmcnt(0)
	ds_write_b128 v29, v[11:14] offset:11584
	ds_read_b128 v[11:14], v28 offset:10608
	s_waitcnt lgkmcnt(0)
	ds_write_b128 v29, v[11:14] offset:12096
.LBB180_384:
	s_or_b64 exec, exec, s[10:11]
	s_waitcnt lgkmcnt(0)
	s_barrier
	s_and_saveexec_b64 s[10:11], vcc
	s_cbranch_execz .LBB180_386
; %bb.385:
	v_mov_b32_e32 v38, 0
	ds_read_b128 v[11:14], v38 offset:12144
	ds_read_b128 v[28:31], v38 offset:11616
	;; [unrolled: 1-line block ×3, first 2 shown]
	s_waitcnt lgkmcnt(1)
	v_mul_f64 v[36:37], v[11:12], v[30:31]
	v_mul_f64 v[30:31], v[13:14], v[30:31]
	v_fma_f64 v[13:14], v[13:14], v[28:29], v[36:37]
	v_fma_f64 v[11:12], v[11:12], v[28:29], -v[30:31]
	s_waitcnt lgkmcnt(0)
	v_mul_f64 v[28:29], v[13:14], v[34:35]
	v_mul_f64 v[30:31], v[11:12], v[34:35]
	v_fma_f64 v[11:12], v[32:33], v[11:12], -v[28:29]
	v_fma_f64 v[13:14], v[32:33], v[13:14], v[30:31]
	ds_write_b128 v38, v[11:14] offset:11632
	ds_write_b128 v38, v[11:14] offset:12128
.LBB180_386:
	s_or_b64 exec, exec, s[10:11]
	v_mov_b32_e32 v13, 0
	v_mov_b32_e32 v11, 0
	v_mov_b32_e32 v14, 0
	v_mov_b32_e32 v12, 0
	s_waitcnt lgkmcnt(0)
	s_barrier
	s_and_saveexec_b64 s[12:13], s[8:9]
	s_cbranch_execz .LBB180_396
; %bb.387:
	v_mul_u32_u24_e32 v28, 0x210, v27
	ds_read_b128 v[11:14], v28 offset:8448
	ds_read_b128 v[29:32], v23 offset:8576
	v_cmp_gt_u32_e64 s[10:11], 56, v1
	s_waitcnt lgkmcnt(0)
	v_mul_f64 v[33:34], v[13:14], v[31:32]
	v_mul_f64 v[31:32], v[11:12], v[31:32]
	v_fma_f64 v[11:12], v[11:12], v[29:30], -v[33:34]
	v_fma_f64 v[13:14], v[13:14], v[29:30], v[31:32]
	v_add_f64 v[11:12], v[11:12], 0
	v_add_f64 v[13:14], v[13:14], 0
	s_and_saveexec_b64 s[14:15], s[10:11]
	s_cbranch_execnz .LBB180_566
; %bb.388:
	s_or_b64 exec, exec, s[14:15]
	v_cmp_gt_u32_e64 s[10:11], 48, v1
	s_and_saveexec_b64 s[14:15], s[10:11]
	s_cbranch_execnz .LBB180_567
.LBB180_389:
	s_or_b64 exec, exec, s[14:15]
	v_cmp_gt_u32_e64 s[10:11], 40, v1
	s_and_saveexec_b64 s[14:15], s[10:11]
	s_cbranch_execnz .LBB180_568
.LBB180_390:
	s_or_b64 exec, exec, s[14:15]
	v_cmp_gt_u32_e64 s[10:11], 32, v1
	s_and_saveexec_b64 s[14:15], s[10:11]
	s_cbranch_execnz .LBB180_569
.LBB180_391:
	s_or_b64 exec, exec, s[14:15]
	v_cmp_gt_u32_e64 s[10:11], 24, v1
	s_and_saveexec_b64 s[14:15], s[10:11]
	s_cbranch_execnz .LBB180_570
.LBB180_392:
	s_or_b64 exec, exec, s[14:15]
	v_cmp_gt_u32_e64 s[10:11], 16, v1
	s_and_saveexec_b64 s[14:15], s[10:11]
	s_cbranch_execnz .LBB180_571
.LBB180_393:
	s_or_b64 exec, exec, s[14:15]
	v_cmp_gt_u32_e64 s[10:11], 8, v1
	s_and_saveexec_b64 s[14:15], s[10:11]
	s_cbranch_execz .LBB180_395
.LBB180_394:
	v_lshlrev_b32_e32 v30, 4, v0
	v_mov_b32_e32 v26, 0
	ds_read_b128 v[26:29], v26 offset:8560
	ds_read_b128 v[30:33], v30 offset:12160
	s_waitcnt lgkmcnt(0)
	v_mul_f64 v[34:35], v[28:29], v[32:33]
	v_mul_f64 v[32:33], v[26:27], v[32:33]
	v_fma_f64 v[26:27], v[26:27], v[30:31], -v[34:35]
	v_fma_f64 v[28:29], v[28:29], v[30:31], v[32:33]
	v_add_f64 v[11:12], v[11:12], v[26:27]
	v_add_f64 v[13:14], v[13:14], v[28:29]
.LBB180_395:
	s_or_b64 exec, exec, s[14:15]
	v_xor_b32_e32 v12, 0x80000000, v12
	v_xor_b32_e32 v14, 0x80000000, v14
.LBB180_396:
	s_or_b64 exec, exec, s[12:13]
	s_and_saveexec_b64 s[10:11], s[0:1]
	s_cbranch_execz .LBB180_398
; %bb.397:
	v_mov_b32_e32 v26, 0
	ds_read_b128 v[26:29], v26 offset:12672
	s_waitcnt lgkmcnt(0)
	v_mul_f64 v[30:31], v[13:14], v[28:29]
	v_mul_f64 v[28:29], v[11:12], v[28:29]
	v_fma_f64 v[11:12], v[11:12], v[26:27], -v[30:31]
	v_fma_f64 v[13:14], v[13:14], v[26:27], v[28:29]
	ds_write_b128 v25, v[11:14]
.LBB180_398:
	s_or_b64 exec, exec, s[10:11]
	s_waitcnt lgkmcnt(0)
	s_barrier
	s_and_saveexec_b64 s[10:11], s[64:65]
	s_cbranch_execz .LBB180_400
; %bb.399:
	ds_read_b128 v[26:29], v25
	ds_read_b128 v[30:33], v24 offset:12672
	s_waitcnt lgkmcnt(0)
	v_mul_f64 v[34:35], v[28:29], v[32:33]
	v_mul_f64 v[32:33], v[26:27], v[32:33]
	v_fma_f64 v[26:27], v[26:27], v[30:31], -v[34:35]
	v_fma_f64 v[28:29], v[28:29], v[30:31], v[32:33]
	v_add_f64 v[11:12], v[11:12], v[26:27]
	v_add_f64 v[13:14], v[13:14], v[28:29]
.LBB180_400:
	s_or_b64 exec, exec, s[10:11]
	s_barrier
	s_and_saveexec_b64 s[10:11], s[66:67]
	s_cbranch_execz .LBB180_402
; %bb.401:
	v_mov_b32_e32 v26, 0
	ds_read_b128 v[26:29], v26 offset:13200
	s_waitcnt lgkmcnt(0)
	v_mul_f64 v[30:31], v[13:14], v[28:29]
	v_mul_f64 v[28:29], v[11:12], v[28:29]
	v_fma_f64 v[11:12], v[11:12], v[26:27], -v[30:31]
	v_fma_f64 v[13:14], v[13:14], v[26:27], v[28:29]
	ds_write_b128 v25, v[11:14]
.LBB180_402:
	s_or_b64 exec, exec, s[10:11]
	s_waitcnt lgkmcnt(0)
	s_barrier
	s_and_saveexec_b64 s[10:11], s[68:69]
	s_cbranch_execz .LBB180_404
; %bb.403:
	ds_read_b128 v[26:29], v25
	ds_read_b128 v[30:33], v24 offset:13184
	s_waitcnt lgkmcnt(0)
	v_mul_f64 v[34:35], v[28:29], v[32:33]
	v_mul_f64 v[32:33], v[26:27], v[32:33]
	v_fma_f64 v[26:27], v[26:27], v[30:31], -v[34:35]
	v_fma_f64 v[28:29], v[28:29], v[30:31], v[32:33]
	v_add_f64 v[11:12], v[11:12], v[26:27]
	v_add_f64 v[13:14], v[13:14], v[28:29]
.LBB180_404:
	s_or_b64 exec, exec, s[10:11]
	s_barrier
	s_and_saveexec_b64 s[10:11], s[70:71]
	s_cbranch_execz .LBB180_406
; %bb.405:
	v_mov_b32_e32 v26, 0
	ds_read_b128 v[26:29], v26 offset:13728
	s_waitcnt lgkmcnt(0)
	v_mul_f64 v[30:31], v[13:14], v[28:29]
	v_mul_f64 v[28:29], v[11:12], v[28:29]
	v_fma_f64 v[11:12], v[11:12], v[26:27], -v[30:31]
	v_fma_f64 v[13:14], v[13:14], v[26:27], v[28:29]
	ds_write_b128 v25, v[11:14]
.LBB180_406:
	s_or_b64 exec, exec, s[10:11]
	s_waitcnt lgkmcnt(0)
	s_barrier
	s_and_saveexec_b64 s[10:11], s[72:73]
	s_cbranch_execz .LBB180_408
; %bb.407:
	ds_read_b128 v[26:29], v25
	ds_read_b128 v[30:33], v24 offset:13696
	s_waitcnt lgkmcnt(0)
	v_mul_f64 v[34:35], v[28:29], v[32:33]
	v_mul_f64 v[32:33], v[26:27], v[32:33]
	v_fma_f64 v[26:27], v[26:27], v[30:31], -v[34:35]
	v_fma_f64 v[28:29], v[28:29], v[30:31], v[32:33]
	v_add_f64 v[11:12], v[11:12], v[26:27]
	v_add_f64 v[13:14], v[13:14], v[28:29]
.LBB180_408:
	s_or_b64 exec, exec, s[10:11]
	s_barrier
	s_and_saveexec_b64 s[10:11], s[74:75]
	s_cbranch_execz .LBB180_410
; %bb.409:
	v_mov_b32_e32 v26, 0
	ds_read_b128 v[26:29], v26 offset:14256
	s_waitcnt lgkmcnt(0)
	v_mul_f64 v[30:31], v[13:14], v[28:29]
	v_mul_f64 v[28:29], v[11:12], v[28:29]
	v_fma_f64 v[11:12], v[11:12], v[26:27], -v[30:31]
	v_fma_f64 v[13:14], v[13:14], v[26:27], v[28:29]
	ds_write_b128 v25, v[11:14]
.LBB180_410:
	s_or_b64 exec, exec, s[10:11]
	s_waitcnt lgkmcnt(0)
	s_barrier
	s_and_saveexec_b64 s[10:11], s[76:77]
	s_cbranch_execz .LBB180_412
; %bb.411:
	ds_read_b128 v[26:29], v25
	ds_read_b128 v[30:33], v24 offset:14208
	s_waitcnt lgkmcnt(0)
	v_mul_f64 v[34:35], v[28:29], v[32:33]
	v_mul_f64 v[32:33], v[26:27], v[32:33]
	v_fma_f64 v[26:27], v[26:27], v[30:31], -v[34:35]
	v_fma_f64 v[28:29], v[28:29], v[30:31], v[32:33]
	v_add_f64 v[11:12], v[11:12], v[26:27]
	v_add_f64 v[13:14], v[13:14], v[28:29]
.LBB180_412:
	s_or_b64 exec, exec, s[10:11]
	s_barrier
	s_and_saveexec_b64 s[10:11], s[78:79]
	s_cbranch_execz .LBB180_414
; %bb.413:
	v_mov_b32_e32 v26, 0
	ds_read_b128 v[26:29], v26 offset:14784
	s_waitcnt lgkmcnt(0)
	v_mul_f64 v[30:31], v[13:14], v[28:29]
	v_mul_f64 v[28:29], v[11:12], v[28:29]
	v_fma_f64 v[11:12], v[11:12], v[26:27], -v[30:31]
	v_fma_f64 v[13:14], v[13:14], v[26:27], v[28:29]
	ds_write_b128 v25, v[11:14]
.LBB180_414:
	s_or_b64 exec, exec, s[10:11]
	s_waitcnt lgkmcnt(0)
	s_barrier
	s_and_saveexec_b64 s[10:11], s[80:81]
	s_cbranch_execz .LBB180_416
; %bb.415:
	ds_read_b128 v[26:29], v25
	ds_read_b128 v[30:33], v24 offset:14720
	s_waitcnt lgkmcnt(0)
	v_mul_f64 v[34:35], v[28:29], v[32:33]
	v_mul_f64 v[32:33], v[26:27], v[32:33]
	v_fma_f64 v[26:27], v[26:27], v[30:31], -v[34:35]
	v_fma_f64 v[28:29], v[28:29], v[30:31], v[32:33]
	v_add_f64 v[11:12], v[11:12], v[26:27]
	v_add_f64 v[13:14], v[13:14], v[28:29]
.LBB180_416:
	s_or_b64 exec, exec, s[10:11]
	s_barrier
	s_and_saveexec_b64 s[10:11], s[82:83]
	s_cbranch_execz .LBB180_418
; %bb.417:
	v_mov_b32_e32 v26, 0
	ds_read_b128 v[26:29], v26 offset:15312
	s_waitcnt lgkmcnt(0)
	v_mul_f64 v[30:31], v[13:14], v[28:29]
	v_mul_f64 v[28:29], v[11:12], v[28:29]
	v_fma_f64 v[11:12], v[11:12], v[26:27], -v[30:31]
	v_fma_f64 v[13:14], v[13:14], v[26:27], v[28:29]
	ds_write_b128 v25, v[11:14]
.LBB180_418:
	s_or_b64 exec, exec, s[10:11]
	s_waitcnt lgkmcnt(0)
	s_barrier
	s_and_saveexec_b64 s[10:11], s[84:85]
	s_cbranch_execz .LBB180_420
; %bb.419:
	ds_read_b128 v[26:29], v25
	ds_read_b128 v[30:33], v24 offset:15232
	s_waitcnt lgkmcnt(0)
	v_mul_f64 v[34:35], v[28:29], v[32:33]
	v_mul_f64 v[32:33], v[26:27], v[32:33]
	v_fma_f64 v[26:27], v[26:27], v[30:31], -v[34:35]
	v_fma_f64 v[28:29], v[28:29], v[30:31], v[32:33]
	v_add_f64 v[11:12], v[11:12], v[26:27]
	v_add_f64 v[13:14], v[13:14], v[28:29]
.LBB180_420:
	s_or_b64 exec, exec, s[10:11]
	s_barrier
	s_and_saveexec_b64 s[10:11], s[86:87]
	s_cbranch_execz .LBB180_422
; %bb.421:
	v_mov_b32_e32 v24, 0
	ds_read_b128 v[26:29], v24 offset:15840
	s_waitcnt lgkmcnt(0)
	v_mul_f64 v[30:31], v[13:14], v[28:29]
	v_mul_f64 v[28:29], v[11:12], v[28:29]
	v_fma_f64 v[11:12], v[11:12], v[26:27], -v[30:31]
	v_fma_f64 v[13:14], v[13:14], v[26:27], v[28:29]
	ds_write_b128 v25, v[11:14]
.LBB180_422:
	s_or_b64 exec, exec, s[10:11]
	s_waitcnt lgkmcnt(0)
	s_barrier
	s_and_saveexec_b64 s[10:11], s[60:61]
	s_cbranch_execz .LBB180_424
; %bb.423:
	v_mov_b32_e32 v24, 0
	ds_read_b128 v[26:29], v25
	ds_read_b128 v[30:33], v24 offset:15856
	s_waitcnt lgkmcnt(0)
	v_mul_f64 v[34:35], v[28:29], v[32:33]
	v_mul_f64 v[32:33], v[26:27], v[32:33]
	v_fma_f64 v[26:27], v[26:27], v[30:31], -v[34:35]
	v_fma_f64 v[28:29], v[28:29], v[30:31], v[32:33]
	v_add_f64 v[11:12], v[11:12], v[26:27]
	v_add_f64 v[13:14], v[13:14], v[28:29]
.LBB180_424:
	s_or_b64 exec, exec, s[10:11]
	s_barrier
	s_and_saveexec_b64 s[10:11], s[60:61]
	s_cbranch_execz .LBB180_426
; %bb.425:
	v_mov_b32_e32 v24, 0
	ds_read_b128 v[26:29], v24 offset:16368
	s_waitcnt lgkmcnt(0)
	v_mul_f64 v[30:31], v[13:14], v[28:29]
	v_mul_f64 v[28:29], v[11:12], v[28:29]
	v_fma_f64 v[11:12], v[11:12], v[26:27], -v[30:31]
	v_fma_f64 v[13:14], v[13:14], v[26:27], v[28:29]
	ds_write_b128 v25, v[11:14]
.LBB180_426:
	s_or_b64 exec, exec, s[10:11]
	s_waitcnt lgkmcnt(0)
	s_barrier
	s_barrier
	s_and_saveexec_b64 s[10:11], s[8:9]
; %bb.427:
	v_xor_b32_e32 v12, 0x80000000, v12
	v_xor_b32_e32 v14, 0x80000000, v14
	ds_write_b128 v23, v[11:14] offset:8576
; %bb.428:
	s_or_b64 exec, exec, s[10:11]
	s_waitcnt lgkmcnt(0)
	s_barrier
	s_barrier
	s_and_saveexec_b64 s[8:9], s[88:89]
	s_cbranch_execz .LBB180_430
; %bb.429:
	v_lshlrev_b32_e32 v23, 9, v0
	ds_read_b128 v[11:14], v23 offset:8576
	s_movk_i32 s0, 0xfe10
	v_mad_i32_i24 v24, v0, s0, v23
	s_waitcnt lgkmcnt(0)
	ds_write_b128 v24, v[11:14] offset:12544
	ds_read_b128 v[11:14], v23 offset:8592
	s_waitcnt lgkmcnt(0)
	ds_write_b128 v24, v[11:14] offset:13056
	ds_read_b128 v[11:14], v23 offset:8608
	;; [unrolled: 3-line block ×7, first 2 shown]
	s_waitcnt lgkmcnt(0)
	ds_write_b128 v24, v[11:14] offset:16128
.LBB180_430:
	s_or_b64 exec, exec, s[8:9]
	s_waitcnt lgkmcnt(0)
	s_barrier
	s_and_saveexec_b64 s[8:9], vcc
	s_cbranch_execz .LBB180_432
; %bb.431:
	v_mov_b32_e32 v33, 0
	ds_read_b128 v[11:14], v33 offset:13200
	ds_read_b128 v[23:26], v33 offset:12672
	;; [unrolled: 1-line block ×3, first 2 shown]
	s_waitcnt lgkmcnt(1)
	v_mul_f64 v[31:32], v[11:12], v[25:26]
	v_mul_f64 v[25:26], v[13:14], v[25:26]
	v_fma_f64 v[13:14], v[13:14], v[23:24], v[31:32]
	v_fma_f64 v[11:12], v[11:12], v[23:24], -v[25:26]
	s_waitcnt lgkmcnt(0)
	v_mul_f64 v[23:24], v[13:14], v[29:30]
	v_mul_f64 v[25:26], v[11:12], v[29:30]
	v_fma_f64 v[11:12], v[27:28], v[11:12], -v[23:24]
	v_fma_f64 v[13:14], v[27:28], v[13:14], v[25:26]
	ds_write_b128 v33, v[11:14] offset:12688
	ds_write_b128 v33, v[11:14] offset:13184
.LBB180_432:
	s_or_b64 exec, exec, s[8:9]
	v_mov_b32_e32 v13, 0
	v_mov_b32_e32 v11, 0
	;; [unrolled: 1-line block ×4, first 2 shown]
	s_waitcnt lgkmcnt(0)
	s_barrier
	s_and_saveexec_b64 s[10:11], s[2:3]
	s_cbranch_execz .LBB180_436
; %bb.433:
	v_mul_u32_u24_e32 v11, 0x210, v17
	ds_read_b128 v[11:14], v11 offset:12672
	ds_read_b128 v[23:26], v15 offset:12704
	v_cmp_gt_u32_e64 s[8:9], 2, v1
	s_waitcnt lgkmcnt(0)
	v_mul_f64 v[27:28], v[13:14], v[25:26]
	v_mul_f64 v[25:26], v[11:12], v[25:26]
	v_fma_f64 v[11:12], v[11:12], v[23:24], -v[27:28]
	v_fma_f64 v[13:14], v[13:14], v[23:24], v[25:26]
	v_add_f64 v[11:12], v[11:12], 0
	v_add_f64 v[13:14], v[13:14], 0
	s_and_saveexec_b64 s[12:13], s[8:9]
	s_cbranch_execz .LBB180_435
; %bb.434:
	v_lshlrev_b32_e32 v27, 4, v0
	v_mov_b32_e32 v23, 0
	ds_read_b128 v[23:26], v23 offset:12688
	ds_read_b128 v[27:30], v27 offset:13216
	s_waitcnt lgkmcnt(0)
	v_mul_f64 v[31:32], v[25:26], v[29:30]
	v_mul_f64 v[29:30], v[23:24], v[29:30]
	v_fma_f64 v[23:24], v[23:24], v[27:28], -v[31:32]
	v_fma_f64 v[25:26], v[25:26], v[27:28], v[29:30]
	v_add_f64 v[11:12], v[11:12], v[23:24]
	v_add_f64 v[13:14], v[13:14], v[25:26]
.LBB180_435:
	s_or_b64 exec, exec, s[12:13]
	v_xor_b32_e32 v12, 0x80000000, v12
	v_xor_b32_e32 v14, 0x80000000, v14
.LBB180_436:
	s_or_b64 exec, exec, s[10:11]
	s_and_saveexec_b64 s[8:9], s[42:43]
	s_cbranch_execz .LBB180_438
; %bb.437:
	v_mov_b32_e32 v23, 0
	ds_read_b128 v[23:26], v23 offset:13728
	s_waitcnt lgkmcnt(0)
	v_mul_f64 v[27:28], v[13:14], v[25:26]
	v_mul_f64 v[25:26], v[11:12], v[25:26]
	v_fma_f64 v[11:12], v[11:12], v[23:24], -v[27:28]
	v_fma_f64 v[13:14], v[13:14], v[23:24], v[25:26]
	ds_write_b128 v16, v[11:14]
.LBB180_438:
	s_or_b64 exec, exec, s[8:9]
	s_waitcnt lgkmcnt(0)
	s_barrier
	s_and_saveexec_b64 s[8:9], s[40:41]
	s_cbranch_execz .LBB180_440
; %bb.439:
	v_mov_b32_e32 v27, 0
	ds_read_b128 v[23:26], v16
	ds_read_b128 v[27:30], v27 offset:13744
	s_waitcnt lgkmcnt(0)
	v_mul_f64 v[31:32], v[25:26], v[29:30]
	v_mul_f64 v[29:30], v[23:24], v[29:30]
	v_fma_f64 v[23:24], v[23:24], v[27:28], -v[31:32]
	v_fma_f64 v[25:26], v[25:26], v[27:28], v[29:30]
	v_add_f64 v[11:12], v[11:12], v[23:24]
	v_add_f64 v[13:14], v[13:14], v[25:26]
.LBB180_440:
	s_or_b64 exec, exec, s[8:9]
	s_barrier
	s_and_saveexec_b64 s[8:9], s[40:41]
	s_cbranch_execz .LBB180_442
; %bb.441:
	v_mov_b32_e32 v23, 0
	ds_read_b128 v[23:26], v23 offset:14256
	s_waitcnt lgkmcnt(0)
	v_mul_f64 v[27:28], v[13:14], v[25:26]
	v_mul_f64 v[25:26], v[11:12], v[25:26]
	v_fma_f64 v[11:12], v[11:12], v[23:24], -v[27:28]
	v_fma_f64 v[13:14], v[13:14], v[23:24], v[25:26]
	ds_write_b128 v16, v[11:14]
.LBB180_442:
	s_or_b64 exec, exec, s[8:9]
	s_waitcnt lgkmcnt(0)
	s_barrier
	s_barrier
	s_and_saveexec_b64 s[8:9], s[2:3]
; %bb.443:
	v_xor_b32_e32 v12, 0x80000000, v12
	v_xor_b32_e32 v14, 0x80000000, v14
	ds_write_b128 v15, v[11:14] offset:12704
; %bb.444:
	s_or_b64 exec, exec, s[8:9]
	s_waitcnt lgkmcnt(0)
	s_barrier
	s_barrier
	s_and_saveexec_b64 s[8:9], s[44:45]
	s_cbranch_execz .LBB180_446
; %bb.445:
	v_lshlrev_b32_e32 v23, 9, v0
	ds_read_b128 v[11:14], v23 offset:12704
	s_movk_i32 s0, 0xfe10
	v_mad_i32_i24 v24, v0, s0, v23
	s_waitcnt lgkmcnt(0)
	ds_write_b128 v24, v[11:14] offset:13696
	ds_read_b128 v[11:14], v23 offset:12720
	s_waitcnt lgkmcnt(0)
	ds_write_b128 v24, v[11:14] offset:14208
.LBB180_446:
	s_or_b64 exec, exec, s[8:9]
	s_waitcnt lgkmcnt(0)
	s_barrier
	s_and_saveexec_b64 s[8:9], vcc
	s_cbranch_execz .LBB180_448
; %bb.447:
	v_mov_b32_e32 v33, 0
	ds_read_b128 v[11:14], v33 offset:14256
	ds_read_b128 v[23:26], v33 offset:13728
	;; [unrolled: 1-line block ×3, first 2 shown]
	s_waitcnt lgkmcnt(1)
	v_mul_f64 v[31:32], v[11:12], v[25:26]
	v_mul_f64 v[25:26], v[13:14], v[25:26]
	v_fma_f64 v[13:14], v[13:14], v[23:24], v[31:32]
	v_fma_f64 v[11:12], v[11:12], v[23:24], -v[25:26]
	s_waitcnt lgkmcnt(0)
	v_mul_f64 v[23:24], v[13:14], v[29:30]
	v_mul_f64 v[25:26], v[11:12], v[29:30]
	v_fma_f64 v[11:12], v[27:28], v[11:12], -v[23:24]
	v_fma_f64 v[13:14], v[27:28], v[13:14], v[25:26]
	ds_write_b128 v33, v[11:14] offset:13744
	ds_write_b128 v33, v[11:14] offset:14240
.LBB180_448:
	s_or_b64 exec, exec, s[8:9]
	v_mov_b32_e32 v13, 0
	v_mov_b32_e32 v11, 0
	;; [unrolled: 1-line block ×4, first 2 shown]
	s_waitcnt lgkmcnt(0)
	s_barrier
	s_and_saveexec_b64 s[10:11], s[16:17]
	s_cbranch_execz .LBB180_454
; %bb.449:
	v_mul_u32_u24_e32 v23, 0x210, v22
	ds_read_b128 v[11:14], v23 offset:12672
	ds_read_b128 v[24:27], v18 offset:12736
	v_cmp_gt_u32_e64 s[8:9], 12, v1
	s_waitcnt lgkmcnt(0)
	v_mul_f64 v[28:29], v[13:14], v[26:27]
	v_mul_f64 v[26:27], v[11:12], v[26:27]
	v_fma_f64 v[11:12], v[11:12], v[24:25], -v[28:29]
	v_fma_f64 v[13:14], v[13:14], v[24:25], v[26:27]
	v_add_f64 v[11:12], v[11:12], 0
	v_add_f64 v[13:14], v[13:14], 0
	s_and_saveexec_b64 s[12:13], s[8:9]
	s_cbranch_execnz .LBB180_572
; %bb.450:
	s_or_b64 exec, exec, s[12:13]
	v_cmp_gt_u32_e64 s[8:9], 8, v1
	s_and_saveexec_b64 s[12:13], s[8:9]
	s_cbranch_execnz .LBB180_573
.LBB180_451:
	s_or_b64 exec, exec, s[12:13]
	v_cmp_gt_u32_e64 s[8:9], 4, v1
	s_and_saveexec_b64 s[12:13], s[8:9]
	s_cbranch_execz .LBB180_453
.LBB180_452:
	v_lshlrev_b32_e32 v25, 4, v0
	v_mov_b32_e32 v21, 0
	ds_read_b128 v[21:24], v21 offset:12720
	ds_read_b128 v[25:28], v25 offset:14272
	s_waitcnt lgkmcnt(0)
	v_mul_f64 v[29:30], v[23:24], v[27:28]
	v_mul_f64 v[27:28], v[21:22], v[27:28]
	v_fma_f64 v[21:22], v[21:22], v[25:26], -v[29:30]
	v_fma_f64 v[23:24], v[23:24], v[25:26], v[27:28]
	v_add_f64 v[11:12], v[11:12], v[21:22]
	v_add_f64 v[13:14], v[13:14], v[23:24]
.LBB180_453:
	s_or_b64 exec, exec, s[12:13]
	v_xor_b32_e32 v12, 0x80000000, v12
	v_xor_b32_e32 v14, 0x80000000, v14
.LBB180_454:
	s_or_b64 exec, exec, s[10:11]
	s_and_saveexec_b64 s[8:9], s[48:49]
	s_cbranch_execz .LBB180_456
; %bb.455:
	v_mov_b32_e32 v21, 0
	ds_read_b128 v[21:24], v21 offset:14784
	s_waitcnt lgkmcnt(0)
	v_mul_f64 v[25:26], v[13:14], v[23:24]
	v_mul_f64 v[23:24], v[11:12], v[23:24]
	v_fma_f64 v[11:12], v[11:12], v[21:22], -v[25:26]
	v_fma_f64 v[13:14], v[13:14], v[21:22], v[23:24]
	ds_write_b128 v20, v[11:14]
.LBB180_456:
	s_or_b64 exec, exec, s[8:9]
	s_waitcnt lgkmcnt(0)
	s_barrier
	s_and_saveexec_b64 s[8:9], s[50:51]
	v_readlane_b32 s48, v43, 1
	v_readlane_b32 s49, v43, 2
	s_cbranch_execz .LBB180_458
; %bb.457:
	ds_read_b128 v[21:24], v20
	ds_read_b128 v[25:28], v19 offset:14784
	s_waitcnt lgkmcnt(0)
	v_mul_f64 v[29:30], v[23:24], v[27:28]
	v_mul_f64 v[27:28], v[21:22], v[27:28]
	v_fma_f64 v[21:22], v[21:22], v[25:26], -v[29:30]
	v_fma_f64 v[23:24], v[23:24], v[25:26], v[27:28]
	v_add_f64 v[11:12], v[11:12], v[21:22]
	v_add_f64 v[13:14], v[13:14], v[23:24]
.LBB180_458:
	s_or_b64 exec, exec, s[8:9]
	s_barrier
	s_and_saveexec_b64 s[8:9], s[52:53]
	s_cbranch_execz .LBB180_460
; %bb.459:
	v_mov_b32_e32 v21, 0
	ds_read_b128 v[21:24], v21 offset:15312
	s_waitcnt lgkmcnt(0)
	v_mul_f64 v[25:26], v[13:14], v[23:24]
	v_mul_f64 v[23:24], v[11:12], v[23:24]
	v_fma_f64 v[11:12], v[11:12], v[21:22], -v[25:26]
	v_fma_f64 v[13:14], v[13:14], v[21:22], v[23:24]
	ds_write_b128 v20, v[11:14]
.LBB180_460:
	s_or_b64 exec, exec, s[8:9]
	s_waitcnt lgkmcnt(0)
	s_barrier
	s_and_saveexec_b64 s[8:9], s[54:55]
	s_cbranch_execz .LBB180_462
; %bb.461:
	ds_read_b128 v[21:24], v20
	ds_read_b128 v[25:28], v19 offset:15296
	s_waitcnt lgkmcnt(0)
	v_mul_f64 v[29:30], v[23:24], v[27:28]
	v_mul_f64 v[27:28], v[21:22], v[27:28]
	v_fma_f64 v[21:22], v[21:22], v[25:26], -v[29:30]
	v_fma_f64 v[23:24], v[23:24], v[25:26], v[27:28]
	v_add_f64 v[11:12], v[11:12], v[21:22]
	v_add_f64 v[13:14], v[13:14], v[23:24]
.LBB180_462:
	s_or_b64 exec, exec, s[8:9]
	s_barrier
	s_and_saveexec_b64 s[8:9], s[56:57]
	s_cbranch_execz .LBB180_464
; %bb.463:
	v_mov_b32_e32 v19, 0
	ds_read_b128 v[21:24], v19 offset:15840
	s_waitcnt lgkmcnt(0)
	v_mul_f64 v[25:26], v[13:14], v[23:24]
	v_mul_f64 v[23:24], v[11:12], v[23:24]
	v_fma_f64 v[11:12], v[11:12], v[21:22], -v[25:26]
	v_fma_f64 v[13:14], v[13:14], v[21:22], v[23:24]
	ds_write_b128 v20, v[11:14]
.LBB180_464:
	s_or_b64 exec, exec, s[8:9]
	s_waitcnt lgkmcnt(0)
	s_barrier
	s_and_saveexec_b64 s[8:9], s[46:47]
	s_cbranch_execz .LBB180_466
; %bb.465:
	v_mov_b32_e32 v19, 0
	ds_read_b128 v[21:24], v20
	ds_read_b128 v[25:28], v19 offset:15856
	s_waitcnt lgkmcnt(0)
	v_mul_f64 v[29:30], v[23:24], v[27:28]
	v_mul_f64 v[27:28], v[21:22], v[27:28]
	v_fma_f64 v[21:22], v[21:22], v[25:26], -v[29:30]
	v_fma_f64 v[23:24], v[23:24], v[25:26], v[27:28]
	v_add_f64 v[11:12], v[11:12], v[21:22]
	v_add_f64 v[13:14], v[13:14], v[23:24]
.LBB180_466:
	s_or_b64 exec, exec, s[8:9]
	s_barrier
	s_and_saveexec_b64 s[8:9], s[46:47]
	s_cbranch_execz .LBB180_468
; %bb.467:
	v_mov_b32_e32 v19, 0
	ds_read_b128 v[21:24], v19 offset:16368
	s_waitcnt lgkmcnt(0)
	v_mul_f64 v[25:26], v[13:14], v[23:24]
	v_mul_f64 v[23:24], v[11:12], v[23:24]
	v_fma_f64 v[11:12], v[11:12], v[21:22], -v[25:26]
	v_fma_f64 v[13:14], v[13:14], v[21:22], v[23:24]
	ds_write_b128 v20, v[11:14]
.LBB180_468:
	s_or_b64 exec, exec, s[8:9]
	s_waitcnt lgkmcnt(0)
	s_barrier
	s_barrier
	s_and_saveexec_b64 s[8:9], s[16:17]
; %bb.469:
	v_xor_b32_e32 v14, 0x80000000, v14
	v_xor_b32_e32 v12, 0x80000000, v12
	ds_write_b128 v18, v[11:14] offset:12736
; %bb.470:
	s_or_b64 exec, exec, s[8:9]
	s_waitcnt lgkmcnt(0)
	s_barrier
	s_barrier
	s_and_saveexec_b64 s[8:9], s[58:59]
	s_cbranch_execz .LBB180_472
; %bb.471:
	v_lshlrev_b32_e32 v18, 4, v0
	s_movk_i32 s0, 0x1f0
	v_mad_u32_u24 v19, v0, s0, v18
	ds_read_b128 v[11:14], v19 offset:12736
	s_waitcnt lgkmcnt(0)
	ds_write_b128 v18, v[11:14] offset:14720
	ds_read_b128 v[11:14], v19 offset:12752
	s_waitcnt lgkmcnt(0)
	ds_write_b128 v18, v[11:14] offset:15232
	;; [unrolled: 3-line block ×4, first 2 shown]
.LBB180_472:
	s_or_b64 exec, exec, s[8:9]
	s_waitcnt lgkmcnt(0)
	s_barrier
	s_and_saveexec_b64 s[8:9], vcc
	s_cbranch_execz .LBB180_474
; %bb.473:
	v_mov_b32_e32 v28, 0
	ds_read_b128 v[11:14], v28 offset:15312
	ds_read_b128 v[18:21], v28 offset:14784
	;; [unrolled: 1-line block ×3, first 2 shown]
	s_waitcnt lgkmcnt(1)
	v_mul_f64 v[26:27], v[11:12], v[20:21]
	v_mul_f64 v[20:21], v[13:14], v[20:21]
	v_fma_f64 v[13:14], v[13:14], v[18:19], v[26:27]
	v_fma_f64 v[11:12], v[11:12], v[18:19], -v[20:21]
	s_waitcnt lgkmcnt(0)
	v_mul_f64 v[18:19], v[13:14], v[24:25]
	v_mul_f64 v[20:21], v[11:12], v[24:25]
	v_fma_f64 v[11:12], v[22:23], v[11:12], -v[18:19]
	v_fma_f64 v[13:14], v[22:23], v[13:14], v[20:21]
	ds_write_b128 v28, v[11:14] offset:14800
	ds_write_b128 v28, v[11:14] offset:15296
.LBB180_474:
	s_or_b64 exec, exec, s[8:9]
	v_mov_b32_e32 v13, 0
	v_mov_b32_e32 v11, 0
	;; [unrolled: 1-line block ×4, first 2 shown]
	s_waitcnt lgkmcnt(0)
	s_barrier
	s_and_saveexec_b64 s[10:11], s[2:3]
	s_cbranch_execz .LBB180_478
; %bb.475:
	v_mul_u32_u24_e32 v11, 0x210, v17
	ds_read_b128 v[11:14], v11 offset:14784
	ds_read_b128 v[17:20], v15 offset:14816
	v_cmp_gt_u32_e64 s[8:9], 2, v1
	s_waitcnt lgkmcnt(0)
	v_mul_f64 v[21:22], v[13:14], v[19:20]
	v_mul_f64 v[19:20], v[11:12], v[19:20]
	v_fma_f64 v[11:12], v[11:12], v[17:18], -v[21:22]
	v_fma_f64 v[13:14], v[13:14], v[17:18], v[19:20]
	v_add_f64 v[11:12], v[11:12], 0
	v_add_f64 v[13:14], v[13:14], 0
	s_and_saveexec_b64 s[12:13], s[8:9]
	s_cbranch_execz .LBB180_477
; %bb.476:
	v_lshlrev_b32_e32 v21, 4, v0
	v_mov_b32_e32 v17, 0
	ds_read_b128 v[17:20], v17 offset:14800
	ds_read_b128 v[21:24], v21 offset:15328
	s_waitcnt lgkmcnt(0)
	v_mul_f64 v[25:26], v[19:20], v[23:24]
	v_mul_f64 v[23:24], v[17:18], v[23:24]
	v_fma_f64 v[17:18], v[17:18], v[21:22], -v[25:26]
	v_fma_f64 v[19:20], v[19:20], v[21:22], v[23:24]
	v_add_f64 v[11:12], v[11:12], v[17:18]
	v_add_f64 v[13:14], v[13:14], v[19:20]
.LBB180_477:
	s_or_b64 exec, exec, s[12:13]
	v_xor_b32_e32 v12, 0x80000000, v12
	v_xor_b32_e32 v14, 0x80000000, v14
.LBB180_478:
	s_or_b64 exec, exec, s[10:11]
	s_and_saveexec_b64 s[8:9], s[42:43]
	s_cbranch_execz .LBB180_480
; %bb.479:
	v_mov_b32_e32 v17, 0
	ds_read_b128 v[17:20], v17 offset:15840
	s_waitcnt lgkmcnt(0)
	v_mul_f64 v[21:22], v[13:14], v[19:20]
	v_mul_f64 v[19:20], v[11:12], v[19:20]
	v_fma_f64 v[11:12], v[11:12], v[17:18], -v[21:22]
	v_fma_f64 v[13:14], v[13:14], v[17:18], v[19:20]
	ds_write_b128 v16, v[11:14]
.LBB180_480:
	s_or_b64 exec, exec, s[8:9]
	s_waitcnt lgkmcnt(0)
	s_barrier
	s_and_saveexec_b64 s[8:9], s[40:41]
	s_load_dword s43, s[4:5], 0x6c
	v_readlane_b32 s42, v43, 0
	s_cbranch_execz .LBB180_482
; %bb.481:
	v_mov_b32_e32 v21, 0
	ds_read_b128 v[17:20], v16
	ds_read_b128 v[21:24], v21 offset:15856
	s_waitcnt lgkmcnt(0)
	v_mul_f64 v[25:26], v[19:20], v[23:24]
	v_mul_f64 v[23:24], v[17:18], v[23:24]
	v_fma_f64 v[17:18], v[17:18], v[21:22], -v[25:26]
	v_fma_f64 v[19:20], v[19:20], v[21:22], v[23:24]
	v_add_f64 v[11:12], v[11:12], v[17:18]
	v_add_f64 v[13:14], v[13:14], v[19:20]
.LBB180_482:
	s_or_b64 exec, exec, s[8:9]
	s_waitcnt lgkmcnt(0)
	s_barrier
	s_and_saveexec_b64 s[8:9], s[40:41]
	s_cbranch_execz .LBB180_484
; %bb.483:
	v_mov_b32_e32 v17, 0
	ds_read_b128 v[17:20], v17 offset:16368
	s_waitcnt lgkmcnt(0)
	v_mul_f64 v[21:22], v[13:14], v[19:20]
	v_mul_f64 v[19:20], v[11:12], v[19:20]
	v_fma_f64 v[11:12], v[11:12], v[17:18], -v[21:22]
	v_fma_f64 v[13:14], v[13:14], v[17:18], v[19:20]
	ds_write_b128 v16, v[11:14]
.LBB180_484:
	s_or_b64 exec, exec, s[8:9]
	s_waitcnt lgkmcnt(0)
	s_barrier
	s_barrier
	s_and_saveexec_b64 s[8:9], s[2:3]
; %bb.485:
	v_xor_b32_e32 v12, 0x80000000, v12
	v_xor_b32_e32 v14, 0x80000000, v14
	ds_write_b128 v15, v[11:14] offset:14816
; %bb.486:
	s_or_b64 exec, exec, s[8:9]
	s_waitcnt lgkmcnt(0)
	s_barrier
	s_barrier
	s_and_saveexec_b64 s[2:3], s[44:45]
	s_cbranch_execz .LBB180_488
; %bb.487:
	v_lshlrev_b32_e32 v15, 9, v0
	ds_read_b128 v[11:14], v15 offset:14816
	s_movk_i32 s0, 0xfe10
	v_mad_i32_i24 v16, v0, s0, v15
	s_waitcnt lgkmcnt(0)
	ds_write_b128 v16, v[11:14] offset:15808
	ds_read_b128 v[11:14], v15 offset:14832
	s_waitcnt lgkmcnt(0)
	ds_write_b128 v16, v[11:14] offset:16320
.LBB180_488:
	s_or_b64 exec, exec, s[2:3]
	s_waitcnt lgkmcnt(0)
	s_barrier
	s_and_saveexec_b64 s[2:3], vcc
	s_cbranch_execz .LBB180_490
; %bb.489:
	v_mov_b32_e32 v25, 0
	ds_read_b128 v[11:14], v25 offset:16368
	ds_read_b128 v[15:18], v25 offset:15840
	;; [unrolled: 1-line block ×3, first 2 shown]
	s_waitcnt lgkmcnt(1)
	v_mul_f64 v[23:24], v[11:12], v[17:18]
	v_mul_f64 v[17:18], v[13:14], v[17:18]
	v_fma_f64 v[13:14], v[13:14], v[15:16], v[23:24]
	v_fma_f64 v[11:12], v[11:12], v[15:16], -v[17:18]
	s_waitcnt lgkmcnt(0)
	v_mul_f64 v[15:16], v[13:14], v[21:22]
	v_mul_f64 v[17:18], v[11:12], v[21:22]
	v_fma_f64 v[11:12], v[19:20], v[11:12], -v[15:16]
	v_fma_f64 v[13:14], v[19:20], v[13:14], v[17:18]
	ds_write_b128 v25, v[11:14] offset:15856
	ds_write_b128 v25, v[11:14] offset:16352
.LBB180_490:
	s_or_b64 exec, exec, s[2:3]
.LBB180_491:
	s_lshl_b64 s[0:1], s[20:21], 4
	s_add_u32 s38, s38, s0
	v_cmp_le_i32_e32 vcc, s95, v0
	s_addc_u32 s39, s39, s1
	s_and_b64 s[16:17], vcc, s[34:35]
	v_cmp_eq_u32_e64 s[2:3], 0, v2
	s_xor_b64 s[0:1], s[16:17], -1
	v_mov_b32_e32 v13, 0
	v_mov_b32_e32 v11, 0
	s_and_b64 s[0:1], s[2:3], s[0:1]
	v_mov_b32_e32 v14, 0
	v_mov_b32_e32 v12, 0
	v_add_u32_e32 v16, s33, v0
	s_waitcnt lgkmcnt(0)
	s_barrier
	s_and_saveexec_b64 s[8:9], s[0:1]
	s_cbranch_execz .LBB180_493
; %bb.492:
	v_ashrrev_i32_e32 v13, 31, v16
	v_mul_lo_u32 v14, s23, v16
	v_mad_u64_u32 v[11:12], s[0:1], s22, v16, 0
	v_mul_lo_u32 v13, s22, v13
	v_add3_u32 v12, v12, v13, v14
	v_lshlrev_b64 v[11:12], 4, v[11:12]
	v_mov_b32_e32 v13, s39
	v_add_co_u32_e32 v11, vcc, s38, v11
	v_addc_co_u32_e32 v12, vcc, v13, v12, vcc
	flat_load_dwordx4 v[11:14], v[11:12]
	s_waitcnt vmcnt(0) lgkmcnt(0)
	v_mul_f64 v[17:18], s[24:25], v[11:12]
	v_mul_f64 v[19:20], s[24:25], v[13:14]
	v_fma_f64 v[13:14], s[26:27], v[13:14], -v[17:18]
	v_fma_f64 v[11:12], v[11:12], -s[26:27], -v[19:20]
.LBB180_493:
	s_or_b64 exec, exec, s[8:9]
	s_load_dwordx2 s[14:15], s[4:5], 0x50
	s_and_b32 s0, 0xffff, s43
	v_mad_u32_u24 v23, v2, s0, v0
	v_mov_b32_e32 v15, 0
	s_cmp_lt_i32 s6, 1
	v_cmp_eq_u32_e64 s[4:5], 0, v23
	s_cbranch_scc1 .LBB180_516
; %bb.494:
	v_ashrrev_i32_e32 v19, 31, v16
	v_mul_lo_u32 v20, s37, v16
	v_mad_u64_u32 v[17:18], s[0:1], s36, v16, 0
	v_mul_lo_u32 v19, s36, v19
	s_lshl_b64 s[8:9], s[28:29], 2
	s_waitcnt lgkmcnt(0)
	s_add_u32 s18, s14, s8
	s_addc_u32 s19, s15, s9
	v_add3_u32 v18, v18, v19, v20
	v_cmp_gt_i32_e64 s[8:9], s30, v16
	v_lshlrev_b64 v[16:17], 4, v[17:18]
	v_mov_b32_e32 v19, 0x6000
	v_mov_b32_e32 v18, s62
	v_add_co_u32_e32 v26, vcc, s94, v16
	s_mov_b32 s0, 0
	v_cmp_gt_u32_e64 s[12:13], 32, v23
	v_lshl_add_u32 v24, v23, 4, v19
	v_lshl_or_b32 v25, v2, 4, v19
	s_add_i32 s63, s63, 1
	v_addc_co_u32_e32 v27, vcc, v18, v17, vcc
	v_mov_b32_e32 v28, -1
	s_branch .LBB180_497
.LBB180_495:                            ;   in Loop: Header=BB180_497 Depth=1
	ds_read_b128 v[29:32], v25 offset:256
	s_waitcnt vmcnt(0) lgkmcnt(0)
	v_mul_f64 v[16:17], v[20:21], v[31:32]
	v_mul_f64 v[20:21], v[20:21], v[29:30]
	v_fma_f64 v[16:17], v[18:19], v[29:30], v[16:17]
	v_fma_f64 v[18:19], v[18:19], v[31:32], -v[20:21]
	v_add_f64 v[13:14], v[13:14], v[16:17]
	v_add_f64 v[11:12], v[11:12], v[18:19]
.LBB180_496:                            ;   in Loop: Header=BB180_497 Depth=1
	s_or_b64 exec, exec, s[20:21]
	s_add_i32 s0, s0, 1
	s_cmp_eq_u32 s0, s6
	s_cbranch_scc1 .LBB180_516
.LBB180_497:                            ; =>This Loop Header: Depth=1
                                        ;     Child Loop BB180_499 Depth 2
	v_cmp_gt_i32_e32 vcc, s0, v28
	s_and_b64 s[20:21], s[4:5], vcc
	s_and_saveexec_b64 s[10:11], s[20:21]
	s_cbranch_execz .LBB180_500
; %bb.498:                              ;   in Loop: Header=BB180_497 Depth=1
	global_load_dword v28, v15, s[18:19]
	s_waitcnt vmcnt(0)
	v_cmp_le_i32_e32 vcc, s0, v28
	s_cbranch_vccnz .LBB180_500
.LBB180_499:                            ;   Parent Loop BB180_497 Depth=1
                                        ; =>  This Inner Loop Header: Depth=2
	buffer_wbinvl1_vol
	global_load_dword v28, v15, s[18:19]
	s_waitcnt vmcnt(0)
	v_cmp_gt_i32_e32 vcc, s0, v28
	s_cbranch_vccnz .LBB180_499
.LBB180_500:                            ;   in Loop: Header=BB180_497 Depth=1
	s_or_b64 exec, exec, s[10:11]
	s_sub_i32 s1, s7, s0
	s_lshl_b32 s24, s1, 5
	buffer_wbinvl1_vol
	s_barrier
	s_and_saveexec_b64 s[10:11], s[12:13]
	s_cbranch_execz .LBB180_505
; %bb.501:                              ;   in Loop: Header=BB180_497 Depth=1
	s_ashr_i32 s20, s24, 31
	v_mov_b32_e32 v17, s20
	v_or_b32_e32 v16, s24, v23
	v_cmp_le_i64_e32 vcc, s[30:31], v[16:17]
	s_and_saveexec_b64 s[20:21], vcc
	s_xor_b64 s[20:21], exec, s[20:21]
; %bb.502:                              ;   in Loop: Header=BB180_497 Depth=1
	v_mov_b32_e32 v16, v15
	v_mov_b32_e32 v17, v15
	;; [unrolled: 1-line block ×3, first 2 shown]
	ds_write_b128 v24, v[15:18]
                                        ; implicit-def: $vgpr16_vgpr17
; %bb.503:                              ;   in Loop: Header=BB180_497 Depth=1
	s_andn2_saveexec_b64 s[20:21], s[20:21]
	s_cbranch_execz .LBB180_505
; %bb.504:                              ;   in Loop: Header=BB180_497 Depth=1
	v_mul_lo_u32 v18, v17, s22
	v_mul_lo_u32 v19, v16, s23
	v_mad_u64_u32 v[16:17], s[20:21], v16, s22, 0
	v_add3_u32 v17, v17, v19, v18
	v_lshlrev_b64 v[16:17], 4, v[16:17]
	v_mov_b32_e32 v18, s39
	v_add_co_u32_e32 v16, vcc, s38, v16
	v_addc_co_u32_e32 v17, vcc, v18, v17, vcc
	flat_load_dwordx4 v[16:19], v[16:17]
	s_waitcnt vmcnt(0) lgkmcnt(0)
	ds_write2_b64 v24, v[16:17], v[18:19] offset1:1
.LBB180_505:                            ;   in Loop: Header=BB180_497 Depth=1
	s_or_b64 exec, exec, s[10:11]
	v_add_u32_e32 v18, s24, v2
	v_ashrrev_i32_e32 v19, 31, v18
	v_lshlrev_b64 v[16:17], 4, v[18:19]
	s_cmp_lg_u32 s1, s63
	v_add_co_u32_e32 v16, vcc, v26, v16
	s_cselect_b64 s[10:11], -1, 0
	v_addc_co_u32_e32 v17, vcc, v27, v17, vcc
	v_cmp_gt_i32_e32 vcc, s30, v18
	v_cndmask_b32_e64 v19, 0, 1, s[10:11]
	s_and_b64 s[24:25], vcc, s[8:9]
	v_cmp_ne_u32_e64 s[10:11], 1, v19
	s_waitcnt lgkmcnt(0)
	s_barrier
	s_and_saveexec_b64 s[20:21], s[24:25]
	s_cbranch_execz .LBB180_511
; %bb.506:                              ;   in Loop: Header=BB180_497 Depth=1
	v_mov_b32_e32 v20, v8
	s_and_b64 vcc, exec, s[10:11]
	v_mov_b32_e32 v19, v7
	s_cbranch_vccnz .LBB180_508
; %bb.507:                              ;   in Loop: Header=BB180_497 Depth=1
	flat_load_dwordx2 v[19:20], v[16:17]
.LBB180_508:                            ;   in Loop: Header=BB180_497 Depth=1
	v_mov_b32_e32 v22, v10
	s_and_b64 vcc, exec, s[10:11]
	v_mov_b32_e32 v21, v9
	s_cbranch_vccnz .LBB180_510
; %bb.509:                              ;   in Loop: Header=BB180_497 Depth=1
	flat_load_dwordx2 v[21:22], v[16:17] offset:8
.LBB180_510:                            ;   in Loop: Header=BB180_497 Depth=1
	ds_read_b128 v[29:32], v25
	s_waitcnt vmcnt(0) lgkmcnt(0)
	v_mul_f64 v[33:34], v[21:22], v[31:32]
	v_mul_f64 v[21:22], v[21:22], v[29:30]
	v_fma_f64 v[29:30], v[19:20], v[29:30], v[33:34]
	v_fma_f64 v[19:20], v[19:20], v[31:32], -v[21:22]
	v_add_f64 v[13:14], v[13:14], v[29:30]
	v_add_f64 v[11:12], v[11:12], v[19:20]
.LBB180_511:                            ;   in Loop: Header=BB180_497 Depth=1
	s_or_b64 exec, exec, s[20:21]
	v_add_u32_e32 v18, 16, v18
	v_cmp_gt_i32_e32 vcc, s30, v18
	s_and_b64 s[24:25], vcc, s[8:9]
	s_and_saveexec_b64 s[20:21], s[24:25]
	s_cbranch_execz .LBB180_496
; %bb.512:                              ;   in Loop: Header=BB180_497 Depth=1
	v_mov_b32_e32 v19, v4
	s_and_b64 vcc, exec, s[10:11]
	v_mov_b32_e32 v18, v3
	s_cbranch_vccnz .LBB180_514
; %bb.513:                              ;   in Loop: Header=BB180_497 Depth=1
	flat_load_dwordx2 v[18:19], v[16:17] offset:256
.LBB180_514:                            ;   in Loop: Header=BB180_497 Depth=1
	v_mov_b32_e32 v21, v6
	s_and_b64 vcc, exec, s[10:11]
	v_mov_b32_e32 v20, v5
	s_cbranch_vccnz .LBB180_495
; %bb.515:                              ;   in Loop: Header=BB180_497 Depth=1
	flat_load_dwordx2 v[20:21], v[16:17] offset:264
	s_branch .LBB180_495
.LBB180_516:
	s_xor_b64 s[4:5], s[34:35], -1
	v_lshlrev_b32_e32 v1, 4, v1
	v_mov_b32_e32 v15, v11
	v_mov_b32_e32 v16, v12
	ds_write_b128 v1, v[13:16] offset:16384
	s_waitcnt lgkmcnt(0)
	s_barrier
	s_and_saveexec_b64 s[6:7], s[2:3]
	s_cbranch_execz .LBB180_518
; %bb.517:
	v_lshlrev_b32_e32 v15, 4, v0
	ds_read_b128 v[3:6], v15 offset:16896
	ds_read_b128 v[7:10], v15 offset:17408
	s_waitcnt lgkmcnt(1)
	v_add_f64 v[3:4], v[13:14], v[3:4]
	v_add_f64 v[5:6], v[11:12], v[5:6]
	s_waitcnt lgkmcnt(0)
	v_add_f64 v[11:12], v[3:4], v[7:8]
	v_add_f64 v[13:14], v[5:6], v[9:10]
	ds_read_b128 v[3:6], v15 offset:17920
	ds_read_b128 v[7:10], v15 offset:18432
	s_waitcnt lgkmcnt(1)
	v_add_f64 v[3:4], v[11:12], v[3:4]
	v_add_f64 v[5:6], v[13:14], v[5:6]
	s_waitcnt lgkmcnt(0)
	v_add_f64 v[11:12], v[3:4], v[7:8]
	v_add_f64 v[13:14], v[5:6], v[9:10]
	;; [unrolled: 8-line block ×7, first 2 shown]
	ds_read_b128 v[3:6], v15 offset:24064
	s_waitcnt lgkmcnt(0)
	v_add_f64 v[3:4], v[7:8], v[3:4]
	v_add_f64 v[5:6], v[9:10], v[5:6]
	v_xor_b32_e32 v4, 0x80000000, v4
	v_xor_b32_e32 v6, 0x80000000, v6
	v_cndmask_b32_e64 v13, v3, 0, s[16:17]
	v_cndmask_b32_e64 v14, v4, 0, s[16:17]
	;; [unrolled: 1-line block ×4, first 2 shown]
.LBB180_518:
	s_or_b64 exec, exec, s[6:7]
	s_and_b64 vcc, exec, s[48:49]
	s_cbranch_vccnz .LBB180_527
; %bb.519:
	v_mov_b32_e32 v3, 0x6000
	v_lshl_or_b32 v7, v2, 4, v3
	s_and_saveexec_b64 s[0:1], s[2:3]
; %bb.520:
	v_lshl_add_u32 v3, v0, 4, v7
	v_mov_b32_e32 v15, v11
	v_mov_b32_e32 v16, v12
	ds_write_b128 v3, v[13:16]
; %bb.521:
	s_or_b64 exec, exec, s[0:1]
	v_mov_b32_e32 v3, 0
	v_mov_b32_e32 v5, 0
	;; [unrolled: 1-line block ×4, first 2 shown]
	v_cmp_le_u32_e32 vcc, v0, v2
	s_waitcnt lgkmcnt(0)
	s_barrier
	s_and_saveexec_b64 s[0:1], vcc
	s_cbranch_execz .LBB180_523
; %bb.522:
	ds_read_b128 v[3:6], v7
	ds_read_b128 v[15:18], v1
	s_waitcnt lgkmcnt(0)
	v_mul_f64 v[8:9], v[5:6], v[17:18]
	v_mul_f64 v[17:18], v[3:4], v[17:18]
	v_fma_f64 v[3:4], v[3:4], v[15:16], -v[8:9]
	v_fma_f64 v[5:6], v[5:6], v[15:16], v[17:18]
	v_add_f64 v[3:4], v[3:4], 0
	v_add_f64 v[5:6], v[5:6], 0
.LBB180_523:
	s_or_b64 exec, exec, s[0:1]
	v_add_u32_e32 v2, 16, v2
	v_add_u32_e32 v8, 0x4000, v1
	v_cmp_le_u32_e32 vcc, v0, v2
	s_and_saveexec_b64 s[0:1], vcc
	s_cbranch_execz .LBB180_525
; %bb.524:
	ds_read_b128 v[15:18], v7 offset:256
	ds_read_b128 v[19:22], v1 offset:8192
	s_waitcnt lgkmcnt(0)
	v_mul_f64 v[1:2], v[17:18], v[21:22]
	v_mul_f64 v[9:10], v[15:16], v[21:22]
	v_fma_f64 v[1:2], v[15:16], v[19:20], -v[1:2]
	v_fma_f64 v[9:10], v[17:18], v[19:20], v[9:10]
	v_add_f64 v[3:4], v[3:4], v[1:2]
	v_add_f64 v[5:6], v[5:6], v[9:10]
.LBB180_525:
	s_or_b64 exec, exec, s[0:1]
	s_mov_b64 s[6:7], 0
	s_mov_b64 s[0:1], 0
	ds_write_b128 v8, v[3:6]
	s_waitcnt lgkmcnt(0)
	s_barrier
                                        ; implicit-def: $vgpr1_vgpr2
                                        ; implicit-def: $vgpr7_vgpr8
	s_and_saveexec_b64 s[8:9], s[2:3]
	s_cbranch_execz .LBB180_546
; %bb.526:
	v_lshlrev_b32_e32 v19, 4, v0
	ds_read_b128 v[7:10], v19 offset:16896
	ds_read_b128 v[15:18], v19 offset:17408
	s_mov_b64 s[0:1], exec
	s_waitcnt lgkmcnt(1)
	v_add_f64 v[1:2], v[3:4], v[7:8]
	v_add_f64 v[3:4], v[5:6], v[9:10]
	s_waitcnt lgkmcnt(0)
	v_add_f64 v[9:10], v[1:2], v[15:16]
	v_add_f64 v[15:16], v[3:4], v[17:18]
	ds_read_b128 v[1:4], v19 offset:17920
	ds_read_b128 v[5:8], v19 offset:18432
	s_waitcnt lgkmcnt(1)
	v_add_f64 v[1:2], v[9:10], v[1:2]
	v_add_f64 v[3:4], v[15:16], v[3:4]
	s_waitcnt lgkmcnt(0)
	v_add_f64 v[9:10], v[1:2], v[5:6]
	v_add_f64 v[15:16], v[3:4], v[7:8]
	ds_read_b128 v[1:4], v19 offset:18944
	ds_read_b128 v[5:8], v19 offset:19456
	;; [unrolled: 8-line block ×6, first 2 shown]
	s_waitcnt lgkmcnt(1)
	v_add_f64 v[1:2], v[9:10], v[1:2]
	v_add_f64 v[3:4], v[15:16], v[3:4]
	s_waitcnt lgkmcnt(0)
	v_add_f64 v[5:6], v[1:2], v[5:6]
	v_add_f64 v[9:10], v[3:4], v[7:8]
	ds_read_b128 v[1:4], v19 offset:24064
	s_waitcnt lgkmcnt(0)
	v_add_f64 v[7:8], v[5:6], v[1:2]
	v_add_f64 v[1:2], v[9:10], v[3:4]
	s_or_b64 exec, exec, s[8:9]
	s_and_b64 vcc, exec, s[6:7]
	s_cbranch_vccnz .LBB180_528
	s_branch .LBB180_547
.LBB180_527:
	s_mov_b64 s[0:1], 0
                                        ; implicit-def: $vgpr1_vgpr2
                                        ; implicit-def: $vgpr7_vgpr8
	s_cbranch_execz .LBB180_547
.LBB180_528:
	s_movk_i32 s6, 0x210
	v_lshlrev_b32_e32 v2, 9, v0
	v_mov_b32_e32 v3, 0x3c00
	v_mul_u32_u24_e32 v1, 0x210, v0
	v_sub_u32_e32 v2, 0, v2
	v_mad_u32_u24 v3, v0, s6, v3
	s_mov_b32 s8, 31
	s_movk_i32 s9, 0xc200
	v_mov_b32_e32 v4, 0
	s_branch .LBB180_530
.LBB180_529:                            ;   in Loop: Header=BB180_530 Depth=1
	s_or_b64 exec, exec, s[6:7]
	s_add_i32 s8, s8, -2
	s_cmp_lg_u32 s10, 0
	v_add_u32_e32 v2, 0xfffffc00, v2
	s_barrier
	s_cbranch_scc0 .LBB180_538
.LBB180_530:                            ; =>This Inner Loop Header: Depth=1
	v_cmp_eq_u32_e32 vcc, s9, v2
	s_and_b64 s[10:11], s[2:3], vcc
	s_and_saveexec_b64 s[6:7], s[10:11]
	s_cbranch_execz .LBB180_532
; %bb.531:                              ;   in Loop: Header=BB180_530 Depth=1
	ds_read_b128 v[5:8], v1
	s_waitcnt lgkmcnt(0)
	v_mul_f64 v[9:10], v[11:12], v[7:8]
	v_mul_f64 v[7:8], v[13:14], v[7:8]
	v_fma_f64 v[9:10], v[13:14], v[5:6], -v[9:10]
	v_fma_f64 v[11:12], v[11:12], v[5:6], v[7:8]
	v_mov_b32_e32 v14, v10
	v_mov_b32_e32 v13, v9
	ds_write_b128 v4, v[9:12] offset:25088
.LBB180_532:                            ;   in Loop: Header=BB180_530 Depth=1
	s_or_b64 exec, exec, s[6:7]
	v_cmp_gt_u32_e32 vcc, s8, v0
	s_and_b64 s[10:11], s[2:3], vcc
	v_add_u32_e32 v5, v3, v2
	s_waitcnt lgkmcnt(0)
	s_barrier
	s_and_saveexec_b64 s[6:7], s[10:11]
	s_cbranch_execz .LBB180_534
; %bb.533:                              ;   in Loop: Header=BB180_530 Depth=1
	ds_read_b128 v[6:9], v4 offset:25088
	ds_read_b128 v[15:18], v5 offset:512
	s_waitcnt lgkmcnt(0)
	v_mul_f64 v[19:20], v[8:9], v[17:18]
	v_mul_f64 v[17:18], v[6:7], v[17:18]
	v_fma_f64 v[6:7], v[6:7], v[15:16], -v[19:20]
	v_fma_f64 v[8:9], v[8:9], v[15:16], v[17:18]
	v_add_f64 v[13:14], v[13:14], v[6:7]
	v_add_f64 v[11:12], v[11:12], v[8:9]
.LBB180_534:                            ;   in Loop: Header=BB180_530 Depth=1
	s_or_b64 exec, exec, s[6:7]
	s_add_i32 s10, s8, -1
	v_cmp_eq_u32_e32 vcc, s10, v0
	s_and_b64 s[12:13], s[2:3], vcc
	s_barrier
	s_and_saveexec_b64 s[6:7], s[12:13]
	s_cbranch_execz .LBB180_536
; %bb.535:                              ;   in Loop: Header=BB180_530 Depth=1
	ds_read_b128 v[6:9], v1
	s_waitcnt lgkmcnt(0)
	v_mul_f64 v[15:16], v[11:12], v[8:9]
	v_mul_f64 v[17:18], v[13:14], v[8:9]
	v_fma_f64 v[9:10], v[13:14], v[6:7], -v[15:16]
	v_fma_f64 v[11:12], v[11:12], v[6:7], v[17:18]
	v_mov_b32_e32 v14, v10
	v_mov_b32_e32 v13, v9
	ds_write_b128 v4, v[9:12] offset:25088
.LBB180_536:                            ;   in Loop: Header=BB180_530 Depth=1
	s_or_b64 exec, exec, s[6:7]
	v_cmp_gt_u32_e32 vcc, s10, v0
	s_and_b64 s[12:13], s[2:3], vcc
	s_waitcnt lgkmcnt(0)
	s_barrier
	s_and_saveexec_b64 s[6:7], s[12:13]
	s_cbranch_execz .LBB180_529
; %bb.537:                              ;   in Loop: Header=BB180_530 Depth=1
	ds_read_b128 v[6:9], v4 offset:25088
	ds_read_b128 v[15:18], v5
	s_waitcnt lgkmcnt(0)
	v_mul_f64 v[19:20], v[8:9], v[17:18]
	v_mul_f64 v[17:18], v[6:7], v[17:18]
	v_fma_f64 v[5:6], v[6:7], v[15:16], -v[19:20]
	v_fma_f64 v[7:8], v[8:9], v[15:16], v[17:18]
	v_add_f64 v[13:14], v[13:14], v[5:6]
	v_add_f64 v[11:12], v[11:12], v[7:8]
	s_branch .LBB180_529
.LBB180_538:
	s_mov_b64 s[6:7], -1
	s_and_b64 vcc, exec, s[4:5]
	s_cbranch_vccnz .LBB180_548
; %bb.539:
	s_andn2_b64 vcc, exec, s[6:7]
	s_cbranch_vccz .LBB180_549
.LBB180_540:
	s_and_saveexec_b64 s[2:3], s[0:1]
	s_cbranch_execz .LBB180_542
.LBB180_541:
	v_mov_b32_e32 v0, s42
	v_add_co_u32_e32 v1, vcc, s33, v23
	v_addc_co_u32_e32 v0, vcc, 0, v0, vcc
	v_mul_lo_u32 v2, v0, s22
	v_mul_lo_u32 v3, v1, s23
	v_mad_u64_u32 v[0:1], s[0:1], v1, s22, 0
	v_mov_b32_e32 v15, v11
	v_mov_b32_e32 v16, v12
	v_add3_u32 v1, v1, v3, v2
	v_lshlrev_b64 v[0:1], 4, v[0:1]
	v_mov_b32_e32 v2, s39
	v_add_co_u32_e32 v0, vcc, s38, v0
	v_addc_co_u32_e32 v1, vcc, v2, v1, vcc
	flat_store_dwordx4 v[0:1], v[13:16]
.LBB180_542:
	s_or_b64 exec, exec, s[2:3]
	v_cmp_eq_u32_e32 vcc, 0, v23
	s_waitcnt vmcnt(0) lgkmcnt(0)
	buffer_wbinvl1_vol
	s_barrier
	s_and_saveexec_b64 s[0:1], vcc
	s_cbranch_execz .LBB180_544
; %bb.543:
	s_lshl_b64 s[2:3], s[28:29], 2
	s_add_u32 s2, s14, s2
	s_addc_u32 s3, s15, s3
	v_mov_b32_e32 v0, 0
	global_load_dword v1, v0, s[2:3]
	s_waitcnt vmcnt(0)
	v_add_u32_e32 v1, 1, v1
	global_store_dword v0, v1, s[2:3]
.LBB180_544:
	s_or_b64 exec, exec, s[0:1]
	s_waitcnt vmcnt(0)
	buffer_wbinvl1_vol
	s_endpgm
.LBB180_545:
                                        ; implicit-def: $vgpr5_vgpr6
                                        ; implicit-def: $vgpr9_vgpr10
                                        ; implicit-def: $sgpr33
	s_cbranch_execnz .LBB180_6
	s_branch .LBB180_7
.LBB180_546:
	s_or_b64 exec, exec, s[8:9]
	s_and_b64 vcc, exec, s[6:7]
	s_cbranch_vccnz .LBB180_528
.LBB180_547:
	v_mov_b32_e32 v12, v2
	v_mov_b32_e32 v14, v8
	;; [unrolled: 1-line block ×4, first 2 shown]
	s_and_saveexec_b64 s[2:3], s[0:1]
	s_cbranch_execnz .LBB180_541
	s_branch .LBB180_542
.LBB180_548:
	s_andn2_b64 s[0:1], s[0:1], exec
	s_and_b64 s[4:5], s[2:3], exec
	s_or_b64 s[0:1], s[0:1], s[4:5]
	s_cbranch_execnz .LBB180_540
.LBB180_549:
	v_cmp_gt_i32_e32 vcc, s95, v0
	s_and_b64 s[2:3], s[2:3], vcc
	s_andn2_b64 s[0:1], s[0:1], exec
	s_and_b64 s[2:3], s[2:3], exec
	s_or_b64 s[0:1], s[0:1], s[2:3]
	s_and_saveexec_b64 s[2:3], s[0:1]
	s_cbranch_execnz .LBB180_541
	s_branch .LBB180_542
.LBB180_550:
	v_lshlrev_b32_e32 v23, 4, v22
	v_sub_u32_e32 v23, v20, v23
	v_lshl_add_u32 v27, v21, 4, v23
	ds_read_b128 v[23:26], v20 offset:16
	ds_read_b128 v[27:30], v27 offset:576
	s_waitcnt lgkmcnt(0)
	v_mul_f64 v[31:32], v[25:26], v[29:30]
	v_mul_f64 v[29:30], v[23:24], v[29:30]
	v_fma_f64 v[23:24], v[23:24], v[27:28], -v[31:32]
	v_fma_f64 v[25:26], v[25:26], v[27:28], v[29:30]
	v_add_f64 v[11:12], v[11:12], v[23:24]
	v_add_f64 v[13:14], v[13:14], v[25:26]
	s_or_b64 exec, exec, s[18:19]
	v_cmp_gt_u32_e64 s[12:13], 8, v1
	s_and_saveexec_b64 s[18:19], s[12:13]
	s_cbranch_execz .LBB180_89
.LBB180_551:
	ds_read_b128 v[23:26], v20 offset:32
	ds_read_b128 v[27:30], v18 offset:1088
	s_waitcnt lgkmcnt(0)
	v_mul_f64 v[31:32], v[25:26], v[29:30]
	v_mul_f64 v[29:30], v[23:24], v[29:30]
	v_fma_f64 v[23:24], v[23:24], v[27:28], -v[31:32]
	v_fma_f64 v[25:26], v[25:26], v[27:28], v[29:30]
	v_add_f64 v[11:12], v[11:12], v[23:24]
	v_add_f64 v[13:14], v[13:14], v[25:26]
	s_or_b64 exec, exec, s[18:19]
	v_cmp_gt_u32_e64 s[12:13], 4, v1
	s_and_saveexec_b64 s[18:19], s[12:13]
	s_cbranch_execnz .LBB180_90
	s_branch .LBB180_91
.LBB180_552:
	v_lshlrev_b32_e32 v28, 4, v27
	v_sub_u32_e32 v28, v25, v28
	v_lshl_add_u32 v32, v26, 4, v28
	ds_read_b128 v[28:31], v25 offset:16
	ds_read_b128 v[32:35], v32 offset:640
	s_waitcnt lgkmcnt(0)
	v_mul_f64 v[36:37], v[30:31], v[34:35]
	v_mul_f64 v[34:35], v[28:29], v[34:35]
	v_fma_f64 v[28:29], v[28:29], v[32:33], -v[36:37]
	v_fma_f64 v[30:31], v[30:31], v[32:33], v[34:35]
	v_add_f64 v[11:12], v[11:12], v[28:29]
	v_add_f64 v[13:14], v[13:14], v[30:31]
	s_or_b64 exec, exec, s[60:61]
	v_cmp_gt_u32_e64 s[14:15], 48, v1
	s_and_saveexec_b64 s[60:61], s[14:15]
	s_cbranch_execz .LBB180_131
.LBB180_553:
	v_lshlrev_b32_e32 v28, 4, v27
	v_sub_u32_e32 v28, v25, v28
	v_lshl_add_u32 v32, v26, 4, v28
	ds_read_b128 v[28:31], v25 offset:32
	ds_read_b128 v[32:35], v32 offset:1152
	s_waitcnt lgkmcnt(0)
	v_mul_f64 v[36:37], v[30:31], v[34:35]
	v_mul_f64 v[34:35], v[28:29], v[34:35]
	v_fma_f64 v[28:29], v[28:29], v[32:33], -v[36:37]
	v_fma_f64 v[30:31], v[30:31], v[32:33], v[34:35]
	v_add_f64 v[11:12], v[11:12], v[28:29]
	v_add_f64 v[13:14], v[13:14], v[30:31]
	s_or_b64 exec, exec, s[60:61]
	v_cmp_gt_u32_e64 s[14:15], 40, v1
	s_and_saveexec_b64 s[60:61], s[14:15]
	s_cbranch_execz .LBB180_132
.LBB180_554:
	v_lshlrev_b32_e32 v28, 4, v27
	v_sub_u32_e32 v28, v25, v28
	v_lshl_add_u32 v32, v26, 4, v28
	ds_read_b128 v[28:31], v25 offset:48
	ds_read_b128 v[32:35], v32 offset:1664
	s_waitcnt lgkmcnt(0)
	v_mul_f64 v[36:37], v[30:31], v[34:35]
	v_mul_f64 v[34:35], v[28:29], v[34:35]
	v_fma_f64 v[28:29], v[28:29], v[32:33], -v[36:37]
	v_fma_f64 v[30:31], v[30:31], v[32:33], v[34:35]
	v_add_f64 v[11:12], v[11:12], v[28:29]
	v_add_f64 v[13:14], v[13:14], v[30:31]
	s_or_b64 exec, exec, s[60:61]
	v_cmp_gt_u32_e64 s[14:15], 32, v1
	s_and_saveexec_b64 s[60:61], s[14:15]
	s_cbranch_execz .LBB180_133
.LBB180_555:
	ds_read_b128 v[28:31], v25 offset:64
	ds_read_b128 v[32:35], v23 offset:2176
	s_waitcnt lgkmcnt(0)
	v_mul_f64 v[36:37], v[30:31], v[34:35]
	v_mul_f64 v[34:35], v[28:29], v[34:35]
	v_fma_f64 v[28:29], v[28:29], v[32:33], -v[36:37]
	v_fma_f64 v[30:31], v[30:31], v[32:33], v[34:35]
	v_add_f64 v[11:12], v[11:12], v[28:29]
	v_add_f64 v[13:14], v[13:14], v[30:31]
	s_or_b64 exec, exec, s[60:61]
	v_cmp_gt_u32_e64 s[14:15], 24, v1
	s_and_saveexec_b64 s[60:61], s[14:15]
	s_cbranch_execz .LBB180_134
.LBB180_556:
	v_lshlrev_b32_e32 v28, 4, v27
	v_sub_u32_e32 v28, v25, v28
	v_lshl_add_u32 v32, v26, 4, v28
	ds_read_b128 v[28:31], v25 offset:80
	ds_read_b128 v[32:35], v32 offset:2688
	s_waitcnt lgkmcnt(0)
	v_mul_f64 v[36:37], v[30:31], v[34:35]
	v_mul_f64 v[34:35], v[28:29], v[34:35]
	v_fma_f64 v[28:29], v[28:29], v[32:33], -v[36:37]
	v_fma_f64 v[30:31], v[30:31], v[32:33], v[34:35]
	v_add_f64 v[11:12], v[11:12], v[28:29]
	v_add_f64 v[13:14], v[13:14], v[30:31]
	s_or_b64 exec, exec, s[60:61]
	v_cmp_gt_u32_e64 s[14:15], 16, v1
	s_and_saveexec_b64 s[60:61], s[14:15]
	s_cbranch_execz .LBB180_135
.LBB180_557:
	ds_read_b128 v[28:31], v25 offset:96
	ds_read_b128 v[32:35], v23 offset:3200
	s_waitcnt lgkmcnt(0)
	v_mul_f64 v[36:37], v[30:31], v[34:35]
	v_mul_f64 v[34:35], v[28:29], v[34:35]
	v_fma_f64 v[28:29], v[28:29], v[32:33], -v[36:37]
	v_fma_f64 v[30:31], v[30:31], v[32:33], v[34:35]
	v_add_f64 v[11:12], v[11:12], v[28:29]
	v_add_f64 v[13:14], v[13:14], v[30:31]
	s_or_b64 exec, exec, s[60:61]
	v_cmp_gt_u32_e64 s[14:15], 8, v1
	s_and_saveexec_b64 s[60:61], s[14:15]
	s_cbranch_execnz .LBB180_136
	s_branch .LBB180_137
.LBB180_558:
	v_lshlrev_b32_e32 v29, 4, v22
	v_sub_u32_e32 v29, v28, v29
	v_lshl_add_u32 v33, v21, 4, v29
	ds_read_b128 v[29:32], v28 offset:4240
	ds_read_b128 v[33:36], v33 offset:4800
	s_waitcnt lgkmcnt(0)
	v_mul_f64 v[37:38], v[31:32], v[35:36]
	v_mul_f64 v[35:36], v[29:30], v[35:36]
	v_fma_f64 v[29:30], v[29:30], v[33:34], -v[37:38]
	v_fma_f64 v[31:32], v[31:32], v[33:34], v[35:36]
	v_add_f64 v[11:12], v[11:12], v[29:30]
	v_add_f64 v[13:14], v[13:14], v[31:32]
	s_or_b64 exec, exec, s[18:19]
	v_cmp_gt_u32_e64 s[12:13], 8, v1
	s_and_saveexec_b64 s[18:19], s[12:13]
	s_cbranch_execz .LBB180_193
.LBB180_559:
	ds_read_b128 v[28:31], v28 offset:4256
	ds_read_b128 v[32:35], v18 offset:5312
	s_waitcnt lgkmcnt(0)
	v_mul_f64 v[36:37], v[30:31], v[34:35]
	v_mul_f64 v[34:35], v[28:29], v[34:35]
	v_fma_f64 v[28:29], v[28:29], v[32:33], -v[36:37]
	v_fma_f64 v[30:31], v[30:31], v[32:33], v[34:35]
	v_add_f64 v[11:12], v[11:12], v[28:29]
	v_add_f64 v[13:14], v[13:14], v[30:31]
	s_or_b64 exec, exec, s[18:19]
	v_cmp_gt_u32_e64 s[12:13], 4, v1
	s_and_saveexec_b64 s[18:19], s[12:13]
	s_cbranch_execnz .LBB180_194
	s_branch .LBB180_195
.LBB180_560:
	ds_read_b128 v[33:36], v32 offset:176
	ds_read_b128 v[37:40], v28 offset:5888
	s_waitcnt lgkmcnt(0)
	v_mul_f64 v[41:42], v[35:36], v[39:40]
	v_mul_f64 v[39:40], v[33:34], v[39:40]
	v_fma_f64 v[33:34], v[33:34], v[37:38], -v[41:42]
	v_fma_f64 v[35:36], v[35:36], v[37:38], v[39:40]
	v_add_f64 v[11:12], v[11:12], v[33:34]
	v_add_f64 v[13:14], v[13:14], v[35:36]
	s_or_b64 exec, exec, s[92:93]
	v_cmp_gt_u32_e64 s[18:19], 64, v1
	s_and_saveexec_b64 s[92:93], s[18:19]
	s_cbranch_execz .LBB180_255
.LBB180_561:
	ds_read_b128 v[33:36], v32 offset:192
	ds_read_b128 v[37:40], v28 offset:6400
	s_waitcnt lgkmcnt(0)
	v_mul_f64 v[41:42], v[35:36], v[39:40]
	v_mul_f64 v[39:40], v[33:34], v[39:40]
	v_fma_f64 v[33:34], v[33:34], v[37:38], -v[41:42]
	v_fma_f64 v[35:36], v[35:36], v[37:38], v[39:40]
	v_add_f64 v[11:12], v[11:12], v[33:34]
	v_add_f64 v[13:14], v[13:14], v[35:36]
	s_or_b64 exec, exec, s[92:93]
	v_cmp_gt_u32_e64 s[18:19], 48, v1
	s_and_saveexec_b64 s[92:93], s[18:19]
	s_cbranch_execz .LBB180_256
.LBB180_562:
	ds_read_b128 v[33:36], v32 offset:208
	ds_read_b128 v[37:40], v28 offset:6912
	s_waitcnt lgkmcnt(0)
	v_mul_f64 v[41:42], v[35:36], v[39:40]
	v_mul_f64 v[39:40], v[33:34], v[39:40]
	v_fma_f64 v[33:34], v[33:34], v[37:38], -v[41:42]
	v_fma_f64 v[35:36], v[35:36], v[37:38], v[39:40]
	v_add_f64 v[11:12], v[11:12], v[33:34]
	v_add_f64 v[13:14], v[13:14], v[35:36]
	s_or_b64 exec, exec, s[92:93]
	v_cmp_gt_u32_e64 s[18:19], 32, v1
	s_and_saveexec_b64 s[92:93], s[18:19]
	s_cbranch_execz .LBB180_257
.LBB180_563:
	ds_read_b128 v[32:35], v32 offset:224
	ds_read_b128 v[36:39], v28 offset:7424
	s_waitcnt lgkmcnt(0)
	v_mul_f64 v[40:41], v[34:35], v[38:39]
	v_mul_f64 v[38:39], v[32:33], v[38:39]
	v_fma_f64 v[32:33], v[32:33], v[36:37], -v[40:41]
	v_fma_f64 v[34:35], v[34:35], v[36:37], v[38:39]
	v_add_f64 v[11:12], v[11:12], v[32:33]
	v_add_f64 v[13:14], v[13:14], v[34:35]
	s_or_b64 exec, exec, s[92:93]
	v_cmp_gt_u32_e64 s[18:19], 16, v1
	s_and_saveexec_b64 s[92:93], s[18:19]
	s_cbranch_execnz .LBB180_258
	s_branch .LBB180_259
.LBB180_564:
	v_lshlrev_b32_e32 v29, 4, v22
	v_sub_u32_e32 v29, v28, v29
	v_lshl_add_u32 v33, v21, 4, v29
	ds_read_b128 v[29:32], v28 offset:8464
	ds_read_b128 v[33:36], v33 offset:9024
	s_waitcnt lgkmcnt(0)
	v_mul_f64 v[37:38], v[31:32], v[35:36]
	v_mul_f64 v[35:36], v[29:30], v[35:36]
	v_fma_f64 v[29:30], v[29:30], v[33:34], -v[37:38]
	v_fma_f64 v[31:32], v[31:32], v[33:34], v[35:36]
	v_add_f64 v[11:12], v[11:12], v[29:30]
	v_add_f64 v[13:14], v[13:14], v[31:32]
	s_or_b64 exec, exec, s[14:15]
	v_cmp_gt_u32_e64 s[10:11], 8, v1
	s_and_saveexec_b64 s[14:15], s[10:11]
	s_cbranch_execz .LBB180_347
.LBB180_565:
	ds_read_b128 v[28:31], v28 offset:8480
	ds_read_b128 v[32:35], v18 offset:9536
	s_waitcnt lgkmcnt(0)
	v_mul_f64 v[36:37], v[30:31], v[34:35]
	v_mul_f64 v[34:35], v[28:29], v[34:35]
	v_fma_f64 v[28:29], v[28:29], v[32:33], -v[36:37]
	v_fma_f64 v[30:31], v[30:31], v[32:33], v[34:35]
	v_add_f64 v[11:12], v[11:12], v[28:29]
	v_add_f64 v[13:14], v[13:14], v[30:31]
	s_or_b64 exec, exec, s[14:15]
	v_cmp_gt_u32_e64 s[10:11], 4, v1
	s_and_saveexec_b64 s[14:15], s[10:11]
	s_cbranch_execnz .LBB180_348
	s_branch .LBB180_349
.LBB180_566:
	v_lshlrev_b32_e32 v29, 4, v27
	v_sub_u32_e32 v29, v28, v29
	v_lshl_add_u32 v33, v26, 4, v29
	ds_read_b128 v[29:32], v28 offset:8464
	ds_read_b128 v[33:36], v33 offset:9088
	s_waitcnt lgkmcnt(0)
	v_mul_f64 v[37:38], v[31:32], v[35:36]
	v_mul_f64 v[35:36], v[29:30], v[35:36]
	v_fma_f64 v[29:30], v[29:30], v[33:34], -v[37:38]
	v_fma_f64 v[31:32], v[31:32], v[33:34], v[35:36]
	v_add_f64 v[11:12], v[11:12], v[29:30]
	v_add_f64 v[13:14], v[13:14], v[31:32]
	s_or_b64 exec, exec, s[14:15]
	v_cmp_gt_u32_e64 s[10:11], 48, v1
	s_and_saveexec_b64 s[14:15], s[10:11]
	s_cbranch_execz .LBB180_389
.LBB180_567:
	v_lshlrev_b32_e32 v29, 4, v27
	v_sub_u32_e32 v29, v28, v29
	v_lshl_add_u32 v33, v26, 4, v29
	ds_read_b128 v[29:32], v28 offset:8480
	ds_read_b128 v[33:36], v33 offset:9600
	s_waitcnt lgkmcnt(0)
	v_mul_f64 v[37:38], v[31:32], v[35:36]
	v_mul_f64 v[35:36], v[29:30], v[35:36]
	v_fma_f64 v[29:30], v[29:30], v[33:34], -v[37:38]
	v_fma_f64 v[31:32], v[31:32], v[33:34], v[35:36]
	v_add_f64 v[11:12], v[11:12], v[29:30]
	v_add_f64 v[13:14], v[13:14], v[31:32]
	s_or_b64 exec, exec, s[14:15]
	v_cmp_gt_u32_e64 s[10:11], 40, v1
	s_and_saveexec_b64 s[14:15], s[10:11]
	s_cbranch_execz .LBB180_390
.LBB180_568:
	v_lshlrev_b32_e32 v29, 4, v27
	v_sub_u32_e32 v29, v28, v29
	v_lshl_add_u32 v33, v26, 4, v29
	ds_read_b128 v[29:32], v28 offset:8496
	ds_read_b128 v[33:36], v33 offset:10112
	s_waitcnt lgkmcnt(0)
	v_mul_f64 v[37:38], v[31:32], v[35:36]
	v_mul_f64 v[35:36], v[29:30], v[35:36]
	v_fma_f64 v[29:30], v[29:30], v[33:34], -v[37:38]
	v_fma_f64 v[31:32], v[31:32], v[33:34], v[35:36]
	v_add_f64 v[11:12], v[11:12], v[29:30]
	v_add_f64 v[13:14], v[13:14], v[31:32]
	s_or_b64 exec, exec, s[14:15]
	v_cmp_gt_u32_e64 s[10:11], 32, v1
	s_and_saveexec_b64 s[14:15], s[10:11]
	s_cbranch_execz .LBB180_391
.LBB180_569:
	ds_read_b128 v[29:32], v28 offset:8512
	ds_read_b128 v[33:36], v23 offset:10624
	s_waitcnt lgkmcnt(0)
	v_mul_f64 v[37:38], v[31:32], v[35:36]
	v_mul_f64 v[35:36], v[29:30], v[35:36]
	v_fma_f64 v[29:30], v[29:30], v[33:34], -v[37:38]
	v_fma_f64 v[31:32], v[31:32], v[33:34], v[35:36]
	v_add_f64 v[11:12], v[11:12], v[29:30]
	v_add_f64 v[13:14], v[13:14], v[31:32]
	s_or_b64 exec, exec, s[14:15]
	v_cmp_gt_u32_e64 s[10:11], 24, v1
	s_and_saveexec_b64 s[14:15], s[10:11]
	s_cbranch_execz .LBB180_392
.LBB180_570:
	v_lshlrev_b32_e32 v27, 4, v27
	v_sub_u32_e32 v27, v28, v27
	v_lshl_add_u32 v26, v26, 4, v27
	ds_read_b128 v[29:32], v28 offset:8528
	ds_read_b128 v[33:36], v26 offset:11136
	s_waitcnt lgkmcnt(0)
	v_mul_f64 v[26:27], v[31:32], v[35:36]
	v_mul_f64 v[35:36], v[29:30], v[35:36]
	v_fma_f64 v[26:27], v[29:30], v[33:34], -v[26:27]
	v_fma_f64 v[29:30], v[31:32], v[33:34], v[35:36]
	v_add_f64 v[11:12], v[11:12], v[26:27]
	v_add_f64 v[13:14], v[13:14], v[29:30]
	s_or_b64 exec, exec, s[14:15]
	v_cmp_gt_u32_e64 s[10:11], 16, v1
	s_and_saveexec_b64 s[14:15], s[10:11]
	s_cbranch_execz .LBB180_393
.LBB180_571:
	ds_read_b128 v[26:29], v28 offset:8544
	ds_read_b128 v[30:33], v23 offset:11648
	s_waitcnt lgkmcnt(0)
	v_mul_f64 v[34:35], v[28:29], v[32:33]
	v_mul_f64 v[32:33], v[26:27], v[32:33]
	v_fma_f64 v[26:27], v[26:27], v[30:31], -v[34:35]
	v_fma_f64 v[28:29], v[28:29], v[30:31], v[32:33]
	v_add_f64 v[11:12], v[11:12], v[26:27]
	v_add_f64 v[13:14], v[13:14], v[28:29]
	s_or_b64 exec, exec, s[14:15]
	v_cmp_gt_u32_e64 s[10:11], 8, v1
	s_and_saveexec_b64 s[14:15], s[10:11]
	s_cbranch_execnz .LBB180_394
	s_branch .LBB180_395
.LBB180_572:
	v_lshlrev_b32_e32 v22, 4, v22
	v_sub_u32_e32 v22, v23, v22
	v_lshl_add_u32 v21, v21, 4, v22
	ds_read_b128 v[24:27], v23 offset:12688
	ds_read_b128 v[28:31], v21 offset:13248
	s_waitcnt lgkmcnt(0)
	v_mul_f64 v[21:22], v[26:27], v[30:31]
	v_mul_f64 v[30:31], v[24:25], v[30:31]
	v_fma_f64 v[21:22], v[24:25], v[28:29], -v[21:22]
	v_fma_f64 v[24:25], v[26:27], v[28:29], v[30:31]
	v_add_f64 v[11:12], v[11:12], v[21:22]
	v_add_f64 v[13:14], v[13:14], v[24:25]
	s_or_b64 exec, exec, s[12:13]
	v_cmp_gt_u32_e64 s[8:9], 8, v1
	s_and_saveexec_b64 s[12:13], s[8:9]
	s_cbranch_execz .LBB180_451
.LBB180_573:
	ds_read_b128 v[21:24], v23 offset:12704
	ds_read_b128 v[25:28], v18 offset:13760
	s_waitcnt lgkmcnt(0)
	v_mul_f64 v[29:30], v[23:24], v[27:28]
	v_mul_f64 v[27:28], v[21:22], v[27:28]
	v_fma_f64 v[21:22], v[21:22], v[25:26], -v[29:30]
	v_fma_f64 v[23:24], v[23:24], v[25:26], v[27:28]
	v_add_f64 v[11:12], v[11:12], v[21:22]
	v_add_f64 v[13:14], v[13:14], v[23:24]
	s_or_b64 exec, exec, s[12:13]
	v_cmp_gt_u32_e64 s[8:9], 4, v1
	s_and_saveexec_b64 s[12:13], s[8:9]
	s_cbranch_execnz .LBB180_452
	s_branch .LBB180_453
	.section	.rodata,"a",@progbits
	.p2align	6, 0x0
	.amdhsa_kernel _ZL19rocblas_trsv_deviceILi32ELi16ELb1ELb1ELb1ELb0E19rocblas_complex_numIdEPKS1_PKS3_PKPS1_EviT7_lllT6_T8_lllPii
		.amdhsa_group_segment_fixed_size 25104
		.amdhsa_private_segment_fixed_size 0
		.amdhsa_kernarg_size 352
		.amdhsa_user_sgpr_count 6
		.amdhsa_user_sgpr_private_segment_buffer 1
		.amdhsa_user_sgpr_dispatch_ptr 0
		.amdhsa_user_sgpr_queue_ptr 0
		.amdhsa_user_sgpr_kernarg_segment_ptr 1
		.amdhsa_user_sgpr_dispatch_id 0
		.amdhsa_user_sgpr_flat_scratch_init 0
		.amdhsa_user_sgpr_private_segment_size 0
		.amdhsa_uses_dynamic_stack 0
		.amdhsa_system_sgpr_private_segment_wavefront_offset 0
		.amdhsa_system_sgpr_workgroup_id_x 1
		.amdhsa_system_sgpr_workgroup_id_y 0
		.amdhsa_system_sgpr_workgroup_id_z 1
		.amdhsa_system_sgpr_workgroup_info 0
		.amdhsa_system_vgpr_workitem_id 1
		.amdhsa_next_free_vgpr 49
		.amdhsa_next_free_sgpr 98
		.amdhsa_reserve_vcc 1
		.amdhsa_reserve_flat_scratch 0
		.amdhsa_float_round_mode_32 0
		.amdhsa_float_round_mode_16_64 0
		.amdhsa_float_denorm_mode_32 3
		.amdhsa_float_denorm_mode_16_64 3
		.amdhsa_dx10_clamp 1
		.amdhsa_ieee_mode 1
		.amdhsa_fp16_overflow 0
		.amdhsa_exception_fp_ieee_invalid_op 0
		.amdhsa_exception_fp_denorm_src 0
		.amdhsa_exception_fp_ieee_div_zero 0
		.amdhsa_exception_fp_ieee_overflow 0
		.amdhsa_exception_fp_ieee_underflow 0
		.amdhsa_exception_fp_ieee_inexact 0
		.amdhsa_exception_int_div_zero 0
	.end_amdhsa_kernel
	.section	.text._ZL19rocblas_trsv_deviceILi32ELi16ELb1ELb1ELb1ELb0E19rocblas_complex_numIdEPKS1_PKS3_PKPS1_EviT7_lllT6_T8_lllPii,"axG",@progbits,_ZL19rocblas_trsv_deviceILi32ELi16ELb1ELb1ELb1ELb0E19rocblas_complex_numIdEPKS1_PKS3_PKPS1_EviT7_lllT6_T8_lllPii,comdat
.Lfunc_end180:
	.size	_ZL19rocblas_trsv_deviceILi32ELi16ELb1ELb1ELb1ELb0E19rocblas_complex_numIdEPKS1_PKS3_PKPS1_EviT7_lllT6_T8_lllPii, .Lfunc_end180-_ZL19rocblas_trsv_deviceILi32ELi16ELb1ELb1ELb1ELb0E19rocblas_complex_numIdEPKS1_PKS3_PKPS1_EviT7_lllT6_T8_lllPii
                                        ; -- End function
	.set _ZL19rocblas_trsv_deviceILi32ELi16ELb1ELb1ELb1ELb0E19rocblas_complex_numIdEPKS1_PKS3_PKPS1_EviT7_lllT6_T8_lllPii.num_vgpr, 44
	.set _ZL19rocblas_trsv_deviceILi32ELi16ELb1ELb1ELb1ELb0E19rocblas_complex_numIdEPKS1_PKS3_PKPS1_EviT7_lllT6_T8_lllPii.num_agpr, 0
	.set _ZL19rocblas_trsv_deviceILi32ELi16ELb1ELb1ELb1ELb0E19rocblas_complex_numIdEPKS1_PKS3_PKPS1_EviT7_lllT6_T8_lllPii.numbered_sgpr, 96
	.set _ZL19rocblas_trsv_deviceILi32ELi16ELb1ELb1ELb1ELb0E19rocblas_complex_numIdEPKS1_PKS3_PKPS1_EviT7_lllT6_T8_lllPii.num_named_barrier, 0
	.set _ZL19rocblas_trsv_deviceILi32ELi16ELb1ELb1ELb1ELb0E19rocblas_complex_numIdEPKS1_PKS3_PKPS1_EviT7_lllT6_T8_lllPii.private_seg_size, 0
	.set _ZL19rocblas_trsv_deviceILi32ELi16ELb1ELb1ELb1ELb0E19rocblas_complex_numIdEPKS1_PKS3_PKPS1_EviT7_lllT6_T8_lllPii.uses_vcc, 1
	.set _ZL19rocblas_trsv_deviceILi32ELi16ELb1ELb1ELb1ELb0E19rocblas_complex_numIdEPKS1_PKS3_PKPS1_EviT7_lllT6_T8_lllPii.uses_flat_scratch, 0
	.set _ZL19rocblas_trsv_deviceILi32ELi16ELb1ELb1ELb1ELb0E19rocblas_complex_numIdEPKS1_PKS3_PKPS1_EviT7_lllT6_T8_lllPii.has_dyn_sized_stack, 0
	.set _ZL19rocblas_trsv_deviceILi32ELi16ELb1ELb1ELb1ELb0E19rocblas_complex_numIdEPKS1_PKS3_PKPS1_EviT7_lllT6_T8_lllPii.has_recursion, 0
	.set _ZL19rocblas_trsv_deviceILi32ELi16ELb1ELb1ELb1ELb0E19rocblas_complex_numIdEPKS1_PKS3_PKPS1_EviT7_lllT6_T8_lllPii.has_indirect_call, 0
	.section	.AMDGPU.csdata,"",@progbits
; Kernel info:
; codeLenInByte = 27800
; TotalNumSgprs: 100
; NumVgprs: 44
; ScratchSize: 0
; MemoryBound: 1
; FloatMode: 240
; IeeeMode: 1
; LDSByteSize: 25104 bytes/workgroup (compile time only)
; SGPRBlocks: 12
; VGPRBlocks: 12
; NumSGPRsForWavesPerEU: 102
; NumVGPRsForWavesPerEU: 49
; Occupancy: 4
; WaveLimiterHint : 1
; COMPUTE_PGM_RSRC2:SCRATCH_EN: 0
; COMPUTE_PGM_RSRC2:USER_SGPR: 6
; COMPUTE_PGM_RSRC2:TRAP_HANDLER: 0
; COMPUTE_PGM_RSRC2:TGID_X_EN: 1
; COMPUTE_PGM_RSRC2:TGID_Y_EN: 0
; COMPUTE_PGM_RSRC2:TGID_Z_EN: 1
; COMPUTE_PGM_RSRC2:TIDIG_COMP_CNT: 1
	.section	.text._ZL19rocblas_trsv_deviceILi32ELi16ELb0ELb0ELb0ELb1E19rocblas_complex_numIdES1_PKPKS1_PKPS1_EviT7_lllT6_T8_lllPii,"axG",@progbits,_ZL19rocblas_trsv_deviceILi32ELi16ELb0ELb0ELb0ELb1E19rocblas_complex_numIdES1_PKPKS1_PKPS1_EviT7_lllT6_T8_lllPii,comdat
	.globl	_ZL19rocblas_trsv_deviceILi32ELi16ELb0ELb0ELb0ELb1E19rocblas_complex_numIdES1_PKPKS1_PKPS1_EviT7_lllT6_T8_lllPii ; -- Begin function _ZL19rocblas_trsv_deviceILi32ELi16ELb0ELb0ELb0ELb1E19rocblas_complex_numIdES1_PKPKS1_PKPS1_EviT7_lllT6_T8_lllPii
	.p2align	8
	.type	_ZL19rocblas_trsv_deviceILi32ELi16ELb0ELb0ELb0ELb1E19rocblas_complex_numIdES1_PKPKS1_PKPS1_EviT7_lllT6_T8_lllPii,@function
_ZL19rocblas_trsv_deviceILi32ELi16ELb0ELb0ELb0ELb1E19rocblas_complex_numIdES1_PKPKS1_PKPS1_EviT7_lllT6_T8_lllPii: ; @_ZL19rocblas_trsv_deviceILi32ELi16ELb0ELb0ELb0ELb1E19rocblas_complex_numIdES1_PKPKS1_PKPS1_EviT7_lllT6_T8_lllPii
; %bb.0:
	s_load_dwordx4 s[0:3], s[4:5], 0x8
	s_mov_b32 s24, s7
	s_mov_b32 s25, 0
	s_lshl_b64 s[8:9], s[24:25], 3
	s_waitcnt lgkmcnt(0)
	s_add_u32 s0, s0, s8
	s_addc_u32 s1, s1, s9
	s_load_dwordx2 s[10:11], s[0:1], 0x0
	s_load_dword s26, s[4:5], 0x0
	s_load_dwordx8 s[16:23], s[4:5], 0x28
	s_load_dwordx2 s[28:29], s[4:5], 0x18
	s_lshl_b64 s[0:1], s[2:3], 4
	s_waitcnt lgkmcnt(0)
	s_add_u32 s87, s10, s0
	s_addc_u32 s88, s11, s1
	s_add_u32 s0, s20, s8
	s_load_dword s7, s[4:5], 0x68
	s_addc_u32 s1, s21, s9
	s_load_dwordx2 s[34:35], s[0:1], 0x0
	s_load_dwordx2 s[20:21], s[4:5], 0x48
	s_load_dword s89, s[4:5], 0x74
	s_waitcnt lgkmcnt(0)
	s_add_i32 s7, s7, -1
	s_sub_i32 s33, s7, s6
	s_cmp_eq_u32 s6, 0
	s_cbranch_scc1 .LBB181_6
; %bb.1:
	s_lshl_b32 s2, s33, 5
	v_add3_u32 v6, v1, s2, 32
	v_ashrrev_i32_e32 v2, 31, v6
	v_mul_lo_u32 v7, s28, v2
	v_mul_lo_u32 v8, s29, v6
	v_mad_u64_u32 v[2:3], s[0:1], s28, v6, 0
	v_add_u32_e32 v4, s2, v0
	v_ashrrev_i32_e32 v5, 31, v4
	v_add3_u32 v3, v3, v7, v8
	v_lshlrev_b64 v[2:3], 4, v[2:3]
	v_mov_b32_e32 v7, s88
	v_add_co_u32_e64 v8, s[0:1], s87, v2
	v_addc_co_u32_e64 v7, s[0:1], v7, v3, s[0:1]
	v_lshlrev_b64 v[2:3], 4, v[4:5]
	v_cmp_gt_i32_e32 vcc, s26, v4
	v_add_co_u32_e64 v10, s[0:1], v8, v2
	v_addc_co_u32_e64 v11, s[0:1], v7, v3, s[0:1]
	v_cmp_gt_i32_e64 s[0:1], s26, v6
	v_mov_b32_e32 v8, 0
	v_mov_b32_e32 v2, 0
	;; [unrolled: 1-line block ×6, first 2 shown]
	s_and_b64 s[2:3], vcc, s[0:1]
	s_barrier
	s_and_saveexec_b64 s[0:1], s[2:3]
	s_cbranch_execz .LBB181_3
; %bb.2:
	flat_load_dwordx4 v[2:5], v[10:11]
.LBB181_3:
	s_or_b64 exec, exec, s[0:1]
	v_add_u32_e32 v6, 16, v6
	v_cmp_gt_i32_e64 s[0:1], s26, v6
	v_mov_b32_e32 v6, 0
	v_mov_b32_e32 v7, 0
	s_and_b64 s[2:3], vcc, s[0:1]
	s_waitcnt vmcnt(0) lgkmcnt(0)
	s_barrier
	s_and_saveexec_b64 s[0:1], s[2:3]
	s_cbranch_execz .LBB181_5
; %bb.4:
	s_lshl_b64 s[2:3], s[28:29], 8
	v_mov_b32_e32 v7, s3
	v_add_co_u32_e32 v6, vcc, s2, v10
	v_addc_co_u32_e32 v7, vcc, v11, v7, vcc
	flat_load_dwordx4 v[6:9], v[6:7]
.LBB181_5:
	s_or_b64 exec, exec, s[0:1]
	s_branch .LBB181_7
.LBB181_6:
                                        ; implicit-def: $vgpr8_vgpr9
                                        ; implicit-def: $vgpr4_vgpr5
.LBB181_7:
	s_ashr_i32 s27, s26, 31
	s_lshr_b32 s0, s27, 27
	s_add_i32 s0, s26, s0
	s_andn2_b32 s0, s0, 31
	s_sub_i32 s86, s26, s0
	s_add_i32 s0, s26, -1
	s_ashr_i32 s1, s0, 31
	s_lshr_b32 s1, s1, 27
	s_add_i32 s0, s0, s1
	s_ashr_i32 s0, s0, 5
	s_cmp_eq_u32 s0, s33
	s_cselect_b64 s[0:1], -1, 0
	s_cmp_lg_u32 s86, 0
	s_cselect_b64 s[2:3], -1, 0
	s_and_b64 s[30:31], s[2:3], s[0:1]
	s_mov_b64 s[2:3], -1
	s_and_b64 vcc, exec, s[30:31]
	v_cmp_le_u32_e64 s[0:1], v1, v0
	v_lshl_add_u32 v21, v1, 5, v0
	s_cbranch_vccnz .LBB181_21
; %bb.8:
	s_add_u32 s2, s28, 1
	s_addc_u32 s3, s29, 0
	s_lshl_b32 s8, s33, 5
	s_ashr_i32 s9, s8, 31
	s_mul_hi_u32 s10, s2, s8
	s_mul_i32 s9, s2, s9
	s_add_i32 s9, s10, s9
	s_mul_i32 s3, s3, s8
	s_add_i32 s3, s9, s3
	s_mul_i32 s2, s2, s8
	s_lshl_b64 s[2:3], s[2:3], 4
	s_add_u32 s2, s87, s2
	s_addc_u32 s3, s88, s3
	v_lshlrev_b32_e32 v10, 4, v0
	v_mov_b32_e32 v11, s3
	v_add_co_u32_e32 v10, vcc, s2, v10
	v_addc_co_u32_e32 v11, vcc, 0, v11, vcc
	s_and_saveexec_b64 s[2:3], s[0:1]
	s_xor_b64 s[0:1], exec, s[2:3]
	s_cbranch_execz .LBB181_12
; %bb.9:
	v_or_b32_e32 v12, v1, v0
	v_cmp_gt_u32_e32 vcc, 32, v12
	s_and_saveexec_b64 s[2:3], vcc
	s_cbranch_execz .LBB181_11
; %bb.10:
	v_mov_b32_e32 v12, 0
	v_lshlrev_b32_e32 v16, 4, v21
	v_mov_b32_e32 v13, v12
	v_mov_b32_e32 v14, v12
	;; [unrolled: 1-line block ×3, first 2 shown]
	ds_write_b128 v16, v[12:15]
.LBB181_11:
	s_or_b64 exec, exec, s[2:3]
.LBB181_12:
	s_andn2_saveexec_b64 s[0:1], s[0:1]
	s_cbranch_execz .LBB181_14
; %bb.13:
	v_mad_u64_u32 v[12:13], s[2:3], s28, v1, 0
	v_lshlrev_b32_e32 v16, 4, v21
	v_mad_u64_u32 v[13:14], s[2:3], s29, v1, v[13:14]
	v_lshlrev_b64 v[12:13], 4, v[12:13]
	v_add_co_u32_e32 v12, vcc, v10, v12
	v_addc_co_u32_e32 v13, vcc, v11, v13, vcc
	flat_load_dwordx4 v[12:15], v[12:13]
	s_waitcnt vmcnt(0) lgkmcnt(0)
	v_xor_b32_e32 v13, 0x80000000, v13
	v_xor_b32_e32 v15, 0x80000000, v15
	ds_write_b128 v16, v[12:15]
.LBB181_14:
	s_or_b64 exec, exec, s[0:1]
	v_add_u32_e32 v13, 16, v1
	v_lshl_add_u32 v12, v13, 5, v0
	v_cmp_le_u32_e32 vcc, v13, v0
	s_and_saveexec_b64 s[0:1], vcc
	s_xor_b64 s[0:1], exec, s[0:1]
	s_cbranch_execz .LBB181_18
; %bb.15:
	v_or_b32_e32 v10, v13, v0
	v_cmp_gt_u32_e32 vcc, 32, v10
	s_and_saveexec_b64 s[2:3], vcc
	s_cbranch_execz .LBB181_17
; %bb.16:
	v_mov_b32_e32 v10, 0
	v_lshlrev_b32_e32 v14, 4, v12
	v_mov_b32_e32 v11, v10
	v_mov_b32_e32 v12, v10
	;; [unrolled: 1-line block ×3, first 2 shown]
	ds_write_b128 v14, v[10:13]
.LBB181_17:
	s_or_b64 exec, exec, s[2:3]
                                        ; implicit-def: $vgpr13
                                        ; implicit-def: $vgpr10
                                        ; implicit-def: $vgpr11
                                        ; implicit-def: $vgpr12
.LBB181_18:
	s_andn2_saveexec_b64 s[0:1], s[0:1]
	s_cbranch_execz .LBB181_20
; %bb.19:
	v_mad_u64_u32 v[14:15], s[2:3], s28, v13, 0
	v_mad_u64_u32 v[15:16], s[2:3], s29, v13, v[15:16]
	v_lshlrev_b64 v[13:14], 4, v[14:15]
	v_add_co_u32_e32 v10, vcc, v10, v13
	v_addc_co_u32_e32 v11, vcc, v11, v14, vcc
	flat_load_dwordx4 v[13:16], v[10:11]
	v_lshlrev_b32_e32 v10, 4, v12
	s_waitcnt vmcnt(0) lgkmcnt(0)
	v_xor_b32_e32 v14, 0x80000000, v14
	v_xor_b32_e32 v16, 0x80000000, v16
	ds_write_b128 v10, v[13:16]
.LBB181_20:
	s_or_b64 exec, exec, s[0:1]
	s_mov_b64 s[2:3], 0
.LBB181_21:
	s_and_b64 vcc, exec, s[2:3]
	s_cbranch_vccz .LBB181_35
; %bb.22:
	s_add_u32 s0, s28, 1
	s_addc_u32 s1, s29, 0
	s_lshl_b32 s2, s33, 5
	s_ashr_i32 s3, s2, 31
	s_mul_hi_u32 s8, s0, s2
	s_mul_i32 s3, s0, s3
	s_add_i32 s3, s8, s3
	s_mul_i32 s1, s1, s2
	s_add_i32 s1, s3, s1
	s_mul_i32 s0, s0, s2
	s_lshl_b64 s[0:1], s[0:1], 4
	s_add_u32 s0, s87, s0
	s_addc_u32 s1, s88, s1
	v_lshlrev_b32_e32 v10, 4, v0
	v_mov_b32_e32 v11, s1
	v_add_co_u32_e64 v10, s[0:1], s0, v10
	v_addc_co_u32_e64 v11, s[0:1], 0, v11, s[0:1]
	v_max_i32_e32 v12, v1, v0
	v_cmp_le_u32_e64 s[0:1], v1, v0
	v_cmp_le_i32_e64 s[2:3], s86, v12
	v_cmp_gt_i32_e32 vcc, s86, v0
	s_or_b64 s[0:1], s[2:3], s[0:1]
	s_and_saveexec_b64 s[2:3], s[0:1]
	s_xor_b64 s[2:3], exec, s[2:3]
	s_cbranch_execz .LBB181_26
; %bb.23:
	v_or_b32_e32 v12, v1, v0
	v_cmp_gt_u32_e64 s[0:1], 32, v12
	s_and_saveexec_b64 s[8:9], s[0:1]
	s_cbranch_execz .LBB181_25
; %bb.24:
	v_mov_b32_e32 v12, 0
	v_lshlrev_b32_e32 v16, 4, v21
	v_mov_b32_e32 v13, v12
	v_mov_b32_e32 v14, v12
	;; [unrolled: 1-line block ×3, first 2 shown]
	ds_write_b128 v16, v[12:15]
.LBB181_25:
	s_or_b64 exec, exec, s[8:9]
.LBB181_26:
	s_andn2_saveexec_b64 s[2:3], s[2:3]
	s_cbranch_execz .LBB181_28
; %bb.27:
	v_mad_u64_u32 v[12:13], s[0:1], s28, v1, 0
	v_lshlrev_b32_e32 v16, 4, v21
	v_mad_u64_u32 v[13:14], s[0:1], s29, v1, v[13:14]
	v_lshlrev_b64 v[12:13], 4, v[12:13]
	v_add_co_u32_e64 v12, s[0:1], v10, v12
	v_addc_co_u32_e64 v13, s[0:1], v11, v13, s[0:1]
	flat_load_dwordx4 v[12:15], v[12:13]
	s_waitcnt vmcnt(0) lgkmcnt(0)
	v_xor_b32_e32 v13, 0x80000000, v13
	v_xor_b32_e32 v15, 0x80000000, v15
	ds_write_b128 v16, v[12:15]
.LBB181_28:
	s_or_b64 exec, exec, s[2:3]
	v_add_u32_e32 v13, 16, v1
	v_cmp_gt_u32_e64 s[0:1], v13, v0
	v_cmp_gt_i32_e64 s[2:3], s86, v13
	s_and_b64 s[0:1], s[0:1], s[2:3]
	s_and_b64 s[0:1], s[0:1], vcc
	v_lshl_add_u32 v12, v13, 5, v0
	s_xor_b64 s[0:1], s[0:1], -1
	s_and_saveexec_b64 s[2:3], s[0:1]
	s_xor_b64 s[0:1], exec, s[2:3]
	s_cbranch_execz .LBB181_32
; %bb.29:
	v_or_b32_e32 v10, v13, v0
	v_cmp_gt_u32_e32 vcc, 32, v10
	s_and_saveexec_b64 s[2:3], vcc
	s_cbranch_execz .LBB181_31
; %bb.30:
	v_mov_b32_e32 v10, 0
	v_lshlrev_b32_e32 v14, 4, v12
	v_mov_b32_e32 v11, v10
	v_mov_b32_e32 v12, v10
	;; [unrolled: 1-line block ×3, first 2 shown]
	ds_write_b128 v14, v[10:13]
.LBB181_31:
	s_or_b64 exec, exec, s[2:3]
                                        ; implicit-def: $vgpr13
                                        ; implicit-def: $vgpr10
                                        ; implicit-def: $vgpr11
                                        ; implicit-def: $vgpr12
.LBB181_32:
	s_andn2_saveexec_b64 s[0:1], s[0:1]
	s_cbranch_execz .LBB181_34
; %bb.33:
	v_mad_u64_u32 v[14:15], s[2:3], s28, v13, 0
	v_mad_u64_u32 v[15:16], s[2:3], s29, v13, v[15:16]
	v_lshlrev_b64 v[13:14], 4, v[14:15]
	v_add_co_u32_e32 v10, vcc, v10, v13
	v_addc_co_u32_e32 v11, vcc, v11, v14, vcc
	flat_load_dwordx4 v[13:16], v[10:11]
	v_lshlrev_b32_e32 v10, 4, v12
	s_waitcnt vmcnt(0) lgkmcnt(0)
	v_xor_b32_e32 v14, 0x80000000, v14
	v_xor_b32_e32 v16, 0x80000000, v16
	ds_write_b128 v10, v[13:16]
.LBB181_34:
	s_or_b64 exec, exec, s[0:1]
.LBB181_35:
	s_cmp_lt_i32 s6, 5
	s_cselect_b64 s[0:1], -1, 0
	s_or_b64 s[36:37], s[0:1], s[30:31]
	s_and_b64 vcc, exec, s[36:37]
	s_waitcnt vmcnt(0) lgkmcnt(0)
	s_barrier
	s_cbranch_vccnz .LBB181_429
; %bb.36:
	v_or_b32_e32 v10, v0, v1
	s_mov_b32 s0, 0
	v_cmp_eq_u32_e32 vcc, 0, v10
	s_and_saveexec_b64 s[8:9], vcc
	s_cbranch_execz .LBB181_38
; %bb.37:
	s_mov_b32 s3, s0
	s_mov_b32 s1, 0x3ff00000
	;; [unrolled: 1-line block ×3, first 2 shown]
	v_mov_b32_e32 v13, s3
	v_mov_b32_e32 v14, 0
	;; [unrolled: 1-line block ×5, first 2 shown]
	ds_write_b128 v14, v[10:13] offset:15840
	ds_write_b128 v14, v[10:13] offset:16368
.LBB181_38:
	s_or_b64 exec, exec, s[8:9]
	v_lshlrev_b32_e32 v10, 5, v1
	v_add_u32_e32 v17, v10, v0
	v_add_u16_e32 v10, v10, v0
	v_lshrrev_b16_e32 v16, 1, v10
	v_mov_b32_e32 v10, 0
	v_mov_b32_e32 v12, 0
	v_and_b32_e32 v14, 1, v0
	v_sub_u32_e32 v15, 1, v16
	v_cmp_lt_u32_e64 s[2:3], 3, v17
	v_mov_b32_e32 v11, 0
	v_mov_b32_e32 v13, 0
	v_cmp_gt_u32_e64 s[0:1], 4, v17
	s_waitcnt lgkmcnt(0)
	s_barrier
	buffer_wbinvl1_vol
	s_and_saveexec_b64 s[10:11], s[0:1]
	s_cbranch_execz .LBB181_42
; %bb.39:
	v_lshlrev_b32_e32 v10, 9, v15
	v_lshlrev_b32_e32 v18, 4, v14
	ds_read_b128 v[10:13], v10 offset:15840
	ds_read_b128 v[22:25], v18 offset:15808
	v_cmp_gt_u32_e64 s[8:9], 2, v17
	s_waitcnt lgkmcnt(0)
	v_mul_f64 v[18:19], v[12:13], v[24:25]
	v_mul_f64 v[24:25], v[10:11], v[24:25]
	v_fma_f64 v[10:11], v[10:11], v[22:23], -v[18:19]
	v_fma_f64 v[12:13], v[12:13], v[22:23], v[24:25]
	v_add_f64 v[10:11], v[10:11], 0
	v_add_f64 v[12:13], v[12:13], 0
	s_and_saveexec_b64 s[12:13], s[8:9]
	s_cbranch_execz .LBB181_41
; %bb.40:
	v_mov_b32_e32 v19, 0
	v_lshlrev_b32_e32 v18, 4, v0
	ds_read_b128 v[22:25], v19 offset:16368
	ds_read_b128 v[26:29], v18 offset:16320
	s_waitcnt lgkmcnt(0)
	v_mul_f64 v[18:19], v[24:25], v[28:29]
	v_mul_f64 v[28:29], v[22:23], v[28:29]
	v_fma_f64 v[18:19], v[22:23], v[26:27], -v[18:19]
	v_fma_f64 v[22:23], v[24:25], v[26:27], v[28:29]
	v_add_f64 v[10:11], v[10:11], v[18:19]
	v_add_f64 v[12:13], v[12:13], v[22:23]
.LBB181_41:
	s_or_b64 exec, exec, s[12:13]
.LBB181_42:
	s_or_b64 exec, exec, s[10:11]
	v_mov_b32_e32 v18, 0x4000
	v_cmp_ne_u32_e64 s[8:9], 0, v14
	s_xor_b64 s[10:11], s[2:3], -1
	v_lshl_add_u32 v16, v16, 4, v18
	s_and_b64 s[40:41], s[8:9], s[10:11]
	s_and_saveexec_b64 s[2:3], s[40:41]
; %bb.43:
	v_xor_b32_e32 v23, 0x80000000, v11
	v_xor_b32_e32 v25, 0x80000000, v13
	v_mov_b32_e32 v22, v10
	v_mov_b32_e32 v24, v12
	ds_write_b128 v16, v[22:25]
; %bb.44:
	s_or_b64 exec, exec, s[2:3]
	v_cmp_eq_u32_e64 s[2:3], 0, v14
	s_and_b64 s[38:39], s[2:3], s[10:11]
	s_waitcnt lgkmcnt(0)
	s_barrier
	s_and_saveexec_b64 s[2:3], s[38:39]
	s_cbranch_execz .LBB181_46
; %bb.45:
	v_mov_b32_e32 v18, 0
	ds_read_b128 v[22:25], v16
	ds_read_b128 v[26:29], v18 offset:15296
	s_waitcnt lgkmcnt(0)
	v_mul_f64 v[18:19], v[22:23], v[26:27]
	v_mul_f64 v[22:23], v[22:23], v[28:29]
	v_fma_f64 v[18:19], v[24:25], v[28:29], -v[18:19]
	v_fma_f64 v[22:23], v[24:25], v[26:27], v[22:23]
	v_add_f64 v[10:11], v[10:11], v[18:19]
	v_add_f64 v[12:13], v[12:13], -v[22:23]
.LBB181_46:
	s_or_b64 exec, exec, s[2:3]
	s_barrier
	s_and_saveexec_b64 s[2:3], s[38:39]
; %bb.47:
	v_xor_b32_e32 v23, 0x80000000, v11
	v_xor_b32_e32 v25, 0x80000000, v13
	v_mov_b32_e32 v22, v10
	v_mov_b32_e32 v24, v12
	ds_write_b128 v16, v[22:25]
; %bb.48:
	s_or_b64 exec, exec, s[2:3]
	s_waitcnt lgkmcnt(0)
	s_barrier
	s_barrier
	s_and_saveexec_b64 s[2:3], s[0:1]
; %bb.49:
	v_lshlrev_b32_e32 v18, 4, v14
	v_lshl_or_b32 v18, v15, 9, v18
	ds_write_b128 v18, v[10:13] offset:15808
; %bb.50:
	s_or_b64 exec, exec, s[2:3]
	s_waitcnt lgkmcnt(0)
	s_barrier
	s_barrier
	s_and_saveexec_b64 s[2:3], vcc
	s_cbranch_execz .LBB181_52
; %bb.51:
	s_mov_b32 s8, 0
	s_mov_b32 s11, s8
	s_mov_b32 s9, 0x3ff00000
	s_mov_b32 s10, s8
	v_mov_b32_e32 v13, s11
	v_mov_b32_e32 v18, 0
	;; [unrolled: 1-line block ×5, first 2 shown]
	ds_write_b128 v18, v[10:13] offset:14784
	ds_write_b128 v18, v[10:13] offset:15312
.LBB181_52:
	s_or_b64 exec, exec, s[2:3]
	v_lshrrev_b32_e32 v20, 2, v17
	v_mov_b32_e32 v12, 0
	v_mov_b32_e32 v10, 0
	v_and_b32_e32 v18, 3, v0
	v_sub_u32_e32 v19, 3, v20
	v_cmp_lt_u32_e64 s[8:9], 15, v17
	v_mov_b32_e32 v13, 0
	v_mov_b32_e32 v11, 0
	v_cmp_gt_u32_e64 s[2:3], 16, v17
	s_waitcnt lgkmcnt(0)
	s_barrier
	buffer_wbinvl1_vol
	s_and_saveexec_b64 s[12:13], s[2:3]
	s_cbranch_execz .LBB181_58
; %bb.53:
	v_lshlrev_b32_e32 v23, 9, v19
	v_lshlrev_b32_e32 v22, 4, v18
	ds_read_b128 v[10:13], v23 offset:14784
	ds_read_b128 v[24:27], v22 offset:14720
	v_cmp_gt_u32_e64 s[10:11], 12, v17
	s_waitcnt lgkmcnt(0)
	v_mul_f64 v[28:29], v[12:13], v[26:27]
	v_mul_f64 v[26:27], v[10:11], v[26:27]
	v_fma_f64 v[10:11], v[10:11], v[24:25], -v[28:29]
	v_fma_f64 v[12:13], v[12:13], v[24:25], v[26:27]
	v_add_f64 v[10:11], v[10:11], 0
	v_add_f64 v[12:13], v[12:13], 0
	s_and_saveexec_b64 s[14:15], s[10:11]
	s_cbranch_execnz .LBB181_487
; %bb.54:
	s_or_b64 exec, exec, s[14:15]
	v_cmp_gt_u32_e64 s[10:11], 8, v17
	s_and_saveexec_b64 s[14:15], s[10:11]
	s_cbranch_execnz .LBB181_488
.LBB181_55:
	s_or_b64 exec, exec, s[14:15]
	v_cmp_gt_u32_e64 s[10:11], 4, v17
	s_and_saveexec_b64 s[14:15], s[10:11]
	s_cbranch_execz .LBB181_57
.LBB181_56:
	v_lshlrev_b32_e32 v26, 4, v0
	v_mov_b32_e32 v22, 0
	ds_read_b128 v[22:25], v22 offset:16368
	ds_read_b128 v[26:29], v26 offset:16256
	s_waitcnt lgkmcnt(0)
	v_mul_f64 v[30:31], v[24:25], v[28:29]
	v_mul_f64 v[28:29], v[22:23], v[28:29]
	v_fma_f64 v[22:23], v[22:23], v[26:27], -v[30:31]
	v_fma_f64 v[24:25], v[24:25], v[26:27], v[28:29]
	v_add_f64 v[10:11], v[10:11], v[22:23]
	v_add_f64 v[12:13], v[12:13], v[24:25]
.LBB181_57:
	s_or_b64 exec, exec, s[14:15]
.LBB181_58:
	s_or_b64 exec, exec, s[12:13]
	v_mov_b32_e32 v22, 0x4000
	v_cmp_eq_u32_e64 s[10:11], 3, v18
	s_xor_b64 s[12:13], s[8:9], -1
	v_lshl_add_u32 v20, v20, 4, v22
	s_and_b64 s[44:45], s[10:11], s[12:13]
	s_and_saveexec_b64 s[8:9], s[44:45]
; %bb.59:
	v_xor_b32_e32 v25, 0x80000000, v13
	v_xor_b32_e32 v23, 0x80000000, v11
	v_mov_b32_e32 v22, v10
	v_mov_b32_e32 v24, v12
	ds_write_b128 v20, v[22:25]
; %bb.60:
	s_or_b64 exec, exec, s[8:9]
	v_cmp_ne_u32_e64 s[8:9], 3, v18
	s_and_b64 s[46:47], s[8:9], s[12:13]
	s_waitcnt lgkmcnt(0)
	s_barrier
	s_and_saveexec_b64 s[8:9], s[46:47]
	s_cbranch_execz .LBB181_62
; %bb.61:
	v_lshlrev_b32_e32 v26, 4, v18
	ds_read_b128 v[22:25], v20
	ds_read_b128 v[26:29], v26 offset:14208
	s_waitcnt lgkmcnt(0)
	v_mul_f64 v[30:31], v[24:25], v[28:29]
	v_mul_f64 v[28:29], v[22:23], v[28:29]
	v_fma_f64 v[22:23], v[22:23], v[26:27], -v[30:31]
	v_fma_f64 v[24:25], v[24:25], v[26:27], v[28:29]
	v_add_f64 v[10:11], v[10:11], -v[22:23]
	v_add_f64 v[12:13], v[12:13], -v[24:25]
.LBB181_62:
	s_or_b64 exec, exec, s[8:9]
	v_cmp_eq_u32_e64 s[8:9], 2, v18
	s_and_b64 s[48:49], s[8:9], s[12:13]
	s_barrier
	s_and_saveexec_b64 s[8:9], s[48:49]
; %bb.63:
	v_xor_b32_e32 v25, 0x80000000, v13
	v_xor_b32_e32 v23, 0x80000000, v11
	v_mov_b32_e32 v22, v10
	v_mov_b32_e32 v24, v12
	ds_write_b128 v20, v[22:25]
; %bb.64:
	s_or_b64 exec, exec, s[8:9]
	v_cmp_gt_u32_e64 s[8:9], 2, v18
	s_and_b64 s[50:51], s[8:9], s[12:13]
	s_waitcnt lgkmcnt(0)
	s_barrier
	s_and_saveexec_b64 s[8:9], s[50:51]
	s_cbranch_execz .LBB181_66
; %bb.65:
	v_lshlrev_b32_e32 v26, 4, v18
	ds_read_b128 v[22:25], v20
	ds_read_b128 v[26:29], v26 offset:13696
	s_waitcnt lgkmcnt(0)
	v_mul_f64 v[30:31], v[24:25], v[28:29]
	v_mul_f64 v[28:29], v[22:23], v[28:29]
	v_fma_f64 v[22:23], v[22:23], v[26:27], -v[30:31]
	v_fma_f64 v[24:25], v[24:25], v[26:27], v[28:29]
	v_add_f64 v[10:11], v[10:11], -v[22:23]
	v_add_f64 v[12:13], v[12:13], -v[24:25]
.LBB181_66:
	s_or_b64 exec, exec, s[8:9]
	v_cmp_eq_u32_e64 s[8:9], 1, v18
	s_and_b64 s[52:53], s[8:9], s[12:13]
	s_barrier
	s_and_saveexec_b64 s[8:9], s[52:53]
; %bb.67:
	v_xor_b32_e32 v25, 0x80000000, v13
	v_xor_b32_e32 v23, 0x80000000, v11
	v_mov_b32_e32 v22, v10
	v_mov_b32_e32 v24, v12
	ds_write_b128 v20, v[22:25]
; %bb.68:
	s_or_b64 exec, exec, s[8:9]
	v_cmp_eq_u32_e64 s[8:9], 0, v18
	s_and_b64 s[42:43], s[8:9], s[12:13]
	s_waitcnt lgkmcnt(0)
	s_barrier
	s_and_saveexec_b64 s[8:9], s[42:43]
	s_cbranch_execz .LBB181_70
; %bb.69:
	v_mov_b32_e32 v26, 0
	ds_read_b128 v[22:25], v20
	ds_read_b128 v[26:29], v26 offset:13184
	s_waitcnt lgkmcnt(0)
	v_mul_f64 v[30:31], v[24:25], v[28:29]
	v_mul_f64 v[28:29], v[22:23], v[28:29]
	v_fma_f64 v[22:23], v[22:23], v[26:27], -v[30:31]
	v_fma_f64 v[24:25], v[24:25], v[26:27], v[28:29]
	v_add_f64 v[10:11], v[10:11], -v[22:23]
	v_add_f64 v[12:13], v[12:13], -v[24:25]
.LBB181_70:
	s_or_b64 exec, exec, s[8:9]
	s_barrier
	s_and_saveexec_b64 s[8:9], s[42:43]
; %bb.71:
	v_xor_b32_e32 v25, 0x80000000, v13
	v_xor_b32_e32 v23, 0x80000000, v11
	v_mov_b32_e32 v22, v10
	v_mov_b32_e32 v24, v12
	ds_write_b128 v20, v[22:25]
; %bb.72:
	s_or_b64 exec, exec, s[8:9]
	s_waitcnt lgkmcnt(0)
	s_barrier
	s_barrier
	s_and_saveexec_b64 s[8:9], s[2:3]
; %bb.73:
	v_lshlrev_b32_e32 v22, 4, v18
	v_lshl_or_b32 v22, v19, 9, v22
	ds_write_b128 v22, v[10:13] offset:14720
; %bb.74:
	s_or_b64 exec, exec, s[8:9]
	s_waitcnt lgkmcnt(0)
	s_barrier
	s_barrier
	s_and_saveexec_b64 s[8:9], vcc
	s_cbranch_execz .LBB181_76
; %bb.75:
	s_mov_b32 s12, 0
	s_mov_b32 s13, 0x3ff00000
	;; [unrolled: 1-line block ×4, first 2 shown]
	v_mov_b32_e32 v10, s12
	v_mov_b32_e32 v22, 0
	;; [unrolled: 1-line block ×5, first 2 shown]
	ds_write_b128 v22, v[10:13] offset:13728
	ds_write_b128 v22, v[10:13] offset:14256
.LBB181_76:
	s_or_b64 exec, exec, s[8:9]
	v_mov_b32_e32 v10, 0
	v_mov_b32_e32 v12, 0
	;; [unrolled: 1-line block ×4, first 2 shown]
	s_waitcnt lgkmcnt(0)
	s_barrier
	buffer_wbinvl1_vol
	s_and_saveexec_b64 s[10:11], s[0:1]
	s_cbranch_execz .LBB181_80
; %bb.77:
	v_lshlrev_b32_e32 v22, 4, v14
	v_lshlrev_b32_e32 v10, 9, v15
	ds_read_b128 v[10:13], v10 offset:13728
	ds_read_b128 v[22:25], v22 offset:13696
	v_cmp_gt_u32_e64 s[8:9], 2, v17
	s_waitcnt lgkmcnt(0)
	v_mul_f64 v[26:27], v[12:13], v[24:25]
	v_mul_f64 v[24:25], v[10:11], v[24:25]
	v_fma_f64 v[10:11], v[10:11], v[22:23], -v[26:27]
	v_fma_f64 v[12:13], v[12:13], v[22:23], v[24:25]
	v_add_f64 v[10:11], v[10:11], 0
	v_add_f64 v[12:13], v[12:13], 0
	s_and_saveexec_b64 s[12:13], s[8:9]
	s_cbranch_execz .LBB181_79
; %bb.78:
	v_lshlrev_b32_e32 v26, 4, v0
	v_mov_b32_e32 v22, 0
	ds_read_b128 v[22:25], v22 offset:14256
	ds_read_b128 v[26:29], v26 offset:14208
	s_waitcnt lgkmcnt(0)
	v_mul_f64 v[30:31], v[24:25], v[28:29]
	v_mul_f64 v[28:29], v[22:23], v[28:29]
	v_fma_f64 v[22:23], v[22:23], v[26:27], -v[30:31]
	v_fma_f64 v[24:25], v[24:25], v[26:27], v[28:29]
	v_add_f64 v[10:11], v[10:11], v[22:23]
	v_add_f64 v[12:13], v[12:13], v[24:25]
.LBB181_79:
	s_or_b64 exec, exec, s[12:13]
.LBB181_80:
	s_or_b64 exec, exec, s[10:11]
	s_and_saveexec_b64 s[8:9], s[40:41]
; %bb.81:
	v_xor_b32_e32 v23, 0x80000000, v11
	v_xor_b32_e32 v25, 0x80000000, v13
	v_mov_b32_e32 v22, v10
	v_mov_b32_e32 v24, v12
	ds_write_b128 v16, v[22:25]
; %bb.82:
	s_or_b64 exec, exec, s[8:9]
	s_waitcnt lgkmcnt(0)
	s_barrier
	s_and_saveexec_b64 s[8:9], s[38:39]
	s_cbranch_execz .LBB181_84
; %bb.83:
	v_mov_b32_e32 v26, 0
	ds_read_b128 v[22:25], v16
	ds_read_b128 v[26:29], v26 offset:13184
	s_waitcnt lgkmcnt(0)
	v_mul_f64 v[30:31], v[22:23], v[26:27]
	v_mul_f64 v[22:23], v[22:23], v[28:29]
	v_fma_f64 v[28:29], v[24:25], v[28:29], -v[30:31]
	v_fma_f64 v[22:23], v[24:25], v[26:27], v[22:23]
	v_add_f64 v[10:11], v[10:11], v[28:29]
	v_add_f64 v[12:13], v[12:13], -v[22:23]
.LBB181_84:
	s_or_b64 exec, exec, s[8:9]
	s_barrier
	s_and_saveexec_b64 s[8:9], s[38:39]
; %bb.85:
	v_xor_b32_e32 v23, 0x80000000, v11
	v_xor_b32_e32 v25, 0x80000000, v13
	v_mov_b32_e32 v22, v10
	v_mov_b32_e32 v24, v12
	ds_write_b128 v16, v[22:25]
; %bb.86:
	s_or_b64 exec, exec, s[8:9]
	s_waitcnt lgkmcnt(0)
	s_barrier
	s_barrier
	s_and_saveexec_b64 s[8:9], s[0:1]
; %bb.87:
	v_lshlrev_b32_e32 v22, 4, v14
	v_lshl_or_b32 v22, v15, 9, v22
	ds_write_b128 v22, v[10:13] offset:13696
; %bb.88:
	s_or_b64 exec, exec, s[8:9]
	s_waitcnt lgkmcnt(0)
	s_barrier
	s_barrier
	s_and_saveexec_b64 s[8:9], vcc
	s_cbranch_execz .LBB181_90
; %bb.89:
	s_mov_b32 s12, 0
	s_mov_b32 s13, 0x3ff00000
	;; [unrolled: 1-line block ×4, first 2 shown]
	v_mov_b32_e32 v10, s12
	v_mov_b32_e32 v22, 0
	v_mov_b32_e32 v11, s13
	v_mov_b32_e32 v12, s14
	v_mov_b32_e32 v13, s15
	ds_write_b128 v22, v[10:13] offset:12672
	ds_write_b128 v22, v[10:13] offset:13200
.LBB181_90:
	s_or_b64 exec, exec, s[8:9]
	v_lshrrev_b32_e32 v24, 3, v17
	v_mov_b32_e32 v12, 0
	v_mov_b32_e32 v10, 0
	v_and_b32_e32 v22, 7, v0
	v_sub_u32_e32 v23, 7, v24
	v_cmp_lt_u32_e64 s[8:9], 63, v17
	v_mov_b32_e32 v13, 0
	v_mov_b32_e32 v11, 0
	v_cmp_gt_u32_e64 s[12:13], 64, v17
	s_waitcnt lgkmcnt(0)
	s_barrier
	buffer_wbinvl1_vol
	s_and_saveexec_b64 s[14:15], s[12:13]
	s_cbranch_execz .LBB181_100
; %bb.91:
	v_lshlrev_b32_e32 v26, 9, v23
	v_lshlrev_b32_e32 v25, 4, v22
	ds_read_b128 v[10:13], v26 offset:12672
	ds_read_b128 v[27:30], v25 offset:12544
	v_cmp_gt_u32_e64 s[10:11], 56, v17
	s_waitcnt lgkmcnt(0)
	v_mul_f64 v[31:32], v[12:13], v[29:30]
	v_mul_f64 v[29:30], v[10:11], v[29:30]
	v_fma_f64 v[10:11], v[10:11], v[27:28], -v[31:32]
	v_fma_f64 v[12:13], v[12:13], v[27:28], v[29:30]
	v_add_f64 v[10:11], v[10:11], 0
	v_add_f64 v[12:13], v[12:13], 0
	s_and_saveexec_b64 s[54:55], s[10:11]
	s_cbranch_execnz .LBB181_489
; %bb.92:
	s_or_b64 exec, exec, s[54:55]
	v_cmp_gt_u32_e64 s[10:11], 48, v17
	s_and_saveexec_b64 s[54:55], s[10:11]
	s_cbranch_execnz .LBB181_490
.LBB181_93:
	s_or_b64 exec, exec, s[54:55]
	v_cmp_gt_u32_e64 s[10:11], 40, v17
	s_and_saveexec_b64 s[54:55], s[10:11]
	s_cbranch_execnz .LBB181_491
.LBB181_94:
	s_or_b64 exec, exec, s[54:55]
	v_cmp_gt_u32_e64 s[10:11], 32, v17
	s_and_saveexec_b64 s[54:55], s[10:11]
	s_cbranch_execnz .LBB181_492
.LBB181_95:
	s_or_b64 exec, exec, s[54:55]
	v_cmp_gt_u32_e64 s[10:11], 24, v17
	s_and_saveexec_b64 s[54:55], s[10:11]
	s_cbranch_execnz .LBB181_493
.LBB181_96:
	s_or_b64 exec, exec, s[54:55]
	s_and_saveexec_b64 s[10:11], s[2:3]
	s_cbranch_execnz .LBB181_494
.LBB181_97:
	s_or_b64 exec, exec, s[10:11]
	v_cmp_gt_u32_e64 s[10:11], 8, v17
	s_and_saveexec_b64 s[54:55], s[10:11]
	s_cbranch_execz .LBB181_99
.LBB181_98:
	v_lshlrev_b32_e32 v29, 4, v0
	v_mov_b32_e32 v25, 0
	ds_read_b128 v[25:28], v25 offset:16368
	ds_read_b128 v[29:32], v29 offset:16128
	s_waitcnt lgkmcnt(0)
	v_mul_f64 v[33:34], v[27:28], v[31:32]
	v_mul_f64 v[31:32], v[25:26], v[31:32]
	v_fma_f64 v[25:26], v[25:26], v[29:30], -v[33:34]
	v_fma_f64 v[27:28], v[27:28], v[29:30], v[31:32]
	v_add_f64 v[10:11], v[10:11], v[25:26]
	v_add_f64 v[12:13], v[12:13], v[27:28]
.LBB181_99:
	s_or_b64 exec, exec, s[54:55]
.LBB181_100:
	s_or_b64 exec, exec, s[14:15]
	v_mov_b32_e32 v25, 0x4000
	v_cmp_eq_u32_e64 s[10:11], 7, v22
	s_xor_b64 s[14:15], s[8:9], -1
	v_lshl_add_u32 v24, v24, 4, v25
	s_and_b64 s[56:57], s[10:11], s[14:15]
	s_and_saveexec_b64 s[8:9], s[56:57]
; %bb.101:
	v_xor_b32_e32 v26, 0x80000000, v11
	v_xor_b32_e32 v28, 0x80000000, v13
	v_mov_b32_e32 v25, v10
	v_mov_b32_e32 v27, v12
	ds_write_b128 v24, v[25:28]
; %bb.102:
	s_or_b64 exec, exec, s[8:9]
	v_cmp_ne_u32_e64 s[8:9], 7, v22
	s_and_b64 s[58:59], s[8:9], s[14:15]
	s_waitcnt lgkmcnt(0)
	s_barrier
	s_and_saveexec_b64 s[8:9], s[58:59]
	s_cbranch_execz .LBB181_104
; %bb.103:
	v_lshlrev_b32_e32 v29, 4, v22
	ds_read_b128 v[25:28], v24
	ds_read_b128 v[29:32], v29 offset:12032
	s_waitcnt lgkmcnt(0)
	v_mul_f64 v[33:34], v[27:28], v[31:32]
	v_mul_f64 v[31:32], v[25:26], v[31:32]
	v_fma_f64 v[25:26], v[25:26], v[29:30], -v[33:34]
	v_fma_f64 v[27:28], v[27:28], v[29:30], v[31:32]
	v_add_f64 v[10:11], v[10:11], -v[25:26]
	v_add_f64 v[12:13], v[12:13], -v[27:28]
.LBB181_104:
	s_or_b64 exec, exec, s[8:9]
	v_cmp_eq_u32_e64 s[8:9], 6, v22
	s_and_b64 s[60:61], s[8:9], s[14:15]
	s_barrier
	s_and_saveexec_b64 s[8:9], s[60:61]
; %bb.105:
	v_xor_b32_e32 v26, 0x80000000, v11
	v_xor_b32_e32 v28, 0x80000000, v13
	v_mov_b32_e32 v25, v10
	v_mov_b32_e32 v27, v12
	ds_write_b128 v24, v[25:28]
; %bb.106:
	s_or_b64 exec, exec, s[8:9]
	v_cmp_gt_u32_e64 s[8:9], 6, v22
	s_and_b64 s[62:63], s[8:9], s[14:15]
	s_waitcnt lgkmcnt(0)
	s_barrier
	s_and_saveexec_b64 s[8:9], s[62:63]
	s_cbranch_execz .LBB181_108
; %bb.107:
	v_lshlrev_b32_e32 v29, 4, v22
	ds_read_b128 v[25:28], v24
	ds_read_b128 v[29:32], v29 offset:11520
	s_waitcnt lgkmcnt(0)
	v_mul_f64 v[33:34], v[27:28], v[31:32]
	v_mul_f64 v[31:32], v[25:26], v[31:32]
	v_fma_f64 v[25:26], v[25:26], v[29:30], -v[33:34]
	v_fma_f64 v[27:28], v[27:28], v[29:30], v[31:32]
	v_add_f64 v[10:11], v[10:11], -v[25:26]
	v_add_f64 v[12:13], v[12:13], -v[27:28]
.LBB181_108:
	s_or_b64 exec, exec, s[8:9]
	v_cmp_eq_u32_e64 s[8:9], 5, v22
	s_and_b64 s[64:65], s[8:9], s[14:15]
	s_barrier
	s_and_saveexec_b64 s[8:9], s[64:65]
; %bb.109:
	v_xor_b32_e32 v26, 0x80000000, v11
	v_xor_b32_e32 v28, 0x80000000, v13
	v_mov_b32_e32 v25, v10
	v_mov_b32_e32 v27, v12
	ds_write_b128 v24, v[25:28]
; %bb.110:
	s_or_b64 exec, exec, s[8:9]
	v_cmp_gt_u32_e64 s[8:9], 5, v22
	;; [unrolled: 31-line block ×5, first 2 shown]
	s_and_b64 s[78:79], s[8:9], s[14:15]
	s_waitcnt lgkmcnt(0)
	s_barrier
	s_and_saveexec_b64 s[8:9], s[78:79]
	s_cbranch_execz .LBB181_124
; %bb.123:
	v_lshlrev_b32_e32 v29, 4, v22
	ds_read_b128 v[25:28], v24
	ds_read_b128 v[29:32], v29 offset:9472
	s_waitcnt lgkmcnt(0)
	v_mul_f64 v[33:34], v[27:28], v[31:32]
	v_mul_f64 v[31:32], v[25:26], v[31:32]
	v_fma_f64 v[25:26], v[25:26], v[29:30], -v[33:34]
	v_fma_f64 v[27:28], v[27:28], v[29:30], v[31:32]
	v_add_f64 v[10:11], v[10:11], -v[25:26]
	v_add_f64 v[12:13], v[12:13], -v[27:28]
.LBB181_124:
	s_or_b64 exec, exec, s[8:9]
	v_cmp_eq_u32_e64 s[8:9], 1, v22
	s_and_b64 s[80:81], s[8:9], s[14:15]
	s_barrier
	s_and_saveexec_b64 s[8:9], s[80:81]
; %bb.125:
	v_xor_b32_e32 v26, 0x80000000, v11
	v_xor_b32_e32 v28, 0x80000000, v13
	v_mov_b32_e32 v25, v10
	v_mov_b32_e32 v27, v12
	ds_write_b128 v24, v[25:28]
; %bb.126:
	s_or_b64 exec, exec, s[8:9]
	v_cmp_eq_u32_e64 s[8:9], 0, v22
	s_and_b64 s[54:55], s[8:9], s[14:15]
	s_waitcnt lgkmcnt(0)
	s_barrier
	s_and_saveexec_b64 s[8:9], s[54:55]
	s_cbranch_execz .LBB181_128
; %bb.127:
	v_mov_b32_e32 v29, 0
	ds_read_b128 v[25:28], v24
	ds_read_b128 v[29:32], v29 offset:8960
	s_waitcnt lgkmcnt(0)
	v_mul_f64 v[33:34], v[27:28], v[31:32]
	v_mul_f64 v[31:32], v[25:26], v[31:32]
	v_fma_f64 v[25:26], v[25:26], v[29:30], -v[33:34]
	v_fma_f64 v[27:28], v[27:28], v[29:30], v[31:32]
	v_add_f64 v[10:11], v[10:11], -v[25:26]
	v_add_f64 v[12:13], v[12:13], -v[27:28]
.LBB181_128:
	s_or_b64 exec, exec, s[8:9]
	s_barrier
	s_and_saveexec_b64 s[8:9], s[54:55]
; %bb.129:
	v_xor_b32_e32 v26, 0x80000000, v11
	v_xor_b32_e32 v28, 0x80000000, v13
	v_mov_b32_e32 v25, v10
	v_mov_b32_e32 v27, v12
	ds_write_b128 v24, v[25:28]
; %bb.130:
	s_or_b64 exec, exec, s[8:9]
	s_waitcnt lgkmcnt(0)
	s_barrier
	s_barrier
	s_and_saveexec_b64 s[8:9], s[12:13]
; %bb.131:
	v_lshlrev_b32_e32 v25, 4, v22
	v_lshl_or_b32 v25, v23, 9, v25
	ds_write_b128 v25, v[10:13] offset:12544
; %bb.132:
	s_or_b64 exec, exec, s[8:9]
	s_waitcnt lgkmcnt(0)
	s_barrier
	s_barrier
	s_and_saveexec_b64 s[8:9], vcc
	s_cbranch_execz .LBB181_134
; %bb.133:
	s_mov_b32 s92, 0
	s_mov_b32 s93, 0x3ff00000
	;; [unrolled: 1-line block ×4, first 2 shown]
	v_mov_b32_e32 v10, s92
	v_mov_b32_e32 v25, 0
	;; [unrolled: 1-line block ×5, first 2 shown]
	ds_write_b128 v25, v[10:13] offset:11616
	ds_write_b128 v25, v[10:13] offset:12144
.LBB181_134:
	s_or_b64 exec, exec, s[8:9]
	v_mov_b32_e32 v10, 0
	v_mov_b32_e32 v12, 0
	;; [unrolled: 1-line block ×4, first 2 shown]
	s_waitcnt lgkmcnt(0)
	s_barrier
	buffer_wbinvl1_vol
	s_and_saveexec_b64 s[10:11], s[0:1]
	s_cbranch_execz .LBB181_138
; %bb.135:
	v_lshlrev_b32_e32 v25, 4, v14
	v_lshlrev_b32_e32 v10, 9, v15
	ds_read_b128 v[10:13], v10 offset:11616
	ds_read_b128 v[25:28], v25 offset:11584
	v_cmp_gt_u32_e64 s[8:9], 2, v17
	s_waitcnt lgkmcnt(0)
	v_mul_f64 v[29:30], v[12:13], v[27:28]
	v_mul_f64 v[27:28], v[10:11], v[27:28]
	v_fma_f64 v[10:11], v[10:11], v[25:26], -v[29:30]
	v_fma_f64 v[12:13], v[12:13], v[25:26], v[27:28]
	v_add_f64 v[10:11], v[10:11], 0
	v_add_f64 v[12:13], v[12:13], 0
	s_and_saveexec_b64 s[14:15], s[8:9]
	s_cbranch_execz .LBB181_137
; %bb.136:
	v_lshlrev_b32_e32 v29, 4, v0
	v_mov_b32_e32 v25, 0
	ds_read_b128 v[25:28], v25 offset:12144
	ds_read_b128 v[29:32], v29 offset:12096
	s_waitcnt lgkmcnt(0)
	v_mul_f64 v[33:34], v[27:28], v[31:32]
	v_mul_f64 v[31:32], v[25:26], v[31:32]
	v_fma_f64 v[25:26], v[25:26], v[29:30], -v[33:34]
	v_fma_f64 v[27:28], v[27:28], v[29:30], v[31:32]
	v_add_f64 v[10:11], v[10:11], v[25:26]
	v_add_f64 v[12:13], v[12:13], v[27:28]
.LBB181_137:
	s_or_b64 exec, exec, s[14:15]
.LBB181_138:
	s_or_b64 exec, exec, s[10:11]
	s_and_saveexec_b64 s[8:9], s[40:41]
; %bb.139:
	v_xor_b32_e32 v26, 0x80000000, v11
	v_xor_b32_e32 v28, 0x80000000, v13
	v_mov_b32_e32 v25, v10
	v_mov_b32_e32 v27, v12
	ds_write_b128 v16, v[25:28]
; %bb.140:
	s_or_b64 exec, exec, s[8:9]
	s_waitcnt lgkmcnt(0)
	s_barrier
	s_and_saveexec_b64 s[8:9], s[38:39]
	s_cbranch_execz .LBB181_142
; %bb.141:
	v_mov_b32_e32 v29, 0
	ds_read_b128 v[25:28], v16
	ds_read_b128 v[29:32], v29 offset:11072
	s_waitcnt lgkmcnt(0)
	v_mul_f64 v[33:34], v[25:26], v[29:30]
	v_mul_f64 v[25:26], v[25:26], v[31:32]
	v_fma_f64 v[31:32], v[27:28], v[31:32], -v[33:34]
	v_fma_f64 v[25:26], v[27:28], v[29:30], v[25:26]
	v_add_f64 v[10:11], v[10:11], v[31:32]
	v_add_f64 v[12:13], v[12:13], -v[25:26]
.LBB181_142:
	s_or_b64 exec, exec, s[8:9]
	s_barrier
	s_and_saveexec_b64 s[8:9], s[38:39]
; %bb.143:
	v_xor_b32_e32 v26, 0x80000000, v11
	v_xor_b32_e32 v28, 0x80000000, v13
	v_mov_b32_e32 v25, v10
	v_mov_b32_e32 v27, v12
	ds_write_b128 v16, v[25:28]
; %bb.144:
	s_or_b64 exec, exec, s[8:9]
	s_waitcnt lgkmcnt(0)
	s_barrier
	s_barrier
	s_and_saveexec_b64 s[8:9], s[0:1]
; %bb.145:
	v_lshlrev_b32_e32 v25, 4, v14
	v_lshl_or_b32 v25, v15, 9, v25
	ds_write_b128 v25, v[10:13] offset:11584
; %bb.146:
	s_or_b64 exec, exec, s[8:9]
	s_waitcnt lgkmcnt(0)
	s_barrier
	s_barrier
	s_and_saveexec_b64 s[8:9], vcc
	s_cbranch_execz .LBB181_148
; %bb.147:
	s_mov_b32 s92, 0
	s_mov_b32 s93, 0x3ff00000
	;; [unrolled: 1-line block ×4, first 2 shown]
	v_mov_b32_e32 v10, s92
	v_mov_b32_e32 v25, 0
	;; [unrolled: 1-line block ×5, first 2 shown]
	ds_write_b128 v25, v[10:13] offset:10560
	ds_write_b128 v25, v[10:13] offset:11088
.LBB181_148:
	s_or_b64 exec, exec, s[8:9]
	v_mov_b32_e32 v12, 0
	v_mov_b32_e32 v10, 0
	;; [unrolled: 1-line block ×4, first 2 shown]
	s_waitcnt lgkmcnt(0)
	s_barrier
	buffer_wbinvl1_vol
	s_and_saveexec_b64 s[10:11], s[2:3]
	s_cbranch_execz .LBB181_154
; %bb.149:
	v_lshlrev_b32_e32 v26, 9, v19
	v_lshlrev_b32_e32 v25, 4, v18
	ds_read_b128 v[10:13], v26 offset:10560
	ds_read_b128 v[27:30], v25 offset:10496
	v_cmp_gt_u32_e64 s[8:9], 12, v17
	s_waitcnt lgkmcnt(0)
	v_mul_f64 v[31:32], v[12:13], v[29:30]
	v_mul_f64 v[29:30], v[10:11], v[29:30]
	v_fma_f64 v[10:11], v[10:11], v[27:28], -v[31:32]
	v_fma_f64 v[12:13], v[12:13], v[27:28], v[29:30]
	v_add_f64 v[10:11], v[10:11], 0
	v_add_f64 v[12:13], v[12:13], 0
	s_and_saveexec_b64 s[14:15], s[8:9]
	s_cbranch_execnz .LBB181_495
; %bb.150:
	s_or_b64 exec, exec, s[14:15]
	v_cmp_gt_u32_e64 s[8:9], 8, v17
	s_and_saveexec_b64 s[14:15], s[8:9]
	s_cbranch_execnz .LBB181_496
.LBB181_151:
	s_or_b64 exec, exec, s[14:15]
	v_cmp_gt_u32_e64 s[8:9], 4, v17
	s_and_saveexec_b64 s[14:15], s[8:9]
	s_cbranch_execz .LBB181_153
.LBB181_152:
	v_lshlrev_b32_e32 v29, 4, v0
	v_mov_b32_e32 v25, 0
	ds_read_b128 v[25:28], v25 offset:12144
	ds_read_b128 v[29:32], v29 offset:12032
	s_waitcnt lgkmcnt(0)
	v_mul_f64 v[33:34], v[27:28], v[31:32]
	v_mul_f64 v[31:32], v[25:26], v[31:32]
	v_fma_f64 v[25:26], v[25:26], v[29:30], -v[33:34]
	v_fma_f64 v[27:28], v[27:28], v[29:30], v[31:32]
	v_add_f64 v[10:11], v[10:11], v[25:26]
	v_add_f64 v[12:13], v[12:13], v[27:28]
.LBB181_153:
	s_or_b64 exec, exec, s[14:15]
.LBB181_154:
	s_or_b64 exec, exec, s[10:11]
	s_and_saveexec_b64 s[8:9], s[44:45]
; %bb.155:
	v_xor_b32_e32 v28, 0x80000000, v13
	v_xor_b32_e32 v26, 0x80000000, v11
	v_mov_b32_e32 v25, v10
	v_mov_b32_e32 v27, v12
	ds_write_b128 v20, v[25:28]
; %bb.156:
	s_or_b64 exec, exec, s[8:9]
	s_waitcnt lgkmcnt(0)
	s_barrier
	s_and_saveexec_b64 s[8:9], s[46:47]
	s_cbranch_execz .LBB181_158
; %bb.157:
	v_lshlrev_b32_e32 v29, 4, v18
	ds_read_b128 v[25:28], v20
	ds_read_b128 v[29:32], v29 offset:9984
	s_waitcnt lgkmcnt(0)
	v_mul_f64 v[33:34], v[27:28], v[31:32]
	v_mul_f64 v[31:32], v[25:26], v[31:32]
	v_fma_f64 v[25:26], v[25:26], v[29:30], -v[33:34]
	v_fma_f64 v[27:28], v[27:28], v[29:30], v[31:32]
	v_add_f64 v[10:11], v[10:11], -v[25:26]
	v_add_f64 v[12:13], v[12:13], -v[27:28]
.LBB181_158:
	s_or_b64 exec, exec, s[8:9]
	s_barrier
	s_and_saveexec_b64 s[8:9], s[48:49]
; %bb.159:
	v_xor_b32_e32 v28, 0x80000000, v13
	v_xor_b32_e32 v26, 0x80000000, v11
	v_mov_b32_e32 v25, v10
	v_mov_b32_e32 v27, v12
	ds_write_b128 v20, v[25:28]
; %bb.160:
	s_or_b64 exec, exec, s[8:9]
	s_waitcnt lgkmcnt(0)
	s_barrier
	s_and_saveexec_b64 s[8:9], s[50:51]
	s_cbranch_execz .LBB181_162
; %bb.161:
	v_lshlrev_b32_e32 v29, 4, v18
	ds_read_b128 v[25:28], v20
	ds_read_b128 v[29:32], v29 offset:9472
	s_waitcnt lgkmcnt(0)
	v_mul_f64 v[33:34], v[27:28], v[31:32]
	v_mul_f64 v[31:32], v[25:26], v[31:32]
	v_fma_f64 v[25:26], v[25:26], v[29:30], -v[33:34]
	v_fma_f64 v[27:28], v[27:28], v[29:30], v[31:32]
	v_add_f64 v[10:11], v[10:11], -v[25:26]
	v_add_f64 v[12:13], v[12:13], -v[27:28]
.LBB181_162:
	s_or_b64 exec, exec, s[8:9]
	s_barrier
	s_and_saveexec_b64 s[8:9], s[52:53]
; %bb.163:
	v_xor_b32_e32 v28, 0x80000000, v13
	v_xor_b32_e32 v26, 0x80000000, v11
	v_mov_b32_e32 v25, v10
	v_mov_b32_e32 v27, v12
	ds_write_b128 v20, v[25:28]
; %bb.164:
	s_or_b64 exec, exec, s[8:9]
	s_waitcnt lgkmcnt(0)
	s_barrier
	s_and_saveexec_b64 s[8:9], s[42:43]
	s_cbranch_execz .LBB181_166
; %bb.165:
	v_mov_b32_e32 v29, 0
	ds_read_b128 v[25:28], v20
	ds_read_b128 v[29:32], v29 offset:8960
	s_waitcnt lgkmcnt(0)
	v_mul_f64 v[33:34], v[27:28], v[31:32]
	v_mul_f64 v[31:32], v[25:26], v[31:32]
	v_fma_f64 v[25:26], v[25:26], v[29:30], -v[33:34]
	v_fma_f64 v[27:28], v[27:28], v[29:30], v[31:32]
	v_add_f64 v[10:11], v[10:11], -v[25:26]
	v_add_f64 v[12:13], v[12:13], -v[27:28]
.LBB181_166:
	s_or_b64 exec, exec, s[8:9]
	s_barrier
	s_and_saveexec_b64 s[8:9], s[42:43]
; %bb.167:
	v_xor_b32_e32 v28, 0x80000000, v13
	v_xor_b32_e32 v26, 0x80000000, v11
	v_mov_b32_e32 v25, v10
	v_mov_b32_e32 v27, v12
	ds_write_b128 v20, v[25:28]
; %bb.168:
	s_or_b64 exec, exec, s[8:9]
	s_waitcnt lgkmcnt(0)
	s_barrier
	s_barrier
	s_and_saveexec_b64 s[8:9], s[2:3]
; %bb.169:
	v_lshlrev_b32_e32 v25, 4, v18
	v_lshl_or_b32 v25, v19, 9, v25
	ds_write_b128 v25, v[10:13] offset:10496
; %bb.170:
	s_or_b64 exec, exec, s[8:9]
	s_waitcnt lgkmcnt(0)
	s_barrier
	s_barrier
	s_and_saveexec_b64 s[8:9], vcc
	s_cbranch_execz .LBB181_172
; %bb.171:
	s_mov_b32 s92, 0
	s_mov_b32 s93, 0x3ff00000
	s_mov_b32 s94, s92
	s_mov_b32 s95, s92
	v_mov_b32_e32 v10, s92
	v_mov_b32_e32 v25, 0
	;; [unrolled: 1-line block ×5, first 2 shown]
	ds_write_b128 v25, v[10:13] offset:9504
	ds_write_b128 v25, v[10:13] offset:10032
.LBB181_172:
	s_or_b64 exec, exec, s[8:9]
	v_mov_b32_e32 v10, 0
	v_mov_b32_e32 v12, 0
	;; [unrolled: 1-line block ×4, first 2 shown]
	s_waitcnt lgkmcnt(0)
	s_barrier
	buffer_wbinvl1_vol
	s_and_saveexec_b64 s[10:11], s[0:1]
	s_cbranch_execz .LBB181_176
; %bb.173:
	v_lshlrev_b32_e32 v25, 4, v14
	v_lshlrev_b32_e32 v10, 9, v15
	ds_read_b128 v[10:13], v10 offset:9504
	ds_read_b128 v[25:28], v25 offset:9472
	v_cmp_gt_u32_e64 s[8:9], 2, v17
	s_waitcnt lgkmcnt(0)
	v_mul_f64 v[29:30], v[12:13], v[27:28]
	v_mul_f64 v[27:28], v[10:11], v[27:28]
	v_fma_f64 v[10:11], v[10:11], v[25:26], -v[29:30]
	v_fma_f64 v[12:13], v[12:13], v[25:26], v[27:28]
	v_add_f64 v[10:11], v[10:11], 0
	v_add_f64 v[12:13], v[12:13], 0
	s_and_saveexec_b64 s[14:15], s[8:9]
	s_cbranch_execz .LBB181_175
; %bb.174:
	v_lshlrev_b32_e32 v29, 4, v0
	v_mov_b32_e32 v25, 0
	ds_read_b128 v[25:28], v25 offset:10032
	ds_read_b128 v[29:32], v29 offset:9984
	s_waitcnt lgkmcnt(0)
	v_mul_f64 v[33:34], v[27:28], v[31:32]
	v_mul_f64 v[31:32], v[25:26], v[31:32]
	v_fma_f64 v[25:26], v[25:26], v[29:30], -v[33:34]
	v_fma_f64 v[27:28], v[27:28], v[29:30], v[31:32]
	v_add_f64 v[10:11], v[10:11], v[25:26]
	v_add_f64 v[12:13], v[12:13], v[27:28]
.LBB181_175:
	s_or_b64 exec, exec, s[14:15]
.LBB181_176:
	s_or_b64 exec, exec, s[10:11]
	s_and_saveexec_b64 s[8:9], s[40:41]
; %bb.177:
	v_xor_b32_e32 v26, 0x80000000, v11
	v_xor_b32_e32 v28, 0x80000000, v13
	v_mov_b32_e32 v25, v10
	v_mov_b32_e32 v27, v12
	ds_write_b128 v16, v[25:28]
; %bb.178:
	s_or_b64 exec, exec, s[8:9]
	s_waitcnt lgkmcnt(0)
	s_barrier
	s_and_saveexec_b64 s[8:9], s[38:39]
	s_cbranch_execz .LBB181_180
; %bb.179:
	v_mov_b32_e32 v29, 0
	ds_read_b128 v[25:28], v16
	ds_read_b128 v[29:32], v29 offset:8960
	s_waitcnt lgkmcnt(0)
	v_mul_f64 v[33:34], v[25:26], v[29:30]
	v_mul_f64 v[25:26], v[25:26], v[31:32]
	v_fma_f64 v[31:32], v[27:28], v[31:32], -v[33:34]
	v_fma_f64 v[25:26], v[27:28], v[29:30], v[25:26]
	v_add_f64 v[10:11], v[10:11], v[31:32]
	v_add_f64 v[12:13], v[12:13], -v[25:26]
.LBB181_180:
	s_or_b64 exec, exec, s[8:9]
	s_barrier
	s_and_saveexec_b64 s[8:9], s[38:39]
; %bb.181:
	v_xor_b32_e32 v26, 0x80000000, v11
	v_xor_b32_e32 v28, 0x80000000, v13
	v_mov_b32_e32 v25, v10
	v_mov_b32_e32 v27, v12
	ds_write_b128 v16, v[25:28]
; %bb.182:
	s_or_b64 exec, exec, s[8:9]
	s_waitcnt lgkmcnt(0)
	s_barrier
	s_barrier
	s_and_saveexec_b64 s[8:9], s[0:1]
; %bb.183:
	v_lshlrev_b32_e32 v25, 4, v14
	v_lshl_or_b32 v25, v15, 9, v25
	ds_write_b128 v25, v[10:13] offset:9472
; %bb.184:
	s_or_b64 exec, exec, s[8:9]
	s_waitcnt lgkmcnt(0)
	s_barrier
	s_barrier
	s_and_saveexec_b64 s[8:9], vcc
	s_cbranch_execz .LBB181_186
; %bb.185:
	s_mov_b32 s92, 0
	s_mov_b32 s93, 0x3ff00000
	;; [unrolled: 1-line block ×4, first 2 shown]
	v_mov_b32_e32 v10, s92
	v_mov_b32_e32 v25, 0
	;; [unrolled: 1-line block ×5, first 2 shown]
	ds_write_b128 v25, v[10:13] offset:8448
	ds_write_b128 v25, v[10:13] offset:8976
.LBB181_186:
	s_or_b64 exec, exec, s[8:9]
	s_movk_i32 s8, 0xff
	v_lshrrev_b32_e32 v27, 4, v17
	v_cmp_lt_u32_e64 s[10:11], s8, v17
	s_movk_i32 s8, 0x100
	v_mov_b32_e32 v12, 0
	v_mov_b32_e32 v10, 0
	v_and_b32_e32 v25, 15, v0
	v_sub_u32_e32 v26, 15, v27
	v_mov_b32_e32 v13, 0
	v_mov_b32_e32 v11, 0
	v_cmp_gt_u32_e64 s[8:9], s8, v17
	s_waitcnt lgkmcnt(0)
	s_barrier
	buffer_wbinvl1_vol
	s_and_saveexec_b64 s[82:83], s[8:9]
	s_cbranch_execz .LBB181_214
; %bb.187:
	v_lshlrev_b32_e32 v29, 9, v26
	v_lshlrev_b32_e32 v28, 4, v25
	ds_read_b128 v[10:13], v29 offset:8448
	ds_read_b128 v[30:33], v28 offset:8192
	s_movk_i32 s14, 0xf0
	v_cmp_gt_u32_e64 s[14:15], s14, v17
	s_waitcnt lgkmcnt(0)
	v_mul_f64 v[34:35], v[12:13], v[32:33]
	v_mul_f64 v[32:33], v[10:11], v[32:33]
	v_fma_f64 v[10:11], v[10:11], v[30:31], -v[34:35]
	v_fma_f64 v[12:13], v[12:13], v[30:31], v[32:33]
	v_add_f64 v[10:11], v[10:11], 0
	v_add_f64 v[12:13], v[12:13], 0
	s_and_saveexec_b64 s[84:85], s[14:15]
	s_cbranch_execz .LBB181_189
; %bb.188:
	ds_read_b128 v[30:33], v29 offset:8464
	ds_read_b128 v[34:37], v28 offset:8704
	s_waitcnt lgkmcnt(0)
	v_mul_f64 v[38:39], v[32:33], v[36:37]
	v_mul_f64 v[36:37], v[30:31], v[36:37]
	v_fma_f64 v[30:31], v[30:31], v[34:35], -v[38:39]
	v_fma_f64 v[32:33], v[32:33], v[34:35], v[36:37]
	v_add_f64 v[10:11], v[10:11], v[30:31]
	v_add_f64 v[12:13], v[12:13], v[32:33]
.LBB181_189:
	s_or_b64 exec, exec, s[84:85]
	s_movk_i32 s14, 0xe0
	v_cmp_gt_u32_e64 s[14:15], s14, v17
	s_and_saveexec_b64 s[84:85], s[14:15]
	s_cbranch_execz .LBB181_191
; %bb.190:
	ds_read_b128 v[30:33], v29 offset:8480
	ds_read_b128 v[34:37], v28 offset:9216
	s_waitcnt lgkmcnt(0)
	v_mul_f64 v[38:39], v[32:33], v[36:37]
	v_mul_f64 v[36:37], v[30:31], v[36:37]
	v_fma_f64 v[30:31], v[30:31], v[34:35], -v[38:39]
	v_fma_f64 v[32:33], v[32:33], v[34:35], v[36:37]
	v_add_f64 v[10:11], v[10:11], v[30:31]
	v_add_f64 v[12:13], v[12:13], v[32:33]
.LBB181_191:
	s_or_b64 exec, exec, s[84:85]
	s_movk_i32 s14, 0xd0
	v_cmp_gt_u32_e64 s[14:15], s14, v17
	;; [unrolled: 16-line block ×10, first 2 shown]
	s_and_saveexec_b64 s[84:85], s[14:15]
	s_cbranch_execnz .LBB181_497
; %bb.208:
	s_or_b64 exec, exec, s[84:85]
	s_and_saveexec_b64 s[14:15], s[12:13]
	s_cbranch_execnz .LBB181_498
.LBB181_209:
	s_or_b64 exec, exec, s[14:15]
	v_cmp_gt_u32_e64 s[14:15], 48, v17
	s_and_saveexec_b64 s[84:85], s[14:15]
	s_cbranch_execnz .LBB181_499
.LBB181_210:
	s_or_b64 exec, exec, s[84:85]
	v_cmp_gt_u32_e64 s[14:15], 32, v17
	s_and_saveexec_b64 s[84:85], s[14:15]
	s_cbranch_execnz .LBB181_500
.LBB181_211:
	s_or_b64 exec, exec, s[84:85]
	v_cmp_gt_u32_e64 s[14:15], 16, v17
	s_and_saveexec_b64 s[84:85], s[14:15]
	s_cbranch_execz .LBB181_213
.LBB181_212:
	v_lshlrev_b32_e32 v32, 4, v0
	v_mov_b32_e32 v28, 0
	ds_read_b128 v[28:31], v28 offset:16368
	ds_read_b128 v[32:35], v32 offset:15872
	s_waitcnt lgkmcnt(0)
	v_mul_f64 v[36:37], v[30:31], v[34:35]
	v_mul_f64 v[34:35], v[28:29], v[34:35]
	v_fma_f64 v[28:29], v[28:29], v[32:33], -v[36:37]
	v_fma_f64 v[30:31], v[30:31], v[32:33], v[34:35]
	v_add_f64 v[10:11], v[10:11], v[28:29]
	v_add_f64 v[12:13], v[12:13], v[30:31]
.LBB181_213:
	s_or_b64 exec, exec, s[84:85]
.LBB181_214:
	s_or_b64 exec, exec, s[82:83]
	v_mov_b32_e32 v28, 0x4000
	v_cmp_eq_u32_e64 s[14:15], 15, v25
	s_xor_b64 s[82:83], s[10:11], -1
	v_lshl_add_u32 v27, v27, 4, v28
	s_and_b64 s[14:15], s[14:15], s[82:83]
	s_and_saveexec_b64 s[10:11], s[14:15]
; %bb.215:
	v_xor_b32_e32 v31, 0x80000000, v13
	v_xor_b32_e32 v29, 0x80000000, v11
	v_mov_b32_e32 v28, v10
	v_mov_b32_e32 v30, v12
	ds_write_b128 v27, v[28:31]
; %bb.216:
	s_or_b64 exec, exec, s[10:11]
	v_cmp_ne_u32_e64 s[10:11], 15, v25
	s_and_b64 s[14:15], s[10:11], s[82:83]
	s_waitcnt lgkmcnt(0)
	s_barrier
	s_and_saveexec_b64 s[10:11], s[14:15]
	s_cbranch_execz .LBB181_218
; %bb.217:
	v_lshlrev_b32_e32 v32, 4, v25
	ds_read_b128 v[28:31], v27
	ds_read_b128 v[32:35], v32 offset:7680
	s_waitcnt lgkmcnt(0)
	v_mul_f64 v[36:37], v[30:31], v[34:35]
	v_mul_f64 v[34:35], v[28:29], v[34:35]
	v_fma_f64 v[28:29], v[28:29], v[32:33], -v[36:37]
	v_fma_f64 v[30:31], v[30:31], v[32:33], v[34:35]
	v_add_f64 v[10:11], v[10:11], -v[28:29]
	v_add_f64 v[12:13], v[12:13], -v[30:31]
.LBB181_218:
	s_or_b64 exec, exec, s[10:11]
	v_cmp_eq_u32_e64 s[10:11], 14, v25
	s_and_b64 s[14:15], s[10:11], s[82:83]
	s_barrier
	s_and_saveexec_b64 s[10:11], s[14:15]
; %bb.219:
	v_xor_b32_e32 v31, 0x80000000, v13
	v_xor_b32_e32 v29, 0x80000000, v11
	v_mov_b32_e32 v28, v10
	v_mov_b32_e32 v30, v12
	ds_write_b128 v27, v[28:31]
; %bb.220:
	s_or_b64 exec, exec, s[10:11]
	v_cmp_gt_u32_e64 s[10:11], 14, v25
	s_and_b64 s[14:15], s[10:11], s[82:83]
	s_waitcnt lgkmcnt(0)
	s_barrier
	s_and_saveexec_b64 s[10:11], s[14:15]
	s_cbranch_execz .LBB181_222
; %bb.221:
	v_lshlrev_b32_e32 v32, 4, v25
	ds_read_b128 v[28:31], v27
	ds_read_b128 v[32:35], v32 offset:7168
	s_waitcnt lgkmcnt(0)
	v_mul_f64 v[36:37], v[30:31], v[34:35]
	v_mul_f64 v[34:35], v[28:29], v[34:35]
	v_fma_f64 v[28:29], v[28:29], v[32:33], -v[36:37]
	v_fma_f64 v[30:31], v[30:31], v[32:33], v[34:35]
	v_add_f64 v[10:11], v[10:11], -v[28:29]
	v_add_f64 v[12:13], v[12:13], -v[30:31]
.LBB181_222:
	s_or_b64 exec, exec, s[10:11]
	v_cmp_eq_u32_e64 s[10:11], 13, v25
	s_and_b64 s[14:15], s[10:11], s[82:83]
	s_barrier
	s_and_saveexec_b64 s[10:11], s[14:15]
; %bb.223:
	v_xor_b32_e32 v31, 0x80000000, v13
	v_xor_b32_e32 v29, 0x80000000, v11
	v_mov_b32_e32 v28, v10
	v_mov_b32_e32 v30, v12
	ds_write_b128 v27, v[28:31]
; %bb.224:
	s_or_b64 exec, exec, s[10:11]
	v_cmp_gt_u32_e64 s[10:11], 13, v25
	s_and_b64 s[14:15], s[10:11], s[82:83]
	s_waitcnt lgkmcnt(0)
	s_barrier
	s_and_saveexec_b64 s[10:11], s[14:15]
	s_cbranch_execz .LBB181_226
; %bb.225:
	v_lshlrev_b32_e32 v32, 4, v25
	ds_read_b128 v[28:31], v27
	ds_read_b128 v[32:35], v32 offset:6656
	s_waitcnt lgkmcnt(0)
	v_mul_f64 v[36:37], v[30:31], v[34:35]
	v_mul_f64 v[34:35], v[28:29], v[34:35]
	v_fma_f64 v[28:29], v[28:29], v[32:33], -v[36:37]
	v_fma_f64 v[30:31], v[30:31], v[32:33], v[34:35]
	v_add_f64 v[10:11], v[10:11], -v[28:29]
	v_add_f64 v[12:13], v[12:13], -v[30:31]
.LBB181_226:
	s_or_b64 exec, exec, s[10:11]
	v_cmp_eq_u32_e64 s[10:11], 12, v25
	s_and_b64 s[14:15], s[10:11], s[82:83]
	s_barrier
	s_and_saveexec_b64 s[10:11], s[14:15]
; %bb.227:
	v_xor_b32_e32 v31, 0x80000000, v13
	v_xor_b32_e32 v29, 0x80000000, v11
	v_mov_b32_e32 v28, v10
	v_mov_b32_e32 v30, v12
	ds_write_b128 v27, v[28:31]
; %bb.228:
	s_or_b64 exec, exec, s[10:11]
	v_cmp_gt_u32_e64 s[10:11], 12, v25
	s_and_b64 s[14:15], s[10:11], s[82:83]
	s_waitcnt lgkmcnt(0)
	s_barrier
	s_and_saveexec_b64 s[10:11], s[14:15]
	s_cbranch_execz .LBB181_230
; %bb.229:
	v_lshlrev_b32_e32 v32, 4, v25
	ds_read_b128 v[28:31], v27
	ds_read_b128 v[32:35], v32 offset:6144
	s_waitcnt lgkmcnt(0)
	v_mul_f64 v[36:37], v[30:31], v[34:35]
	v_mul_f64 v[34:35], v[28:29], v[34:35]
	v_fma_f64 v[28:29], v[28:29], v[32:33], -v[36:37]
	v_fma_f64 v[30:31], v[30:31], v[32:33], v[34:35]
	v_add_f64 v[10:11], v[10:11], -v[28:29]
	v_add_f64 v[12:13], v[12:13], -v[30:31]
.LBB181_230:
	s_or_b64 exec, exec, s[10:11]
	v_cmp_eq_u32_e64 s[10:11], 11, v25
	s_and_b64 s[14:15], s[10:11], s[82:83]
	s_barrier
	s_and_saveexec_b64 s[10:11], s[14:15]
; %bb.231:
	v_xor_b32_e32 v31, 0x80000000, v13
	v_xor_b32_e32 v29, 0x80000000, v11
	v_mov_b32_e32 v28, v10
	v_mov_b32_e32 v30, v12
	ds_write_b128 v27, v[28:31]
; %bb.232:
	s_or_b64 exec, exec, s[10:11]
	v_cmp_gt_u32_e64 s[10:11], 11, v25
	s_and_b64 s[14:15], s[10:11], s[82:83]
	s_waitcnt lgkmcnt(0)
	s_barrier
	s_and_saveexec_b64 s[10:11], s[14:15]
	s_cbranch_execz .LBB181_234
; %bb.233:
	v_lshlrev_b32_e32 v32, 4, v25
	ds_read_b128 v[28:31], v27
	ds_read_b128 v[32:35], v32 offset:5632
	s_waitcnt lgkmcnt(0)
	v_mul_f64 v[36:37], v[30:31], v[34:35]
	v_mul_f64 v[34:35], v[28:29], v[34:35]
	v_fma_f64 v[28:29], v[28:29], v[32:33], -v[36:37]
	v_fma_f64 v[30:31], v[30:31], v[32:33], v[34:35]
	v_add_f64 v[10:11], v[10:11], -v[28:29]
	v_add_f64 v[12:13], v[12:13], -v[30:31]
.LBB181_234:
	s_or_b64 exec, exec, s[10:11]
	v_cmp_eq_u32_e64 s[10:11], 10, v25
	s_and_b64 s[14:15], s[10:11], s[82:83]
	s_barrier
	s_and_saveexec_b64 s[10:11], s[14:15]
; %bb.235:
	v_xor_b32_e32 v31, 0x80000000, v13
	v_xor_b32_e32 v29, 0x80000000, v11
	v_mov_b32_e32 v28, v10
	v_mov_b32_e32 v30, v12
	ds_write_b128 v27, v[28:31]
; %bb.236:
	s_or_b64 exec, exec, s[10:11]
	v_cmp_gt_u32_e64 s[10:11], 10, v25
	s_and_b64 s[14:15], s[10:11], s[82:83]
	s_waitcnt lgkmcnt(0)
	s_barrier
	s_and_saveexec_b64 s[10:11], s[14:15]
	s_cbranch_execz .LBB181_238
; %bb.237:
	v_lshlrev_b32_e32 v32, 4, v25
	ds_read_b128 v[28:31], v27
	ds_read_b128 v[32:35], v32 offset:5120
	s_waitcnt lgkmcnt(0)
	v_mul_f64 v[36:37], v[30:31], v[34:35]
	v_mul_f64 v[34:35], v[28:29], v[34:35]
	v_fma_f64 v[28:29], v[28:29], v[32:33], -v[36:37]
	v_fma_f64 v[30:31], v[30:31], v[32:33], v[34:35]
	v_add_f64 v[10:11], v[10:11], -v[28:29]
	v_add_f64 v[12:13], v[12:13], -v[30:31]
.LBB181_238:
	s_or_b64 exec, exec, s[10:11]
	v_cmp_eq_u32_e64 s[10:11], 9, v25
	s_and_b64 s[14:15], s[10:11], s[82:83]
	s_barrier
	s_and_saveexec_b64 s[10:11], s[14:15]
; %bb.239:
	v_xor_b32_e32 v31, 0x80000000, v13
	v_xor_b32_e32 v29, 0x80000000, v11
	v_mov_b32_e32 v28, v10
	v_mov_b32_e32 v30, v12
	ds_write_b128 v27, v[28:31]
; %bb.240:
	s_or_b64 exec, exec, s[10:11]
	v_cmp_gt_u32_e64 s[10:11], 9, v25
	s_and_b64 s[14:15], s[10:11], s[82:83]
	s_waitcnt lgkmcnt(0)
	s_barrier
	s_and_saveexec_b64 s[10:11], s[14:15]
	s_cbranch_execz .LBB181_242
; %bb.241:
	v_lshlrev_b32_e32 v32, 4, v25
	ds_read_b128 v[28:31], v27
	ds_read_b128 v[32:35], v32 offset:4608
	s_waitcnt lgkmcnt(0)
	v_mul_f64 v[36:37], v[30:31], v[34:35]
	v_mul_f64 v[34:35], v[28:29], v[34:35]
	v_fma_f64 v[28:29], v[28:29], v[32:33], -v[36:37]
	v_fma_f64 v[30:31], v[30:31], v[32:33], v[34:35]
	v_add_f64 v[10:11], v[10:11], -v[28:29]
	v_add_f64 v[12:13], v[12:13], -v[30:31]
.LBB181_242:
	s_or_b64 exec, exec, s[10:11]
	v_cmp_eq_u32_e64 s[10:11], 8, v25
	s_and_b64 s[14:15], s[10:11], s[82:83]
	s_barrier
	s_and_saveexec_b64 s[10:11], s[14:15]
; %bb.243:
	v_xor_b32_e32 v31, 0x80000000, v13
	v_xor_b32_e32 v29, 0x80000000, v11
	v_mov_b32_e32 v28, v10
	v_mov_b32_e32 v30, v12
	ds_write_b128 v27, v[28:31]
; %bb.244:
	s_or_b64 exec, exec, s[10:11]
	v_cmp_gt_u32_e64 s[10:11], 8, v25
	s_and_b64 s[14:15], s[10:11], s[82:83]
	s_waitcnt lgkmcnt(0)
	s_barrier
	s_and_saveexec_b64 s[10:11], s[14:15]
	s_cbranch_execz .LBB181_246
; %bb.245:
	v_lshlrev_b32_e32 v32, 4, v25
	ds_read_b128 v[28:31], v27
	ds_read_b128 v[32:35], v32 offset:4096
	s_waitcnt lgkmcnt(0)
	v_mul_f64 v[36:37], v[30:31], v[34:35]
	v_mul_f64 v[34:35], v[28:29], v[34:35]
	v_fma_f64 v[28:29], v[28:29], v[32:33], -v[36:37]
	v_fma_f64 v[30:31], v[30:31], v[32:33], v[34:35]
	v_add_f64 v[10:11], v[10:11], -v[28:29]
	v_add_f64 v[12:13], v[12:13], -v[30:31]
.LBB181_246:
	s_or_b64 exec, exec, s[10:11]
	v_cmp_eq_u32_e64 s[10:11], 7, v25
	s_and_b64 s[14:15], s[10:11], s[82:83]
	s_barrier
	s_and_saveexec_b64 s[10:11], s[14:15]
; %bb.247:
	v_xor_b32_e32 v31, 0x80000000, v13
	v_xor_b32_e32 v29, 0x80000000, v11
	v_mov_b32_e32 v28, v10
	v_mov_b32_e32 v30, v12
	ds_write_b128 v27, v[28:31]
; %bb.248:
	s_or_b64 exec, exec, s[10:11]
	v_cmp_gt_u32_e64 s[10:11], 7, v25
	s_and_b64 s[14:15], s[10:11], s[82:83]
	s_waitcnt lgkmcnt(0)
	s_barrier
	s_and_saveexec_b64 s[10:11], s[14:15]
	s_cbranch_execz .LBB181_250
; %bb.249:
	v_lshlrev_b32_e32 v32, 4, v25
	ds_read_b128 v[28:31], v27
	ds_read_b128 v[32:35], v32 offset:3584
	s_waitcnt lgkmcnt(0)
	v_mul_f64 v[36:37], v[30:31], v[34:35]
	v_mul_f64 v[34:35], v[28:29], v[34:35]
	v_fma_f64 v[28:29], v[28:29], v[32:33], -v[36:37]
	v_fma_f64 v[30:31], v[30:31], v[32:33], v[34:35]
	v_add_f64 v[10:11], v[10:11], -v[28:29]
	v_add_f64 v[12:13], v[12:13], -v[30:31]
.LBB181_250:
	s_or_b64 exec, exec, s[10:11]
	v_cmp_eq_u32_e64 s[10:11], 6, v25
	s_and_b64 s[14:15], s[10:11], s[82:83]
	s_barrier
	s_and_saveexec_b64 s[10:11], s[14:15]
; %bb.251:
	v_xor_b32_e32 v31, 0x80000000, v13
	v_xor_b32_e32 v29, 0x80000000, v11
	v_mov_b32_e32 v28, v10
	v_mov_b32_e32 v30, v12
	ds_write_b128 v27, v[28:31]
; %bb.252:
	s_or_b64 exec, exec, s[10:11]
	v_cmp_gt_u32_e64 s[10:11], 6, v25
	s_and_b64 s[14:15], s[10:11], s[82:83]
	s_waitcnt lgkmcnt(0)
	s_barrier
	s_and_saveexec_b64 s[10:11], s[14:15]
	s_cbranch_execz .LBB181_254
; %bb.253:
	v_lshlrev_b32_e32 v32, 4, v25
	ds_read_b128 v[28:31], v27
	ds_read_b128 v[32:35], v32 offset:3072
	s_waitcnt lgkmcnt(0)
	v_mul_f64 v[36:37], v[30:31], v[34:35]
	v_mul_f64 v[34:35], v[28:29], v[34:35]
	v_fma_f64 v[28:29], v[28:29], v[32:33], -v[36:37]
	v_fma_f64 v[30:31], v[30:31], v[32:33], v[34:35]
	v_add_f64 v[10:11], v[10:11], -v[28:29]
	v_add_f64 v[12:13], v[12:13], -v[30:31]
.LBB181_254:
	s_or_b64 exec, exec, s[10:11]
	v_cmp_eq_u32_e64 s[10:11], 5, v25
	s_and_b64 s[14:15], s[10:11], s[82:83]
	s_barrier
	s_and_saveexec_b64 s[10:11], s[14:15]
; %bb.255:
	v_xor_b32_e32 v31, 0x80000000, v13
	v_xor_b32_e32 v29, 0x80000000, v11
	v_mov_b32_e32 v28, v10
	v_mov_b32_e32 v30, v12
	ds_write_b128 v27, v[28:31]
; %bb.256:
	s_or_b64 exec, exec, s[10:11]
	v_cmp_gt_u32_e64 s[10:11], 5, v25
	s_and_b64 s[14:15], s[10:11], s[82:83]
	s_waitcnt lgkmcnt(0)
	s_barrier
	s_and_saveexec_b64 s[10:11], s[14:15]
	s_cbranch_execz .LBB181_258
; %bb.257:
	v_lshlrev_b32_e32 v32, 4, v25
	ds_read_b128 v[28:31], v27
	ds_read_b128 v[32:35], v32 offset:2560
	s_waitcnt lgkmcnt(0)
	v_mul_f64 v[36:37], v[30:31], v[34:35]
	v_mul_f64 v[34:35], v[28:29], v[34:35]
	v_fma_f64 v[28:29], v[28:29], v[32:33], -v[36:37]
	v_fma_f64 v[30:31], v[30:31], v[32:33], v[34:35]
	v_add_f64 v[10:11], v[10:11], -v[28:29]
	v_add_f64 v[12:13], v[12:13], -v[30:31]
.LBB181_258:
	s_or_b64 exec, exec, s[10:11]
	v_cmp_eq_u32_e64 s[10:11], 4, v25
	s_and_b64 s[14:15], s[10:11], s[82:83]
	s_barrier
	s_and_saveexec_b64 s[10:11], s[14:15]
; %bb.259:
	v_xor_b32_e32 v31, 0x80000000, v13
	v_xor_b32_e32 v29, 0x80000000, v11
	v_mov_b32_e32 v28, v10
	v_mov_b32_e32 v30, v12
	ds_write_b128 v27, v[28:31]
; %bb.260:
	s_or_b64 exec, exec, s[10:11]
	v_cmp_gt_u32_e64 s[10:11], 4, v25
	s_and_b64 s[14:15], s[10:11], s[82:83]
	s_waitcnt lgkmcnt(0)
	s_barrier
	s_and_saveexec_b64 s[10:11], s[14:15]
	s_cbranch_execz .LBB181_262
; %bb.261:
	v_lshlrev_b32_e32 v32, 4, v25
	ds_read_b128 v[28:31], v27
	ds_read_b128 v[32:35], v32 offset:2048
	s_waitcnt lgkmcnt(0)
	v_mul_f64 v[36:37], v[30:31], v[34:35]
	v_mul_f64 v[34:35], v[28:29], v[34:35]
	v_fma_f64 v[28:29], v[28:29], v[32:33], -v[36:37]
	v_fma_f64 v[30:31], v[30:31], v[32:33], v[34:35]
	v_add_f64 v[10:11], v[10:11], -v[28:29]
	v_add_f64 v[12:13], v[12:13], -v[30:31]
.LBB181_262:
	s_or_b64 exec, exec, s[10:11]
	v_cmp_eq_u32_e64 s[10:11], 3, v25
	s_and_b64 s[14:15], s[10:11], s[82:83]
	s_barrier
	s_and_saveexec_b64 s[10:11], s[14:15]
; %bb.263:
	v_xor_b32_e32 v31, 0x80000000, v13
	v_xor_b32_e32 v29, 0x80000000, v11
	v_mov_b32_e32 v28, v10
	v_mov_b32_e32 v30, v12
	ds_write_b128 v27, v[28:31]
; %bb.264:
	s_or_b64 exec, exec, s[10:11]
	v_cmp_gt_u32_e64 s[10:11], 3, v25
	s_and_b64 s[14:15], s[10:11], s[82:83]
	s_waitcnt lgkmcnt(0)
	s_barrier
	s_and_saveexec_b64 s[10:11], s[14:15]
	s_cbranch_execz .LBB181_266
; %bb.265:
	v_lshlrev_b32_e32 v32, 4, v25
	ds_read_b128 v[28:31], v27
	ds_read_b128 v[32:35], v32 offset:1536
	s_waitcnt lgkmcnt(0)
	v_mul_f64 v[36:37], v[30:31], v[34:35]
	v_mul_f64 v[34:35], v[28:29], v[34:35]
	v_fma_f64 v[28:29], v[28:29], v[32:33], -v[36:37]
	v_fma_f64 v[30:31], v[30:31], v[32:33], v[34:35]
	v_add_f64 v[10:11], v[10:11], -v[28:29]
	v_add_f64 v[12:13], v[12:13], -v[30:31]
.LBB181_266:
	s_or_b64 exec, exec, s[10:11]
	v_cmp_eq_u32_e64 s[10:11], 2, v25
	s_and_b64 s[14:15], s[10:11], s[82:83]
	s_barrier
	s_and_saveexec_b64 s[10:11], s[14:15]
; %bb.267:
	v_xor_b32_e32 v31, 0x80000000, v13
	v_xor_b32_e32 v29, 0x80000000, v11
	v_mov_b32_e32 v28, v10
	v_mov_b32_e32 v30, v12
	ds_write_b128 v27, v[28:31]
; %bb.268:
	s_or_b64 exec, exec, s[10:11]
	v_cmp_gt_u32_e64 s[10:11], 2, v25
	s_and_b64 s[14:15], s[10:11], s[82:83]
	s_waitcnt lgkmcnt(0)
	s_barrier
	s_and_saveexec_b64 s[10:11], s[14:15]
	s_cbranch_execz .LBB181_270
; %bb.269:
	v_lshlrev_b32_e32 v32, 4, v25
	ds_read_b128 v[28:31], v27
	ds_read_b128 v[32:35], v32 offset:1024
	s_waitcnt lgkmcnt(0)
	v_mul_f64 v[36:37], v[30:31], v[34:35]
	v_mul_f64 v[34:35], v[28:29], v[34:35]
	v_fma_f64 v[28:29], v[28:29], v[32:33], -v[36:37]
	v_fma_f64 v[30:31], v[30:31], v[32:33], v[34:35]
	v_add_f64 v[10:11], v[10:11], -v[28:29]
	v_add_f64 v[12:13], v[12:13], -v[30:31]
.LBB181_270:
	s_or_b64 exec, exec, s[10:11]
	v_cmp_eq_u32_e64 s[10:11], 1, v25
	s_and_b64 s[14:15], s[10:11], s[82:83]
	s_barrier
	s_and_saveexec_b64 s[10:11], s[14:15]
; %bb.271:
	v_xor_b32_e32 v31, 0x80000000, v13
	v_xor_b32_e32 v29, 0x80000000, v11
	v_mov_b32_e32 v28, v10
	v_mov_b32_e32 v30, v12
	ds_write_b128 v27, v[28:31]
; %bb.272:
	s_or_b64 exec, exec, s[10:11]
	v_cmp_eq_u32_e64 s[10:11], 0, v25
	s_and_b64 s[10:11], s[10:11], s[82:83]
	s_waitcnt lgkmcnt(0)
	s_barrier
	s_and_saveexec_b64 s[14:15], s[10:11]
	s_cbranch_execz .LBB181_274
; %bb.273:
	v_mov_b32_e32 v32, 0
	ds_read_b128 v[28:31], v27
	ds_read_b128 v[32:35], v32 offset:512
	s_waitcnt lgkmcnt(0)
	v_mul_f64 v[36:37], v[30:31], v[34:35]
	v_mul_f64 v[34:35], v[28:29], v[34:35]
	v_fma_f64 v[28:29], v[28:29], v[32:33], -v[36:37]
	v_fma_f64 v[30:31], v[30:31], v[32:33], v[34:35]
	v_add_f64 v[10:11], v[10:11], -v[28:29]
	v_add_f64 v[12:13], v[12:13], -v[30:31]
.LBB181_274:
	s_or_b64 exec, exec, s[14:15]
	s_barrier
	s_and_saveexec_b64 s[14:15], s[10:11]
; %bb.275:
	v_xor_b32_e32 v31, 0x80000000, v13
	v_xor_b32_e32 v29, 0x80000000, v11
	v_mov_b32_e32 v28, v10
	v_mov_b32_e32 v30, v12
	ds_write_b128 v27, v[28:31]
; %bb.276:
	s_or_b64 exec, exec, s[14:15]
	s_waitcnt lgkmcnt(0)
	s_barrier
	s_barrier
	s_and_saveexec_b64 s[10:11], s[8:9]
; %bb.277:
	v_lshlrev_b32_e32 v25, 4, v25
	v_lshl_or_b32 v25, v26, 9, v25
	ds_write_b128 v25, v[10:13] offset:8192
; %bb.278:
	s_or_b64 exec, exec, s[10:11]
	s_waitcnt lgkmcnt(0)
	s_barrier
	s_barrier
	s_and_saveexec_b64 s[8:9], vcc
	s_cbranch_execz .LBB181_280
; %bb.279:
	s_mov_b32 s92, 0
	s_mov_b32 s93, 0x3ff00000
	;; [unrolled: 1-line block ×4, first 2 shown]
	v_mov_b32_e32 v10, s92
	v_mov_b32_e32 v25, 0
	;; [unrolled: 1-line block ×5, first 2 shown]
	ds_write_b128 v25, v[10:13] offset:7392
	ds_write_b128 v25, v[10:13] offset:7920
.LBB181_280:
	s_or_b64 exec, exec, s[8:9]
	v_mov_b32_e32 v10, 0
	v_mov_b32_e32 v12, 0
	;; [unrolled: 1-line block ×4, first 2 shown]
	s_waitcnt lgkmcnt(0)
	s_barrier
	buffer_wbinvl1_vol
	s_and_saveexec_b64 s[10:11], s[0:1]
	s_cbranch_execz .LBB181_284
; %bb.281:
	v_lshlrev_b32_e32 v25, 4, v14
	v_lshlrev_b32_e32 v10, 9, v15
	ds_read_b128 v[10:13], v10 offset:7392
	ds_read_b128 v[25:28], v25 offset:7360
	v_cmp_gt_u32_e64 s[8:9], 2, v17
	s_waitcnt lgkmcnt(0)
	v_mul_f64 v[29:30], v[12:13], v[27:28]
	v_mul_f64 v[27:28], v[10:11], v[27:28]
	v_fma_f64 v[10:11], v[10:11], v[25:26], -v[29:30]
	v_fma_f64 v[12:13], v[12:13], v[25:26], v[27:28]
	v_add_f64 v[10:11], v[10:11], 0
	v_add_f64 v[12:13], v[12:13], 0
	s_and_saveexec_b64 s[14:15], s[8:9]
	s_cbranch_execz .LBB181_283
; %bb.282:
	v_lshlrev_b32_e32 v29, 4, v0
	v_mov_b32_e32 v25, 0
	ds_read_b128 v[25:28], v25 offset:7920
	ds_read_b128 v[29:32], v29 offset:7872
	s_waitcnt lgkmcnt(0)
	v_mul_f64 v[33:34], v[27:28], v[31:32]
	v_mul_f64 v[31:32], v[25:26], v[31:32]
	v_fma_f64 v[25:26], v[25:26], v[29:30], -v[33:34]
	v_fma_f64 v[27:28], v[27:28], v[29:30], v[31:32]
	v_add_f64 v[10:11], v[10:11], v[25:26]
	v_add_f64 v[12:13], v[12:13], v[27:28]
.LBB181_283:
	s_or_b64 exec, exec, s[14:15]
.LBB181_284:
	s_or_b64 exec, exec, s[10:11]
	s_and_saveexec_b64 s[8:9], s[40:41]
; %bb.285:
	v_xor_b32_e32 v26, 0x80000000, v11
	v_xor_b32_e32 v28, 0x80000000, v13
	v_mov_b32_e32 v25, v10
	v_mov_b32_e32 v27, v12
	ds_write_b128 v16, v[25:28]
; %bb.286:
	s_or_b64 exec, exec, s[8:9]
	s_waitcnt lgkmcnt(0)
	s_barrier
	s_and_saveexec_b64 s[8:9], s[38:39]
	s_cbranch_execz .LBB181_288
; %bb.287:
	v_mov_b32_e32 v29, 0
	ds_read_b128 v[25:28], v16
	ds_read_b128 v[29:32], v29 offset:6848
	s_waitcnt lgkmcnt(0)
	v_mul_f64 v[33:34], v[25:26], v[29:30]
	v_mul_f64 v[25:26], v[25:26], v[31:32]
	v_fma_f64 v[31:32], v[27:28], v[31:32], -v[33:34]
	v_fma_f64 v[25:26], v[27:28], v[29:30], v[25:26]
	v_add_f64 v[10:11], v[10:11], v[31:32]
	v_add_f64 v[12:13], v[12:13], -v[25:26]
.LBB181_288:
	s_or_b64 exec, exec, s[8:9]
	s_barrier
	s_and_saveexec_b64 s[8:9], s[38:39]
; %bb.289:
	v_xor_b32_e32 v26, 0x80000000, v11
	v_xor_b32_e32 v28, 0x80000000, v13
	v_mov_b32_e32 v25, v10
	v_mov_b32_e32 v27, v12
	ds_write_b128 v16, v[25:28]
; %bb.290:
	s_or_b64 exec, exec, s[8:9]
	s_waitcnt lgkmcnt(0)
	s_barrier
	s_barrier
	s_and_saveexec_b64 s[8:9], s[0:1]
; %bb.291:
	v_lshlrev_b32_e32 v25, 4, v14
	v_lshl_or_b32 v25, v15, 9, v25
	ds_write_b128 v25, v[10:13] offset:7360
; %bb.292:
	s_or_b64 exec, exec, s[8:9]
	s_waitcnt lgkmcnt(0)
	s_barrier
	s_barrier
	s_and_saveexec_b64 s[8:9], vcc
	s_cbranch_execz .LBB181_294
; %bb.293:
	s_mov_b32 s92, 0
	s_mov_b32 s93, 0x3ff00000
	;; [unrolled: 1-line block ×4, first 2 shown]
	v_mov_b32_e32 v10, s92
	v_mov_b32_e32 v25, 0
	;; [unrolled: 1-line block ×5, first 2 shown]
	ds_write_b128 v25, v[10:13] offset:6336
	ds_write_b128 v25, v[10:13] offset:6864
.LBB181_294:
	s_or_b64 exec, exec, s[8:9]
	v_mov_b32_e32 v12, 0
	v_mov_b32_e32 v10, 0
	;; [unrolled: 1-line block ×4, first 2 shown]
	s_waitcnt lgkmcnt(0)
	s_barrier
	buffer_wbinvl1_vol
	s_and_saveexec_b64 s[10:11], s[2:3]
	s_cbranch_execz .LBB181_300
; %bb.295:
	v_lshlrev_b32_e32 v26, 9, v19
	v_lshlrev_b32_e32 v25, 4, v18
	ds_read_b128 v[10:13], v26 offset:6336
	ds_read_b128 v[27:30], v25 offset:6272
	v_cmp_gt_u32_e64 s[8:9], 12, v17
	s_waitcnt lgkmcnt(0)
	v_mul_f64 v[31:32], v[12:13], v[29:30]
	v_mul_f64 v[29:30], v[10:11], v[29:30]
	v_fma_f64 v[10:11], v[10:11], v[27:28], -v[31:32]
	v_fma_f64 v[12:13], v[12:13], v[27:28], v[29:30]
	v_add_f64 v[10:11], v[10:11], 0
	v_add_f64 v[12:13], v[12:13], 0
	s_and_saveexec_b64 s[14:15], s[8:9]
	s_cbranch_execnz .LBB181_501
; %bb.296:
	s_or_b64 exec, exec, s[14:15]
	v_cmp_gt_u32_e64 s[8:9], 8, v17
	s_and_saveexec_b64 s[14:15], s[8:9]
	s_cbranch_execnz .LBB181_502
.LBB181_297:
	s_or_b64 exec, exec, s[14:15]
	v_cmp_gt_u32_e64 s[8:9], 4, v17
	s_and_saveexec_b64 s[14:15], s[8:9]
	s_cbranch_execz .LBB181_299
.LBB181_298:
	v_lshlrev_b32_e32 v29, 4, v0
	v_mov_b32_e32 v25, 0
	ds_read_b128 v[25:28], v25 offset:7920
	ds_read_b128 v[29:32], v29 offset:7808
	s_waitcnt lgkmcnt(0)
	v_mul_f64 v[33:34], v[27:28], v[31:32]
	v_mul_f64 v[31:32], v[25:26], v[31:32]
	v_fma_f64 v[25:26], v[25:26], v[29:30], -v[33:34]
	v_fma_f64 v[27:28], v[27:28], v[29:30], v[31:32]
	v_add_f64 v[10:11], v[10:11], v[25:26]
	v_add_f64 v[12:13], v[12:13], v[27:28]
.LBB181_299:
	s_or_b64 exec, exec, s[14:15]
.LBB181_300:
	s_or_b64 exec, exec, s[10:11]
	s_and_saveexec_b64 s[8:9], s[44:45]
; %bb.301:
	v_xor_b32_e32 v28, 0x80000000, v13
	v_xor_b32_e32 v26, 0x80000000, v11
	v_mov_b32_e32 v25, v10
	v_mov_b32_e32 v27, v12
	ds_write_b128 v20, v[25:28]
; %bb.302:
	s_or_b64 exec, exec, s[8:9]
	s_waitcnt lgkmcnt(0)
	s_barrier
	s_and_saveexec_b64 s[8:9], s[46:47]
	s_cbranch_execz .LBB181_304
; %bb.303:
	v_lshlrev_b32_e32 v29, 4, v18
	ds_read_b128 v[25:28], v20
	ds_read_b128 v[29:32], v29 offset:5760
	s_waitcnt lgkmcnt(0)
	v_mul_f64 v[33:34], v[27:28], v[31:32]
	v_mul_f64 v[31:32], v[25:26], v[31:32]
	v_fma_f64 v[25:26], v[25:26], v[29:30], -v[33:34]
	v_fma_f64 v[27:28], v[27:28], v[29:30], v[31:32]
	v_add_f64 v[10:11], v[10:11], -v[25:26]
	v_add_f64 v[12:13], v[12:13], -v[27:28]
.LBB181_304:
	s_or_b64 exec, exec, s[8:9]
	s_barrier
	s_and_saveexec_b64 s[8:9], s[48:49]
; %bb.305:
	v_xor_b32_e32 v28, 0x80000000, v13
	v_xor_b32_e32 v26, 0x80000000, v11
	v_mov_b32_e32 v25, v10
	v_mov_b32_e32 v27, v12
	ds_write_b128 v20, v[25:28]
; %bb.306:
	s_or_b64 exec, exec, s[8:9]
	s_waitcnt lgkmcnt(0)
	s_barrier
	s_and_saveexec_b64 s[8:9], s[50:51]
	s_cbranch_execz .LBB181_308
; %bb.307:
	v_lshlrev_b32_e32 v29, 4, v18
	ds_read_b128 v[25:28], v20
	ds_read_b128 v[29:32], v29 offset:5248
	s_waitcnt lgkmcnt(0)
	v_mul_f64 v[33:34], v[27:28], v[31:32]
	v_mul_f64 v[31:32], v[25:26], v[31:32]
	v_fma_f64 v[25:26], v[25:26], v[29:30], -v[33:34]
	v_fma_f64 v[27:28], v[27:28], v[29:30], v[31:32]
	v_add_f64 v[10:11], v[10:11], -v[25:26]
	v_add_f64 v[12:13], v[12:13], -v[27:28]
.LBB181_308:
	s_or_b64 exec, exec, s[8:9]
	s_barrier
	s_and_saveexec_b64 s[8:9], s[52:53]
; %bb.309:
	v_xor_b32_e32 v28, 0x80000000, v13
	v_xor_b32_e32 v26, 0x80000000, v11
	v_mov_b32_e32 v25, v10
	v_mov_b32_e32 v27, v12
	ds_write_b128 v20, v[25:28]
; %bb.310:
	s_or_b64 exec, exec, s[8:9]
	s_waitcnt lgkmcnt(0)
	s_barrier
	s_and_saveexec_b64 s[8:9], s[42:43]
	s_cbranch_execz .LBB181_312
; %bb.311:
	v_mov_b32_e32 v29, 0
	ds_read_b128 v[25:28], v20
	ds_read_b128 v[29:32], v29 offset:4736
	s_waitcnt lgkmcnt(0)
	v_mul_f64 v[33:34], v[27:28], v[31:32]
	v_mul_f64 v[31:32], v[25:26], v[31:32]
	v_fma_f64 v[25:26], v[25:26], v[29:30], -v[33:34]
	v_fma_f64 v[27:28], v[27:28], v[29:30], v[31:32]
	v_add_f64 v[10:11], v[10:11], -v[25:26]
	v_add_f64 v[12:13], v[12:13], -v[27:28]
.LBB181_312:
	s_or_b64 exec, exec, s[8:9]
	s_barrier
	s_and_saveexec_b64 s[8:9], s[42:43]
; %bb.313:
	v_xor_b32_e32 v28, 0x80000000, v13
	v_xor_b32_e32 v26, 0x80000000, v11
	v_mov_b32_e32 v25, v10
	v_mov_b32_e32 v27, v12
	ds_write_b128 v20, v[25:28]
; %bb.314:
	s_or_b64 exec, exec, s[8:9]
	s_waitcnt lgkmcnt(0)
	s_barrier
	s_barrier
	s_and_saveexec_b64 s[8:9], s[2:3]
; %bb.315:
	v_lshlrev_b32_e32 v25, 4, v18
	v_lshl_or_b32 v25, v19, 9, v25
	ds_write_b128 v25, v[10:13] offset:6272
; %bb.316:
	s_or_b64 exec, exec, s[8:9]
	s_waitcnt lgkmcnt(0)
	s_barrier
	s_barrier
	s_and_saveexec_b64 s[8:9], vcc
	s_cbranch_execz .LBB181_318
; %bb.317:
	s_mov_b32 s92, 0
	s_mov_b32 s93, 0x3ff00000
	;; [unrolled: 1-line block ×4, first 2 shown]
	v_mov_b32_e32 v10, s92
	v_mov_b32_e32 v25, 0
	;; [unrolled: 1-line block ×5, first 2 shown]
	ds_write_b128 v25, v[10:13] offset:5280
	ds_write_b128 v25, v[10:13] offset:5808
.LBB181_318:
	s_or_b64 exec, exec, s[8:9]
	v_mov_b32_e32 v10, 0
	v_mov_b32_e32 v12, 0
	;; [unrolled: 1-line block ×4, first 2 shown]
	s_waitcnt lgkmcnt(0)
	s_barrier
	buffer_wbinvl1_vol
	s_and_saveexec_b64 s[10:11], s[0:1]
	s_cbranch_execz .LBB181_322
; %bb.319:
	v_lshlrev_b32_e32 v25, 4, v14
	v_lshlrev_b32_e32 v10, 9, v15
	ds_read_b128 v[10:13], v10 offset:5280
	ds_read_b128 v[25:28], v25 offset:5248
	v_cmp_gt_u32_e64 s[8:9], 2, v17
	s_waitcnt lgkmcnt(0)
	v_mul_f64 v[29:30], v[12:13], v[27:28]
	v_mul_f64 v[27:28], v[10:11], v[27:28]
	v_fma_f64 v[10:11], v[10:11], v[25:26], -v[29:30]
	v_fma_f64 v[12:13], v[12:13], v[25:26], v[27:28]
	v_add_f64 v[10:11], v[10:11], 0
	v_add_f64 v[12:13], v[12:13], 0
	s_and_saveexec_b64 s[14:15], s[8:9]
	s_cbranch_execz .LBB181_321
; %bb.320:
	v_lshlrev_b32_e32 v29, 4, v0
	v_mov_b32_e32 v25, 0
	ds_read_b128 v[25:28], v25 offset:5808
	ds_read_b128 v[29:32], v29 offset:5760
	s_waitcnt lgkmcnt(0)
	v_mul_f64 v[33:34], v[27:28], v[31:32]
	v_mul_f64 v[31:32], v[25:26], v[31:32]
	v_fma_f64 v[25:26], v[25:26], v[29:30], -v[33:34]
	v_fma_f64 v[27:28], v[27:28], v[29:30], v[31:32]
	v_add_f64 v[10:11], v[10:11], v[25:26]
	v_add_f64 v[12:13], v[12:13], v[27:28]
.LBB181_321:
	s_or_b64 exec, exec, s[14:15]
.LBB181_322:
	s_or_b64 exec, exec, s[10:11]
	s_and_saveexec_b64 s[8:9], s[40:41]
; %bb.323:
	v_xor_b32_e32 v26, 0x80000000, v11
	v_xor_b32_e32 v28, 0x80000000, v13
	v_mov_b32_e32 v25, v10
	v_mov_b32_e32 v27, v12
	ds_write_b128 v16, v[25:28]
; %bb.324:
	s_or_b64 exec, exec, s[8:9]
	s_waitcnt lgkmcnt(0)
	s_barrier
	s_and_saveexec_b64 s[8:9], s[38:39]
	s_cbranch_execz .LBB181_326
; %bb.325:
	v_mov_b32_e32 v29, 0
	ds_read_b128 v[25:28], v16
	ds_read_b128 v[29:32], v29 offset:4736
	s_waitcnt lgkmcnt(0)
	v_mul_f64 v[33:34], v[25:26], v[29:30]
	v_mul_f64 v[25:26], v[25:26], v[31:32]
	v_fma_f64 v[31:32], v[27:28], v[31:32], -v[33:34]
	v_fma_f64 v[25:26], v[27:28], v[29:30], v[25:26]
	v_add_f64 v[10:11], v[10:11], v[31:32]
	v_add_f64 v[12:13], v[12:13], -v[25:26]
.LBB181_326:
	s_or_b64 exec, exec, s[8:9]
	s_barrier
	s_and_saveexec_b64 s[8:9], s[38:39]
; %bb.327:
	v_xor_b32_e32 v26, 0x80000000, v11
	v_xor_b32_e32 v28, 0x80000000, v13
	v_mov_b32_e32 v25, v10
	v_mov_b32_e32 v27, v12
	ds_write_b128 v16, v[25:28]
; %bb.328:
	s_or_b64 exec, exec, s[8:9]
	s_waitcnt lgkmcnt(0)
	s_barrier
	s_barrier
	s_and_saveexec_b64 s[8:9], s[0:1]
; %bb.329:
	v_lshlrev_b32_e32 v25, 4, v14
	v_lshl_or_b32 v25, v15, 9, v25
	ds_write_b128 v25, v[10:13] offset:5248
; %bb.330:
	s_or_b64 exec, exec, s[8:9]
	s_waitcnt lgkmcnt(0)
	s_barrier
	s_barrier
	s_and_saveexec_b64 s[8:9], vcc
	s_cbranch_execz .LBB181_332
; %bb.331:
	s_mov_b32 s92, 0
	s_mov_b32 s93, 0x3ff00000
	;; [unrolled: 1-line block ×4, first 2 shown]
	v_mov_b32_e32 v10, s92
	v_mov_b32_e32 v25, 0
	;; [unrolled: 1-line block ×5, first 2 shown]
	ds_write_b128 v25, v[10:13] offset:4224
	ds_write_b128 v25, v[10:13] offset:4752
.LBB181_332:
	s_or_b64 exec, exec, s[8:9]
	v_mov_b32_e32 v12, 0
	v_mov_b32_e32 v10, 0
	v_mov_b32_e32 v13, 0
	v_mov_b32_e32 v11, 0
	s_waitcnt lgkmcnt(0)
	s_barrier
	buffer_wbinvl1_vol
	s_and_saveexec_b64 s[10:11], s[12:13]
	s_cbranch_execz .LBB181_342
; %bb.333:
	v_lshlrev_b32_e32 v26, 9, v23
	v_lshlrev_b32_e32 v25, 4, v22
	ds_read_b128 v[10:13], v26 offset:4224
	ds_read_b128 v[27:30], v25 offset:4096
	v_cmp_gt_u32_e64 s[8:9], 56, v17
	s_waitcnt lgkmcnt(0)
	v_mul_f64 v[31:32], v[12:13], v[29:30]
	v_mul_f64 v[29:30], v[10:11], v[29:30]
	v_fma_f64 v[10:11], v[10:11], v[27:28], -v[31:32]
	v_fma_f64 v[12:13], v[12:13], v[27:28], v[29:30]
	v_add_f64 v[10:11], v[10:11], 0
	v_add_f64 v[12:13], v[12:13], 0
	s_and_saveexec_b64 s[14:15], s[8:9]
	s_cbranch_execnz .LBB181_503
; %bb.334:
	s_or_b64 exec, exec, s[14:15]
	v_cmp_gt_u32_e64 s[8:9], 48, v17
	s_and_saveexec_b64 s[14:15], s[8:9]
	s_cbranch_execnz .LBB181_504
.LBB181_335:
	s_or_b64 exec, exec, s[14:15]
	v_cmp_gt_u32_e64 s[8:9], 40, v17
	s_and_saveexec_b64 s[14:15], s[8:9]
	s_cbranch_execnz .LBB181_505
.LBB181_336:
	s_or_b64 exec, exec, s[14:15]
	v_cmp_gt_u32_e64 s[8:9], 32, v17
	s_and_saveexec_b64 s[14:15], s[8:9]
	s_cbranch_execnz .LBB181_506
.LBB181_337:
	s_or_b64 exec, exec, s[14:15]
	v_cmp_gt_u32_e64 s[8:9], 24, v17
	s_and_saveexec_b64 s[14:15], s[8:9]
	s_cbranch_execnz .LBB181_507
.LBB181_338:
	s_or_b64 exec, exec, s[14:15]
	s_and_saveexec_b64 s[8:9], s[2:3]
	s_cbranch_execnz .LBB181_508
.LBB181_339:
	s_or_b64 exec, exec, s[8:9]
	v_cmp_gt_u32_e64 s[8:9], 8, v17
	s_and_saveexec_b64 s[14:15], s[8:9]
	s_cbranch_execz .LBB181_341
.LBB181_340:
	v_lshlrev_b32_e32 v29, 4, v0
	v_mov_b32_e32 v25, 0
	ds_read_b128 v[25:28], v25 offset:7920
	ds_read_b128 v[29:32], v29 offset:7680
	s_waitcnt lgkmcnt(0)
	v_mul_f64 v[33:34], v[27:28], v[31:32]
	v_mul_f64 v[31:32], v[25:26], v[31:32]
	v_fma_f64 v[25:26], v[25:26], v[29:30], -v[33:34]
	v_fma_f64 v[27:28], v[27:28], v[29:30], v[31:32]
	v_add_f64 v[10:11], v[10:11], v[25:26]
	v_add_f64 v[12:13], v[12:13], v[27:28]
.LBB181_341:
	s_or_b64 exec, exec, s[14:15]
.LBB181_342:
	s_or_b64 exec, exec, s[10:11]
	s_and_saveexec_b64 s[8:9], s[56:57]
; %bb.343:
	v_xor_b32_e32 v26, 0x80000000, v11
	v_xor_b32_e32 v28, 0x80000000, v13
	v_mov_b32_e32 v25, v10
	v_mov_b32_e32 v27, v12
	ds_write_b128 v24, v[25:28]
; %bb.344:
	s_or_b64 exec, exec, s[8:9]
	s_waitcnt lgkmcnt(0)
	s_barrier
	s_and_saveexec_b64 s[8:9], s[58:59]
	s_cbranch_execz .LBB181_346
; %bb.345:
	v_lshlrev_b32_e32 v29, 4, v22
	ds_read_b128 v[25:28], v24
	ds_read_b128 v[29:32], v29 offset:3584
	s_waitcnt lgkmcnt(0)
	v_mul_f64 v[33:34], v[27:28], v[31:32]
	v_mul_f64 v[31:32], v[25:26], v[31:32]
	v_fma_f64 v[25:26], v[25:26], v[29:30], -v[33:34]
	v_fma_f64 v[27:28], v[27:28], v[29:30], v[31:32]
	v_add_f64 v[10:11], v[10:11], -v[25:26]
	v_add_f64 v[12:13], v[12:13], -v[27:28]
.LBB181_346:
	s_or_b64 exec, exec, s[8:9]
	s_barrier
	s_and_saveexec_b64 s[8:9], s[60:61]
; %bb.347:
	v_xor_b32_e32 v26, 0x80000000, v11
	v_xor_b32_e32 v28, 0x80000000, v13
	v_mov_b32_e32 v25, v10
	v_mov_b32_e32 v27, v12
	ds_write_b128 v24, v[25:28]
; %bb.348:
	s_or_b64 exec, exec, s[8:9]
	s_waitcnt lgkmcnt(0)
	s_barrier
	s_and_saveexec_b64 s[8:9], s[62:63]
	s_cbranch_execz .LBB181_350
; %bb.349:
	v_lshlrev_b32_e32 v29, 4, v22
	ds_read_b128 v[25:28], v24
	ds_read_b128 v[29:32], v29 offset:3072
	s_waitcnt lgkmcnt(0)
	v_mul_f64 v[33:34], v[27:28], v[31:32]
	v_mul_f64 v[31:32], v[25:26], v[31:32]
	v_fma_f64 v[25:26], v[25:26], v[29:30], -v[33:34]
	v_fma_f64 v[27:28], v[27:28], v[29:30], v[31:32]
	v_add_f64 v[10:11], v[10:11], -v[25:26]
	v_add_f64 v[12:13], v[12:13], -v[27:28]
.LBB181_350:
	s_or_b64 exec, exec, s[8:9]
	s_barrier
	;; [unrolled: 27-line block ×6, first 2 shown]
	s_and_saveexec_b64 s[8:9], s[80:81]
; %bb.367:
	v_xor_b32_e32 v26, 0x80000000, v11
	v_xor_b32_e32 v28, 0x80000000, v13
	v_mov_b32_e32 v25, v10
	v_mov_b32_e32 v27, v12
	ds_write_b128 v24, v[25:28]
; %bb.368:
	s_or_b64 exec, exec, s[8:9]
	s_waitcnt lgkmcnt(0)
	s_barrier
	s_and_saveexec_b64 s[8:9], s[54:55]
	s_cbranch_execz .LBB181_370
; %bb.369:
	v_mov_b32_e32 v29, 0
	ds_read_b128 v[25:28], v24
	ds_read_b128 v[29:32], v29 offset:512
	s_waitcnt lgkmcnt(0)
	v_mul_f64 v[33:34], v[27:28], v[31:32]
	v_mul_f64 v[31:32], v[25:26], v[31:32]
	v_fma_f64 v[25:26], v[25:26], v[29:30], -v[33:34]
	v_fma_f64 v[27:28], v[27:28], v[29:30], v[31:32]
	v_add_f64 v[10:11], v[10:11], -v[25:26]
	v_add_f64 v[12:13], v[12:13], -v[27:28]
.LBB181_370:
	s_or_b64 exec, exec, s[8:9]
	s_barrier
	s_and_saveexec_b64 s[8:9], s[54:55]
; %bb.371:
	v_xor_b32_e32 v26, 0x80000000, v11
	v_xor_b32_e32 v28, 0x80000000, v13
	v_mov_b32_e32 v25, v10
	v_mov_b32_e32 v27, v12
	ds_write_b128 v24, v[25:28]
; %bb.372:
	s_or_b64 exec, exec, s[8:9]
	s_waitcnt lgkmcnt(0)
	s_barrier
	s_barrier
	s_and_saveexec_b64 s[8:9], s[12:13]
; %bb.373:
	v_lshlrev_b32_e32 v22, 4, v22
	v_lshl_or_b32 v22, v23, 9, v22
	ds_write_b128 v22, v[10:13] offset:4096
; %bb.374:
	s_or_b64 exec, exec, s[8:9]
	s_waitcnt lgkmcnt(0)
	s_barrier
	s_barrier
	s_and_saveexec_b64 s[8:9], vcc
	s_cbranch_execz .LBB181_376
; %bb.375:
	s_mov_b32 s12, 0
	s_mov_b32 s13, 0x3ff00000
	;; [unrolled: 1-line block ×4, first 2 shown]
	v_mov_b32_e32 v10, s12
	v_mov_b32_e32 v22, 0
	;; [unrolled: 1-line block ×5, first 2 shown]
	ds_write_b128 v22, v[10:13] offset:3168
	ds_write_b128 v22, v[10:13] offset:3696
.LBB181_376:
	s_or_b64 exec, exec, s[8:9]
	v_mov_b32_e32 v10, 0
	v_mov_b32_e32 v12, 0
	;; [unrolled: 1-line block ×4, first 2 shown]
	s_waitcnt lgkmcnt(0)
	s_barrier
	buffer_wbinvl1_vol
	s_and_saveexec_b64 s[10:11], s[0:1]
	s_cbranch_execz .LBB181_380
; %bb.377:
	v_lshlrev_b32_e32 v22, 4, v14
	v_lshlrev_b32_e32 v10, 9, v15
	ds_read_b128 v[10:13], v10 offset:3168
	ds_read_b128 v[22:25], v22 offset:3136
	v_cmp_gt_u32_e64 s[8:9], 2, v17
	s_waitcnt lgkmcnt(0)
	v_mul_f64 v[26:27], v[12:13], v[24:25]
	v_mul_f64 v[24:25], v[10:11], v[24:25]
	v_fma_f64 v[10:11], v[10:11], v[22:23], -v[26:27]
	v_fma_f64 v[12:13], v[12:13], v[22:23], v[24:25]
	v_add_f64 v[10:11], v[10:11], 0
	v_add_f64 v[12:13], v[12:13], 0
	s_and_saveexec_b64 s[12:13], s[8:9]
	s_cbranch_execz .LBB181_379
; %bb.378:
	v_lshlrev_b32_e32 v26, 4, v0
	v_mov_b32_e32 v22, 0
	ds_read_b128 v[22:25], v22 offset:3696
	ds_read_b128 v[26:29], v26 offset:3648
	s_waitcnt lgkmcnt(0)
	v_mul_f64 v[30:31], v[24:25], v[28:29]
	v_mul_f64 v[28:29], v[22:23], v[28:29]
	v_fma_f64 v[22:23], v[22:23], v[26:27], -v[30:31]
	v_fma_f64 v[24:25], v[24:25], v[26:27], v[28:29]
	v_add_f64 v[10:11], v[10:11], v[22:23]
	v_add_f64 v[12:13], v[12:13], v[24:25]
.LBB181_379:
	s_or_b64 exec, exec, s[12:13]
.LBB181_380:
	s_or_b64 exec, exec, s[10:11]
	s_and_saveexec_b64 s[8:9], s[40:41]
; %bb.381:
	v_xor_b32_e32 v23, 0x80000000, v11
	v_xor_b32_e32 v25, 0x80000000, v13
	v_mov_b32_e32 v22, v10
	v_mov_b32_e32 v24, v12
	ds_write_b128 v16, v[22:25]
; %bb.382:
	s_or_b64 exec, exec, s[8:9]
	s_waitcnt lgkmcnt(0)
	s_barrier
	s_and_saveexec_b64 s[8:9], s[38:39]
	s_cbranch_execz .LBB181_384
; %bb.383:
	v_mov_b32_e32 v26, 0
	ds_read_b128 v[22:25], v16
	ds_read_b128 v[26:29], v26 offset:2624
	s_waitcnt lgkmcnt(0)
	v_mul_f64 v[30:31], v[22:23], v[26:27]
	v_mul_f64 v[22:23], v[22:23], v[28:29]
	v_fma_f64 v[28:29], v[24:25], v[28:29], -v[30:31]
	v_fma_f64 v[22:23], v[24:25], v[26:27], v[22:23]
	v_add_f64 v[10:11], v[10:11], v[28:29]
	v_add_f64 v[12:13], v[12:13], -v[22:23]
.LBB181_384:
	s_or_b64 exec, exec, s[8:9]
	s_barrier
	s_and_saveexec_b64 s[8:9], s[38:39]
; %bb.385:
	v_xor_b32_e32 v23, 0x80000000, v11
	v_xor_b32_e32 v25, 0x80000000, v13
	v_mov_b32_e32 v22, v10
	v_mov_b32_e32 v24, v12
	ds_write_b128 v16, v[22:25]
; %bb.386:
	s_or_b64 exec, exec, s[8:9]
	s_waitcnt lgkmcnt(0)
	s_barrier
	s_barrier
	s_and_saveexec_b64 s[8:9], s[0:1]
; %bb.387:
	v_lshlrev_b32_e32 v22, 4, v14
	v_lshl_or_b32 v22, v15, 9, v22
	ds_write_b128 v22, v[10:13] offset:3136
; %bb.388:
	s_or_b64 exec, exec, s[8:9]
	s_waitcnt lgkmcnt(0)
	s_barrier
	s_barrier
	s_and_saveexec_b64 s[8:9], vcc
	s_cbranch_execz .LBB181_390
; %bb.389:
	s_mov_b32 s12, 0
	s_mov_b32 s13, 0x3ff00000
	;; [unrolled: 1-line block ×4, first 2 shown]
	v_mov_b32_e32 v10, s12
	v_mov_b32_e32 v22, 0
	;; [unrolled: 1-line block ×5, first 2 shown]
	ds_write_b128 v22, v[10:13] offset:2112
	ds_write_b128 v22, v[10:13] offset:2640
.LBB181_390:
	s_or_b64 exec, exec, s[8:9]
	v_mov_b32_e32 v12, 0
	v_mov_b32_e32 v10, 0
	;; [unrolled: 1-line block ×4, first 2 shown]
	s_waitcnt lgkmcnt(0)
	s_barrier
	buffer_wbinvl1_vol
	s_and_saveexec_b64 s[10:11], s[2:3]
	s_cbranch_execz .LBB181_396
; %bb.391:
	v_lshlrev_b32_e32 v23, 9, v19
	v_lshlrev_b32_e32 v22, 4, v18
	ds_read_b128 v[10:13], v23 offset:2112
	ds_read_b128 v[24:27], v22 offset:2048
	v_cmp_gt_u32_e64 s[8:9], 12, v17
	s_waitcnt lgkmcnt(0)
	v_mul_f64 v[28:29], v[12:13], v[26:27]
	v_mul_f64 v[26:27], v[10:11], v[26:27]
	v_fma_f64 v[10:11], v[10:11], v[24:25], -v[28:29]
	v_fma_f64 v[12:13], v[12:13], v[24:25], v[26:27]
	v_add_f64 v[10:11], v[10:11], 0
	v_add_f64 v[12:13], v[12:13], 0
	s_and_saveexec_b64 s[12:13], s[8:9]
	s_cbranch_execnz .LBB181_509
; %bb.392:
	s_or_b64 exec, exec, s[12:13]
	v_cmp_gt_u32_e64 s[8:9], 8, v17
	s_and_saveexec_b64 s[12:13], s[8:9]
	s_cbranch_execnz .LBB181_510
.LBB181_393:
	s_or_b64 exec, exec, s[12:13]
	v_cmp_gt_u32_e64 s[8:9], 4, v17
	s_and_saveexec_b64 s[12:13], s[8:9]
	s_cbranch_execz .LBB181_395
.LBB181_394:
	v_lshlrev_b32_e32 v26, 4, v0
	v_mov_b32_e32 v22, 0
	ds_read_b128 v[22:25], v22 offset:3696
	ds_read_b128 v[26:29], v26 offset:3584
	s_waitcnt lgkmcnt(0)
	v_mul_f64 v[30:31], v[24:25], v[28:29]
	v_mul_f64 v[28:29], v[22:23], v[28:29]
	v_fma_f64 v[22:23], v[22:23], v[26:27], -v[30:31]
	v_fma_f64 v[24:25], v[24:25], v[26:27], v[28:29]
	v_add_f64 v[10:11], v[10:11], v[22:23]
	v_add_f64 v[12:13], v[12:13], v[24:25]
.LBB181_395:
	s_or_b64 exec, exec, s[12:13]
.LBB181_396:
	s_or_b64 exec, exec, s[10:11]
	s_and_saveexec_b64 s[8:9], s[44:45]
; %bb.397:
	v_xor_b32_e32 v25, 0x80000000, v13
	v_xor_b32_e32 v23, 0x80000000, v11
	v_mov_b32_e32 v22, v10
	v_mov_b32_e32 v24, v12
	ds_write_b128 v20, v[22:25]
; %bb.398:
	s_or_b64 exec, exec, s[8:9]
	s_waitcnt lgkmcnt(0)
	s_barrier
	s_and_saveexec_b64 s[8:9], s[46:47]
	s_cbranch_execz .LBB181_400
; %bb.399:
	v_lshlrev_b32_e32 v26, 4, v18
	ds_read_b128 v[22:25], v20
	ds_read_b128 v[26:29], v26 offset:1536
	s_waitcnt lgkmcnt(0)
	v_mul_f64 v[30:31], v[24:25], v[28:29]
	v_mul_f64 v[28:29], v[22:23], v[28:29]
	v_fma_f64 v[22:23], v[22:23], v[26:27], -v[30:31]
	v_fma_f64 v[24:25], v[24:25], v[26:27], v[28:29]
	v_add_f64 v[10:11], v[10:11], -v[22:23]
	v_add_f64 v[12:13], v[12:13], -v[24:25]
.LBB181_400:
	s_or_b64 exec, exec, s[8:9]
	s_barrier
	s_and_saveexec_b64 s[8:9], s[48:49]
; %bb.401:
	v_xor_b32_e32 v25, 0x80000000, v13
	v_xor_b32_e32 v23, 0x80000000, v11
	v_mov_b32_e32 v22, v10
	v_mov_b32_e32 v24, v12
	ds_write_b128 v20, v[22:25]
; %bb.402:
	s_or_b64 exec, exec, s[8:9]
	s_waitcnt lgkmcnt(0)
	s_barrier
	s_and_saveexec_b64 s[8:9], s[50:51]
	s_cbranch_execz .LBB181_404
; %bb.403:
	v_lshlrev_b32_e32 v26, 4, v18
	ds_read_b128 v[22:25], v20
	ds_read_b128 v[26:29], v26 offset:1024
	s_waitcnt lgkmcnt(0)
	v_mul_f64 v[30:31], v[24:25], v[28:29]
	v_mul_f64 v[28:29], v[22:23], v[28:29]
	v_fma_f64 v[22:23], v[22:23], v[26:27], -v[30:31]
	v_fma_f64 v[24:25], v[24:25], v[26:27], v[28:29]
	v_add_f64 v[10:11], v[10:11], -v[22:23]
	v_add_f64 v[12:13], v[12:13], -v[24:25]
.LBB181_404:
	s_or_b64 exec, exec, s[8:9]
	s_barrier
	s_and_saveexec_b64 s[8:9], s[52:53]
; %bb.405:
	v_xor_b32_e32 v25, 0x80000000, v13
	v_xor_b32_e32 v23, 0x80000000, v11
	v_mov_b32_e32 v22, v10
	v_mov_b32_e32 v24, v12
	ds_write_b128 v20, v[22:25]
; %bb.406:
	s_or_b64 exec, exec, s[8:9]
	s_waitcnt lgkmcnt(0)
	s_barrier
	s_and_saveexec_b64 s[8:9], s[42:43]
	s_cbranch_execz .LBB181_408
; %bb.407:
	v_mov_b32_e32 v26, 0
	ds_read_b128 v[22:25], v20
	ds_read_b128 v[26:29], v26 offset:512
	s_waitcnt lgkmcnt(0)
	v_mul_f64 v[30:31], v[24:25], v[28:29]
	v_mul_f64 v[28:29], v[22:23], v[28:29]
	v_fma_f64 v[22:23], v[22:23], v[26:27], -v[30:31]
	v_fma_f64 v[24:25], v[24:25], v[26:27], v[28:29]
	v_add_f64 v[10:11], v[10:11], -v[22:23]
	v_add_f64 v[12:13], v[12:13], -v[24:25]
.LBB181_408:
	s_or_b64 exec, exec, s[8:9]
	s_barrier
	s_and_saveexec_b64 s[8:9], s[42:43]
; %bb.409:
	v_xor_b32_e32 v25, 0x80000000, v13
	v_xor_b32_e32 v23, 0x80000000, v11
	v_mov_b32_e32 v22, v10
	v_mov_b32_e32 v24, v12
	ds_write_b128 v20, v[22:25]
; %bb.410:
	s_or_b64 exec, exec, s[8:9]
	s_waitcnt lgkmcnt(0)
	s_barrier
	s_barrier
	s_and_saveexec_b64 s[8:9], s[2:3]
; %bb.411:
	v_lshlrev_b32_e32 v18, 4, v18
	v_lshl_or_b32 v18, v19, 9, v18
	ds_write_b128 v18, v[10:13] offset:2048
; %bb.412:
	s_or_b64 exec, exec, s[8:9]
	s_waitcnt lgkmcnt(0)
	s_barrier
	s_barrier
	s_and_saveexec_b64 s[2:3], vcc
	s_cbranch_execz .LBB181_414
; %bb.413:
	s_mov_b32 s8, 0
	s_mov_b32 s11, s8
	;; [unrolled: 1-line block ×4, first 2 shown]
	v_mov_b32_e32 v13, s11
	v_mov_b32_e32 v18, 0
	v_mov_b32_e32 v12, s10
	v_mov_b32_e32 v11, s9
	v_mov_b32_e32 v10, s8
	ds_write_b128 v18, v[10:13] offset:1056
	ds_write_b128 v18, v[10:13] offset:1584
.LBB181_414:
	s_or_b64 exec, exec, s[2:3]
	v_mov_b32_e32 v10, 0
	v_mov_b32_e32 v12, 0
	;; [unrolled: 1-line block ×4, first 2 shown]
	s_waitcnt lgkmcnt(0)
	s_barrier
	buffer_wbinvl1_vol
	s_and_saveexec_b64 s[8:9], s[0:1]
	s_cbranch_execz .LBB181_418
; %bb.415:
	v_lshlrev_b32_e32 v10, 9, v15
	v_lshlrev_b32_e32 v18, 4, v14
	ds_read_b128 v[10:13], v10 offset:1056
	ds_read_b128 v[22:25], v18 offset:1024
	v_cmp_gt_u32_e64 s[2:3], 2, v17
	s_waitcnt lgkmcnt(0)
	v_mul_f64 v[18:19], v[12:13], v[24:25]
	v_mul_f64 v[24:25], v[10:11], v[24:25]
	v_fma_f64 v[10:11], v[10:11], v[22:23], -v[18:19]
	v_fma_f64 v[12:13], v[12:13], v[22:23], v[24:25]
	v_add_f64 v[10:11], v[10:11], 0
	v_add_f64 v[12:13], v[12:13], 0
	s_and_saveexec_b64 s[10:11], s[2:3]
	s_cbranch_execz .LBB181_417
; %bb.416:
	v_lshlrev_b32_e32 v22, 4, v0
	v_mov_b32_e32 v17, 0
	ds_read_b128 v[17:20], v17 offset:1584
	ds_read_b128 v[22:25], v22 offset:1536
	s_waitcnt lgkmcnt(0)
	v_mul_f64 v[26:27], v[19:20], v[24:25]
	v_mul_f64 v[24:25], v[17:18], v[24:25]
	v_fma_f64 v[17:18], v[17:18], v[22:23], -v[26:27]
	v_fma_f64 v[19:20], v[19:20], v[22:23], v[24:25]
	v_add_f64 v[10:11], v[10:11], v[17:18]
	v_add_f64 v[12:13], v[12:13], v[19:20]
.LBB181_417:
	s_or_b64 exec, exec, s[10:11]
.LBB181_418:
	s_or_b64 exec, exec, s[8:9]
	s_and_saveexec_b64 s[2:3], s[40:41]
; %bb.419:
	v_xor_b32_e32 v18, 0x80000000, v11
	v_xor_b32_e32 v20, 0x80000000, v13
	v_mov_b32_e32 v17, v10
	v_mov_b32_e32 v19, v12
	ds_write_b128 v16, v[17:20]
; %bb.420:
	s_or_b64 exec, exec, s[2:3]
	s_waitcnt lgkmcnt(0)
	s_barrier
	s_and_saveexec_b64 s[2:3], s[38:39]
	s_cbranch_execz .LBB181_422
; %bb.421:
	v_mov_b32_e32 v22, 0
	ds_read_b128 v[17:20], v16
	ds_read_b128 v[22:25], v22 offset:512
	s_waitcnt lgkmcnt(0)
	v_mul_f64 v[26:27], v[17:18], v[22:23]
	v_mul_f64 v[17:18], v[17:18], v[24:25]
	v_fma_f64 v[24:25], v[19:20], v[24:25], -v[26:27]
	v_fma_f64 v[17:18], v[19:20], v[22:23], v[17:18]
	v_add_f64 v[10:11], v[10:11], v[24:25]
	v_add_f64 v[12:13], v[12:13], -v[17:18]
.LBB181_422:
	s_or_b64 exec, exec, s[2:3]
	s_barrier
	s_and_saveexec_b64 s[2:3], s[38:39]
; %bb.423:
	v_xor_b32_e32 v18, 0x80000000, v11
	v_xor_b32_e32 v20, 0x80000000, v13
	v_mov_b32_e32 v17, v10
	v_mov_b32_e32 v19, v12
	ds_write_b128 v16, v[17:20]
; %bb.424:
	s_or_b64 exec, exec, s[2:3]
	s_waitcnt lgkmcnt(0)
	s_barrier
	s_barrier
	s_and_saveexec_b64 s[2:3], s[0:1]
; %bb.425:
	v_lshlrev_b32_e32 v14, 4, v14
	v_lshl_or_b32 v14, v15, 9, v14
	ds_write_b128 v14, v[10:13] offset:1024
; %bb.426:
	s_or_b64 exec, exec, s[2:3]
	s_waitcnt lgkmcnt(0)
	s_barrier
	s_barrier
	s_and_saveexec_b64 s[0:1], vcc
	s_cbranch_execz .LBB181_428
; %bb.427:
	s_mov_b32 s8, 0
	s_mov_b32 s11, s8
	;; [unrolled: 1-line block ×4, first 2 shown]
	v_mov_b32_e32 v13, s11
	v_mov_b32_e32 v14, 0
	;; [unrolled: 1-line block ×5, first 2 shown]
	ds_write_b128 v14, v[10:13]
	ds_write_b128 v14, v[10:13] offset:528
.LBB181_428:
	s_or_b64 exec, exec, s[0:1]
.LBB181_429:
	s_lshl_b64 s[0:1], s[22:23], 4
	s_add_u32 s34, s34, s0
	v_cmp_le_i32_e32 vcc, s86, v0
	v_mov_b32_e32 v10, 0
	s_addc_u32 s35, s35, s1
	s_and_b64 s[14:15], vcc, s[30:31]
	v_mov_b32_e32 v11, 0
	v_cmp_eq_u32_e64 s[0:1], 0, v1
	s_xor_b64 s[2:3], s[14:15], -1
	v_mov_b32_e32 v13, v11
	s_and_b64 s[8:9], s[0:1], s[2:3]
	v_lshl_add_u32 v15, s33, 5, v0
	v_mov_b32_e32 v12, v10
	s_waitcnt lgkmcnt(0)
	s_barrier
	s_and_saveexec_b64 s[2:3], s[8:9]
	s_cbranch_execz .LBB181_431
; %bb.430:
	v_ashrrev_i32_e32 v12, 31, v15
	v_mul_lo_u32 v13, s21, v15
	v_mad_u64_u32 v[10:11], s[8:9], s20, v15, 0
	v_mul_lo_u32 v12, s20, v12
	v_add3_u32 v11, v11, v12, v13
	v_lshlrev_b64 v[10:11], 4, v[10:11]
	v_mov_b32_e32 v12, s35
	v_add_co_u32_e32 v10, vcc, s34, v10
	v_addc_co_u32_e32 v11, vcc, v12, v11, vcc
	flat_load_dwordx4 v[16:19], v[10:11]
	s_waitcnt vmcnt(0) lgkmcnt(0)
	v_mul_f64 v[10:11], s[16:17], v[16:17]
	v_mul_f64 v[12:13], s[16:17], v[18:19]
	v_fma_f64 v[10:11], s[18:19], v[18:19], -v[10:11]
	v_fma_f64 v[12:13], v[16:17], -s[18:19], -v[12:13]
.LBB181_431:
	s_or_b64 exec, exec, s[2:3]
	s_load_dwordx2 s[12:13], s[4:5], 0x58
	s_and_b32 s2, 0xffff, s89
	v_mad_u32_u24 v22, v1, s2, v0
	v_mov_b32_e32 v14, 0
	s_cmp_lt_i32 s6, 1
	v_cmp_eq_u32_e64 s[2:3], 0, v22
	s_cbranch_scc1 .LBB181_454
; %bb.432:
	v_ashrrev_i32_e32 v16, 31, v15
	v_cmp_gt_i32_e64 s[10:11], s26, v15
	v_lshlrev_b64 v[15:16], 4, v[15:16]
	s_lshl_b64 s[4:5], s[24:25], 2
	v_mov_b32_e32 v17, 0x6000
	s_waitcnt lgkmcnt(0)
	s_add_u32 s16, s12, s4
	v_lshl_add_u32 v23, v22, 4, v17
	v_lshl_or_b32 v24, v1, 4, v17
	v_mov_b32_e32 v17, s88
	v_add_co_u32_e32 v25, vcc, s87, v15
	s_mov_b32 s38, 0
	s_addc_u32 s17, s13, s5
	v_cmp_gt_u32_e64 s[4:5], 32, v22
	s_add_i32 s39, s33, 1
	v_addc_co_u32_e32 v26, vcc, v17, v16, vcc
	s_lshl_b64 s[18:19], s[28:29], 8
	v_mov_b32_e32 v27, -1
	s_branch .LBB181_435
.LBB181_433:                            ;   in Loop: Header=BB181_435 Depth=1
	ds_read_b128 v[28:31], v24 offset:256
	s_waitcnt vmcnt(0) lgkmcnt(0)
	v_mul_f64 v[17:18], v[19:20], v[30:31]
	v_mul_f64 v[30:31], v[15:16], v[30:31]
	v_fma_f64 v[15:16], v[15:16], v[28:29], -v[17:18]
	v_fma_f64 v[17:18], v[19:20], v[28:29], v[30:31]
	v_add_f64 v[10:11], v[10:11], v[15:16]
	v_add_f64 v[12:13], v[12:13], v[17:18]
.LBB181_434:                            ;   in Loop: Header=BB181_435 Depth=1
	s_or_b64 exec, exec, s[22:23]
	s_add_i32 s38, s38, 1
	s_cmp_eq_u32 s38, s6
	s_cbranch_scc1 .LBB181_454
.LBB181_435:                            ; =>This Loop Header: Depth=1
                                        ;     Child Loop BB181_437 Depth 2
	v_cmp_gt_i32_e32 vcc, s38, v27
	s_and_b64 s[22:23], s[2:3], vcc
	s_and_saveexec_b64 s[8:9], s[22:23]
	s_cbranch_execz .LBB181_438
; %bb.436:                              ;   in Loop: Header=BB181_435 Depth=1
	global_load_dword v27, v14, s[16:17]
	s_waitcnt vmcnt(0)
	v_cmp_le_i32_e32 vcc, s38, v27
	s_cbranch_vccnz .LBB181_438
.LBB181_437:                            ;   Parent Loop BB181_435 Depth=1
                                        ; =>  This Inner Loop Header: Depth=2
	buffer_wbinvl1_vol
	global_load_dword v27, v14, s[16:17]
	s_waitcnt vmcnt(0)
	v_cmp_gt_i32_e32 vcc, s38, v27
	s_cbranch_vccnz .LBB181_437
.LBB181_438:                            ;   in Loop: Header=BB181_435 Depth=1
	s_or_b64 exec, exec, s[8:9]
	s_sub_i32 s40, s7, s38
	s_lshl_b32 s41, s40, 5
	buffer_wbinvl1_vol
	s_barrier
	s_and_saveexec_b64 s[8:9], s[4:5]
	s_cbranch_execz .LBB181_443
; %bb.439:                              ;   in Loop: Header=BB181_435 Depth=1
	s_ashr_i32 s22, s41, 31
	v_mov_b32_e32 v16, s22
	v_or_b32_e32 v15, s41, v22
	v_cmp_le_i64_e32 vcc, s[26:27], v[15:16]
	s_and_saveexec_b64 s[22:23], vcc
	s_xor_b64 s[22:23], exec, s[22:23]
; %bb.440:                              ;   in Loop: Header=BB181_435 Depth=1
	v_mov_b32_e32 v15, v14
	v_mov_b32_e32 v16, v14
	;; [unrolled: 1-line block ×3, first 2 shown]
	ds_write_b128 v23, v[14:17]
                                        ; implicit-def: $vgpr15_vgpr16
; %bb.441:                              ;   in Loop: Header=BB181_435 Depth=1
	s_andn2_saveexec_b64 s[22:23], s[22:23]
	s_cbranch_execz .LBB181_443
; %bb.442:                              ;   in Loop: Header=BB181_435 Depth=1
	v_mul_lo_u32 v17, v16, s20
	v_mul_lo_u32 v18, v15, s21
	v_mad_u64_u32 v[15:16], s[22:23], v15, s20, 0
	v_add3_u32 v16, v16, v18, v17
	v_lshlrev_b64 v[15:16], 4, v[15:16]
	v_mov_b32_e32 v17, s35
	v_add_co_u32_e32 v15, vcc, s34, v15
	v_addc_co_u32_e32 v16, vcc, v17, v16, vcc
	flat_load_dwordx4 v[15:18], v[15:16]
	s_waitcnt vmcnt(0) lgkmcnt(0)
	ds_write2_b64 v23, v[15:16], v[17:18] offset1:1
.LBB181_443:                            ;   in Loop: Header=BB181_435 Depth=1
	s_or_b64 exec, exec, s[8:9]
	v_add_u32_e32 v28, s41, v1
	v_ashrrev_i32_e32 v17, 31, v28
	v_mul_lo_u32 v18, s29, v28
	v_mad_u64_u32 v[15:16], s[8:9], s28, v28, 0
	v_mul_lo_u32 v17, s28, v17
	s_cmp_lg_u32 s40, s39
	s_cselect_b64 s[8:9], -1, 0
	s_waitcnt lgkmcnt(0)
	v_add3_u32 v16, v16, v17, v18
	v_lshlrev_b64 v[15:16], 4, v[15:16]
	v_cndmask_b32_e64 v17, 0, 1, s[8:9]
	v_add_co_u32_e32 v15, vcc, v25, v15
	v_addc_co_u32_e32 v16, vcc, v26, v16, vcc
	v_cmp_gt_i32_e32 vcc, s26, v28
	s_and_b64 s[40:41], s[10:11], vcc
	v_cmp_ne_u32_e64 s[8:9], 1, v17
	s_barrier
	s_and_saveexec_b64 s[22:23], s[40:41]
	s_cbranch_execz .LBB181_449
; %bb.444:                              ;   in Loop: Header=BB181_435 Depth=1
	v_mov_b32_e32 v18, v3
	s_and_b64 vcc, exec, s[8:9]
	v_mov_b32_e32 v17, v2
	s_cbranch_vccnz .LBB181_446
; %bb.445:                              ;   in Loop: Header=BB181_435 Depth=1
	flat_load_dwordx2 v[17:18], v[15:16]
.LBB181_446:                            ;   in Loop: Header=BB181_435 Depth=1
	v_mov_b32_e32 v20, v5
	s_and_b64 vcc, exec, s[8:9]
	v_mov_b32_e32 v19, v4
	s_cbranch_vccnz .LBB181_448
; %bb.447:                              ;   in Loop: Header=BB181_435 Depth=1
	flat_load_dwordx2 v[19:20], v[15:16] offset:8
.LBB181_448:                            ;   in Loop: Header=BB181_435 Depth=1
	ds_read_b128 v[29:32], v24
	s_waitcnt vmcnt(0) lgkmcnt(0)
	v_mul_f64 v[33:34], v[19:20], v[31:32]
	v_mul_f64 v[31:32], v[17:18], v[31:32]
	v_fma_f64 v[17:18], v[17:18], v[29:30], -v[33:34]
	v_fma_f64 v[19:20], v[19:20], v[29:30], v[31:32]
	v_add_f64 v[10:11], v[10:11], v[17:18]
	v_add_f64 v[12:13], v[12:13], v[19:20]
.LBB181_449:                            ;   in Loop: Header=BB181_435 Depth=1
	s_or_b64 exec, exec, s[22:23]
	v_add_u32_e32 v17, 16, v28
	v_cmp_gt_i32_e32 vcc, s26, v17
	s_and_b64 s[40:41], s[10:11], vcc
	s_and_saveexec_b64 s[22:23], s[40:41]
	s_cbranch_execz .LBB181_434
; %bb.450:                              ;   in Loop: Header=BB181_435 Depth=1
	v_mov_b32_e32 v18, s19
	v_add_co_u32_e32 v17, vcc, s18, v15
	v_addc_co_u32_e32 v18, vcc, v16, v18, vcc
	v_mov_b32_e32 v16, v7
	s_and_b64 vcc, exec, s[8:9]
	v_mov_b32_e32 v15, v6
	s_cbranch_vccnz .LBB181_452
; %bb.451:                              ;   in Loop: Header=BB181_435 Depth=1
	flat_load_dwordx2 v[15:16], v[17:18]
.LBB181_452:                            ;   in Loop: Header=BB181_435 Depth=1
	v_mov_b32_e32 v20, v9
	s_and_b64 vcc, exec, s[8:9]
	v_mov_b32_e32 v19, v8
	s_cbranch_vccnz .LBB181_433
; %bb.453:                              ;   in Loop: Header=BB181_435 Depth=1
	flat_load_dwordx2 v[19:20], v[17:18] offset:8
	s_branch .LBB181_433
.LBB181_454:
	s_xor_b64 s[2:3], s[30:31], -1
	s_xor_b64 s[4:5], s[36:37], -1
	v_lshlrev_b32_e32 v6, 4, v21
	ds_write_b128 v6, v[10:13] offset:16384
	s_waitcnt lgkmcnt(0)
	s_barrier
	s_and_saveexec_b64 s[6:7], s[0:1]
	s_cbranch_execz .LBB181_456
; %bb.455:
	v_lshlrev_b32_e32 v18, 4, v0
	ds_read_b128 v[2:5], v18 offset:16896
	ds_read_b128 v[14:17], v18 offset:17408
	s_waitcnt lgkmcnt(1)
	v_add_f64 v[2:3], v[10:11], v[2:3]
	v_add_f64 v[4:5], v[12:13], v[4:5]
	s_waitcnt lgkmcnt(0)
	v_add_f64 v[11:12], v[2:3], v[14:15]
	v_add_f64 v[13:14], v[4:5], v[16:17]
	ds_read_b128 v[2:5], v18 offset:17920
	ds_read_b128 v[7:10], v18 offset:18432
	s_waitcnt lgkmcnt(1)
	v_add_f64 v[2:3], v[11:12], v[2:3]
	v_add_f64 v[4:5], v[13:14], v[4:5]
	s_waitcnt lgkmcnt(0)
	v_add_f64 v[11:12], v[2:3], v[7:8]
	v_add_f64 v[13:14], v[4:5], v[9:10]
	;; [unrolled: 8-line block ×7, first 2 shown]
	ds_read_b128 v[2:5], v18 offset:24064
	s_waitcnt lgkmcnt(0)
	v_add_f64 v[2:3], v[7:8], v[2:3]
	v_add_f64 v[4:5], v[9:10], v[4:5]
	v_xor_b32_e32 v3, 0x80000000, v3
	v_xor_b32_e32 v5, 0x80000000, v5
	v_cndmask_b32_e64 v10, v2, 0, s[14:15]
	v_cndmask_b32_e64 v11, v3, 0, s[14:15]
	;; [unrolled: 1-line block ×4, first 2 shown]
.LBB181_456:
	s_or_b64 exec, exec, s[6:7]
	s_andn2_b64 vcc, exec, s[4:5]
	s_cbranch_vccnz .LBB181_465
; %bb.457:
	v_mov_b32_e32 v2, 0x6000
	v_lshl_or_b32 v7, v1, 4, v2
	s_and_saveexec_b64 s[4:5], s[0:1]
; %bb.458:
	v_lshl_add_u32 v2, v0, 4, v7
	ds_write_b128 v2, v[10:13]
; %bb.459:
	s_or_b64 exec, exec, s[4:5]
	v_mov_b32_e32 v2, 0
	v_mov_b32_e32 v4, 0
	;; [unrolled: 1-line block ×4, first 2 shown]
	v_cmp_le_u32_e32 vcc, v0, v1
	s_waitcnt lgkmcnt(0)
	s_barrier
	s_and_saveexec_b64 s[4:5], vcc
	s_cbranch_execz .LBB181_461
; %bb.460:
	ds_read_b128 v[2:5], v7
	ds_read_b128 v[14:17], v6
	s_waitcnt lgkmcnt(0)
	v_mul_f64 v[8:9], v[4:5], v[16:17]
	v_mul_f64 v[16:17], v[2:3], v[16:17]
	v_fma_f64 v[2:3], v[2:3], v[14:15], -v[8:9]
	v_fma_f64 v[4:5], v[4:5], v[14:15], v[16:17]
	v_add_f64 v[2:3], v[2:3], 0
	v_add_f64 v[4:5], v[4:5], 0
.LBB181_461:
	s_or_b64 exec, exec, s[4:5]
	v_add_u32_e32 v1, 16, v1
	v_add_u32_e32 v8, 0x4000, v6
	v_cmp_le_u32_e32 vcc, v0, v1
	s_and_saveexec_b64 s[4:5], vcc
	s_cbranch_execz .LBB181_463
; %bb.462:
	ds_read_b128 v[14:17], v7 offset:256
	ds_read_b128 v[18:21], v6 offset:8192
	s_waitcnt lgkmcnt(0)
	v_mul_f64 v[6:7], v[16:17], v[20:21]
	v_mul_f64 v[20:21], v[14:15], v[20:21]
	v_fma_f64 v[6:7], v[14:15], v[18:19], -v[6:7]
	v_fma_f64 v[14:15], v[16:17], v[18:19], v[20:21]
	v_add_f64 v[2:3], v[2:3], v[6:7]
	v_add_f64 v[4:5], v[4:5], v[14:15]
.LBB181_463:
	s_or_b64 exec, exec, s[4:5]
	s_mov_b64 s[6:7], 0
	s_mov_b64 s[4:5], 0
	ds_write_b128 v8, v[2:5]
	s_waitcnt lgkmcnt(0)
	s_barrier
                                        ; implicit-def: $vgpr6_vgpr7
                                        ; implicit-def: $vgpr8_vgpr9
	s_and_saveexec_b64 s[8:9], s[0:1]
	s_cbranch_execz .LBB181_483
; %bb.464:
	v_lshlrev_b32_e32 v18, 4, v0
	ds_read_b128 v[6:9], v18 offset:16896
	ds_read_b128 v[14:17], v18 offset:17408
	s_mov_b64 s[4:5], exec
	s_waitcnt lgkmcnt(1)
	v_add_f64 v[1:2], v[2:3], v[6:7]
	v_add_f64 v[3:4], v[4:5], v[8:9]
	s_waitcnt lgkmcnt(0)
	v_add_f64 v[14:15], v[1:2], v[14:15]
	v_add_f64 v[16:17], v[3:4], v[16:17]
	ds_read_b128 v[1:4], v18 offset:17920
	ds_read_b128 v[5:8], v18 offset:18432
	s_waitcnt lgkmcnt(1)
	v_add_f64 v[1:2], v[14:15], v[1:2]
	v_add_f64 v[3:4], v[16:17], v[3:4]
	s_waitcnt lgkmcnt(0)
	v_add_f64 v[14:15], v[1:2], v[5:6]
	v_add_f64 v[16:17], v[3:4], v[7:8]
	ds_read_b128 v[1:4], v18 offset:18944
	ds_read_b128 v[5:8], v18 offset:19456
	;; [unrolled: 8-line block ×6, first 2 shown]
	s_waitcnt lgkmcnt(1)
	v_add_f64 v[1:2], v[14:15], v[1:2]
	v_add_f64 v[3:4], v[16:17], v[3:4]
	s_waitcnt lgkmcnt(0)
	v_add_f64 v[5:6], v[1:2], v[5:6]
	v_add_f64 v[14:15], v[3:4], v[7:8]
	ds_read_b128 v[1:4], v18 offset:24064
	s_waitcnt lgkmcnt(0)
	v_add_f64 v[8:9], v[5:6], v[1:2]
	v_add_f64 v[6:7], v[14:15], v[3:4]
	s_or_b64 exec, exec, s[8:9]
	s_and_b64 vcc, exec, s[6:7]
	s_cbranch_vccnz .LBB181_466
	s_branch .LBB181_484
.LBB181_465:
	s_mov_b64 s[4:5], 0
                                        ; implicit-def: $vgpr6_vgpr7
                                        ; implicit-def: $vgpr8_vgpr9
	s_cbranch_execz .LBB181_484
.LBB181_466:
	v_mov_b32_e32 v1, 0x3c00
	v_lshl_add_u32 v1, v0, 4, v1
	v_mov_b32_e32 v3, 31
	v_mov_b32_e32 v2, 0
	s_branch .LBB181_468
.LBB181_467:                            ;   in Loop: Header=BB181_468 Depth=1
	s_or_b64 exec, exec, s[6:7]
	v_subrev_co_u32_e32 v3, vcc, 1, v3
	s_andn2_b64 vcc, exec, vcc
	v_add_u32_e32 v1, 0xfffffc00, v1
	s_barrier
	s_cbranch_vccz .LBB181_476
.LBB181_468:                            ; =>This Inner Loop Header: Depth=1
	v_cmp_eq_u32_e32 vcc, v0, v3
	s_and_b64 s[8:9], s[0:1], vcc
	s_and_saveexec_b64 s[6:7], s[8:9]
; %bb.469:                              ;   in Loop: Header=BB181_468 Depth=1
	ds_write_b128 v2, v[10:13] offset:25088
; %bb.470:                              ;   in Loop: Header=BB181_468 Depth=1
	s_or_b64 exec, exec, s[6:7]
	v_cmp_lt_u32_e32 vcc, v0, v3
	s_and_b64 s[8:9], s[0:1], vcc
	s_waitcnt lgkmcnt(0)
	s_barrier
	s_and_saveexec_b64 s[6:7], s[8:9]
	s_cbranch_execz .LBB181_472
; %bb.471:                              ;   in Loop: Header=BB181_468 Depth=1
	ds_read_b128 v[4:7], v2 offset:25088
	ds_read_b128 v[14:17], v1 offset:512
	s_waitcnt lgkmcnt(0)
	v_mul_f64 v[8:9], v[6:7], v[16:17]
	v_mul_f64 v[16:17], v[4:5], v[16:17]
	v_fma_f64 v[4:5], v[4:5], v[14:15], -v[8:9]
	v_fma_f64 v[6:7], v[6:7], v[14:15], v[16:17]
	v_add_f64 v[10:11], v[10:11], v[4:5]
	v_add_f64 v[12:13], v[12:13], v[6:7]
.LBB181_472:                            ;   in Loop: Header=BB181_468 Depth=1
	s_or_b64 exec, exec, s[6:7]
	v_add_u32_e32 v3, -1, v3
	v_cmp_eq_u32_e32 vcc, v0, v3
	s_and_b64 s[8:9], s[0:1], vcc
	s_barrier
	s_and_saveexec_b64 s[6:7], s[8:9]
; %bb.473:                              ;   in Loop: Header=BB181_468 Depth=1
	ds_write_b128 v2, v[10:13] offset:25088
; %bb.474:                              ;   in Loop: Header=BB181_468 Depth=1
	s_or_b64 exec, exec, s[6:7]
	v_cmp_lt_u32_e32 vcc, v0, v3
	s_and_b64 s[8:9], s[0:1], vcc
	s_waitcnt lgkmcnt(0)
	s_barrier
	s_and_saveexec_b64 s[6:7], s[8:9]
	s_cbranch_execz .LBB181_467
; %bb.475:                              ;   in Loop: Header=BB181_468 Depth=1
	ds_read_b128 v[4:7], v2 offset:25088
	ds_read_b128 v[14:17], v1
	s_waitcnt lgkmcnt(0)
	v_mul_f64 v[8:9], v[6:7], v[16:17]
	v_mul_f64 v[16:17], v[4:5], v[16:17]
	v_fma_f64 v[4:5], v[4:5], v[14:15], -v[8:9]
	v_fma_f64 v[6:7], v[6:7], v[14:15], v[16:17]
	v_add_f64 v[10:11], v[10:11], v[4:5]
	v_add_f64 v[12:13], v[12:13], v[6:7]
	s_branch .LBB181_467
.LBB181_476:
	s_mov_b64 s[6:7], -1
	s_and_b64 vcc, exec, s[2:3]
	s_cbranch_vccnz .LBB181_485
; %bb.477:
	s_andn2_b64 vcc, exec, s[6:7]
	s_cbranch_vccz .LBB181_486
.LBB181_478:
	s_and_saveexec_b64 s[0:1], s[4:5]
	s_cbranch_execz .LBB181_480
.LBB181_479:
	s_lshl_b32 s2, s33, 5
	s_ashr_i32 s3, s2, 31
	v_mov_b32_e32 v0, s3
	v_add_co_u32_e32 v1, vcc, s2, v22
	v_addc_co_u32_e32 v0, vcc, 0, v0, vcc
	v_mul_lo_u32 v2, v0, s20
	v_mul_lo_u32 v3, v1, s21
	v_mad_u64_u32 v[0:1], s[2:3], v1, s20, 0
	v_add3_u32 v1, v1, v3, v2
	v_lshlrev_b64 v[0:1], 4, v[0:1]
	v_mov_b32_e32 v2, s35
	v_add_co_u32_e32 v0, vcc, s34, v0
	v_addc_co_u32_e32 v1, vcc, v2, v1, vcc
	flat_store_dwordx4 v[0:1], v[10:13]
.LBB181_480:
	s_or_b64 exec, exec, s[0:1]
	v_cmp_eq_u32_e32 vcc, 0, v22
	s_waitcnt vmcnt(0) lgkmcnt(0)
	buffer_wbinvl1_vol
	s_barrier
	s_and_saveexec_b64 s[0:1], vcc
	s_cbranch_execz .LBB181_482
; %bb.481:
	s_lshl_b64 s[2:3], s[24:25], 2
	s_add_u32 s2, s12, s2
	s_addc_u32 s3, s13, s3
	v_mov_b32_e32 v0, 0
	global_load_dword v1, v0, s[2:3]
	s_waitcnt vmcnt(0)
	v_add_u32_e32 v1, 1, v1
	global_store_dword v0, v1, s[2:3]
.LBB181_482:
	s_or_b64 exec, exec, s[0:1]
	s_waitcnt vmcnt(0)
	buffer_wbinvl1_vol
	s_endpgm
.LBB181_483:
	s_or_b64 exec, exec, s[8:9]
	s_and_b64 vcc, exec, s[6:7]
	s_cbranch_vccnz .LBB181_466
.LBB181_484:
	v_mov_b32_e32 v13, v7
	v_mov_b32_e32 v11, v9
	;; [unrolled: 1-line block ×4, first 2 shown]
	s_and_saveexec_b64 s[0:1], s[4:5]
	s_cbranch_execnz .LBB181_479
	s_branch .LBB181_480
.LBB181_485:
	s_andn2_b64 s[2:3], s[4:5], exec
	s_and_b64 s[4:5], s[0:1], exec
	s_or_b64 s[4:5], s[2:3], s[4:5]
	s_cbranch_execnz .LBB181_478
.LBB181_486:
	v_cmp_gt_i32_e32 vcc, s86, v0
	s_and_b64 s[0:1], s[0:1], vcc
	s_andn2_b64 s[2:3], s[4:5], exec
	s_and_b64 s[0:1], s[0:1], exec
	s_or_b64 s[4:5], s[2:3], s[0:1]
	s_and_saveexec_b64 s[0:1], s[4:5]
	s_cbranch_execnz .LBB181_479
	s_branch .LBB181_480
.LBB181_487:
	ds_read_b128 v[24:27], v23 offset:14800
	ds_read_b128 v[28:31], v22 offset:15232
	s_waitcnt lgkmcnt(0)
	v_mul_f64 v[32:33], v[26:27], v[30:31]
	v_mul_f64 v[30:31], v[24:25], v[30:31]
	v_fma_f64 v[24:25], v[24:25], v[28:29], -v[32:33]
	v_fma_f64 v[26:27], v[26:27], v[28:29], v[30:31]
	v_add_f64 v[10:11], v[10:11], v[24:25]
	v_add_f64 v[12:13], v[12:13], v[26:27]
	s_or_b64 exec, exec, s[14:15]
	v_cmp_gt_u32_e64 s[10:11], 8, v17
	s_and_saveexec_b64 s[14:15], s[10:11]
	s_cbranch_execz .LBB181_55
.LBB181_488:
	ds_read_b128 v[23:26], v23 offset:14816
	ds_read_b128 v[27:30], v22 offset:15744
	s_waitcnt lgkmcnt(0)
	v_mul_f64 v[31:32], v[25:26], v[29:30]
	v_mul_f64 v[29:30], v[23:24], v[29:30]
	v_fma_f64 v[22:23], v[23:24], v[27:28], -v[31:32]
	v_fma_f64 v[24:25], v[25:26], v[27:28], v[29:30]
	v_add_f64 v[10:11], v[10:11], v[22:23]
	v_add_f64 v[12:13], v[12:13], v[24:25]
	s_or_b64 exec, exec, s[14:15]
	v_cmp_gt_u32_e64 s[10:11], 4, v17
	s_and_saveexec_b64 s[14:15], s[10:11]
	s_cbranch_execnz .LBB181_56
	s_branch .LBB181_57
.LBB181_489:
	ds_read_b128 v[27:30], v26 offset:12688
	ds_read_b128 v[31:34], v25 offset:13056
	s_waitcnt lgkmcnt(0)
	v_mul_f64 v[35:36], v[29:30], v[33:34]
	v_mul_f64 v[33:34], v[27:28], v[33:34]
	v_fma_f64 v[27:28], v[27:28], v[31:32], -v[35:36]
	v_fma_f64 v[29:30], v[29:30], v[31:32], v[33:34]
	v_add_f64 v[10:11], v[10:11], v[27:28]
	v_add_f64 v[12:13], v[12:13], v[29:30]
	s_or_b64 exec, exec, s[54:55]
	v_cmp_gt_u32_e64 s[10:11], 48, v17
	s_and_saveexec_b64 s[54:55], s[10:11]
	s_cbranch_execz .LBB181_93
.LBB181_490:
	ds_read_b128 v[27:30], v26 offset:12704
	ds_read_b128 v[31:34], v25 offset:13568
	s_waitcnt lgkmcnt(0)
	v_mul_f64 v[35:36], v[29:30], v[33:34]
	v_mul_f64 v[33:34], v[27:28], v[33:34]
	v_fma_f64 v[27:28], v[27:28], v[31:32], -v[35:36]
	v_fma_f64 v[29:30], v[29:30], v[31:32], v[33:34]
	v_add_f64 v[10:11], v[10:11], v[27:28]
	v_add_f64 v[12:13], v[12:13], v[29:30]
	s_or_b64 exec, exec, s[54:55]
	v_cmp_gt_u32_e64 s[10:11], 40, v17
	s_and_saveexec_b64 s[54:55], s[10:11]
	s_cbranch_execz .LBB181_94
.LBB181_491:
	ds_read_b128 v[27:30], v26 offset:12720
	ds_read_b128 v[31:34], v25 offset:14080
	s_waitcnt lgkmcnt(0)
	v_mul_f64 v[35:36], v[29:30], v[33:34]
	v_mul_f64 v[33:34], v[27:28], v[33:34]
	v_fma_f64 v[27:28], v[27:28], v[31:32], -v[35:36]
	v_fma_f64 v[29:30], v[29:30], v[31:32], v[33:34]
	v_add_f64 v[10:11], v[10:11], v[27:28]
	v_add_f64 v[12:13], v[12:13], v[29:30]
	s_or_b64 exec, exec, s[54:55]
	v_cmp_gt_u32_e64 s[10:11], 32, v17
	s_and_saveexec_b64 s[54:55], s[10:11]
	s_cbranch_execz .LBB181_95
.LBB181_492:
	ds_read_b128 v[27:30], v26 offset:12736
	ds_read_b128 v[31:34], v25 offset:14592
	s_waitcnt lgkmcnt(0)
	v_mul_f64 v[35:36], v[29:30], v[33:34]
	v_mul_f64 v[33:34], v[27:28], v[33:34]
	v_fma_f64 v[27:28], v[27:28], v[31:32], -v[35:36]
	v_fma_f64 v[29:30], v[29:30], v[31:32], v[33:34]
	v_add_f64 v[10:11], v[10:11], v[27:28]
	v_add_f64 v[12:13], v[12:13], v[29:30]
	s_or_b64 exec, exec, s[54:55]
	v_cmp_gt_u32_e64 s[10:11], 24, v17
	s_and_saveexec_b64 s[54:55], s[10:11]
	s_cbranch_execz .LBB181_96
.LBB181_493:
	ds_read_b128 v[27:30], v26 offset:12752
	ds_read_b128 v[31:34], v25 offset:15104
	s_waitcnt lgkmcnt(0)
	v_mul_f64 v[35:36], v[29:30], v[33:34]
	v_mul_f64 v[33:34], v[27:28], v[33:34]
	v_fma_f64 v[27:28], v[27:28], v[31:32], -v[35:36]
	v_fma_f64 v[29:30], v[29:30], v[31:32], v[33:34]
	v_add_f64 v[10:11], v[10:11], v[27:28]
	v_add_f64 v[12:13], v[12:13], v[29:30]
	s_or_b64 exec, exec, s[54:55]
	s_and_saveexec_b64 s[10:11], s[2:3]
	s_cbranch_execz .LBB181_97
.LBB181_494:
	ds_read_b128 v[26:29], v26 offset:12768
	ds_read_b128 v[30:33], v25 offset:15616
	s_waitcnt lgkmcnt(0)
	v_mul_f64 v[34:35], v[28:29], v[32:33]
	v_mul_f64 v[32:33], v[26:27], v[32:33]
	v_fma_f64 v[25:26], v[26:27], v[30:31], -v[34:35]
	v_fma_f64 v[27:28], v[28:29], v[30:31], v[32:33]
	v_add_f64 v[10:11], v[10:11], v[25:26]
	v_add_f64 v[12:13], v[12:13], v[27:28]
	s_or_b64 exec, exec, s[10:11]
	v_cmp_gt_u32_e64 s[10:11], 8, v17
	s_and_saveexec_b64 s[54:55], s[10:11]
	s_cbranch_execnz .LBB181_98
	s_branch .LBB181_99
.LBB181_495:
	ds_read_b128 v[27:30], v26 offset:10576
	ds_read_b128 v[31:34], v25 offset:11008
	s_waitcnt lgkmcnt(0)
	v_mul_f64 v[35:36], v[29:30], v[33:34]
	v_mul_f64 v[33:34], v[27:28], v[33:34]
	v_fma_f64 v[27:28], v[27:28], v[31:32], -v[35:36]
	v_fma_f64 v[29:30], v[29:30], v[31:32], v[33:34]
	v_add_f64 v[10:11], v[10:11], v[27:28]
	v_add_f64 v[12:13], v[12:13], v[29:30]
	s_or_b64 exec, exec, s[14:15]
	v_cmp_gt_u32_e64 s[8:9], 8, v17
	s_and_saveexec_b64 s[14:15], s[8:9]
	s_cbranch_execz .LBB181_151
.LBB181_496:
	ds_read_b128 v[26:29], v26 offset:10592
	ds_read_b128 v[30:33], v25 offset:11520
	s_waitcnt lgkmcnt(0)
	v_mul_f64 v[34:35], v[28:29], v[32:33]
	v_mul_f64 v[32:33], v[26:27], v[32:33]
	v_fma_f64 v[25:26], v[26:27], v[30:31], -v[34:35]
	v_fma_f64 v[27:28], v[28:29], v[30:31], v[32:33]
	v_add_f64 v[10:11], v[10:11], v[25:26]
	v_add_f64 v[12:13], v[12:13], v[27:28]
	s_or_b64 exec, exec, s[14:15]
	v_cmp_gt_u32_e64 s[8:9], 4, v17
	s_and_saveexec_b64 s[14:15], s[8:9]
	s_cbranch_execnz .LBB181_152
	s_branch .LBB181_153
.LBB181_497:
	ds_read_b128 v[30:33], v29 offset:8624
	ds_read_b128 v[34:37], v28 offset:13824
	s_waitcnt lgkmcnt(0)
	v_mul_f64 v[38:39], v[32:33], v[36:37]
	v_mul_f64 v[36:37], v[30:31], v[36:37]
	v_fma_f64 v[30:31], v[30:31], v[34:35], -v[38:39]
	v_fma_f64 v[32:33], v[32:33], v[34:35], v[36:37]
	v_add_f64 v[10:11], v[10:11], v[30:31]
	v_add_f64 v[12:13], v[12:13], v[32:33]
	s_or_b64 exec, exec, s[84:85]
	s_and_saveexec_b64 s[14:15], s[12:13]
	s_cbranch_execz .LBB181_209
.LBB181_498:
	ds_read_b128 v[30:33], v29 offset:8640
	ds_read_b128 v[34:37], v28 offset:14336
	s_waitcnt lgkmcnt(0)
	v_mul_f64 v[38:39], v[32:33], v[36:37]
	v_mul_f64 v[36:37], v[30:31], v[36:37]
	v_fma_f64 v[30:31], v[30:31], v[34:35], -v[38:39]
	v_fma_f64 v[32:33], v[32:33], v[34:35], v[36:37]
	v_add_f64 v[10:11], v[10:11], v[30:31]
	v_add_f64 v[12:13], v[12:13], v[32:33]
	s_or_b64 exec, exec, s[14:15]
	v_cmp_gt_u32_e64 s[14:15], 48, v17
	s_and_saveexec_b64 s[84:85], s[14:15]
	s_cbranch_execz .LBB181_210
.LBB181_499:
	ds_read_b128 v[30:33], v29 offset:8656
	ds_read_b128 v[34:37], v28 offset:14848
	s_waitcnt lgkmcnt(0)
	v_mul_f64 v[38:39], v[32:33], v[36:37]
	v_mul_f64 v[36:37], v[30:31], v[36:37]
	v_fma_f64 v[30:31], v[30:31], v[34:35], -v[38:39]
	v_fma_f64 v[32:33], v[32:33], v[34:35], v[36:37]
	v_add_f64 v[10:11], v[10:11], v[30:31]
	v_add_f64 v[12:13], v[12:13], v[32:33]
	s_or_b64 exec, exec, s[84:85]
	v_cmp_gt_u32_e64 s[14:15], 32, v17
	s_and_saveexec_b64 s[84:85], s[14:15]
	s_cbranch_execz .LBB181_211
.LBB181_500:
	ds_read_b128 v[29:32], v29 offset:8672
	ds_read_b128 v[33:36], v28 offset:15360
	s_waitcnt lgkmcnt(0)
	v_mul_f64 v[37:38], v[31:32], v[35:36]
	v_mul_f64 v[35:36], v[29:30], v[35:36]
	v_fma_f64 v[28:29], v[29:30], v[33:34], -v[37:38]
	v_fma_f64 v[30:31], v[31:32], v[33:34], v[35:36]
	v_add_f64 v[10:11], v[10:11], v[28:29]
	v_add_f64 v[12:13], v[12:13], v[30:31]
	s_or_b64 exec, exec, s[84:85]
	v_cmp_gt_u32_e64 s[14:15], 16, v17
	s_and_saveexec_b64 s[84:85], s[14:15]
	s_cbranch_execnz .LBB181_212
	s_branch .LBB181_213
.LBB181_501:
	ds_read_b128 v[27:30], v26 offset:6352
	ds_read_b128 v[31:34], v25 offset:6784
	s_waitcnt lgkmcnt(0)
	v_mul_f64 v[35:36], v[29:30], v[33:34]
	v_mul_f64 v[33:34], v[27:28], v[33:34]
	v_fma_f64 v[27:28], v[27:28], v[31:32], -v[35:36]
	v_fma_f64 v[29:30], v[29:30], v[31:32], v[33:34]
	v_add_f64 v[10:11], v[10:11], v[27:28]
	v_add_f64 v[12:13], v[12:13], v[29:30]
	s_or_b64 exec, exec, s[14:15]
	v_cmp_gt_u32_e64 s[8:9], 8, v17
	s_and_saveexec_b64 s[14:15], s[8:9]
	s_cbranch_execz .LBB181_297
.LBB181_502:
	ds_read_b128 v[26:29], v26 offset:6368
	ds_read_b128 v[30:33], v25 offset:7296
	s_waitcnt lgkmcnt(0)
	v_mul_f64 v[34:35], v[28:29], v[32:33]
	v_mul_f64 v[32:33], v[26:27], v[32:33]
	v_fma_f64 v[25:26], v[26:27], v[30:31], -v[34:35]
	v_fma_f64 v[27:28], v[28:29], v[30:31], v[32:33]
	v_add_f64 v[10:11], v[10:11], v[25:26]
	v_add_f64 v[12:13], v[12:13], v[27:28]
	s_or_b64 exec, exec, s[14:15]
	v_cmp_gt_u32_e64 s[8:9], 4, v17
	s_and_saveexec_b64 s[14:15], s[8:9]
	s_cbranch_execnz .LBB181_298
	s_branch .LBB181_299
.LBB181_503:
	ds_read_b128 v[27:30], v26 offset:4240
	ds_read_b128 v[31:34], v25 offset:4608
	s_waitcnt lgkmcnt(0)
	v_mul_f64 v[35:36], v[29:30], v[33:34]
	v_mul_f64 v[33:34], v[27:28], v[33:34]
	v_fma_f64 v[27:28], v[27:28], v[31:32], -v[35:36]
	v_fma_f64 v[29:30], v[29:30], v[31:32], v[33:34]
	v_add_f64 v[10:11], v[10:11], v[27:28]
	v_add_f64 v[12:13], v[12:13], v[29:30]
	s_or_b64 exec, exec, s[14:15]
	v_cmp_gt_u32_e64 s[8:9], 48, v17
	s_and_saveexec_b64 s[14:15], s[8:9]
	s_cbranch_execz .LBB181_335
.LBB181_504:
	ds_read_b128 v[27:30], v26 offset:4256
	ds_read_b128 v[31:34], v25 offset:5120
	s_waitcnt lgkmcnt(0)
	v_mul_f64 v[35:36], v[29:30], v[33:34]
	v_mul_f64 v[33:34], v[27:28], v[33:34]
	v_fma_f64 v[27:28], v[27:28], v[31:32], -v[35:36]
	v_fma_f64 v[29:30], v[29:30], v[31:32], v[33:34]
	v_add_f64 v[10:11], v[10:11], v[27:28]
	v_add_f64 v[12:13], v[12:13], v[29:30]
	s_or_b64 exec, exec, s[14:15]
	v_cmp_gt_u32_e64 s[8:9], 40, v17
	s_and_saveexec_b64 s[14:15], s[8:9]
	s_cbranch_execz .LBB181_336
.LBB181_505:
	ds_read_b128 v[27:30], v26 offset:4272
	ds_read_b128 v[31:34], v25 offset:5632
	s_waitcnt lgkmcnt(0)
	v_mul_f64 v[35:36], v[29:30], v[33:34]
	v_mul_f64 v[33:34], v[27:28], v[33:34]
	v_fma_f64 v[27:28], v[27:28], v[31:32], -v[35:36]
	v_fma_f64 v[29:30], v[29:30], v[31:32], v[33:34]
	v_add_f64 v[10:11], v[10:11], v[27:28]
	v_add_f64 v[12:13], v[12:13], v[29:30]
	s_or_b64 exec, exec, s[14:15]
	v_cmp_gt_u32_e64 s[8:9], 32, v17
	s_and_saveexec_b64 s[14:15], s[8:9]
	s_cbranch_execz .LBB181_337
.LBB181_506:
	ds_read_b128 v[27:30], v26 offset:4288
	ds_read_b128 v[31:34], v25 offset:6144
	s_waitcnt lgkmcnt(0)
	v_mul_f64 v[35:36], v[29:30], v[33:34]
	v_mul_f64 v[33:34], v[27:28], v[33:34]
	v_fma_f64 v[27:28], v[27:28], v[31:32], -v[35:36]
	v_fma_f64 v[29:30], v[29:30], v[31:32], v[33:34]
	v_add_f64 v[10:11], v[10:11], v[27:28]
	v_add_f64 v[12:13], v[12:13], v[29:30]
	s_or_b64 exec, exec, s[14:15]
	v_cmp_gt_u32_e64 s[8:9], 24, v17
	s_and_saveexec_b64 s[14:15], s[8:9]
	s_cbranch_execz .LBB181_338
.LBB181_507:
	ds_read_b128 v[27:30], v26 offset:4304
	ds_read_b128 v[31:34], v25 offset:6656
	s_waitcnt lgkmcnt(0)
	v_mul_f64 v[35:36], v[29:30], v[33:34]
	v_mul_f64 v[33:34], v[27:28], v[33:34]
	v_fma_f64 v[27:28], v[27:28], v[31:32], -v[35:36]
	v_fma_f64 v[29:30], v[29:30], v[31:32], v[33:34]
	v_add_f64 v[10:11], v[10:11], v[27:28]
	v_add_f64 v[12:13], v[12:13], v[29:30]
	s_or_b64 exec, exec, s[14:15]
	s_and_saveexec_b64 s[8:9], s[2:3]
	s_cbranch_execz .LBB181_339
.LBB181_508:
	ds_read_b128 v[26:29], v26 offset:4320
	ds_read_b128 v[30:33], v25 offset:7168
	s_waitcnt lgkmcnt(0)
	v_mul_f64 v[34:35], v[28:29], v[32:33]
	v_mul_f64 v[32:33], v[26:27], v[32:33]
	v_fma_f64 v[25:26], v[26:27], v[30:31], -v[34:35]
	v_fma_f64 v[27:28], v[28:29], v[30:31], v[32:33]
	v_add_f64 v[10:11], v[10:11], v[25:26]
	v_add_f64 v[12:13], v[12:13], v[27:28]
	s_or_b64 exec, exec, s[8:9]
	v_cmp_gt_u32_e64 s[8:9], 8, v17
	s_and_saveexec_b64 s[14:15], s[8:9]
	s_cbranch_execnz .LBB181_340
	s_branch .LBB181_341
.LBB181_509:
	ds_read_b128 v[24:27], v23 offset:2128
	ds_read_b128 v[28:31], v22 offset:2560
	s_waitcnt lgkmcnt(0)
	v_mul_f64 v[32:33], v[26:27], v[30:31]
	v_mul_f64 v[30:31], v[24:25], v[30:31]
	v_fma_f64 v[24:25], v[24:25], v[28:29], -v[32:33]
	v_fma_f64 v[26:27], v[26:27], v[28:29], v[30:31]
	v_add_f64 v[10:11], v[10:11], v[24:25]
	v_add_f64 v[12:13], v[12:13], v[26:27]
	s_or_b64 exec, exec, s[12:13]
	v_cmp_gt_u32_e64 s[8:9], 8, v17
	s_and_saveexec_b64 s[12:13], s[8:9]
	s_cbranch_execz .LBB181_393
.LBB181_510:
	ds_read_b128 v[23:26], v23 offset:2144
	ds_read_b128 v[27:30], v22 offset:3072
	s_waitcnt lgkmcnt(0)
	v_mul_f64 v[31:32], v[25:26], v[29:30]
	v_mul_f64 v[29:30], v[23:24], v[29:30]
	v_fma_f64 v[22:23], v[23:24], v[27:28], -v[31:32]
	v_fma_f64 v[24:25], v[25:26], v[27:28], v[29:30]
	v_add_f64 v[10:11], v[10:11], v[22:23]
	v_add_f64 v[12:13], v[12:13], v[24:25]
	s_or_b64 exec, exec, s[12:13]
	v_cmp_gt_u32_e64 s[8:9], 4, v17
	s_and_saveexec_b64 s[12:13], s[8:9]
	s_cbranch_execnz .LBB181_394
	s_branch .LBB181_395
	.section	.rodata,"a",@progbits
	.p2align	6, 0x0
	.amdhsa_kernel _ZL19rocblas_trsv_deviceILi32ELi16ELb0ELb0ELb0ELb1E19rocblas_complex_numIdES1_PKPKS1_PKPS1_EviT7_lllT6_T8_lllPii
		.amdhsa_group_segment_fixed_size 25104
		.amdhsa_private_segment_fixed_size 0
		.amdhsa_kernarg_size 360
		.amdhsa_user_sgpr_count 6
		.amdhsa_user_sgpr_private_segment_buffer 1
		.amdhsa_user_sgpr_dispatch_ptr 0
		.amdhsa_user_sgpr_queue_ptr 0
		.amdhsa_user_sgpr_kernarg_segment_ptr 1
		.amdhsa_user_sgpr_dispatch_id 0
		.amdhsa_user_sgpr_flat_scratch_init 0
		.amdhsa_user_sgpr_private_segment_size 0
		.amdhsa_uses_dynamic_stack 0
		.amdhsa_system_sgpr_private_segment_wavefront_offset 0
		.amdhsa_system_sgpr_workgroup_id_x 1
		.amdhsa_system_sgpr_workgroup_id_y 0
		.amdhsa_system_sgpr_workgroup_id_z 1
		.amdhsa_system_sgpr_workgroup_info 0
		.amdhsa_system_vgpr_workitem_id 1
		.amdhsa_next_free_vgpr 49
		.amdhsa_next_free_sgpr 98
		.amdhsa_reserve_vcc 1
		.amdhsa_reserve_flat_scratch 0
		.amdhsa_float_round_mode_32 0
		.amdhsa_float_round_mode_16_64 0
		.amdhsa_float_denorm_mode_32 3
		.amdhsa_float_denorm_mode_16_64 3
		.amdhsa_dx10_clamp 1
		.amdhsa_ieee_mode 1
		.amdhsa_fp16_overflow 0
		.amdhsa_exception_fp_ieee_invalid_op 0
		.amdhsa_exception_fp_denorm_src 0
		.amdhsa_exception_fp_ieee_div_zero 0
		.amdhsa_exception_fp_ieee_overflow 0
		.amdhsa_exception_fp_ieee_underflow 0
		.amdhsa_exception_fp_ieee_inexact 0
		.amdhsa_exception_int_div_zero 0
	.end_amdhsa_kernel
	.section	.text._ZL19rocblas_trsv_deviceILi32ELi16ELb0ELb0ELb0ELb1E19rocblas_complex_numIdES1_PKPKS1_PKPS1_EviT7_lllT6_T8_lllPii,"axG",@progbits,_ZL19rocblas_trsv_deviceILi32ELi16ELb0ELb0ELb0ELb1E19rocblas_complex_numIdES1_PKPKS1_PKPS1_EviT7_lllT6_T8_lllPii,comdat
.Lfunc_end181:
	.size	_ZL19rocblas_trsv_deviceILi32ELi16ELb0ELb0ELb0ELb1E19rocblas_complex_numIdES1_PKPKS1_PKPS1_EviT7_lllT6_T8_lllPii, .Lfunc_end181-_ZL19rocblas_trsv_deviceILi32ELi16ELb0ELb0ELb0ELb1E19rocblas_complex_numIdES1_PKPKS1_PKPS1_EviT7_lllT6_T8_lllPii
                                        ; -- End function
	.set _ZL19rocblas_trsv_deviceILi32ELi16ELb0ELb0ELb0ELb1E19rocblas_complex_numIdES1_PKPKS1_PKPS1_EviT7_lllT6_T8_lllPii.num_vgpr, 40
	.set _ZL19rocblas_trsv_deviceILi32ELi16ELb0ELb0ELb0ELb1E19rocblas_complex_numIdES1_PKPKS1_PKPS1_EviT7_lllT6_T8_lllPii.num_agpr, 0
	.set _ZL19rocblas_trsv_deviceILi32ELi16ELb0ELb0ELb0ELb1E19rocblas_complex_numIdES1_PKPKS1_PKPS1_EviT7_lllT6_T8_lllPii.numbered_sgpr, 96
	.set _ZL19rocblas_trsv_deviceILi32ELi16ELb0ELb0ELb0ELb1E19rocblas_complex_numIdES1_PKPKS1_PKPS1_EviT7_lllT6_T8_lllPii.num_named_barrier, 0
	.set _ZL19rocblas_trsv_deviceILi32ELi16ELb0ELb0ELb0ELb1E19rocblas_complex_numIdES1_PKPKS1_PKPS1_EviT7_lllT6_T8_lllPii.private_seg_size, 0
	.set _ZL19rocblas_trsv_deviceILi32ELi16ELb0ELb0ELb0ELb1E19rocblas_complex_numIdES1_PKPKS1_PKPS1_EviT7_lllT6_T8_lllPii.uses_vcc, 1
	.set _ZL19rocblas_trsv_deviceILi32ELi16ELb0ELb0ELb0ELb1E19rocblas_complex_numIdES1_PKPKS1_PKPS1_EviT7_lllT6_T8_lllPii.uses_flat_scratch, 0
	.set _ZL19rocblas_trsv_deviceILi32ELi16ELb0ELb0ELb0ELb1E19rocblas_complex_numIdES1_PKPKS1_PKPS1_EviT7_lllT6_T8_lllPii.has_dyn_sized_stack, 0
	.set _ZL19rocblas_trsv_deviceILi32ELi16ELb0ELb0ELb0ELb1E19rocblas_complex_numIdES1_PKPKS1_PKPS1_EviT7_lllT6_T8_lllPii.has_recursion, 0
	.set _ZL19rocblas_trsv_deviceILi32ELi16ELb0ELb0ELb0ELb1E19rocblas_complex_numIdES1_PKPKS1_PKPS1_EviT7_lllT6_T8_lllPii.has_indirect_call, 0
	.section	.AMDGPU.csdata,"",@progbits
; Kernel info:
; codeLenInByte = 20804
; TotalNumSgprs: 100
; NumVgprs: 40
; ScratchSize: 0
; MemoryBound: 1
; FloatMode: 240
; IeeeMode: 1
; LDSByteSize: 25104 bytes/workgroup (compile time only)
; SGPRBlocks: 12
; VGPRBlocks: 12
; NumSGPRsForWavesPerEU: 102
; NumVGPRsForWavesPerEU: 49
; Occupancy: 4
; WaveLimiterHint : 1
; COMPUTE_PGM_RSRC2:SCRATCH_EN: 0
; COMPUTE_PGM_RSRC2:USER_SGPR: 6
; COMPUTE_PGM_RSRC2:TRAP_HANDLER: 0
; COMPUTE_PGM_RSRC2:TGID_X_EN: 1
; COMPUTE_PGM_RSRC2:TGID_Y_EN: 0
; COMPUTE_PGM_RSRC2:TGID_Z_EN: 1
; COMPUTE_PGM_RSRC2:TIDIG_COMP_CNT: 1
	.section	.text._ZL19rocblas_trsv_deviceILi32ELi16ELb0ELb1ELb0ELb1E19rocblas_complex_numIdES1_PKPKS1_PKPS1_EviT7_lllT6_T8_lllPii,"axG",@progbits,_ZL19rocblas_trsv_deviceILi32ELi16ELb0ELb1ELb0ELb1E19rocblas_complex_numIdES1_PKPKS1_PKPS1_EviT7_lllT6_T8_lllPii,comdat
	.globl	_ZL19rocblas_trsv_deviceILi32ELi16ELb0ELb1ELb0ELb1E19rocblas_complex_numIdES1_PKPKS1_PKPS1_EviT7_lllT6_T8_lllPii ; -- Begin function _ZL19rocblas_trsv_deviceILi32ELi16ELb0ELb1ELb0ELb1E19rocblas_complex_numIdES1_PKPKS1_PKPS1_EviT7_lllT6_T8_lllPii
	.p2align	8
	.type	_ZL19rocblas_trsv_deviceILi32ELi16ELb0ELb1ELb0ELb1E19rocblas_complex_numIdES1_PKPKS1_PKPS1_EviT7_lllT6_T8_lllPii,@function
_ZL19rocblas_trsv_deviceILi32ELi16ELb0ELb1ELb0ELb1E19rocblas_complex_numIdES1_PKPKS1_PKPS1_EviT7_lllT6_T8_lllPii: ; @_ZL19rocblas_trsv_deviceILi32ELi16ELb0ELb1ELb0ELb1E19rocblas_complex_numIdES1_PKPKS1_PKPS1_EviT7_lllT6_T8_lllPii
; %bb.0:
	s_load_dwordx4 s[0:3], s[4:5], 0x8
	s_mov_b32 s28, s7
	s_mov_b32 s29, 0
	s_lshl_b64 s[8:9], s[28:29], 3
	s_waitcnt lgkmcnt(0)
	s_add_u32 s0, s0, s8
	s_addc_u32 s1, s1, s9
	s_load_dwordx2 s[10:11], s[0:1], 0x0
	s_load_dword s33, s[4:5], 0x0
	s_load_dwordx8 s[20:27], s[4:5], 0x28
	s_load_dwordx2 s[34:35], s[4:5], 0x18
	s_lshl_b64 s[0:1], s[2:3], 4
	s_waitcnt lgkmcnt(0)
	s_add_u32 s92, s10, s0
	s_addc_u32 s93, s11, s1
	s_add_u32 s0, s24, s8
	s_addc_u32 s1, s25, s9
	s_load_dwordx2 s[36:37], s[0:1], 0x0
	s_load_dwordx2 s[24:25], s[4:5], 0x48
	s_load_dword s94, s[4:5], 0x74
	s_cmp_eq_u32 s6, 0
	s_cbranch_scc1 .LBB182_6
; %bb.1:
	s_lshl_b32 s2, s6, 5
	v_add_u32_e32 v6, s2, v0
	v_ashrrev_i32_e32 v2, 31, v6
	v_mul_lo_u32 v7, s34, v2
	v_mul_lo_u32 v8, s35, v6
	v_mad_u64_u32 v[4:5], s[0:1], s34, v6, 0
	v_add_u32_e32 v2, s2, v1
	v_subrev_u32_e32 v2, 32, v2
	v_add3_u32 v5, v5, v7, v8
	v_lshlrev_b64 v[4:5], 4, v[4:5]
	v_ashrrev_i32_e32 v3, 31, v2
	v_cmp_gt_i32_e32 vcc, s33, v6
	v_mov_b32_e32 v6, s93
	v_add_co_u32_e64 v7, s[0:1], s92, v4
	v_lshlrev_b64 v[3:4], 4, v[2:3]
	v_addc_co_u32_e64 v5, s[0:1], v6, v5, s[0:1]
	v_add_co_u32_e64 v10, s[0:1], v7, v3
	v_addc_co_u32_e64 v11, s[0:1], v5, v4, s[0:1]
	v_cmp_gt_i32_e64 s[0:1], s33, v2
	v_mov_b32_e32 v4, 0
	v_mov_b32_e32 v6, 0
	;; [unrolled: 1-line block ×6, first 2 shown]
	s_and_b64 s[2:3], s[0:1], vcc
	s_waitcnt lgkmcnt(0)
	s_barrier
	s_and_saveexec_b64 s[0:1], s[2:3]
	s_cbranch_execz .LBB182_3
; %bb.2:
	flat_load_dwordx4 v[6:9], v[10:11]
.LBB182_3:
	s_or_b64 exec, exec, s[0:1]
	v_add_u32_e32 v2, 16, v2
	v_cmp_gt_i32_e64 s[0:1], s33, v2
	v_mov_b32_e32 v2, 0
	v_mov_b32_e32 v3, 0
	s_and_b64 s[2:3], s[0:1], vcc
	s_waitcnt vmcnt(0) lgkmcnt(0)
	s_barrier
	s_and_saveexec_b64 s[0:1], s[2:3]
	s_cbranch_execz .LBB182_5
; %bb.4:
	flat_load_dwordx4 v[2:5], v[10:11] offset:256
.LBB182_5:
	s_or_b64 exec, exec, s[0:1]
	s_branch .LBB182_7
.LBB182_6:
                                        ; implicit-def: $vgpr4_vgpr5
                                        ; implicit-def: $vgpr8_vgpr9
.LBB182_7:
	s_ashr_i32 s0, s33, 31
	s_lshr_b32 s0, s0, 27
	s_add_i32 s0, s33, s0
	s_andn2_b32 s0, s0, 31
	s_sub_i32 s7, s33, s0
	s_add_i32 s0, s33, -1
	s_ashr_i32 s1, s0, 31
	s_lshr_b32 s1, s1, 27
	s_add_i32 s0, s0, s1
	s_ashr_i32 s0, s0, 5
	s_cmp_eq_u32 s0, s6
	s_cselect_b64 s[0:1], -1, 0
	s_cmp_lg_u32 s7, 0
	s_cselect_b64 s[2:3], -1, 0
	s_and_b64 s[30:31], s[2:3], s[0:1]
	s_cmp_lt_i32 s6, 5
	s_cselect_b64 s[2:3], -1, 0
	v_lshlrev_b32_e32 v10, 5, v0
	s_mov_b64 s[12:13], -1
	s_or_b64 s[0:1], s[2:3], s[30:31]
	s_and_b64 vcc, exec, s[30:31]
	v_add_u32_e32 v11, v1, v10
	v_cmp_le_u32_e64 s[8:9], v1, v0
	v_lshlrev_b32_e32 v22, 4, v0
	v_lshl_add_u32 v23, v1, 5, v0
	s_cbranch_vccnz .LBB182_21
; %bb.8:
	s_add_u32 s10, s34, 1
	s_addc_u32 s11, s35, 0
	s_lshl_b32 s12, s6, 5
	s_ashr_i32 s13, s12, 31
	s_mul_hi_u32 s14, s10, s12
	s_mul_i32 s13, s10, s13
	s_add_i32 s13, s14, s13
	s_mul_i32 s11, s11, s12
	s_add_i32 s11, s13, s11
	s_mul_i32 s10, s10, s12
	s_lshl_b64 s[10:11], s[10:11], 4
	s_add_u32 s10, s92, s10
	s_addc_u32 s11, s93, s11
	v_lshlrev_b32_e32 v12, 4, v0
	v_mov_b32_e32 v13, s11
	v_add_co_u32_e32 v12, vcc, s10, v12
	v_addc_co_u32_e32 v13, vcc, 0, v13, vcc
	v_cndmask_b32_e64 v14, v23, v11, s[2:3]
	s_and_saveexec_b64 s[2:3], s[8:9]
	s_xor_b64 s[2:3], exec, s[2:3]
	s_cbranch_execz .LBB182_12
; %bb.9:
	v_or_b32_e32 v15, v1, v0
	v_cmp_gt_u32_e32 vcc, 32, v15
	s_and_saveexec_b64 s[8:9], vcc
	s_cbranch_execz .LBB182_11
; %bb.10:
	v_lshlrev_b32_e32 v18, 4, v14
	v_mov_b32_e32 v14, 0
	v_mov_b32_e32 v15, v14
	;; [unrolled: 1-line block ×4, first 2 shown]
	ds_write_b128 v18, v[14:17]
.LBB182_11:
	s_or_b64 exec, exec, s[8:9]
                                        ; implicit-def: $vgpr14
.LBB182_12:
	s_andn2_saveexec_b64 s[2:3], s[2:3]
	s_cbranch_execz .LBB182_14
; %bb.13:
	v_mad_u64_u32 v[15:16], s[8:9], s34, v1, 0
	v_lshlrev_b32_e32 v14, 4, v14
	v_mad_u64_u32 v[16:17], s[8:9], s35, v1, v[16:17]
	v_lshlrev_b64 v[15:16], 4, v[15:16]
	v_add_co_u32_e32 v15, vcc, v12, v15
	v_addc_co_u32_e32 v16, vcc, v13, v16, vcc
	flat_load_dwordx4 v[15:18], v[15:16]
	s_waitcnt vmcnt(0) lgkmcnt(0)
	v_xor_b32_e32 v16, 0x80000000, v16
	v_xor_b32_e32 v18, 0x80000000, v18
	ds_write_b128 v14, v[15:18]
.LBB182_14:
	s_or_b64 exec, exec, s[2:3]
	v_add_u32_e32 v15, 16, v1
	v_add_u32_e32 v14, v15, v10
	v_lshl_add_u32 v16, v15, 5, v0
	v_cndmask_b32_e64 v14, v16, v14, s[0:1]
	v_cmp_le_u32_e32 vcc, v15, v0
	s_and_saveexec_b64 s[2:3], vcc
	s_xor_b64 s[2:3], exec, s[2:3]
	s_cbranch_execz .LBB182_18
; %bb.15:
	v_or_b32_e32 v12, v15, v0
	v_cmp_gt_u32_e32 vcc, 32, v12
	s_and_saveexec_b64 s[8:9], vcc
	s_cbranch_execz .LBB182_17
; %bb.16:
	v_mov_b32_e32 v12, 0
	v_lshlrev_b32_e32 v16, 4, v14
	v_mov_b32_e32 v13, v12
	v_mov_b32_e32 v14, v12
	;; [unrolled: 1-line block ×3, first 2 shown]
	ds_write_b128 v16, v[12:15]
.LBB182_17:
	s_or_b64 exec, exec, s[8:9]
                                        ; implicit-def: $vgpr15
                                        ; implicit-def: $vgpr12
                                        ; implicit-def: $vgpr13
                                        ; implicit-def: $vgpr14
.LBB182_18:
	s_andn2_saveexec_b64 s[2:3], s[2:3]
	s_cbranch_execz .LBB182_20
; %bb.19:
	v_mad_u64_u32 v[16:17], s[8:9], s34, v15, 0
	v_mad_u64_u32 v[17:18], s[8:9], s35, v15, v[17:18]
	v_lshlrev_b64 v[15:16], 4, v[16:17]
	v_add_co_u32_e32 v12, vcc, v12, v15
	v_addc_co_u32_e32 v13, vcc, v13, v16, vcc
	flat_load_dwordx4 v[15:18], v[12:13]
	v_lshlrev_b32_e32 v12, 4, v14
	s_waitcnt vmcnt(0) lgkmcnt(0)
	v_xor_b32_e32 v16, 0x80000000, v16
	v_xor_b32_e32 v18, 0x80000000, v18
	ds_write_b128 v12, v[15:18]
.LBB182_20:
	s_or_b64 exec, exec, s[2:3]
	s_mov_b64 s[12:13], 0
.LBB182_21:
	s_xor_b64 s[10:11], s[0:1], -1
	s_and_b64 vcc, exec, s[12:13]
	s_cbranch_vccz .LBB182_35
; %bb.22:
	s_add_u32 s2, s34, 1
	s_addc_u32 s3, s35, 0
	s_lshl_b32 s8, s6, 5
	s_ashr_i32 s9, s8, 31
	s_mul_hi_u32 s12, s2, s8
	s_mul_i32 s9, s2, s9
	s_add_i32 s9, s12, s9
	s_mul_i32 s3, s3, s8
	s_add_i32 s3, s9, s3
	s_mul_i32 s2, s2, s8
	s_lshl_b64 s[2:3], s[2:3], 4
	s_add_u32 s2, s92, s2
	s_addc_u32 s3, s93, s3
	v_lshlrev_b32_e32 v12, 4, v0
	v_mov_b32_e32 v13, s3
	v_add_co_u32_e64 v12, s[2:3], s2, v12
	v_addc_co_u32_e64 v13, s[2:3], 0, v13, s[2:3]
	v_max_i32_e32 v14, v1, v0
	v_cmp_le_u32_e64 s[2:3], v1, v0
	v_cmp_le_i32_e64 s[8:9], s7, v14
	v_cmp_gt_i32_e32 vcc, s7, v0
	s_or_b64 s[2:3], s[8:9], s[2:3]
	s_and_saveexec_b64 s[8:9], s[2:3]
	s_xor_b64 s[8:9], exec, s[8:9]
	s_cbranch_execz .LBB182_26
; %bb.23:
	v_or_b32_e32 v14, v1, v0
	v_cmp_gt_u32_e64 s[2:3], 32, v14
	s_and_saveexec_b64 s[12:13], s[2:3]
	s_cbranch_execz .LBB182_25
; %bb.24:
	v_mov_b32_e32 v14, 0
	v_lshlrev_b32_e32 v11, 4, v11
	v_mov_b32_e32 v15, v14
	v_mov_b32_e32 v16, v14
	;; [unrolled: 1-line block ×3, first 2 shown]
	ds_write_b128 v11, v[14:17]
.LBB182_25:
	s_or_b64 exec, exec, s[12:13]
                                        ; implicit-def: $vgpr11
.LBB182_26:
	s_andn2_saveexec_b64 s[8:9], s[8:9]
	s_cbranch_execz .LBB182_28
; %bb.27:
	v_mad_u64_u32 v[14:15], s[2:3], s34, v1, 0
	v_lshlrev_b32_e32 v11, 4, v11
	v_mad_u64_u32 v[15:16], s[2:3], s35, v1, v[15:16]
	v_lshlrev_b64 v[14:15], 4, v[14:15]
	v_add_co_u32_e64 v14, s[2:3], v12, v14
	v_addc_co_u32_e64 v15, s[2:3], v13, v15, s[2:3]
	flat_load_dwordx4 v[14:17], v[14:15]
	s_waitcnt vmcnt(0) lgkmcnt(0)
	v_xor_b32_e32 v15, 0x80000000, v15
	v_xor_b32_e32 v17, 0x80000000, v17
	ds_write_b128 v11, v[14:17]
.LBB182_28:
	s_or_b64 exec, exec, s[8:9]
	v_add_u32_e32 v11, 16, v1
	v_add_u32_e32 v10, v11, v10
	v_lshl_add_u32 v14, v11, 5, v0
	v_cndmask_b32_e64 v10, v14, v10, s[0:1]
	v_cmp_gt_u32_e64 s[0:1], v11, v0
	v_cmp_gt_i32_e64 s[2:3], s7, v11
	s_and_b64 s[0:1], s[0:1], s[2:3]
	s_and_b64 s[0:1], s[0:1], vcc
	s_xor_b64 s[0:1], s[0:1], -1
	s_and_saveexec_b64 s[2:3], s[0:1]
	s_xor_b64 s[0:1], exec, s[2:3]
	s_cbranch_execz .LBB182_32
; %bb.29:
	v_or_b32_e32 v11, v11, v0
	v_cmp_gt_u32_e32 vcc, 32, v11
	s_and_saveexec_b64 s[2:3], vcc
	s_cbranch_execz .LBB182_31
; %bb.30:
	v_lshlrev_b32_e32 v14, 4, v10
	v_mov_b32_e32 v10, 0
	v_mov_b32_e32 v11, v10
	;; [unrolled: 1-line block ×4, first 2 shown]
	ds_write_b128 v14, v[10:13]
.LBB182_31:
	s_or_b64 exec, exec, s[2:3]
                                        ; implicit-def: $vgpr11
                                        ; implicit-def: $vgpr12
                                        ; implicit-def: $vgpr13
                                        ; implicit-def: $vgpr10
.LBB182_32:
	s_andn2_saveexec_b64 s[0:1], s[0:1]
	s_cbranch_execz .LBB182_34
; %bb.33:
	v_mad_u64_u32 v[14:15], s[2:3], s34, v11, 0
	v_lshlrev_b32_e32 v10, 4, v10
	v_mad_u64_u32 v[15:16], s[2:3], s35, v11, v[15:16]
	v_lshlrev_b64 v[14:15], 4, v[14:15]
	v_add_co_u32_e32 v11, vcc, v12, v14
	v_addc_co_u32_e32 v12, vcc, v13, v15, vcc
	flat_load_dwordx4 v[11:14], v[11:12]
	s_waitcnt vmcnt(0) lgkmcnt(0)
	v_xor_b32_e32 v12, 0x80000000, v12
	v_xor_b32_e32 v14, 0x80000000, v14
	ds_write_b128 v10, v[11:14]
.LBB182_34:
	s_or_b64 exec, exec, s[0:1]
.LBB182_35:
	v_cndmask_b32_e64 v10, 0, 1, s[10:11]
	v_cmp_ne_u32_e64 s[0:1], 1, v10
	s_andn2_b64 vcc, exec, s[10:11]
	s_waitcnt vmcnt(0) lgkmcnt(0)
	s_barrier
	s_cbranch_vccnz .LBB182_459
; %bb.36:
	v_or_b32_e32 v10, v0, v1
	s_mov_b32 s8, 0
	v_cmp_eq_u32_e32 vcc, 0, v10
	s_and_saveexec_b64 s[2:3], vcc
	s_cbranch_execz .LBB182_38
; %bb.37:
	v_mov_b32_e32 v18, 0
	ds_read_b128 v[10:13], v18 offset:16352
	s_mov_b32 s11, s8
	s_mov_b32 s9, 0x3ff00000
	;; [unrolled: 1-line block ×3, first 2 shown]
	v_mov_b32_e32 v17, s11
	v_mov_b32_e32 v16, s10
	;; [unrolled: 1-line block ×4, first 2 shown]
	ds_write_b128 v18, v[14:17] offset:15840
	ds_write_b128 v18, v[14:17] offset:16368
	s_waitcnt lgkmcnt(2)
	ds_write_b128 v18, v[10:13] offset:15856
.LBB182_38:
	s_or_b64 exec, exec, s[2:3]
	v_lshlrev_b32_e32 v10, 5, v1
	v_add_u32_e32 v17, v10, v0
	v_add_u16_e32 v10, v10, v0
	v_lshrrev_b16_e32 v16, 1, v10
	v_mov_b32_e32 v10, 0
	v_mov_b32_e32 v12, 0
	v_and_b32_e32 v14, 1, v0
	v_sub_u32_e32 v15, 1, v16
	v_cmp_lt_u32_e64 s[8:9], 3, v17
	v_mov_b32_e32 v11, 0
	v_mov_b32_e32 v13, 0
	v_cmp_gt_u32_e64 s[2:3], 4, v17
	s_waitcnt lgkmcnt(0)
	s_barrier
	buffer_wbinvl1_vol
	s_and_saveexec_b64 s[12:13], s[2:3]
	s_cbranch_execz .LBB182_42
; %bb.39:
	v_lshlrev_b32_e32 v18, 4, v14
	v_lshlrev_b32_e32 v10, 9, v15
	ds_read_b128 v[10:13], v10 offset:15840
	ds_read_b128 v[18:21], v18 offset:15808
	v_cmp_gt_u32_e64 s[10:11], 2, v17
	s_waitcnt lgkmcnt(0)
	v_mul_f64 v[24:25], v[12:13], v[20:21]
	v_mul_f64 v[20:21], v[10:11], v[20:21]
	v_fma_f64 v[10:11], v[10:11], v[18:19], -v[24:25]
	v_fma_f64 v[12:13], v[12:13], v[18:19], v[20:21]
	v_add_f64 v[10:11], v[10:11], 0
	v_add_f64 v[12:13], v[12:13], 0
	s_and_saveexec_b64 s[14:15], s[10:11]
	s_cbranch_execz .LBB182_41
; %bb.40:
	v_lshlrev_b32_e32 v24, 4, v0
	v_mov_b32_e32 v18, 0
	ds_read_b128 v[18:21], v18 offset:16368
	ds_read_b128 v[24:27], v24 offset:16320
	s_waitcnt lgkmcnt(0)
	v_mul_f64 v[28:29], v[20:21], v[26:27]
	v_mul_f64 v[26:27], v[18:19], v[26:27]
	v_fma_f64 v[18:19], v[18:19], v[24:25], -v[28:29]
	v_fma_f64 v[20:21], v[20:21], v[24:25], v[26:27]
	v_add_f64 v[10:11], v[10:11], v[18:19]
	v_add_f64 v[12:13], v[12:13], v[20:21]
.LBB182_41:
	s_or_b64 exec, exec, s[14:15]
.LBB182_42:
	s_or_b64 exec, exec, s[12:13]
	v_mov_b32_e32 v18, 0x4000
	v_cmp_ne_u32_e64 s[10:11], 0, v14
	s_xor_b64 s[12:13], s[8:9], -1
	v_lshl_add_u32 v16, v16, 4, v18
	s_and_b64 s[40:41], s[10:11], s[12:13]
	s_and_saveexec_b64 s[8:9], s[40:41]
; %bb.43:
	v_xor_b32_e32 v19, 0x80000000, v11
	v_xor_b32_e32 v21, 0x80000000, v13
	v_mov_b32_e32 v18, v10
	v_mov_b32_e32 v20, v12
	ds_write_b128 v16, v[18:21]
; %bb.44:
	s_or_b64 exec, exec, s[8:9]
	v_cmp_eq_u32_e64 s[8:9], 0, v14
	s_and_b64 s[38:39], s[8:9], s[12:13]
	s_waitcnt lgkmcnt(0)
	s_barrier
	s_and_saveexec_b64 s[8:9], s[38:39]
	s_cbranch_execz .LBB182_46
; %bb.45:
	v_mov_b32_e32 v24, 0
	ds_read_b128 v[18:21], v16
	ds_read_b128 v[24:27], v24 offset:15296
	s_waitcnt lgkmcnt(0)
	v_mul_f64 v[28:29], v[18:19], v[24:25]
	v_mul_f64 v[18:19], v[18:19], v[26:27]
	v_fma_f64 v[26:27], v[20:21], v[26:27], -v[28:29]
	v_fma_f64 v[18:19], v[20:21], v[24:25], v[18:19]
	v_add_f64 v[10:11], v[10:11], v[26:27]
	v_add_f64 v[12:13], v[12:13], -v[18:19]
.LBB182_46:
	s_or_b64 exec, exec, s[8:9]
	s_barrier
	s_and_saveexec_b64 s[8:9], s[38:39]
; %bb.47:
	v_xor_b32_e32 v19, 0x80000000, v11
	v_xor_b32_e32 v21, 0x80000000, v13
	v_mov_b32_e32 v18, v10
	v_mov_b32_e32 v20, v12
	ds_write_b128 v16, v[18:21]
; %bb.48:
	s_or_b64 exec, exec, s[8:9]
	s_waitcnt lgkmcnt(0)
	s_barrier
	s_barrier
	s_and_saveexec_b64 s[8:9], s[2:3]
; %bb.49:
	v_lshlrev_b32_e32 v18, 4, v14
	v_lshl_or_b32 v18, v15, 9, v18
	ds_write_b128 v18, v[10:13] offset:15808
; %bb.50:
	s_or_b64 exec, exec, s[8:9]
	v_cmp_eq_u32_e64 s[10:11], 0, v1
	v_cmp_gt_u32_e64 s[8:9], 2, v0
	s_and_b64 s[42:43], s[10:11], s[8:9]
	s_waitcnt lgkmcnt(0)
	s_barrier
	s_barrier
	s_and_saveexec_b64 s[8:9], s[42:43]
	s_cbranch_execz .LBB182_52
; %bb.51:
	v_lshlrev_b32_e32 v18, 9, v0
	ds_read_b128 v[10:13], v18 offset:15808
	s_movk_i32 s12, 0xfe10
	v_mad_i32_i24 v19, v0, s12, v18
	s_waitcnt lgkmcnt(0)
	ds_write_b128 v19, v[10:13] offset:14816
	ds_read_b128 v[10:13], v18 offset:15824
	s_waitcnt lgkmcnt(0)
	ds_write_b128 v19, v[10:13] offset:15328
.LBB182_52:
	s_or_b64 exec, exec, s[8:9]
	s_waitcnt lgkmcnt(0)
	s_barrier
	s_and_saveexec_b64 s[8:9], vcc
	s_cbranch_execz .LBB182_54
; %bb.53:
	s_mov_b32 s12, 0
	v_mov_b32_e32 v24, 0
	ds_read_b128 v[10:13], v24 offset:15296
	s_mov_b32 s15, s12
	s_mov_b32 s13, 0x3ff00000
	s_mov_b32 s14, s12
	v_mov_b32_e32 v21, s15
	v_mov_b32_e32 v20, s14
	;; [unrolled: 1-line block ×4, first 2 shown]
	ds_write_b128 v24, v[18:21] offset:14784
	ds_write_b128 v24, v[18:21] offset:15312
	s_waitcnt lgkmcnt(2)
	ds_write_b128 v24, v[10:13] offset:14800
.LBB182_54:
	s_or_b64 exec, exec, s[8:9]
	v_lshrrev_b32_e32 v20, 2, v17
	v_mov_b32_e32 v12, 0
	v_mov_b32_e32 v10, 0
	v_and_b32_e32 v18, 3, v0
	v_sub_u32_e32 v19, 3, v20
	v_cmp_lt_u32_e64 s[8:9], 15, v17
	v_mov_b32_e32 v13, 0
	v_mov_b32_e32 v11, 0
	v_cmp_gt_u32_e64 s[16:17], 16, v17
	s_waitcnt lgkmcnt(0)
	s_barrier
	buffer_wbinvl1_vol
	s_and_saveexec_b64 s[14:15], s[16:17]
	s_cbranch_execz .LBB182_60
; %bb.55:
	v_lshlrev_b32_e32 v24, 9, v19
	v_lshlrev_b32_e32 v21, 4, v18
	ds_read_b128 v[10:13], v24 offset:14784
	ds_read_b128 v[25:28], v21 offset:14720
	v_cmp_gt_u32_e64 s[12:13], 12, v17
	s_waitcnt lgkmcnt(0)
	v_mul_f64 v[29:30], v[12:13], v[27:28]
	v_mul_f64 v[27:28], v[10:11], v[27:28]
	v_fma_f64 v[10:11], v[10:11], v[25:26], -v[29:30]
	v_fma_f64 v[12:13], v[12:13], v[25:26], v[27:28]
	v_add_f64 v[10:11], v[10:11], 0
	v_add_f64 v[12:13], v[12:13], 0
	s_and_saveexec_b64 s[18:19], s[12:13]
	s_cbranch_execnz .LBB182_519
; %bb.56:
	s_or_b64 exec, exec, s[18:19]
	v_cmp_gt_u32_e64 s[12:13], 8, v17
	s_and_saveexec_b64 s[18:19], s[12:13]
	s_cbranch_execnz .LBB182_520
.LBB182_57:
	s_or_b64 exec, exec, s[18:19]
	v_cmp_gt_u32_e64 s[12:13], 4, v17
	s_and_saveexec_b64 s[18:19], s[12:13]
	s_cbranch_execz .LBB182_59
.LBB182_58:
	v_mov_b32_e32 v24, 0
	v_lshlrev_b32_e32 v21, 4, v0
	ds_read_b128 v[24:27], v24 offset:16368
	ds_read_b128 v[28:31], v21 offset:16256
	s_waitcnt lgkmcnt(0)
	v_mul_f64 v[32:33], v[26:27], v[30:31]
	v_mul_f64 v[30:31], v[24:25], v[30:31]
	v_fma_f64 v[24:25], v[24:25], v[28:29], -v[32:33]
	v_fma_f64 v[26:27], v[26:27], v[28:29], v[30:31]
	v_add_f64 v[10:11], v[10:11], v[24:25]
	v_add_f64 v[12:13], v[12:13], v[26:27]
.LBB182_59:
	s_or_b64 exec, exec, s[18:19]
.LBB182_60:
	s_or_b64 exec, exec, s[14:15]
	v_mov_b32_e32 v21, 0x4000
	v_cmp_eq_u32_e64 s[12:13], 3, v18
	s_xor_b64 s[14:15], s[8:9], -1
	v_lshl_add_u32 v20, v20, 4, v21
	s_and_b64 s[46:47], s[12:13], s[14:15]
	s_and_saveexec_b64 s[8:9], s[46:47]
; %bb.61:
	v_xor_b32_e32 v27, 0x80000000, v13
	v_xor_b32_e32 v25, 0x80000000, v11
	v_mov_b32_e32 v24, v10
	v_mov_b32_e32 v26, v12
	ds_write_b128 v20, v[24:27]
; %bb.62:
	s_or_b64 exec, exec, s[8:9]
	v_cmp_ne_u32_e64 s[8:9], 3, v18
	s_and_b64 s[48:49], s[8:9], s[14:15]
	s_waitcnt lgkmcnt(0)
	s_barrier
	s_and_saveexec_b64 s[8:9], s[48:49]
	s_cbranch_execz .LBB182_64
; %bb.63:
	v_lshlrev_b32_e32 v21, 4, v18
	ds_read_b128 v[24:27], v20
	ds_read_b128 v[28:31], v21 offset:14208
	s_waitcnt lgkmcnt(0)
	v_mul_f64 v[32:33], v[26:27], v[30:31]
	v_mul_f64 v[30:31], v[24:25], v[30:31]
	v_fma_f64 v[24:25], v[24:25], v[28:29], -v[32:33]
	v_fma_f64 v[26:27], v[26:27], v[28:29], v[30:31]
	v_add_f64 v[10:11], v[10:11], -v[24:25]
	v_add_f64 v[12:13], v[12:13], -v[26:27]
.LBB182_64:
	s_or_b64 exec, exec, s[8:9]
	v_cmp_eq_u32_e64 s[8:9], 2, v18
	s_and_b64 s[50:51], s[8:9], s[14:15]
	s_barrier
	s_and_saveexec_b64 s[8:9], s[50:51]
; %bb.65:
	v_xor_b32_e32 v27, 0x80000000, v13
	v_xor_b32_e32 v25, 0x80000000, v11
	v_mov_b32_e32 v24, v10
	v_mov_b32_e32 v26, v12
	ds_write_b128 v20, v[24:27]
; %bb.66:
	s_or_b64 exec, exec, s[8:9]
	v_cmp_gt_u32_e64 s[8:9], 2, v18
	s_and_b64 s[52:53], s[8:9], s[14:15]
	s_waitcnt lgkmcnt(0)
	s_barrier
	s_and_saveexec_b64 s[8:9], s[52:53]
	s_cbranch_execz .LBB182_68
; %bb.67:
	v_lshlrev_b32_e32 v21, 4, v18
	ds_read_b128 v[24:27], v20
	ds_read_b128 v[28:31], v21 offset:13696
	s_waitcnt lgkmcnt(0)
	v_mul_f64 v[32:33], v[26:27], v[30:31]
	v_mul_f64 v[30:31], v[24:25], v[30:31]
	v_fma_f64 v[24:25], v[24:25], v[28:29], -v[32:33]
	v_fma_f64 v[26:27], v[26:27], v[28:29], v[30:31]
	v_add_f64 v[10:11], v[10:11], -v[24:25]
	v_add_f64 v[12:13], v[12:13], -v[26:27]
.LBB182_68:
	s_or_b64 exec, exec, s[8:9]
	v_cmp_eq_u32_e64 s[8:9], 1, v18
	s_and_b64 s[54:55], s[8:9], s[14:15]
	s_barrier
	s_and_saveexec_b64 s[8:9], s[54:55]
; %bb.69:
	v_xor_b32_e32 v27, 0x80000000, v13
	v_xor_b32_e32 v25, 0x80000000, v11
	v_mov_b32_e32 v24, v10
	v_mov_b32_e32 v26, v12
	ds_write_b128 v20, v[24:27]
; %bb.70:
	s_or_b64 exec, exec, s[8:9]
	v_cmp_eq_u32_e64 s[8:9], 0, v18
	s_and_b64 s[44:45], s[8:9], s[14:15]
	s_waitcnt lgkmcnt(0)
	s_barrier
	s_and_saveexec_b64 s[8:9], s[44:45]
	s_cbranch_execz .LBB182_72
; %bb.71:
	v_mov_b32_e32 v21, 0
	ds_read_b128 v[24:27], v20
	ds_read_b128 v[28:31], v21 offset:13184
	s_waitcnt lgkmcnt(0)
	v_mul_f64 v[32:33], v[26:27], v[30:31]
	v_mul_f64 v[30:31], v[24:25], v[30:31]
	v_fma_f64 v[24:25], v[24:25], v[28:29], -v[32:33]
	v_fma_f64 v[26:27], v[26:27], v[28:29], v[30:31]
	v_add_f64 v[10:11], v[10:11], -v[24:25]
	v_add_f64 v[12:13], v[12:13], -v[26:27]
.LBB182_72:
	s_or_b64 exec, exec, s[8:9]
	s_barrier
	s_and_saveexec_b64 s[8:9], s[44:45]
; %bb.73:
	v_xor_b32_e32 v27, 0x80000000, v13
	v_xor_b32_e32 v25, 0x80000000, v11
	v_mov_b32_e32 v24, v10
	v_mov_b32_e32 v26, v12
	ds_write_b128 v20, v[24:27]
; %bb.74:
	s_or_b64 exec, exec, s[8:9]
	s_waitcnt lgkmcnt(0)
	s_barrier
	s_barrier
	s_and_saveexec_b64 s[8:9], s[16:17]
; %bb.75:
	v_lshlrev_b32_e32 v21, 4, v18
	v_lshl_or_b32 v21, v19, 9, v21
	ds_write_b128 v21, v[10:13] offset:14720
; %bb.76:
	s_or_b64 exec, exec, s[8:9]
	v_cmp_gt_u32_e64 s[8:9], 4, v0
	s_and_b64 s[56:57], s[10:11], s[8:9]
	s_waitcnt lgkmcnt(0)
	s_barrier
	s_barrier
	s_and_saveexec_b64 s[8:9], s[56:57]
	s_cbranch_execz .LBB182_78
; %bb.77:
	v_lshlrev_b32_e32 v21, 4, v0
	s_movk_i32 s12, 0x1f0
	v_mad_u32_u24 v24, v0, s12, v21
	ds_read_b128 v[10:13], v24 offset:14720
	s_waitcnt lgkmcnt(0)
	ds_write_b128 v21, v[10:13] offset:12736
	ds_read_b128 v[10:13], v24 offset:14736
	s_waitcnt lgkmcnt(0)
	ds_write_b128 v21, v[10:13] offset:13248
	;; [unrolled: 3-line block ×4, first 2 shown]
.LBB182_78:
	s_or_b64 exec, exec, s[8:9]
	s_waitcnt lgkmcnt(0)
	s_barrier
	s_and_saveexec_b64 s[8:9], vcc
	s_cbranch_execz .LBB182_80
; %bb.79:
	s_mov_b32 s12, 0
	v_mov_b32_e32 v21, 0
	ds_read_b128 v[10:13], v21 offset:14240
	s_mov_b32 s15, s12
	s_mov_b32 s13, 0x3ff00000
	;; [unrolled: 1-line block ×3, first 2 shown]
	v_mov_b32_e32 v27, s15
	v_mov_b32_e32 v26, s14
	;; [unrolled: 1-line block ×4, first 2 shown]
	ds_write_b128 v21, v[24:27] offset:13728
	ds_write_b128 v21, v[24:27] offset:14256
	s_waitcnt lgkmcnt(2)
	ds_write_b128 v21, v[10:13] offset:13744
.LBB182_80:
	s_or_b64 exec, exec, s[8:9]
	v_mov_b32_e32 v10, 0
	v_mov_b32_e32 v12, 0
	;; [unrolled: 1-line block ×4, first 2 shown]
	s_waitcnt lgkmcnt(0)
	s_barrier
	buffer_wbinvl1_vol
	s_and_saveexec_b64 s[12:13], s[2:3]
	s_cbranch_execz .LBB182_84
; %bb.81:
	v_lshlrev_b32_e32 v10, 9, v15
	v_lshlrev_b32_e32 v21, 4, v14
	ds_read_b128 v[10:13], v10 offset:13728
	ds_read_b128 v[24:27], v21 offset:13696
	v_cmp_gt_u32_e64 s[8:9], 2, v17
	s_waitcnt lgkmcnt(0)
	v_mul_f64 v[28:29], v[12:13], v[26:27]
	v_mul_f64 v[26:27], v[10:11], v[26:27]
	v_fma_f64 v[10:11], v[10:11], v[24:25], -v[28:29]
	v_fma_f64 v[12:13], v[12:13], v[24:25], v[26:27]
	v_add_f64 v[10:11], v[10:11], 0
	v_add_f64 v[12:13], v[12:13], 0
	s_and_saveexec_b64 s[14:15], s[8:9]
	s_cbranch_execz .LBB182_83
; %bb.82:
	v_mov_b32_e32 v24, 0
	v_lshlrev_b32_e32 v21, 4, v0
	ds_read_b128 v[24:27], v24 offset:14256
	ds_read_b128 v[28:31], v21 offset:14208
	s_waitcnt lgkmcnt(0)
	v_mul_f64 v[32:33], v[26:27], v[30:31]
	v_mul_f64 v[30:31], v[24:25], v[30:31]
	v_fma_f64 v[24:25], v[24:25], v[28:29], -v[32:33]
	v_fma_f64 v[26:27], v[26:27], v[28:29], v[30:31]
	v_add_f64 v[10:11], v[10:11], v[24:25]
	v_add_f64 v[12:13], v[12:13], v[26:27]
.LBB182_83:
	s_or_b64 exec, exec, s[14:15]
.LBB182_84:
	s_or_b64 exec, exec, s[12:13]
	s_and_saveexec_b64 s[8:9], s[40:41]
; %bb.85:
	v_xor_b32_e32 v25, 0x80000000, v11
	v_xor_b32_e32 v27, 0x80000000, v13
	v_mov_b32_e32 v24, v10
	v_mov_b32_e32 v26, v12
	ds_write_b128 v16, v[24:27]
; %bb.86:
	s_or_b64 exec, exec, s[8:9]
	s_waitcnt lgkmcnt(0)
	s_barrier
	s_and_saveexec_b64 s[8:9], s[38:39]
	s_cbranch_execz .LBB182_88
; %bb.87:
	v_mov_b32_e32 v21, 0
	ds_read_b128 v[24:27], v16
	ds_read_b128 v[28:31], v21 offset:13184
	s_waitcnt lgkmcnt(0)
	v_mul_f64 v[32:33], v[24:25], v[28:29]
	v_mul_f64 v[24:25], v[24:25], v[30:31]
	v_fma_f64 v[30:31], v[26:27], v[30:31], -v[32:33]
	v_fma_f64 v[24:25], v[26:27], v[28:29], v[24:25]
	v_add_f64 v[10:11], v[10:11], v[30:31]
	v_add_f64 v[12:13], v[12:13], -v[24:25]
.LBB182_88:
	s_or_b64 exec, exec, s[8:9]
	s_barrier
	s_and_saveexec_b64 s[8:9], s[38:39]
; %bb.89:
	v_xor_b32_e32 v25, 0x80000000, v11
	v_xor_b32_e32 v27, 0x80000000, v13
	v_mov_b32_e32 v24, v10
	v_mov_b32_e32 v26, v12
	ds_write_b128 v16, v[24:27]
; %bb.90:
	s_or_b64 exec, exec, s[8:9]
	s_waitcnt lgkmcnt(0)
	s_barrier
	s_barrier
	s_and_saveexec_b64 s[8:9], s[2:3]
; %bb.91:
	v_lshlrev_b32_e32 v21, 4, v14
	v_lshl_or_b32 v21, v15, 9, v21
	ds_write_b128 v21, v[10:13] offset:13696
; %bb.92:
	s_or_b64 exec, exec, s[8:9]
	s_waitcnt lgkmcnt(0)
	s_barrier
	s_barrier
	s_and_saveexec_b64 s[8:9], s[42:43]
	s_cbranch_execz .LBB182_94
; %bb.93:
	v_lshlrev_b32_e32 v21, 9, v0
	ds_read_b128 v[10:13], v21 offset:13696
	s_movk_i32 s12, 0xfe10
	v_mad_i32_i24 v24, v0, s12, v21
	s_waitcnt lgkmcnt(0)
	ds_write_b128 v24, v[10:13] offset:12704
	ds_read_b128 v[10:13], v21 offset:13712
	s_waitcnt lgkmcnt(0)
	ds_write_b128 v24, v[10:13] offset:13216
.LBB182_94:
	s_or_b64 exec, exec, s[8:9]
	s_waitcnt lgkmcnt(0)
	s_barrier
	s_and_saveexec_b64 s[8:9], vcc
	s_cbranch_execz .LBB182_96
; %bb.95:
	s_mov_b32 s12, 0
	v_mov_b32_e32 v21, 0
	ds_read_b128 v[10:13], v21 offset:13184
	s_mov_b32 s15, s12
	s_mov_b32 s13, 0x3ff00000
	;; [unrolled: 1-line block ×3, first 2 shown]
	v_mov_b32_e32 v27, s15
	v_mov_b32_e32 v26, s14
	;; [unrolled: 1-line block ×4, first 2 shown]
	ds_write_b128 v21, v[24:27] offset:12672
	ds_write_b128 v21, v[24:27] offset:13200
	s_waitcnt lgkmcnt(2)
	ds_write_b128 v21, v[10:13] offset:12688
.LBB182_96:
	s_or_b64 exec, exec, s[8:9]
	v_lshrrev_b32_e32 v25, 3, v17
	v_mov_b32_e32 v12, 0
	v_mov_b32_e32 v10, 0
	v_and_b32_e32 v21, 7, v0
	v_sub_u32_e32 v24, 7, v25
	v_cmp_lt_u32_e64 s[12:13], 63, v17
	v_mov_b32_e32 v13, 0
	v_mov_b32_e32 v11, 0
	v_cmp_gt_u32_e64 s[8:9], 64, v17
	s_waitcnt lgkmcnt(0)
	s_barrier
	buffer_wbinvl1_vol
	s_and_saveexec_b64 s[18:19], s[8:9]
	s_cbranch_execz .LBB182_106
; %bb.97:
	v_lshlrev_b32_e32 v27, 9, v24
	v_lshlrev_b32_e32 v26, 4, v21
	ds_read_b128 v[10:13], v27 offset:12672
	ds_read_b128 v[28:31], v26 offset:12544
	v_cmp_gt_u32_e64 s[14:15], 56, v17
	s_waitcnt lgkmcnt(0)
	v_mul_f64 v[32:33], v[12:13], v[30:31]
	v_mul_f64 v[30:31], v[10:11], v[30:31]
	v_fma_f64 v[10:11], v[10:11], v[28:29], -v[32:33]
	v_fma_f64 v[12:13], v[12:13], v[28:29], v[30:31]
	v_add_f64 v[10:11], v[10:11], 0
	v_add_f64 v[12:13], v[12:13], 0
	s_and_saveexec_b64 s[58:59], s[14:15]
	s_cbranch_execnz .LBB182_521
; %bb.98:
	s_or_b64 exec, exec, s[58:59]
	v_cmp_gt_u32_e64 s[14:15], 48, v17
	s_and_saveexec_b64 s[58:59], s[14:15]
	s_cbranch_execnz .LBB182_522
.LBB182_99:
	s_or_b64 exec, exec, s[58:59]
	v_cmp_gt_u32_e64 s[14:15], 40, v17
	s_and_saveexec_b64 s[58:59], s[14:15]
	s_cbranch_execnz .LBB182_523
.LBB182_100:
	s_or_b64 exec, exec, s[58:59]
	v_cmp_gt_u32_e64 s[14:15], 32, v17
	s_and_saveexec_b64 s[58:59], s[14:15]
	s_cbranch_execnz .LBB182_524
.LBB182_101:
	s_or_b64 exec, exec, s[58:59]
	v_cmp_gt_u32_e64 s[14:15], 24, v17
	s_and_saveexec_b64 s[58:59], s[14:15]
	s_cbranch_execnz .LBB182_525
.LBB182_102:
	s_or_b64 exec, exec, s[58:59]
	s_and_saveexec_b64 s[14:15], s[16:17]
	s_cbranch_execnz .LBB182_526
.LBB182_103:
	s_or_b64 exec, exec, s[14:15]
	v_cmp_gt_u32_e64 s[14:15], 8, v17
	s_and_saveexec_b64 s[58:59], s[14:15]
	s_cbranch_execz .LBB182_105
.LBB182_104:
	v_lshlrev_b32_e32 v30, 4, v0
	v_mov_b32_e32 v26, 0
	ds_read_b128 v[26:29], v26 offset:16368
	ds_read_b128 v[30:33], v30 offset:16128
	s_waitcnt lgkmcnt(0)
	v_mul_f64 v[34:35], v[28:29], v[32:33]
	v_mul_f64 v[32:33], v[26:27], v[32:33]
	v_fma_f64 v[26:27], v[26:27], v[30:31], -v[34:35]
	v_fma_f64 v[28:29], v[28:29], v[30:31], v[32:33]
	v_add_f64 v[10:11], v[10:11], v[26:27]
	v_add_f64 v[12:13], v[12:13], v[28:29]
.LBB182_105:
	s_or_b64 exec, exec, s[58:59]
.LBB182_106:
	s_or_b64 exec, exec, s[18:19]
	v_mov_b32_e32 v26, 0x4000
	v_cmp_eq_u32_e64 s[14:15], 7, v21
	s_xor_b64 s[18:19], s[12:13], -1
	v_lshl_add_u32 v25, v25, 4, v26
	s_and_b64 s[60:61], s[14:15], s[18:19]
	s_and_saveexec_b64 s[12:13], s[60:61]
; %bb.107:
	v_xor_b32_e32 v27, 0x80000000, v11
	v_xor_b32_e32 v29, 0x80000000, v13
	v_mov_b32_e32 v26, v10
	v_mov_b32_e32 v28, v12
	ds_write_b128 v25, v[26:29]
; %bb.108:
	s_or_b64 exec, exec, s[12:13]
	v_cmp_ne_u32_e64 s[12:13], 7, v21
	s_and_b64 s[62:63], s[12:13], s[18:19]
	s_waitcnt lgkmcnt(0)
	s_barrier
	s_and_saveexec_b64 s[12:13], s[62:63]
	s_cbranch_execz .LBB182_110
; %bb.109:
	v_lshlrev_b32_e32 v30, 4, v21
	ds_read_b128 v[26:29], v25
	ds_read_b128 v[30:33], v30 offset:12032
	s_waitcnt lgkmcnt(0)
	v_mul_f64 v[34:35], v[28:29], v[32:33]
	v_mul_f64 v[32:33], v[26:27], v[32:33]
	v_fma_f64 v[26:27], v[26:27], v[30:31], -v[34:35]
	v_fma_f64 v[28:29], v[28:29], v[30:31], v[32:33]
	v_add_f64 v[10:11], v[10:11], -v[26:27]
	v_add_f64 v[12:13], v[12:13], -v[28:29]
.LBB182_110:
	s_or_b64 exec, exec, s[12:13]
	v_cmp_eq_u32_e64 s[12:13], 6, v21
	s_and_b64 s[64:65], s[12:13], s[18:19]
	s_barrier
	s_and_saveexec_b64 s[12:13], s[64:65]
; %bb.111:
	v_xor_b32_e32 v27, 0x80000000, v11
	v_xor_b32_e32 v29, 0x80000000, v13
	v_mov_b32_e32 v26, v10
	v_mov_b32_e32 v28, v12
	ds_write_b128 v25, v[26:29]
; %bb.112:
	s_or_b64 exec, exec, s[12:13]
	v_cmp_gt_u32_e64 s[12:13], 6, v21
	s_and_b64 s[66:67], s[12:13], s[18:19]
	s_waitcnt lgkmcnt(0)
	s_barrier
	s_and_saveexec_b64 s[12:13], s[66:67]
	s_cbranch_execz .LBB182_114
; %bb.113:
	v_lshlrev_b32_e32 v30, 4, v21
	ds_read_b128 v[26:29], v25
	ds_read_b128 v[30:33], v30 offset:11520
	s_waitcnt lgkmcnt(0)
	v_mul_f64 v[34:35], v[28:29], v[32:33]
	v_mul_f64 v[32:33], v[26:27], v[32:33]
	v_fma_f64 v[26:27], v[26:27], v[30:31], -v[34:35]
	v_fma_f64 v[28:29], v[28:29], v[30:31], v[32:33]
	v_add_f64 v[10:11], v[10:11], -v[26:27]
	v_add_f64 v[12:13], v[12:13], -v[28:29]
.LBB182_114:
	s_or_b64 exec, exec, s[12:13]
	v_cmp_eq_u32_e64 s[12:13], 5, v21
	s_and_b64 s[68:69], s[12:13], s[18:19]
	s_barrier
	s_and_saveexec_b64 s[12:13], s[68:69]
; %bb.115:
	v_xor_b32_e32 v27, 0x80000000, v11
	v_xor_b32_e32 v29, 0x80000000, v13
	v_mov_b32_e32 v26, v10
	v_mov_b32_e32 v28, v12
	ds_write_b128 v25, v[26:29]
; %bb.116:
	s_or_b64 exec, exec, s[12:13]
	v_cmp_gt_u32_e64 s[12:13], 5, v21
	;; [unrolled: 31-line block ×5, first 2 shown]
	s_and_b64 s[82:83], s[12:13], s[18:19]
	s_waitcnt lgkmcnt(0)
	s_barrier
	s_and_saveexec_b64 s[12:13], s[82:83]
	s_cbranch_execz .LBB182_130
; %bb.129:
	v_lshlrev_b32_e32 v30, 4, v21
	ds_read_b128 v[26:29], v25
	ds_read_b128 v[30:33], v30 offset:9472
	s_waitcnt lgkmcnt(0)
	v_mul_f64 v[34:35], v[28:29], v[32:33]
	v_mul_f64 v[32:33], v[26:27], v[32:33]
	v_fma_f64 v[26:27], v[26:27], v[30:31], -v[34:35]
	v_fma_f64 v[28:29], v[28:29], v[30:31], v[32:33]
	v_add_f64 v[10:11], v[10:11], -v[26:27]
	v_add_f64 v[12:13], v[12:13], -v[28:29]
.LBB182_130:
	s_or_b64 exec, exec, s[12:13]
	v_cmp_eq_u32_e64 s[12:13], 1, v21
	s_and_b64 s[84:85], s[12:13], s[18:19]
	s_barrier
	s_and_saveexec_b64 s[12:13], s[84:85]
; %bb.131:
	v_xor_b32_e32 v27, 0x80000000, v11
	v_xor_b32_e32 v29, 0x80000000, v13
	v_mov_b32_e32 v26, v10
	v_mov_b32_e32 v28, v12
	ds_write_b128 v25, v[26:29]
; %bb.132:
	s_or_b64 exec, exec, s[12:13]
	v_cmp_eq_u32_e64 s[12:13], 0, v21
	s_and_b64 s[58:59], s[12:13], s[18:19]
	s_waitcnt lgkmcnt(0)
	s_barrier
	s_and_saveexec_b64 s[12:13], s[58:59]
	s_cbranch_execz .LBB182_134
; %bb.133:
	v_mov_b32_e32 v30, 0
	ds_read_b128 v[26:29], v25
	ds_read_b128 v[30:33], v30 offset:8960
	s_waitcnt lgkmcnt(0)
	v_mul_f64 v[34:35], v[28:29], v[32:33]
	v_mul_f64 v[32:33], v[26:27], v[32:33]
	v_fma_f64 v[26:27], v[26:27], v[30:31], -v[34:35]
	v_fma_f64 v[28:29], v[28:29], v[30:31], v[32:33]
	v_add_f64 v[10:11], v[10:11], -v[26:27]
	v_add_f64 v[12:13], v[12:13], -v[28:29]
.LBB182_134:
	s_or_b64 exec, exec, s[12:13]
	s_barrier
	s_and_saveexec_b64 s[12:13], s[58:59]
; %bb.135:
	v_xor_b32_e32 v27, 0x80000000, v11
	v_xor_b32_e32 v29, 0x80000000, v13
	v_mov_b32_e32 v26, v10
	v_mov_b32_e32 v28, v12
	ds_write_b128 v25, v[26:29]
; %bb.136:
	s_or_b64 exec, exec, s[12:13]
	s_waitcnt lgkmcnt(0)
	s_barrier
	s_barrier
	s_and_saveexec_b64 s[12:13], s[8:9]
; %bb.137:
	v_lshlrev_b32_e32 v26, 4, v21
	v_lshl_or_b32 v26, v24, 9, v26
	ds_write_b128 v26, v[10:13] offset:12544
; %bb.138:
	s_or_b64 exec, exec, s[12:13]
	v_cmp_gt_u32_e64 s[12:13], 8, v0
	s_and_b64 s[86:87], s[10:11], s[12:13]
	s_waitcnt lgkmcnt(0)
	s_barrier
	s_barrier
	s_and_saveexec_b64 s[12:13], s[86:87]
	s_cbranch_execz .LBB182_140
; %bb.139:
	v_lshlrev_b32_e32 v26, 9, v0
	ds_read_b128 v[10:13], v26 offset:12544
	s_movk_i32 s14, 0xfe10
	v_mad_i32_i24 v27, v0, s14, v26
	s_waitcnt lgkmcnt(0)
	ds_write_b128 v27, v[10:13] offset:8576
	ds_read_b128 v[10:13], v26 offset:12560
	s_waitcnt lgkmcnt(0)
	ds_write_b128 v27, v[10:13] offset:9088
	ds_read_b128 v[10:13], v26 offset:12576
	;; [unrolled: 3-line block ×7, first 2 shown]
	s_waitcnt lgkmcnt(0)
	ds_write_b128 v27, v[10:13] offset:12160
.LBB182_140:
	s_or_b64 exec, exec, s[12:13]
	s_waitcnt lgkmcnt(0)
	s_barrier
	s_and_saveexec_b64 s[12:13], vcc
	s_cbranch_execz .LBB182_142
; %bb.141:
	v_mov_b32_e32 v30, 0
	s_mov_b32 s88, 0
	ds_read_b128 v[10:13], v30 offset:12128
	s_mov_b32 s89, 0x3ff00000
	s_mov_b32 s90, s88
	;; [unrolled: 1-line block ×3, first 2 shown]
	v_mov_b32_e32 v26, s88
	v_mov_b32_e32 v27, s89
	;; [unrolled: 1-line block ×4, first 2 shown]
	ds_write_b128 v30, v[26:29] offset:11616
	ds_write_b128 v30, v[26:29] offset:12144
	s_waitcnt lgkmcnt(2)
	ds_write_b128 v30, v[10:13] offset:11632
.LBB182_142:
	s_or_b64 exec, exec, s[12:13]
	v_mov_b32_e32 v10, 0
	v_mov_b32_e32 v12, 0
	v_mov_b32_e32 v11, 0
	v_mov_b32_e32 v13, 0
	s_waitcnt lgkmcnt(0)
	s_barrier
	buffer_wbinvl1_vol
	s_and_saveexec_b64 s[14:15], s[2:3]
	s_cbranch_execz .LBB182_146
; %bb.143:
	v_lshlrev_b32_e32 v26, 4, v14
	v_lshlrev_b32_e32 v10, 9, v15
	ds_read_b128 v[10:13], v10 offset:11616
	ds_read_b128 v[26:29], v26 offset:11584
	v_cmp_gt_u32_e64 s[12:13], 2, v17
	s_waitcnt lgkmcnt(0)
	v_mul_f64 v[30:31], v[12:13], v[28:29]
	v_mul_f64 v[28:29], v[10:11], v[28:29]
	v_fma_f64 v[10:11], v[10:11], v[26:27], -v[30:31]
	v_fma_f64 v[12:13], v[12:13], v[26:27], v[28:29]
	v_add_f64 v[10:11], v[10:11], 0
	v_add_f64 v[12:13], v[12:13], 0
	s_and_saveexec_b64 s[18:19], s[12:13]
	s_cbranch_execz .LBB182_145
; %bb.144:
	v_lshlrev_b32_e32 v30, 4, v0
	v_mov_b32_e32 v26, 0
	ds_read_b128 v[26:29], v26 offset:12144
	ds_read_b128 v[30:33], v30 offset:12096
	s_waitcnt lgkmcnt(0)
	v_mul_f64 v[34:35], v[28:29], v[32:33]
	v_mul_f64 v[32:33], v[26:27], v[32:33]
	v_fma_f64 v[26:27], v[26:27], v[30:31], -v[34:35]
	v_fma_f64 v[28:29], v[28:29], v[30:31], v[32:33]
	v_add_f64 v[10:11], v[10:11], v[26:27]
	v_add_f64 v[12:13], v[12:13], v[28:29]
.LBB182_145:
	s_or_b64 exec, exec, s[18:19]
.LBB182_146:
	s_or_b64 exec, exec, s[14:15]
	s_and_saveexec_b64 s[12:13], s[40:41]
; %bb.147:
	v_xor_b32_e32 v27, 0x80000000, v11
	v_xor_b32_e32 v29, 0x80000000, v13
	v_mov_b32_e32 v26, v10
	v_mov_b32_e32 v28, v12
	ds_write_b128 v16, v[26:29]
; %bb.148:
	s_or_b64 exec, exec, s[12:13]
	s_waitcnt lgkmcnt(0)
	s_barrier
	s_and_saveexec_b64 s[12:13], s[38:39]
	s_cbranch_execz .LBB182_150
; %bb.149:
	v_mov_b32_e32 v30, 0
	ds_read_b128 v[26:29], v16
	ds_read_b128 v[30:33], v30 offset:11072
	s_waitcnt lgkmcnt(0)
	v_mul_f64 v[34:35], v[26:27], v[30:31]
	v_mul_f64 v[26:27], v[26:27], v[32:33]
	v_fma_f64 v[32:33], v[28:29], v[32:33], -v[34:35]
	v_fma_f64 v[26:27], v[28:29], v[30:31], v[26:27]
	v_add_f64 v[10:11], v[10:11], v[32:33]
	v_add_f64 v[12:13], v[12:13], -v[26:27]
.LBB182_150:
	s_or_b64 exec, exec, s[12:13]
	s_barrier
	s_and_saveexec_b64 s[12:13], s[38:39]
; %bb.151:
	v_xor_b32_e32 v27, 0x80000000, v11
	v_xor_b32_e32 v29, 0x80000000, v13
	v_mov_b32_e32 v26, v10
	v_mov_b32_e32 v28, v12
	ds_write_b128 v16, v[26:29]
; %bb.152:
	s_or_b64 exec, exec, s[12:13]
	s_waitcnt lgkmcnt(0)
	s_barrier
	s_barrier
	s_and_saveexec_b64 s[12:13], s[2:3]
; %bb.153:
	v_lshlrev_b32_e32 v26, 4, v14
	v_lshl_or_b32 v26, v15, 9, v26
	ds_write_b128 v26, v[10:13] offset:11584
; %bb.154:
	s_or_b64 exec, exec, s[12:13]
	s_waitcnt lgkmcnt(0)
	s_barrier
	s_barrier
	s_and_saveexec_b64 s[12:13], s[42:43]
	s_cbranch_execz .LBB182_156
; %bb.155:
	v_lshlrev_b32_e32 v26, 9, v0
	ds_read_b128 v[10:13], v26 offset:11584
	s_movk_i32 s14, 0xfe10
	v_mad_i32_i24 v27, v0, s14, v26
	s_waitcnt lgkmcnt(0)
	ds_write_b128 v27, v[10:13] offset:10592
	ds_read_b128 v[10:13], v26 offset:11600
	s_waitcnt lgkmcnt(0)
	ds_write_b128 v27, v[10:13] offset:11104
.LBB182_156:
	s_or_b64 exec, exec, s[12:13]
	s_waitcnt lgkmcnt(0)
	s_barrier
	s_and_saveexec_b64 s[12:13], vcc
	s_cbranch_execz .LBB182_158
; %bb.157:
	v_mov_b32_e32 v30, 0
	s_mov_b32 s88, 0
	ds_read_b128 v[10:13], v30 offset:11072
	s_mov_b32 s89, 0x3ff00000
	s_mov_b32 s90, s88
	;; [unrolled: 1-line block ×3, first 2 shown]
	v_mov_b32_e32 v26, s88
	v_mov_b32_e32 v27, s89
	v_mov_b32_e32 v28, s90
	v_mov_b32_e32 v29, s91
	ds_write_b128 v30, v[26:29] offset:10560
	ds_write_b128 v30, v[26:29] offset:11088
	s_waitcnt lgkmcnt(2)
	ds_write_b128 v30, v[10:13] offset:10576
.LBB182_158:
	s_or_b64 exec, exec, s[12:13]
	v_mov_b32_e32 v12, 0
	v_mov_b32_e32 v10, 0
	;; [unrolled: 1-line block ×4, first 2 shown]
	s_waitcnt lgkmcnt(0)
	s_barrier
	buffer_wbinvl1_vol
	s_and_saveexec_b64 s[14:15], s[16:17]
	s_cbranch_execz .LBB182_164
; %bb.159:
	v_lshlrev_b32_e32 v27, 9, v19
	v_lshlrev_b32_e32 v26, 4, v18
	ds_read_b128 v[10:13], v27 offset:10560
	ds_read_b128 v[28:31], v26 offset:10496
	v_cmp_gt_u32_e64 s[12:13], 12, v17
	s_waitcnt lgkmcnt(0)
	v_mul_f64 v[32:33], v[12:13], v[30:31]
	v_mul_f64 v[30:31], v[10:11], v[30:31]
	v_fma_f64 v[10:11], v[10:11], v[28:29], -v[32:33]
	v_fma_f64 v[12:13], v[12:13], v[28:29], v[30:31]
	v_add_f64 v[10:11], v[10:11], 0
	v_add_f64 v[12:13], v[12:13], 0
	s_and_saveexec_b64 s[18:19], s[12:13]
	s_cbranch_execnz .LBB182_527
; %bb.160:
	s_or_b64 exec, exec, s[18:19]
	v_cmp_gt_u32_e64 s[12:13], 8, v17
	s_and_saveexec_b64 s[18:19], s[12:13]
	s_cbranch_execnz .LBB182_528
.LBB182_161:
	s_or_b64 exec, exec, s[18:19]
	v_cmp_gt_u32_e64 s[12:13], 4, v17
	s_and_saveexec_b64 s[18:19], s[12:13]
	s_cbranch_execz .LBB182_163
.LBB182_162:
	v_lshlrev_b32_e32 v30, 4, v0
	v_mov_b32_e32 v26, 0
	ds_read_b128 v[26:29], v26 offset:12144
	ds_read_b128 v[30:33], v30 offset:12032
	s_waitcnt lgkmcnt(0)
	v_mul_f64 v[34:35], v[28:29], v[32:33]
	v_mul_f64 v[32:33], v[26:27], v[32:33]
	v_fma_f64 v[26:27], v[26:27], v[30:31], -v[34:35]
	v_fma_f64 v[28:29], v[28:29], v[30:31], v[32:33]
	v_add_f64 v[10:11], v[10:11], v[26:27]
	v_add_f64 v[12:13], v[12:13], v[28:29]
.LBB182_163:
	s_or_b64 exec, exec, s[18:19]
.LBB182_164:
	s_or_b64 exec, exec, s[14:15]
	s_and_saveexec_b64 s[12:13], s[46:47]
; %bb.165:
	v_xor_b32_e32 v29, 0x80000000, v13
	v_xor_b32_e32 v27, 0x80000000, v11
	v_mov_b32_e32 v26, v10
	v_mov_b32_e32 v28, v12
	ds_write_b128 v20, v[26:29]
; %bb.166:
	s_or_b64 exec, exec, s[12:13]
	s_waitcnt lgkmcnt(0)
	s_barrier
	s_and_saveexec_b64 s[12:13], s[48:49]
	s_cbranch_execz .LBB182_168
; %bb.167:
	v_lshlrev_b32_e32 v30, 4, v18
	ds_read_b128 v[26:29], v20
	ds_read_b128 v[30:33], v30 offset:9984
	s_waitcnt lgkmcnt(0)
	v_mul_f64 v[34:35], v[28:29], v[32:33]
	v_mul_f64 v[32:33], v[26:27], v[32:33]
	v_fma_f64 v[26:27], v[26:27], v[30:31], -v[34:35]
	v_fma_f64 v[28:29], v[28:29], v[30:31], v[32:33]
	v_add_f64 v[10:11], v[10:11], -v[26:27]
	v_add_f64 v[12:13], v[12:13], -v[28:29]
.LBB182_168:
	s_or_b64 exec, exec, s[12:13]
	s_barrier
	s_and_saveexec_b64 s[12:13], s[50:51]
; %bb.169:
	v_xor_b32_e32 v29, 0x80000000, v13
	v_xor_b32_e32 v27, 0x80000000, v11
	v_mov_b32_e32 v26, v10
	v_mov_b32_e32 v28, v12
	ds_write_b128 v20, v[26:29]
; %bb.170:
	s_or_b64 exec, exec, s[12:13]
	s_waitcnt lgkmcnt(0)
	s_barrier
	s_and_saveexec_b64 s[12:13], s[52:53]
	s_cbranch_execz .LBB182_172
; %bb.171:
	v_lshlrev_b32_e32 v30, 4, v18
	ds_read_b128 v[26:29], v20
	ds_read_b128 v[30:33], v30 offset:9472
	s_waitcnt lgkmcnt(0)
	v_mul_f64 v[34:35], v[28:29], v[32:33]
	v_mul_f64 v[32:33], v[26:27], v[32:33]
	v_fma_f64 v[26:27], v[26:27], v[30:31], -v[34:35]
	v_fma_f64 v[28:29], v[28:29], v[30:31], v[32:33]
	v_add_f64 v[10:11], v[10:11], -v[26:27]
	v_add_f64 v[12:13], v[12:13], -v[28:29]
.LBB182_172:
	s_or_b64 exec, exec, s[12:13]
	s_barrier
	s_and_saveexec_b64 s[12:13], s[54:55]
; %bb.173:
	v_xor_b32_e32 v29, 0x80000000, v13
	v_xor_b32_e32 v27, 0x80000000, v11
	v_mov_b32_e32 v26, v10
	v_mov_b32_e32 v28, v12
	ds_write_b128 v20, v[26:29]
; %bb.174:
	s_or_b64 exec, exec, s[12:13]
	s_waitcnt lgkmcnt(0)
	s_barrier
	s_and_saveexec_b64 s[12:13], s[44:45]
	s_cbranch_execz .LBB182_176
; %bb.175:
	v_mov_b32_e32 v30, 0
	ds_read_b128 v[26:29], v20
	ds_read_b128 v[30:33], v30 offset:8960
	s_waitcnt lgkmcnt(0)
	v_mul_f64 v[34:35], v[28:29], v[32:33]
	v_mul_f64 v[32:33], v[26:27], v[32:33]
	v_fma_f64 v[26:27], v[26:27], v[30:31], -v[34:35]
	v_fma_f64 v[28:29], v[28:29], v[30:31], v[32:33]
	v_add_f64 v[10:11], v[10:11], -v[26:27]
	v_add_f64 v[12:13], v[12:13], -v[28:29]
.LBB182_176:
	s_or_b64 exec, exec, s[12:13]
	s_barrier
	s_and_saveexec_b64 s[12:13], s[44:45]
; %bb.177:
	v_xor_b32_e32 v29, 0x80000000, v13
	v_xor_b32_e32 v27, 0x80000000, v11
	v_mov_b32_e32 v26, v10
	v_mov_b32_e32 v28, v12
	ds_write_b128 v20, v[26:29]
; %bb.178:
	s_or_b64 exec, exec, s[12:13]
	s_waitcnt lgkmcnt(0)
	s_barrier
	s_barrier
	s_and_saveexec_b64 s[12:13], s[16:17]
; %bb.179:
	v_lshlrev_b32_e32 v26, 4, v18
	v_lshl_or_b32 v26, v19, 9, v26
	ds_write_b128 v26, v[10:13] offset:10496
; %bb.180:
	s_or_b64 exec, exec, s[12:13]
	s_waitcnt lgkmcnt(0)
	s_barrier
	s_barrier
	s_and_saveexec_b64 s[12:13], s[56:57]
	s_cbranch_execz .LBB182_182
; %bb.181:
	v_lshlrev_b32_e32 v26, 4, v0
	s_movk_i32 s14, 0x1f0
	v_mad_u32_u24 v27, v0, s14, v26
	ds_read_b128 v[10:13], v27 offset:10496
	s_waitcnt lgkmcnt(0)
	ds_write_b128 v26, v[10:13] offset:8512
	ds_read_b128 v[10:13], v27 offset:10512
	s_waitcnt lgkmcnt(0)
	ds_write_b128 v26, v[10:13] offset:9024
	;; [unrolled: 3-line block ×4, first 2 shown]
.LBB182_182:
	s_or_b64 exec, exec, s[12:13]
	s_waitcnt lgkmcnt(0)
	s_barrier
	s_and_saveexec_b64 s[12:13], vcc
	s_cbranch_execz .LBB182_184
; %bb.183:
	v_mov_b32_e32 v30, 0
	s_mov_b32 s88, 0
	ds_read_b128 v[10:13], v30 offset:10016
	s_mov_b32 s89, 0x3ff00000
	s_mov_b32 s90, s88
	;; [unrolled: 1-line block ×3, first 2 shown]
	v_mov_b32_e32 v26, s88
	v_mov_b32_e32 v27, s89
	;; [unrolled: 1-line block ×4, first 2 shown]
	ds_write_b128 v30, v[26:29] offset:9504
	ds_write_b128 v30, v[26:29] offset:10032
	s_waitcnt lgkmcnt(2)
	ds_write_b128 v30, v[10:13] offset:9520
.LBB182_184:
	s_or_b64 exec, exec, s[12:13]
	v_mov_b32_e32 v10, 0
	v_mov_b32_e32 v12, 0
	;; [unrolled: 1-line block ×4, first 2 shown]
	s_waitcnt lgkmcnt(0)
	s_barrier
	buffer_wbinvl1_vol
	s_and_saveexec_b64 s[14:15], s[2:3]
	s_cbranch_execz .LBB182_188
; %bb.185:
	v_lshlrev_b32_e32 v26, 4, v14
	v_lshlrev_b32_e32 v10, 9, v15
	ds_read_b128 v[10:13], v10 offset:9504
	ds_read_b128 v[26:29], v26 offset:9472
	v_cmp_gt_u32_e64 s[12:13], 2, v17
	s_waitcnt lgkmcnt(0)
	v_mul_f64 v[30:31], v[12:13], v[28:29]
	v_mul_f64 v[28:29], v[10:11], v[28:29]
	v_fma_f64 v[10:11], v[10:11], v[26:27], -v[30:31]
	v_fma_f64 v[12:13], v[12:13], v[26:27], v[28:29]
	v_add_f64 v[10:11], v[10:11], 0
	v_add_f64 v[12:13], v[12:13], 0
	s_and_saveexec_b64 s[18:19], s[12:13]
	s_cbranch_execz .LBB182_187
; %bb.186:
	v_lshlrev_b32_e32 v30, 4, v0
	v_mov_b32_e32 v26, 0
	ds_read_b128 v[26:29], v26 offset:10032
	ds_read_b128 v[30:33], v30 offset:9984
	s_waitcnt lgkmcnt(0)
	v_mul_f64 v[34:35], v[28:29], v[32:33]
	v_mul_f64 v[32:33], v[26:27], v[32:33]
	v_fma_f64 v[26:27], v[26:27], v[30:31], -v[34:35]
	v_fma_f64 v[28:29], v[28:29], v[30:31], v[32:33]
	v_add_f64 v[10:11], v[10:11], v[26:27]
	v_add_f64 v[12:13], v[12:13], v[28:29]
.LBB182_187:
	s_or_b64 exec, exec, s[18:19]
.LBB182_188:
	s_or_b64 exec, exec, s[14:15]
	s_and_saveexec_b64 s[12:13], s[40:41]
; %bb.189:
	v_xor_b32_e32 v27, 0x80000000, v11
	v_xor_b32_e32 v29, 0x80000000, v13
	v_mov_b32_e32 v26, v10
	v_mov_b32_e32 v28, v12
	ds_write_b128 v16, v[26:29]
; %bb.190:
	s_or_b64 exec, exec, s[12:13]
	s_waitcnt lgkmcnt(0)
	s_barrier
	s_and_saveexec_b64 s[12:13], s[38:39]
	s_cbranch_execz .LBB182_192
; %bb.191:
	v_mov_b32_e32 v30, 0
	ds_read_b128 v[26:29], v16
	ds_read_b128 v[30:33], v30 offset:8960
	s_waitcnt lgkmcnt(0)
	v_mul_f64 v[34:35], v[26:27], v[30:31]
	v_mul_f64 v[26:27], v[26:27], v[32:33]
	v_fma_f64 v[32:33], v[28:29], v[32:33], -v[34:35]
	v_fma_f64 v[26:27], v[28:29], v[30:31], v[26:27]
	v_add_f64 v[10:11], v[10:11], v[32:33]
	v_add_f64 v[12:13], v[12:13], -v[26:27]
.LBB182_192:
	s_or_b64 exec, exec, s[12:13]
	s_barrier
	s_and_saveexec_b64 s[12:13], s[38:39]
; %bb.193:
	v_xor_b32_e32 v27, 0x80000000, v11
	v_xor_b32_e32 v29, 0x80000000, v13
	v_mov_b32_e32 v26, v10
	v_mov_b32_e32 v28, v12
	ds_write_b128 v16, v[26:29]
; %bb.194:
	s_or_b64 exec, exec, s[12:13]
	s_waitcnt lgkmcnt(0)
	s_barrier
	s_barrier
	s_and_saveexec_b64 s[12:13], s[2:3]
; %bb.195:
	v_lshlrev_b32_e32 v26, 4, v14
	v_lshl_or_b32 v26, v15, 9, v26
	ds_write_b128 v26, v[10:13] offset:9472
; %bb.196:
	s_or_b64 exec, exec, s[12:13]
	s_waitcnt lgkmcnt(0)
	s_barrier
	s_barrier
	s_and_saveexec_b64 s[12:13], s[42:43]
	s_cbranch_execz .LBB182_198
; %bb.197:
	v_lshlrev_b32_e32 v26, 9, v0
	ds_read_b128 v[10:13], v26 offset:9472
	s_movk_i32 s14, 0xfe10
	v_mad_i32_i24 v27, v0, s14, v26
	s_waitcnt lgkmcnt(0)
	ds_write_b128 v27, v[10:13] offset:8480
	ds_read_b128 v[10:13], v26 offset:9488
	s_waitcnt lgkmcnt(0)
	ds_write_b128 v27, v[10:13] offset:8992
.LBB182_198:
	s_or_b64 exec, exec, s[12:13]
	s_waitcnt lgkmcnt(0)
	s_barrier
	s_and_saveexec_b64 s[12:13], vcc
	s_cbranch_execz .LBB182_200
; %bb.199:
	v_mov_b32_e32 v30, 0
	s_mov_b32 s88, 0
	ds_read_b128 v[10:13], v30 offset:8960
	s_mov_b32 s89, 0x3ff00000
	s_mov_b32 s90, s88
	s_mov_b32 s91, s88
	v_mov_b32_e32 v26, s88
	v_mov_b32_e32 v27, s89
	;; [unrolled: 1-line block ×4, first 2 shown]
	ds_write_b128 v30, v[26:29] offset:8448
	ds_write_b128 v30, v[26:29] offset:8976
	s_waitcnt lgkmcnt(2)
	ds_write_b128 v30, v[10:13] offset:8464
.LBB182_200:
	s_or_b64 exec, exec, s[12:13]
	s_movk_i32 s12, 0xff
	v_lshrrev_b32_e32 v28, 4, v17
	v_cmp_lt_u32_e64 s[14:15], s12, v17
	s_movk_i32 s12, 0x100
	v_mov_b32_e32 v12, 0
	v_mov_b32_e32 v10, 0
	v_and_b32_e32 v26, 15, v0
	v_sub_u32_e32 v27, 15, v28
	v_mov_b32_e32 v13, 0
	v_mov_b32_e32 v11, 0
	v_cmp_gt_u32_e64 s[12:13], s12, v17
	s_waitcnt lgkmcnt(0)
	s_barrier
	buffer_wbinvl1_vol
	s_and_saveexec_b64 s[88:89], s[12:13]
	s_cbranch_execz .LBB182_228
; %bb.201:
	v_lshlrev_b32_e32 v30, 9, v27
	v_lshlrev_b32_e32 v29, 4, v26
	ds_read_b128 v[10:13], v30 offset:8448
	ds_read_b128 v[31:34], v29 offset:8192
	s_movk_i32 s18, 0xf0
	v_cmp_gt_u32_e64 s[18:19], s18, v17
	s_waitcnt lgkmcnt(0)
	v_mul_f64 v[35:36], v[12:13], v[33:34]
	v_mul_f64 v[33:34], v[10:11], v[33:34]
	v_fma_f64 v[10:11], v[10:11], v[31:32], -v[35:36]
	v_fma_f64 v[12:13], v[12:13], v[31:32], v[33:34]
	v_add_f64 v[10:11], v[10:11], 0
	v_add_f64 v[12:13], v[12:13], 0
	s_and_saveexec_b64 s[90:91], s[18:19]
	s_cbranch_execz .LBB182_203
; %bb.202:
	ds_read_b128 v[31:34], v30 offset:8464
	ds_read_b128 v[35:38], v29 offset:8704
	s_waitcnt lgkmcnt(0)
	v_mul_f64 v[39:40], v[33:34], v[37:38]
	v_mul_f64 v[37:38], v[31:32], v[37:38]
	v_fma_f64 v[31:32], v[31:32], v[35:36], -v[39:40]
	v_fma_f64 v[33:34], v[33:34], v[35:36], v[37:38]
	v_add_f64 v[10:11], v[10:11], v[31:32]
	v_add_f64 v[12:13], v[12:13], v[33:34]
.LBB182_203:
	s_or_b64 exec, exec, s[90:91]
	s_movk_i32 s18, 0xe0
	v_cmp_gt_u32_e64 s[18:19], s18, v17
	s_and_saveexec_b64 s[90:91], s[18:19]
	s_cbranch_execz .LBB182_205
; %bb.204:
	ds_read_b128 v[31:34], v30 offset:8480
	ds_read_b128 v[35:38], v29 offset:9216
	s_waitcnt lgkmcnt(0)
	v_mul_f64 v[39:40], v[33:34], v[37:38]
	v_mul_f64 v[37:38], v[31:32], v[37:38]
	v_fma_f64 v[31:32], v[31:32], v[35:36], -v[39:40]
	v_fma_f64 v[33:34], v[33:34], v[35:36], v[37:38]
	v_add_f64 v[10:11], v[10:11], v[31:32]
	v_add_f64 v[12:13], v[12:13], v[33:34]
.LBB182_205:
	s_or_b64 exec, exec, s[90:91]
	s_movk_i32 s18, 0xd0
	v_cmp_gt_u32_e64 s[18:19], s18, v17
	;; [unrolled: 16-line block ×10, first 2 shown]
	s_and_saveexec_b64 s[90:91], s[18:19]
	s_cbranch_execnz .LBB182_529
; %bb.222:
	s_or_b64 exec, exec, s[90:91]
	s_and_saveexec_b64 s[18:19], s[8:9]
	s_cbranch_execnz .LBB182_530
.LBB182_223:
	s_or_b64 exec, exec, s[18:19]
	v_cmp_gt_u32_e64 s[18:19], 48, v17
	s_and_saveexec_b64 s[90:91], s[18:19]
	s_cbranch_execnz .LBB182_531
.LBB182_224:
	s_or_b64 exec, exec, s[90:91]
	v_cmp_gt_u32_e64 s[18:19], 32, v17
	s_and_saveexec_b64 s[90:91], s[18:19]
	s_cbranch_execnz .LBB182_532
.LBB182_225:
	s_or_b64 exec, exec, s[90:91]
	v_cmp_gt_u32_e64 s[18:19], 16, v17
	s_and_saveexec_b64 s[90:91], s[18:19]
	s_cbranch_execz .LBB182_227
.LBB182_226:
	v_lshlrev_b32_e32 v33, 4, v0
	v_mov_b32_e32 v29, 0
	ds_read_b128 v[29:32], v29 offset:16368
	ds_read_b128 v[33:36], v33 offset:15872
	s_waitcnt lgkmcnt(0)
	v_mul_f64 v[37:38], v[31:32], v[35:36]
	v_mul_f64 v[35:36], v[29:30], v[35:36]
	v_fma_f64 v[29:30], v[29:30], v[33:34], -v[37:38]
	v_fma_f64 v[31:32], v[31:32], v[33:34], v[35:36]
	v_add_f64 v[10:11], v[10:11], v[29:30]
	v_add_f64 v[12:13], v[12:13], v[31:32]
.LBB182_227:
	s_or_b64 exec, exec, s[90:91]
.LBB182_228:
	s_or_b64 exec, exec, s[88:89]
	v_mov_b32_e32 v29, 0x4000
	v_cmp_eq_u32_e64 s[18:19], 15, v26
	s_xor_b64 s[88:89], s[14:15], -1
	v_lshl_add_u32 v28, v28, 4, v29
	s_and_b64 s[18:19], s[18:19], s[88:89]
	s_and_saveexec_b64 s[14:15], s[18:19]
; %bb.229:
	v_xor_b32_e32 v32, 0x80000000, v13
	v_xor_b32_e32 v30, 0x80000000, v11
	v_mov_b32_e32 v29, v10
	v_mov_b32_e32 v31, v12
	ds_write_b128 v28, v[29:32]
; %bb.230:
	s_or_b64 exec, exec, s[14:15]
	v_cmp_ne_u32_e64 s[14:15], 15, v26
	s_and_b64 s[18:19], s[14:15], s[88:89]
	s_waitcnt lgkmcnt(0)
	s_barrier
	s_and_saveexec_b64 s[14:15], s[18:19]
	s_cbranch_execz .LBB182_232
; %bb.231:
	v_lshlrev_b32_e32 v33, 4, v26
	ds_read_b128 v[29:32], v28
	ds_read_b128 v[33:36], v33 offset:7680
	s_waitcnt lgkmcnt(0)
	v_mul_f64 v[37:38], v[31:32], v[35:36]
	v_mul_f64 v[35:36], v[29:30], v[35:36]
	v_fma_f64 v[29:30], v[29:30], v[33:34], -v[37:38]
	v_fma_f64 v[31:32], v[31:32], v[33:34], v[35:36]
	v_add_f64 v[10:11], v[10:11], -v[29:30]
	v_add_f64 v[12:13], v[12:13], -v[31:32]
.LBB182_232:
	s_or_b64 exec, exec, s[14:15]
	v_cmp_eq_u32_e64 s[14:15], 14, v26
	s_and_b64 s[18:19], s[14:15], s[88:89]
	s_barrier
	s_and_saveexec_b64 s[14:15], s[18:19]
; %bb.233:
	v_xor_b32_e32 v32, 0x80000000, v13
	v_xor_b32_e32 v30, 0x80000000, v11
	v_mov_b32_e32 v29, v10
	v_mov_b32_e32 v31, v12
	ds_write_b128 v28, v[29:32]
; %bb.234:
	s_or_b64 exec, exec, s[14:15]
	v_cmp_gt_u32_e64 s[14:15], 14, v26
	s_and_b64 s[18:19], s[14:15], s[88:89]
	s_waitcnt lgkmcnt(0)
	s_barrier
	s_and_saveexec_b64 s[14:15], s[18:19]
	s_cbranch_execz .LBB182_236
; %bb.235:
	v_lshlrev_b32_e32 v33, 4, v26
	ds_read_b128 v[29:32], v28
	ds_read_b128 v[33:36], v33 offset:7168
	s_waitcnt lgkmcnt(0)
	v_mul_f64 v[37:38], v[31:32], v[35:36]
	v_mul_f64 v[35:36], v[29:30], v[35:36]
	v_fma_f64 v[29:30], v[29:30], v[33:34], -v[37:38]
	v_fma_f64 v[31:32], v[31:32], v[33:34], v[35:36]
	v_add_f64 v[10:11], v[10:11], -v[29:30]
	v_add_f64 v[12:13], v[12:13], -v[31:32]
.LBB182_236:
	s_or_b64 exec, exec, s[14:15]
	v_cmp_eq_u32_e64 s[14:15], 13, v26
	s_and_b64 s[18:19], s[14:15], s[88:89]
	s_barrier
	s_and_saveexec_b64 s[14:15], s[18:19]
; %bb.237:
	v_xor_b32_e32 v32, 0x80000000, v13
	v_xor_b32_e32 v30, 0x80000000, v11
	v_mov_b32_e32 v29, v10
	v_mov_b32_e32 v31, v12
	ds_write_b128 v28, v[29:32]
; %bb.238:
	s_or_b64 exec, exec, s[14:15]
	v_cmp_gt_u32_e64 s[14:15], 13, v26
	;; [unrolled: 31-line block ×13, first 2 shown]
	s_and_b64 s[18:19], s[14:15], s[88:89]
	s_waitcnt lgkmcnt(0)
	s_barrier
	s_and_saveexec_b64 s[14:15], s[18:19]
	s_cbranch_execz .LBB182_284
; %bb.283:
	v_lshlrev_b32_e32 v33, 4, v26
	ds_read_b128 v[29:32], v28
	ds_read_b128 v[33:36], v33 offset:1024
	s_waitcnt lgkmcnt(0)
	v_mul_f64 v[37:38], v[31:32], v[35:36]
	v_mul_f64 v[35:36], v[29:30], v[35:36]
	v_fma_f64 v[29:30], v[29:30], v[33:34], -v[37:38]
	v_fma_f64 v[31:32], v[31:32], v[33:34], v[35:36]
	v_add_f64 v[10:11], v[10:11], -v[29:30]
	v_add_f64 v[12:13], v[12:13], -v[31:32]
.LBB182_284:
	s_or_b64 exec, exec, s[14:15]
	v_cmp_eq_u32_e64 s[14:15], 1, v26
	s_and_b64 s[18:19], s[14:15], s[88:89]
	s_barrier
	s_and_saveexec_b64 s[14:15], s[18:19]
; %bb.285:
	v_xor_b32_e32 v32, 0x80000000, v13
	v_xor_b32_e32 v30, 0x80000000, v11
	v_mov_b32_e32 v29, v10
	v_mov_b32_e32 v31, v12
	ds_write_b128 v28, v[29:32]
; %bb.286:
	s_or_b64 exec, exec, s[14:15]
	v_cmp_eq_u32_e64 s[14:15], 0, v26
	s_and_b64 s[14:15], s[14:15], s[88:89]
	s_waitcnt lgkmcnt(0)
	s_barrier
	s_and_saveexec_b64 s[18:19], s[14:15]
	s_cbranch_execz .LBB182_288
; %bb.287:
	v_mov_b32_e32 v33, 0
	ds_read_b128 v[29:32], v28
	ds_read_b128 v[33:36], v33 offset:512
	s_waitcnt lgkmcnt(0)
	v_mul_f64 v[37:38], v[31:32], v[35:36]
	v_mul_f64 v[35:36], v[29:30], v[35:36]
	v_fma_f64 v[29:30], v[29:30], v[33:34], -v[37:38]
	v_fma_f64 v[31:32], v[31:32], v[33:34], v[35:36]
	v_add_f64 v[10:11], v[10:11], -v[29:30]
	v_add_f64 v[12:13], v[12:13], -v[31:32]
.LBB182_288:
	s_or_b64 exec, exec, s[18:19]
	s_barrier
	s_and_saveexec_b64 s[18:19], s[14:15]
; %bb.289:
	v_xor_b32_e32 v32, 0x80000000, v13
	v_xor_b32_e32 v30, 0x80000000, v11
	v_mov_b32_e32 v29, v10
	v_mov_b32_e32 v31, v12
	ds_write_b128 v28, v[29:32]
; %bb.290:
	s_or_b64 exec, exec, s[18:19]
	s_waitcnt lgkmcnt(0)
	s_barrier
	s_barrier
	s_and_saveexec_b64 s[14:15], s[12:13]
; %bb.291:
	v_lshlrev_b32_e32 v26, 4, v26
	v_lshl_or_b32 v26, v27, 9, v26
	ds_write_b128 v26, v[10:13] offset:8192
; %bb.292:
	s_or_b64 exec, exec, s[14:15]
	v_cmp_gt_u32_e64 s[12:13], 16, v0
	s_and_b64 s[12:13], s[10:11], s[12:13]
	s_waitcnt lgkmcnt(0)
	s_barrier
	s_barrier
	s_and_saveexec_b64 s[10:11], s[12:13]
	s_cbranch_execz .LBB182_294
; %bb.293:
	v_lshlrev_b32_e32 v26, 9, v0
	ds_read_b128 v[10:13], v26 offset:8192
	s_movk_i32 s12, 0xfe10
	v_mad_i32_i24 v27, v0, s12, v26
	s_waitcnt lgkmcnt(0)
	ds_write_b128 v27, v[10:13] offset:256
	ds_read_b128 v[10:13], v26 offset:8208
	s_waitcnt lgkmcnt(0)
	ds_write_b128 v27, v[10:13] offset:768
	ds_read_b128 v[10:13], v26 offset:8224
	;; [unrolled: 3-line block ×15, first 2 shown]
	s_waitcnt lgkmcnt(0)
	ds_write_b128 v27, v[10:13] offset:7936
.LBB182_294:
	s_or_b64 exec, exec, s[10:11]
	s_waitcnt lgkmcnt(0)
	s_barrier
	s_and_saveexec_b64 s[10:11], vcc
	s_cbranch_execz .LBB182_296
; %bb.295:
	s_mov_b32 s12, 0
	v_mov_b32_e32 v30, 0
	ds_read_b128 v[10:13], v30 offset:7904
	s_mov_b32 s15, s12
	s_mov_b32 s13, 0x3ff00000
	s_mov_b32 s14, s12
	v_mov_b32_e32 v29, s15
	v_mov_b32_e32 v28, s14
	;; [unrolled: 1-line block ×4, first 2 shown]
	ds_write_b128 v30, v[26:29] offset:7392
	ds_write_b128 v30, v[26:29] offset:7920
	s_waitcnt lgkmcnt(2)
	ds_write_b128 v30, v[10:13] offset:7408
.LBB182_296:
	s_or_b64 exec, exec, s[10:11]
	v_mov_b32_e32 v10, 0
	v_mov_b32_e32 v12, 0
	;; [unrolled: 1-line block ×4, first 2 shown]
	s_waitcnt lgkmcnt(0)
	s_barrier
	buffer_wbinvl1_vol
	s_and_saveexec_b64 s[12:13], s[2:3]
	s_cbranch_execz .LBB182_300
; %bb.297:
	v_lshlrev_b32_e32 v26, 4, v14
	v_lshlrev_b32_e32 v10, 9, v15
	ds_read_b128 v[10:13], v10 offset:7392
	ds_read_b128 v[26:29], v26 offset:7360
	v_cmp_gt_u32_e64 s[10:11], 2, v17
	s_waitcnt lgkmcnt(0)
	v_mul_f64 v[30:31], v[12:13], v[28:29]
	v_mul_f64 v[28:29], v[10:11], v[28:29]
	v_fma_f64 v[10:11], v[10:11], v[26:27], -v[30:31]
	v_fma_f64 v[12:13], v[12:13], v[26:27], v[28:29]
	v_add_f64 v[10:11], v[10:11], 0
	v_add_f64 v[12:13], v[12:13], 0
	s_and_saveexec_b64 s[14:15], s[10:11]
	s_cbranch_execz .LBB182_299
; %bb.298:
	v_lshlrev_b32_e32 v30, 4, v0
	v_mov_b32_e32 v26, 0
	ds_read_b128 v[26:29], v26 offset:7920
	ds_read_b128 v[30:33], v30 offset:7872
	s_waitcnt lgkmcnt(0)
	v_mul_f64 v[34:35], v[28:29], v[32:33]
	v_mul_f64 v[32:33], v[26:27], v[32:33]
	v_fma_f64 v[26:27], v[26:27], v[30:31], -v[34:35]
	v_fma_f64 v[28:29], v[28:29], v[30:31], v[32:33]
	v_add_f64 v[10:11], v[10:11], v[26:27]
	v_add_f64 v[12:13], v[12:13], v[28:29]
.LBB182_299:
	s_or_b64 exec, exec, s[14:15]
.LBB182_300:
	s_or_b64 exec, exec, s[12:13]
	s_and_saveexec_b64 s[10:11], s[40:41]
; %bb.301:
	v_xor_b32_e32 v27, 0x80000000, v11
	v_xor_b32_e32 v29, 0x80000000, v13
	v_mov_b32_e32 v26, v10
	v_mov_b32_e32 v28, v12
	ds_write_b128 v16, v[26:29]
; %bb.302:
	s_or_b64 exec, exec, s[10:11]
	s_waitcnt lgkmcnt(0)
	s_barrier
	s_and_saveexec_b64 s[10:11], s[38:39]
	s_cbranch_execz .LBB182_304
; %bb.303:
	v_mov_b32_e32 v30, 0
	ds_read_b128 v[26:29], v16
	ds_read_b128 v[30:33], v30 offset:6848
	s_waitcnt lgkmcnt(0)
	v_mul_f64 v[34:35], v[26:27], v[30:31]
	v_mul_f64 v[26:27], v[26:27], v[32:33]
	v_fma_f64 v[32:33], v[28:29], v[32:33], -v[34:35]
	v_fma_f64 v[26:27], v[28:29], v[30:31], v[26:27]
	v_add_f64 v[10:11], v[10:11], v[32:33]
	v_add_f64 v[12:13], v[12:13], -v[26:27]
.LBB182_304:
	s_or_b64 exec, exec, s[10:11]
	s_barrier
	s_and_saveexec_b64 s[10:11], s[38:39]
; %bb.305:
	v_xor_b32_e32 v27, 0x80000000, v11
	v_xor_b32_e32 v29, 0x80000000, v13
	v_mov_b32_e32 v26, v10
	v_mov_b32_e32 v28, v12
	ds_write_b128 v16, v[26:29]
; %bb.306:
	s_or_b64 exec, exec, s[10:11]
	s_waitcnt lgkmcnt(0)
	s_barrier
	s_barrier
	s_and_saveexec_b64 s[10:11], s[2:3]
; %bb.307:
	v_lshlrev_b32_e32 v26, 4, v14
	v_lshl_or_b32 v26, v15, 9, v26
	ds_write_b128 v26, v[10:13] offset:7360
; %bb.308:
	s_or_b64 exec, exec, s[10:11]
	s_waitcnt lgkmcnt(0)
	s_barrier
	s_barrier
	s_and_saveexec_b64 s[10:11], s[42:43]
	s_cbranch_execz .LBB182_310
; %bb.309:
	v_lshlrev_b32_e32 v26, 9, v0
	ds_read_b128 v[10:13], v26 offset:7360
	s_movk_i32 s12, 0xfe10
	v_mad_i32_i24 v27, v0, s12, v26
	s_waitcnt lgkmcnt(0)
	ds_write_b128 v27, v[10:13] offset:6368
	ds_read_b128 v[10:13], v26 offset:7376
	s_waitcnt lgkmcnt(0)
	ds_write_b128 v27, v[10:13] offset:6880
.LBB182_310:
	s_or_b64 exec, exec, s[10:11]
	s_waitcnt lgkmcnt(0)
	s_barrier
	s_and_saveexec_b64 s[10:11], vcc
	s_cbranch_execz .LBB182_312
; %bb.311:
	s_mov_b32 s12, 0
	v_mov_b32_e32 v30, 0
	ds_read_b128 v[10:13], v30 offset:6848
	s_mov_b32 s15, s12
	s_mov_b32 s13, 0x3ff00000
	;; [unrolled: 1-line block ×3, first 2 shown]
	v_mov_b32_e32 v29, s15
	v_mov_b32_e32 v28, s14
	v_mov_b32_e32 v27, s13
	v_mov_b32_e32 v26, s12
	ds_write_b128 v30, v[26:29] offset:6336
	ds_write_b128 v30, v[26:29] offset:6864
	s_waitcnt lgkmcnt(2)
	ds_write_b128 v30, v[10:13] offset:6352
.LBB182_312:
	s_or_b64 exec, exec, s[10:11]
	v_mov_b32_e32 v12, 0
	v_mov_b32_e32 v10, 0
	;; [unrolled: 1-line block ×4, first 2 shown]
	s_waitcnt lgkmcnt(0)
	s_barrier
	buffer_wbinvl1_vol
	s_and_saveexec_b64 s[12:13], s[16:17]
	s_cbranch_execz .LBB182_318
; %bb.313:
	v_lshlrev_b32_e32 v27, 9, v19
	v_lshlrev_b32_e32 v26, 4, v18
	ds_read_b128 v[10:13], v27 offset:6336
	ds_read_b128 v[28:31], v26 offset:6272
	v_cmp_gt_u32_e64 s[10:11], 12, v17
	s_waitcnt lgkmcnt(0)
	v_mul_f64 v[32:33], v[12:13], v[30:31]
	v_mul_f64 v[30:31], v[10:11], v[30:31]
	v_fma_f64 v[10:11], v[10:11], v[28:29], -v[32:33]
	v_fma_f64 v[12:13], v[12:13], v[28:29], v[30:31]
	v_add_f64 v[10:11], v[10:11], 0
	v_add_f64 v[12:13], v[12:13], 0
	s_and_saveexec_b64 s[14:15], s[10:11]
	s_cbranch_execnz .LBB182_533
; %bb.314:
	s_or_b64 exec, exec, s[14:15]
	v_cmp_gt_u32_e64 s[10:11], 8, v17
	s_and_saveexec_b64 s[14:15], s[10:11]
	s_cbranch_execnz .LBB182_534
.LBB182_315:
	s_or_b64 exec, exec, s[14:15]
	v_cmp_gt_u32_e64 s[10:11], 4, v17
	s_and_saveexec_b64 s[14:15], s[10:11]
	s_cbranch_execz .LBB182_317
.LBB182_316:
	v_lshlrev_b32_e32 v30, 4, v0
	v_mov_b32_e32 v26, 0
	ds_read_b128 v[26:29], v26 offset:7920
	ds_read_b128 v[30:33], v30 offset:7808
	s_waitcnt lgkmcnt(0)
	v_mul_f64 v[34:35], v[28:29], v[32:33]
	v_mul_f64 v[32:33], v[26:27], v[32:33]
	v_fma_f64 v[26:27], v[26:27], v[30:31], -v[34:35]
	v_fma_f64 v[28:29], v[28:29], v[30:31], v[32:33]
	v_add_f64 v[10:11], v[10:11], v[26:27]
	v_add_f64 v[12:13], v[12:13], v[28:29]
.LBB182_317:
	s_or_b64 exec, exec, s[14:15]
.LBB182_318:
	s_or_b64 exec, exec, s[12:13]
	s_and_saveexec_b64 s[10:11], s[46:47]
; %bb.319:
	v_xor_b32_e32 v29, 0x80000000, v13
	v_xor_b32_e32 v27, 0x80000000, v11
	v_mov_b32_e32 v26, v10
	v_mov_b32_e32 v28, v12
	ds_write_b128 v20, v[26:29]
; %bb.320:
	s_or_b64 exec, exec, s[10:11]
	s_waitcnt lgkmcnt(0)
	s_barrier
	s_and_saveexec_b64 s[10:11], s[48:49]
	s_cbranch_execz .LBB182_322
; %bb.321:
	v_lshlrev_b32_e32 v30, 4, v18
	ds_read_b128 v[26:29], v20
	ds_read_b128 v[30:33], v30 offset:5760
	s_waitcnt lgkmcnt(0)
	v_mul_f64 v[34:35], v[28:29], v[32:33]
	v_mul_f64 v[32:33], v[26:27], v[32:33]
	v_fma_f64 v[26:27], v[26:27], v[30:31], -v[34:35]
	v_fma_f64 v[28:29], v[28:29], v[30:31], v[32:33]
	v_add_f64 v[10:11], v[10:11], -v[26:27]
	v_add_f64 v[12:13], v[12:13], -v[28:29]
.LBB182_322:
	s_or_b64 exec, exec, s[10:11]
	s_barrier
	s_and_saveexec_b64 s[10:11], s[50:51]
; %bb.323:
	v_xor_b32_e32 v29, 0x80000000, v13
	v_xor_b32_e32 v27, 0x80000000, v11
	v_mov_b32_e32 v26, v10
	v_mov_b32_e32 v28, v12
	ds_write_b128 v20, v[26:29]
; %bb.324:
	s_or_b64 exec, exec, s[10:11]
	s_waitcnt lgkmcnt(0)
	s_barrier
	s_and_saveexec_b64 s[10:11], s[52:53]
	s_cbranch_execz .LBB182_326
; %bb.325:
	v_lshlrev_b32_e32 v30, 4, v18
	ds_read_b128 v[26:29], v20
	ds_read_b128 v[30:33], v30 offset:5248
	s_waitcnt lgkmcnt(0)
	v_mul_f64 v[34:35], v[28:29], v[32:33]
	v_mul_f64 v[32:33], v[26:27], v[32:33]
	v_fma_f64 v[26:27], v[26:27], v[30:31], -v[34:35]
	v_fma_f64 v[28:29], v[28:29], v[30:31], v[32:33]
	v_add_f64 v[10:11], v[10:11], -v[26:27]
	v_add_f64 v[12:13], v[12:13], -v[28:29]
.LBB182_326:
	s_or_b64 exec, exec, s[10:11]
	s_barrier
	s_and_saveexec_b64 s[10:11], s[54:55]
; %bb.327:
	v_xor_b32_e32 v29, 0x80000000, v13
	v_xor_b32_e32 v27, 0x80000000, v11
	v_mov_b32_e32 v26, v10
	v_mov_b32_e32 v28, v12
	ds_write_b128 v20, v[26:29]
; %bb.328:
	s_or_b64 exec, exec, s[10:11]
	s_waitcnt lgkmcnt(0)
	s_barrier
	s_and_saveexec_b64 s[10:11], s[44:45]
	s_cbranch_execz .LBB182_330
; %bb.329:
	v_mov_b32_e32 v30, 0
	ds_read_b128 v[26:29], v20
	ds_read_b128 v[30:33], v30 offset:4736
	s_waitcnt lgkmcnt(0)
	v_mul_f64 v[34:35], v[28:29], v[32:33]
	v_mul_f64 v[32:33], v[26:27], v[32:33]
	v_fma_f64 v[26:27], v[26:27], v[30:31], -v[34:35]
	v_fma_f64 v[28:29], v[28:29], v[30:31], v[32:33]
	v_add_f64 v[10:11], v[10:11], -v[26:27]
	v_add_f64 v[12:13], v[12:13], -v[28:29]
.LBB182_330:
	s_or_b64 exec, exec, s[10:11]
	s_barrier
	s_and_saveexec_b64 s[10:11], s[44:45]
; %bb.331:
	v_xor_b32_e32 v29, 0x80000000, v13
	v_xor_b32_e32 v27, 0x80000000, v11
	v_mov_b32_e32 v26, v10
	v_mov_b32_e32 v28, v12
	ds_write_b128 v20, v[26:29]
; %bb.332:
	s_or_b64 exec, exec, s[10:11]
	s_waitcnt lgkmcnt(0)
	s_barrier
	s_barrier
	s_and_saveexec_b64 s[10:11], s[16:17]
; %bb.333:
	v_lshlrev_b32_e32 v26, 4, v18
	v_lshl_or_b32 v26, v19, 9, v26
	ds_write_b128 v26, v[10:13] offset:6272
; %bb.334:
	s_or_b64 exec, exec, s[10:11]
	s_waitcnt lgkmcnt(0)
	s_barrier
	s_barrier
	s_and_saveexec_b64 s[10:11], s[56:57]
	s_cbranch_execz .LBB182_336
; %bb.335:
	v_lshlrev_b32_e32 v26, 4, v0
	s_movk_i32 s12, 0x1f0
	v_mad_u32_u24 v27, v0, s12, v26
	ds_read_b128 v[10:13], v27 offset:6272
	s_waitcnt lgkmcnt(0)
	ds_write_b128 v26, v[10:13] offset:4288
	ds_read_b128 v[10:13], v27 offset:6288
	s_waitcnt lgkmcnt(0)
	ds_write_b128 v26, v[10:13] offset:4800
	;; [unrolled: 3-line block ×4, first 2 shown]
.LBB182_336:
	s_or_b64 exec, exec, s[10:11]
	s_waitcnt lgkmcnt(0)
	s_barrier
	s_and_saveexec_b64 s[10:11], vcc
	s_cbranch_execz .LBB182_338
; %bb.337:
	s_mov_b32 s12, 0
	v_mov_b32_e32 v30, 0
	ds_read_b128 v[10:13], v30 offset:5792
	s_mov_b32 s15, s12
	s_mov_b32 s13, 0x3ff00000
	;; [unrolled: 1-line block ×3, first 2 shown]
	v_mov_b32_e32 v29, s15
	v_mov_b32_e32 v28, s14
	;; [unrolled: 1-line block ×4, first 2 shown]
	ds_write_b128 v30, v[26:29] offset:5280
	ds_write_b128 v30, v[26:29] offset:5808
	s_waitcnt lgkmcnt(2)
	ds_write_b128 v30, v[10:13] offset:5296
.LBB182_338:
	s_or_b64 exec, exec, s[10:11]
	v_mov_b32_e32 v10, 0
	v_mov_b32_e32 v12, 0
	;; [unrolled: 1-line block ×4, first 2 shown]
	s_waitcnt lgkmcnt(0)
	s_barrier
	buffer_wbinvl1_vol
	s_and_saveexec_b64 s[12:13], s[2:3]
	s_cbranch_execz .LBB182_342
; %bb.339:
	v_lshlrev_b32_e32 v26, 4, v14
	v_lshlrev_b32_e32 v10, 9, v15
	ds_read_b128 v[10:13], v10 offset:5280
	ds_read_b128 v[26:29], v26 offset:5248
	v_cmp_gt_u32_e64 s[10:11], 2, v17
	s_waitcnt lgkmcnt(0)
	v_mul_f64 v[30:31], v[12:13], v[28:29]
	v_mul_f64 v[28:29], v[10:11], v[28:29]
	v_fma_f64 v[10:11], v[10:11], v[26:27], -v[30:31]
	v_fma_f64 v[12:13], v[12:13], v[26:27], v[28:29]
	v_add_f64 v[10:11], v[10:11], 0
	v_add_f64 v[12:13], v[12:13], 0
	s_and_saveexec_b64 s[14:15], s[10:11]
	s_cbranch_execz .LBB182_341
; %bb.340:
	v_lshlrev_b32_e32 v30, 4, v0
	v_mov_b32_e32 v26, 0
	ds_read_b128 v[26:29], v26 offset:5808
	ds_read_b128 v[30:33], v30 offset:5760
	s_waitcnt lgkmcnt(0)
	v_mul_f64 v[34:35], v[28:29], v[32:33]
	v_mul_f64 v[32:33], v[26:27], v[32:33]
	v_fma_f64 v[26:27], v[26:27], v[30:31], -v[34:35]
	v_fma_f64 v[28:29], v[28:29], v[30:31], v[32:33]
	v_add_f64 v[10:11], v[10:11], v[26:27]
	v_add_f64 v[12:13], v[12:13], v[28:29]
.LBB182_341:
	s_or_b64 exec, exec, s[14:15]
.LBB182_342:
	s_or_b64 exec, exec, s[12:13]
	s_and_saveexec_b64 s[10:11], s[40:41]
; %bb.343:
	v_xor_b32_e32 v27, 0x80000000, v11
	v_xor_b32_e32 v29, 0x80000000, v13
	v_mov_b32_e32 v26, v10
	v_mov_b32_e32 v28, v12
	ds_write_b128 v16, v[26:29]
; %bb.344:
	s_or_b64 exec, exec, s[10:11]
	s_waitcnt lgkmcnt(0)
	s_barrier
	s_and_saveexec_b64 s[10:11], s[38:39]
	s_cbranch_execz .LBB182_346
; %bb.345:
	v_mov_b32_e32 v30, 0
	ds_read_b128 v[26:29], v16
	ds_read_b128 v[30:33], v30 offset:4736
	s_waitcnt lgkmcnt(0)
	v_mul_f64 v[34:35], v[26:27], v[30:31]
	v_mul_f64 v[26:27], v[26:27], v[32:33]
	v_fma_f64 v[32:33], v[28:29], v[32:33], -v[34:35]
	v_fma_f64 v[26:27], v[28:29], v[30:31], v[26:27]
	v_add_f64 v[10:11], v[10:11], v[32:33]
	v_add_f64 v[12:13], v[12:13], -v[26:27]
.LBB182_346:
	s_or_b64 exec, exec, s[10:11]
	s_barrier
	s_and_saveexec_b64 s[10:11], s[38:39]
; %bb.347:
	v_xor_b32_e32 v27, 0x80000000, v11
	v_xor_b32_e32 v29, 0x80000000, v13
	v_mov_b32_e32 v26, v10
	v_mov_b32_e32 v28, v12
	ds_write_b128 v16, v[26:29]
; %bb.348:
	s_or_b64 exec, exec, s[10:11]
	s_waitcnt lgkmcnt(0)
	s_barrier
	s_barrier
	s_and_saveexec_b64 s[10:11], s[2:3]
; %bb.349:
	v_lshlrev_b32_e32 v26, 4, v14
	v_lshl_or_b32 v26, v15, 9, v26
	ds_write_b128 v26, v[10:13] offset:5248
; %bb.350:
	s_or_b64 exec, exec, s[10:11]
	s_waitcnt lgkmcnt(0)
	s_barrier
	s_barrier
	s_and_saveexec_b64 s[10:11], s[42:43]
	s_cbranch_execz .LBB182_352
; %bb.351:
	v_lshlrev_b32_e32 v26, 9, v0
	ds_read_b128 v[10:13], v26 offset:5248
	s_movk_i32 s12, 0xfe10
	v_mad_i32_i24 v27, v0, s12, v26
	s_waitcnt lgkmcnt(0)
	ds_write_b128 v27, v[10:13] offset:4256
	ds_read_b128 v[10:13], v26 offset:5264
	s_waitcnt lgkmcnt(0)
	ds_write_b128 v27, v[10:13] offset:4768
.LBB182_352:
	s_or_b64 exec, exec, s[10:11]
	s_waitcnt lgkmcnt(0)
	s_barrier
	s_and_saveexec_b64 s[10:11], vcc
	s_cbranch_execz .LBB182_354
; %bb.353:
	s_mov_b32 s12, 0
	v_mov_b32_e32 v30, 0
	ds_read_b128 v[10:13], v30 offset:4736
	s_mov_b32 s15, s12
	s_mov_b32 s13, 0x3ff00000
	;; [unrolled: 1-line block ×3, first 2 shown]
	v_mov_b32_e32 v29, s15
	v_mov_b32_e32 v28, s14
	;; [unrolled: 1-line block ×4, first 2 shown]
	ds_write_b128 v30, v[26:29] offset:4224
	ds_write_b128 v30, v[26:29] offset:4752
	s_waitcnt lgkmcnt(2)
	ds_write_b128 v30, v[10:13] offset:4240
.LBB182_354:
	s_or_b64 exec, exec, s[10:11]
	v_mov_b32_e32 v12, 0
	v_mov_b32_e32 v10, 0
	;; [unrolled: 1-line block ×4, first 2 shown]
	s_waitcnt lgkmcnt(0)
	s_barrier
	buffer_wbinvl1_vol
	s_and_saveexec_b64 s[12:13], s[8:9]
	s_cbranch_execz .LBB182_364
; %bb.355:
	v_lshlrev_b32_e32 v27, 9, v24
	v_lshlrev_b32_e32 v26, 4, v21
	ds_read_b128 v[10:13], v27 offset:4224
	ds_read_b128 v[28:31], v26 offset:4096
	v_cmp_gt_u32_e64 s[10:11], 56, v17
	s_waitcnt lgkmcnt(0)
	v_mul_f64 v[32:33], v[12:13], v[30:31]
	v_mul_f64 v[30:31], v[10:11], v[30:31]
	v_fma_f64 v[10:11], v[10:11], v[28:29], -v[32:33]
	v_fma_f64 v[12:13], v[12:13], v[28:29], v[30:31]
	v_add_f64 v[10:11], v[10:11], 0
	v_add_f64 v[12:13], v[12:13], 0
	s_and_saveexec_b64 s[14:15], s[10:11]
	s_cbranch_execnz .LBB182_535
; %bb.356:
	s_or_b64 exec, exec, s[14:15]
	v_cmp_gt_u32_e64 s[10:11], 48, v17
	s_and_saveexec_b64 s[14:15], s[10:11]
	s_cbranch_execnz .LBB182_536
.LBB182_357:
	s_or_b64 exec, exec, s[14:15]
	v_cmp_gt_u32_e64 s[10:11], 40, v17
	s_and_saveexec_b64 s[14:15], s[10:11]
	s_cbranch_execnz .LBB182_537
.LBB182_358:
	s_or_b64 exec, exec, s[14:15]
	v_cmp_gt_u32_e64 s[10:11], 32, v17
	s_and_saveexec_b64 s[14:15], s[10:11]
	s_cbranch_execnz .LBB182_538
.LBB182_359:
	s_or_b64 exec, exec, s[14:15]
	v_cmp_gt_u32_e64 s[10:11], 24, v17
	s_and_saveexec_b64 s[14:15], s[10:11]
	s_cbranch_execnz .LBB182_539
.LBB182_360:
	s_or_b64 exec, exec, s[14:15]
	s_and_saveexec_b64 s[10:11], s[16:17]
	s_cbranch_execnz .LBB182_540
.LBB182_361:
	s_or_b64 exec, exec, s[10:11]
	v_cmp_gt_u32_e64 s[10:11], 8, v17
	s_and_saveexec_b64 s[14:15], s[10:11]
	s_cbranch_execz .LBB182_363
.LBB182_362:
	v_lshlrev_b32_e32 v30, 4, v0
	v_mov_b32_e32 v26, 0
	ds_read_b128 v[26:29], v26 offset:7920
	ds_read_b128 v[30:33], v30 offset:7680
	s_waitcnt lgkmcnt(0)
	v_mul_f64 v[34:35], v[28:29], v[32:33]
	v_mul_f64 v[32:33], v[26:27], v[32:33]
	v_fma_f64 v[26:27], v[26:27], v[30:31], -v[34:35]
	v_fma_f64 v[28:29], v[28:29], v[30:31], v[32:33]
	v_add_f64 v[10:11], v[10:11], v[26:27]
	v_add_f64 v[12:13], v[12:13], v[28:29]
.LBB182_363:
	s_or_b64 exec, exec, s[14:15]
.LBB182_364:
	s_or_b64 exec, exec, s[12:13]
	s_and_saveexec_b64 s[10:11], s[60:61]
; %bb.365:
	v_xor_b32_e32 v27, 0x80000000, v11
	v_xor_b32_e32 v29, 0x80000000, v13
	v_mov_b32_e32 v26, v10
	v_mov_b32_e32 v28, v12
	ds_write_b128 v25, v[26:29]
; %bb.366:
	s_or_b64 exec, exec, s[10:11]
	s_waitcnt lgkmcnt(0)
	s_barrier
	s_and_saveexec_b64 s[10:11], s[62:63]
	s_cbranch_execz .LBB182_368
; %bb.367:
	v_lshlrev_b32_e32 v30, 4, v21
	ds_read_b128 v[26:29], v25
	ds_read_b128 v[30:33], v30 offset:3584
	s_waitcnt lgkmcnt(0)
	v_mul_f64 v[34:35], v[28:29], v[32:33]
	v_mul_f64 v[32:33], v[26:27], v[32:33]
	v_fma_f64 v[26:27], v[26:27], v[30:31], -v[34:35]
	v_fma_f64 v[28:29], v[28:29], v[30:31], v[32:33]
	v_add_f64 v[10:11], v[10:11], -v[26:27]
	v_add_f64 v[12:13], v[12:13], -v[28:29]
.LBB182_368:
	s_or_b64 exec, exec, s[10:11]
	s_barrier
	s_and_saveexec_b64 s[10:11], s[64:65]
; %bb.369:
	v_xor_b32_e32 v27, 0x80000000, v11
	v_xor_b32_e32 v29, 0x80000000, v13
	v_mov_b32_e32 v26, v10
	v_mov_b32_e32 v28, v12
	ds_write_b128 v25, v[26:29]
; %bb.370:
	s_or_b64 exec, exec, s[10:11]
	s_waitcnt lgkmcnt(0)
	s_barrier
	s_and_saveexec_b64 s[10:11], s[66:67]
	s_cbranch_execz .LBB182_372
; %bb.371:
	v_lshlrev_b32_e32 v30, 4, v21
	ds_read_b128 v[26:29], v25
	ds_read_b128 v[30:33], v30 offset:3072
	s_waitcnt lgkmcnt(0)
	v_mul_f64 v[34:35], v[28:29], v[32:33]
	v_mul_f64 v[32:33], v[26:27], v[32:33]
	v_fma_f64 v[26:27], v[26:27], v[30:31], -v[34:35]
	v_fma_f64 v[28:29], v[28:29], v[30:31], v[32:33]
	v_add_f64 v[10:11], v[10:11], -v[26:27]
	v_add_f64 v[12:13], v[12:13], -v[28:29]
.LBB182_372:
	s_or_b64 exec, exec, s[10:11]
	s_barrier
	;; [unrolled: 27-line block ×6, first 2 shown]
	s_and_saveexec_b64 s[10:11], s[84:85]
; %bb.389:
	v_xor_b32_e32 v27, 0x80000000, v11
	v_xor_b32_e32 v29, 0x80000000, v13
	v_mov_b32_e32 v26, v10
	v_mov_b32_e32 v28, v12
	ds_write_b128 v25, v[26:29]
; %bb.390:
	s_or_b64 exec, exec, s[10:11]
	s_waitcnt lgkmcnt(0)
	s_barrier
	s_and_saveexec_b64 s[10:11], s[58:59]
	s_cbranch_execz .LBB182_392
; %bb.391:
	v_mov_b32_e32 v30, 0
	ds_read_b128 v[26:29], v25
	ds_read_b128 v[30:33], v30 offset:512
	s_waitcnt lgkmcnt(0)
	v_mul_f64 v[34:35], v[28:29], v[32:33]
	v_mul_f64 v[32:33], v[26:27], v[32:33]
	v_fma_f64 v[26:27], v[26:27], v[30:31], -v[34:35]
	v_fma_f64 v[28:29], v[28:29], v[30:31], v[32:33]
	v_add_f64 v[10:11], v[10:11], -v[26:27]
	v_add_f64 v[12:13], v[12:13], -v[28:29]
.LBB182_392:
	s_or_b64 exec, exec, s[10:11]
	s_barrier
	s_and_saveexec_b64 s[10:11], s[58:59]
; %bb.393:
	v_xor_b32_e32 v27, 0x80000000, v11
	v_xor_b32_e32 v29, 0x80000000, v13
	v_mov_b32_e32 v26, v10
	v_mov_b32_e32 v28, v12
	ds_write_b128 v25, v[26:29]
; %bb.394:
	s_or_b64 exec, exec, s[10:11]
	s_waitcnt lgkmcnt(0)
	s_barrier
	s_barrier
	s_and_saveexec_b64 s[10:11], s[8:9]
; %bb.395:
	v_lshlrev_b32_e32 v21, 4, v21
	v_lshl_or_b32 v21, v24, 9, v21
	ds_write_b128 v21, v[10:13] offset:4096
; %bb.396:
	s_or_b64 exec, exec, s[10:11]
	s_waitcnt lgkmcnt(0)
	s_barrier
	s_barrier
	s_and_saveexec_b64 s[8:9], s[86:87]
	s_cbranch_execz .LBB182_398
; %bb.397:
	v_lshlrev_b32_e32 v21, 9, v0
	ds_read_b128 v[10:13], v21 offset:4096
	s_movk_i32 s10, 0xfe10
	v_mad_i32_i24 v24, v0, s10, v21
	s_waitcnt lgkmcnt(0)
	ds_write_b128 v24, v[10:13] offset:128
	ds_read_b128 v[10:13], v21 offset:4112
	s_waitcnt lgkmcnt(0)
	ds_write_b128 v24, v[10:13] offset:640
	ds_read_b128 v[10:13], v21 offset:4128
	s_waitcnt lgkmcnt(0)
	ds_write_b128 v24, v[10:13] offset:1152
	ds_read_b128 v[10:13], v21 offset:4144
	s_waitcnt lgkmcnt(0)
	ds_write_b128 v24, v[10:13] offset:1664
	ds_read_b128 v[10:13], v21 offset:4160
	s_waitcnt lgkmcnt(0)
	ds_write_b128 v24, v[10:13] offset:2176
	ds_read_b128 v[10:13], v21 offset:4176
	s_waitcnt lgkmcnt(0)
	ds_write_b128 v24, v[10:13] offset:2688
	ds_read_b128 v[10:13], v21 offset:4192
	s_waitcnt lgkmcnt(0)
	ds_write_b128 v24, v[10:13] offset:3200
	ds_read_b128 v[10:13], v21 offset:4208
	s_waitcnt lgkmcnt(0)
	ds_write_b128 v24, v[10:13] offset:3712
.LBB182_398:
	s_or_b64 exec, exec, s[8:9]
	s_waitcnt lgkmcnt(0)
	s_barrier
	s_and_saveexec_b64 s[8:9], vcc
	s_cbranch_execz .LBB182_400
; %bb.399:
	s_mov_b32 s12, 0
	v_mov_b32_e32 v21, 0
	ds_read_b128 v[10:13], v21 offset:3680
	s_mov_b32 s15, s12
	s_mov_b32 s13, 0x3ff00000
	;; [unrolled: 1-line block ×3, first 2 shown]
	v_mov_b32_e32 v27, s15
	v_mov_b32_e32 v26, s14
	;; [unrolled: 1-line block ×4, first 2 shown]
	ds_write_b128 v21, v[24:27] offset:3168
	ds_write_b128 v21, v[24:27] offset:3696
	s_waitcnt lgkmcnt(2)
	ds_write_b128 v21, v[10:13] offset:3184
.LBB182_400:
	s_or_b64 exec, exec, s[8:9]
	v_mov_b32_e32 v10, 0
	v_mov_b32_e32 v12, 0
	;; [unrolled: 1-line block ×4, first 2 shown]
	s_waitcnt lgkmcnt(0)
	s_barrier
	buffer_wbinvl1_vol
	s_and_saveexec_b64 s[10:11], s[2:3]
	s_cbranch_execz .LBB182_404
; %bb.401:
	v_lshlrev_b32_e32 v10, 9, v15
	v_lshlrev_b32_e32 v21, 4, v14
	ds_read_b128 v[10:13], v10 offset:3168
	ds_read_b128 v[24:27], v21 offset:3136
	v_cmp_gt_u32_e64 s[8:9], 2, v17
	s_waitcnt lgkmcnt(0)
	v_mul_f64 v[28:29], v[12:13], v[26:27]
	v_mul_f64 v[26:27], v[10:11], v[26:27]
	v_fma_f64 v[10:11], v[10:11], v[24:25], -v[28:29]
	v_fma_f64 v[12:13], v[12:13], v[24:25], v[26:27]
	v_add_f64 v[10:11], v[10:11], 0
	v_add_f64 v[12:13], v[12:13], 0
	s_and_saveexec_b64 s[12:13], s[8:9]
	s_cbranch_execz .LBB182_403
; %bb.402:
	v_mov_b32_e32 v24, 0
	v_lshlrev_b32_e32 v21, 4, v0
	ds_read_b128 v[24:27], v24 offset:3696
	ds_read_b128 v[28:31], v21 offset:3648
	s_waitcnt lgkmcnt(0)
	v_mul_f64 v[32:33], v[26:27], v[30:31]
	v_mul_f64 v[30:31], v[24:25], v[30:31]
	v_fma_f64 v[24:25], v[24:25], v[28:29], -v[32:33]
	v_fma_f64 v[26:27], v[26:27], v[28:29], v[30:31]
	v_add_f64 v[10:11], v[10:11], v[24:25]
	v_add_f64 v[12:13], v[12:13], v[26:27]
.LBB182_403:
	s_or_b64 exec, exec, s[12:13]
.LBB182_404:
	s_or_b64 exec, exec, s[10:11]
	s_and_saveexec_b64 s[8:9], s[40:41]
; %bb.405:
	v_xor_b32_e32 v25, 0x80000000, v11
	v_xor_b32_e32 v27, 0x80000000, v13
	v_mov_b32_e32 v24, v10
	v_mov_b32_e32 v26, v12
	ds_write_b128 v16, v[24:27]
; %bb.406:
	s_or_b64 exec, exec, s[8:9]
	s_waitcnt lgkmcnt(0)
	s_barrier
	s_and_saveexec_b64 s[8:9], s[38:39]
	s_cbranch_execz .LBB182_408
; %bb.407:
	v_mov_b32_e32 v21, 0
	ds_read_b128 v[24:27], v16
	ds_read_b128 v[28:31], v21 offset:2624
	s_waitcnt lgkmcnt(0)
	v_mul_f64 v[32:33], v[24:25], v[28:29]
	v_mul_f64 v[24:25], v[24:25], v[30:31]
	v_fma_f64 v[30:31], v[26:27], v[30:31], -v[32:33]
	v_fma_f64 v[24:25], v[26:27], v[28:29], v[24:25]
	v_add_f64 v[10:11], v[10:11], v[30:31]
	v_add_f64 v[12:13], v[12:13], -v[24:25]
.LBB182_408:
	s_or_b64 exec, exec, s[8:9]
	s_barrier
	s_and_saveexec_b64 s[8:9], s[38:39]
; %bb.409:
	v_xor_b32_e32 v25, 0x80000000, v11
	v_xor_b32_e32 v27, 0x80000000, v13
	v_mov_b32_e32 v24, v10
	v_mov_b32_e32 v26, v12
	ds_write_b128 v16, v[24:27]
; %bb.410:
	s_or_b64 exec, exec, s[8:9]
	s_waitcnt lgkmcnt(0)
	s_barrier
	s_barrier
	s_and_saveexec_b64 s[8:9], s[2:3]
; %bb.411:
	v_lshlrev_b32_e32 v21, 4, v14
	v_lshl_or_b32 v21, v15, 9, v21
	ds_write_b128 v21, v[10:13] offset:3136
; %bb.412:
	s_or_b64 exec, exec, s[8:9]
	s_waitcnt lgkmcnt(0)
	s_barrier
	s_barrier
	s_and_saveexec_b64 s[8:9], s[42:43]
	s_cbranch_execz .LBB182_414
; %bb.413:
	v_lshlrev_b32_e32 v21, 9, v0
	ds_read_b128 v[10:13], v21 offset:3136
	s_movk_i32 s10, 0xfe10
	v_mad_i32_i24 v24, v0, s10, v21
	s_waitcnt lgkmcnt(0)
	ds_write_b128 v24, v[10:13] offset:2144
	ds_read_b128 v[10:13], v21 offset:3152
	s_waitcnt lgkmcnt(0)
	ds_write_b128 v24, v[10:13] offset:2656
.LBB182_414:
	s_or_b64 exec, exec, s[8:9]
	s_waitcnt lgkmcnt(0)
	s_barrier
	s_and_saveexec_b64 s[8:9], vcc
	s_cbranch_execz .LBB182_416
; %bb.415:
	s_mov_b32 s12, 0
	v_mov_b32_e32 v21, 0
	ds_read_b128 v[10:13], v21 offset:2624
	s_mov_b32 s15, s12
	s_mov_b32 s13, 0x3ff00000
	;; [unrolled: 1-line block ×3, first 2 shown]
	v_mov_b32_e32 v27, s15
	v_mov_b32_e32 v26, s14
	;; [unrolled: 1-line block ×4, first 2 shown]
	ds_write_b128 v21, v[24:27] offset:2112
	ds_write_b128 v21, v[24:27] offset:2640
	s_waitcnt lgkmcnt(2)
	ds_write_b128 v21, v[10:13] offset:2128
.LBB182_416:
	s_or_b64 exec, exec, s[8:9]
	v_mov_b32_e32 v12, 0
	v_mov_b32_e32 v10, 0
	;; [unrolled: 1-line block ×4, first 2 shown]
	s_waitcnt lgkmcnt(0)
	s_barrier
	buffer_wbinvl1_vol
	s_and_saveexec_b64 s[10:11], s[16:17]
	s_cbranch_execz .LBB182_422
; %bb.417:
	v_lshlrev_b32_e32 v24, 9, v19
	v_lshlrev_b32_e32 v21, 4, v18
	ds_read_b128 v[10:13], v24 offset:2112
	ds_read_b128 v[25:28], v21 offset:2048
	v_cmp_gt_u32_e64 s[8:9], 12, v17
	s_waitcnt lgkmcnt(0)
	v_mul_f64 v[29:30], v[12:13], v[27:28]
	v_mul_f64 v[27:28], v[10:11], v[27:28]
	v_fma_f64 v[10:11], v[10:11], v[25:26], -v[29:30]
	v_fma_f64 v[12:13], v[12:13], v[25:26], v[27:28]
	v_add_f64 v[10:11], v[10:11], 0
	v_add_f64 v[12:13], v[12:13], 0
	s_and_saveexec_b64 s[12:13], s[8:9]
	s_cbranch_execnz .LBB182_541
; %bb.418:
	s_or_b64 exec, exec, s[12:13]
	v_cmp_gt_u32_e64 s[8:9], 8, v17
	s_and_saveexec_b64 s[12:13], s[8:9]
	s_cbranch_execnz .LBB182_542
.LBB182_419:
	s_or_b64 exec, exec, s[12:13]
	v_cmp_gt_u32_e64 s[8:9], 4, v17
	s_and_saveexec_b64 s[12:13], s[8:9]
	s_cbranch_execz .LBB182_421
.LBB182_420:
	v_mov_b32_e32 v24, 0
	v_lshlrev_b32_e32 v21, 4, v0
	ds_read_b128 v[24:27], v24 offset:3696
	ds_read_b128 v[28:31], v21 offset:3584
	s_waitcnt lgkmcnt(0)
	v_mul_f64 v[32:33], v[26:27], v[30:31]
	v_mul_f64 v[30:31], v[24:25], v[30:31]
	v_fma_f64 v[24:25], v[24:25], v[28:29], -v[32:33]
	v_fma_f64 v[26:27], v[26:27], v[28:29], v[30:31]
	v_add_f64 v[10:11], v[10:11], v[24:25]
	v_add_f64 v[12:13], v[12:13], v[26:27]
.LBB182_421:
	s_or_b64 exec, exec, s[12:13]
.LBB182_422:
	s_or_b64 exec, exec, s[10:11]
	s_and_saveexec_b64 s[8:9], s[46:47]
; %bb.423:
	v_xor_b32_e32 v27, 0x80000000, v13
	v_xor_b32_e32 v25, 0x80000000, v11
	v_mov_b32_e32 v24, v10
	v_mov_b32_e32 v26, v12
	ds_write_b128 v20, v[24:27]
; %bb.424:
	s_or_b64 exec, exec, s[8:9]
	s_waitcnt lgkmcnt(0)
	s_barrier
	s_and_saveexec_b64 s[8:9], s[48:49]
	s_cbranch_execz .LBB182_426
; %bb.425:
	v_lshlrev_b32_e32 v21, 4, v18
	ds_read_b128 v[24:27], v20
	ds_read_b128 v[28:31], v21 offset:1536
	s_waitcnt lgkmcnt(0)
	v_mul_f64 v[32:33], v[26:27], v[30:31]
	v_mul_f64 v[30:31], v[24:25], v[30:31]
	v_fma_f64 v[24:25], v[24:25], v[28:29], -v[32:33]
	v_fma_f64 v[26:27], v[26:27], v[28:29], v[30:31]
	v_add_f64 v[10:11], v[10:11], -v[24:25]
	v_add_f64 v[12:13], v[12:13], -v[26:27]
.LBB182_426:
	s_or_b64 exec, exec, s[8:9]
	s_barrier
	s_and_saveexec_b64 s[8:9], s[50:51]
; %bb.427:
	v_xor_b32_e32 v27, 0x80000000, v13
	v_xor_b32_e32 v25, 0x80000000, v11
	v_mov_b32_e32 v24, v10
	v_mov_b32_e32 v26, v12
	ds_write_b128 v20, v[24:27]
; %bb.428:
	s_or_b64 exec, exec, s[8:9]
	s_waitcnt lgkmcnt(0)
	s_barrier
	s_and_saveexec_b64 s[8:9], s[52:53]
	s_cbranch_execz .LBB182_430
; %bb.429:
	v_lshlrev_b32_e32 v21, 4, v18
	ds_read_b128 v[24:27], v20
	ds_read_b128 v[28:31], v21 offset:1024
	s_waitcnt lgkmcnt(0)
	v_mul_f64 v[32:33], v[26:27], v[30:31]
	v_mul_f64 v[30:31], v[24:25], v[30:31]
	v_fma_f64 v[24:25], v[24:25], v[28:29], -v[32:33]
	v_fma_f64 v[26:27], v[26:27], v[28:29], v[30:31]
	v_add_f64 v[10:11], v[10:11], -v[24:25]
	v_add_f64 v[12:13], v[12:13], -v[26:27]
.LBB182_430:
	s_or_b64 exec, exec, s[8:9]
	s_barrier
	s_and_saveexec_b64 s[8:9], s[54:55]
; %bb.431:
	v_xor_b32_e32 v27, 0x80000000, v13
	v_xor_b32_e32 v25, 0x80000000, v11
	v_mov_b32_e32 v24, v10
	v_mov_b32_e32 v26, v12
	ds_write_b128 v20, v[24:27]
; %bb.432:
	s_or_b64 exec, exec, s[8:9]
	s_waitcnt lgkmcnt(0)
	s_barrier
	s_and_saveexec_b64 s[8:9], s[44:45]
	s_cbranch_execz .LBB182_434
; %bb.433:
	v_mov_b32_e32 v21, 0
	ds_read_b128 v[24:27], v20
	ds_read_b128 v[28:31], v21 offset:512
	s_waitcnt lgkmcnt(0)
	v_mul_f64 v[32:33], v[26:27], v[30:31]
	v_mul_f64 v[30:31], v[24:25], v[30:31]
	v_fma_f64 v[24:25], v[24:25], v[28:29], -v[32:33]
	v_fma_f64 v[26:27], v[26:27], v[28:29], v[30:31]
	v_add_f64 v[10:11], v[10:11], -v[24:25]
	v_add_f64 v[12:13], v[12:13], -v[26:27]
.LBB182_434:
	s_or_b64 exec, exec, s[8:9]
	s_barrier
	s_and_saveexec_b64 s[8:9], s[44:45]
; %bb.435:
	v_xor_b32_e32 v27, 0x80000000, v13
	v_xor_b32_e32 v25, 0x80000000, v11
	v_mov_b32_e32 v24, v10
	v_mov_b32_e32 v26, v12
	ds_write_b128 v20, v[24:27]
; %bb.436:
	s_or_b64 exec, exec, s[8:9]
	s_waitcnt lgkmcnt(0)
	s_barrier
	s_barrier
	s_and_saveexec_b64 s[8:9], s[16:17]
; %bb.437:
	v_lshlrev_b32_e32 v18, 4, v18
	v_lshl_or_b32 v18, v19, 9, v18
	ds_write_b128 v18, v[10:13] offset:2048
; %bb.438:
	s_or_b64 exec, exec, s[8:9]
	s_waitcnt lgkmcnt(0)
	s_barrier
	s_barrier
	s_and_saveexec_b64 s[8:9], s[56:57]
	s_cbranch_execz .LBB182_440
; %bb.439:
	v_lshlrev_b32_e32 v18, 4, v0
	s_movk_i32 s10, 0x1f0
	v_mad_u32_u24 v19, v0, s10, v18
	ds_read_b128 v[10:13], v19 offset:2048
	s_waitcnt lgkmcnt(0)
	ds_write_b128 v18, v[10:13] offset:64
	ds_read_b128 v[10:13], v19 offset:2064
	s_waitcnt lgkmcnt(0)
	ds_write_b128 v18, v[10:13] offset:576
	;; [unrolled: 3-line block ×4, first 2 shown]
.LBB182_440:
	s_or_b64 exec, exec, s[8:9]
	s_waitcnt lgkmcnt(0)
	s_barrier
	s_and_saveexec_b64 s[8:9], vcc
	s_cbranch_execz .LBB182_442
; %bb.441:
	s_mov_b32 s12, 0
	v_mov_b32_e32 v24, 0
	ds_read_b128 v[10:13], v24 offset:1568
	s_mov_b32 s15, s12
	s_mov_b32 s13, 0x3ff00000
	;; [unrolled: 1-line block ×3, first 2 shown]
	v_mov_b32_e32 v21, s15
	v_mov_b32_e32 v20, s14
	;; [unrolled: 1-line block ×4, first 2 shown]
	ds_write_b128 v24, v[18:21] offset:1056
	ds_write_b128 v24, v[18:21] offset:1584
	s_waitcnt lgkmcnt(2)
	ds_write_b128 v24, v[10:13] offset:1072
.LBB182_442:
	s_or_b64 exec, exec, s[8:9]
	v_mov_b32_e32 v10, 0
	v_mov_b32_e32 v12, 0
	;; [unrolled: 1-line block ×4, first 2 shown]
	s_waitcnt lgkmcnt(0)
	s_barrier
	buffer_wbinvl1_vol
	s_and_saveexec_b64 s[10:11], s[2:3]
	s_cbranch_execz .LBB182_446
; %bb.443:
	v_lshlrev_b32_e32 v18, 4, v14
	v_lshlrev_b32_e32 v10, 9, v15
	ds_read_b128 v[10:13], v10 offset:1056
	ds_read_b128 v[18:21], v18 offset:1024
	v_cmp_gt_u32_e64 s[8:9], 2, v17
	s_waitcnt lgkmcnt(0)
	v_mul_f64 v[24:25], v[12:13], v[20:21]
	v_mul_f64 v[20:21], v[10:11], v[20:21]
	v_fma_f64 v[10:11], v[10:11], v[18:19], -v[24:25]
	v_fma_f64 v[12:13], v[12:13], v[18:19], v[20:21]
	v_add_f64 v[10:11], v[10:11], 0
	v_add_f64 v[12:13], v[12:13], 0
	s_and_saveexec_b64 s[12:13], s[8:9]
	s_cbranch_execz .LBB182_445
; %bb.444:
	v_mov_b32_e32 v17, 0
	v_lshlrev_b32_e32 v21, 4, v0
	ds_read_b128 v[17:20], v17 offset:1584
	ds_read_b128 v[24:27], v21 offset:1536
	s_waitcnt lgkmcnt(0)
	v_mul_f64 v[28:29], v[19:20], v[26:27]
	v_mul_f64 v[26:27], v[17:18], v[26:27]
	v_fma_f64 v[17:18], v[17:18], v[24:25], -v[28:29]
	v_fma_f64 v[19:20], v[19:20], v[24:25], v[26:27]
	v_add_f64 v[10:11], v[10:11], v[17:18]
	v_add_f64 v[12:13], v[12:13], v[19:20]
.LBB182_445:
	s_or_b64 exec, exec, s[12:13]
.LBB182_446:
	s_or_b64 exec, exec, s[10:11]
	s_and_saveexec_b64 s[8:9], s[40:41]
; %bb.447:
	v_xor_b32_e32 v18, 0x80000000, v11
	v_xor_b32_e32 v20, 0x80000000, v13
	v_mov_b32_e32 v17, v10
	v_mov_b32_e32 v19, v12
	ds_write_b128 v16, v[17:20]
; %bb.448:
	s_or_b64 exec, exec, s[8:9]
	s_waitcnt lgkmcnt(0)
	s_barrier
	s_and_saveexec_b64 s[8:9], s[38:39]
	s_cbranch_execz .LBB182_450
; %bb.449:
	v_mov_b32_e32 v21, 0
	ds_read_b128 v[17:20], v16
	ds_read_b128 v[24:27], v21 offset:512
	s_waitcnt lgkmcnt(0)
	v_mul_f64 v[28:29], v[17:18], v[24:25]
	v_mul_f64 v[17:18], v[17:18], v[26:27]
	v_fma_f64 v[26:27], v[19:20], v[26:27], -v[28:29]
	v_fma_f64 v[17:18], v[19:20], v[24:25], v[17:18]
	v_add_f64 v[10:11], v[10:11], v[26:27]
	v_add_f64 v[12:13], v[12:13], -v[17:18]
.LBB182_450:
	s_or_b64 exec, exec, s[8:9]
	s_barrier
	s_and_saveexec_b64 s[8:9], s[38:39]
; %bb.451:
	v_xor_b32_e32 v18, 0x80000000, v11
	v_xor_b32_e32 v20, 0x80000000, v13
	v_mov_b32_e32 v17, v10
	v_mov_b32_e32 v19, v12
	ds_write_b128 v16, v[17:20]
; %bb.452:
	s_or_b64 exec, exec, s[8:9]
	s_waitcnt lgkmcnt(0)
	s_barrier
	s_barrier
	s_and_saveexec_b64 s[8:9], s[2:3]
; %bb.453:
	v_lshlrev_b32_e32 v14, 4, v14
	v_lshl_or_b32 v14, v15, 9, v14
	ds_write_b128 v14, v[10:13] offset:1024
; %bb.454:
	s_or_b64 exec, exec, s[8:9]
	s_waitcnt lgkmcnt(0)
	s_barrier
	s_barrier
	s_and_saveexec_b64 s[2:3], s[42:43]
	s_cbranch_execz .LBB182_456
; %bb.455:
	v_lshlrev_b32_e32 v14, 9, v0
	ds_read_b128 v[10:13], v14 offset:1024
	s_movk_i32 s8, 0xfe10
	v_mad_i32_i24 v15, v0, s8, v14
	s_waitcnt lgkmcnt(0)
	ds_write_b128 v15, v[10:13] offset:32
	ds_read_b128 v[10:13], v14 offset:1040
	s_waitcnt lgkmcnt(0)
	ds_write_b128 v15, v[10:13] offset:544
.LBB182_456:
	s_or_b64 exec, exec, s[2:3]
	s_waitcnt lgkmcnt(0)
	s_barrier
	s_and_saveexec_b64 s[2:3], vcc
	s_cbranch_execz .LBB182_458
; %bb.457:
	s_mov_b32 s8, 0
	v_mov_b32_e32 v18, 0
	ds_read_b128 v[10:13], v18 offset:512
	s_mov_b32 s11, s8
	s_mov_b32 s9, 0x3ff00000
	;; [unrolled: 1-line block ×3, first 2 shown]
	v_mov_b32_e32 v17, s11
	v_mov_b32_e32 v16, s10
	;; [unrolled: 1-line block ×4, first 2 shown]
	ds_write_b128 v18, v[14:17]
	ds_write_b128 v18, v[14:17] offset:528
	s_waitcnt lgkmcnt(2)
	ds_write_b128 v18, v[10:13] offset:16
.LBB182_458:
	s_or_b64 exec, exec, s[2:3]
.LBB182_459:
	s_lshl_b64 s[2:3], s[26:27], 4
	s_add_u32 s26, s36, s2
	v_cmp_le_i32_e32 vcc, s7, v0
	v_mov_b32_e32 v10, 0
	s_addc_u32 s27, s37, s3
	s_and_b64 s[16:17], vcc, s[30:31]
	v_mov_b32_e32 v11, 0
	v_cmp_eq_u32_e64 s[2:3], 0, v1
	s_xor_b64 s[8:9], s[16:17], -1
	v_mov_b32_e32 v13, v11
	s_and_b64 s[10:11], s[2:3], s[8:9]
	v_lshl_add_u32 v14, s6, 5, v0
	v_mov_b32_e32 v12, v10
	s_waitcnt lgkmcnt(0)
	s_barrier
	s_and_saveexec_b64 s[8:9], s[10:11]
	s_cbranch_execz .LBB182_461
; %bb.460:
	v_ashrrev_i32_e32 v12, 31, v14
	v_mul_lo_u32 v13, s25, v14
	v_mad_u64_u32 v[10:11], s[10:11], s24, v14, 0
	v_mul_lo_u32 v12, s24, v12
	v_add3_u32 v11, v11, v12, v13
	v_lshlrev_b64 v[10:11], 4, v[10:11]
	v_mov_b32_e32 v12, s27
	v_add_co_u32_e32 v10, vcc, s26, v10
	v_addc_co_u32_e32 v11, vcc, v12, v11, vcc
	flat_load_dwordx4 v[15:18], v[10:11]
	s_waitcnt vmcnt(0) lgkmcnt(0)
	v_mul_f64 v[10:11], s[20:21], v[15:16]
	v_mul_f64 v[12:13], s[20:21], v[17:18]
	v_fma_f64 v[10:11], s[22:23], v[17:18], -v[10:11]
	v_fma_f64 v[12:13], v[15:16], -s[22:23], -v[12:13]
.LBB182_461:
	s_or_b64 exec, exec, s[8:9]
	s_load_dwordx2 s[14:15], s[4:5], 0x58
	s_and_b32 s4, 0xffff, s94
	v_mad_u32_u24 v24, v1, s4, v0
	v_mov_b32_e32 v15, 0
	s_cmp_lt_i32 s6, 1
	v_cmp_eq_u32_e64 s[4:5], 0, v24
	s_cbranch_scc1 .LBB182_484
; %bb.462:
	v_mad_u64_u32 v[16:17], s[8:9], s34, v14, 0
	s_mov_b32 s22, 0
	v_cmp_gt_u32_e64 s[12:13], 32, v24
	v_mad_u64_u32 v[17:18], s[8:9], s35, v14, v[17:18]
	s_lshl_b64 s[8:9], s[28:29], 2
	s_waitcnt lgkmcnt(0)
	s_add_u32 s18, s14, s8
	v_lshlrev_b64 v[16:17], 4, v[16:17]
	s_addc_u32 s19, s15, s9
	v_mov_b32_e32 v18, 0x6000
	v_cmp_gt_i32_e64 s[8:9], s33, v14
	v_mov_b32_e32 v14, s93
	v_add_co_u32_e32 v27, vcc, s92, v16
	v_lshl_add_u32 v25, v24, 4, v18
	v_lshl_or_b32 v26, v1, 4, v18
	s_add_i32 s23, s6, -1
	v_addc_co_u32_e32 v28, vcc, v14, v17, vcc
	v_mov_b32_e32 v29, -1
	s_branch .LBB182_465
.LBB182_463:                            ;   in Loop: Header=BB182_465 Depth=1
	ds_read_b128 v[30:33], v26 offset:256
	s_waitcnt vmcnt(0) lgkmcnt(0)
	v_mul_f64 v[16:17], v[20:21], v[32:33]
	v_mul_f64 v[32:33], v[18:19], v[32:33]
	v_fma_f64 v[16:17], v[18:19], v[30:31], -v[16:17]
	v_fma_f64 v[18:19], v[20:21], v[30:31], v[32:33]
	v_add_f64 v[10:11], v[10:11], v[16:17]
	v_add_f64 v[12:13], v[12:13], v[18:19]
.LBB182_464:                            ;   in Loop: Header=BB182_465 Depth=1
	s_or_b64 exec, exec, s[20:21]
	s_add_i32 s22, s22, 1
	s_cmp_eq_u32 s22, s6
	s_cbranch_scc1 .LBB182_484
.LBB182_465:                            ; =>This Loop Header: Depth=1
                                        ;     Child Loop BB182_467 Depth 2
	v_cmp_gt_i32_e32 vcc, s22, v29
	s_and_b64 s[20:21], s[4:5], vcc
	s_and_saveexec_b64 s[10:11], s[20:21]
	s_cbranch_execz .LBB182_468
; %bb.466:                              ;   in Loop: Header=BB182_465 Depth=1
	global_load_dword v29, v15, s[18:19]
	s_waitcnt vmcnt(0)
	v_cmp_le_i32_e32 vcc, s22, v29
	s_cbranch_vccnz .LBB182_468
.LBB182_467:                            ;   Parent Loop BB182_465 Depth=1
                                        ; =>  This Inner Loop Header: Depth=2
	buffer_wbinvl1_vol
	global_load_dword v29, v15, s[18:19]
	s_waitcnt vmcnt(0)
	v_cmp_gt_i32_e32 vcc, s22, v29
	s_cbranch_vccnz .LBB182_467
.LBB182_468:                            ;   in Loop: Header=BB182_465 Depth=1
	s_or_b64 exec, exec, s[10:11]
	s_lshl_b32 s34, s22, 5
	buffer_wbinvl1_vol
	s_barrier
	s_and_saveexec_b64 s[10:11], s[12:13]
	s_cbranch_execz .LBB182_473
; %bb.469:                              ;   in Loop: Header=BB182_465 Depth=1
	v_or_b32_e32 v14, s34, v24
	v_cmp_le_i32_e32 vcc, s33, v14
	s_and_saveexec_b64 s[20:21], vcc
	s_xor_b64 s[20:21], exec, s[20:21]
; %bb.470:                              ;   in Loop: Header=BB182_465 Depth=1
	v_mov_b32_e32 v14, v15
	v_mov_b32_e32 v16, v15
	;; [unrolled: 1-line block ×3, first 2 shown]
	ds_write_b128 v25, v[14:17]
                                        ; implicit-def: $vgpr14
; %bb.471:                              ;   in Loop: Header=BB182_465 Depth=1
	s_andn2_saveexec_b64 s[20:21], s[20:21]
	s_cbranch_execz .LBB182_473
; %bb.472:                              ;   in Loop: Header=BB182_465 Depth=1
	v_mad_u64_u32 v[16:17], s[20:21], s24, v14, 0
	v_mad_u64_u32 v[17:18], s[20:21], s25, v14, v[17:18]
	v_mov_b32_e32 v14, s27
	v_lshlrev_b64 v[16:17], 4, v[16:17]
	v_add_co_u32_e32 v16, vcc, s26, v16
	v_addc_co_u32_e32 v17, vcc, v14, v17, vcc
	flat_load_dwordx4 v[16:19], v[16:17]
	s_waitcnt vmcnt(0) lgkmcnt(0)
	ds_write2_b64 v25, v[16:17], v[18:19] offset1:1
.LBB182_473:                            ;   in Loop: Header=BB182_465 Depth=1
	s_or_b64 exec, exec, s[10:11]
	v_add_u32_e32 v14, s34, v1
	v_lshlrev_b64 v[16:17], 4, v[14:15]
	s_cmp_lg_u32 s22, s23
	v_add_co_u32_e32 v16, vcc, v27, v16
	s_cselect_b64 s[10:11], -1, 0
	v_addc_co_u32_e32 v17, vcc, v28, v17, vcc
	v_cmp_gt_i32_e32 vcc, s33, v14
	v_cndmask_b32_e64 v18, 0, 1, s[10:11]
	s_and_b64 s[34:35], vcc, s[8:9]
	v_cmp_ne_u32_e64 s[10:11], 1, v18
	s_waitcnt lgkmcnt(0)
	s_barrier
	s_and_saveexec_b64 s[20:21], s[34:35]
	s_cbranch_execz .LBB182_479
; %bb.474:                              ;   in Loop: Header=BB182_465 Depth=1
	v_mov_b32_e32 v19, v7
	s_and_b64 vcc, exec, s[10:11]
	v_mov_b32_e32 v18, v6
	s_cbranch_vccnz .LBB182_476
; %bb.475:                              ;   in Loop: Header=BB182_465 Depth=1
	flat_load_dwordx2 v[18:19], v[16:17]
.LBB182_476:                            ;   in Loop: Header=BB182_465 Depth=1
	v_mov_b32_e32 v21, v9
	s_and_b64 vcc, exec, s[10:11]
	v_mov_b32_e32 v20, v8
	s_cbranch_vccnz .LBB182_478
; %bb.477:                              ;   in Loop: Header=BB182_465 Depth=1
	flat_load_dwordx2 v[20:21], v[16:17] offset:8
.LBB182_478:                            ;   in Loop: Header=BB182_465 Depth=1
	ds_read_b128 v[30:33], v26
	s_waitcnt vmcnt(0) lgkmcnt(0)
	v_mul_f64 v[34:35], v[20:21], v[32:33]
	v_mul_f64 v[32:33], v[18:19], v[32:33]
	v_fma_f64 v[18:19], v[18:19], v[30:31], -v[34:35]
	v_fma_f64 v[20:21], v[20:21], v[30:31], v[32:33]
	v_add_f64 v[10:11], v[10:11], v[18:19]
	v_add_f64 v[12:13], v[12:13], v[20:21]
.LBB182_479:                            ;   in Loop: Header=BB182_465 Depth=1
	s_or_b64 exec, exec, s[20:21]
	v_add_u32_e32 v14, 16, v14
	v_cmp_gt_i32_e32 vcc, s33, v14
	s_and_b64 s[34:35], vcc, s[8:9]
	s_and_saveexec_b64 s[20:21], s[34:35]
	s_cbranch_execz .LBB182_464
; %bb.480:                              ;   in Loop: Header=BB182_465 Depth=1
	v_mov_b32_e32 v19, v3
	s_and_b64 vcc, exec, s[10:11]
	v_mov_b32_e32 v18, v2
	s_cbranch_vccnz .LBB182_482
; %bb.481:                              ;   in Loop: Header=BB182_465 Depth=1
	flat_load_dwordx2 v[18:19], v[16:17] offset:256
.LBB182_482:                            ;   in Loop: Header=BB182_465 Depth=1
	v_mov_b32_e32 v21, v5
	s_and_b64 vcc, exec, s[10:11]
	v_mov_b32_e32 v20, v4
	s_cbranch_vccnz .LBB182_463
; %bb.483:                              ;   in Loop: Header=BB182_465 Depth=1
	flat_load_dwordx2 v[20:21], v[16:17] offset:264
	s_branch .LBB182_463
.LBB182_484:
	s_xor_b64 s[4:5], s[30:31], -1
	v_lshlrev_b32_e32 v6, 4, v23
	ds_write_b128 v6, v[10:13] offset:16384
	s_waitcnt lgkmcnt(0)
	s_barrier
	s_and_saveexec_b64 s[8:9], s[2:3]
	s_cbranch_execz .LBB182_486
; %bb.485:
	v_lshlrev_b32_e32 v18, 4, v0
	ds_read_b128 v[2:5], v18 offset:16896
	ds_read_b128 v[14:17], v18 offset:17408
	s_waitcnt lgkmcnt(1)
	v_add_f64 v[2:3], v[10:11], v[2:3]
	v_add_f64 v[4:5], v[12:13], v[4:5]
	s_waitcnt lgkmcnt(0)
	v_add_f64 v[11:12], v[2:3], v[14:15]
	v_add_f64 v[13:14], v[4:5], v[16:17]
	ds_read_b128 v[2:5], v18 offset:17920
	ds_read_b128 v[7:10], v18 offset:18432
	s_waitcnt lgkmcnt(1)
	v_add_f64 v[2:3], v[11:12], v[2:3]
	v_add_f64 v[4:5], v[13:14], v[4:5]
	s_waitcnt lgkmcnt(0)
	v_add_f64 v[11:12], v[2:3], v[7:8]
	v_add_f64 v[13:14], v[4:5], v[9:10]
	;; [unrolled: 8-line block ×7, first 2 shown]
	ds_read_b128 v[2:5], v18 offset:24064
	s_waitcnt lgkmcnt(0)
	v_add_f64 v[2:3], v[7:8], v[2:3]
	v_add_f64 v[4:5], v[9:10], v[4:5]
	v_xor_b32_e32 v3, 0x80000000, v3
	v_xor_b32_e32 v5, 0x80000000, v5
	v_cndmask_b32_e64 v10, v2, 0, s[16:17]
	v_cndmask_b32_e64 v11, v3, 0, s[16:17]
	;; [unrolled: 1-line block ×4, first 2 shown]
.LBB182_486:
	s_or_b64 exec, exec, s[8:9]
	s_and_b64 vcc, exec, s[0:1]
	s_cbranch_vccnz .LBB182_495
; %bb.487:
	v_mov_b32_e32 v2, 0x6000
	v_lshl_or_b32 v7, v1, 4, v2
	s_and_saveexec_b64 s[0:1], s[2:3]
; %bb.488:
	v_lshl_add_u32 v2, v0, 4, v7
	ds_write_b128 v2, v[10:13]
; %bb.489:
	s_or_b64 exec, exec, s[0:1]
	v_mov_b32_e32 v2, 0
	v_mov_b32_e32 v4, 0
	;; [unrolled: 1-line block ×4, first 2 shown]
	v_cmp_le_u32_e32 vcc, v1, v0
	s_waitcnt lgkmcnt(0)
	s_barrier
	s_and_saveexec_b64 s[0:1], vcc
	s_cbranch_execz .LBB182_491
; %bb.490:
	ds_read_b128 v[2:5], v7
	ds_read_b128 v[14:17], v6
	s_waitcnt lgkmcnt(0)
	v_mul_f64 v[8:9], v[4:5], v[16:17]
	v_mul_f64 v[16:17], v[2:3], v[16:17]
	v_fma_f64 v[2:3], v[2:3], v[14:15], -v[8:9]
	v_fma_f64 v[4:5], v[4:5], v[14:15], v[16:17]
	v_add_f64 v[2:3], v[2:3], 0
	v_add_f64 v[4:5], v[4:5], 0
.LBB182_491:
	s_or_b64 exec, exec, s[0:1]
	v_add_u32_e32 v1, 16, v1
	v_add_u32_e32 v8, 0x4000, v6
	v_cmp_ge_u32_e32 vcc, v0, v1
	s_and_saveexec_b64 s[0:1], vcc
	s_cbranch_execz .LBB182_493
; %bb.492:
	ds_read_b128 v[14:17], v7 offset:256
	ds_read_b128 v[18:21], v6 offset:8192
	s_waitcnt lgkmcnt(0)
	v_mul_f64 v[6:7], v[16:17], v[20:21]
	v_mul_f64 v[20:21], v[14:15], v[20:21]
	v_fma_f64 v[6:7], v[14:15], v[18:19], -v[6:7]
	v_fma_f64 v[14:15], v[16:17], v[18:19], v[20:21]
	v_add_f64 v[2:3], v[2:3], v[6:7]
	v_add_f64 v[4:5], v[4:5], v[14:15]
.LBB182_493:
	s_or_b64 exec, exec, s[0:1]
	s_mov_b64 s[8:9], 0
	s_mov_b64 s[0:1], 0
	ds_write_b128 v8, v[2:5]
	s_waitcnt lgkmcnt(0)
	s_barrier
                                        ; implicit-def: $vgpr8_vgpr9
                                        ; implicit-def: $vgpr14_vgpr15
                                        ; implicit-def: $vgpr6_vgpr7
	s_and_saveexec_b64 s[10:11], s[2:3]
	s_cbranch_execz .LBB182_508
; %bb.494:
	v_lshlrev_b32_e32 v18, 4, v0
	ds_read_b128 v[6:9], v18 offset:16896
	ds_read_b128 v[14:17], v18 offset:17408
	s_mov_b64 s[0:1], exec
	s_waitcnt lgkmcnt(1)
	v_add_f64 v[1:2], v[2:3], v[6:7]
	v_add_f64 v[3:4], v[4:5], v[8:9]
	s_waitcnt lgkmcnt(0)
	v_add_f64 v[14:15], v[1:2], v[14:15]
	v_add_f64 v[16:17], v[3:4], v[16:17]
	ds_read_b128 v[1:4], v18 offset:17920
	ds_read_b128 v[5:8], v18 offset:18432
	s_waitcnt lgkmcnt(1)
	v_add_f64 v[1:2], v[14:15], v[1:2]
	v_add_f64 v[3:4], v[16:17], v[3:4]
	s_waitcnt lgkmcnt(0)
	v_add_f64 v[14:15], v[1:2], v[5:6]
	v_add_f64 v[16:17], v[3:4], v[7:8]
	ds_read_b128 v[1:4], v18 offset:18944
	ds_read_b128 v[5:8], v18 offset:19456
	;; [unrolled: 8-line block ×6, first 2 shown]
	s_waitcnt lgkmcnt(1)
	v_add_f64 v[1:2], v[14:15], v[1:2]
	v_add_f64 v[3:4], v[16:17], v[3:4]
	s_waitcnt lgkmcnt(0)
	v_add_f64 v[14:15], v[1:2], v[5:6]
	v_add_f64 v[8:9], v[3:4], v[7:8]
	ds_read_b128 v[1:4], v18 offset:24064
	v_lshl_add_u32 v5, s6, 5, v24
	v_mad_u64_u32 v[6:7], s[12:13], s24, v5, 0
	s_waitcnt lgkmcnt(0)
	v_add_f64 v[14:15], v[14:15], v[1:2]
	v_add_f64 v[8:9], v[8:9], v[3:4]
	v_mov_b32_e32 v1, v7
	v_mad_u64_u32 v[1:2], s[12:13], s25, v5, v[1:2]
	v_mov_b32_e32 v7, v1
	s_or_b64 exec, exec, s[10:11]
	s_and_b64 vcc, exec, s[8:9]
	s_cbranch_vccnz .LBB182_496
	s_branch .LBB182_509
.LBB182_495:
	s_mov_b64 s[0:1], 0
                                        ; implicit-def: $vgpr8_vgpr9
                                        ; implicit-def: $vgpr14_vgpr15
                                        ; implicit-def: $vgpr6_vgpr7
	s_cbranch_execz .LBB182_509
.LBB182_496:
	s_mov_b32 s10, 0
	v_mov_b32_e32 v1, 0
	v_mov_b32_e32 v2, v0
	s_branch .LBB182_498
.LBB182_497:                            ;   in Loop: Header=BB182_498 Depth=1
	s_or_b64 exec, exec, s[8:9]
	s_add_i32 s10, s10, 2
	v_add_u32_e32 v22, 0x400, v22
	s_cmp_lg_u32 s10, 32
	v_add_u32_e32 v2, -2, v2
	s_barrier
	s_cbranch_scc0 .LBB182_506
.LBB182_498:                            ; =>This Inner Loop Header: Depth=1
	v_cmp_eq_u32_e32 vcc, 0, v2
	s_and_b64 s[12:13], s[2:3], vcc
	s_and_saveexec_b64 s[8:9], s[12:13]
; %bb.499:                              ;   in Loop: Header=BB182_498 Depth=1
	ds_write_b128 v1, v[10:13] offset:25088
; %bb.500:                              ;   in Loop: Header=BB182_498 Depth=1
	s_or_b64 exec, exec, s[8:9]
	v_cmp_lt_u32_e32 vcc, s10, v0
	s_and_b64 s[12:13], s[2:3], vcc
	s_waitcnt lgkmcnt(0)
	s_barrier
	s_and_saveexec_b64 s[8:9], s[12:13]
	s_cbranch_execz .LBB182_502
; %bb.501:                              ;   in Loop: Header=BB182_498 Depth=1
	ds_read_b128 v[3:6], v1 offset:25088
	ds_read_b128 v[14:17], v22
	s_waitcnt lgkmcnt(0)
	v_mul_f64 v[7:8], v[5:6], v[16:17]
	v_mul_f64 v[16:17], v[3:4], v[16:17]
	v_fma_f64 v[3:4], v[3:4], v[14:15], -v[7:8]
	v_fma_f64 v[5:6], v[5:6], v[14:15], v[16:17]
	v_add_f64 v[10:11], v[10:11], v[3:4]
	v_add_f64 v[12:13], v[12:13], v[5:6]
.LBB182_502:                            ;   in Loop: Header=BB182_498 Depth=1
	s_or_b64 exec, exec, s[8:9]
	s_or_b32 s11, s10, 1
	v_cmp_eq_u32_e32 vcc, s11, v0
	s_and_b64 s[12:13], s[2:3], vcc
	s_barrier
	s_and_saveexec_b64 s[8:9], s[12:13]
; %bb.503:                              ;   in Loop: Header=BB182_498 Depth=1
	ds_write_b128 v1, v[10:13] offset:25088
; %bb.504:                              ;   in Loop: Header=BB182_498 Depth=1
	s_or_b64 exec, exec, s[8:9]
	v_cmp_lt_u32_e32 vcc, s11, v0
	s_and_b64 s[12:13], s[2:3], vcc
	s_waitcnt lgkmcnt(0)
	s_barrier
	s_and_saveexec_b64 s[8:9], s[12:13]
	s_cbranch_execz .LBB182_497
; %bb.505:                              ;   in Loop: Header=BB182_498 Depth=1
	ds_read_b128 v[3:6], v1 offset:25088
	ds_read_b128 v[14:17], v22 offset:512
	s_waitcnt lgkmcnt(0)
	v_mul_f64 v[7:8], v[5:6], v[16:17]
	v_mul_f64 v[16:17], v[3:4], v[16:17]
	v_fma_f64 v[3:4], v[3:4], v[14:15], -v[7:8]
	v_fma_f64 v[5:6], v[5:6], v[14:15], v[16:17]
	v_add_f64 v[10:11], v[10:11], v[3:4]
	v_add_f64 v[12:13], v[12:13], v[5:6]
	s_branch .LBB182_497
.LBB182_506:
	s_and_b64 vcc, exec, s[4:5]
	s_cbranch_vccz .LBB182_510
; %bb.507:
	s_and_b64 s[4:5], s[2:3], exec
	s_cbranch_execz .LBB182_511
	s_branch .LBB182_512
.LBB182_508:
	s_or_b64 exec, exec, s[10:11]
	s_and_b64 vcc, exec, s[8:9]
	s_cbranch_vccnz .LBB182_496
.LBB182_509:
	v_mov_b32_e32 v13, v9
	v_mov_b32_e32 v10, v14
	;; [unrolled: 1-line block ×4, first 2 shown]
	s_and_saveexec_b64 s[2:3], s[0:1]
	s_cbranch_execnz .LBB182_515
	s_branch .LBB182_516
.LBB182_510:
	s_mov_b64 s[4:5], 0
.LBB182_511:
	v_cmp_gt_i32_e32 vcc, s7, v0
	s_and_b64 s[2:3], s[2:3], vcc
	s_andn2_b64 s[4:5], s[4:5], exec
	s_and_b64 s[2:3], s[2:3], exec
	s_or_b64 s[4:5], s[4:5], s[2:3]
.LBB182_512:
                                        ; implicit-def: $vgpr6_vgpr7
	s_and_saveexec_b64 s[2:3], s[4:5]
	s_cbranch_execz .LBB182_514
; %bb.513:
	s_lshl_b32 s4, s6, 5
	s_ashr_i32 s5, s4, 31
	v_mov_b32_e32 v0, s5
	v_add_co_u32_e32 v1, vcc, s4, v24
	v_addc_co_u32_e32 v0, vcc, 0, v0, vcc
	v_mul_lo_u32 v0, v0, s24
	v_mul_lo_u32 v2, v1, s25
	v_mad_u64_u32 v[6:7], s[4:5], v1, s24, 0
	s_or_b64 s[0:1], s[0:1], exec
	v_add3_u32 v7, v7, v2, v0
.LBB182_514:
	s_or_b64 exec, exec, s[2:3]
	s_and_saveexec_b64 s[2:3], s[0:1]
	s_cbranch_execz .LBB182_516
.LBB182_515:
	v_lshlrev_b64 v[0:1], 4, v[6:7]
	v_mov_b32_e32 v2, s27
	v_add_co_u32_e32 v0, vcc, s26, v0
	v_addc_co_u32_e32 v1, vcc, v2, v1, vcc
	flat_store_dwordx4 v[0:1], v[10:13]
.LBB182_516:
	s_or_b64 exec, exec, s[2:3]
	v_cmp_eq_u32_e32 vcc, 0, v24
	s_waitcnt vmcnt(0) lgkmcnt(0)
	buffer_wbinvl1_vol
	s_barrier
	s_and_saveexec_b64 s[0:1], vcc
	s_cbranch_execz .LBB182_518
; %bb.517:
	s_lshl_b64 s[2:3], s[28:29], 2
	s_add_u32 s2, s14, s2
	s_addc_u32 s3, s15, s3
	v_mov_b32_e32 v0, 0
	global_load_dword v1, v0, s[2:3]
	s_waitcnt vmcnt(0)
	v_add_u32_e32 v1, 1, v1
	global_store_dword v0, v1, s[2:3]
.LBB182_518:
	s_or_b64 exec, exec, s[0:1]
	s_waitcnt vmcnt(0)
	buffer_wbinvl1_vol
	s_endpgm
.LBB182_519:
	ds_read_b128 v[25:28], v24 offset:14800
	ds_read_b128 v[29:32], v21 offset:15232
	s_waitcnt lgkmcnt(0)
	v_mul_f64 v[33:34], v[27:28], v[31:32]
	v_mul_f64 v[31:32], v[25:26], v[31:32]
	v_fma_f64 v[25:26], v[25:26], v[29:30], -v[33:34]
	v_fma_f64 v[27:28], v[27:28], v[29:30], v[31:32]
	v_add_f64 v[10:11], v[10:11], v[25:26]
	v_add_f64 v[12:13], v[12:13], v[27:28]
	s_or_b64 exec, exec, s[18:19]
	v_cmp_gt_u32_e64 s[12:13], 8, v17
	s_and_saveexec_b64 s[18:19], s[12:13]
	s_cbranch_execz .LBB182_57
.LBB182_520:
	ds_read_b128 v[24:27], v24 offset:14816
	ds_read_b128 v[28:31], v21 offset:15744
	s_waitcnt lgkmcnt(0)
	v_mul_f64 v[32:33], v[26:27], v[30:31]
	v_mul_f64 v[30:31], v[24:25], v[30:31]
	v_fma_f64 v[24:25], v[24:25], v[28:29], -v[32:33]
	v_fma_f64 v[26:27], v[26:27], v[28:29], v[30:31]
	v_add_f64 v[10:11], v[10:11], v[24:25]
	v_add_f64 v[12:13], v[12:13], v[26:27]
	s_or_b64 exec, exec, s[18:19]
	v_cmp_gt_u32_e64 s[12:13], 4, v17
	s_and_saveexec_b64 s[18:19], s[12:13]
	s_cbranch_execnz .LBB182_58
	s_branch .LBB182_59
.LBB182_521:
	ds_read_b128 v[28:31], v27 offset:12688
	ds_read_b128 v[32:35], v26 offset:13056
	s_waitcnt lgkmcnt(0)
	v_mul_f64 v[36:37], v[30:31], v[34:35]
	v_mul_f64 v[34:35], v[28:29], v[34:35]
	v_fma_f64 v[28:29], v[28:29], v[32:33], -v[36:37]
	v_fma_f64 v[30:31], v[30:31], v[32:33], v[34:35]
	v_add_f64 v[10:11], v[10:11], v[28:29]
	v_add_f64 v[12:13], v[12:13], v[30:31]
	s_or_b64 exec, exec, s[58:59]
	v_cmp_gt_u32_e64 s[14:15], 48, v17
	s_and_saveexec_b64 s[58:59], s[14:15]
	s_cbranch_execz .LBB182_99
.LBB182_522:
	ds_read_b128 v[28:31], v27 offset:12704
	ds_read_b128 v[32:35], v26 offset:13568
	s_waitcnt lgkmcnt(0)
	v_mul_f64 v[36:37], v[30:31], v[34:35]
	v_mul_f64 v[34:35], v[28:29], v[34:35]
	v_fma_f64 v[28:29], v[28:29], v[32:33], -v[36:37]
	v_fma_f64 v[30:31], v[30:31], v[32:33], v[34:35]
	v_add_f64 v[10:11], v[10:11], v[28:29]
	v_add_f64 v[12:13], v[12:13], v[30:31]
	s_or_b64 exec, exec, s[58:59]
	v_cmp_gt_u32_e64 s[14:15], 40, v17
	s_and_saveexec_b64 s[58:59], s[14:15]
	s_cbranch_execz .LBB182_100
.LBB182_523:
	ds_read_b128 v[28:31], v27 offset:12720
	ds_read_b128 v[32:35], v26 offset:14080
	s_waitcnt lgkmcnt(0)
	v_mul_f64 v[36:37], v[30:31], v[34:35]
	v_mul_f64 v[34:35], v[28:29], v[34:35]
	v_fma_f64 v[28:29], v[28:29], v[32:33], -v[36:37]
	v_fma_f64 v[30:31], v[30:31], v[32:33], v[34:35]
	v_add_f64 v[10:11], v[10:11], v[28:29]
	v_add_f64 v[12:13], v[12:13], v[30:31]
	s_or_b64 exec, exec, s[58:59]
	v_cmp_gt_u32_e64 s[14:15], 32, v17
	s_and_saveexec_b64 s[58:59], s[14:15]
	s_cbranch_execz .LBB182_101
.LBB182_524:
	ds_read_b128 v[28:31], v27 offset:12736
	ds_read_b128 v[32:35], v26 offset:14592
	s_waitcnt lgkmcnt(0)
	v_mul_f64 v[36:37], v[30:31], v[34:35]
	v_mul_f64 v[34:35], v[28:29], v[34:35]
	v_fma_f64 v[28:29], v[28:29], v[32:33], -v[36:37]
	v_fma_f64 v[30:31], v[30:31], v[32:33], v[34:35]
	v_add_f64 v[10:11], v[10:11], v[28:29]
	v_add_f64 v[12:13], v[12:13], v[30:31]
	s_or_b64 exec, exec, s[58:59]
	v_cmp_gt_u32_e64 s[14:15], 24, v17
	s_and_saveexec_b64 s[58:59], s[14:15]
	s_cbranch_execz .LBB182_102
.LBB182_525:
	ds_read_b128 v[28:31], v27 offset:12752
	ds_read_b128 v[32:35], v26 offset:15104
	s_waitcnt lgkmcnt(0)
	v_mul_f64 v[36:37], v[30:31], v[34:35]
	v_mul_f64 v[34:35], v[28:29], v[34:35]
	v_fma_f64 v[28:29], v[28:29], v[32:33], -v[36:37]
	v_fma_f64 v[30:31], v[30:31], v[32:33], v[34:35]
	v_add_f64 v[10:11], v[10:11], v[28:29]
	v_add_f64 v[12:13], v[12:13], v[30:31]
	s_or_b64 exec, exec, s[58:59]
	s_and_saveexec_b64 s[14:15], s[16:17]
	s_cbranch_execz .LBB182_103
.LBB182_526:
	ds_read_b128 v[27:30], v27 offset:12768
	ds_read_b128 v[31:34], v26 offset:15616
	s_waitcnt lgkmcnt(0)
	v_mul_f64 v[35:36], v[29:30], v[33:34]
	v_mul_f64 v[33:34], v[27:28], v[33:34]
	v_fma_f64 v[26:27], v[27:28], v[31:32], -v[35:36]
	v_fma_f64 v[28:29], v[29:30], v[31:32], v[33:34]
	v_add_f64 v[10:11], v[10:11], v[26:27]
	v_add_f64 v[12:13], v[12:13], v[28:29]
	s_or_b64 exec, exec, s[14:15]
	v_cmp_gt_u32_e64 s[14:15], 8, v17
	s_and_saveexec_b64 s[58:59], s[14:15]
	s_cbranch_execnz .LBB182_104
	s_branch .LBB182_105
.LBB182_527:
	ds_read_b128 v[28:31], v27 offset:10576
	ds_read_b128 v[32:35], v26 offset:11008
	s_waitcnt lgkmcnt(0)
	v_mul_f64 v[36:37], v[30:31], v[34:35]
	v_mul_f64 v[34:35], v[28:29], v[34:35]
	v_fma_f64 v[28:29], v[28:29], v[32:33], -v[36:37]
	v_fma_f64 v[30:31], v[30:31], v[32:33], v[34:35]
	v_add_f64 v[10:11], v[10:11], v[28:29]
	v_add_f64 v[12:13], v[12:13], v[30:31]
	s_or_b64 exec, exec, s[18:19]
	v_cmp_gt_u32_e64 s[12:13], 8, v17
	s_and_saveexec_b64 s[18:19], s[12:13]
	s_cbranch_execz .LBB182_161
.LBB182_528:
	ds_read_b128 v[27:30], v27 offset:10592
	ds_read_b128 v[31:34], v26 offset:11520
	s_waitcnt lgkmcnt(0)
	v_mul_f64 v[35:36], v[29:30], v[33:34]
	v_mul_f64 v[33:34], v[27:28], v[33:34]
	v_fma_f64 v[26:27], v[27:28], v[31:32], -v[35:36]
	v_fma_f64 v[28:29], v[29:30], v[31:32], v[33:34]
	v_add_f64 v[10:11], v[10:11], v[26:27]
	v_add_f64 v[12:13], v[12:13], v[28:29]
	s_or_b64 exec, exec, s[18:19]
	v_cmp_gt_u32_e64 s[12:13], 4, v17
	s_and_saveexec_b64 s[18:19], s[12:13]
	s_cbranch_execnz .LBB182_162
	s_branch .LBB182_163
.LBB182_529:
	ds_read_b128 v[31:34], v30 offset:8624
	ds_read_b128 v[35:38], v29 offset:13824
	s_waitcnt lgkmcnt(0)
	v_mul_f64 v[39:40], v[33:34], v[37:38]
	v_mul_f64 v[37:38], v[31:32], v[37:38]
	v_fma_f64 v[31:32], v[31:32], v[35:36], -v[39:40]
	v_fma_f64 v[33:34], v[33:34], v[35:36], v[37:38]
	v_add_f64 v[10:11], v[10:11], v[31:32]
	v_add_f64 v[12:13], v[12:13], v[33:34]
	s_or_b64 exec, exec, s[90:91]
	s_and_saveexec_b64 s[18:19], s[8:9]
	s_cbranch_execz .LBB182_223
.LBB182_530:
	ds_read_b128 v[31:34], v30 offset:8640
	ds_read_b128 v[35:38], v29 offset:14336
	s_waitcnt lgkmcnt(0)
	v_mul_f64 v[39:40], v[33:34], v[37:38]
	v_mul_f64 v[37:38], v[31:32], v[37:38]
	v_fma_f64 v[31:32], v[31:32], v[35:36], -v[39:40]
	v_fma_f64 v[33:34], v[33:34], v[35:36], v[37:38]
	v_add_f64 v[10:11], v[10:11], v[31:32]
	v_add_f64 v[12:13], v[12:13], v[33:34]
	s_or_b64 exec, exec, s[18:19]
	v_cmp_gt_u32_e64 s[18:19], 48, v17
	s_and_saveexec_b64 s[90:91], s[18:19]
	s_cbranch_execz .LBB182_224
.LBB182_531:
	ds_read_b128 v[31:34], v30 offset:8656
	ds_read_b128 v[35:38], v29 offset:14848
	s_waitcnt lgkmcnt(0)
	v_mul_f64 v[39:40], v[33:34], v[37:38]
	v_mul_f64 v[37:38], v[31:32], v[37:38]
	v_fma_f64 v[31:32], v[31:32], v[35:36], -v[39:40]
	v_fma_f64 v[33:34], v[33:34], v[35:36], v[37:38]
	v_add_f64 v[10:11], v[10:11], v[31:32]
	v_add_f64 v[12:13], v[12:13], v[33:34]
	s_or_b64 exec, exec, s[90:91]
	v_cmp_gt_u32_e64 s[18:19], 32, v17
	s_and_saveexec_b64 s[90:91], s[18:19]
	s_cbranch_execz .LBB182_225
.LBB182_532:
	ds_read_b128 v[30:33], v30 offset:8672
	ds_read_b128 v[34:37], v29 offset:15360
	s_waitcnt lgkmcnt(0)
	v_mul_f64 v[38:39], v[32:33], v[36:37]
	v_mul_f64 v[36:37], v[30:31], v[36:37]
	v_fma_f64 v[29:30], v[30:31], v[34:35], -v[38:39]
	v_fma_f64 v[31:32], v[32:33], v[34:35], v[36:37]
	v_add_f64 v[10:11], v[10:11], v[29:30]
	v_add_f64 v[12:13], v[12:13], v[31:32]
	s_or_b64 exec, exec, s[90:91]
	v_cmp_gt_u32_e64 s[18:19], 16, v17
	s_and_saveexec_b64 s[90:91], s[18:19]
	s_cbranch_execnz .LBB182_226
	s_branch .LBB182_227
.LBB182_533:
	ds_read_b128 v[28:31], v27 offset:6352
	ds_read_b128 v[32:35], v26 offset:6784
	s_waitcnt lgkmcnt(0)
	v_mul_f64 v[36:37], v[30:31], v[34:35]
	v_mul_f64 v[34:35], v[28:29], v[34:35]
	v_fma_f64 v[28:29], v[28:29], v[32:33], -v[36:37]
	v_fma_f64 v[30:31], v[30:31], v[32:33], v[34:35]
	v_add_f64 v[10:11], v[10:11], v[28:29]
	v_add_f64 v[12:13], v[12:13], v[30:31]
	s_or_b64 exec, exec, s[14:15]
	v_cmp_gt_u32_e64 s[10:11], 8, v17
	s_and_saveexec_b64 s[14:15], s[10:11]
	s_cbranch_execz .LBB182_315
.LBB182_534:
	ds_read_b128 v[27:30], v27 offset:6368
	ds_read_b128 v[31:34], v26 offset:7296
	s_waitcnt lgkmcnt(0)
	v_mul_f64 v[35:36], v[29:30], v[33:34]
	v_mul_f64 v[33:34], v[27:28], v[33:34]
	v_fma_f64 v[26:27], v[27:28], v[31:32], -v[35:36]
	v_fma_f64 v[28:29], v[29:30], v[31:32], v[33:34]
	v_add_f64 v[10:11], v[10:11], v[26:27]
	v_add_f64 v[12:13], v[12:13], v[28:29]
	s_or_b64 exec, exec, s[14:15]
	v_cmp_gt_u32_e64 s[10:11], 4, v17
	s_and_saveexec_b64 s[14:15], s[10:11]
	s_cbranch_execnz .LBB182_316
	s_branch .LBB182_317
.LBB182_535:
	ds_read_b128 v[28:31], v27 offset:4240
	ds_read_b128 v[32:35], v26 offset:4608
	s_waitcnt lgkmcnt(0)
	v_mul_f64 v[36:37], v[30:31], v[34:35]
	v_mul_f64 v[34:35], v[28:29], v[34:35]
	v_fma_f64 v[28:29], v[28:29], v[32:33], -v[36:37]
	v_fma_f64 v[30:31], v[30:31], v[32:33], v[34:35]
	v_add_f64 v[10:11], v[10:11], v[28:29]
	v_add_f64 v[12:13], v[12:13], v[30:31]
	s_or_b64 exec, exec, s[14:15]
	v_cmp_gt_u32_e64 s[10:11], 48, v17
	s_and_saveexec_b64 s[14:15], s[10:11]
	s_cbranch_execz .LBB182_357
.LBB182_536:
	ds_read_b128 v[28:31], v27 offset:4256
	ds_read_b128 v[32:35], v26 offset:5120
	s_waitcnt lgkmcnt(0)
	v_mul_f64 v[36:37], v[30:31], v[34:35]
	v_mul_f64 v[34:35], v[28:29], v[34:35]
	v_fma_f64 v[28:29], v[28:29], v[32:33], -v[36:37]
	v_fma_f64 v[30:31], v[30:31], v[32:33], v[34:35]
	v_add_f64 v[10:11], v[10:11], v[28:29]
	v_add_f64 v[12:13], v[12:13], v[30:31]
	s_or_b64 exec, exec, s[14:15]
	v_cmp_gt_u32_e64 s[10:11], 40, v17
	s_and_saveexec_b64 s[14:15], s[10:11]
	s_cbranch_execz .LBB182_358
.LBB182_537:
	ds_read_b128 v[28:31], v27 offset:4272
	ds_read_b128 v[32:35], v26 offset:5632
	s_waitcnt lgkmcnt(0)
	v_mul_f64 v[36:37], v[30:31], v[34:35]
	v_mul_f64 v[34:35], v[28:29], v[34:35]
	v_fma_f64 v[28:29], v[28:29], v[32:33], -v[36:37]
	v_fma_f64 v[30:31], v[30:31], v[32:33], v[34:35]
	v_add_f64 v[10:11], v[10:11], v[28:29]
	v_add_f64 v[12:13], v[12:13], v[30:31]
	s_or_b64 exec, exec, s[14:15]
	v_cmp_gt_u32_e64 s[10:11], 32, v17
	s_and_saveexec_b64 s[14:15], s[10:11]
	s_cbranch_execz .LBB182_359
.LBB182_538:
	ds_read_b128 v[28:31], v27 offset:4288
	ds_read_b128 v[32:35], v26 offset:6144
	s_waitcnt lgkmcnt(0)
	v_mul_f64 v[36:37], v[30:31], v[34:35]
	v_mul_f64 v[34:35], v[28:29], v[34:35]
	v_fma_f64 v[28:29], v[28:29], v[32:33], -v[36:37]
	v_fma_f64 v[30:31], v[30:31], v[32:33], v[34:35]
	v_add_f64 v[10:11], v[10:11], v[28:29]
	v_add_f64 v[12:13], v[12:13], v[30:31]
	s_or_b64 exec, exec, s[14:15]
	v_cmp_gt_u32_e64 s[10:11], 24, v17
	s_and_saveexec_b64 s[14:15], s[10:11]
	s_cbranch_execz .LBB182_360
.LBB182_539:
	ds_read_b128 v[28:31], v27 offset:4304
	ds_read_b128 v[32:35], v26 offset:6656
	s_waitcnt lgkmcnt(0)
	v_mul_f64 v[36:37], v[30:31], v[34:35]
	v_mul_f64 v[34:35], v[28:29], v[34:35]
	v_fma_f64 v[28:29], v[28:29], v[32:33], -v[36:37]
	v_fma_f64 v[30:31], v[30:31], v[32:33], v[34:35]
	v_add_f64 v[10:11], v[10:11], v[28:29]
	v_add_f64 v[12:13], v[12:13], v[30:31]
	s_or_b64 exec, exec, s[14:15]
	s_and_saveexec_b64 s[10:11], s[16:17]
	s_cbranch_execz .LBB182_361
.LBB182_540:
	ds_read_b128 v[27:30], v27 offset:4320
	ds_read_b128 v[31:34], v26 offset:7168
	s_waitcnt lgkmcnt(0)
	v_mul_f64 v[35:36], v[29:30], v[33:34]
	v_mul_f64 v[33:34], v[27:28], v[33:34]
	v_fma_f64 v[26:27], v[27:28], v[31:32], -v[35:36]
	v_fma_f64 v[28:29], v[29:30], v[31:32], v[33:34]
	v_add_f64 v[10:11], v[10:11], v[26:27]
	v_add_f64 v[12:13], v[12:13], v[28:29]
	s_or_b64 exec, exec, s[10:11]
	v_cmp_gt_u32_e64 s[10:11], 8, v17
	s_and_saveexec_b64 s[14:15], s[10:11]
	s_cbranch_execnz .LBB182_362
	s_branch .LBB182_363
.LBB182_541:
	ds_read_b128 v[25:28], v24 offset:2128
	ds_read_b128 v[29:32], v21 offset:2560
	s_waitcnt lgkmcnt(0)
	v_mul_f64 v[33:34], v[27:28], v[31:32]
	v_mul_f64 v[31:32], v[25:26], v[31:32]
	v_fma_f64 v[25:26], v[25:26], v[29:30], -v[33:34]
	v_fma_f64 v[27:28], v[27:28], v[29:30], v[31:32]
	v_add_f64 v[10:11], v[10:11], v[25:26]
	v_add_f64 v[12:13], v[12:13], v[27:28]
	s_or_b64 exec, exec, s[12:13]
	v_cmp_gt_u32_e64 s[8:9], 8, v17
	s_and_saveexec_b64 s[12:13], s[8:9]
	s_cbranch_execz .LBB182_419
.LBB182_542:
	ds_read_b128 v[24:27], v24 offset:2144
	ds_read_b128 v[28:31], v21 offset:3072
	s_waitcnt lgkmcnt(0)
	v_mul_f64 v[32:33], v[26:27], v[30:31]
	v_mul_f64 v[30:31], v[24:25], v[30:31]
	v_fma_f64 v[24:25], v[24:25], v[28:29], -v[32:33]
	v_fma_f64 v[26:27], v[26:27], v[28:29], v[30:31]
	v_add_f64 v[10:11], v[10:11], v[24:25]
	v_add_f64 v[12:13], v[12:13], v[26:27]
	s_or_b64 exec, exec, s[12:13]
	v_cmp_gt_u32_e64 s[8:9], 4, v17
	s_and_saveexec_b64 s[12:13], s[8:9]
	s_cbranch_execnz .LBB182_420
	s_branch .LBB182_421
	.section	.rodata,"a",@progbits
	.p2align	6, 0x0
	.amdhsa_kernel _ZL19rocblas_trsv_deviceILi32ELi16ELb0ELb1ELb0ELb1E19rocblas_complex_numIdES1_PKPKS1_PKPS1_EviT7_lllT6_T8_lllPii
		.amdhsa_group_segment_fixed_size 25104
		.amdhsa_private_segment_fixed_size 0
		.amdhsa_kernarg_size 360
		.amdhsa_user_sgpr_count 6
		.amdhsa_user_sgpr_private_segment_buffer 1
		.amdhsa_user_sgpr_dispatch_ptr 0
		.amdhsa_user_sgpr_queue_ptr 0
		.amdhsa_user_sgpr_kernarg_segment_ptr 1
		.amdhsa_user_sgpr_dispatch_id 0
		.amdhsa_user_sgpr_flat_scratch_init 0
		.amdhsa_user_sgpr_private_segment_size 0
		.amdhsa_uses_dynamic_stack 0
		.amdhsa_system_sgpr_private_segment_wavefront_offset 0
		.amdhsa_system_sgpr_workgroup_id_x 1
		.amdhsa_system_sgpr_workgroup_id_y 0
		.amdhsa_system_sgpr_workgroup_id_z 1
		.amdhsa_system_sgpr_workgroup_info 0
		.amdhsa_system_vgpr_workitem_id 1
		.amdhsa_next_free_vgpr 49
		.amdhsa_next_free_sgpr 98
		.amdhsa_reserve_vcc 1
		.amdhsa_reserve_flat_scratch 0
		.amdhsa_float_round_mode_32 0
		.amdhsa_float_round_mode_16_64 0
		.amdhsa_float_denorm_mode_32 3
		.amdhsa_float_denorm_mode_16_64 3
		.amdhsa_dx10_clamp 1
		.amdhsa_ieee_mode 1
		.amdhsa_fp16_overflow 0
		.amdhsa_exception_fp_ieee_invalid_op 0
		.amdhsa_exception_fp_denorm_src 0
		.amdhsa_exception_fp_ieee_div_zero 0
		.amdhsa_exception_fp_ieee_overflow 0
		.amdhsa_exception_fp_ieee_underflow 0
		.amdhsa_exception_fp_ieee_inexact 0
		.amdhsa_exception_int_div_zero 0
	.end_amdhsa_kernel
	.section	.text._ZL19rocblas_trsv_deviceILi32ELi16ELb0ELb1ELb0ELb1E19rocblas_complex_numIdES1_PKPKS1_PKPS1_EviT7_lllT6_T8_lllPii,"axG",@progbits,_ZL19rocblas_trsv_deviceILi32ELi16ELb0ELb1ELb0ELb1E19rocblas_complex_numIdES1_PKPKS1_PKPS1_EviT7_lllT6_T8_lllPii,comdat
.Lfunc_end182:
	.size	_ZL19rocblas_trsv_deviceILi32ELi16ELb0ELb1ELb0ELb1E19rocblas_complex_numIdES1_PKPKS1_PKPS1_EviT7_lllT6_T8_lllPii, .Lfunc_end182-_ZL19rocblas_trsv_deviceILi32ELi16ELb0ELb1ELb0ELb1E19rocblas_complex_numIdES1_PKPKS1_PKPS1_EviT7_lllT6_T8_lllPii
                                        ; -- End function
	.set _ZL19rocblas_trsv_deviceILi32ELi16ELb0ELb1ELb0ELb1E19rocblas_complex_numIdES1_PKPKS1_PKPS1_EviT7_lllT6_T8_lllPii.num_vgpr, 41
	.set _ZL19rocblas_trsv_deviceILi32ELi16ELb0ELb1ELb0ELb1E19rocblas_complex_numIdES1_PKPKS1_PKPS1_EviT7_lllT6_T8_lllPii.num_agpr, 0
	.set _ZL19rocblas_trsv_deviceILi32ELi16ELb0ELb1ELb0ELb1E19rocblas_complex_numIdES1_PKPKS1_PKPS1_EviT7_lllT6_T8_lllPii.numbered_sgpr, 95
	.set _ZL19rocblas_trsv_deviceILi32ELi16ELb0ELb1ELb0ELb1E19rocblas_complex_numIdES1_PKPKS1_PKPS1_EviT7_lllT6_T8_lllPii.num_named_barrier, 0
	.set _ZL19rocblas_trsv_deviceILi32ELi16ELb0ELb1ELb0ELb1E19rocblas_complex_numIdES1_PKPKS1_PKPS1_EviT7_lllT6_T8_lllPii.private_seg_size, 0
	.set _ZL19rocblas_trsv_deviceILi32ELi16ELb0ELb1ELb0ELb1E19rocblas_complex_numIdES1_PKPKS1_PKPS1_EviT7_lllT6_T8_lllPii.uses_vcc, 1
	.set _ZL19rocblas_trsv_deviceILi32ELi16ELb0ELb1ELb0ELb1E19rocblas_complex_numIdES1_PKPKS1_PKPS1_EviT7_lllT6_T8_lllPii.uses_flat_scratch, 0
	.set _ZL19rocblas_trsv_deviceILi32ELi16ELb0ELb1ELb0ELb1E19rocblas_complex_numIdES1_PKPKS1_PKPS1_EviT7_lllT6_T8_lllPii.has_dyn_sized_stack, 0
	.set _ZL19rocblas_trsv_deviceILi32ELi16ELb0ELb1ELb0ELb1E19rocblas_complex_numIdES1_PKPKS1_PKPS1_EviT7_lllT6_T8_lllPii.has_recursion, 0
	.set _ZL19rocblas_trsv_deviceILi32ELi16ELb0ELb1ELb0ELb1E19rocblas_complex_numIdES1_PKPKS1_PKPS1_EviT7_lllT6_T8_lllPii.has_indirect_call, 0
	.section	.AMDGPU.csdata,"",@progbits
; Kernel info:
; codeLenInByte = 22976
; TotalNumSgprs: 99
; NumVgprs: 41
; ScratchSize: 0
; MemoryBound: 1
; FloatMode: 240
; IeeeMode: 1
; LDSByteSize: 25104 bytes/workgroup (compile time only)
; SGPRBlocks: 12
; VGPRBlocks: 12
; NumSGPRsForWavesPerEU: 102
; NumVGPRsForWavesPerEU: 49
; Occupancy: 4
; WaveLimiterHint : 1
; COMPUTE_PGM_RSRC2:SCRATCH_EN: 0
; COMPUTE_PGM_RSRC2:USER_SGPR: 6
; COMPUTE_PGM_RSRC2:TRAP_HANDLER: 0
; COMPUTE_PGM_RSRC2:TGID_X_EN: 1
; COMPUTE_PGM_RSRC2:TGID_Y_EN: 0
; COMPUTE_PGM_RSRC2:TGID_Z_EN: 1
; COMPUTE_PGM_RSRC2:TIDIG_COMP_CNT: 1
	.section	.text._ZL19rocblas_trsv_deviceILi32ELi16ELb0ELb1ELb1ELb1E19rocblas_complex_numIdES1_PKPKS1_PKPS1_EviT7_lllT6_T8_lllPii,"axG",@progbits,_ZL19rocblas_trsv_deviceILi32ELi16ELb0ELb1ELb1ELb1E19rocblas_complex_numIdES1_PKPKS1_PKPS1_EviT7_lllT6_T8_lllPii,comdat
	.globl	_ZL19rocblas_trsv_deviceILi32ELi16ELb0ELb1ELb1ELb1E19rocblas_complex_numIdES1_PKPKS1_PKPS1_EviT7_lllT6_T8_lllPii ; -- Begin function _ZL19rocblas_trsv_deviceILi32ELi16ELb0ELb1ELb1ELb1E19rocblas_complex_numIdES1_PKPKS1_PKPS1_EviT7_lllT6_T8_lllPii
	.p2align	8
	.type	_ZL19rocblas_trsv_deviceILi32ELi16ELb0ELb1ELb1ELb1E19rocblas_complex_numIdES1_PKPKS1_PKPS1_EviT7_lllT6_T8_lllPii,@function
_ZL19rocblas_trsv_deviceILi32ELi16ELb0ELb1ELb1ELb1E19rocblas_complex_numIdES1_PKPKS1_PKPS1_EviT7_lllT6_T8_lllPii: ; @_ZL19rocblas_trsv_deviceILi32ELi16ELb0ELb1ELb1ELb1E19rocblas_complex_numIdES1_PKPKS1_PKPS1_EviT7_lllT6_T8_lllPii
; %bb.0:
	s_load_dwordx4 s[0:3], s[4:5], 0x8
	s_mov_b32 s28, s7
	s_mov_b32 s29, 0
	s_lshl_b64 s[8:9], s[28:29], 3
	s_waitcnt lgkmcnt(0)
	s_add_u32 s0, s0, s8
	s_addc_u32 s1, s1, s9
	s_load_dwordx2 s[10:11], s[0:1], 0x0
	s_load_dword s33, s[4:5], 0x0
	s_load_dwordx8 s[20:27], s[4:5], 0x28
	s_load_dwordx2 s[34:35], s[4:5], 0x18
	s_lshl_b64 s[0:1], s[2:3], 4
	s_waitcnt lgkmcnt(0)
	s_add_u32 s92, s10, s0
	s_addc_u32 s93, s11, s1
	s_add_u32 s0, s24, s8
	s_addc_u32 s1, s25, s9
	s_load_dwordx2 s[36:37], s[0:1], 0x0
	s_load_dwordx2 s[24:25], s[4:5], 0x48
	s_load_dword s94, s[4:5], 0x74
	s_cmp_eq_u32 s6, 0
	s_cbranch_scc1 .LBB183_6
; %bb.1:
	s_lshl_b32 s2, s6, 5
	v_add_u32_e32 v6, s2, v0
	v_ashrrev_i32_e32 v2, 31, v6
	v_mul_lo_u32 v7, s34, v2
	v_mul_lo_u32 v8, s35, v6
	v_mad_u64_u32 v[4:5], s[0:1], s34, v6, 0
	v_add_u32_e32 v2, s2, v1
	v_subrev_u32_e32 v2, 32, v2
	v_add3_u32 v5, v5, v7, v8
	v_lshlrev_b64 v[4:5], 4, v[4:5]
	v_ashrrev_i32_e32 v3, 31, v2
	v_cmp_gt_i32_e32 vcc, s33, v6
	v_mov_b32_e32 v6, s93
	v_add_co_u32_e64 v7, s[0:1], s92, v4
	v_lshlrev_b64 v[3:4], 4, v[2:3]
	v_addc_co_u32_e64 v5, s[0:1], v6, v5, s[0:1]
	v_add_co_u32_e64 v10, s[0:1], v7, v3
	v_addc_co_u32_e64 v11, s[0:1], v5, v4, s[0:1]
	v_cmp_gt_i32_e64 s[0:1], s33, v2
	v_mov_b32_e32 v4, 0
	v_mov_b32_e32 v6, 0
	;; [unrolled: 1-line block ×6, first 2 shown]
	s_and_b64 s[2:3], s[0:1], vcc
	s_waitcnt lgkmcnt(0)
	s_barrier
	s_and_saveexec_b64 s[0:1], s[2:3]
	s_cbranch_execz .LBB183_3
; %bb.2:
	flat_load_dwordx4 v[6:9], v[10:11]
.LBB183_3:
	s_or_b64 exec, exec, s[0:1]
	v_add_u32_e32 v2, 16, v2
	v_cmp_gt_i32_e64 s[0:1], s33, v2
	v_mov_b32_e32 v2, 0
	v_mov_b32_e32 v3, 0
	s_and_b64 s[2:3], s[0:1], vcc
	s_waitcnt vmcnt(0) lgkmcnt(0)
	s_barrier
	s_and_saveexec_b64 s[0:1], s[2:3]
	s_cbranch_execz .LBB183_5
; %bb.4:
	flat_load_dwordx4 v[2:5], v[10:11] offset:256
.LBB183_5:
	s_or_b64 exec, exec, s[0:1]
	s_branch .LBB183_7
.LBB183_6:
                                        ; implicit-def: $vgpr4_vgpr5
                                        ; implicit-def: $vgpr8_vgpr9
.LBB183_7:
	s_ashr_i32 s0, s33, 31
	s_lshr_b32 s0, s0, 27
	s_add_i32 s0, s33, s0
	s_andn2_b32 s0, s0, 31
	s_sub_i32 s7, s33, s0
	s_add_i32 s0, s33, -1
	s_ashr_i32 s1, s0, 31
	s_lshr_b32 s1, s1, 27
	s_add_i32 s0, s0, s1
	s_ashr_i32 s0, s0, 5
	s_cmp_eq_u32 s0, s6
	s_cselect_b64 s[0:1], -1, 0
	s_cmp_lg_u32 s7, 0
	s_cselect_b64 s[2:3], -1, 0
	s_and_b64 s[30:31], s[2:3], s[0:1]
	s_cmp_lt_i32 s6, 5
	s_cselect_b64 s[2:3], -1, 0
	v_lshlrev_b32_e32 v10, 5, v0
	s_mov_b64 s[12:13], -1
	s_or_b64 s[0:1], s[2:3], s[30:31]
	s_and_b64 vcc, exec, s[30:31]
	v_add_u32_e32 v11, v1, v10
	v_cmp_le_u32_e64 s[8:9], v1, v0
	v_lshlrev_b32_e32 v22, 4, v0
	v_lshl_add_u32 v23, v1, 5, v0
	s_cbranch_vccnz .LBB183_21
; %bb.8:
	s_add_u32 s10, s34, 1
	s_addc_u32 s11, s35, 0
	s_lshl_b32 s12, s6, 5
	s_ashr_i32 s13, s12, 31
	s_mul_hi_u32 s14, s10, s12
	s_mul_i32 s13, s10, s13
	s_add_i32 s13, s14, s13
	s_mul_i32 s11, s11, s12
	s_add_i32 s11, s13, s11
	s_mul_i32 s10, s10, s12
	s_lshl_b64 s[10:11], s[10:11], 4
	s_add_u32 s10, s92, s10
	s_addc_u32 s11, s93, s11
	v_lshlrev_b32_e32 v12, 4, v0
	v_mov_b32_e32 v13, s11
	v_add_co_u32_e32 v12, vcc, s10, v12
	v_addc_co_u32_e32 v13, vcc, 0, v13, vcc
	v_cndmask_b32_e64 v14, v23, v11, s[2:3]
	s_and_saveexec_b64 s[2:3], s[8:9]
	s_xor_b64 s[2:3], exec, s[2:3]
	s_cbranch_execz .LBB183_12
; %bb.9:
	v_or_b32_e32 v15, v1, v0
	v_cmp_gt_u32_e32 vcc, 32, v15
	s_and_saveexec_b64 s[8:9], vcc
	s_cbranch_execz .LBB183_11
; %bb.10:
	v_lshlrev_b32_e32 v18, 4, v14
	v_mov_b32_e32 v14, 0
	v_mov_b32_e32 v15, v14
	;; [unrolled: 1-line block ×4, first 2 shown]
	ds_write_b128 v18, v[14:17]
.LBB183_11:
	s_or_b64 exec, exec, s[8:9]
                                        ; implicit-def: $vgpr14
.LBB183_12:
	s_andn2_saveexec_b64 s[2:3], s[2:3]
	s_cbranch_execz .LBB183_14
; %bb.13:
	v_mad_u64_u32 v[15:16], s[8:9], s34, v1, 0
	v_lshlrev_b32_e32 v14, 4, v14
	v_mad_u64_u32 v[16:17], s[8:9], s35, v1, v[16:17]
	v_lshlrev_b64 v[15:16], 4, v[15:16]
	v_add_co_u32_e32 v15, vcc, v12, v15
	v_addc_co_u32_e32 v16, vcc, v13, v16, vcc
	flat_load_dwordx4 v[15:18], v[15:16]
	s_waitcnt vmcnt(0) lgkmcnt(0)
	v_xor_b32_e32 v16, 0x80000000, v16
	ds_write_b128 v14, v[15:18]
.LBB183_14:
	s_or_b64 exec, exec, s[2:3]
	v_add_u32_e32 v15, 16, v1
	v_add_u32_e32 v14, v15, v10
	v_lshl_add_u32 v16, v15, 5, v0
	v_cndmask_b32_e64 v14, v16, v14, s[0:1]
	v_cmp_le_u32_e32 vcc, v15, v0
	s_and_saveexec_b64 s[2:3], vcc
	s_xor_b64 s[2:3], exec, s[2:3]
	s_cbranch_execz .LBB183_18
; %bb.15:
	v_or_b32_e32 v12, v15, v0
	v_cmp_gt_u32_e32 vcc, 32, v12
	s_and_saveexec_b64 s[8:9], vcc
	s_cbranch_execz .LBB183_17
; %bb.16:
	v_mov_b32_e32 v12, 0
	v_lshlrev_b32_e32 v16, 4, v14
	v_mov_b32_e32 v13, v12
	v_mov_b32_e32 v14, v12
	;; [unrolled: 1-line block ×3, first 2 shown]
	ds_write_b128 v16, v[12:15]
.LBB183_17:
	s_or_b64 exec, exec, s[8:9]
                                        ; implicit-def: $vgpr15
                                        ; implicit-def: $vgpr12
                                        ; implicit-def: $vgpr13
                                        ; implicit-def: $vgpr14
.LBB183_18:
	s_andn2_saveexec_b64 s[2:3], s[2:3]
	s_cbranch_execz .LBB183_20
; %bb.19:
	v_mad_u64_u32 v[16:17], s[8:9], s34, v15, 0
	v_mad_u64_u32 v[17:18], s[8:9], s35, v15, v[17:18]
	v_lshlrev_b64 v[15:16], 4, v[16:17]
	v_add_co_u32_e32 v12, vcc, v12, v15
	v_addc_co_u32_e32 v13, vcc, v13, v16, vcc
	flat_load_dwordx4 v[15:18], v[12:13]
	v_lshlrev_b32_e32 v12, 4, v14
	s_waitcnt vmcnt(0) lgkmcnt(0)
	v_xor_b32_e32 v16, 0x80000000, v16
	ds_write_b128 v12, v[15:18]
.LBB183_20:
	s_or_b64 exec, exec, s[2:3]
	s_mov_b64 s[12:13], 0
.LBB183_21:
	s_xor_b64 s[10:11], s[0:1], -1
	s_and_b64 vcc, exec, s[12:13]
	s_cbranch_vccz .LBB183_35
; %bb.22:
	s_add_u32 s2, s34, 1
	s_addc_u32 s3, s35, 0
	s_lshl_b32 s8, s6, 5
	s_ashr_i32 s9, s8, 31
	s_mul_hi_u32 s12, s2, s8
	s_mul_i32 s9, s2, s9
	s_add_i32 s9, s12, s9
	s_mul_i32 s3, s3, s8
	s_add_i32 s3, s9, s3
	s_mul_i32 s2, s2, s8
	s_lshl_b64 s[2:3], s[2:3], 4
	s_add_u32 s2, s92, s2
	s_addc_u32 s3, s93, s3
	v_lshlrev_b32_e32 v12, 4, v0
	v_mov_b32_e32 v13, s3
	v_add_co_u32_e64 v12, s[2:3], s2, v12
	v_addc_co_u32_e64 v13, s[2:3], 0, v13, s[2:3]
	v_max_i32_e32 v14, v1, v0
	v_cmp_le_u32_e64 s[2:3], v1, v0
	v_cmp_le_i32_e64 s[8:9], s7, v14
	v_cmp_gt_i32_e32 vcc, s7, v0
	s_or_b64 s[2:3], s[8:9], s[2:3]
	s_and_saveexec_b64 s[8:9], s[2:3]
	s_xor_b64 s[8:9], exec, s[8:9]
	s_cbranch_execz .LBB183_26
; %bb.23:
	v_or_b32_e32 v14, v1, v0
	v_cmp_gt_u32_e64 s[2:3], 32, v14
	s_and_saveexec_b64 s[12:13], s[2:3]
	s_cbranch_execz .LBB183_25
; %bb.24:
	v_mov_b32_e32 v14, 0
	v_lshlrev_b32_e32 v11, 4, v11
	v_mov_b32_e32 v15, v14
	v_mov_b32_e32 v16, v14
	;; [unrolled: 1-line block ×3, first 2 shown]
	ds_write_b128 v11, v[14:17]
.LBB183_25:
	s_or_b64 exec, exec, s[12:13]
                                        ; implicit-def: $vgpr11
.LBB183_26:
	s_andn2_saveexec_b64 s[8:9], s[8:9]
	s_cbranch_execz .LBB183_28
; %bb.27:
	v_mad_u64_u32 v[14:15], s[2:3], s34, v1, 0
	v_lshlrev_b32_e32 v11, 4, v11
	v_mad_u64_u32 v[15:16], s[2:3], s35, v1, v[15:16]
	v_lshlrev_b64 v[14:15], 4, v[14:15]
	v_add_co_u32_e64 v14, s[2:3], v12, v14
	v_addc_co_u32_e64 v15, s[2:3], v13, v15, s[2:3]
	flat_load_dwordx4 v[14:17], v[14:15]
	s_waitcnt vmcnt(0) lgkmcnt(0)
	v_xor_b32_e32 v15, 0x80000000, v15
	ds_write_b128 v11, v[14:17]
.LBB183_28:
	s_or_b64 exec, exec, s[8:9]
	v_add_u32_e32 v11, 16, v1
	v_add_u32_e32 v10, v11, v10
	v_lshl_add_u32 v14, v11, 5, v0
	v_cndmask_b32_e64 v10, v14, v10, s[0:1]
	v_cmp_gt_u32_e64 s[0:1], v11, v0
	v_cmp_gt_i32_e64 s[2:3], s7, v11
	s_and_b64 s[0:1], s[0:1], s[2:3]
	s_and_b64 s[0:1], s[0:1], vcc
	s_xor_b64 s[0:1], s[0:1], -1
	s_and_saveexec_b64 s[2:3], s[0:1]
	s_xor_b64 s[0:1], exec, s[2:3]
	s_cbranch_execz .LBB183_32
; %bb.29:
	v_or_b32_e32 v11, v11, v0
	v_cmp_gt_u32_e32 vcc, 32, v11
	s_and_saveexec_b64 s[2:3], vcc
	s_cbranch_execz .LBB183_31
; %bb.30:
	v_lshlrev_b32_e32 v14, 4, v10
	v_mov_b32_e32 v10, 0
	v_mov_b32_e32 v11, v10
	;; [unrolled: 1-line block ×4, first 2 shown]
	ds_write_b128 v14, v[10:13]
.LBB183_31:
	s_or_b64 exec, exec, s[2:3]
                                        ; implicit-def: $vgpr11
                                        ; implicit-def: $vgpr12
                                        ; implicit-def: $vgpr13
                                        ; implicit-def: $vgpr10
.LBB183_32:
	s_andn2_saveexec_b64 s[0:1], s[0:1]
	s_cbranch_execz .LBB183_34
; %bb.33:
	v_mad_u64_u32 v[14:15], s[2:3], s34, v11, 0
	v_lshlrev_b32_e32 v10, 4, v10
	v_mad_u64_u32 v[15:16], s[2:3], s35, v11, v[15:16]
	v_lshlrev_b64 v[14:15], 4, v[14:15]
	v_add_co_u32_e32 v11, vcc, v12, v14
	v_addc_co_u32_e32 v12, vcc, v13, v15, vcc
	flat_load_dwordx4 v[11:14], v[11:12]
	s_waitcnt vmcnt(0) lgkmcnt(0)
	v_xor_b32_e32 v12, 0x80000000, v12
	ds_write_b128 v10, v[11:14]
.LBB183_34:
	s_or_b64 exec, exec, s[0:1]
.LBB183_35:
	v_cndmask_b32_e64 v10, 0, 1, s[10:11]
	v_cmp_ne_u32_e64 s[0:1], 1, v10
	s_andn2_b64 vcc, exec, s[10:11]
	s_waitcnt vmcnt(0) lgkmcnt(0)
	s_barrier
	s_cbranch_vccnz .LBB183_459
; %bb.36:
	v_or_b32_e32 v10, v0, v1
	s_mov_b32 s8, 0
	v_cmp_eq_u32_e32 vcc, 0, v10
	s_and_saveexec_b64 s[2:3], vcc
	s_cbranch_execz .LBB183_38
; %bb.37:
	v_mov_b32_e32 v18, 0
	ds_read_b128 v[10:13], v18 offset:16352
	s_mov_b32 s11, s8
	s_mov_b32 s9, 0x3ff00000
	s_mov_b32 s10, s8
	v_mov_b32_e32 v17, s11
	v_mov_b32_e32 v16, s10
	;; [unrolled: 1-line block ×4, first 2 shown]
	ds_write_b128 v18, v[14:17] offset:15840
	ds_write_b128 v18, v[14:17] offset:16368
	s_waitcnt lgkmcnt(2)
	ds_write_b128 v18, v[10:13] offset:15856
.LBB183_38:
	s_or_b64 exec, exec, s[2:3]
	v_lshlrev_b32_e32 v10, 5, v1
	v_add_u32_e32 v17, v10, v0
	v_add_u16_e32 v10, v10, v0
	v_lshrrev_b16_e32 v16, 1, v10
	v_mov_b32_e32 v10, 0
	v_mov_b32_e32 v12, 0
	v_and_b32_e32 v14, 1, v0
	v_sub_u32_e32 v15, 1, v16
	v_cmp_lt_u32_e64 s[8:9], 3, v17
	v_mov_b32_e32 v11, 0
	v_mov_b32_e32 v13, 0
	v_cmp_gt_u32_e64 s[2:3], 4, v17
	s_waitcnt lgkmcnt(0)
	s_barrier
	buffer_wbinvl1_vol
	s_and_saveexec_b64 s[12:13], s[2:3]
	s_cbranch_execz .LBB183_42
; %bb.39:
	v_lshlrev_b32_e32 v18, 4, v14
	v_lshlrev_b32_e32 v10, 9, v15
	ds_read_b128 v[10:13], v10 offset:15840
	ds_read_b128 v[18:21], v18 offset:15808
	v_cmp_gt_u32_e64 s[10:11], 2, v17
	s_waitcnt lgkmcnt(0)
	v_mul_f64 v[24:25], v[12:13], v[20:21]
	v_mul_f64 v[20:21], v[10:11], v[20:21]
	v_fma_f64 v[10:11], v[10:11], v[18:19], -v[24:25]
	v_fma_f64 v[12:13], v[12:13], v[18:19], v[20:21]
	v_add_f64 v[10:11], v[10:11], 0
	v_add_f64 v[12:13], v[12:13], 0
	s_and_saveexec_b64 s[14:15], s[10:11]
	s_cbranch_execz .LBB183_41
; %bb.40:
	v_lshlrev_b32_e32 v24, 4, v0
	v_mov_b32_e32 v18, 0
	ds_read_b128 v[18:21], v18 offset:16368
	ds_read_b128 v[24:27], v24 offset:16320
	s_waitcnt lgkmcnt(0)
	v_mul_f64 v[28:29], v[20:21], v[26:27]
	v_mul_f64 v[26:27], v[18:19], v[26:27]
	v_fma_f64 v[18:19], v[18:19], v[24:25], -v[28:29]
	v_fma_f64 v[20:21], v[20:21], v[24:25], v[26:27]
	v_add_f64 v[10:11], v[10:11], v[18:19]
	v_add_f64 v[12:13], v[12:13], v[20:21]
.LBB183_41:
	s_or_b64 exec, exec, s[14:15]
.LBB183_42:
	s_or_b64 exec, exec, s[12:13]
	v_mov_b32_e32 v18, 0x4000
	v_cmp_ne_u32_e64 s[10:11], 0, v14
	s_xor_b64 s[12:13], s[8:9], -1
	v_lshl_add_u32 v16, v16, 4, v18
	s_and_b64 s[40:41], s[10:11], s[12:13]
	s_and_saveexec_b64 s[8:9], s[40:41]
; %bb.43:
	v_xor_b32_e32 v19, 0x80000000, v11
	v_xor_b32_e32 v21, 0x80000000, v13
	v_mov_b32_e32 v18, v10
	v_mov_b32_e32 v20, v12
	ds_write_b128 v16, v[18:21]
; %bb.44:
	s_or_b64 exec, exec, s[8:9]
	v_cmp_eq_u32_e64 s[8:9], 0, v14
	s_and_b64 s[38:39], s[8:9], s[12:13]
	s_waitcnt lgkmcnt(0)
	s_barrier
	s_and_saveexec_b64 s[8:9], s[38:39]
	s_cbranch_execz .LBB183_46
; %bb.45:
	v_mov_b32_e32 v24, 0
	ds_read_b128 v[18:21], v16
	ds_read_b128 v[24:27], v24 offset:15296
	s_waitcnt lgkmcnt(0)
	v_mul_f64 v[28:29], v[18:19], v[24:25]
	v_mul_f64 v[18:19], v[18:19], v[26:27]
	v_fma_f64 v[26:27], v[20:21], v[26:27], -v[28:29]
	v_fma_f64 v[18:19], v[20:21], v[24:25], v[18:19]
	v_add_f64 v[10:11], v[10:11], v[26:27]
	v_add_f64 v[12:13], v[12:13], -v[18:19]
.LBB183_46:
	s_or_b64 exec, exec, s[8:9]
	s_barrier
	s_and_saveexec_b64 s[8:9], s[38:39]
; %bb.47:
	v_xor_b32_e32 v19, 0x80000000, v11
	v_xor_b32_e32 v21, 0x80000000, v13
	v_mov_b32_e32 v18, v10
	v_mov_b32_e32 v20, v12
	ds_write_b128 v16, v[18:21]
; %bb.48:
	s_or_b64 exec, exec, s[8:9]
	s_waitcnt lgkmcnt(0)
	s_barrier
	s_barrier
	s_and_saveexec_b64 s[8:9], s[2:3]
; %bb.49:
	v_lshlrev_b32_e32 v18, 4, v14
	v_lshl_or_b32 v18, v15, 9, v18
	ds_write_b128 v18, v[10:13] offset:15808
; %bb.50:
	s_or_b64 exec, exec, s[8:9]
	v_cmp_eq_u32_e64 s[10:11], 0, v1
	v_cmp_gt_u32_e64 s[8:9], 2, v0
	s_and_b64 s[42:43], s[10:11], s[8:9]
	s_waitcnt lgkmcnt(0)
	s_barrier
	s_barrier
	s_and_saveexec_b64 s[8:9], s[42:43]
	s_cbranch_execz .LBB183_52
; %bb.51:
	v_lshlrev_b32_e32 v18, 9, v0
	ds_read_b128 v[10:13], v18 offset:15808
	s_movk_i32 s12, 0xfe10
	v_mad_i32_i24 v19, v0, s12, v18
	s_waitcnt lgkmcnt(0)
	ds_write_b128 v19, v[10:13] offset:14816
	ds_read_b128 v[10:13], v18 offset:15824
	s_waitcnt lgkmcnt(0)
	ds_write_b128 v19, v[10:13] offset:15328
.LBB183_52:
	s_or_b64 exec, exec, s[8:9]
	s_waitcnt lgkmcnt(0)
	s_barrier
	s_and_saveexec_b64 s[8:9], vcc
	s_cbranch_execz .LBB183_54
; %bb.53:
	s_mov_b32 s12, 0
	v_mov_b32_e32 v24, 0
	ds_read_b128 v[10:13], v24 offset:15296
	s_mov_b32 s15, s12
	s_mov_b32 s13, 0x3ff00000
	;; [unrolled: 1-line block ×3, first 2 shown]
	v_mov_b32_e32 v21, s15
	v_mov_b32_e32 v20, s14
	v_mov_b32_e32 v19, s13
	v_mov_b32_e32 v18, s12
	ds_write_b128 v24, v[18:21] offset:14784
	ds_write_b128 v24, v[18:21] offset:15312
	s_waitcnt lgkmcnt(2)
	ds_write_b128 v24, v[10:13] offset:14800
.LBB183_54:
	s_or_b64 exec, exec, s[8:9]
	v_lshrrev_b32_e32 v20, 2, v17
	v_mov_b32_e32 v12, 0
	v_mov_b32_e32 v10, 0
	v_and_b32_e32 v18, 3, v0
	v_sub_u32_e32 v19, 3, v20
	v_cmp_lt_u32_e64 s[8:9], 15, v17
	v_mov_b32_e32 v13, 0
	v_mov_b32_e32 v11, 0
	v_cmp_gt_u32_e64 s[16:17], 16, v17
	s_waitcnt lgkmcnt(0)
	s_barrier
	buffer_wbinvl1_vol
	s_and_saveexec_b64 s[14:15], s[16:17]
	s_cbranch_execz .LBB183_60
; %bb.55:
	v_lshlrev_b32_e32 v24, 9, v19
	v_lshlrev_b32_e32 v21, 4, v18
	ds_read_b128 v[10:13], v24 offset:14784
	ds_read_b128 v[25:28], v21 offset:14720
	v_cmp_gt_u32_e64 s[12:13], 12, v17
	s_waitcnt lgkmcnt(0)
	v_mul_f64 v[29:30], v[12:13], v[27:28]
	v_mul_f64 v[27:28], v[10:11], v[27:28]
	v_fma_f64 v[10:11], v[10:11], v[25:26], -v[29:30]
	v_fma_f64 v[12:13], v[12:13], v[25:26], v[27:28]
	v_add_f64 v[10:11], v[10:11], 0
	v_add_f64 v[12:13], v[12:13], 0
	s_and_saveexec_b64 s[18:19], s[12:13]
	s_cbranch_execnz .LBB183_519
; %bb.56:
	s_or_b64 exec, exec, s[18:19]
	v_cmp_gt_u32_e64 s[12:13], 8, v17
	s_and_saveexec_b64 s[18:19], s[12:13]
	s_cbranch_execnz .LBB183_520
.LBB183_57:
	s_or_b64 exec, exec, s[18:19]
	v_cmp_gt_u32_e64 s[12:13], 4, v17
	s_and_saveexec_b64 s[18:19], s[12:13]
	s_cbranch_execz .LBB183_59
.LBB183_58:
	v_mov_b32_e32 v24, 0
	v_lshlrev_b32_e32 v21, 4, v0
	ds_read_b128 v[24:27], v24 offset:16368
	ds_read_b128 v[28:31], v21 offset:16256
	s_waitcnt lgkmcnt(0)
	v_mul_f64 v[32:33], v[26:27], v[30:31]
	v_mul_f64 v[30:31], v[24:25], v[30:31]
	v_fma_f64 v[24:25], v[24:25], v[28:29], -v[32:33]
	v_fma_f64 v[26:27], v[26:27], v[28:29], v[30:31]
	v_add_f64 v[10:11], v[10:11], v[24:25]
	v_add_f64 v[12:13], v[12:13], v[26:27]
.LBB183_59:
	s_or_b64 exec, exec, s[18:19]
.LBB183_60:
	s_or_b64 exec, exec, s[14:15]
	v_mov_b32_e32 v21, 0x4000
	v_cmp_eq_u32_e64 s[12:13], 3, v18
	s_xor_b64 s[14:15], s[8:9], -1
	v_lshl_add_u32 v20, v20, 4, v21
	s_and_b64 s[46:47], s[12:13], s[14:15]
	s_and_saveexec_b64 s[8:9], s[46:47]
; %bb.61:
	v_xor_b32_e32 v27, 0x80000000, v13
	v_xor_b32_e32 v25, 0x80000000, v11
	v_mov_b32_e32 v24, v10
	v_mov_b32_e32 v26, v12
	ds_write_b128 v20, v[24:27]
; %bb.62:
	s_or_b64 exec, exec, s[8:9]
	v_cmp_ne_u32_e64 s[8:9], 3, v18
	s_and_b64 s[48:49], s[8:9], s[14:15]
	s_waitcnt lgkmcnt(0)
	s_barrier
	s_and_saveexec_b64 s[8:9], s[48:49]
	s_cbranch_execz .LBB183_64
; %bb.63:
	v_lshlrev_b32_e32 v21, 4, v18
	ds_read_b128 v[24:27], v20
	ds_read_b128 v[28:31], v21 offset:14208
	s_waitcnt lgkmcnt(0)
	v_mul_f64 v[32:33], v[26:27], v[30:31]
	v_mul_f64 v[30:31], v[24:25], v[30:31]
	v_fma_f64 v[24:25], v[24:25], v[28:29], -v[32:33]
	v_fma_f64 v[26:27], v[26:27], v[28:29], v[30:31]
	v_add_f64 v[10:11], v[10:11], -v[24:25]
	v_add_f64 v[12:13], v[12:13], -v[26:27]
.LBB183_64:
	s_or_b64 exec, exec, s[8:9]
	v_cmp_eq_u32_e64 s[8:9], 2, v18
	s_and_b64 s[50:51], s[8:9], s[14:15]
	s_barrier
	s_and_saveexec_b64 s[8:9], s[50:51]
; %bb.65:
	v_xor_b32_e32 v27, 0x80000000, v13
	v_xor_b32_e32 v25, 0x80000000, v11
	v_mov_b32_e32 v24, v10
	v_mov_b32_e32 v26, v12
	ds_write_b128 v20, v[24:27]
; %bb.66:
	s_or_b64 exec, exec, s[8:9]
	v_cmp_gt_u32_e64 s[8:9], 2, v18
	s_and_b64 s[52:53], s[8:9], s[14:15]
	s_waitcnt lgkmcnt(0)
	s_barrier
	s_and_saveexec_b64 s[8:9], s[52:53]
	s_cbranch_execz .LBB183_68
; %bb.67:
	v_lshlrev_b32_e32 v21, 4, v18
	ds_read_b128 v[24:27], v20
	ds_read_b128 v[28:31], v21 offset:13696
	s_waitcnt lgkmcnt(0)
	v_mul_f64 v[32:33], v[26:27], v[30:31]
	v_mul_f64 v[30:31], v[24:25], v[30:31]
	v_fma_f64 v[24:25], v[24:25], v[28:29], -v[32:33]
	v_fma_f64 v[26:27], v[26:27], v[28:29], v[30:31]
	v_add_f64 v[10:11], v[10:11], -v[24:25]
	v_add_f64 v[12:13], v[12:13], -v[26:27]
.LBB183_68:
	s_or_b64 exec, exec, s[8:9]
	v_cmp_eq_u32_e64 s[8:9], 1, v18
	s_and_b64 s[54:55], s[8:9], s[14:15]
	s_barrier
	s_and_saveexec_b64 s[8:9], s[54:55]
; %bb.69:
	v_xor_b32_e32 v27, 0x80000000, v13
	v_xor_b32_e32 v25, 0x80000000, v11
	v_mov_b32_e32 v24, v10
	v_mov_b32_e32 v26, v12
	ds_write_b128 v20, v[24:27]
; %bb.70:
	s_or_b64 exec, exec, s[8:9]
	v_cmp_eq_u32_e64 s[8:9], 0, v18
	s_and_b64 s[44:45], s[8:9], s[14:15]
	s_waitcnt lgkmcnt(0)
	s_barrier
	s_and_saveexec_b64 s[8:9], s[44:45]
	s_cbranch_execz .LBB183_72
; %bb.71:
	v_mov_b32_e32 v21, 0
	ds_read_b128 v[24:27], v20
	ds_read_b128 v[28:31], v21 offset:13184
	s_waitcnt lgkmcnt(0)
	v_mul_f64 v[32:33], v[26:27], v[30:31]
	v_mul_f64 v[30:31], v[24:25], v[30:31]
	v_fma_f64 v[24:25], v[24:25], v[28:29], -v[32:33]
	v_fma_f64 v[26:27], v[26:27], v[28:29], v[30:31]
	v_add_f64 v[10:11], v[10:11], -v[24:25]
	v_add_f64 v[12:13], v[12:13], -v[26:27]
.LBB183_72:
	s_or_b64 exec, exec, s[8:9]
	s_barrier
	s_and_saveexec_b64 s[8:9], s[44:45]
; %bb.73:
	v_xor_b32_e32 v27, 0x80000000, v13
	v_xor_b32_e32 v25, 0x80000000, v11
	v_mov_b32_e32 v24, v10
	v_mov_b32_e32 v26, v12
	ds_write_b128 v20, v[24:27]
; %bb.74:
	s_or_b64 exec, exec, s[8:9]
	s_waitcnt lgkmcnt(0)
	s_barrier
	s_barrier
	s_and_saveexec_b64 s[8:9], s[16:17]
; %bb.75:
	v_lshlrev_b32_e32 v21, 4, v18
	v_lshl_or_b32 v21, v19, 9, v21
	ds_write_b128 v21, v[10:13] offset:14720
; %bb.76:
	s_or_b64 exec, exec, s[8:9]
	v_cmp_gt_u32_e64 s[8:9], 4, v0
	s_and_b64 s[56:57], s[10:11], s[8:9]
	s_waitcnt lgkmcnt(0)
	s_barrier
	s_barrier
	s_and_saveexec_b64 s[8:9], s[56:57]
	s_cbranch_execz .LBB183_78
; %bb.77:
	v_lshlrev_b32_e32 v21, 4, v0
	s_movk_i32 s12, 0x1f0
	v_mad_u32_u24 v24, v0, s12, v21
	ds_read_b128 v[10:13], v24 offset:14720
	s_waitcnt lgkmcnt(0)
	ds_write_b128 v21, v[10:13] offset:12736
	ds_read_b128 v[10:13], v24 offset:14736
	s_waitcnt lgkmcnt(0)
	ds_write_b128 v21, v[10:13] offset:13248
	;; [unrolled: 3-line block ×4, first 2 shown]
.LBB183_78:
	s_or_b64 exec, exec, s[8:9]
	s_waitcnt lgkmcnt(0)
	s_barrier
	s_and_saveexec_b64 s[8:9], vcc
	s_cbranch_execz .LBB183_80
; %bb.79:
	s_mov_b32 s12, 0
	v_mov_b32_e32 v21, 0
	ds_read_b128 v[10:13], v21 offset:14240
	s_mov_b32 s15, s12
	s_mov_b32 s13, 0x3ff00000
	;; [unrolled: 1-line block ×3, first 2 shown]
	v_mov_b32_e32 v27, s15
	v_mov_b32_e32 v26, s14
	;; [unrolled: 1-line block ×4, first 2 shown]
	ds_write_b128 v21, v[24:27] offset:13728
	ds_write_b128 v21, v[24:27] offset:14256
	s_waitcnt lgkmcnt(2)
	ds_write_b128 v21, v[10:13] offset:13744
.LBB183_80:
	s_or_b64 exec, exec, s[8:9]
	v_mov_b32_e32 v10, 0
	v_mov_b32_e32 v12, 0
	v_mov_b32_e32 v11, 0
	v_mov_b32_e32 v13, 0
	s_waitcnt lgkmcnt(0)
	s_barrier
	buffer_wbinvl1_vol
	s_and_saveexec_b64 s[12:13], s[2:3]
	s_cbranch_execz .LBB183_84
; %bb.81:
	v_lshlrev_b32_e32 v10, 9, v15
	v_lshlrev_b32_e32 v21, 4, v14
	ds_read_b128 v[10:13], v10 offset:13728
	ds_read_b128 v[24:27], v21 offset:13696
	v_cmp_gt_u32_e64 s[8:9], 2, v17
	s_waitcnt lgkmcnt(0)
	v_mul_f64 v[28:29], v[12:13], v[26:27]
	v_mul_f64 v[26:27], v[10:11], v[26:27]
	v_fma_f64 v[10:11], v[10:11], v[24:25], -v[28:29]
	v_fma_f64 v[12:13], v[12:13], v[24:25], v[26:27]
	v_add_f64 v[10:11], v[10:11], 0
	v_add_f64 v[12:13], v[12:13], 0
	s_and_saveexec_b64 s[14:15], s[8:9]
	s_cbranch_execz .LBB183_83
; %bb.82:
	v_mov_b32_e32 v24, 0
	v_lshlrev_b32_e32 v21, 4, v0
	ds_read_b128 v[24:27], v24 offset:14256
	ds_read_b128 v[28:31], v21 offset:14208
	s_waitcnt lgkmcnt(0)
	v_mul_f64 v[32:33], v[26:27], v[30:31]
	v_mul_f64 v[30:31], v[24:25], v[30:31]
	v_fma_f64 v[24:25], v[24:25], v[28:29], -v[32:33]
	v_fma_f64 v[26:27], v[26:27], v[28:29], v[30:31]
	v_add_f64 v[10:11], v[10:11], v[24:25]
	v_add_f64 v[12:13], v[12:13], v[26:27]
.LBB183_83:
	s_or_b64 exec, exec, s[14:15]
.LBB183_84:
	s_or_b64 exec, exec, s[12:13]
	s_and_saveexec_b64 s[8:9], s[40:41]
; %bb.85:
	v_xor_b32_e32 v25, 0x80000000, v11
	v_xor_b32_e32 v27, 0x80000000, v13
	v_mov_b32_e32 v24, v10
	v_mov_b32_e32 v26, v12
	ds_write_b128 v16, v[24:27]
; %bb.86:
	s_or_b64 exec, exec, s[8:9]
	s_waitcnt lgkmcnt(0)
	s_barrier
	s_and_saveexec_b64 s[8:9], s[38:39]
	s_cbranch_execz .LBB183_88
; %bb.87:
	v_mov_b32_e32 v21, 0
	ds_read_b128 v[24:27], v16
	ds_read_b128 v[28:31], v21 offset:13184
	s_waitcnt lgkmcnt(0)
	v_mul_f64 v[32:33], v[24:25], v[28:29]
	v_mul_f64 v[24:25], v[24:25], v[30:31]
	v_fma_f64 v[30:31], v[26:27], v[30:31], -v[32:33]
	v_fma_f64 v[24:25], v[26:27], v[28:29], v[24:25]
	v_add_f64 v[10:11], v[10:11], v[30:31]
	v_add_f64 v[12:13], v[12:13], -v[24:25]
.LBB183_88:
	s_or_b64 exec, exec, s[8:9]
	s_barrier
	s_and_saveexec_b64 s[8:9], s[38:39]
; %bb.89:
	v_xor_b32_e32 v25, 0x80000000, v11
	v_xor_b32_e32 v27, 0x80000000, v13
	v_mov_b32_e32 v24, v10
	v_mov_b32_e32 v26, v12
	ds_write_b128 v16, v[24:27]
; %bb.90:
	s_or_b64 exec, exec, s[8:9]
	s_waitcnt lgkmcnt(0)
	s_barrier
	s_barrier
	s_and_saveexec_b64 s[8:9], s[2:3]
; %bb.91:
	v_lshlrev_b32_e32 v21, 4, v14
	v_lshl_or_b32 v21, v15, 9, v21
	ds_write_b128 v21, v[10:13] offset:13696
; %bb.92:
	s_or_b64 exec, exec, s[8:9]
	s_waitcnt lgkmcnt(0)
	s_barrier
	s_barrier
	s_and_saveexec_b64 s[8:9], s[42:43]
	s_cbranch_execz .LBB183_94
; %bb.93:
	v_lshlrev_b32_e32 v21, 9, v0
	ds_read_b128 v[10:13], v21 offset:13696
	s_movk_i32 s12, 0xfe10
	v_mad_i32_i24 v24, v0, s12, v21
	s_waitcnt lgkmcnt(0)
	ds_write_b128 v24, v[10:13] offset:12704
	ds_read_b128 v[10:13], v21 offset:13712
	s_waitcnt lgkmcnt(0)
	ds_write_b128 v24, v[10:13] offset:13216
.LBB183_94:
	s_or_b64 exec, exec, s[8:9]
	s_waitcnt lgkmcnt(0)
	s_barrier
	s_and_saveexec_b64 s[8:9], vcc
	s_cbranch_execz .LBB183_96
; %bb.95:
	s_mov_b32 s12, 0
	v_mov_b32_e32 v21, 0
	ds_read_b128 v[10:13], v21 offset:13184
	s_mov_b32 s15, s12
	s_mov_b32 s13, 0x3ff00000
	;; [unrolled: 1-line block ×3, first 2 shown]
	v_mov_b32_e32 v27, s15
	v_mov_b32_e32 v26, s14
	;; [unrolled: 1-line block ×4, first 2 shown]
	ds_write_b128 v21, v[24:27] offset:12672
	ds_write_b128 v21, v[24:27] offset:13200
	s_waitcnt lgkmcnt(2)
	ds_write_b128 v21, v[10:13] offset:12688
.LBB183_96:
	s_or_b64 exec, exec, s[8:9]
	v_lshrrev_b32_e32 v25, 3, v17
	v_mov_b32_e32 v12, 0
	v_mov_b32_e32 v10, 0
	v_and_b32_e32 v21, 7, v0
	v_sub_u32_e32 v24, 7, v25
	v_cmp_lt_u32_e64 s[12:13], 63, v17
	v_mov_b32_e32 v13, 0
	v_mov_b32_e32 v11, 0
	v_cmp_gt_u32_e64 s[8:9], 64, v17
	s_waitcnt lgkmcnt(0)
	s_barrier
	buffer_wbinvl1_vol
	s_and_saveexec_b64 s[18:19], s[8:9]
	s_cbranch_execz .LBB183_106
; %bb.97:
	v_lshlrev_b32_e32 v27, 9, v24
	v_lshlrev_b32_e32 v26, 4, v21
	ds_read_b128 v[10:13], v27 offset:12672
	ds_read_b128 v[28:31], v26 offset:12544
	v_cmp_gt_u32_e64 s[14:15], 56, v17
	s_waitcnt lgkmcnt(0)
	v_mul_f64 v[32:33], v[12:13], v[30:31]
	v_mul_f64 v[30:31], v[10:11], v[30:31]
	v_fma_f64 v[10:11], v[10:11], v[28:29], -v[32:33]
	v_fma_f64 v[12:13], v[12:13], v[28:29], v[30:31]
	v_add_f64 v[10:11], v[10:11], 0
	v_add_f64 v[12:13], v[12:13], 0
	s_and_saveexec_b64 s[58:59], s[14:15]
	s_cbranch_execnz .LBB183_521
; %bb.98:
	s_or_b64 exec, exec, s[58:59]
	v_cmp_gt_u32_e64 s[14:15], 48, v17
	s_and_saveexec_b64 s[58:59], s[14:15]
	s_cbranch_execnz .LBB183_522
.LBB183_99:
	s_or_b64 exec, exec, s[58:59]
	v_cmp_gt_u32_e64 s[14:15], 40, v17
	s_and_saveexec_b64 s[58:59], s[14:15]
	s_cbranch_execnz .LBB183_523
.LBB183_100:
	s_or_b64 exec, exec, s[58:59]
	v_cmp_gt_u32_e64 s[14:15], 32, v17
	s_and_saveexec_b64 s[58:59], s[14:15]
	s_cbranch_execnz .LBB183_524
.LBB183_101:
	s_or_b64 exec, exec, s[58:59]
	v_cmp_gt_u32_e64 s[14:15], 24, v17
	s_and_saveexec_b64 s[58:59], s[14:15]
	s_cbranch_execnz .LBB183_525
.LBB183_102:
	s_or_b64 exec, exec, s[58:59]
	s_and_saveexec_b64 s[14:15], s[16:17]
	s_cbranch_execnz .LBB183_526
.LBB183_103:
	s_or_b64 exec, exec, s[14:15]
	v_cmp_gt_u32_e64 s[14:15], 8, v17
	s_and_saveexec_b64 s[58:59], s[14:15]
	s_cbranch_execz .LBB183_105
.LBB183_104:
	v_lshlrev_b32_e32 v30, 4, v0
	v_mov_b32_e32 v26, 0
	ds_read_b128 v[26:29], v26 offset:16368
	ds_read_b128 v[30:33], v30 offset:16128
	s_waitcnt lgkmcnt(0)
	v_mul_f64 v[34:35], v[28:29], v[32:33]
	v_mul_f64 v[32:33], v[26:27], v[32:33]
	v_fma_f64 v[26:27], v[26:27], v[30:31], -v[34:35]
	v_fma_f64 v[28:29], v[28:29], v[30:31], v[32:33]
	v_add_f64 v[10:11], v[10:11], v[26:27]
	v_add_f64 v[12:13], v[12:13], v[28:29]
.LBB183_105:
	s_or_b64 exec, exec, s[58:59]
.LBB183_106:
	s_or_b64 exec, exec, s[18:19]
	v_mov_b32_e32 v26, 0x4000
	v_cmp_eq_u32_e64 s[14:15], 7, v21
	s_xor_b64 s[18:19], s[12:13], -1
	v_lshl_add_u32 v25, v25, 4, v26
	s_and_b64 s[60:61], s[14:15], s[18:19]
	s_and_saveexec_b64 s[12:13], s[60:61]
; %bb.107:
	v_xor_b32_e32 v27, 0x80000000, v11
	v_xor_b32_e32 v29, 0x80000000, v13
	v_mov_b32_e32 v26, v10
	v_mov_b32_e32 v28, v12
	ds_write_b128 v25, v[26:29]
; %bb.108:
	s_or_b64 exec, exec, s[12:13]
	v_cmp_ne_u32_e64 s[12:13], 7, v21
	s_and_b64 s[62:63], s[12:13], s[18:19]
	s_waitcnt lgkmcnt(0)
	s_barrier
	s_and_saveexec_b64 s[12:13], s[62:63]
	s_cbranch_execz .LBB183_110
; %bb.109:
	v_lshlrev_b32_e32 v30, 4, v21
	ds_read_b128 v[26:29], v25
	ds_read_b128 v[30:33], v30 offset:12032
	s_waitcnt lgkmcnt(0)
	v_mul_f64 v[34:35], v[28:29], v[32:33]
	v_mul_f64 v[32:33], v[26:27], v[32:33]
	v_fma_f64 v[26:27], v[26:27], v[30:31], -v[34:35]
	v_fma_f64 v[28:29], v[28:29], v[30:31], v[32:33]
	v_add_f64 v[10:11], v[10:11], -v[26:27]
	v_add_f64 v[12:13], v[12:13], -v[28:29]
.LBB183_110:
	s_or_b64 exec, exec, s[12:13]
	v_cmp_eq_u32_e64 s[12:13], 6, v21
	s_and_b64 s[64:65], s[12:13], s[18:19]
	s_barrier
	s_and_saveexec_b64 s[12:13], s[64:65]
; %bb.111:
	v_xor_b32_e32 v27, 0x80000000, v11
	v_xor_b32_e32 v29, 0x80000000, v13
	v_mov_b32_e32 v26, v10
	v_mov_b32_e32 v28, v12
	ds_write_b128 v25, v[26:29]
; %bb.112:
	s_or_b64 exec, exec, s[12:13]
	v_cmp_gt_u32_e64 s[12:13], 6, v21
	s_and_b64 s[66:67], s[12:13], s[18:19]
	s_waitcnt lgkmcnt(0)
	s_barrier
	s_and_saveexec_b64 s[12:13], s[66:67]
	s_cbranch_execz .LBB183_114
; %bb.113:
	v_lshlrev_b32_e32 v30, 4, v21
	ds_read_b128 v[26:29], v25
	ds_read_b128 v[30:33], v30 offset:11520
	s_waitcnt lgkmcnt(0)
	v_mul_f64 v[34:35], v[28:29], v[32:33]
	v_mul_f64 v[32:33], v[26:27], v[32:33]
	v_fma_f64 v[26:27], v[26:27], v[30:31], -v[34:35]
	v_fma_f64 v[28:29], v[28:29], v[30:31], v[32:33]
	v_add_f64 v[10:11], v[10:11], -v[26:27]
	v_add_f64 v[12:13], v[12:13], -v[28:29]
.LBB183_114:
	s_or_b64 exec, exec, s[12:13]
	v_cmp_eq_u32_e64 s[12:13], 5, v21
	s_and_b64 s[68:69], s[12:13], s[18:19]
	s_barrier
	s_and_saveexec_b64 s[12:13], s[68:69]
; %bb.115:
	v_xor_b32_e32 v27, 0x80000000, v11
	v_xor_b32_e32 v29, 0x80000000, v13
	v_mov_b32_e32 v26, v10
	v_mov_b32_e32 v28, v12
	ds_write_b128 v25, v[26:29]
; %bb.116:
	s_or_b64 exec, exec, s[12:13]
	v_cmp_gt_u32_e64 s[12:13], 5, v21
	;; [unrolled: 31-line block ×5, first 2 shown]
	s_and_b64 s[82:83], s[12:13], s[18:19]
	s_waitcnt lgkmcnt(0)
	s_barrier
	s_and_saveexec_b64 s[12:13], s[82:83]
	s_cbranch_execz .LBB183_130
; %bb.129:
	v_lshlrev_b32_e32 v30, 4, v21
	ds_read_b128 v[26:29], v25
	ds_read_b128 v[30:33], v30 offset:9472
	s_waitcnt lgkmcnt(0)
	v_mul_f64 v[34:35], v[28:29], v[32:33]
	v_mul_f64 v[32:33], v[26:27], v[32:33]
	v_fma_f64 v[26:27], v[26:27], v[30:31], -v[34:35]
	v_fma_f64 v[28:29], v[28:29], v[30:31], v[32:33]
	v_add_f64 v[10:11], v[10:11], -v[26:27]
	v_add_f64 v[12:13], v[12:13], -v[28:29]
.LBB183_130:
	s_or_b64 exec, exec, s[12:13]
	v_cmp_eq_u32_e64 s[12:13], 1, v21
	s_and_b64 s[84:85], s[12:13], s[18:19]
	s_barrier
	s_and_saveexec_b64 s[12:13], s[84:85]
; %bb.131:
	v_xor_b32_e32 v27, 0x80000000, v11
	v_xor_b32_e32 v29, 0x80000000, v13
	v_mov_b32_e32 v26, v10
	v_mov_b32_e32 v28, v12
	ds_write_b128 v25, v[26:29]
; %bb.132:
	s_or_b64 exec, exec, s[12:13]
	v_cmp_eq_u32_e64 s[12:13], 0, v21
	s_and_b64 s[58:59], s[12:13], s[18:19]
	s_waitcnt lgkmcnt(0)
	s_barrier
	s_and_saveexec_b64 s[12:13], s[58:59]
	s_cbranch_execz .LBB183_134
; %bb.133:
	v_mov_b32_e32 v30, 0
	ds_read_b128 v[26:29], v25
	ds_read_b128 v[30:33], v30 offset:8960
	s_waitcnt lgkmcnt(0)
	v_mul_f64 v[34:35], v[28:29], v[32:33]
	v_mul_f64 v[32:33], v[26:27], v[32:33]
	v_fma_f64 v[26:27], v[26:27], v[30:31], -v[34:35]
	v_fma_f64 v[28:29], v[28:29], v[30:31], v[32:33]
	v_add_f64 v[10:11], v[10:11], -v[26:27]
	v_add_f64 v[12:13], v[12:13], -v[28:29]
.LBB183_134:
	s_or_b64 exec, exec, s[12:13]
	s_barrier
	s_and_saveexec_b64 s[12:13], s[58:59]
; %bb.135:
	v_xor_b32_e32 v27, 0x80000000, v11
	v_xor_b32_e32 v29, 0x80000000, v13
	v_mov_b32_e32 v26, v10
	v_mov_b32_e32 v28, v12
	ds_write_b128 v25, v[26:29]
; %bb.136:
	s_or_b64 exec, exec, s[12:13]
	s_waitcnt lgkmcnt(0)
	s_barrier
	s_barrier
	s_and_saveexec_b64 s[12:13], s[8:9]
; %bb.137:
	v_lshlrev_b32_e32 v26, 4, v21
	v_lshl_or_b32 v26, v24, 9, v26
	ds_write_b128 v26, v[10:13] offset:12544
; %bb.138:
	s_or_b64 exec, exec, s[12:13]
	v_cmp_gt_u32_e64 s[12:13], 8, v0
	s_and_b64 s[86:87], s[10:11], s[12:13]
	s_waitcnt lgkmcnt(0)
	s_barrier
	s_barrier
	s_and_saveexec_b64 s[12:13], s[86:87]
	s_cbranch_execz .LBB183_140
; %bb.139:
	v_lshlrev_b32_e32 v26, 9, v0
	ds_read_b128 v[10:13], v26 offset:12544
	s_movk_i32 s14, 0xfe10
	v_mad_i32_i24 v27, v0, s14, v26
	s_waitcnt lgkmcnt(0)
	ds_write_b128 v27, v[10:13] offset:8576
	ds_read_b128 v[10:13], v26 offset:12560
	s_waitcnt lgkmcnt(0)
	ds_write_b128 v27, v[10:13] offset:9088
	ds_read_b128 v[10:13], v26 offset:12576
	;; [unrolled: 3-line block ×7, first 2 shown]
	s_waitcnt lgkmcnt(0)
	ds_write_b128 v27, v[10:13] offset:12160
.LBB183_140:
	s_or_b64 exec, exec, s[12:13]
	s_waitcnt lgkmcnt(0)
	s_barrier
	s_and_saveexec_b64 s[12:13], vcc
	s_cbranch_execz .LBB183_142
; %bb.141:
	v_mov_b32_e32 v30, 0
	s_mov_b32 s88, 0
	ds_read_b128 v[10:13], v30 offset:12128
	s_mov_b32 s89, 0x3ff00000
	s_mov_b32 s90, s88
	;; [unrolled: 1-line block ×3, first 2 shown]
	v_mov_b32_e32 v26, s88
	v_mov_b32_e32 v27, s89
	;; [unrolled: 1-line block ×4, first 2 shown]
	ds_write_b128 v30, v[26:29] offset:11616
	ds_write_b128 v30, v[26:29] offset:12144
	s_waitcnt lgkmcnt(2)
	ds_write_b128 v30, v[10:13] offset:11632
.LBB183_142:
	s_or_b64 exec, exec, s[12:13]
	v_mov_b32_e32 v10, 0
	v_mov_b32_e32 v12, 0
	;; [unrolled: 1-line block ×4, first 2 shown]
	s_waitcnt lgkmcnt(0)
	s_barrier
	buffer_wbinvl1_vol
	s_and_saveexec_b64 s[14:15], s[2:3]
	s_cbranch_execz .LBB183_146
; %bb.143:
	v_lshlrev_b32_e32 v26, 4, v14
	v_lshlrev_b32_e32 v10, 9, v15
	ds_read_b128 v[10:13], v10 offset:11616
	ds_read_b128 v[26:29], v26 offset:11584
	v_cmp_gt_u32_e64 s[12:13], 2, v17
	s_waitcnt lgkmcnt(0)
	v_mul_f64 v[30:31], v[12:13], v[28:29]
	v_mul_f64 v[28:29], v[10:11], v[28:29]
	v_fma_f64 v[10:11], v[10:11], v[26:27], -v[30:31]
	v_fma_f64 v[12:13], v[12:13], v[26:27], v[28:29]
	v_add_f64 v[10:11], v[10:11], 0
	v_add_f64 v[12:13], v[12:13], 0
	s_and_saveexec_b64 s[18:19], s[12:13]
	s_cbranch_execz .LBB183_145
; %bb.144:
	v_lshlrev_b32_e32 v30, 4, v0
	v_mov_b32_e32 v26, 0
	ds_read_b128 v[26:29], v26 offset:12144
	ds_read_b128 v[30:33], v30 offset:12096
	s_waitcnt lgkmcnt(0)
	v_mul_f64 v[34:35], v[28:29], v[32:33]
	v_mul_f64 v[32:33], v[26:27], v[32:33]
	v_fma_f64 v[26:27], v[26:27], v[30:31], -v[34:35]
	v_fma_f64 v[28:29], v[28:29], v[30:31], v[32:33]
	v_add_f64 v[10:11], v[10:11], v[26:27]
	v_add_f64 v[12:13], v[12:13], v[28:29]
.LBB183_145:
	s_or_b64 exec, exec, s[18:19]
.LBB183_146:
	s_or_b64 exec, exec, s[14:15]
	s_and_saveexec_b64 s[12:13], s[40:41]
; %bb.147:
	v_xor_b32_e32 v27, 0x80000000, v11
	v_xor_b32_e32 v29, 0x80000000, v13
	v_mov_b32_e32 v26, v10
	v_mov_b32_e32 v28, v12
	ds_write_b128 v16, v[26:29]
; %bb.148:
	s_or_b64 exec, exec, s[12:13]
	s_waitcnt lgkmcnt(0)
	s_barrier
	s_and_saveexec_b64 s[12:13], s[38:39]
	s_cbranch_execz .LBB183_150
; %bb.149:
	v_mov_b32_e32 v30, 0
	ds_read_b128 v[26:29], v16
	ds_read_b128 v[30:33], v30 offset:11072
	s_waitcnt lgkmcnt(0)
	v_mul_f64 v[34:35], v[26:27], v[30:31]
	v_mul_f64 v[26:27], v[26:27], v[32:33]
	v_fma_f64 v[32:33], v[28:29], v[32:33], -v[34:35]
	v_fma_f64 v[26:27], v[28:29], v[30:31], v[26:27]
	v_add_f64 v[10:11], v[10:11], v[32:33]
	v_add_f64 v[12:13], v[12:13], -v[26:27]
.LBB183_150:
	s_or_b64 exec, exec, s[12:13]
	s_barrier
	s_and_saveexec_b64 s[12:13], s[38:39]
; %bb.151:
	v_xor_b32_e32 v27, 0x80000000, v11
	v_xor_b32_e32 v29, 0x80000000, v13
	v_mov_b32_e32 v26, v10
	v_mov_b32_e32 v28, v12
	ds_write_b128 v16, v[26:29]
; %bb.152:
	s_or_b64 exec, exec, s[12:13]
	s_waitcnt lgkmcnt(0)
	s_barrier
	s_barrier
	s_and_saveexec_b64 s[12:13], s[2:3]
; %bb.153:
	v_lshlrev_b32_e32 v26, 4, v14
	v_lshl_or_b32 v26, v15, 9, v26
	ds_write_b128 v26, v[10:13] offset:11584
; %bb.154:
	s_or_b64 exec, exec, s[12:13]
	s_waitcnt lgkmcnt(0)
	s_barrier
	s_barrier
	s_and_saveexec_b64 s[12:13], s[42:43]
	s_cbranch_execz .LBB183_156
; %bb.155:
	v_lshlrev_b32_e32 v26, 9, v0
	ds_read_b128 v[10:13], v26 offset:11584
	s_movk_i32 s14, 0xfe10
	v_mad_i32_i24 v27, v0, s14, v26
	s_waitcnt lgkmcnt(0)
	ds_write_b128 v27, v[10:13] offset:10592
	ds_read_b128 v[10:13], v26 offset:11600
	s_waitcnt lgkmcnt(0)
	ds_write_b128 v27, v[10:13] offset:11104
.LBB183_156:
	s_or_b64 exec, exec, s[12:13]
	s_waitcnt lgkmcnt(0)
	s_barrier
	s_and_saveexec_b64 s[12:13], vcc
	s_cbranch_execz .LBB183_158
; %bb.157:
	v_mov_b32_e32 v30, 0
	s_mov_b32 s88, 0
	ds_read_b128 v[10:13], v30 offset:11072
	s_mov_b32 s89, 0x3ff00000
	s_mov_b32 s90, s88
	;; [unrolled: 1-line block ×3, first 2 shown]
	v_mov_b32_e32 v26, s88
	v_mov_b32_e32 v27, s89
	;; [unrolled: 1-line block ×4, first 2 shown]
	ds_write_b128 v30, v[26:29] offset:10560
	ds_write_b128 v30, v[26:29] offset:11088
	s_waitcnt lgkmcnt(2)
	ds_write_b128 v30, v[10:13] offset:10576
.LBB183_158:
	s_or_b64 exec, exec, s[12:13]
	v_mov_b32_e32 v12, 0
	v_mov_b32_e32 v10, 0
	;; [unrolled: 1-line block ×4, first 2 shown]
	s_waitcnt lgkmcnt(0)
	s_barrier
	buffer_wbinvl1_vol
	s_and_saveexec_b64 s[14:15], s[16:17]
	s_cbranch_execz .LBB183_164
; %bb.159:
	v_lshlrev_b32_e32 v27, 9, v19
	v_lshlrev_b32_e32 v26, 4, v18
	ds_read_b128 v[10:13], v27 offset:10560
	ds_read_b128 v[28:31], v26 offset:10496
	v_cmp_gt_u32_e64 s[12:13], 12, v17
	s_waitcnt lgkmcnt(0)
	v_mul_f64 v[32:33], v[12:13], v[30:31]
	v_mul_f64 v[30:31], v[10:11], v[30:31]
	v_fma_f64 v[10:11], v[10:11], v[28:29], -v[32:33]
	v_fma_f64 v[12:13], v[12:13], v[28:29], v[30:31]
	v_add_f64 v[10:11], v[10:11], 0
	v_add_f64 v[12:13], v[12:13], 0
	s_and_saveexec_b64 s[18:19], s[12:13]
	s_cbranch_execnz .LBB183_527
; %bb.160:
	s_or_b64 exec, exec, s[18:19]
	v_cmp_gt_u32_e64 s[12:13], 8, v17
	s_and_saveexec_b64 s[18:19], s[12:13]
	s_cbranch_execnz .LBB183_528
.LBB183_161:
	s_or_b64 exec, exec, s[18:19]
	v_cmp_gt_u32_e64 s[12:13], 4, v17
	s_and_saveexec_b64 s[18:19], s[12:13]
	s_cbranch_execz .LBB183_163
.LBB183_162:
	v_lshlrev_b32_e32 v30, 4, v0
	v_mov_b32_e32 v26, 0
	ds_read_b128 v[26:29], v26 offset:12144
	ds_read_b128 v[30:33], v30 offset:12032
	s_waitcnt lgkmcnt(0)
	v_mul_f64 v[34:35], v[28:29], v[32:33]
	v_mul_f64 v[32:33], v[26:27], v[32:33]
	v_fma_f64 v[26:27], v[26:27], v[30:31], -v[34:35]
	v_fma_f64 v[28:29], v[28:29], v[30:31], v[32:33]
	v_add_f64 v[10:11], v[10:11], v[26:27]
	v_add_f64 v[12:13], v[12:13], v[28:29]
.LBB183_163:
	s_or_b64 exec, exec, s[18:19]
.LBB183_164:
	s_or_b64 exec, exec, s[14:15]
	s_and_saveexec_b64 s[12:13], s[46:47]
; %bb.165:
	v_xor_b32_e32 v29, 0x80000000, v13
	v_xor_b32_e32 v27, 0x80000000, v11
	v_mov_b32_e32 v26, v10
	v_mov_b32_e32 v28, v12
	ds_write_b128 v20, v[26:29]
; %bb.166:
	s_or_b64 exec, exec, s[12:13]
	s_waitcnt lgkmcnt(0)
	s_barrier
	s_and_saveexec_b64 s[12:13], s[48:49]
	s_cbranch_execz .LBB183_168
; %bb.167:
	v_lshlrev_b32_e32 v30, 4, v18
	ds_read_b128 v[26:29], v20
	ds_read_b128 v[30:33], v30 offset:9984
	s_waitcnt lgkmcnt(0)
	v_mul_f64 v[34:35], v[28:29], v[32:33]
	v_mul_f64 v[32:33], v[26:27], v[32:33]
	v_fma_f64 v[26:27], v[26:27], v[30:31], -v[34:35]
	v_fma_f64 v[28:29], v[28:29], v[30:31], v[32:33]
	v_add_f64 v[10:11], v[10:11], -v[26:27]
	v_add_f64 v[12:13], v[12:13], -v[28:29]
.LBB183_168:
	s_or_b64 exec, exec, s[12:13]
	s_barrier
	s_and_saveexec_b64 s[12:13], s[50:51]
; %bb.169:
	v_xor_b32_e32 v29, 0x80000000, v13
	v_xor_b32_e32 v27, 0x80000000, v11
	v_mov_b32_e32 v26, v10
	v_mov_b32_e32 v28, v12
	ds_write_b128 v20, v[26:29]
; %bb.170:
	s_or_b64 exec, exec, s[12:13]
	s_waitcnt lgkmcnt(0)
	s_barrier
	s_and_saveexec_b64 s[12:13], s[52:53]
	s_cbranch_execz .LBB183_172
; %bb.171:
	v_lshlrev_b32_e32 v30, 4, v18
	ds_read_b128 v[26:29], v20
	ds_read_b128 v[30:33], v30 offset:9472
	s_waitcnt lgkmcnt(0)
	v_mul_f64 v[34:35], v[28:29], v[32:33]
	v_mul_f64 v[32:33], v[26:27], v[32:33]
	v_fma_f64 v[26:27], v[26:27], v[30:31], -v[34:35]
	v_fma_f64 v[28:29], v[28:29], v[30:31], v[32:33]
	v_add_f64 v[10:11], v[10:11], -v[26:27]
	v_add_f64 v[12:13], v[12:13], -v[28:29]
.LBB183_172:
	s_or_b64 exec, exec, s[12:13]
	s_barrier
	s_and_saveexec_b64 s[12:13], s[54:55]
; %bb.173:
	v_xor_b32_e32 v29, 0x80000000, v13
	v_xor_b32_e32 v27, 0x80000000, v11
	v_mov_b32_e32 v26, v10
	v_mov_b32_e32 v28, v12
	ds_write_b128 v20, v[26:29]
; %bb.174:
	s_or_b64 exec, exec, s[12:13]
	s_waitcnt lgkmcnt(0)
	s_barrier
	s_and_saveexec_b64 s[12:13], s[44:45]
	s_cbranch_execz .LBB183_176
; %bb.175:
	v_mov_b32_e32 v30, 0
	ds_read_b128 v[26:29], v20
	ds_read_b128 v[30:33], v30 offset:8960
	s_waitcnt lgkmcnt(0)
	v_mul_f64 v[34:35], v[28:29], v[32:33]
	v_mul_f64 v[32:33], v[26:27], v[32:33]
	v_fma_f64 v[26:27], v[26:27], v[30:31], -v[34:35]
	v_fma_f64 v[28:29], v[28:29], v[30:31], v[32:33]
	v_add_f64 v[10:11], v[10:11], -v[26:27]
	v_add_f64 v[12:13], v[12:13], -v[28:29]
.LBB183_176:
	s_or_b64 exec, exec, s[12:13]
	s_barrier
	s_and_saveexec_b64 s[12:13], s[44:45]
; %bb.177:
	v_xor_b32_e32 v29, 0x80000000, v13
	v_xor_b32_e32 v27, 0x80000000, v11
	v_mov_b32_e32 v26, v10
	v_mov_b32_e32 v28, v12
	ds_write_b128 v20, v[26:29]
; %bb.178:
	s_or_b64 exec, exec, s[12:13]
	s_waitcnt lgkmcnt(0)
	s_barrier
	s_barrier
	s_and_saveexec_b64 s[12:13], s[16:17]
; %bb.179:
	v_lshlrev_b32_e32 v26, 4, v18
	v_lshl_or_b32 v26, v19, 9, v26
	ds_write_b128 v26, v[10:13] offset:10496
; %bb.180:
	s_or_b64 exec, exec, s[12:13]
	s_waitcnt lgkmcnt(0)
	s_barrier
	s_barrier
	s_and_saveexec_b64 s[12:13], s[56:57]
	s_cbranch_execz .LBB183_182
; %bb.181:
	v_lshlrev_b32_e32 v26, 4, v0
	s_movk_i32 s14, 0x1f0
	v_mad_u32_u24 v27, v0, s14, v26
	ds_read_b128 v[10:13], v27 offset:10496
	s_waitcnt lgkmcnt(0)
	ds_write_b128 v26, v[10:13] offset:8512
	ds_read_b128 v[10:13], v27 offset:10512
	s_waitcnt lgkmcnt(0)
	ds_write_b128 v26, v[10:13] offset:9024
	;; [unrolled: 3-line block ×4, first 2 shown]
.LBB183_182:
	s_or_b64 exec, exec, s[12:13]
	s_waitcnt lgkmcnt(0)
	s_barrier
	s_and_saveexec_b64 s[12:13], vcc
	s_cbranch_execz .LBB183_184
; %bb.183:
	v_mov_b32_e32 v30, 0
	s_mov_b32 s88, 0
	ds_read_b128 v[10:13], v30 offset:10016
	s_mov_b32 s89, 0x3ff00000
	s_mov_b32 s90, s88
	;; [unrolled: 1-line block ×3, first 2 shown]
	v_mov_b32_e32 v26, s88
	v_mov_b32_e32 v27, s89
	;; [unrolled: 1-line block ×4, first 2 shown]
	ds_write_b128 v30, v[26:29] offset:9504
	ds_write_b128 v30, v[26:29] offset:10032
	s_waitcnt lgkmcnt(2)
	ds_write_b128 v30, v[10:13] offset:9520
.LBB183_184:
	s_or_b64 exec, exec, s[12:13]
	v_mov_b32_e32 v10, 0
	v_mov_b32_e32 v12, 0
	;; [unrolled: 1-line block ×4, first 2 shown]
	s_waitcnt lgkmcnt(0)
	s_barrier
	buffer_wbinvl1_vol
	s_and_saveexec_b64 s[14:15], s[2:3]
	s_cbranch_execz .LBB183_188
; %bb.185:
	v_lshlrev_b32_e32 v26, 4, v14
	v_lshlrev_b32_e32 v10, 9, v15
	ds_read_b128 v[10:13], v10 offset:9504
	ds_read_b128 v[26:29], v26 offset:9472
	v_cmp_gt_u32_e64 s[12:13], 2, v17
	s_waitcnt lgkmcnt(0)
	v_mul_f64 v[30:31], v[12:13], v[28:29]
	v_mul_f64 v[28:29], v[10:11], v[28:29]
	v_fma_f64 v[10:11], v[10:11], v[26:27], -v[30:31]
	v_fma_f64 v[12:13], v[12:13], v[26:27], v[28:29]
	v_add_f64 v[10:11], v[10:11], 0
	v_add_f64 v[12:13], v[12:13], 0
	s_and_saveexec_b64 s[18:19], s[12:13]
	s_cbranch_execz .LBB183_187
; %bb.186:
	v_lshlrev_b32_e32 v30, 4, v0
	v_mov_b32_e32 v26, 0
	ds_read_b128 v[26:29], v26 offset:10032
	ds_read_b128 v[30:33], v30 offset:9984
	s_waitcnt lgkmcnt(0)
	v_mul_f64 v[34:35], v[28:29], v[32:33]
	v_mul_f64 v[32:33], v[26:27], v[32:33]
	v_fma_f64 v[26:27], v[26:27], v[30:31], -v[34:35]
	v_fma_f64 v[28:29], v[28:29], v[30:31], v[32:33]
	v_add_f64 v[10:11], v[10:11], v[26:27]
	v_add_f64 v[12:13], v[12:13], v[28:29]
.LBB183_187:
	s_or_b64 exec, exec, s[18:19]
.LBB183_188:
	s_or_b64 exec, exec, s[14:15]
	s_and_saveexec_b64 s[12:13], s[40:41]
; %bb.189:
	v_xor_b32_e32 v27, 0x80000000, v11
	v_xor_b32_e32 v29, 0x80000000, v13
	v_mov_b32_e32 v26, v10
	v_mov_b32_e32 v28, v12
	ds_write_b128 v16, v[26:29]
; %bb.190:
	s_or_b64 exec, exec, s[12:13]
	s_waitcnt lgkmcnt(0)
	s_barrier
	s_and_saveexec_b64 s[12:13], s[38:39]
	s_cbranch_execz .LBB183_192
; %bb.191:
	v_mov_b32_e32 v30, 0
	ds_read_b128 v[26:29], v16
	ds_read_b128 v[30:33], v30 offset:8960
	s_waitcnt lgkmcnt(0)
	v_mul_f64 v[34:35], v[26:27], v[30:31]
	v_mul_f64 v[26:27], v[26:27], v[32:33]
	v_fma_f64 v[32:33], v[28:29], v[32:33], -v[34:35]
	v_fma_f64 v[26:27], v[28:29], v[30:31], v[26:27]
	v_add_f64 v[10:11], v[10:11], v[32:33]
	v_add_f64 v[12:13], v[12:13], -v[26:27]
.LBB183_192:
	s_or_b64 exec, exec, s[12:13]
	s_barrier
	s_and_saveexec_b64 s[12:13], s[38:39]
; %bb.193:
	v_xor_b32_e32 v27, 0x80000000, v11
	v_xor_b32_e32 v29, 0x80000000, v13
	v_mov_b32_e32 v26, v10
	v_mov_b32_e32 v28, v12
	ds_write_b128 v16, v[26:29]
; %bb.194:
	s_or_b64 exec, exec, s[12:13]
	s_waitcnt lgkmcnt(0)
	s_barrier
	s_barrier
	s_and_saveexec_b64 s[12:13], s[2:3]
; %bb.195:
	v_lshlrev_b32_e32 v26, 4, v14
	v_lshl_or_b32 v26, v15, 9, v26
	ds_write_b128 v26, v[10:13] offset:9472
; %bb.196:
	s_or_b64 exec, exec, s[12:13]
	s_waitcnt lgkmcnt(0)
	s_barrier
	s_barrier
	s_and_saveexec_b64 s[12:13], s[42:43]
	s_cbranch_execz .LBB183_198
; %bb.197:
	v_lshlrev_b32_e32 v26, 9, v0
	ds_read_b128 v[10:13], v26 offset:9472
	s_movk_i32 s14, 0xfe10
	v_mad_i32_i24 v27, v0, s14, v26
	s_waitcnt lgkmcnt(0)
	ds_write_b128 v27, v[10:13] offset:8480
	ds_read_b128 v[10:13], v26 offset:9488
	s_waitcnt lgkmcnt(0)
	ds_write_b128 v27, v[10:13] offset:8992
.LBB183_198:
	s_or_b64 exec, exec, s[12:13]
	s_waitcnt lgkmcnt(0)
	s_barrier
	s_and_saveexec_b64 s[12:13], vcc
	s_cbranch_execz .LBB183_200
; %bb.199:
	v_mov_b32_e32 v30, 0
	s_mov_b32 s88, 0
	ds_read_b128 v[10:13], v30 offset:8960
	s_mov_b32 s89, 0x3ff00000
	s_mov_b32 s90, s88
	;; [unrolled: 1-line block ×3, first 2 shown]
	v_mov_b32_e32 v26, s88
	v_mov_b32_e32 v27, s89
	;; [unrolled: 1-line block ×4, first 2 shown]
	ds_write_b128 v30, v[26:29] offset:8448
	ds_write_b128 v30, v[26:29] offset:8976
	s_waitcnt lgkmcnt(2)
	ds_write_b128 v30, v[10:13] offset:8464
.LBB183_200:
	s_or_b64 exec, exec, s[12:13]
	s_movk_i32 s12, 0xff
	v_lshrrev_b32_e32 v28, 4, v17
	v_cmp_lt_u32_e64 s[14:15], s12, v17
	s_movk_i32 s12, 0x100
	v_mov_b32_e32 v12, 0
	v_mov_b32_e32 v10, 0
	v_and_b32_e32 v26, 15, v0
	v_sub_u32_e32 v27, 15, v28
	v_mov_b32_e32 v13, 0
	v_mov_b32_e32 v11, 0
	v_cmp_gt_u32_e64 s[12:13], s12, v17
	s_waitcnt lgkmcnt(0)
	s_barrier
	buffer_wbinvl1_vol
	s_and_saveexec_b64 s[88:89], s[12:13]
	s_cbranch_execz .LBB183_228
; %bb.201:
	v_lshlrev_b32_e32 v30, 9, v27
	v_lshlrev_b32_e32 v29, 4, v26
	ds_read_b128 v[10:13], v30 offset:8448
	ds_read_b128 v[31:34], v29 offset:8192
	s_movk_i32 s18, 0xf0
	v_cmp_gt_u32_e64 s[18:19], s18, v17
	s_waitcnt lgkmcnt(0)
	v_mul_f64 v[35:36], v[12:13], v[33:34]
	v_mul_f64 v[33:34], v[10:11], v[33:34]
	v_fma_f64 v[10:11], v[10:11], v[31:32], -v[35:36]
	v_fma_f64 v[12:13], v[12:13], v[31:32], v[33:34]
	v_add_f64 v[10:11], v[10:11], 0
	v_add_f64 v[12:13], v[12:13], 0
	s_and_saveexec_b64 s[90:91], s[18:19]
	s_cbranch_execz .LBB183_203
; %bb.202:
	ds_read_b128 v[31:34], v30 offset:8464
	ds_read_b128 v[35:38], v29 offset:8704
	s_waitcnt lgkmcnt(0)
	v_mul_f64 v[39:40], v[33:34], v[37:38]
	v_mul_f64 v[37:38], v[31:32], v[37:38]
	v_fma_f64 v[31:32], v[31:32], v[35:36], -v[39:40]
	v_fma_f64 v[33:34], v[33:34], v[35:36], v[37:38]
	v_add_f64 v[10:11], v[10:11], v[31:32]
	v_add_f64 v[12:13], v[12:13], v[33:34]
.LBB183_203:
	s_or_b64 exec, exec, s[90:91]
	s_movk_i32 s18, 0xe0
	v_cmp_gt_u32_e64 s[18:19], s18, v17
	s_and_saveexec_b64 s[90:91], s[18:19]
	s_cbranch_execz .LBB183_205
; %bb.204:
	ds_read_b128 v[31:34], v30 offset:8480
	ds_read_b128 v[35:38], v29 offset:9216
	s_waitcnt lgkmcnt(0)
	v_mul_f64 v[39:40], v[33:34], v[37:38]
	v_mul_f64 v[37:38], v[31:32], v[37:38]
	v_fma_f64 v[31:32], v[31:32], v[35:36], -v[39:40]
	v_fma_f64 v[33:34], v[33:34], v[35:36], v[37:38]
	v_add_f64 v[10:11], v[10:11], v[31:32]
	v_add_f64 v[12:13], v[12:13], v[33:34]
.LBB183_205:
	s_or_b64 exec, exec, s[90:91]
	s_movk_i32 s18, 0xd0
	v_cmp_gt_u32_e64 s[18:19], s18, v17
	;; [unrolled: 16-line block ×10, first 2 shown]
	s_and_saveexec_b64 s[90:91], s[18:19]
	s_cbranch_execnz .LBB183_529
; %bb.222:
	s_or_b64 exec, exec, s[90:91]
	s_and_saveexec_b64 s[18:19], s[8:9]
	s_cbranch_execnz .LBB183_530
.LBB183_223:
	s_or_b64 exec, exec, s[18:19]
	v_cmp_gt_u32_e64 s[18:19], 48, v17
	s_and_saveexec_b64 s[90:91], s[18:19]
	s_cbranch_execnz .LBB183_531
.LBB183_224:
	s_or_b64 exec, exec, s[90:91]
	v_cmp_gt_u32_e64 s[18:19], 32, v17
	s_and_saveexec_b64 s[90:91], s[18:19]
	s_cbranch_execnz .LBB183_532
.LBB183_225:
	s_or_b64 exec, exec, s[90:91]
	v_cmp_gt_u32_e64 s[18:19], 16, v17
	s_and_saveexec_b64 s[90:91], s[18:19]
	s_cbranch_execz .LBB183_227
.LBB183_226:
	v_lshlrev_b32_e32 v33, 4, v0
	v_mov_b32_e32 v29, 0
	ds_read_b128 v[29:32], v29 offset:16368
	ds_read_b128 v[33:36], v33 offset:15872
	s_waitcnt lgkmcnt(0)
	v_mul_f64 v[37:38], v[31:32], v[35:36]
	v_mul_f64 v[35:36], v[29:30], v[35:36]
	v_fma_f64 v[29:30], v[29:30], v[33:34], -v[37:38]
	v_fma_f64 v[31:32], v[31:32], v[33:34], v[35:36]
	v_add_f64 v[10:11], v[10:11], v[29:30]
	v_add_f64 v[12:13], v[12:13], v[31:32]
.LBB183_227:
	s_or_b64 exec, exec, s[90:91]
.LBB183_228:
	s_or_b64 exec, exec, s[88:89]
	v_mov_b32_e32 v29, 0x4000
	v_cmp_eq_u32_e64 s[18:19], 15, v26
	s_xor_b64 s[88:89], s[14:15], -1
	v_lshl_add_u32 v28, v28, 4, v29
	s_and_b64 s[18:19], s[18:19], s[88:89]
	s_and_saveexec_b64 s[14:15], s[18:19]
; %bb.229:
	v_xor_b32_e32 v32, 0x80000000, v13
	v_xor_b32_e32 v30, 0x80000000, v11
	v_mov_b32_e32 v29, v10
	v_mov_b32_e32 v31, v12
	ds_write_b128 v28, v[29:32]
; %bb.230:
	s_or_b64 exec, exec, s[14:15]
	v_cmp_ne_u32_e64 s[14:15], 15, v26
	s_and_b64 s[18:19], s[14:15], s[88:89]
	s_waitcnt lgkmcnt(0)
	s_barrier
	s_and_saveexec_b64 s[14:15], s[18:19]
	s_cbranch_execz .LBB183_232
; %bb.231:
	v_lshlrev_b32_e32 v33, 4, v26
	ds_read_b128 v[29:32], v28
	ds_read_b128 v[33:36], v33 offset:7680
	s_waitcnt lgkmcnt(0)
	v_mul_f64 v[37:38], v[31:32], v[35:36]
	v_mul_f64 v[35:36], v[29:30], v[35:36]
	v_fma_f64 v[29:30], v[29:30], v[33:34], -v[37:38]
	v_fma_f64 v[31:32], v[31:32], v[33:34], v[35:36]
	v_add_f64 v[10:11], v[10:11], -v[29:30]
	v_add_f64 v[12:13], v[12:13], -v[31:32]
.LBB183_232:
	s_or_b64 exec, exec, s[14:15]
	v_cmp_eq_u32_e64 s[14:15], 14, v26
	s_and_b64 s[18:19], s[14:15], s[88:89]
	s_barrier
	s_and_saveexec_b64 s[14:15], s[18:19]
; %bb.233:
	v_xor_b32_e32 v32, 0x80000000, v13
	v_xor_b32_e32 v30, 0x80000000, v11
	v_mov_b32_e32 v29, v10
	v_mov_b32_e32 v31, v12
	ds_write_b128 v28, v[29:32]
; %bb.234:
	s_or_b64 exec, exec, s[14:15]
	v_cmp_gt_u32_e64 s[14:15], 14, v26
	s_and_b64 s[18:19], s[14:15], s[88:89]
	s_waitcnt lgkmcnt(0)
	s_barrier
	s_and_saveexec_b64 s[14:15], s[18:19]
	s_cbranch_execz .LBB183_236
; %bb.235:
	v_lshlrev_b32_e32 v33, 4, v26
	ds_read_b128 v[29:32], v28
	ds_read_b128 v[33:36], v33 offset:7168
	s_waitcnt lgkmcnt(0)
	v_mul_f64 v[37:38], v[31:32], v[35:36]
	v_mul_f64 v[35:36], v[29:30], v[35:36]
	v_fma_f64 v[29:30], v[29:30], v[33:34], -v[37:38]
	v_fma_f64 v[31:32], v[31:32], v[33:34], v[35:36]
	v_add_f64 v[10:11], v[10:11], -v[29:30]
	v_add_f64 v[12:13], v[12:13], -v[31:32]
.LBB183_236:
	s_or_b64 exec, exec, s[14:15]
	v_cmp_eq_u32_e64 s[14:15], 13, v26
	s_and_b64 s[18:19], s[14:15], s[88:89]
	s_barrier
	s_and_saveexec_b64 s[14:15], s[18:19]
; %bb.237:
	v_xor_b32_e32 v32, 0x80000000, v13
	v_xor_b32_e32 v30, 0x80000000, v11
	v_mov_b32_e32 v29, v10
	v_mov_b32_e32 v31, v12
	ds_write_b128 v28, v[29:32]
; %bb.238:
	s_or_b64 exec, exec, s[14:15]
	v_cmp_gt_u32_e64 s[14:15], 13, v26
	s_and_b64 s[18:19], s[14:15], s[88:89]
	s_waitcnt lgkmcnt(0)
	s_barrier
	s_and_saveexec_b64 s[14:15], s[18:19]
	s_cbranch_execz .LBB183_240
; %bb.239:
	v_lshlrev_b32_e32 v33, 4, v26
	ds_read_b128 v[29:32], v28
	ds_read_b128 v[33:36], v33 offset:6656
	s_waitcnt lgkmcnt(0)
	v_mul_f64 v[37:38], v[31:32], v[35:36]
	v_mul_f64 v[35:36], v[29:30], v[35:36]
	v_fma_f64 v[29:30], v[29:30], v[33:34], -v[37:38]
	v_fma_f64 v[31:32], v[31:32], v[33:34], v[35:36]
	v_add_f64 v[10:11], v[10:11], -v[29:30]
	v_add_f64 v[12:13], v[12:13], -v[31:32]
.LBB183_240:
	s_or_b64 exec, exec, s[14:15]
	v_cmp_eq_u32_e64 s[14:15], 12, v26
	s_and_b64 s[18:19], s[14:15], s[88:89]
	s_barrier
	s_and_saveexec_b64 s[14:15], s[18:19]
; %bb.241:
	v_xor_b32_e32 v32, 0x80000000, v13
	v_xor_b32_e32 v30, 0x80000000, v11
	v_mov_b32_e32 v29, v10
	v_mov_b32_e32 v31, v12
	ds_write_b128 v28, v[29:32]
; %bb.242:
	s_or_b64 exec, exec, s[14:15]
	v_cmp_gt_u32_e64 s[14:15], 12, v26
	s_and_b64 s[18:19], s[14:15], s[88:89]
	s_waitcnt lgkmcnt(0)
	s_barrier
	s_and_saveexec_b64 s[14:15], s[18:19]
	s_cbranch_execz .LBB183_244
; %bb.243:
	v_lshlrev_b32_e32 v33, 4, v26
	ds_read_b128 v[29:32], v28
	ds_read_b128 v[33:36], v33 offset:6144
	s_waitcnt lgkmcnt(0)
	v_mul_f64 v[37:38], v[31:32], v[35:36]
	v_mul_f64 v[35:36], v[29:30], v[35:36]
	v_fma_f64 v[29:30], v[29:30], v[33:34], -v[37:38]
	v_fma_f64 v[31:32], v[31:32], v[33:34], v[35:36]
	v_add_f64 v[10:11], v[10:11], -v[29:30]
	v_add_f64 v[12:13], v[12:13], -v[31:32]
.LBB183_244:
	s_or_b64 exec, exec, s[14:15]
	v_cmp_eq_u32_e64 s[14:15], 11, v26
	s_and_b64 s[18:19], s[14:15], s[88:89]
	s_barrier
	s_and_saveexec_b64 s[14:15], s[18:19]
; %bb.245:
	v_xor_b32_e32 v32, 0x80000000, v13
	v_xor_b32_e32 v30, 0x80000000, v11
	v_mov_b32_e32 v29, v10
	v_mov_b32_e32 v31, v12
	ds_write_b128 v28, v[29:32]
; %bb.246:
	s_or_b64 exec, exec, s[14:15]
	v_cmp_gt_u32_e64 s[14:15], 11, v26
	s_and_b64 s[18:19], s[14:15], s[88:89]
	s_waitcnt lgkmcnt(0)
	s_barrier
	s_and_saveexec_b64 s[14:15], s[18:19]
	s_cbranch_execz .LBB183_248
; %bb.247:
	v_lshlrev_b32_e32 v33, 4, v26
	ds_read_b128 v[29:32], v28
	ds_read_b128 v[33:36], v33 offset:5632
	s_waitcnt lgkmcnt(0)
	v_mul_f64 v[37:38], v[31:32], v[35:36]
	v_mul_f64 v[35:36], v[29:30], v[35:36]
	v_fma_f64 v[29:30], v[29:30], v[33:34], -v[37:38]
	v_fma_f64 v[31:32], v[31:32], v[33:34], v[35:36]
	v_add_f64 v[10:11], v[10:11], -v[29:30]
	v_add_f64 v[12:13], v[12:13], -v[31:32]
.LBB183_248:
	s_or_b64 exec, exec, s[14:15]
	v_cmp_eq_u32_e64 s[14:15], 10, v26
	s_and_b64 s[18:19], s[14:15], s[88:89]
	s_barrier
	s_and_saveexec_b64 s[14:15], s[18:19]
; %bb.249:
	v_xor_b32_e32 v32, 0x80000000, v13
	v_xor_b32_e32 v30, 0x80000000, v11
	v_mov_b32_e32 v29, v10
	v_mov_b32_e32 v31, v12
	ds_write_b128 v28, v[29:32]
; %bb.250:
	s_or_b64 exec, exec, s[14:15]
	v_cmp_gt_u32_e64 s[14:15], 10, v26
	s_and_b64 s[18:19], s[14:15], s[88:89]
	s_waitcnt lgkmcnt(0)
	s_barrier
	s_and_saveexec_b64 s[14:15], s[18:19]
	s_cbranch_execz .LBB183_252
; %bb.251:
	v_lshlrev_b32_e32 v33, 4, v26
	ds_read_b128 v[29:32], v28
	ds_read_b128 v[33:36], v33 offset:5120
	s_waitcnt lgkmcnt(0)
	v_mul_f64 v[37:38], v[31:32], v[35:36]
	v_mul_f64 v[35:36], v[29:30], v[35:36]
	v_fma_f64 v[29:30], v[29:30], v[33:34], -v[37:38]
	v_fma_f64 v[31:32], v[31:32], v[33:34], v[35:36]
	v_add_f64 v[10:11], v[10:11], -v[29:30]
	v_add_f64 v[12:13], v[12:13], -v[31:32]
.LBB183_252:
	s_or_b64 exec, exec, s[14:15]
	v_cmp_eq_u32_e64 s[14:15], 9, v26
	s_and_b64 s[18:19], s[14:15], s[88:89]
	s_barrier
	s_and_saveexec_b64 s[14:15], s[18:19]
; %bb.253:
	v_xor_b32_e32 v32, 0x80000000, v13
	v_xor_b32_e32 v30, 0x80000000, v11
	v_mov_b32_e32 v29, v10
	v_mov_b32_e32 v31, v12
	ds_write_b128 v28, v[29:32]
; %bb.254:
	s_or_b64 exec, exec, s[14:15]
	v_cmp_gt_u32_e64 s[14:15], 9, v26
	s_and_b64 s[18:19], s[14:15], s[88:89]
	s_waitcnt lgkmcnt(0)
	s_barrier
	s_and_saveexec_b64 s[14:15], s[18:19]
	s_cbranch_execz .LBB183_256
; %bb.255:
	v_lshlrev_b32_e32 v33, 4, v26
	ds_read_b128 v[29:32], v28
	ds_read_b128 v[33:36], v33 offset:4608
	s_waitcnt lgkmcnt(0)
	v_mul_f64 v[37:38], v[31:32], v[35:36]
	v_mul_f64 v[35:36], v[29:30], v[35:36]
	v_fma_f64 v[29:30], v[29:30], v[33:34], -v[37:38]
	v_fma_f64 v[31:32], v[31:32], v[33:34], v[35:36]
	v_add_f64 v[10:11], v[10:11], -v[29:30]
	v_add_f64 v[12:13], v[12:13], -v[31:32]
.LBB183_256:
	s_or_b64 exec, exec, s[14:15]
	v_cmp_eq_u32_e64 s[14:15], 8, v26
	s_and_b64 s[18:19], s[14:15], s[88:89]
	s_barrier
	s_and_saveexec_b64 s[14:15], s[18:19]
; %bb.257:
	v_xor_b32_e32 v32, 0x80000000, v13
	v_xor_b32_e32 v30, 0x80000000, v11
	v_mov_b32_e32 v29, v10
	v_mov_b32_e32 v31, v12
	ds_write_b128 v28, v[29:32]
; %bb.258:
	s_or_b64 exec, exec, s[14:15]
	v_cmp_gt_u32_e64 s[14:15], 8, v26
	s_and_b64 s[18:19], s[14:15], s[88:89]
	s_waitcnt lgkmcnt(0)
	s_barrier
	s_and_saveexec_b64 s[14:15], s[18:19]
	s_cbranch_execz .LBB183_260
; %bb.259:
	v_lshlrev_b32_e32 v33, 4, v26
	ds_read_b128 v[29:32], v28
	ds_read_b128 v[33:36], v33 offset:4096
	s_waitcnt lgkmcnt(0)
	v_mul_f64 v[37:38], v[31:32], v[35:36]
	v_mul_f64 v[35:36], v[29:30], v[35:36]
	v_fma_f64 v[29:30], v[29:30], v[33:34], -v[37:38]
	v_fma_f64 v[31:32], v[31:32], v[33:34], v[35:36]
	v_add_f64 v[10:11], v[10:11], -v[29:30]
	v_add_f64 v[12:13], v[12:13], -v[31:32]
.LBB183_260:
	s_or_b64 exec, exec, s[14:15]
	v_cmp_eq_u32_e64 s[14:15], 7, v26
	s_and_b64 s[18:19], s[14:15], s[88:89]
	s_barrier
	s_and_saveexec_b64 s[14:15], s[18:19]
; %bb.261:
	v_xor_b32_e32 v32, 0x80000000, v13
	v_xor_b32_e32 v30, 0x80000000, v11
	v_mov_b32_e32 v29, v10
	v_mov_b32_e32 v31, v12
	ds_write_b128 v28, v[29:32]
; %bb.262:
	s_or_b64 exec, exec, s[14:15]
	v_cmp_gt_u32_e64 s[14:15], 7, v26
	s_and_b64 s[18:19], s[14:15], s[88:89]
	s_waitcnt lgkmcnt(0)
	s_barrier
	s_and_saveexec_b64 s[14:15], s[18:19]
	s_cbranch_execz .LBB183_264
; %bb.263:
	v_lshlrev_b32_e32 v33, 4, v26
	ds_read_b128 v[29:32], v28
	ds_read_b128 v[33:36], v33 offset:3584
	s_waitcnt lgkmcnt(0)
	v_mul_f64 v[37:38], v[31:32], v[35:36]
	v_mul_f64 v[35:36], v[29:30], v[35:36]
	v_fma_f64 v[29:30], v[29:30], v[33:34], -v[37:38]
	v_fma_f64 v[31:32], v[31:32], v[33:34], v[35:36]
	v_add_f64 v[10:11], v[10:11], -v[29:30]
	v_add_f64 v[12:13], v[12:13], -v[31:32]
.LBB183_264:
	s_or_b64 exec, exec, s[14:15]
	v_cmp_eq_u32_e64 s[14:15], 6, v26
	s_and_b64 s[18:19], s[14:15], s[88:89]
	s_barrier
	s_and_saveexec_b64 s[14:15], s[18:19]
; %bb.265:
	v_xor_b32_e32 v32, 0x80000000, v13
	v_xor_b32_e32 v30, 0x80000000, v11
	v_mov_b32_e32 v29, v10
	v_mov_b32_e32 v31, v12
	ds_write_b128 v28, v[29:32]
; %bb.266:
	s_or_b64 exec, exec, s[14:15]
	v_cmp_gt_u32_e64 s[14:15], 6, v26
	s_and_b64 s[18:19], s[14:15], s[88:89]
	s_waitcnt lgkmcnt(0)
	s_barrier
	s_and_saveexec_b64 s[14:15], s[18:19]
	s_cbranch_execz .LBB183_268
; %bb.267:
	v_lshlrev_b32_e32 v33, 4, v26
	ds_read_b128 v[29:32], v28
	ds_read_b128 v[33:36], v33 offset:3072
	s_waitcnt lgkmcnt(0)
	v_mul_f64 v[37:38], v[31:32], v[35:36]
	v_mul_f64 v[35:36], v[29:30], v[35:36]
	v_fma_f64 v[29:30], v[29:30], v[33:34], -v[37:38]
	v_fma_f64 v[31:32], v[31:32], v[33:34], v[35:36]
	v_add_f64 v[10:11], v[10:11], -v[29:30]
	v_add_f64 v[12:13], v[12:13], -v[31:32]
.LBB183_268:
	s_or_b64 exec, exec, s[14:15]
	v_cmp_eq_u32_e64 s[14:15], 5, v26
	s_and_b64 s[18:19], s[14:15], s[88:89]
	s_barrier
	s_and_saveexec_b64 s[14:15], s[18:19]
; %bb.269:
	v_xor_b32_e32 v32, 0x80000000, v13
	v_xor_b32_e32 v30, 0x80000000, v11
	v_mov_b32_e32 v29, v10
	v_mov_b32_e32 v31, v12
	ds_write_b128 v28, v[29:32]
; %bb.270:
	s_or_b64 exec, exec, s[14:15]
	v_cmp_gt_u32_e64 s[14:15], 5, v26
	s_and_b64 s[18:19], s[14:15], s[88:89]
	s_waitcnt lgkmcnt(0)
	s_barrier
	s_and_saveexec_b64 s[14:15], s[18:19]
	s_cbranch_execz .LBB183_272
; %bb.271:
	v_lshlrev_b32_e32 v33, 4, v26
	ds_read_b128 v[29:32], v28
	ds_read_b128 v[33:36], v33 offset:2560
	s_waitcnt lgkmcnt(0)
	v_mul_f64 v[37:38], v[31:32], v[35:36]
	v_mul_f64 v[35:36], v[29:30], v[35:36]
	v_fma_f64 v[29:30], v[29:30], v[33:34], -v[37:38]
	v_fma_f64 v[31:32], v[31:32], v[33:34], v[35:36]
	v_add_f64 v[10:11], v[10:11], -v[29:30]
	v_add_f64 v[12:13], v[12:13], -v[31:32]
.LBB183_272:
	s_or_b64 exec, exec, s[14:15]
	v_cmp_eq_u32_e64 s[14:15], 4, v26
	s_and_b64 s[18:19], s[14:15], s[88:89]
	s_barrier
	s_and_saveexec_b64 s[14:15], s[18:19]
; %bb.273:
	v_xor_b32_e32 v32, 0x80000000, v13
	v_xor_b32_e32 v30, 0x80000000, v11
	v_mov_b32_e32 v29, v10
	v_mov_b32_e32 v31, v12
	ds_write_b128 v28, v[29:32]
; %bb.274:
	s_or_b64 exec, exec, s[14:15]
	v_cmp_gt_u32_e64 s[14:15], 4, v26
	s_and_b64 s[18:19], s[14:15], s[88:89]
	s_waitcnt lgkmcnt(0)
	s_barrier
	s_and_saveexec_b64 s[14:15], s[18:19]
	s_cbranch_execz .LBB183_276
; %bb.275:
	v_lshlrev_b32_e32 v33, 4, v26
	ds_read_b128 v[29:32], v28
	ds_read_b128 v[33:36], v33 offset:2048
	s_waitcnt lgkmcnt(0)
	v_mul_f64 v[37:38], v[31:32], v[35:36]
	v_mul_f64 v[35:36], v[29:30], v[35:36]
	v_fma_f64 v[29:30], v[29:30], v[33:34], -v[37:38]
	v_fma_f64 v[31:32], v[31:32], v[33:34], v[35:36]
	v_add_f64 v[10:11], v[10:11], -v[29:30]
	v_add_f64 v[12:13], v[12:13], -v[31:32]
.LBB183_276:
	s_or_b64 exec, exec, s[14:15]
	v_cmp_eq_u32_e64 s[14:15], 3, v26
	s_and_b64 s[18:19], s[14:15], s[88:89]
	s_barrier
	s_and_saveexec_b64 s[14:15], s[18:19]
; %bb.277:
	v_xor_b32_e32 v32, 0x80000000, v13
	v_xor_b32_e32 v30, 0x80000000, v11
	v_mov_b32_e32 v29, v10
	v_mov_b32_e32 v31, v12
	ds_write_b128 v28, v[29:32]
; %bb.278:
	s_or_b64 exec, exec, s[14:15]
	v_cmp_gt_u32_e64 s[14:15], 3, v26
	s_and_b64 s[18:19], s[14:15], s[88:89]
	s_waitcnt lgkmcnt(0)
	s_barrier
	s_and_saveexec_b64 s[14:15], s[18:19]
	s_cbranch_execz .LBB183_280
; %bb.279:
	v_lshlrev_b32_e32 v33, 4, v26
	ds_read_b128 v[29:32], v28
	ds_read_b128 v[33:36], v33 offset:1536
	s_waitcnt lgkmcnt(0)
	v_mul_f64 v[37:38], v[31:32], v[35:36]
	v_mul_f64 v[35:36], v[29:30], v[35:36]
	v_fma_f64 v[29:30], v[29:30], v[33:34], -v[37:38]
	v_fma_f64 v[31:32], v[31:32], v[33:34], v[35:36]
	v_add_f64 v[10:11], v[10:11], -v[29:30]
	v_add_f64 v[12:13], v[12:13], -v[31:32]
.LBB183_280:
	s_or_b64 exec, exec, s[14:15]
	v_cmp_eq_u32_e64 s[14:15], 2, v26
	s_and_b64 s[18:19], s[14:15], s[88:89]
	s_barrier
	s_and_saveexec_b64 s[14:15], s[18:19]
; %bb.281:
	v_xor_b32_e32 v32, 0x80000000, v13
	v_xor_b32_e32 v30, 0x80000000, v11
	v_mov_b32_e32 v29, v10
	v_mov_b32_e32 v31, v12
	ds_write_b128 v28, v[29:32]
; %bb.282:
	s_or_b64 exec, exec, s[14:15]
	v_cmp_gt_u32_e64 s[14:15], 2, v26
	s_and_b64 s[18:19], s[14:15], s[88:89]
	s_waitcnt lgkmcnt(0)
	s_barrier
	s_and_saveexec_b64 s[14:15], s[18:19]
	s_cbranch_execz .LBB183_284
; %bb.283:
	v_lshlrev_b32_e32 v33, 4, v26
	ds_read_b128 v[29:32], v28
	ds_read_b128 v[33:36], v33 offset:1024
	s_waitcnt lgkmcnt(0)
	v_mul_f64 v[37:38], v[31:32], v[35:36]
	v_mul_f64 v[35:36], v[29:30], v[35:36]
	v_fma_f64 v[29:30], v[29:30], v[33:34], -v[37:38]
	v_fma_f64 v[31:32], v[31:32], v[33:34], v[35:36]
	v_add_f64 v[10:11], v[10:11], -v[29:30]
	v_add_f64 v[12:13], v[12:13], -v[31:32]
.LBB183_284:
	s_or_b64 exec, exec, s[14:15]
	v_cmp_eq_u32_e64 s[14:15], 1, v26
	s_and_b64 s[18:19], s[14:15], s[88:89]
	s_barrier
	s_and_saveexec_b64 s[14:15], s[18:19]
; %bb.285:
	v_xor_b32_e32 v32, 0x80000000, v13
	v_xor_b32_e32 v30, 0x80000000, v11
	v_mov_b32_e32 v29, v10
	v_mov_b32_e32 v31, v12
	ds_write_b128 v28, v[29:32]
; %bb.286:
	s_or_b64 exec, exec, s[14:15]
	v_cmp_eq_u32_e64 s[14:15], 0, v26
	s_and_b64 s[14:15], s[14:15], s[88:89]
	s_waitcnt lgkmcnt(0)
	s_barrier
	s_and_saveexec_b64 s[18:19], s[14:15]
	s_cbranch_execz .LBB183_288
; %bb.287:
	v_mov_b32_e32 v33, 0
	ds_read_b128 v[29:32], v28
	ds_read_b128 v[33:36], v33 offset:512
	s_waitcnt lgkmcnt(0)
	v_mul_f64 v[37:38], v[31:32], v[35:36]
	v_mul_f64 v[35:36], v[29:30], v[35:36]
	v_fma_f64 v[29:30], v[29:30], v[33:34], -v[37:38]
	v_fma_f64 v[31:32], v[31:32], v[33:34], v[35:36]
	v_add_f64 v[10:11], v[10:11], -v[29:30]
	v_add_f64 v[12:13], v[12:13], -v[31:32]
.LBB183_288:
	s_or_b64 exec, exec, s[18:19]
	s_barrier
	s_and_saveexec_b64 s[18:19], s[14:15]
; %bb.289:
	v_xor_b32_e32 v32, 0x80000000, v13
	v_xor_b32_e32 v30, 0x80000000, v11
	v_mov_b32_e32 v29, v10
	v_mov_b32_e32 v31, v12
	ds_write_b128 v28, v[29:32]
; %bb.290:
	s_or_b64 exec, exec, s[18:19]
	s_waitcnt lgkmcnt(0)
	s_barrier
	s_barrier
	s_and_saveexec_b64 s[14:15], s[12:13]
; %bb.291:
	v_lshlrev_b32_e32 v26, 4, v26
	v_lshl_or_b32 v26, v27, 9, v26
	ds_write_b128 v26, v[10:13] offset:8192
; %bb.292:
	s_or_b64 exec, exec, s[14:15]
	v_cmp_gt_u32_e64 s[12:13], 16, v0
	s_and_b64 s[12:13], s[10:11], s[12:13]
	s_waitcnt lgkmcnt(0)
	s_barrier
	s_barrier
	s_and_saveexec_b64 s[10:11], s[12:13]
	s_cbranch_execz .LBB183_294
; %bb.293:
	v_lshlrev_b32_e32 v26, 9, v0
	ds_read_b128 v[10:13], v26 offset:8192
	s_movk_i32 s12, 0xfe10
	v_mad_i32_i24 v27, v0, s12, v26
	s_waitcnt lgkmcnt(0)
	ds_write_b128 v27, v[10:13] offset:256
	ds_read_b128 v[10:13], v26 offset:8208
	s_waitcnt lgkmcnt(0)
	ds_write_b128 v27, v[10:13] offset:768
	ds_read_b128 v[10:13], v26 offset:8224
	;; [unrolled: 3-line block ×15, first 2 shown]
	s_waitcnt lgkmcnt(0)
	ds_write_b128 v27, v[10:13] offset:7936
.LBB183_294:
	s_or_b64 exec, exec, s[10:11]
	s_waitcnt lgkmcnt(0)
	s_barrier
	s_and_saveexec_b64 s[10:11], vcc
	s_cbranch_execz .LBB183_296
; %bb.295:
	s_mov_b32 s12, 0
	v_mov_b32_e32 v30, 0
	ds_read_b128 v[10:13], v30 offset:7904
	s_mov_b32 s15, s12
	s_mov_b32 s13, 0x3ff00000
	;; [unrolled: 1-line block ×3, first 2 shown]
	v_mov_b32_e32 v29, s15
	v_mov_b32_e32 v28, s14
	;; [unrolled: 1-line block ×4, first 2 shown]
	ds_write_b128 v30, v[26:29] offset:7392
	ds_write_b128 v30, v[26:29] offset:7920
	s_waitcnt lgkmcnt(2)
	ds_write_b128 v30, v[10:13] offset:7408
.LBB183_296:
	s_or_b64 exec, exec, s[10:11]
	v_mov_b32_e32 v10, 0
	v_mov_b32_e32 v12, 0
	;; [unrolled: 1-line block ×4, first 2 shown]
	s_waitcnt lgkmcnt(0)
	s_barrier
	buffer_wbinvl1_vol
	s_and_saveexec_b64 s[12:13], s[2:3]
	s_cbranch_execz .LBB183_300
; %bb.297:
	v_lshlrev_b32_e32 v26, 4, v14
	v_lshlrev_b32_e32 v10, 9, v15
	ds_read_b128 v[10:13], v10 offset:7392
	ds_read_b128 v[26:29], v26 offset:7360
	v_cmp_gt_u32_e64 s[10:11], 2, v17
	s_waitcnt lgkmcnt(0)
	v_mul_f64 v[30:31], v[12:13], v[28:29]
	v_mul_f64 v[28:29], v[10:11], v[28:29]
	v_fma_f64 v[10:11], v[10:11], v[26:27], -v[30:31]
	v_fma_f64 v[12:13], v[12:13], v[26:27], v[28:29]
	v_add_f64 v[10:11], v[10:11], 0
	v_add_f64 v[12:13], v[12:13], 0
	s_and_saveexec_b64 s[14:15], s[10:11]
	s_cbranch_execz .LBB183_299
; %bb.298:
	v_lshlrev_b32_e32 v30, 4, v0
	v_mov_b32_e32 v26, 0
	ds_read_b128 v[26:29], v26 offset:7920
	ds_read_b128 v[30:33], v30 offset:7872
	s_waitcnt lgkmcnt(0)
	v_mul_f64 v[34:35], v[28:29], v[32:33]
	v_mul_f64 v[32:33], v[26:27], v[32:33]
	v_fma_f64 v[26:27], v[26:27], v[30:31], -v[34:35]
	v_fma_f64 v[28:29], v[28:29], v[30:31], v[32:33]
	v_add_f64 v[10:11], v[10:11], v[26:27]
	v_add_f64 v[12:13], v[12:13], v[28:29]
.LBB183_299:
	s_or_b64 exec, exec, s[14:15]
.LBB183_300:
	s_or_b64 exec, exec, s[12:13]
	s_and_saveexec_b64 s[10:11], s[40:41]
; %bb.301:
	v_xor_b32_e32 v27, 0x80000000, v11
	v_xor_b32_e32 v29, 0x80000000, v13
	v_mov_b32_e32 v26, v10
	v_mov_b32_e32 v28, v12
	ds_write_b128 v16, v[26:29]
; %bb.302:
	s_or_b64 exec, exec, s[10:11]
	s_waitcnt lgkmcnt(0)
	s_barrier
	s_and_saveexec_b64 s[10:11], s[38:39]
	s_cbranch_execz .LBB183_304
; %bb.303:
	v_mov_b32_e32 v30, 0
	ds_read_b128 v[26:29], v16
	ds_read_b128 v[30:33], v30 offset:6848
	s_waitcnt lgkmcnt(0)
	v_mul_f64 v[34:35], v[26:27], v[30:31]
	v_mul_f64 v[26:27], v[26:27], v[32:33]
	v_fma_f64 v[32:33], v[28:29], v[32:33], -v[34:35]
	v_fma_f64 v[26:27], v[28:29], v[30:31], v[26:27]
	v_add_f64 v[10:11], v[10:11], v[32:33]
	v_add_f64 v[12:13], v[12:13], -v[26:27]
.LBB183_304:
	s_or_b64 exec, exec, s[10:11]
	s_barrier
	s_and_saveexec_b64 s[10:11], s[38:39]
; %bb.305:
	v_xor_b32_e32 v27, 0x80000000, v11
	v_xor_b32_e32 v29, 0x80000000, v13
	v_mov_b32_e32 v26, v10
	v_mov_b32_e32 v28, v12
	ds_write_b128 v16, v[26:29]
; %bb.306:
	s_or_b64 exec, exec, s[10:11]
	s_waitcnt lgkmcnt(0)
	s_barrier
	s_barrier
	s_and_saveexec_b64 s[10:11], s[2:3]
; %bb.307:
	v_lshlrev_b32_e32 v26, 4, v14
	v_lshl_or_b32 v26, v15, 9, v26
	ds_write_b128 v26, v[10:13] offset:7360
; %bb.308:
	s_or_b64 exec, exec, s[10:11]
	s_waitcnt lgkmcnt(0)
	s_barrier
	s_barrier
	s_and_saveexec_b64 s[10:11], s[42:43]
	s_cbranch_execz .LBB183_310
; %bb.309:
	v_lshlrev_b32_e32 v26, 9, v0
	ds_read_b128 v[10:13], v26 offset:7360
	s_movk_i32 s12, 0xfe10
	v_mad_i32_i24 v27, v0, s12, v26
	s_waitcnt lgkmcnt(0)
	ds_write_b128 v27, v[10:13] offset:6368
	ds_read_b128 v[10:13], v26 offset:7376
	s_waitcnt lgkmcnt(0)
	ds_write_b128 v27, v[10:13] offset:6880
.LBB183_310:
	s_or_b64 exec, exec, s[10:11]
	s_waitcnt lgkmcnt(0)
	s_barrier
	s_and_saveexec_b64 s[10:11], vcc
	s_cbranch_execz .LBB183_312
; %bb.311:
	s_mov_b32 s12, 0
	v_mov_b32_e32 v30, 0
	ds_read_b128 v[10:13], v30 offset:6848
	s_mov_b32 s15, s12
	s_mov_b32 s13, 0x3ff00000
	;; [unrolled: 1-line block ×3, first 2 shown]
	v_mov_b32_e32 v29, s15
	v_mov_b32_e32 v28, s14
	;; [unrolled: 1-line block ×4, first 2 shown]
	ds_write_b128 v30, v[26:29] offset:6336
	ds_write_b128 v30, v[26:29] offset:6864
	s_waitcnt lgkmcnt(2)
	ds_write_b128 v30, v[10:13] offset:6352
.LBB183_312:
	s_or_b64 exec, exec, s[10:11]
	v_mov_b32_e32 v12, 0
	v_mov_b32_e32 v10, 0
	;; [unrolled: 1-line block ×4, first 2 shown]
	s_waitcnt lgkmcnt(0)
	s_barrier
	buffer_wbinvl1_vol
	s_and_saveexec_b64 s[12:13], s[16:17]
	s_cbranch_execz .LBB183_318
; %bb.313:
	v_lshlrev_b32_e32 v27, 9, v19
	v_lshlrev_b32_e32 v26, 4, v18
	ds_read_b128 v[10:13], v27 offset:6336
	ds_read_b128 v[28:31], v26 offset:6272
	v_cmp_gt_u32_e64 s[10:11], 12, v17
	s_waitcnt lgkmcnt(0)
	v_mul_f64 v[32:33], v[12:13], v[30:31]
	v_mul_f64 v[30:31], v[10:11], v[30:31]
	v_fma_f64 v[10:11], v[10:11], v[28:29], -v[32:33]
	v_fma_f64 v[12:13], v[12:13], v[28:29], v[30:31]
	v_add_f64 v[10:11], v[10:11], 0
	v_add_f64 v[12:13], v[12:13], 0
	s_and_saveexec_b64 s[14:15], s[10:11]
	s_cbranch_execnz .LBB183_533
; %bb.314:
	s_or_b64 exec, exec, s[14:15]
	v_cmp_gt_u32_e64 s[10:11], 8, v17
	s_and_saveexec_b64 s[14:15], s[10:11]
	s_cbranch_execnz .LBB183_534
.LBB183_315:
	s_or_b64 exec, exec, s[14:15]
	v_cmp_gt_u32_e64 s[10:11], 4, v17
	s_and_saveexec_b64 s[14:15], s[10:11]
	s_cbranch_execz .LBB183_317
.LBB183_316:
	v_lshlrev_b32_e32 v30, 4, v0
	v_mov_b32_e32 v26, 0
	ds_read_b128 v[26:29], v26 offset:7920
	ds_read_b128 v[30:33], v30 offset:7808
	s_waitcnt lgkmcnt(0)
	v_mul_f64 v[34:35], v[28:29], v[32:33]
	v_mul_f64 v[32:33], v[26:27], v[32:33]
	v_fma_f64 v[26:27], v[26:27], v[30:31], -v[34:35]
	v_fma_f64 v[28:29], v[28:29], v[30:31], v[32:33]
	v_add_f64 v[10:11], v[10:11], v[26:27]
	v_add_f64 v[12:13], v[12:13], v[28:29]
.LBB183_317:
	s_or_b64 exec, exec, s[14:15]
.LBB183_318:
	s_or_b64 exec, exec, s[12:13]
	s_and_saveexec_b64 s[10:11], s[46:47]
; %bb.319:
	v_xor_b32_e32 v29, 0x80000000, v13
	v_xor_b32_e32 v27, 0x80000000, v11
	v_mov_b32_e32 v26, v10
	v_mov_b32_e32 v28, v12
	ds_write_b128 v20, v[26:29]
; %bb.320:
	s_or_b64 exec, exec, s[10:11]
	s_waitcnt lgkmcnt(0)
	s_barrier
	s_and_saveexec_b64 s[10:11], s[48:49]
	s_cbranch_execz .LBB183_322
; %bb.321:
	v_lshlrev_b32_e32 v30, 4, v18
	ds_read_b128 v[26:29], v20
	ds_read_b128 v[30:33], v30 offset:5760
	s_waitcnt lgkmcnt(0)
	v_mul_f64 v[34:35], v[28:29], v[32:33]
	v_mul_f64 v[32:33], v[26:27], v[32:33]
	v_fma_f64 v[26:27], v[26:27], v[30:31], -v[34:35]
	v_fma_f64 v[28:29], v[28:29], v[30:31], v[32:33]
	v_add_f64 v[10:11], v[10:11], -v[26:27]
	v_add_f64 v[12:13], v[12:13], -v[28:29]
.LBB183_322:
	s_or_b64 exec, exec, s[10:11]
	s_barrier
	s_and_saveexec_b64 s[10:11], s[50:51]
; %bb.323:
	v_xor_b32_e32 v29, 0x80000000, v13
	v_xor_b32_e32 v27, 0x80000000, v11
	v_mov_b32_e32 v26, v10
	v_mov_b32_e32 v28, v12
	ds_write_b128 v20, v[26:29]
; %bb.324:
	s_or_b64 exec, exec, s[10:11]
	s_waitcnt lgkmcnt(0)
	s_barrier
	s_and_saveexec_b64 s[10:11], s[52:53]
	s_cbranch_execz .LBB183_326
; %bb.325:
	v_lshlrev_b32_e32 v30, 4, v18
	ds_read_b128 v[26:29], v20
	ds_read_b128 v[30:33], v30 offset:5248
	s_waitcnt lgkmcnt(0)
	v_mul_f64 v[34:35], v[28:29], v[32:33]
	v_mul_f64 v[32:33], v[26:27], v[32:33]
	v_fma_f64 v[26:27], v[26:27], v[30:31], -v[34:35]
	v_fma_f64 v[28:29], v[28:29], v[30:31], v[32:33]
	v_add_f64 v[10:11], v[10:11], -v[26:27]
	v_add_f64 v[12:13], v[12:13], -v[28:29]
.LBB183_326:
	s_or_b64 exec, exec, s[10:11]
	s_barrier
	s_and_saveexec_b64 s[10:11], s[54:55]
; %bb.327:
	v_xor_b32_e32 v29, 0x80000000, v13
	v_xor_b32_e32 v27, 0x80000000, v11
	v_mov_b32_e32 v26, v10
	v_mov_b32_e32 v28, v12
	ds_write_b128 v20, v[26:29]
; %bb.328:
	s_or_b64 exec, exec, s[10:11]
	s_waitcnt lgkmcnt(0)
	s_barrier
	s_and_saveexec_b64 s[10:11], s[44:45]
	s_cbranch_execz .LBB183_330
; %bb.329:
	v_mov_b32_e32 v30, 0
	ds_read_b128 v[26:29], v20
	ds_read_b128 v[30:33], v30 offset:4736
	s_waitcnt lgkmcnt(0)
	v_mul_f64 v[34:35], v[28:29], v[32:33]
	v_mul_f64 v[32:33], v[26:27], v[32:33]
	v_fma_f64 v[26:27], v[26:27], v[30:31], -v[34:35]
	v_fma_f64 v[28:29], v[28:29], v[30:31], v[32:33]
	v_add_f64 v[10:11], v[10:11], -v[26:27]
	v_add_f64 v[12:13], v[12:13], -v[28:29]
.LBB183_330:
	s_or_b64 exec, exec, s[10:11]
	s_barrier
	s_and_saveexec_b64 s[10:11], s[44:45]
; %bb.331:
	v_xor_b32_e32 v29, 0x80000000, v13
	v_xor_b32_e32 v27, 0x80000000, v11
	v_mov_b32_e32 v26, v10
	v_mov_b32_e32 v28, v12
	ds_write_b128 v20, v[26:29]
; %bb.332:
	s_or_b64 exec, exec, s[10:11]
	s_waitcnt lgkmcnt(0)
	s_barrier
	s_barrier
	s_and_saveexec_b64 s[10:11], s[16:17]
; %bb.333:
	v_lshlrev_b32_e32 v26, 4, v18
	v_lshl_or_b32 v26, v19, 9, v26
	ds_write_b128 v26, v[10:13] offset:6272
; %bb.334:
	s_or_b64 exec, exec, s[10:11]
	s_waitcnt lgkmcnt(0)
	s_barrier
	s_barrier
	s_and_saveexec_b64 s[10:11], s[56:57]
	s_cbranch_execz .LBB183_336
; %bb.335:
	v_lshlrev_b32_e32 v26, 4, v0
	s_movk_i32 s12, 0x1f0
	v_mad_u32_u24 v27, v0, s12, v26
	ds_read_b128 v[10:13], v27 offset:6272
	s_waitcnt lgkmcnt(0)
	ds_write_b128 v26, v[10:13] offset:4288
	ds_read_b128 v[10:13], v27 offset:6288
	s_waitcnt lgkmcnt(0)
	ds_write_b128 v26, v[10:13] offset:4800
	;; [unrolled: 3-line block ×4, first 2 shown]
.LBB183_336:
	s_or_b64 exec, exec, s[10:11]
	s_waitcnt lgkmcnt(0)
	s_barrier
	s_and_saveexec_b64 s[10:11], vcc
	s_cbranch_execz .LBB183_338
; %bb.337:
	s_mov_b32 s12, 0
	v_mov_b32_e32 v30, 0
	ds_read_b128 v[10:13], v30 offset:5792
	s_mov_b32 s15, s12
	s_mov_b32 s13, 0x3ff00000
	;; [unrolled: 1-line block ×3, first 2 shown]
	v_mov_b32_e32 v29, s15
	v_mov_b32_e32 v28, s14
	;; [unrolled: 1-line block ×4, first 2 shown]
	ds_write_b128 v30, v[26:29] offset:5280
	ds_write_b128 v30, v[26:29] offset:5808
	s_waitcnt lgkmcnt(2)
	ds_write_b128 v30, v[10:13] offset:5296
.LBB183_338:
	s_or_b64 exec, exec, s[10:11]
	v_mov_b32_e32 v10, 0
	v_mov_b32_e32 v12, 0
	;; [unrolled: 1-line block ×4, first 2 shown]
	s_waitcnt lgkmcnt(0)
	s_barrier
	buffer_wbinvl1_vol
	s_and_saveexec_b64 s[12:13], s[2:3]
	s_cbranch_execz .LBB183_342
; %bb.339:
	v_lshlrev_b32_e32 v26, 4, v14
	v_lshlrev_b32_e32 v10, 9, v15
	ds_read_b128 v[10:13], v10 offset:5280
	ds_read_b128 v[26:29], v26 offset:5248
	v_cmp_gt_u32_e64 s[10:11], 2, v17
	s_waitcnt lgkmcnt(0)
	v_mul_f64 v[30:31], v[12:13], v[28:29]
	v_mul_f64 v[28:29], v[10:11], v[28:29]
	v_fma_f64 v[10:11], v[10:11], v[26:27], -v[30:31]
	v_fma_f64 v[12:13], v[12:13], v[26:27], v[28:29]
	v_add_f64 v[10:11], v[10:11], 0
	v_add_f64 v[12:13], v[12:13], 0
	s_and_saveexec_b64 s[14:15], s[10:11]
	s_cbranch_execz .LBB183_341
; %bb.340:
	v_lshlrev_b32_e32 v30, 4, v0
	v_mov_b32_e32 v26, 0
	ds_read_b128 v[26:29], v26 offset:5808
	ds_read_b128 v[30:33], v30 offset:5760
	s_waitcnt lgkmcnt(0)
	v_mul_f64 v[34:35], v[28:29], v[32:33]
	v_mul_f64 v[32:33], v[26:27], v[32:33]
	v_fma_f64 v[26:27], v[26:27], v[30:31], -v[34:35]
	v_fma_f64 v[28:29], v[28:29], v[30:31], v[32:33]
	v_add_f64 v[10:11], v[10:11], v[26:27]
	v_add_f64 v[12:13], v[12:13], v[28:29]
.LBB183_341:
	s_or_b64 exec, exec, s[14:15]
.LBB183_342:
	s_or_b64 exec, exec, s[12:13]
	s_and_saveexec_b64 s[10:11], s[40:41]
; %bb.343:
	v_xor_b32_e32 v27, 0x80000000, v11
	v_xor_b32_e32 v29, 0x80000000, v13
	v_mov_b32_e32 v26, v10
	v_mov_b32_e32 v28, v12
	ds_write_b128 v16, v[26:29]
; %bb.344:
	s_or_b64 exec, exec, s[10:11]
	s_waitcnt lgkmcnt(0)
	s_barrier
	s_and_saveexec_b64 s[10:11], s[38:39]
	s_cbranch_execz .LBB183_346
; %bb.345:
	v_mov_b32_e32 v30, 0
	ds_read_b128 v[26:29], v16
	ds_read_b128 v[30:33], v30 offset:4736
	s_waitcnt lgkmcnt(0)
	v_mul_f64 v[34:35], v[26:27], v[30:31]
	v_mul_f64 v[26:27], v[26:27], v[32:33]
	v_fma_f64 v[32:33], v[28:29], v[32:33], -v[34:35]
	v_fma_f64 v[26:27], v[28:29], v[30:31], v[26:27]
	v_add_f64 v[10:11], v[10:11], v[32:33]
	v_add_f64 v[12:13], v[12:13], -v[26:27]
.LBB183_346:
	s_or_b64 exec, exec, s[10:11]
	s_barrier
	s_and_saveexec_b64 s[10:11], s[38:39]
; %bb.347:
	v_xor_b32_e32 v27, 0x80000000, v11
	v_xor_b32_e32 v29, 0x80000000, v13
	v_mov_b32_e32 v26, v10
	v_mov_b32_e32 v28, v12
	ds_write_b128 v16, v[26:29]
; %bb.348:
	s_or_b64 exec, exec, s[10:11]
	s_waitcnt lgkmcnt(0)
	s_barrier
	s_barrier
	s_and_saveexec_b64 s[10:11], s[2:3]
; %bb.349:
	v_lshlrev_b32_e32 v26, 4, v14
	v_lshl_or_b32 v26, v15, 9, v26
	ds_write_b128 v26, v[10:13] offset:5248
; %bb.350:
	s_or_b64 exec, exec, s[10:11]
	s_waitcnt lgkmcnt(0)
	s_barrier
	s_barrier
	s_and_saveexec_b64 s[10:11], s[42:43]
	s_cbranch_execz .LBB183_352
; %bb.351:
	v_lshlrev_b32_e32 v26, 9, v0
	ds_read_b128 v[10:13], v26 offset:5248
	s_movk_i32 s12, 0xfe10
	v_mad_i32_i24 v27, v0, s12, v26
	s_waitcnt lgkmcnt(0)
	ds_write_b128 v27, v[10:13] offset:4256
	ds_read_b128 v[10:13], v26 offset:5264
	s_waitcnt lgkmcnt(0)
	ds_write_b128 v27, v[10:13] offset:4768
.LBB183_352:
	s_or_b64 exec, exec, s[10:11]
	s_waitcnt lgkmcnt(0)
	s_barrier
	s_and_saveexec_b64 s[10:11], vcc
	s_cbranch_execz .LBB183_354
; %bb.353:
	s_mov_b32 s12, 0
	v_mov_b32_e32 v30, 0
	ds_read_b128 v[10:13], v30 offset:4736
	s_mov_b32 s15, s12
	s_mov_b32 s13, 0x3ff00000
	;; [unrolled: 1-line block ×3, first 2 shown]
	v_mov_b32_e32 v29, s15
	v_mov_b32_e32 v28, s14
	;; [unrolled: 1-line block ×4, first 2 shown]
	ds_write_b128 v30, v[26:29] offset:4224
	ds_write_b128 v30, v[26:29] offset:4752
	s_waitcnt lgkmcnt(2)
	ds_write_b128 v30, v[10:13] offset:4240
.LBB183_354:
	s_or_b64 exec, exec, s[10:11]
	v_mov_b32_e32 v12, 0
	v_mov_b32_e32 v10, 0
	;; [unrolled: 1-line block ×4, first 2 shown]
	s_waitcnt lgkmcnt(0)
	s_barrier
	buffer_wbinvl1_vol
	s_and_saveexec_b64 s[12:13], s[8:9]
	s_cbranch_execz .LBB183_364
; %bb.355:
	v_lshlrev_b32_e32 v27, 9, v24
	v_lshlrev_b32_e32 v26, 4, v21
	ds_read_b128 v[10:13], v27 offset:4224
	ds_read_b128 v[28:31], v26 offset:4096
	v_cmp_gt_u32_e64 s[10:11], 56, v17
	s_waitcnt lgkmcnt(0)
	v_mul_f64 v[32:33], v[12:13], v[30:31]
	v_mul_f64 v[30:31], v[10:11], v[30:31]
	v_fma_f64 v[10:11], v[10:11], v[28:29], -v[32:33]
	v_fma_f64 v[12:13], v[12:13], v[28:29], v[30:31]
	v_add_f64 v[10:11], v[10:11], 0
	v_add_f64 v[12:13], v[12:13], 0
	s_and_saveexec_b64 s[14:15], s[10:11]
	s_cbranch_execnz .LBB183_535
; %bb.356:
	s_or_b64 exec, exec, s[14:15]
	v_cmp_gt_u32_e64 s[10:11], 48, v17
	s_and_saveexec_b64 s[14:15], s[10:11]
	s_cbranch_execnz .LBB183_536
.LBB183_357:
	s_or_b64 exec, exec, s[14:15]
	v_cmp_gt_u32_e64 s[10:11], 40, v17
	s_and_saveexec_b64 s[14:15], s[10:11]
	s_cbranch_execnz .LBB183_537
.LBB183_358:
	s_or_b64 exec, exec, s[14:15]
	v_cmp_gt_u32_e64 s[10:11], 32, v17
	s_and_saveexec_b64 s[14:15], s[10:11]
	s_cbranch_execnz .LBB183_538
.LBB183_359:
	s_or_b64 exec, exec, s[14:15]
	v_cmp_gt_u32_e64 s[10:11], 24, v17
	s_and_saveexec_b64 s[14:15], s[10:11]
	s_cbranch_execnz .LBB183_539
.LBB183_360:
	s_or_b64 exec, exec, s[14:15]
	s_and_saveexec_b64 s[10:11], s[16:17]
	s_cbranch_execnz .LBB183_540
.LBB183_361:
	s_or_b64 exec, exec, s[10:11]
	v_cmp_gt_u32_e64 s[10:11], 8, v17
	s_and_saveexec_b64 s[14:15], s[10:11]
	s_cbranch_execz .LBB183_363
.LBB183_362:
	v_lshlrev_b32_e32 v30, 4, v0
	v_mov_b32_e32 v26, 0
	ds_read_b128 v[26:29], v26 offset:7920
	ds_read_b128 v[30:33], v30 offset:7680
	s_waitcnt lgkmcnt(0)
	v_mul_f64 v[34:35], v[28:29], v[32:33]
	v_mul_f64 v[32:33], v[26:27], v[32:33]
	v_fma_f64 v[26:27], v[26:27], v[30:31], -v[34:35]
	v_fma_f64 v[28:29], v[28:29], v[30:31], v[32:33]
	v_add_f64 v[10:11], v[10:11], v[26:27]
	v_add_f64 v[12:13], v[12:13], v[28:29]
.LBB183_363:
	s_or_b64 exec, exec, s[14:15]
.LBB183_364:
	s_or_b64 exec, exec, s[12:13]
	s_and_saveexec_b64 s[10:11], s[60:61]
; %bb.365:
	v_xor_b32_e32 v27, 0x80000000, v11
	v_xor_b32_e32 v29, 0x80000000, v13
	v_mov_b32_e32 v26, v10
	v_mov_b32_e32 v28, v12
	ds_write_b128 v25, v[26:29]
; %bb.366:
	s_or_b64 exec, exec, s[10:11]
	s_waitcnt lgkmcnt(0)
	s_barrier
	s_and_saveexec_b64 s[10:11], s[62:63]
	s_cbranch_execz .LBB183_368
; %bb.367:
	v_lshlrev_b32_e32 v30, 4, v21
	ds_read_b128 v[26:29], v25
	ds_read_b128 v[30:33], v30 offset:3584
	s_waitcnt lgkmcnt(0)
	v_mul_f64 v[34:35], v[28:29], v[32:33]
	v_mul_f64 v[32:33], v[26:27], v[32:33]
	v_fma_f64 v[26:27], v[26:27], v[30:31], -v[34:35]
	v_fma_f64 v[28:29], v[28:29], v[30:31], v[32:33]
	v_add_f64 v[10:11], v[10:11], -v[26:27]
	v_add_f64 v[12:13], v[12:13], -v[28:29]
.LBB183_368:
	s_or_b64 exec, exec, s[10:11]
	s_barrier
	s_and_saveexec_b64 s[10:11], s[64:65]
; %bb.369:
	v_xor_b32_e32 v27, 0x80000000, v11
	v_xor_b32_e32 v29, 0x80000000, v13
	v_mov_b32_e32 v26, v10
	v_mov_b32_e32 v28, v12
	ds_write_b128 v25, v[26:29]
; %bb.370:
	s_or_b64 exec, exec, s[10:11]
	s_waitcnt lgkmcnt(0)
	s_barrier
	s_and_saveexec_b64 s[10:11], s[66:67]
	s_cbranch_execz .LBB183_372
; %bb.371:
	v_lshlrev_b32_e32 v30, 4, v21
	ds_read_b128 v[26:29], v25
	ds_read_b128 v[30:33], v30 offset:3072
	s_waitcnt lgkmcnt(0)
	v_mul_f64 v[34:35], v[28:29], v[32:33]
	v_mul_f64 v[32:33], v[26:27], v[32:33]
	v_fma_f64 v[26:27], v[26:27], v[30:31], -v[34:35]
	v_fma_f64 v[28:29], v[28:29], v[30:31], v[32:33]
	v_add_f64 v[10:11], v[10:11], -v[26:27]
	v_add_f64 v[12:13], v[12:13], -v[28:29]
.LBB183_372:
	s_or_b64 exec, exec, s[10:11]
	s_barrier
	;; [unrolled: 27-line block ×6, first 2 shown]
	s_and_saveexec_b64 s[10:11], s[84:85]
; %bb.389:
	v_xor_b32_e32 v27, 0x80000000, v11
	v_xor_b32_e32 v29, 0x80000000, v13
	v_mov_b32_e32 v26, v10
	v_mov_b32_e32 v28, v12
	ds_write_b128 v25, v[26:29]
; %bb.390:
	s_or_b64 exec, exec, s[10:11]
	s_waitcnt lgkmcnt(0)
	s_barrier
	s_and_saveexec_b64 s[10:11], s[58:59]
	s_cbranch_execz .LBB183_392
; %bb.391:
	v_mov_b32_e32 v30, 0
	ds_read_b128 v[26:29], v25
	ds_read_b128 v[30:33], v30 offset:512
	s_waitcnt lgkmcnt(0)
	v_mul_f64 v[34:35], v[28:29], v[32:33]
	v_mul_f64 v[32:33], v[26:27], v[32:33]
	v_fma_f64 v[26:27], v[26:27], v[30:31], -v[34:35]
	v_fma_f64 v[28:29], v[28:29], v[30:31], v[32:33]
	v_add_f64 v[10:11], v[10:11], -v[26:27]
	v_add_f64 v[12:13], v[12:13], -v[28:29]
.LBB183_392:
	s_or_b64 exec, exec, s[10:11]
	s_barrier
	s_and_saveexec_b64 s[10:11], s[58:59]
; %bb.393:
	v_xor_b32_e32 v27, 0x80000000, v11
	v_xor_b32_e32 v29, 0x80000000, v13
	v_mov_b32_e32 v26, v10
	v_mov_b32_e32 v28, v12
	ds_write_b128 v25, v[26:29]
; %bb.394:
	s_or_b64 exec, exec, s[10:11]
	s_waitcnt lgkmcnt(0)
	s_barrier
	s_barrier
	s_and_saveexec_b64 s[10:11], s[8:9]
; %bb.395:
	v_lshlrev_b32_e32 v21, 4, v21
	v_lshl_or_b32 v21, v24, 9, v21
	ds_write_b128 v21, v[10:13] offset:4096
; %bb.396:
	s_or_b64 exec, exec, s[10:11]
	s_waitcnt lgkmcnt(0)
	s_barrier
	s_barrier
	s_and_saveexec_b64 s[8:9], s[86:87]
	s_cbranch_execz .LBB183_398
; %bb.397:
	v_lshlrev_b32_e32 v21, 9, v0
	ds_read_b128 v[10:13], v21 offset:4096
	s_movk_i32 s10, 0xfe10
	v_mad_i32_i24 v24, v0, s10, v21
	s_waitcnt lgkmcnt(0)
	ds_write_b128 v24, v[10:13] offset:128
	ds_read_b128 v[10:13], v21 offset:4112
	s_waitcnt lgkmcnt(0)
	ds_write_b128 v24, v[10:13] offset:640
	ds_read_b128 v[10:13], v21 offset:4128
	;; [unrolled: 3-line block ×7, first 2 shown]
	s_waitcnt lgkmcnt(0)
	ds_write_b128 v24, v[10:13] offset:3712
.LBB183_398:
	s_or_b64 exec, exec, s[8:9]
	s_waitcnt lgkmcnt(0)
	s_barrier
	s_and_saveexec_b64 s[8:9], vcc
	s_cbranch_execz .LBB183_400
; %bb.399:
	s_mov_b32 s12, 0
	v_mov_b32_e32 v21, 0
	ds_read_b128 v[10:13], v21 offset:3680
	s_mov_b32 s15, s12
	s_mov_b32 s13, 0x3ff00000
	;; [unrolled: 1-line block ×3, first 2 shown]
	v_mov_b32_e32 v27, s15
	v_mov_b32_e32 v26, s14
	;; [unrolled: 1-line block ×4, first 2 shown]
	ds_write_b128 v21, v[24:27] offset:3168
	ds_write_b128 v21, v[24:27] offset:3696
	s_waitcnt lgkmcnt(2)
	ds_write_b128 v21, v[10:13] offset:3184
.LBB183_400:
	s_or_b64 exec, exec, s[8:9]
	v_mov_b32_e32 v10, 0
	v_mov_b32_e32 v12, 0
	;; [unrolled: 1-line block ×4, first 2 shown]
	s_waitcnt lgkmcnt(0)
	s_barrier
	buffer_wbinvl1_vol
	s_and_saveexec_b64 s[10:11], s[2:3]
	s_cbranch_execz .LBB183_404
; %bb.401:
	v_lshlrev_b32_e32 v10, 9, v15
	v_lshlrev_b32_e32 v21, 4, v14
	ds_read_b128 v[10:13], v10 offset:3168
	ds_read_b128 v[24:27], v21 offset:3136
	v_cmp_gt_u32_e64 s[8:9], 2, v17
	s_waitcnt lgkmcnt(0)
	v_mul_f64 v[28:29], v[12:13], v[26:27]
	v_mul_f64 v[26:27], v[10:11], v[26:27]
	v_fma_f64 v[10:11], v[10:11], v[24:25], -v[28:29]
	v_fma_f64 v[12:13], v[12:13], v[24:25], v[26:27]
	v_add_f64 v[10:11], v[10:11], 0
	v_add_f64 v[12:13], v[12:13], 0
	s_and_saveexec_b64 s[12:13], s[8:9]
	s_cbranch_execz .LBB183_403
; %bb.402:
	v_mov_b32_e32 v24, 0
	v_lshlrev_b32_e32 v21, 4, v0
	ds_read_b128 v[24:27], v24 offset:3696
	ds_read_b128 v[28:31], v21 offset:3648
	s_waitcnt lgkmcnt(0)
	v_mul_f64 v[32:33], v[26:27], v[30:31]
	v_mul_f64 v[30:31], v[24:25], v[30:31]
	v_fma_f64 v[24:25], v[24:25], v[28:29], -v[32:33]
	v_fma_f64 v[26:27], v[26:27], v[28:29], v[30:31]
	v_add_f64 v[10:11], v[10:11], v[24:25]
	v_add_f64 v[12:13], v[12:13], v[26:27]
.LBB183_403:
	s_or_b64 exec, exec, s[12:13]
.LBB183_404:
	s_or_b64 exec, exec, s[10:11]
	s_and_saveexec_b64 s[8:9], s[40:41]
; %bb.405:
	v_xor_b32_e32 v25, 0x80000000, v11
	v_xor_b32_e32 v27, 0x80000000, v13
	v_mov_b32_e32 v24, v10
	v_mov_b32_e32 v26, v12
	ds_write_b128 v16, v[24:27]
; %bb.406:
	s_or_b64 exec, exec, s[8:9]
	s_waitcnt lgkmcnt(0)
	s_barrier
	s_and_saveexec_b64 s[8:9], s[38:39]
	s_cbranch_execz .LBB183_408
; %bb.407:
	v_mov_b32_e32 v21, 0
	ds_read_b128 v[24:27], v16
	ds_read_b128 v[28:31], v21 offset:2624
	s_waitcnt lgkmcnt(0)
	v_mul_f64 v[32:33], v[24:25], v[28:29]
	v_mul_f64 v[24:25], v[24:25], v[30:31]
	v_fma_f64 v[30:31], v[26:27], v[30:31], -v[32:33]
	v_fma_f64 v[24:25], v[26:27], v[28:29], v[24:25]
	v_add_f64 v[10:11], v[10:11], v[30:31]
	v_add_f64 v[12:13], v[12:13], -v[24:25]
.LBB183_408:
	s_or_b64 exec, exec, s[8:9]
	s_barrier
	s_and_saveexec_b64 s[8:9], s[38:39]
; %bb.409:
	v_xor_b32_e32 v25, 0x80000000, v11
	v_xor_b32_e32 v27, 0x80000000, v13
	v_mov_b32_e32 v24, v10
	v_mov_b32_e32 v26, v12
	ds_write_b128 v16, v[24:27]
; %bb.410:
	s_or_b64 exec, exec, s[8:9]
	s_waitcnt lgkmcnt(0)
	s_barrier
	s_barrier
	s_and_saveexec_b64 s[8:9], s[2:3]
; %bb.411:
	v_lshlrev_b32_e32 v21, 4, v14
	v_lshl_or_b32 v21, v15, 9, v21
	ds_write_b128 v21, v[10:13] offset:3136
; %bb.412:
	s_or_b64 exec, exec, s[8:9]
	s_waitcnt lgkmcnt(0)
	s_barrier
	s_barrier
	s_and_saveexec_b64 s[8:9], s[42:43]
	s_cbranch_execz .LBB183_414
; %bb.413:
	v_lshlrev_b32_e32 v21, 9, v0
	ds_read_b128 v[10:13], v21 offset:3136
	s_movk_i32 s10, 0xfe10
	v_mad_i32_i24 v24, v0, s10, v21
	s_waitcnt lgkmcnt(0)
	ds_write_b128 v24, v[10:13] offset:2144
	ds_read_b128 v[10:13], v21 offset:3152
	s_waitcnt lgkmcnt(0)
	ds_write_b128 v24, v[10:13] offset:2656
.LBB183_414:
	s_or_b64 exec, exec, s[8:9]
	s_waitcnt lgkmcnt(0)
	s_barrier
	s_and_saveexec_b64 s[8:9], vcc
	s_cbranch_execz .LBB183_416
; %bb.415:
	s_mov_b32 s12, 0
	v_mov_b32_e32 v21, 0
	ds_read_b128 v[10:13], v21 offset:2624
	s_mov_b32 s15, s12
	s_mov_b32 s13, 0x3ff00000
	;; [unrolled: 1-line block ×3, first 2 shown]
	v_mov_b32_e32 v27, s15
	v_mov_b32_e32 v26, s14
	;; [unrolled: 1-line block ×4, first 2 shown]
	ds_write_b128 v21, v[24:27] offset:2112
	ds_write_b128 v21, v[24:27] offset:2640
	s_waitcnt lgkmcnt(2)
	ds_write_b128 v21, v[10:13] offset:2128
.LBB183_416:
	s_or_b64 exec, exec, s[8:9]
	v_mov_b32_e32 v12, 0
	v_mov_b32_e32 v10, 0
	;; [unrolled: 1-line block ×4, first 2 shown]
	s_waitcnt lgkmcnt(0)
	s_barrier
	buffer_wbinvl1_vol
	s_and_saveexec_b64 s[10:11], s[16:17]
	s_cbranch_execz .LBB183_422
; %bb.417:
	v_lshlrev_b32_e32 v24, 9, v19
	v_lshlrev_b32_e32 v21, 4, v18
	ds_read_b128 v[10:13], v24 offset:2112
	ds_read_b128 v[25:28], v21 offset:2048
	v_cmp_gt_u32_e64 s[8:9], 12, v17
	s_waitcnt lgkmcnt(0)
	v_mul_f64 v[29:30], v[12:13], v[27:28]
	v_mul_f64 v[27:28], v[10:11], v[27:28]
	v_fma_f64 v[10:11], v[10:11], v[25:26], -v[29:30]
	v_fma_f64 v[12:13], v[12:13], v[25:26], v[27:28]
	v_add_f64 v[10:11], v[10:11], 0
	v_add_f64 v[12:13], v[12:13], 0
	s_and_saveexec_b64 s[12:13], s[8:9]
	s_cbranch_execnz .LBB183_541
; %bb.418:
	s_or_b64 exec, exec, s[12:13]
	v_cmp_gt_u32_e64 s[8:9], 8, v17
	s_and_saveexec_b64 s[12:13], s[8:9]
	s_cbranch_execnz .LBB183_542
.LBB183_419:
	s_or_b64 exec, exec, s[12:13]
	v_cmp_gt_u32_e64 s[8:9], 4, v17
	s_and_saveexec_b64 s[12:13], s[8:9]
	s_cbranch_execz .LBB183_421
.LBB183_420:
	v_mov_b32_e32 v24, 0
	v_lshlrev_b32_e32 v21, 4, v0
	ds_read_b128 v[24:27], v24 offset:3696
	ds_read_b128 v[28:31], v21 offset:3584
	s_waitcnt lgkmcnt(0)
	v_mul_f64 v[32:33], v[26:27], v[30:31]
	v_mul_f64 v[30:31], v[24:25], v[30:31]
	v_fma_f64 v[24:25], v[24:25], v[28:29], -v[32:33]
	v_fma_f64 v[26:27], v[26:27], v[28:29], v[30:31]
	v_add_f64 v[10:11], v[10:11], v[24:25]
	v_add_f64 v[12:13], v[12:13], v[26:27]
.LBB183_421:
	s_or_b64 exec, exec, s[12:13]
.LBB183_422:
	s_or_b64 exec, exec, s[10:11]
	s_and_saveexec_b64 s[8:9], s[46:47]
; %bb.423:
	v_xor_b32_e32 v27, 0x80000000, v13
	v_xor_b32_e32 v25, 0x80000000, v11
	v_mov_b32_e32 v24, v10
	v_mov_b32_e32 v26, v12
	ds_write_b128 v20, v[24:27]
; %bb.424:
	s_or_b64 exec, exec, s[8:9]
	s_waitcnt lgkmcnt(0)
	s_barrier
	s_and_saveexec_b64 s[8:9], s[48:49]
	s_cbranch_execz .LBB183_426
; %bb.425:
	v_lshlrev_b32_e32 v21, 4, v18
	ds_read_b128 v[24:27], v20
	ds_read_b128 v[28:31], v21 offset:1536
	s_waitcnt lgkmcnt(0)
	v_mul_f64 v[32:33], v[26:27], v[30:31]
	v_mul_f64 v[30:31], v[24:25], v[30:31]
	v_fma_f64 v[24:25], v[24:25], v[28:29], -v[32:33]
	v_fma_f64 v[26:27], v[26:27], v[28:29], v[30:31]
	v_add_f64 v[10:11], v[10:11], -v[24:25]
	v_add_f64 v[12:13], v[12:13], -v[26:27]
.LBB183_426:
	s_or_b64 exec, exec, s[8:9]
	s_barrier
	s_and_saveexec_b64 s[8:9], s[50:51]
; %bb.427:
	v_xor_b32_e32 v27, 0x80000000, v13
	v_xor_b32_e32 v25, 0x80000000, v11
	v_mov_b32_e32 v24, v10
	v_mov_b32_e32 v26, v12
	ds_write_b128 v20, v[24:27]
; %bb.428:
	s_or_b64 exec, exec, s[8:9]
	s_waitcnt lgkmcnt(0)
	s_barrier
	s_and_saveexec_b64 s[8:9], s[52:53]
	s_cbranch_execz .LBB183_430
; %bb.429:
	v_lshlrev_b32_e32 v21, 4, v18
	ds_read_b128 v[24:27], v20
	ds_read_b128 v[28:31], v21 offset:1024
	s_waitcnt lgkmcnt(0)
	v_mul_f64 v[32:33], v[26:27], v[30:31]
	v_mul_f64 v[30:31], v[24:25], v[30:31]
	v_fma_f64 v[24:25], v[24:25], v[28:29], -v[32:33]
	v_fma_f64 v[26:27], v[26:27], v[28:29], v[30:31]
	v_add_f64 v[10:11], v[10:11], -v[24:25]
	v_add_f64 v[12:13], v[12:13], -v[26:27]
.LBB183_430:
	s_or_b64 exec, exec, s[8:9]
	s_barrier
	s_and_saveexec_b64 s[8:9], s[54:55]
; %bb.431:
	v_xor_b32_e32 v27, 0x80000000, v13
	v_xor_b32_e32 v25, 0x80000000, v11
	v_mov_b32_e32 v24, v10
	v_mov_b32_e32 v26, v12
	ds_write_b128 v20, v[24:27]
; %bb.432:
	s_or_b64 exec, exec, s[8:9]
	s_waitcnt lgkmcnt(0)
	s_barrier
	s_and_saveexec_b64 s[8:9], s[44:45]
	s_cbranch_execz .LBB183_434
; %bb.433:
	v_mov_b32_e32 v21, 0
	ds_read_b128 v[24:27], v20
	ds_read_b128 v[28:31], v21 offset:512
	s_waitcnt lgkmcnt(0)
	v_mul_f64 v[32:33], v[26:27], v[30:31]
	v_mul_f64 v[30:31], v[24:25], v[30:31]
	v_fma_f64 v[24:25], v[24:25], v[28:29], -v[32:33]
	v_fma_f64 v[26:27], v[26:27], v[28:29], v[30:31]
	v_add_f64 v[10:11], v[10:11], -v[24:25]
	v_add_f64 v[12:13], v[12:13], -v[26:27]
.LBB183_434:
	s_or_b64 exec, exec, s[8:9]
	s_barrier
	s_and_saveexec_b64 s[8:9], s[44:45]
; %bb.435:
	v_xor_b32_e32 v27, 0x80000000, v13
	v_xor_b32_e32 v25, 0x80000000, v11
	v_mov_b32_e32 v24, v10
	v_mov_b32_e32 v26, v12
	ds_write_b128 v20, v[24:27]
; %bb.436:
	s_or_b64 exec, exec, s[8:9]
	s_waitcnt lgkmcnt(0)
	s_barrier
	s_barrier
	s_and_saveexec_b64 s[8:9], s[16:17]
; %bb.437:
	v_lshlrev_b32_e32 v18, 4, v18
	v_lshl_or_b32 v18, v19, 9, v18
	ds_write_b128 v18, v[10:13] offset:2048
; %bb.438:
	s_or_b64 exec, exec, s[8:9]
	s_waitcnt lgkmcnt(0)
	s_barrier
	s_barrier
	s_and_saveexec_b64 s[8:9], s[56:57]
	s_cbranch_execz .LBB183_440
; %bb.439:
	v_lshlrev_b32_e32 v18, 4, v0
	s_movk_i32 s10, 0x1f0
	v_mad_u32_u24 v19, v0, s10, v18
	ds_read_b128 v[10:13], v19 offset:2048
	s_waitcnt lgkmcnt(0)
	ds_write_b128 v18, v[10:13] offset:64
	ds_read_b128 v[10:13], v19 offset:2064
	s_waitcnt lgkmcnt(0)
	ds_write_b128 v18, v[10:13] offset:576
	ds_read_b128 v[10:13], v19 offset:2080
	s_waitcnt lgkmcnt(0)
	ds_write_b128 v18, v[10:13] offset:1088
	ds_read_b128 v[10:13], v19 offset:2096
	s_waitcnt lgkmcnt(0)
	ds_write_b128 v18, v[10:13] offset:1600
.LBB183_440:
	s_or_b64 exec, exec, s[8:9]
	s_waitcnt lgkmcnt(0)
	s_barrier
	s_and_saveexec_b64 s[8:9], vcc
	s_cbranch_execz .LBB183_442
; %bb.441:
	s_mov_b32 s12, 0
	v_mov_b32_e32 v24, 0
	ds_read_b128 v[10:13], v24 offset:1568
	s_mov_b32 s15, s12
	s_mov_b32 s13, 0x3ff00000
	;; [unrolled: 1-line block ×3, first 2 shown]
	v_mov_b32_e32 v21, s15
	v_mov_b32_e32 v20, s14
	;; [unrolled: 1-line block ×4, first 2 shown]
	ds_write_b128 v24, v[18:21] offset:1056
	ds_write_b128 v24, v[18:21] offset:1584
	s_waitcnt lgkmcnt(2)
	ds_write_b128 v24, v[10:13] offset:1072
.LBB183_442:
	s_or_b64 exec, exec, s[8:9]
	v_mov_b32_e32 v10, 0
	v_mov_b32_e32 v12, 0
	;; [unrolled: 1-line block ×4, first 2 shown]
	s_waitcnt lgkmcnt(0)
	s_barrier
	buffer_wbinvl1_vol
	s_and_saveexec_b64 s[10:11], s[2:3]
	s_cbranch_execz .LBB183_446
; %bb.443:
	v_lshlrev_b32_e32 v18, 4, v14
	v_lshlrev_b32_e32 v10, 9, v15
	ds_read_b128 v[10:13], v10 offset:1056
	ds_read_b128 v[18:21], v18 offset:1024
	v_cmp_gt_u32_e64 s[8:9], 2, v17
	s_waitcnt lgkmcnt(0)
	v_mul_f64 v[24:25], v[12:13], v[20:21]
	v_mul_f64 v[20:21], v[10:11], v[20:21]
	v_fma_f64 v[10:11], v[10:11], v[18:19], -v[24:25]
	v_fma_f64 v[12:13], v[12:13], v[18:19], v[20:21]
	v_add_f64 v[10:11], v[10:11], 0
	v_add_f64 v[12:13], v[12:13], 0
	s_and_saveexec_b64 s[12:13], s[8:9]
	s_cbranch_execz .LBB183_445
; %bb.444:
	v_mov_b32_e32 v17, 0
	v_lshlrev_b32_e32 v21, 4, v0
	ds_read_b128 v[17:20], v17 offset:1584
	ds_read_b128 v[24:27], v21 offset:1536
	s_waitcnt lgkmcnt(0)
	v_mul_f64 v[28:29], v[19:20], v[26:27]
	v_mul_f64 v[26:27], v[17:18], v[26:27]
	v_fma_f64 v[17:18], v[17:18], v[24:25], -v[28:29]
	v_fma_f64 v[19:20], v[19:20], v[24:25], v[26:27]
	v_add_f64 v[10:11], v[10:11], v[17:18]
	v_add_f64 v[12:13], v[12:13], v[19:20]
.LBB183_445:
	s_or_b64 exec, exec, s[12:13]
.LBB183_446:
	s_or_b64 exec, exec, s[10:11]
	s_and_saveexec_b64 s[8:9], s[40:41]
; %bb.447:
	v_xor_b32_e32 v18, 0x80000000, v11
	v_xor_b32_e32 v20, 0x80000000, v13
	v_mov_b32_e32 v17, v10
	v_mov_b32_e32 v19, v12
	ds_write_b128 v16, v[17:20]
; %bb.448:
	s_or_b64 exec, exec, s[8:9]
	s_waitcnt lgkmcnt(0)
	s_barrier
	s_and_saveexec_b64 s[8:9], s[38:39]
	s_cbranch_execz .LBB183_450
; %bb.449:
	v_mov_b32_e32 v21, 0
	ds_read_b128 v[17:20], v16
	ds_read_b128 v[24:27], v21 offset:512
	s_waitcnt lgkmcnt(0)
	v_mul_f64 v[28:29], v[17:18], v[24:25]
	v_mul_f64 v[17:18], v[17:18], v[26:27]
	v_fma_f64 v[26:27], v[19:20], v[26:27], -v[28:29]
	v_fma_f64 v[17:18], v[19:20], v[24:25], v[17:18]
	v_add_f64 v[10:11], v[10:11], v[26:27]
	v_add_f64 v[12:13], v[12:13], -v[17:18]
.LBB183_450:
	s_or_b64 exec, exec, s[8:9]
	s_barrier
	s_and_saveexec_b64 s[8:9], s[38:39]
; %bb.451:
	v_xor_b32_e32 v18, 0x80000000, v11
	v_xor_b32_e32 v20, 0x80000000, v13
	v_mov_b32_e32 v17, v10
	v_mov_b32_e32 v19, v12
	ds_write_b128 v16, v[17:20]
; %bb.452:
	s_or_b64 exec, exec, s[8:9]
	s_waitcnt lgkmcnt(0)
	s_barrier
	s_barrier
	s_and_saveexec_b64 s[8:9], s[2:3]
; %bb.453:
	v_lshlrev_b32_e32 v14, 4, v14
	v_lshl_or_b32 v14, v15, 9, v14
	ds_write_b128 v14, v[10:13] offset:1024
; %bb.454:
	s_or_b64 exec, exec, s[8:9]
	s_waitcnt lgkmcnt(0)
	s_barrier
	s_barrier
	s_and_saveexec_b64 s[2:3], s[42:43]
	s_cbranch_execz .LBB183_456
; %bb.455:
	v_lshlrev_b32_e32 v14, 9, v0
	ds_read_b128 v[10:13], v14 offset:1024
	s_movk_i32 s8, 0xfe10
	v_mad_i32_i24 v15, v0, s8, v14
	s_waitcnt lgkmcnt(0)
	ds_write_b128 v15, v[10:13] offset:32
	ds_read_b128 v[10:13], v14 offset:1040
	s_waitcnt lgkmcnt(0)
	ds_write_b128 v15, v[10:13] offset:544
.LBB183_456:
	s_or_b64 exec, exec, s[2:3]
	s_waitcnt lgkmcnt(0)
	s_barrier
	s_and_saveexec_b64 s[2:3], vcc
	s_cbranch_execz .LBB183_458
; %bb.457:
	s_mov_b32 s8, 0
	v_mov_b32_e32 v18, 0
	ds_read_b128 v[10:13], v18 offset:512
	s_mov_b32 s11, s8
	s_mov_b32 s9, 0x3ff00000
	;; [unrolled: 1-line block ×3, first 2 shown]
	v_mov_b32_e32 v17, s11
	v_mov_b32_e32 v16, s10
	;; [unrolled: 1-line block ×4, first 2 shown]
	ds_write_b128 v18, v[14:17]
	ds_write_b128 v18, v[14:17] offset:528
	s_waitcnt lgkmcnt(2)
	ds_write_b128 v18, v[10:13] offset:16
.LBB183_458:
	s_or_b64 exec, exec, s[2:3]
.LBB183_459:
	s_lshl_b64 s[2:3], s[26:27], 4
	s_add_u32 s26, s36, s2
	v_cmp_le_i32_e32 vcc, s7, v0
	v_mov_b32_e32 v10, 0
	s_addc_u32 s27, s37, s3
	s_and_b64 s[16:17], vcc, s[30:31]
	v_mov_b32_e32 v11, 0
	v_cmp_eq_u32_e64 s[2:3], 0, v1
	s_xor_b64 s[8:9], s[16:17], -1
	v_mov_b32_e32 v13, v11
	s_and_b64 s[10:11], s[2:3], s[8:9]
	v_lshl_add_u32 v14, s6, 5, v0
	v_mov_b32_e32 v12, v10
	s_waitcnt lgkmcnt(0)
	s_barrier
	s_and_saveexec_b64 s[8:9], s[10:11]
	s_cbranch_execz .LBB183_461
; %bb.460:
	v_ashrrev_i32_e32 v12, 31, v14
	v_mul_lo_u32 v13, s25, v14
	v_mad_u64_u32 v[10:11], s[10:11], s24, v14, 0
	v_mul_lo_u32 v12, s24, v12
	v_add3_u32 v11, v11, v12, v13
	v_lshlrev_b64 v[10:11], 4, v[10:11]
	v_mov_b32_e32 v12, s27
	v_add_co_u32_e32 v10, vcc, s26, v10
	v_addc_co_u32_e32 v11, vcc, v12, v11, vcc
	flat_load_dwordx4 v[15:18], v[10:11]
	s_waitcnt vmcnt(0) lgkmcnt(0)
	v_mul_f64 v[10:11], s[20:21], v[15:16]
	v_mul_f64 v[12:13], s[20:21], v[17:18]
	v_fma_f64 v[10:11], s[22:23], v[17:18], -v[10:11]
	v_fma_f64 v[12:13], v[15:16], -s[22:23], -v[12:13]
.LBB183_461:
	s_or_b64 exec, exec, s[8:9]
	s_load_dwordx2 s[14:15], s[4:5], 0x58
	s_and_b32 s4, 0xffff, s94
	v_mad_u32_u24 v24, v1, s4, v0
	v_mov_b32_e32 v15, 0
	s_cmp_lt_i32 s6, 1
	v_cmp_eq_u32_e64 s[4:5], 0, v24
	s_cbranch_scc1 .LBB183_484
; %bb.462:
	v_mad_u64_u32 v[16:17], s[8:9], s34, v14, 0
	s_mov_b32 s22, 0
	v_cmp_gt_u32_e64 s[12:13], 32, v24
	v_mad_u64_u32 v[17:18], s[8:9], s35, v14, v[17:18]
	s_lshl_b64 s[8:9], s[28:29], 2
	s_waitcnt lgkmcnt(0)
	s_add_u32 s18, s14, s8
	v_lshlrev_b64 v[16:17], 4, v[16:17]
	s_addc_u32 s19, s15, s9
	v_mov_b32_e32 v18, 0x6000
	v_cmp_gt_i32_e64 s[8:9], s33, v14
	v_mov_b32_e32 v14, s93
	v_add_co_u32_e32 v27, vcc, s92, v16
	v_lshl_add_u32 v25, v24, 4, v18
	v_lshl_or_b32 v26, v1, 4, v18
	s_add_i32 s23, s6, -1
	v_addc_co_u32_e32 v28, vcc, v14, v17, vcc
	v_mov_b32_e32 v29, -1
	s_branch .LBB183_465
.LBB183_463:                            ;   in Loop: Header=BB183_465 Depth=1
	ds_read_b128 v[30:33], v26 offset:256
	s_waitcnt vmcnt(0) lgkmcnt(0)
	v_mul_f64 v[16:17], v[20:21], v[32:33]
	v_mul_f64 v[20:21], v[20:21], v[30:31]
	v_fma_f64 v[16:17], v[18:19], v[30:31], v[16:17]
	v_fma_f64 v[18:19], v[18:19], v[32:33], -v[20:21]
	v_add_f64 v[10:11], v[10:11], v[16:17]
	v_add_f64 v[12:13], v[12:13], v[18:19]
.LBB183_464:                            ;   in Loop: Header=BB183_465 Depth=1
	s_or_b64 exec, exec, s[20:21]
	s_add_i32 s22, s22, 1
	s_cmp_eq_u32 s22, s6
	s_cbranch_scc1 .LBB183_484
.LBB183_465:                            ; =>This Loop Header: Depth=1
                                        ;     Child Loop BB183_467 Depth 2
	v_cmp_gt_i32_e32 vcc, s22, v29
	s_and_b64 s[20:21], s[4:5], vcc
	s_and_saveexec_b64 s[10:11], s[20:21]
	s_cbranch_execz .LBB183_468
; %bb.466:                              ;   in Loop: Header=BB183_465 Depth=1
	global_load_dword v29, v15, s[18:19]
	s_waitcnt vmcnt(0)
	v_cmp_le_i32_e32 vcc, s22, v29
	s_cbranch_vccnz .LBB183_468
.LBB183_467:                            ;   Parent Loop BB183_465 Depth=1
                                        ; =>  This Inner Loop Header: Depth=2
	buffer_wbinvl1_vol
	global_load_dword v29, v15, s[18:19]
	s_waitcnt vmcnt(0)
	v_cmp_gt_i32_e32 vcc, s22, v29
	s_cbranch_vccnz .LBB183_467
.LBB183_468:                            ;   in Loop: Header=BB183_465 Depth=1
	s_or_b64 exec, exec, s[10:11]
	s_lshl_b32 s34, s22, 5
	buffer_wbinvl1_vol
	s_barrier
	s_and_saveexec_b64 s[10:11], s[12:13]
	s_cbranch_execz .LBB183_473
; %bb.469:                              ;   in Loop: Header=BB183_465 Depth=1
	v_or_b32_e32 v14, s34, v24
	v_cmp_le_i32_e32 vcc, s33, v14
	s_and_saveexec_b64 s[20:21], vcc
	s_xor_b64 s[20:21], exec, s[20:21]
; %bb.470:                              ;   in Loop: Header=BB183_465 Depth=1
	v_mov_b32_e32 v14, v15
	v_mov_b32_e32 v16, v15
	;; [unrolled: 1-line block ×3, first 2 shown]
	ds_write_b128 v25, v[14:17]
                                        ; implicit-def: $vgpr14
; %bb.471:                              ;   in Loop: Header=BB183_465 Depth=1
	s_andn2_saveexec_b64 s[20:21], s[20:21]
	s_cbranch_execz .LBB183_473
; %bb.472:                              ;   in Loop: Header=BB183_465 Depth=1
	v_mad_u64_u32 v[16:17], s[20:21], s24, v14, 0
	v_mad_u64_u32 v[17:18], s[20:21], s25, v14, v[17:18]
	v_mov_b32_e32 v14, s27
	v_lshlrev_b64 v[16:17], 4, v[16:17]
	v_add_co_u32_e32 v16, vcc, s26, v16
	v_addc_co_u32_e32 v17, vcc, v14, v17, vcc
	flat_load_dwordx4 v[16:19], v[16:17]
	s_waitcnt vmcnt(0) lgkmcnt(0)
	ds_write2_b64 v25, v[16:17], v[18:19] offset1:1
.LBB183_473:                            ;   in Loop: Header=BB183_465 Depth=1
	s_or_b64 exec, exec, s[10:11]
	v_add_u32_e32 v14, s34, v1
	v_lshlrev_b64 v[16:17], 4, v[14:15]
	s_cmp_lg_u32 s22, s23
	v_add_co_u32_e32 v16, vcc, v27, v16
	s_cselect_b64 s[10:11], -1, 0
	v_addc_co_u32_e32 v17, vcc, v28, v17, vcc
	v_cmp_gt_i32_e32 vcc, s33, v14
	v_cndmask_b32_e64 v18, 0, 1, s[10:11]
	s_and_b64 s[34:35], vcc, s[8:9]
	v_cmp_ne_u32_e64 s[10:11], 1, v18
	s_waitcnt lgkmcnt(0)
	s_barrier
	s_and_saveexec_b64 s[20:21], s[34:35]
	s_cbranch_execz .LBB183_479
; %bb.474:                              ;   in Loop: Header=BB183_465 Depth=1
	v_mov_b32_e32 v19, v7
	s_and_b64 vcc, exec, s[10:11]
	v_mov_b32_e32 v18, v6
	s_cbranch_vccnz .LBB183_476
; %bb.475:                              ;   in Loop: Header=BB183_465 Depth=1
	flat_load_dwordx2 v[18:19], v[16:17]
.LBB183_476:                            ;   in Loop: Header=BB183_465 Depth=1
	v_mov_b32_e32 v21, v9
	s_and_b64 vcc, exec, s[10:11]
	v_mov_b32_e32 v20, v8
	s_cbranch_vccnz .LBB183_478
; %bb.477:                              ;   in Loop: Header=BB183_465 Depth=1
	flat_load_dwordx2 v[20:21], v[16:17] offset:8
.LBB183_478:                            ;   in Loop: Header=BB183_465 Depth=1
	ds_read_b128 v[30:33], v26
	s_waitcnt vmcnt(0) lgkmcnt(0)
	v_mul_f64 v[34:35], v[20:21], v[32:33]
	v_mul_f64 v[20:21], v[20:21], v[30:31]
	v_fma_f64 v[30:31], v[18:19], v[30:31], v[34:35]
	v_fma_f64 v[18:19], v[18:19], v[32:33], -v[20:21]
	v_add_f64 v[10:11], v[10:11], v[30:31]
	v_add_f64 v[12:13], v[12:13], v[18:19]
.LBB183_479:                            ;   in Loop: Header=BB183_465 Depth=1
	s_or_b64 exec, exec, s[20:21]
	v_add_u32_e32 v14, 16, v14
	v_cmp_gt_i32_e32 vcc, s33, v14
	s_and_b64 s[34:35], vcc, s[8:9]
	s_and_saveexec_b64 s[20:21], s[34:35]
	s_cbranch_execz .LBB183_464
; %bb.480:                              ;   in Loop: Header=BB183_465 Depth=1
	v_mov_b32_e32 v19, v3
	s_and_b64 vcc, exec, s[10:11]
	v_mov_b32_e32 v18, v2
	s_cbranch_vccnz .LBB183_482
; %bb.481:                              ;   in Loop: Header=BB183_465 Depth=1
	flat_load_dwordx2 v[18:19], v[16:17] offset:256
.LBB183_482:                            ;   in Loop: Header=BB183_465 Depth=1
	v_mov_b32_e32 v21, v5
	s_and_b64 vcc, exec, s[10:11]
	v_mov_b32_e32 v20, v4
	s_cbranch_vccnz .LBB183_463
; %bb.483:                              ;   in Loop: Header=BB183_465 Depth=1
	flat_load_dwordx2 v[20:21], v[16:17] offset:264
	s_branch .LBB183_463
.LBB183_484:
	s_xor_b64 s[4:5], s[30:31], -1
	v_lshlrev_b32_e32 v6, 4, v23
	ds_write_b128 v6, v[10:13] offset:16384
	s_waitcnt lgkmcnt(0)
	s_barrier
	s_and_saveexec_b64 s[8:9], s[2:3]
	s_cbranch_execz .LBB183_486
; %bb.485:
	v_lshlrev_b32_e32 v18, 4, v0
	ds_read_b128 v[2:5], v18 offset:16896
	ds_read_b128 v[14:17], v18 offset:17408
	s_waitcnt lgkmcnt(1)
	v_add_f64 v[2:3], v[10:11], v[2:3]
	v_add_f64 v[4:5], v[12:13], v[4:5]
	s_waitcnt lgkmcnt(0)
	v_add_f64 v[11:12], v[2:3], v[14:15]
	v_add_f64 v[13:14], v[4:5], v[16:17]
	ds_read_b128 v[2:5], v18 offset:17920
	ds_read_b128 v[7:10], v18 offset:18432
	s_waitcnt lgkmcnt(1)
	v_add_f64 v[2:3], v[11:12], v[2:3]
	v_add_f64 v[4:5], v[13:14], v[4:5]
	s_waitcnt lgkmcnt(0)
	v_add_f64 v[11:12], v[2:3], v[7:8]
	v_add_f64 v[13:14], v[4:5], v[9:10]
	;; [unrolled: 8-line block ×7, first 2 shown]
	ds_read_b128 v[2:5], v18 offset:24064
	s_waitcnt lgkmcnt(0)
	v_add_f64 v[2:3], v[7:8], v[2:3]
	v_add_f64 v[4:5], v[9:10], v[4:5]
	v_xor_b32_e32 v3, 0x80000000, v3
	v_xor_b32_e32 v5, 0x80000000, v5
	v_cndmask_b32_e64 v10, v2, 0, s[16:17]
	v_cndmask_b32_e64 v11, v3, 0, s[16:17]
	;; [unrolled: 1-line block ×4, first 2 shown]
.LBB183_486:
	s_or_b64 exec, exec, s[8:9]
	s_and_b64 vcc, exec, s[0:1]
	s_cbranch_vccnz .LBB183_495
; %bb.487:
	v_mov_b32_e32 v2, 0x6000
	v_lshl_or_b32 v7, v1, 4, v2
	s_and_saveexec_b64 s[0:1], s[2:3]
; %bb.488:
	v_lshl_add_u32 v2, v0, 4, v7
	ds_write_b128 v2, v[10:13]
; %bb.489:
	s_or_b64 exec, exec, s[0:1]
	v_mov_b32_e32 v2, 0
	v_mov_b32_e32 v4, 0
	;; [unrolled: 1-line block ×4, first 2 shown]
	v_cmp_le_u32_e32 vcc, v1, v0
	s_waitcnt lgkmcnt(0)
	s_barrier
	s_and_saveexec_b64 s[0:1], vcc
	s_cbranch_execz .LBB183_491
; %bb.490:
	ds_read_b128 v[2:5], v7
	ds_read_b128 v[14:17], v6
	s_waitcnt lgkmcnt(0)
	v_mul_f64 v[8:9], v[4:5], v[16:17]
	v_mul_f64 v[16:17], v[2:3], v[16:17]
	v_fma_f64 v[2:3], v[2:3], v[14:15], -v[8:9]
	v_fma_f64 v[4:5], v[4:5], v[14:15], v[16:17]
	v_add_f64 v[2:3], v[2:3], 0
	v_add_f64 v[4:5], v[4:5], 0
.LBB183_491:
	s_or_b64 exec, exec, s[0:1]
	v_add_u32_e32 v1, 16, v1
	v_add_u32_e32 v8, 0x4000, v6
	v_cmp_ge_u32_e32 vcc, v0, v1
	s_and_saveexec_b64 s[0:1], vcc
	s_cbranch_execz .LBB183_493
; %bb.492:
	ds_read_b128 v[14:17], v7 offset:256
	ds_read_b128 v[18:21], v6 offset:8192
	s_waitcnt lgkmcnt(0)
	v_mul_f64 v[6:7], v[16:17], v[20:21]
	v_mul_f64 v[20:21], v[14:15], v[20:21]
	v_fma_f64 v[6:7], v[14:15], v[18:19], -v[6:7]
	v_fma_f64 v[14:15], v[16:17], v[18:19], v[20:21]
	v_add_f64 v[2:3], v[2:3], v[6:7]
	v_add_f64 v[4:5], v[4:5], v[14:15]
.LBB183_493:
	s_or_b64 exec, exec, s[0:1]
	s_mov_b64 s[8:9], 0
	s_mov_b64 s[0:1], 0
	ds_write_b128 v8, v[2:5]
	s_waitcnt lgkmcnt(0)
	s_barrier
                                        ; implicit-def: $vgpr8_vgpr9
                                        ; implicit-def: $vgpr14_vgpr15
                                        ; implicit-def: $vgpr6_vgpr7
	s_and_saveexec_b64 s[10:11], s[2:3]
	s_cbranch_execz .LBB183_508
; %bb.494:
	v_lshlrev_b32_e32 v18, 4, v0
	ds_read_b128 v[6:9], v18 offset:16896
	ds_read_b128 v[14:17], v18 offset:17408
	s_mov_b64 s[0:1], exec
	s_waitcnt lgkmcnt(1)
	v_add_f64 v[1:2], v[2:3], v[6:7]
	v_add_f64 v[3:4], v[4:5], v[8:9]
	s_waitcnt lgkmcnt(0)
	v_add_f64 v[14:15], v[1:2], v[14:15]
	v_add_f64 v[16:17], v[3:4], v[16:17]
	ds_read_b128 v[1:4], v18 offset:17920
	ds_read_b128 v[5:8], v18 offset:18432
	s_waitcnt lgkmcnt(1)
	v_add_f64 v[1:2], v[14:15], v[1:2]
	v_add_f64 v[3:4], v[16:17], v[3:4]
	s_waitcnt lgkmcnt(0)
	v_add_f64 v[14:15], v[1:2], v[5:6]
	v_add_f64 v[16:17], v[3:4], v[7:8]
	ds_read_b128 v[1:4], v18 offset:18944
	ds_read_b128 v[5:8], v18 offset:19456
	;; [unrolled: 8-line block ×6, first 2 shown]
	s_waitcnt lgkmcnt(1)
	v_add_f64 v[1:2], v[14:15], v[1:2]
	v_add_f64 v[3:4], v[16:17], v[3:4]
	s_waitcnt lgkmcnt(0)
	v_add_f64 v[14:15], v[1:2], v[5:6]
	v_add_f64 v[8:9], v[3:4], v[7:8]
	ds_read_b128 v[1:4], v18 offset:24064
	v_lshl_add_u32 v5, s6, 5, v24
	v_mad_u64_u32 v[6:7], s[12:13], s24, v5, 0
	s_waitcnt lgkmcnt(0)
	v_add_f64 v[14:15], v[14:15], v[1:2]
	v_add_f64 v[8:9], v[8:9], v[3:4]
	v_mov_b32_e32 v1, v7
	v_mad_u64_u32 v[1:2], s[12:13], s25, v5, v[1:2]
	v_mov_b32_e32 v7, v1
	s_or_b64 exec, exec, s[10:11]
	s_and_b64 vcc, exec, s[8:9]
	s_cbranch_vccnz .LBB183_496
	s_branch .LBB183_509
.LBB183_495:
	s_mov_b64 s[0:1], 0
                                        ; implicit-def: $vgpr8_vgpr9
                                        ; implicit-def: $vgpr14_vgpr15
                                        ; implicit-def: $vgpr6_vgpr7
	s_cbranch_execz .LBB183_509
.LBB183_496:
	s_mov_b32 s10, 0
	v_mov_b32_e32 v1, 0
	v_mov_b32_e32 v2, v0
	s_branch .LBB183_498
.LBB183_497:                            ;   in Loop: Header=BB183_498 Depth=1
	s_or_b64 exec, exec, s[8:9]
	s_add_i32 s10, s10, 2
	v_add_u32_e32 v22, 0x400, v22
	s_cmp_lg_u32 s10, 32
	v_add_u32_e32 v2, -2, v2
	s_barrier
	s_cbranch_scc0 .LBB183_506
.LBB183_498:                            ; =>This Inner Loop Header: Depth=1
	v_cmp_eq_u32_e32 vcc, 0, v2
	s_and_b64 s[12:13], s[2:3], vcc
	s_and_saveexec_b64 s[8:9], s[12:13]
; %bb.499:                              ;   in Loop: Header=BB183_498 Depth=1
	ds_write_b128 v1, v[10:13] offset:25088
; %bb.500:                              ;   in Loop: Header=BB183_498 Depth=1
	s_or_b64 exec, exec, s[8:9]
	v_cmp_lt_u32_e32 vcc, s10, v0
	s_and_b64 s[12:13], s[2:3], vcc
	s_waitcnt lgkmcnt(0)
	s_barrier
	s_and_saveexec_b64 s[8:9], s[12:13]
	s_cbranch_execz .LBB183_502
; %bb.501:                              ;   in Loop: Header=BB183_498 Depth=1
	ds_read_b128 v[3:6], v1 offset:25088
	ds_read_b128 v[14:17], v22
	s_waitcnt lgkmcnt(0)
	v_mul_f64 v[7:8], v[5:6], v[16:17]
	v_mul_f64 v[16:17], v[3:4], v[16:17]
	v_fma_f64 v[3:4], v[3:4], v[14:15], -v[7:8]
	v_fma_f64 v[5:6], v[5:6], v[14:15], v[16:17]
	v_add_f64 v[10:11], v[10:11], v[3:4]
	v_add_f64 v[12:13], v[12:13], v[5:6]
.LBB183_502:                            ;   in Loop: Header=BB183_498 Depth=1
	s_or_b64 exec, exec, s[8:9]
	s_or_b32 s11, s10, 1
	v_cmp_eq_u32_e32 vcc, s11, v0
	s_and_b64 s[12:13], s[2:3], vcc
	s_barrier
	s_and_saveexec_b64 s[8:9], s[12:13]
; %bb.503:                              ;   in Loop: Header=BB183_498 Depth=1
	ds_write_b128 v1, v[10:13] offset:25088
; %bb.504:                              ;   in Loop: Header=BB183_498 Depth=1
	s_or_b64 exec, exec, s[8:9]
	v_cmp_lt_u32_e32 vcc, s11, v0
	s_and_b64 s[12:13], s[2:3], vcc
	s_waitcnt lgkmcnt(0)
	s_barrier
	s_and_saveexec_b64 s[8:9], s[12:13]
	s_cbranch_execz .LBB183_497
; %bb.505:                              ;   in Loop: Header=BB183_498 Depth=1
	ds_read_b128 v[3:6], v1 offset:25088
	ds_read_b128 v[14:17], v22 offset:512
	s_waitcnt lgkmcnt(0)
	v_mul_f64 v[7:8], v[5:6], v[16:17]
	v_mul_f64 v[16:17], v[3:4], v[16:17]
	v_fma_f64 v[3:4], v[3:4], v[14:15], -v[7:8]
	v_fma_f64 v[5:6], v[5:6], v[14:15], v[16:17]
	v_add_f64 v[10:11], v[10:11], v[3:4]
	v_add_f64 v[12:13], v[12:13], v[5:6]
	s_branch .LBB183_497
.LBB183_506:
	s_and_b64 vcc, exec, s[4:5]
	s_cbranch_vccz .LBB183_510
; %bb.507:
	s_and_b64 s[4:5], s[2:3], exec
	s_cbranch_execz .LBB183_511
	s_branch .LBB183_512
.LBB183_508:
	s_or_b64 exec, exec, s[10:11]
	s_and_b64 vcc, exec, s[8:9]
	s_cbranch_vccnz .LBB183_496
.LBB183_509:
	v_mov_b32_e32 v13, v9
	v_mov_b32_e32 v10, v14
	;; [unrolled: 1-line block ×4, first 2 shown]
	s_and_saveexec_b64 s[2:3], s[0:1]
	s_cbranch_execnz .LBB183_515
	s_branch .LBB183_516
.LBB183_510:
	s_mov_b64 s[4:5], 0
.LBB183_511:
	v_cmp_gt_i32_e32 vcc, s7, v0
	s_and_b64 s[2:3], s[2:3], vcc
	s_andn2_b64 s[4:5], s[4:5], exec
	s_and_b64 s[2:3], s[2:3], exec
	s_or_b64 s[4:5], s[4:5], s[2:3]
.LBB183_512:
                                        ; implicit-def: $vgpr6_vgpr7
	s_and_saveexec_b64 s[2:3], s[4:5]
	s_cbranch_execz .LBB183_514
; %bb.513:
	s_lshl_b32 s4, s6, 5
	s_ashr_i32 s5, s4, 31
	v_mov_b32_e32 v0, s5
	v_add_co_u32_e32 v1, vcc, s4, v24
	v_addc_co_u32_e32 v0, vcc, 0, v0, vcc
	v_mul_lo_u32 v0, v0, s24
	v_mul_lo_u32 v2, v1, s25
	v_mad_u64_u32 v[6:7], s[4:5], v1, s24, 0
	s_or_b64 s[0:1], s[0:1], exec
	v_add3_u32 v7, v7, v2, v0
.LBB183_514:
	s_or_b64 exec, exec, s[2:3]
	s_and_saveexec_b64 s[2:3], s[0:1]
	s_cbranch_execz .LBB183_516
.LBB183_515:
	v_lshlrev_b64 v[0:1], 4, v[6:7]
	v_mov_b32_e32 v2, s27
	v_add_co_u32_e32 v0, vcc, s26, v0
	v_addc_co_u32_e32 v1, vcc, v2, v1, vcc
	flat_store_dwordx4 v[0:1], v[10:13]
.LBB183_516:
	s_or_b64 exec, exec, s[2:3]
	v_cmp_eq_u32_e32 vcc, 0, v24
	s_waitcnt vmcnt(0) lgkmcnt(0)
	buffer_wbinvl1_vol
	s_barrier
	s_and_saveexec_b64 s[0:1], vcc
	s_cbranch_execz .LBB183_518
; %bb.517:
	s_lshl_b64 s[2:3], s[28:29], 2
	s_add_u32 s2, s14, s2
	s_addc_u32 s3, s15, s3
	v_mov_b32_e32 v0, 0
	global_load_dword v1, v0, s[2:3]
	s_waitcnt vmcnt(0)
	v_add_u32_e32 v1, 1, v1
	global_store_dword v0, v1, s[2:3]
.LBB183_518:
	s_or_b64 exec, exec, s[0:1]
	s_waitcnt vmcnt(0)
	buffer_wbinvl1_vol
	s_endpgm
.LBB183_519:
	ds_read_b128 v[25:28], v24 offset:14800
	ds_read_b128 v[29:32], v21 offset:15232
	s_waitcnt lgkmcnt(0)
	v_mul_f64 v[33:34], v[27:28], v[31:32]
	v_mul_f64 v[31:32], v[25:26], v[31:32]
	v_fma_f64 v[25:26], v[25:26], v[29:30], -v[33:34]
	v_fma_f64 v[27:28], v[27:28], v[29:30], v[31:32]
	v_add_f64 v[10:11], v[10:11], v[25:26]
	v_add_f64 v[12:13], v[12:13], v[27:28]
	s_or_b64 exec, exec, s[18:19]
	v_cmp_gt_u32_e64 s[12:13], 8, v17
	s_and_saveexec_b64 s[18:19], s[12:13]
	s_cbranch_execz .LBB183_57
.LBB183_520:
	ds_read_b128 v[24:27], v24 offset:14816
	ds_read_b128 v[28:31], v21 offset:15744
	s_waitcnt lgkmcnt(0)
	v_mul_f64 v[32:33], v[26:27], v[30:31]
	v_mul_f64 v[30:31], v[24:25], v[30:31]
	v_fma_f64 v[24:25], v[24:25], v[28:29], -v[32:33]
	v_fma_f64 v[26:27], v[26:27], v[28:29], v[30:31]
	v_add_f64 v[10:11], v[10:11], v[24:25]
	v_add_f64 v[12:13], v[12:13], v[26:27]
	s_or_b64 exec, exec, s[18:19]
	v_cmp_gt_u32_e64 s[12:13], 4, v17
	s_and_saveexec_b64 s[18:19], s[12:13]
	s_cbranch_execnz .LBB183_58
	s_branch .LBB183_59
.LBB183_521:
	ds_read_b128 v[28:31], v27 offset:12688
	ds_read_b128 v[32:35], v26 offset:13056
	s_waitcnt lgkmcnt(0)
	v_mul_f64 v[36:37], v[30:31], v[34:35]
	v_mul_f64 v[34:35], v[28:29], v[34:35]
	v_fma_f64 v[28:29], v[28:29], v[32:33], -v[36:37]
	v_fma_f64 v[30:31], v[30:31], v[32:33], v[34:35]
	v_add_f64 v[10:11], v[10:11], v[28:29]
	v_add_f64 v[12:13], v[12:13], v[30:31]
	s_or_b64 exec, exec, s[58:59]
	v_cmp_gt_u32_e64 s[14:15], 48, v17
	s_and_saveexec_b64 s[58:59], s[14:15]
	s_cbranch_execz .LBB183_99
.LBB183_522:
	ds_read_b128 v[28:31], v27 offset:12704
	ds_read_b128 v[32:35], v26 offset:13568
	s_waitcnt lgkmcnt(0)
	v_mul_f64 v[36:37], v[30:31], v[34:35]
	v_mul_f64 v[34:35], v[28:29], v[34:35]
	v_fma_f64 v[28:29], v[28:29], v[32:33], -v[36:37]
	v_fma_f64 v[30:31], v[30:31], v[32:33], v[34:35]
	v_add_f64 v[10:11], v[10:11], v[28:29]
	v_add_f64 v[12:13], v[12:13], v[30:31]
	s_or_b64 exec, exec, s[58:59]
	v_cmp_gt_u32_e64 s[14:15], 40, v17
	s_and_saveexec_b64 s[58:59], s[14:15]
	s_cbranch_execz .LBB183_100
.LBB183_523:
	ds_read_b128 v[28:31], v27 offset:12720
	ds_read_b128 v[32:35], v26 offset:14080
	s_waitcnt lgkmcnt(0)
	v_mul_f64 v[36:37], v[30:31], v[34:35]
	v_mul_f64 v[34:35], v[28:29], v[34:35]
	v_fma_f64 v[28:29], v[28:29], v[32:33], -v[36:37]
	v_fma_f64 v[30:31], v[30:31], v[32:33], v[34:35]
	v_add_f64 v[10:11], v[10:11], v[28:29]
	v_add_f64 v[12:13], v[12:13], v[30:31]
	s_or_b64 exec, exec, s[58:59]
	v_cmp_gt_u32_e64 s[14:15], 32, v17
	s_and_saveexec_b64 s[58:59], s[14:15]
	s_cbranch_execz .LBB183_101
.LBB183_524:
	ds_read_b128 v[28:31], v27 offset:12736
	ds_read_b128 v[32:35], v26 offset:14592
	s_waitcnt lgkmcnt(0)
	v_mul_f64 v[36:37], v[30:31], v[34:35]
	v_mul_f64 v[34:35], v[28:29], v[34:35]
	v_fma_f64 v[28:29], v[28:29], v[32:33], -v[36:37]
	v_fma_f64 v[30:31], v[30:31], v[32:33], v[34:35]
	v_add_f64 v[10:11], v[10:11], v[28:29]
	v_add_f64 v[12:13], v[12:13], v[30:31]
	s_or_b64 exec, exec, s[58:59]
	v_cmp_gt_u32_e64 s[14:15], 24, v17
	s_and_saveexec_b64 s[58:59], s[14:15]
	s_cbranch_execz .LBB183_102
.LBB183_525:
	ds_read_b128 v[28:31], v27 offset:12752
	ds_read_b128 v[32:35], v26 offset:15104
	s_waitcnt lgkmcnt(0)
	v_mul_f64 v[36:37], v[30:31], v[34:35]
	v_mul_f64 v[34:35], v[28:29], v[34:35]
	v_fma_f64 v[28:29], v[28:29], v[32:33], -v[36:37]
	v_fma_f64 v[30:31], v[30:31], v[32:33], v[34:35]
	v_add_f64 v[10:11], v[10:11], v[28:29]
	v_add_f64 v[12:13], v[12:13], v[30:31]
	s_or_b64 exec, exec, s[58:59]
	s_and_saveexec_b64 s[14:15], s[16:17]
	s_cbranch_execz .LBB183_103
.LBB183_526:
	ds_read_b128 v[27:30], v27 offset:12768
	ds_read_b128 v[31:34], v26 offset:15616
	s_waitcnt lgkmcnt(0)
	v_mul_f64 v[35:36], v[29:30], v[33:34]
	v_mul_f64 v[33:34], v[27:28], v[33:34]
	v_fma_f64 v[26:27], v[27:28], v[31:32], -v[35:36]
	v_fma_f64 v[28:29], v[29:30], v[31:32], v[33:34]
	v_add_f64 v[10:11], v[10:11], v[26:27]
	v_add_f64 v[12:13], v[12:13], v[28:29]
	s_or_b64 exec, exec, s[14:15]
	v_cmp_gt_u32_e64 s[14:15], 8, v17
	s_and_saveexec_b64 s[58:59], s[14:15]
	s_cbranch_execnz .LBB183_104
	s_branch .LBB183_105
.LBB183_527:
	ds_read_b128 v[28:31], v27 offset:10576
	ds_read_b128 v[32:35], v26 offset:11008
	s_waitcnt lgkmcnt(0)
	v_mul_f64 v[36:37], v[30:31], v[34:35]
	v_mul_f64 v[34:35], v[28:29], v[34:35]
	v_fma_f64 v[28:29], v[28:29], v[32:33], -v[36:37]
	v_fma_f64 v[30:31], v[30:31], v[32:33], v[34:35]
	v_add_f64 v[10:11], v[10:11], v[28:29]
	v_add_f64 v[12:13], v[12:13], v[30:31]
	s_or_b64 exec, exec, s[18:19]
	v_cmp_gt_u32_e64 s[12:13], 8, v17
	s_and_saveexec_b64 s[18:19], s[12:13]
	s_cbranch_execz .LBB183_161
.LBB183_528:
	ds_read_b128 v[27:30], v27 offset:10592
	ds_read_b128 v[31:34], v26 offset:11520
	s_waitcnt lgkmcnt(0)
	v_mul_f64 v[35:36], v[29:30], v[33:34]
	v_mul_f64 v[33:34], v[27:28], v[33:34]
	v_fma_f64 v[26:27], v[27:28], v[31:32], -v[35:36]
	v_fma_f64 v[28:29], v[29:30], v[31:32], v[33:34]
	v_add_f64 v[10:11], v[10:11], v[26:27]
	v_add_f64 v[12:13], v[12:13], v[28:29]
	s_or_b64 exec, exec, s[18:19]
	v_cmp_gt_u32_e64 s[12:13], 4, v17
	s_and_saveexec_b64 s[18:19], s[12:13]
	s_cbranch_execnz .LBB183_162
	s_branch .LBB183_163
.LBB183_529:
	ds_read_b128 v[31:34], v30 offset:8624
	ds_read_b128 v[35:38], v29 offset:13824
	s_waitcnt lgkmcnt(0)
	v_mul_f64 v[39:40], v[33:34], v[37:38]
	v_mul_f64 v[37:38], v[31:32], v[37:38]
	v_fma_f64 v[31:32], v[31:32], v[35:36], -v[39:40]
	v_fma_f64 v[33:34], v[33:34], v[35:36], v[37:38]
	v_add_f64 v[10:11], v[10:11], v[31:32]
	v_add_f64 v[12:13], v[12:13], v[33:34]
	s_or_b64 exec, exec, s[90:91]
	s_and_saveexec_b64 s[18:19], s[8:9]
	s_cbranch_execz .LBB183_223
.LBB183_530:
	ds_read_b128 v[31:34], v30 offset:8640
	ds_read_b128 v[35:38], v29 offset:14336
	s_waitcnt lgkmcnt(0)
	v_mul_f64 v[39:40], v[33:34], v[37:38]
	v_mul_f64 v[37:38], v[31:32], v[37:38]
	v_fma_f64 v[31:32], v[31:32], v[35:36], -v[39:40]
	v_fma_f64 v[33:34], v[33:34], v[35:36], v[37:38]
	v_add_f64 v[10:11], v[10:11], v[31:32]
	v_add_f64 v[12:13], v[12:13], v[33:34]
	s_or_b64 exec, exec, s[18:19]
	v_cmp_gt_u32_e64 s[18:19], 48, v17
	s_and_saveexec_b64 s[90:91], s[18:19]
	s_cbranch_execz .LBB183_224
.LBB183_531:
	ds_read_b128 v[31:34], v30 offset:8656
	ds_read_b128 v[35:38], v29 offset:14848
	s_waitcnt lgkmcnt(0)
	v_mul_f64 v[39:40], v[33:34], v[37:38]
	v_mul_f64 v[37:38], v[31:32], v[37:38]
	v_fma_f64 v[31:32], v[31:32], v[35:36], -v[39:40]
	v_fma_f64 v[33:34], v[33:34], v[35:36], v[37:38]
	v_add_f64 v[10:11], v[10:11], v[31:32]
	v_add_f64 v[12:13], v[12:13], v[33:34]
	s_or_b64 exec, exec, s[90:91]
	v_cmp_gt_u32_e64 s[18:19], 32, v17
	s_and_saveexec_b64 s[90:91], s[18:19]
	s_cbranch_execz .LBB183_225
.LBB183_532:
	ds_read_b128 v[30:33], v30 offset:8672
	ds_read_b128 v[34:37], v29 offset:15360
	s_waitcnt lgkmcnt(0)
	v_mul_f64 v[38:39], v[32:33], v[36:37]
	v_mul_f64 v[36:37], v[30:31], v[36:37]
	v_fma_f64 v[29:30], v[30:31], v[34:35], -v[38:39]
	v_fma_f64 v[31:32], v[32:33], v[34:35], v[36:37]
	v_add_f64 v[10:11], v[10:11], v[29:30]
	v_add_f64 v[12:13], v[12:13], v[31:32]
	s_or_b64 exec, exec, s[90:91]
	v_cmp_gt_u32_e64 s[18:19], 16, v17
	s_and_saveexec_b64 s[90:91], s[18:19]
	s_cbranch_execnz .LBB183_226
	s_branch .LBB183_227
.LBB183_533:
	ds_read_b128 v[28:31], v27 offset:6352
	ds_read_b128 v[32:35], v26 offset:6784
	s_waitcnt lgkmcnt(0)
	v_mul_f64 v[36:37], v[30:31], v[34:35]
	v_mul_f64 v[34:35], v[28:29], v[34:35]
	v_fma_f64 v[28:29], v[28:29], v[32:33], -v[36:37]
	v_fma_f64 v[30:31], v[30:31], v[32:33], v[34:35]
	v_add_f64 v[10:11], v[10:11], v[28:29]
	v_add_f64 v[12:13], v[12:13], v[30:31]
	s_or_b64 exec, exec, s[14:15]
	v_cmp_gt_u32_e64 s[10:11], 8, v17
	s_and_saveexec_b64 s[14:15], s[10:11]
	s_cbranch_execz .LBB183_315
.LBB183_534:
	ds_read_b128 v[27:30], v27 offset:6368
	ds_read_b128 v[31:34], v26 offset:7296
	s_waitcnt lgkmcnt(0)
	v_mul_f64 v[35:36], v[29:30], v[33:34]
	v_mul_f64 v[33:34], v[27:28], v[33:34]
	v_fma_f64 v[26:27], v[27:28], v[31:32], -v[35:36]
	v_fma_f64 v[28:29], v[29:30], v[31:32], v[33:34]
	v_add_f64 v[10:11], v[10:11], v[26:27]
	v_add_f64 v[12:13], v[12:13], v[28:29]
	s_or_b64 exec, exec, s[14:15]
	v_cmp_gt_u32_e64 s[10:11], 4, v17
	s_and_saveexec_b64 s[14:15], s[10:11]
	s_cbranch_execnz .LBB183_316
	s_branch .LBB183_317
.LBB183_535:
	ds_read_b128 v[28:31], v27 offset:4240
	ds_read_b128 v[32:35], v26 offset:4608
	s_waitcnt lgkmcnt(0)
	v_mul_f64 v[36:37], v[30:31], v[34:35]
	v_mul_f64 v[34:35], v[28:29], v[34:35]
	v_fma_f64 v[28:29], v[28:29], v[32:33], -v[36:37]
	v_fma_f64 v[30:31], v[30:31], v[32:33], v[34:35]
	v_add_f64 v[10:11], v[10:11], v[28:29]
	v_add_f64 v[12:13], v[12:13], v[30:31]
	s_or_b64 exec, exec, s[14:15]
	v_cmp_gt_u32_e64 s[10:11], 48, v17
	s_and_saveexec_b64 s[14:15], s[10:11]
	s_cbranch_execz .LBB183_357
.LBB183_536:
	ds_read_b128 v[28:31], v27 offset:4256
	ds_read_b128 v[32:35], v26 offset:5120
	s_waitcnt lgkmcnt(0)
	v_mul_f64 v[36:37], v[30:31], v[34:35]
	v_mul_f64 v[34:35], v[28:29], v[34:35]
	v_fma_f64 v[28:29], v[28:29], v[32:33], -v[36:37]
	v_fma_f64 v[30:31], v[30:31], v[32:33], v[34:35]
	v_add_f64 v[10:11], v[10:11], v[28:29]
	v_add_f64 v[12:13], v[12:13], v[30:31]
	s_or_b64 exec, exec, s[14:15]
	v_cmp_gt_u32_e64 s[10:11], 40, v17
	s_and_saveexec_b64 s[14:15], s[10:11]
	s_cbranch_execz .LBB183_358
.LBB183_537:
	ds_read_b128 v[28:31], v27 offset:4272
	ds_read_b128 v[32:35], v26 offset:5632
	s_waitcnt lgkmcnt(0)
	v_mul_f64 v[36:37], v[30:31], v[34:35]
	v_mul_f64 v[34:35], v[28:29], v[34:35]
	v_fma_f64 v[28:29], v[28:29], v[32:33], -v[36:37]
	v_fma_f64 v[30:31], v[30:31], v[32:33], v[34:35]
	v_add_f64 v[10:11], v[10:11], v[28:29]
	v_add_f64 v[12:13], v[12:13], v[30:31]
	s_or_b64 exec, exec, s[14:15]
	v_cmp_gt_u32_e64 s[10:11], 32, v17
	s_and_saveexec_b64 s[14:15], s[10:11]
	s_cbranch_execz .LBB183_359
.LBB183_538:
	ds_read_b128 v[28:31], v27 offset:4288
	ds_read_b128 v[32:35], v26 offset:6144
	s_waitcnt lgkmcnt(0)
	v_mul_f64 v[36:37], v[30:31], v[34:35]
	v_mul_f64 v[34:35], v[28:29], v[34:35]
	v_fma_f64 v[28:29], v[28:29], v[32:33], -v[36:37]
	v_fma_f64 v[30:31], v[30:31], v[32:33], v[34:35]
	v_add_f64 v[10:11], v[10:11], v[28:29]
	v_add_f64 v[12:13], v[12:13], v[30:31]
	s_or_b64 exec, exec, s[14:15]
	v_cmp_gt_u32_e64 s[10:11], 24, v17
	s_and_saveexec_b64 s[14:15], s[10:11]
	s_cbranch_execz .LBB183_360
.LBB183_539:
	ds_read_b128 v[28:31], v27 offset:4304
	ds_read_b128 v[32:35], v26 offset:6656
	s_waitcnt lgkmcnt(0)
	v_mul_f64 v[36:37], v[30:31], v[34:35]
	v_mul_f64 v[34:35], v[28:29], v[34:35]
	v_fma_f64 v[28:29], v[28:29], v[32:33], -v[36:37]
	v_fma_f64 v[30:31], v[30:31], v[32:33], v[34:35]
	v_add_f64 v[10:11], v[10:11], v[28:29]
	v_add_f64 v[12:13], v[12:13], v[30:31]
	s_or_b64 exec, exec, s[14:15]
	s_and_saveexec_b64 s[10:11], s[16:17]
	s_cbranch_execz .LBB183_361
.LBB183_540:
	ds_read_b128 v[27:30], v27 offset:4320
	ds_read_b128 v[31:34], v26 offset:7168
	s_waitcnt lgkmcnt(0)
	v_mul_f64 v[35:36], v[29:30], v[33:34]
	v_mul_f64 v[33:34], v[27:28], v[33:34]
	v_fma_f64 v[26:27], v[27:28], v[31:32], -v[35:36]
	v_fma_f64 v[28:29], v[29:30], v[31:32], v[33:34]
	v_add_f64 v[10:11], v[10:11], v[26:27]
	v_add_f64 v[12:13], v[12:13], v[28:29]
	s_or_b64 exec, exec, s[10:11]
	v_cmp_gt_u32_e64 s[10:11], 8, v17
	s_and_saveexec_b64 s[14:15], s[10:11]
	s_cbranch_execnz .LBB183_362
	s_branch .LBB183_363
.LBB183_541:
	ds_read_b128 v[25:28], v24 offset:2128
	ds_read_b128 v[29:32], v21 offset:2560
	s_waitcnt lgkmcnt(0)
	v_mul_f64 v[33:34], v[27:28], v[31:32]
	v_mul_f64 v[31:32], v[25:26], v[31:32]
	v_fma_f64 v[25:26], v[25:26], v[29:30], -v[33:34]
	v_fma_f64 v[27:28], v[27:28], v[29:30], v[31:32]
	v_add_f64 v[10:11], v[10:11], v[25:26]
	v_add_f64 v[12:13], v[12:13], v[27:28]
	s_or_b64 exec, exec, s[12:13]
	v_cmp_gt_u32_e64 s[8:9], 8, v17
	s_and_saveexec_b64 s[12:13], s[8:9]
	s_cbranch_execz .LBB183_419
.LBB183_542:
	ds_read_b128 v[24:27], v24 offset:2144
	ds_read_b128 v[28:31], v21 offset:3072
	s_waitcnt lgkmcnt(0)
	v_mul_f64 v[32:33], v[26:27], v[30:31]
	v_mul_f64 v[30:31], v[24:25], v[30:31]
	v_fma_f64 v[24:25], v[24:25], v[28:29], -v[32:33]
	v_fma_f64 v[26:27], v[26:27], v[28:29], v[30:31]
	v_add_f64 v[10:11], v[10:11], v[24:25]
	v_add_f64 v[12:13], v[12:13], v[26:27]
	s_or_b64 exec, exec, s[12:13]
	v_cmp_gt_u32_e64 s[8:9], 4, v17
	s_and_saveexec_b64 s[12:13], s[8:9]
	s_cbranch_execnz .LBB183_420
	s_branch .LBB183_421
	.section	.rodata,"a",@progbits
	.p2align	6, 0x0
	.amdhsa_kernel _ZL19rocblas_trsv_deviceILi32ELi16ELb0ELb1ELb1ELb1E19rocblas_complex_numIdES1_PKPKS1_PKPS1_EviT7_lllT6_T8_lllPii
		.amdhsa_group_segment_fixed_size 25104
		.amdhsa_private_segment_fixed_size 0
		.amdhsa_kernarg_size 360
		.amdhsa_user_sgpr_count 6
		.amdhsa_user_sgpr_private_segment_buffer 1
		.amdhsa_user_sgpr_dispatch_ptr 0
		.amdhsa_user_sgpr_queue_ptr 0
		.amdhsa_user_sgpr_kernarg_segment_ptr 1
		.amdhsa_user_sgpr_dispatch_id 0
		.amdhsa_user_sgpr_flat_scratch_init 0
		.amdhsa_user_sgpr_private_segment_size 0
		.amdhsa_uses_dynamic_stack 0
		.amdhsa_system_sgpr_private_segment_wavefront_offset 0
		.amdhsa_system_sgpr_workgroup_id_x 1
		.amdhsa_system_sgpr_workgroup_id_y 0
		.amdhsa_system_sgpr_workgroup_id_z 1
		.amdhsa_system_sgpr_workgroup_info 0
		.amdhsa_system_vgpr_workitem_id 1
		.amdhsa_next_free_vgpr 49
		.amdhsa_next_free_sgpr 98
		.amdhsa_reserve_vcc 1
		.amdhsa_reserve_flat_scratch 0
		.amdhsa_float_round_mode_32 0
		.amdhsa_float_round_mode_16_64 0
		.amdhsa_float_denorm_mode_32 3
		.amdhsa_float_denorm_mode_16_64 3
		.amdhsa_dx10_clamp 1
		.amdhsa_ieee_mode 1
		.amdhsa_fp16_overflow 0
		.amdhsa_exception_fp_ieee_invalid_op 0
		.amdhsa_exception_fp_denorm_src 0
		.amdhsa_exception_fp_ieee_div_zero 0
		.amdhsa_exception_fp_ieee_overflow 0
		.amdhsa_exception_fp_ieee_underflow 0
		.amdhsa_exception_fp_ieee_inexact 0
		.amdhsa_exception_int_div_zero 0
	.end_amdhsa_kernel
	.section	.text._ZL19rocblas_trsv_deviceILi32ELi16ELb0ELb1ELb1ELb1E19rocblas_complex_numIdES1_PKPKS1_PKPS1_EviT7_lllT6_T8_lllPii,"axG",@progbits,_ZL19rocblas_trsv_deviceILi32ELi16ELb0ELb1ELb1ELb1E19rocblas_complex_numIdES1_PKPKS1_PKPS1_EviT7_lllT6_T8_lllPii,comdat
.Lfunc_end183:
	.size	_ZL19rocblas_trsv_deviceILi32ELi16ELb0ELb1ELb1ELb1E19rocblas_complex_numIdES1_PKPKS1_PKPS1_EviT7_lllT6_T8_lllPii, .Lfunc_end183-_ZL19rocblas_trsv_deviceILi32ELi16ELb0ELb1ELb1ELb1E19rocblas_complex_numIdES1_PKPKS1_PKPS1_EviT7_lllT6_T8_lllPii
                                        ; -- End function
	.set _ZL19rocblas_trsv_deviceILi32ELi16ELb0ELb1ELb1ELb1E19rocblas_complex_numIdES1_PKPKS1_PKPS1_EviT7_lllT6_T8_lllPii.num_vgpr, 41
	.set _ZL19rocblas_trsv_deviceILi32ELi16ELb0ELb1ELb1ELb1E19rocblas_complex_numIdES1_PKPKS1_PKPS1_EviT7_lllT6_T8_lllPii.num_agpr, 0
	.set _ZL19rocblas_trsv_deviceILi32ELi16ELb0ELb1ELb1ELb1E19rocblas_complex_numIdES1_PKPKS1_PKPS1_EviT7_lllT6_T8_lllPii.numbered_sgpr, 95
	.set _ZL19rocblas_trsv_deviceILi32ELi16ELb0ELb1ELb1ELb1E19rocblas_complex_numIdES1_PKPKS1_PKPS1_EviT7_lllT6_T8_lllPii.num_named_barrier, 0
	.set _ZL19rocblas_trsv_deviceILi32ELi16ELb0ELb1ELb1ELb1E19rocblas_complex_numIdES1_PKPKS1_PKPS1_EviT7_lllT6_T8_lllPii.private_seg_size, 0
	.set _ZL19rocblas_trsv_deviceILi32ELi16ELb0ELb1ELb1ELb1E19rocblas_complex_numIdES1_PKPKS1_PKPS1_EviT7_lllT6_T8_lllPii.uses_vcc, 1
	.set _ZL19rocblas_trsv_deviceILi32ELi16ELb0ELb1ELb1ELb1E19rocblas_complex_numIdES1_PKPKS1_PKPS1_EviT7_lllT6_T8_lllPii.uses_flat_scratch, 0
	.set _ZL19rocblas_trsv_deviceILi32ELi16ELb0ELb1ELb1ELb1E19rocblas_complex_numIdES1_PKPKS1_PKPS1_EviT7_lllT6_T8_lllPii.has_dyn_sized_stack, 0
	.set _ZL19rocblas_trsv_deviceILi32ELi16ELb0ELb1ELb1ELb1E19rocblas_complex_numIdES1_PKPKS1_PKPS1_EviT7_lllT6_T8_lllPii.has_recursion, 0
	.set _ZL19rocblas_trsv_deviceILi32ELi16ELb0ELb1ELb1ELb1E19rocblas_complex_numIdES1_PKPKS1_PKPS1_EviT7_lllT6_T8_lllPii.has_indirect_call, 0
	.section	.AMDGPU.csdata,"",@progbits
; Kernel info:
; codeLenInByte = 22944
; TotalNumSgprs: 99
; NumVgprs: 41
; ScratchSize: 0
; MemoryBound: 1
; FloatMode: 240
; IeeeMode: 1
; LDSByteSize: 25104 bytes/workgroup (compile time only)
; SGPRBlocks: 12
; VGPRBlocks: 12
; NumSGPRsForWavesPerEU: 102
; NumVGPRsForWavesPerEU: 49
; Occupancy: 4
; WaveLimiterHint : 1
; COMPUTE_PGM_RSRC2:SCRATCH_EN: 0
; COMPUTE_PGM_RSRC2:USER_SGPR: 6
; COMPUTE_PGM_RSRC2:TRAP_HANDLER: 0
; COMPUTE_PGM_RSRC2:TGID_X_EN: 1
; COMPUTE_PGM_RSRC2:TGID_Y_EN: 0
; COMPUTE_PGM_RSRC2:TGID_Z_EN: 1
; COMPUTE_PGM_RSRC2:TIDIG_COMP_CNT: 1
	.section	.text._ZL19rocblas_trsv_deviceILi32ELi16ELb0ELb0ELb0ELb0E19rocblas_complex_numIdES1_PKPKS1_PKPS1_EviT7_lllT6_T8_lllPii,"axG",@progbits,_ZL19rocblas_trsv_deviceILi32ELi16ELb0ELb0ELb0ELb0E19rocblas_complex_numIdES1_PKPKS1_PKPS1_EviT7_lllT6_T8_lllPii,comdat
	.globl	_ZL19rocblas_trsv_deviceILi32ELi16ELb0ELb0ELb0ELb0E19rocblas_complex_numIdES1_PKPKS1_PKPS1_EviT7_lllT6_T8_lllPii ; -- Begin function _ZL19rocblas_trsv_deviceILi32ELi16ELb0ELb0ELb0ELb0E19rocblas_complex_numIdES1_PKPKS1_PKPS1_EviT7_lllT6_T8_lllPii
	.p2align	8
	.type	_ZL19rocblas_trsv_deviceILi32ELi16ELb0ELb0ELb0ELb0E19rocblas_complex_numIdES1_PKPKS1_PKPS1_EviT7_lllT6_T8_lllPii,@function
_ZL19rocblas_trsv_deviceILi32ELi16ELb0ELb0ELb0ELb0E19rocblas_complex_numIdES1_PKPKS1_PKPS1_EviT7_lllT6_T8_lllPii: ; @_ZL19rocblas_trsv_deviceILi32ELi16ELb0ELb0ELb0ELb0E19rocblas_complex_numIdES1_PKPKS1_PKPS1_EviT7_lllT6_T8_lllPii
; %bb.0:
	s_load_dwordx4 s[0:3], s[4:5], 0x8
	s_mov_b32 s24, s7
	s_mov_b32 s25, 0
	s_lshl_b64 s[8:9], s[24:25], 3
	v_mov_b32_e32 v2, v1
	s_waitcnt lgkmcnt(0)
	s_add_u32 s0, s0, s8
	s_addc_u32 s1, s1, s9
	s_load_dwordx2 s[10:11], s[0:1], 0x0
	s_load_dword s26, s[4:5], 0x0
	s_load_dwordx2 s[28:29], s[4:5], 0x18
	s_load_dwordx8 s[16:23], s[4:5], 0x28
	s_lshl_b64 s[0:1], s[2:3], 4
	s_waitcnt lgkmcnt(0)
	s_add_u32 s88, s10, s0
	s_addc_u32 s89, s11, s1
	s_load_dword s7, s[4:5], 0x68
	s_add_u32 s0, s20, s8
	s_addc_u32 s1, s21, s9
	s_load_dwordx2 s[34:35], s[0:1], 0x0
	s_load_dword s91, s[4:5], 0x74
	s_waitcnt lgkmcnt(0)
	s_add_i32 s7, s7, -1
	s_sub_i32 s90, s7, s6
	s_cmp_lg_u32 s6, 0
	s_cbranch_scc0 .LBB184_515
; %bb.1:
	s_lshl_b32 s33, s90, 5
	v_add3_u32 v1, v2, s33, 32
	v_ashrrev_i32_e32 v3, 31, v1
	v_mul_lo_u32 v7, s28, v3
	v_mul_lo_u32 v8, s29, v1
	v_mad_u64_u32 v[3:4], s[0:1], s28, v1, 0
	v_add_u32_e32 v5, s33, v0
	v_ashrrev_i32_e32 v6, 31, v5
	v_add3_u32 v4, v4, v7, v8
	v_lshlrev_b64 v[3:4], 4, v[3:4]
	v_mov_b32_e32 v7, s89
	v_add_co_u32_e64 v8, s[0:1], s88, v3
	v_addc_co_u32_e64 v7, s[0:1], v7, v4, s[0:1]
	v_lshlrev_b64 v[3:4], 4, v[5:6]
	v_cmp_gt_i32_e32 vcc, s26, v5
	v_add_co_u32_e64 v11, s[0:1], v8, v3
	v_addc_co_u32_e64 v12, s[0:1], v7, v4, s[0:1]
	v_cmp_gt_i32_e64 s[0:1], s26, v1
	v_mov_b32_e32 v9, 0
	v_mov_b32_e32 v3, 0
	;; [unrolled: 1-line block ×6, first 2 shown]
	s_and_b64 s[2:3], vcc, s[0:1]
	s_barrier
	s_and_saveexec_b64 s[0:1], s[2:3]
	s_cbranch_execz .LBB184_3
; %bb.2:
	flat_load_dwordx4 v[3:6], v[11:12]
.LBB184_3:
	s_or_b64 exec, exec, s[0:1]
	v_add_u32_e32 v1, 16, v1
	v_cmp_gt_i32_e64 s[0:1], s26, v1
	v_mov_b32_e32 v7, 0
	v_mov_b32_e32 v8, 0
	s_and_b64 s[2:3], vcc, s[0:1]
	s_waitcnt vmcnt(0) lgkmcnt(0)
	s_barrier
	s_and_saveexec_b64 s[0:1], s[2:3]
	s_cbranch_execz .LBB184_5
; %bb.4:
	s_lshl_b64 s[2:3], s[28:29], 8
	v_mov_b32_e32 v1, s3
	v_add_co_u32_e32 v7, vcc, s2, v11
	v_addc_co_u32_e32 v8, vcc, v12, v1, vcc
	flat_load_dwordx4 v[7:10], v[7:8]
.LBB184_5:
	s_or_b64 exec, exec, s[0:1]
	s_branch .LBB184_7
.LBB184_6:
	s_lshl_b32 s33, s90, 5
                                        ; implicit-def: $vgpr3_vgpr4
                                        ; implicit-def: $vgpr7_vgpr8
.LBB184_7:
	s_ashr_i32 s27, s26, 31
	s_lshr_b32 s0, s27, 27
	s_add_i32 s0, s26, s0
	s_andn2_b32 s0, s0, 31
	s_sub_i32 s87, s26, s0
	s_add_i32 s0, s26, -1
	s_ashr_i32 s1, s0, 31
	s_lshr_b32 s1, s1, 27
	s_add_i32 s0, s0, s1
	s_ashr_i32 s0, s0, 5
	s_cmp_eq_u32 s0, s90
	s_cselect_b64 s[0:1], -1, 0
	s_cmp_lg_u32 s87, 0
	s_cselect_b64 s[2:3], -1, 0
	s_and_b64 s[30:31], s[2:3], s[0:1]
	s_ashr_i32 s86, s33, 31
	s_add_u32 s8, s28, 1
	v_mov_b32_e32 v1, 0
	v_mov_b32_e32 v11, s33
	s_load_dwordx2 s[20:21], s[4:5], 0x48
	v_mad_u64_u32 v[19:20], s[0:1], s8, v11, v[0:1]
	s_addc_u32 s9, s29, 0
	s_mul_i32 s0, s8, s86
	s_mul_i32 s9, s9, s33
	s_add_i32 s0, s0, s9
	s_mov_b64 s[2:3], -1
	v_add_u32_e32 v20, s0, v20
	s_and_b64 vcc, exec, s[30:31]
	v_cmp_le_u32_e64 s[0:1], v2, v0
	v_lshl_add_u32 v1, v2, 5, v0
	s_cbranch_vccnz .LBB184_37
; %bb.8:
	v_mad_u64_u32 v[11:12], s[2:3], s28, v2, v[19:20]
	v_mad_u64_u32 v[12:13], s[2:3], s29, v2, v[12:13]
	s_and_saveexec_b64 s[2:3], s[0:1]
	s_xor_b64 s[0:1], exec, s[2:3]
	s_cbranch_execz .LBB184_20
; %bb.9:
	v_cmp_ne_u32_e32 vcc, v0, v2
	s_and_saveexec_b64 s[2:3], vcc
	s_xor_b64 s[2:3], exec, s[2:3]
	s_cbranch_execz .LBB184_13
; %bb.10:
	v_or_b32_e32 v11, v2, v0
	v_cmp_gt_u32_e32 vcc, 32, v11
	s_and_saveexec_b64 s[8:9], vcc
	s_cbranch_execz .LBB184_12
; %bb.11:
	v_mov_b32_e32 v11, 0
	v_lshlrev_b32_e32 v15, 4, v1
	v_mov_b32_e32 v12, v11
	v_mov_b32_e32 v13, v11
	;; [unrolled: 1-line block ×3, first 2 shown]
	ds_write_b128 v15, v[11:14]
.LBB184_12:
	s_or_b64 exec, exec, s[8:9]
                                        ; implicit-def: $vgpr11_vgpr12
.LBB184_13:
	s_andn2_saveexec_b64 s[2:3], s[2:3]
	s_cbranch_execz .LBB184_19
; %bb.14:
	v_lshlrev_b64 v[11:12], 4, v[11:12]
	v_mov_b32_e32 v13, s89
	v_add_co_u32_e32 v11, vcc, s88, v11
	v_addc_co_u32_e32 v12, vcc, v13, v12, vcc
	flat_load_dwordx4 v[11:14], v[11:12]
                                        ; implicit-def: $vgpr15_vgpr16
	s_waitcnt vmcnt(0) lgkmcnt(0)
	v_cmp_ngt_f64_e64 s[8:9], |v[11:12]|, |v[13:14]|
	s_and_saveexec_b64 s[10:11], s[8:9]
	s_xor_b64 s[8:9], exec, s[10:11]
	s_cbranch_execz .LBB184_16
; %bb.15:
	v_div_scale_f64 v[15:16], s[10:11], v[13:14], v[13:14], v[11:12]
	v_rcp_f64_e32 v[17:18], v[15:16]
	v_fma_f64 v[21:22], -v[15:16], v[17:18], 1.0
	v_fma_f64 v[17:18], v[17:18], v[21:22], v[17:18]
	v_div_scale_f64 v[21:22], vcc, v[11:12], v[13:14], v[11:12]
	v_fma_f64 v[23:24], -v[15:16], v[17:18], 1.0
	v_fma_f64 v[17:18], v[17:18], v[23:24], v[17:18]
	v_mul_f64 v[23:24], v[21:22], v[17:18]
	v_fma_f64 v[15:16], -v[15:16], v[23:24], v[21:22]
	v_div_fmas_f64 v[15:16], v[15:16], v[17:18], v[23:24]
	v_div_fixup_f64 v[15:16], v[15:16], v[13:14], v[11:12]
	v_fma_f64 v[11:12], v[11:12], v[15:16], v[13:14]
	v_div_scale_f64 v[13:14], s[10:11], v[11:12], v[11:12], 1.0
	v_div_scale_f64 v[23:24], vcc, 1.0, v[11:12], 1.0
	v_rcp_f64_e32 v[17:18], v[13:14]
	v_fma_f64 v[21:22], -v[13:14], v[17:18], 1.0
	v_fma_f64 v[17:18], v[17:18], v[21:22], v[17:18]
	v_fma_f64 v[21:22], -v[13:14], v[17:18], 1.0
	v_fma_f64 v[17:18], v[17:18], v[21:22], v[17:18]
	v_mul_f64 v[21:22], v[23:24], v[17:18]
	v_fma_f64 v[13:14], -v[13:14], v[21:22], v[23:24]
	v_div_fmas_f64 v[13:14], v[13:14], v[17:18], v[21:22]
	v_div_fixup_f64 v[17:18], v[13:14], v[11:12], 1.0
                                        ; implicit-def: $vgpr11_vgpr12
	v_mul_f64 v[15:16], v[15:16], v[17:18]
	v_xor_b32_e32 v18, 0x80000000, v18
.LBB184_16:
	s_andn2_saveexec_b64 s[8:9], s[8:9]
	s_cbranch_execz .LBB184_18
; %bb.17:
	v_div_scale_f64 v[15:16], s[10:11], v[11:12], v[11:12], v[13:14]
	v_rcp_f64_e32 v[17:18], v[15:16]
	v_fma_f64 v[21:22], -v[15:16], v[17:18], 1.0
	v_fma_f64 v[17:18], v[17:18], v[21:22], v[17:18]
	v_div_scale_f64 v[21:22], vcc, v[13:14], v[11:12], v[13:14]
	v_fma_f64 v[23:24], -v[15:16], v[17:18], 1.0
	v_fma_f64 v[17:18], v[17:18], v[23:24], v[17:18]
	v_mul_f64 v[23:24], v[21:22], v[17:18]
	v_fma_f64 v[15:16], -v[15:16], v[23:24], v[21:22]
	v_div_fmas_f64 v[15:16], v[15:16], v[17:18], v[23:24]
	v_div_fixup_f64 v[17:18], v[15:16], v[11:12], v[13:14]
	v_fma_f64 v[11:12], v[13:14], v[17:18], v[11:12]
	v_div_scale_f64 v[13:14], s[10:11], v[11:12], v[11:12], 1.0
	v_div_scale_f64 v[23:24], vcc, 1.0, v[11:12], 1.0
	v_rcp_f64_e32 v[15:16], v[13:14]
	v_fma_f64 v[21:22], -v[13:14], v[15:16], 1.0
	v_fma_f64 v[15:16], v[15:16], v[21:22], v[15:16]
	v_fma_f64 v[21:22], -v[13:14], v[15:16], 1.0
	v_fma_f64 v[15:16], v[15:16], v[21:22], v[15:16]
	v_mul_f64 v[21:22], v[23:24], v[15:16]
	v_fma_f64 v[13:14], -v[13:14], v[21:22], v[23:24]
	v_div_fmas_f64 v[13:14], v[13:14], v[15:16], v[21:22]
	v_div_fixup_f64 v[15:16], v[13:14], v[11:12], 1.0
	v_mul_f64 v[17:18], v[17:18], -v[15:16]
.LBB184_18:
	s_or_b64 exec, exec, s[8:9]
	v_lshlrev_b32_e32 v11, 4, v1
	ds_write_b128 v11, v[15:18]
.LBB184_19:
	s_or_b64 exec, exec, s[2:3]
                                        ; implicit-def: $vgpr11_vgpr12
.LBB184_20:
	s_andn2_saveexec_b64 s[0:1], s[0:1]
	s_cbranch_execz .LBB184_22
; %bb.21:
	v_lshlrev_b64 v[11:12], 4, v[11:12]
	v_mov_b32_e32 v13, s89
	v_add_co_u32_e32 v11, vcc, s88, v11
	v_addc_co_u32_e32 v12, vcc, v13, v12, vcc
	flat_load_dwordx4 v[11:14], v[11:12]
	v_lshlrev_b32_e32 v15, 4, v1
	s_waitcnt vmcnt(0) lgkmcnt(0)
	v_xor_b32_e32 v12, 0x80000000, v12
	v_xor_b32_e32 v14, 0x80000000, v14
	ds_write_b128 v15, v[11:14]
.LBB184_22:
	s_or_b64 exec, exec, s[0:1]
	v_add_u32_e32 v13, 16, v2
	v_mad_u64_u32 v[11:12], s[0:1], s28, v13, v[19:20]
	v_lshl_add_u32 v21, v13, 5, v0
	v_cmp_le_u32_e32 vcc, v13, v0
	v_mad_u64_u32 v[14:15], s[0:1], s29, v13, v[12:13]
	v_mov_b32_e32 v12, v14
	s_and_saveexec_b64 s[0:1], vcc
	s_xor_b64 s[0:1], exec, s[0:1]
	s_cbranch_execz .LBB184_34
; %bb.23:
	v_cmp_ne_u32_e32 vcc, v0, v13
	s_and_saveexec_b64 s[2:3], vcc
	s_xor_b64 s[2:3], exec, s[2:3]
	s_cbranch_execz .LBB184_27
; %bb.24:
	v_or_b32_e32 v11, v13, v0
	v_cmp_gt_u32_e32 vcc, 32, v11
	s_and_saveexec_b64 s[8:9], vcc
	s_cbranch_execz .LBB184_26
; %bb.25:
	v_mov_b32_e32 v11, 0
	v_lshlrev_b32_e32 v15, 4, v21
	v_mov_b32_e32 v12, v11
	v_mov_b32_e32 v13, v11
	;; [unrolled: 1-line block ×3, first 2 shown]
	ds_write_b128 v15, v[11:14]
.LBB184_26:
	s_or_b64 exec, exec, s[8:9]
                                        ; implicit-def: $vgpr21
                                        ; implicit-def: $vgpr11_vgpr12
.LBB184_27:
	s_andn2_saveexec_b64 s[2:3], s[2:3]
	s_cbranch_execz .LBB184_33
; %bb.28:
	v_lshlrev_b64 v[11:12], 4, v[11:12]
	v_mov_b32_e32 v13, s89
	v_add_co_u32_e32 v11, vcc, s88, v11
	v_addc_co_u32_e32 v12, vcc, v13, v12, vcc
	flat_load_dwordx4 v[11:14], v[11:12]
                                        ; implicit-def: $vgpr15_vgpr16
	s_waitcnt vmcnt(0) lgkmcnt(0)
	v_cmp_ngt_f64_e64 s[8:9], |v[11:12]|, |v[13:14]|
	s_and_saveexec_b64 s[10:11], s[8:9]
	s_xor_b64 s[8:9], exec, s[10:11]
	s_cbranch_execz .LBB184_30
; %bb.29:
	v_div_scale_f64 v[15:16], s[10:11], v[13:14], v[13:14], v[11:12]
	v_rcp_f64_e32 v[17:18], v[15:16]
	v_fma_f64 v[22:23], -v[15:16], v[17:18], 1.0
	v_fma_f64 v[17:18], v[17:18], v[22:23], v[17:18]
	v_div_scale_f64 v[22:23], vcc, v[11:12], v[13:14], v[11:12]
	v_fma_f64 v[24:25], -v[15:16], v[17:18], 1.0
	v_fma_f64 v[17:18], v[17:18], v[24:25], v[17:18]
	v_mul_f64 v[24:25], v[22:23], v[17:18]
	v_fma_f64 v[15:16], -v[15:16], v[24:25], v[22:23]
	v_div_fmas_f64 v[15:16], v[15:16], v[17:18], v[24:25]
	v_div_fixup_f64 v[15:16], v[15:16], v[13:14], v[11:12]
	v_fma_f64 v[11:12], v[11:12], v[15:16], v[13:14]
	v_div_scale_f64 v[13:14], s[10:11], v[11:12], v[11:12], 1.0
	v_div_scale_f64 v[24:25], vcc, 1.0, v[11:12], 1.0
	v_rcp_f64_e32 v[17:18], v[13:14]
	v_fma_f64 v[22:23], -v[13:14], v[17:18], 1.0
	v_fma_f64 v[17:18], v[17:18], v[22:23], v[17:18]
	v_fma_f64 v[22:23], -v[13:14], v[17:18], 1.0
	v_fma_f64 v[17:18], v[17:18], v[22:23], v[17:18]
	v_mul_f64 v[22:23], v[24:25], v[17:18]
	v_fma_f64 v[13:14], -v[13:14], v[22:23], v[24:25]
	v_div_fmas_f64 v[13:14], v[13:14], v[17:18], v[22:23]
	v_div_fixup_f64 v[17:18], v[13:14], v[11:12], 1.0
                                        ; implicit-def: $vgpr11_vgpr12
	v_mul_f64 v[15:16], v[15:16], v[17:18]
	v_xor_b32_e32 v18, 0x80000000, v18
.LBB184_30:
	s_andn2_saveexec_b64 s[8:9], s[8:9]
	s_cbranch_execz .LBB184_32
; %bb.31:
	v_div_scale_f64 v[15:16], s[10:11], v[11:12], v[11:12], v[13:14]
	v_rcp_f64_e32 v[17:18], v[15:16]
	v_fma_f64 v[22:23], -v[15:16], v[17:18], 1.0
	v_fma_f64 v[17:18], v[17:18], v[22:23], v[17:18]
	v_div_scale_f64 v[22:23], vcc, v[13:14], v[11:12], v[13:14]
	v_fma_f64 v[24:25], -v[15:16], v[17:18], 1.0
	v_fma_f64 v[17:18], v[17:18], v[24:25], v[17:18]
	v_mul_f64 v[24:25], v[22:23], v[17:18]
	v_fma_f64 v[15:16], -v[15:16], v[24:25], v[22:23]
	v_div_fmas_f64 v[15:16], v[15:16], v[17:18], v[24:25]
	v_div_fixup_f64 v[17:18], v[15:16], v[11:12], v[13:14]
	v_fma_f64 v[11:12], v[13:14], v[17:18], v[11:12]
	v_div_scale_f64 v[13:14], s[10:11], v[11:12], v[11:12], 1.0
	v_div_scale_f64 v[24:25], vcc, 1.0, v[11:12], 1.0
	v_rcp_f64_e32 v[15:16], v[13:14]
	v_fma_f64 v[22:23], -v[13:14], v[15:16], 1.0
	v_fma_f64 v[15:16], v[15:16], v[22:23], v[15:16]
	v_fma_f64 v[22:23], -v[13:14], v[15:16], 1.0
	v_fma_f64 v[15:16], v[15:16], v[22:23], v[15:16]
	v_mul_f64 v[22:23], v[24:25], v[15:16]
	v_fma_f64 v[13:14], -v[13:14], v[22:23], v[24:25]
	v_div_fmas_f64 v[13:14], v[13:14], v[15:16], v[22:23]
	v_div_fixup_f64 v[15:16], v[13:14], v[11:12], 1.0
	v_mul_f64 v[17:18], v[17:18], -v[15:16]
.LBB184_32:
	s_or_b64 exec, exec, s[8:9]
	v_lshlrev_b32_e32 v11, 4, v21
	ds_write_b128 v11, v[15:18]
.LBB184_33:
	s_or_b64 exec, exec, s[2:3]
                                        ; implicit-def: $vgpr11_vgpr12
                                        ; implicit-def: $vgpr21
.LBB184_34:
	s_andn2_saveexec_b64 s[0:1], s[0:1]
	s_cbranch_execz .LBB184_36
; %bb.35:
	v_lshlrev_b64 v[11:12], 4, v[11:12]
	v_mov_b32_e32 v13, s89
	v_add_co_u32_e32 v11, vcc, s88, v11
	v_addc_co_u32_e32 v12, vcc, v13, v12, vcc
	flat_load_dwordx4 v[11:14], v[11:12]
	v_lshlrev_b32_e32 v15, 4, v21
	s_waitcnt vmcnt(0) lgkmcnt(0)
	v_xor_b32_e32 v12, 0x80000000, v12
	v_xor_b32_e32 v14, 0x80000000, v14
	ds_write_b128 v15, v[11:14]
.LBB184_36:
	s_or_b64 exec, exec, s[0:1]
	s_mov_b64 s[2:3], 0
.LBB184_37:
	s_and_b64 vcc, exec, s[2:3]
	s_cbranch_vccz .LBB184_67
; %bb.38:
	v_mad_u64_u32 v[11:12], s[0:1], s28, v2, v[19:20]
	v_cmp_le_u32_e32 vcc, v2, v0
	v_cmp_gt_i32_e64 s[0:1], s87, v0
	v_mad_u64_u32 v[12:13], s[2:3], s29, v2, v[12:13]
	v_max_i32_e32 v13, v2, v0
	v_cmp_le_i32_e64 s[2:3], s87, v13
	s_or_b64 s[2:3], s[2:3], vcc
	s_and_saveexec_b64 s[8:9], s[2:3]
	s_xor_b64 s[2:3], exec, s[8:9]
	s_cbranch_execz .LBB184_50
; %bb.39:
	v_cmp_ne_u32_e32 vcc, v0, v2
	s_xor_b64 s[8:9], s[0:1], -1
	s_or_b64 s[8:9], s[8:9], vcc
	s_and_saveexec_b64 s[10:11], s[8:9]
	s_xor_b64 s[8:9], exec, s[10:11]
	s_cbranch_execz .LBB184_43
; %bb.40:
	v_or_b32_e32 v11, v2, v0
	v_cmp_gt_u32_e32 vcc, 32, v11
	s_and_saveexec_b64 s[10:11], vcc
	s_cbranch_execz .LBB184_42
; %bb.41:
	v_mov_b32_e32 v11, 0
	v_lshlrev_b32_e32 v15, 4, v1
	v_mov_b32_e32 v12, v11
	v_mov_b32_e32 v13, v11
	;; [unrolled: 1-line block ×3, first 2 shown]
	ds_write_b128 v15, v[11:14]
.LBB184_42:
	s_or_b64 exec, exec, s[10:11]
                                        ; implicit-def: $vgpr11_vgpr12
.LBB184_43:
	s_andn2_saveexec_b64 s[8:9], s[8:9]
	s_cbranch_execz .LBB184_49
; %bb.44:
	v_lshlrev_b64 v[11:12], 4, v[11:12]
	v_mov_b32_e32 v13, s89
	v_add_co_u32_e32 v11, vcc, s88, v11
	v_addc_co_u32_e32 v12, vcc, v13, v12, vcc
	flat_load_dwordx4 v[11:14], v[11:12]
                                        ; implicit-def: $vgpr15_vgpr16
	s_waitcnt vmcnt(0) lgkmcnt(0)
	v_cmp_ngt_f64_e64 s[10:11], |v[11:12]|, |v[13:14]|
	s_and_saveexec_b64 s[12:13], s[10:11]
	s_xor_b64 s[10:11], exec, s[12:13]
	s_cbranch_execz .LBB184_46
; %bb.45:
	v_div_scale_f64 v[15:16], s[12:13], v[13:14], v[13:14], v[11:12]
	v_rcp_f64_e32 v[17:18], v[15:16]
	v_fma_f64 v[21:22], -v[15:16], v[17:18], 1.0
	v_fma_f64 v[17:18], v[17:18], v[21:22], v[17:18]
	v_div_scale_f64 v[21:22], vcc, v[11:12], v[13:14], v[11:12]
	v_fma_f64 v[23:24], -v[15:16], v[17:18], 1.0
	v_fma_f64 v[17:18], v[17:18], v[23:24], v[17:18]
	v_mul_f64 v[23:24], v[21:22], v[17:18]
	v_fma_f64 v[15:16], -v[15:16], v[23:24], v[21:22]
	v_div_fmas_f64 v[15:16], v[15:16], v[17:18], v[23:24]
	v_div_fixup_f64 v[15:16], v[15:16], v[13:14], v[11:12]
	v_fma_f64 v[11:12], v[11:12], v[15:16], v[13:14]
	v_div_scale_f64 v[13:14], s[12:13], v[11:12], v[11:12], 1.0
	v_div_scale_f64 v[23:24], vcc, 1.0, v[11:12], 1.0
	v_rcp_f64_e32 v[17:18], v[13:14]
	v_fma_f64 v[21:22], -v[13:14], v[17:18], 1.0
	v_fma_f64 v[17:18], v[17:18], v[21:22], v[17:18]
	v_fma_f64 v[21:22], -v[13:14], v[17:18], 1.0
	v_fma_f64 v[17:18], v[17:18], v[21:22], v[17:18]
	v_mul_f64 v[21:22], v[23:24], v[17:18]
	v_fma_f64 v[13:14], -v[13:14], v[21:22], v[23:24]
	v_div_fmas_f64 v[13:14], v[13:14], v[17:18], v[21:22]
	v_div_fixup_f64 v[17:18], v[13:14], v[11:12], 1.0
                                        ; implicit-def: $vgpr11_vgpr12
	v_mul_f64 v[15:16], v[15:16], v[17:18]
	v_xor_b32_e32 v18, 0x80000000, v18
.LBB184_46:
	s_andn2_saveexec_b64 s[10:11], s[10:11]
	s_cbranch_execz .LBB184_48
; %bb.47:
	v_div_scale_f64 v[15:16], s[12:13], v[11:12], v[11:12], v[13:14]
	v_rcp_f64_e32 v[17:18], v[15:16]
	v_fma_f64 v[21:22], -v[15:16], v[17:18], 1.0
	v_fma_f64 v[17:18], v[17:18], v[21:22], v[17:18]
	v_div_scale_f64 v[21:22], vcc, v[13:14], v[11:12], v[13:14]
	v_fma_f64 v[23:24], -v[15:16], v[17:18], 1.0
	v_fma_f64 v[17:18], v[17:18], v[23:24], v[17:18]
	v_mul_f64 v[23:24], v[21:22], v[17:18]
	v_fma_f64 v[15:16], -v[15:16], v[23:24], v[21:22]
	v_div_fmas_f64 v[15:16], v[15:16], v[17:18], v[23:24]
	v_div_fixup_f64 v[17:18], v[15:16], v[11:12], v[13:14]
	v_fma_f64 v[11:12], v[13:14], v[17:18], v[11:12]
	v_div_scale_f64 v[13:14], s[12:13], v[11:12], v[11:12], 1.0
	v_div_scale_f64 v[23:24], vcc, 1.0, v[11:12], 1.0
	v_rcp_f64_e32 v[15:16], v[13:14]
	v_fma_f64 v[21:22], -v[13:14], v[15:16], 1.0
	v_fma_f64 v[15:16], v[15:16], v[21:22], v[15:16]
	v_fma_f64 v[21:22], -v[13:14], v[15:16], 1.0
	v_fma_f64 v[15:16], v[15:16], v[21:22], v[15:16]
	v_mul_f64 v[21:22], v[23:24], v[15:16]
	v_fma_f64 v[13:14], -v[13:14], v[21:22], v[23:24]
	v_div_fmas_f64 v[13:14], v[13:14], v[15:16], v[21:22]
	v_div_fixup_f64 v[15:16], v[13:14], v[11:12], 1.0
	v_mul_f64 v[17:18], v[17:18], -v[15:16]
.LBB184_48:
	s_or_b64 exec, exec, s[10:11]
	v_lshlrev_b32_e32 v11, 4, v1
	ds_write_b128 v11, v[15:18]
.LBB184_49:
	s_or_b64 exec, exec, s[8:9]
                                        ; implicit-def: $vgpr11_vgpr12
.LBB184_50:
	s_andn2_saveexec_b64 s[2:3], s[2:3]
	s_cbranch_execz .LBB184_52
; %bb.51:
	v_lshlrev_b64 v[11:12], 4, v[11:12]
	v_mov_b32_e32 v13, s89
	v_add_co_u32_e32 v11, vcc, s88, v11
	v_addc_co_u32_e32 v12, vcc, v13, v12, vcc
	flat_load_dwordx4 v[11:14], v[11:12]
	v_lshlrev_b32_e32 v15, 4, v1
	s_waitcnt vmcnt(0) lgkmcnt(0)
	v_xor_b32_e32 v12, 0x80000000, v12
	v_xor_b32_e32 v14, 0x80000000, v14
	ds_write_b128 v15, v[11:14]
.LBB184_52:
	s_or_b64 exec, exec, s[2:3]
	v_add_u32_e32 v13, 16, v2
	v_mad_u64_u32 v[11:12], s[2:3], s28, v13, v[19:20]
	v_cmp_gt_u32_e32 vcc, v13, v0
	v_lshl_add_u32 v19, v13, 5, v0
	v_mad_u64_u32 v[14:15], s[2:3], s29, v13, v[12:13]
	v_cmp_gt_i32_e64 s[2:3], s87, v13
	s_and_b64 s[2:3], vcc, s[2:3]
	s_and_b64 s[2:3], s[0:1], s[2:3]
	v_mov_b32_e32 v12, v14
	s_xor_b64 s[2:3], s[2:3], -1
	s_and_saveexec_b64 s[8:9], s[2:3]
	s_xor_b64 s[2:3], exec, s[8:9]
	s_cbranch_execz .LBB184_64
; %bb.53:
	v_cmp_ne_u32_e32 vcc, v0, v13
	s_xor_b64 s[0:1], s[0:1], -1
	s_or_b64 s[0:1], s[0:1], vcc
	s_and_saveexec_b64 s[8:9], s[0:1]
	s_xor_b64 s[0:1], exec, s[8:9]
	s_cbranch_execz .LBB184_57
; %bb.54:
	v_or_b32_e32 v11, v13, v0
	v_cmp_gt_u32_e32 vcc, 32, v11
	s_and_saveexec_b64 s[8:9], vcc
	s_cbranch_execz .LBB184_56
; %bb.55:
	v_mov_b32_e32 v11, 0
	v_lshlrev_b32_e32 v15, 4, v19
	v_mov_b32_e32 v12, v11
	v_mov_b32_e32 v13, v11
	;; [unrolled: 1-line block ×3, first 2 shown]
	ds_write_b128 v15, v[11:14]
.LBB184_56:
	s_or_b64 exec, exec, s[8:9]
                                        ; implicit-def: $vgpr19
                                        ; implicit-def: $vgpr11_vgpr12
.LBB184_57:
	s_andn2_saveexec_b64 s[0:1], s[0:1]
	s_cbranch_execz .LBB184_63
; %bb.58:
	v_lshlrev_b64 v[11:12], 4, v[11:12]
	v_mov_b32_e32 v13, s89
	v_add_co_u32_e32 v11, vcc, s88, v11
	v_addc_co_u32_e32 v12, vcc, v13, v12, vcc
	flat_load_dwordx4 v[11:14], v[11:12]
                                        ; implicit-def: $vgpr15_vgpr16
	s_waitcnt vmcnt(0) lgkmcnt(0)
	v_cmp_ngt_f64_e64 s[8:9], |v[11:12]|, |v[13:14]|
	s_and_saveexec_b64 s[10:11], s[8:9]
	s_xor_b64 s[8:9], exec, s[10:11]
	s_cbranch_execz .LBB184_60
; %bb.59:
	v_div_scale_f64 v[15:16], s[10:11], v[13:14], v[13:14], v[11:12]
	v_rcp_f64_e32 v[17:18], v[15:16]
	v_fma_f64 v[20:21], -v[15:16], v[17:18], 1.0
	v_fma_f64 v[17:18], v[17:18], v[20:21], v[17:18]
	v_div_scale_f64 v[20:21], vcc, v[11:12], v[13:14], v[11:12]
	v_fma_f64 v[22:23], -v[15:16], v[17:18], 1.0
	v_fma_f64 v[17:18], v[17:18], v[22:23], v[17:18]
	v_mul_f64 v[22:23], v[20:21], v[17:18]
	v_fma_f64 v[15:16], -v[15:16], v[22:23], v[20:21]
	v_div_fmas_f64 v[15:16], v[15:16], v[17:18], v[22:23]
	v_div_fixup_f64 v[15:16], v[15:16], v[13:14], v[11:12]
	v_fma_f64 v[11:12], v[11:12], v[15:16], v[13:14]
	v_div_scale_f64 v[13:14], s[10:11], v[11:12], v[11:12], 1.0
	v_div_scale_f64 v[22:23], vcc, 1.0, v[11:12], 1.0
	v_rcp_f64_e32 v[17:18], v[13:14]
	v_fma_f64 v[20:21], -v[13:14], v[17:18], 1.0
	v_fma_f64 v[17:18], v[17:18], v[20:21], v[17:18]
	v_fma_f64 v[20:21], -v[13:14], v[17:18], 1.0
	v_fma_f64 v[17:18], v[17:18], v[20:21], v[17:18]
	v_mul_f64 v[20:21], v[22:23], v[17:18]
	v_fma_f64 v[13:14], -v[13:14], v[20:21], v[22:23]
	v_div_fmas_f64 v[13:14], v[13:14], v[17:18], v[20:21]
	v_div_fixup_f64 v[17:18], v[13:14], v[11:12], 1.0
                                        ; implicit-def: $vgpr11_vgpr12
	v_mul_f64 v[15:16], v[15:16], v[17:18]
	v_xor_b32_e32 v18, 0x80000000, v18
.LBB184_60:
	s_andn2_saveexec_b64 s[8:9], s[8:9]
	s_cbranch_execz .LBB184_62
; %bb.61:
	v_div_scale_f64 v[15:16], s[10:11], v[11:12], v[11:12], v[13:14]
	v_rcp_f64_e32 v[17:18], v[15:16]
	v_fma_f64 v[20:21], -v[15:16], v[17:18], 1.0
	v_fma_f64 v[17:18], v[17:18], v[20:21], v[17:18]
	v_div_scale_f64 v[20:21], vcc, v[13:14], v[11:12], v[13:14]
	v_fma_f64 v[22:23], -v[15:16], v[17:18], 1.0
	v_fma_f64 v[17:18], v[17:18], v[22:23], v[17:18]
	v_mul_f64 v[22:23], v[20:21], v[17:18]
	v_fma_f64 v[15:16], -v[15:16], v[22:23], v[20:21]
	v_div_fmas_f64 v[15:16], v[15:16], v[17:18], v[22:23]
	v_div_fixup_f64 v[17:18], v[15:16], v[11:12], v[13:14]
	v_fma_f64 v[11:12], v[13:14], v[17:18], v[11:12]
	v_div_scale_f64 v[13:14], s[10:11], v[11:12], v[11:12], 1.0
	v_div_scale_f64 v[22:23], vcc, 1.0, v[11:12], 1.0
	v_rcp_f64_e32 v[15:16], v[13:14]
	v_fma_f64 v[20:21], -v[13:14], v[15:16], 1.0
	v_fma_f64 v[15:16], v[15:16], v[20:21], v[15:16]
	v_fma_f64 v[20:21], -v[13:14], v[15:16], 1.0
	v_fma_f64 v[15:16], v[15:16], v[20:21], v[15:16]
	v_mul_f64 v[20:21], v[22:23], v[15:16]
	v_fma_f64 v[13:14], -v[13:14], v[20:21], v[22:23]
	v_div_fmas_f64 v[13:14], v[13:14], v[15:16], v[20:21]
	v_div_fixup_f64 v[15:16], v[13:14], v[11:12], 1.0
	v_mul_f64 v[17:18], v[17:18], -v[15:16]
.LBB184_62:
	s_or_b64 exec, exec, s[8:9]
	v_lshlrev_b32_e32 v11, 4, v19
	ds_write_b128 v11, v[15:18]
.LBB184_63:
	s_or_b64 exec, exec, s[0:1]
                                        ; implicit-def: $vgpr11_vgpr12
                                        ; implicit-def: $vgpr19
.LBB184_64:
	s_andn2_saveexec_b64 s[0:1], s[2:3]
	s_cbranch_execz .LBB184_66
; %bb.65:
	v_lshlrev_b64 v[11:12], 4, v[11:12]
	v_mov_b32_e32 v13, s89
	v_add_co_u32_e32 v11, vcc, s88, v11
	v_addc_co_u32_e32 v12, vcc, v13, v12, vcc
	flat_load_dwordx4 v[11:14], v[11:12]
	v_lshlrev_b32_e32 v15, 4, v19
	s_waitcnt vmcnt(0) lgkmcnt(0)
	v_xor_b32_e32 v12, 0x80000000, v12
	v_xor_b32_e32 v14, 0x80000000, v14
	ds_write_b128 v15, v[11:14]
.LBB184_66:
	s_or_b64 exec, exec, s[0:1]
.LBB184_67:
	s_cmp_lt_i32 s6, 5
	s_cselect_b64 s[0:1], -1, 0
	s_or_b64 s[36:37], s[0:1], s[30:31]
	s_and_b64 vcc, exec, s[36:37]
	s_waitcnt vmcnt(0) lgkmcnt(0)
	s_barrier
	s_cbranch_vccnz .LBB184_461
; %bb.68:
	v_or_b32_e32 v11, v0, v2
	v_cmp_eq_u32_e32 vcc, 0, v11
	s_and_saveexec_b64 s[0:1], vcc
	s_cbranch_execz .LBB184_70
; %bb.69:
	v_mov_b32_e32 v25, 0
	ds_read_b128 v[11:14], v25 offset:16368
	ds_read_b128 v[15:18], v25 offset:15840
	;; [unrolled: 1-line block ×3, first 2 shown]
	s_waitcnt lgkmcnt(1)
	v_mul_f64 v[23:24], v[11:12], v[17:18]
	v_mul_f64 v[17:18], v[13:14], v[17:18]
	v_fma_f64 v[13:14], v[13:14], v[15:16], v[23:24]
	v_fma_f64 v[11:12], v[11:12], v[15:16], -v[17:18]
	s_waitcnt lgkmcnt(0)
	v_mul_f64 v[15:16], v[13:14], v[21:22]
	v_mul_f64 v[17:18], v[11:12], v[21:22]
	v_fma_f64 v[11:12], v[19:20], v[11:12], -v[15:16]
	v_fma_f64 v[13:14], v[19:20], v[13:14], v[17:18]
	ds_write_b128 v25, v[11:14] offset:16352
.LBB184_70:
	s_or_b64 exec, exec, s[0:1]
	v_lshlrev_b32_e32 v11, 5, v2
	v_add_u32_e32 v18, v11, v0
	v_add_u16_e32 v11, v11, v0
	v_lshrrev_b16_e32 v17, 1, v11
	v_mov_b32_e32 v11, 0
	v_mov_b32_e32 v13, 0
	v_and_b32_e32 v15, 1, v0
	v_sub_u32_e32 v16, 1, v17
	v_cmp_lt_u32_e64 s[2:3], 3, v18
	v_mov_b32_e32 v12, 0
	v_mov_b32_e32 v14, 0
	v_cmp_gt_u32_e64 s[0:1], 4, v18
	s_waitcnt lgkmcnt(0)
	s_barrier
	buffer_wbinvl1_vol
	s_and_saveexec_b64 s[10:11], s[0:1]
	s_cbranch_execz .LBB184_74
; %bb.71:
	v_lshlrev_b32_e32 v19, 4, v15
	v_lshlrev_b32_e32 v11, 9, v16
	ds_read_b128 v[11:14], v11 offset:15840
	ds_read_b128 v[19:22], v19 offset:15808
	v_cmp_gt_u32_e64 s[8:9], 2, v18
	s_waitcnt lgkmcnt(0)
	v_mul_f64 v[23:24], v[13:14], v[21:22]
	v_mul_f64 v[21:22], v[11:12], v[21:22]
	v_fma_f64 v[11:12], v[11:12], v[19:20], -v[23:24]
	v_fma_f64 v[13:14], v[13:14], v[19:20], v[21:22]
	v_add_f64 v[11:12], v[11:12], 0
	v_add_f64 v[13:14], v[13:14], 0
	s_and_saveexec_b64 s[12:13], s[8:9]
	s_cbranch_execz .LBB184_73
; %bb.72:
	v_lshlrev_b32_e32 v23, 4, v0
	v_mov_b32_e32 v19, 0
	ds_read_b128 v[19:22], v19 offset:16368
	ds_read_b128 v[23:26], v23 offset:16320
	s_waitcnt lgkmcnt(0)
	v_mul_f64 v[27:28], v[21:22], v[25:26]
	v_mul_f64 v[25:26], v[19:20], v[25:26]
	v_fma_f64 v[19:20], v[19:20], v[23:24], -v[27:28]
	v_fma_f64 v[21:22], v[21:22], v[23:24], v[25:26]
	v_add_f64 v[11:12], v[11:12], v[19:20]
	v_add_f64 v[13:14], v[13:14], v[21:22]
.LBB184_73:
	s_or_b64 exec, exec, s[12:13]
.LBB184_74:
	s_or_b64 exec, exec, s[10:11]
	v_mov_b32_e32 v19, 0x4000
	v_cmp_ne_u32_e64 s[8:9], 0, v15
	s_xor_b64 s[10:11], s[2:3], -1
	v_lshl_add_u32 v17, v17, 4, v19
	s_and_b64 s[40:41], s[8:9], s[10:11]
	s_and_saveexec_b64 s[2:3], s[40:41]
	s_cbranch_execz .LBB184_76
; %bb.75:
	v_mov_b32_e32 v19, 0
	ds_read_b128 v[19:22], v19 offset:15312
	s_waitcnt lgkmcnt(0)
	v_mul_f64 v[23:24], v[13:14], v[21:22]
	v_mul_f64 v[21:22], v[11:12], v[21:22]
	v_fma_f64 v[11:12], v[11:12], v[19:20], -v[23:24]
	v_fma_f64 v[13:14], v[13:14], v[19:20], v[21:22]
	v_xor_b32_e32 v20, 0x80000000, v12
	v_xor_b32_e32 v22, 0x80000000, v14
	v_mov_b32_e32 v19, v11
	v_mov_b32_e32 v21, v13
	ds_write_b128 v17, v[19:22]
.LBB184_76:
	s_or_b64 exec, exec, s[2:3]
	v_cmp_eq_u32_e64 s[2:3], 0, v15
	s_and_b64 s[38:39], s[2:3], s[10:11]
	s_waitcnt lgkmcnt(0)
	s_barrier
	s_and_saveexec_b64 s[2:3], s[38:39]
	s_cbranch_execz .LBB184_78
; %bb.77:
	v_mov_b32_e32 v23, 0
	ds_read_b128 v[19:22], v17
	ds_read_b128 v[23:26], v23 offset:15296
	s_waitcnt lgkmcnt(0)
	v_mul_f64 v[27:28], v[21:22], v[25:26]
	v_mul_f64 v[25:26], v[19:20], v[25:26]
	v_fma_f64 v[19:20], v[19:20], v[23:24], -v[27:28]
	v_fma_f64 v[21:22], v[21:22], v[23:24], v[25:26]
	v_add_f64 v[11:12], v[11:12], -v[19:20]
	v_add_f64 v[13:14], v[13:14], -v[21:22]
.LBB184_78:
	s_or_b64 exec, exec, s[2:3]
	s_barrier
	s_and_saveexec_b64 s[2:3], s[38:39]
	s_cbranch_execz .LBB184_80
; %bb.79:
	v_mov_b32_e32 v19, 0
	ds_read_b128 v[19:22], v19 offset:14784
	s_waitcnt lgkmcnt(0)
	v_mul_f64 v[23:24], v[13:14], v[21:22]
	v_mul_f64 v[21:22], v[11:12], v[21:22]
	v_fma_f64 v[11:12], v[11:12], v[19:20], -v[23:24]
	v_fma_f64 v[13:14], v[13:14], v[19:20], v[21:22]
	v_xor_b32_e32 v20, 0x80000000, v12
	v_xor_b32_e32 v22, 0x80000000, v14
	v_mov_b32_e32 v19, v11
	v_mov_b32_e32 v21, v13
	ds_write_b128 v17, v[19:22]
.LBB184_80:
	s_or_b64 exec, exec, s[2:3]
	s_waitcnt lgkmcnt(0)
	s_barrier
	s_barrier
	s_and_saveexec_b64 s[2:3], s[0:1]
; %bb.81:
	v_lshlrev_b32_e32 v19, 4, v15
	v_lshl_or_b32 v19, v16, 9, v19
	ds_write_b128 v19, v[11:14] offset:15808
; %bb.82:
	s_or_b64 exec, exec, s[2:3]
	s_waitcnt lgkmcnt(0)
	s_barrier
	s_barrier
	s_and_saveexec_b64 s[2:3], vcc
	s_cbranch_execz .LBB184_84
; %bb.83:
	v_mov_b32_e32 v29, 0
	ds_read_b128 v[11:14], v29 offset:15312
	ds_read_b128 v[19:22], v29 offset:14784
	;; [unrolled: 1-line block ×3, first 2 shown]
	s_waitcnt lgkmcnt(1)
	v_mul_f64 v[27:28], v[11:12], v[21:22]
	v_mul_f64 v[21:22], v[13:14], v[21:22]
	v_fma_f64 v[13:14], v[13:14], v[19:20], v[27:28]
	v_fma_f64 v[11:12], v[11:12], v[19:20], -v[21:22]
	s_waitcnt lgkmcnt(0)
	v_mul_f64 v[19:20], v[13:14], v[25:26]
	v_mul_f64 v[21:22], v[11:12], v[25:26]
	v_fma_f64 v[11:12], v[23:24], v[11:12], -v[19:20]
	v_fma_f64 v[13:14], v[23:24], v[13:14], v[21:22]
	ds_write_b128 v29, v[11:14] offset:15296
.LBB184_84:
	s_or_b64 exec, exec, s[2:3]
	v_lshrrev_b32_e32 v21, 2, v18
	v_mov_b32_e32 v13, 0
	v_mov_b32_e32 v11, 0
	v_and_b32_e32 v19, 3, v0
	v_sub_u32_e32 v20, 3, v21
	v_cmp_lt_u32_e64 s[8:9], 15, v18
	v_mov_b32_e32 v14, 0
	v_mov_b32_e32 v12, 0
	v_cmp_gt_u32_e64 s[2:3], 16, v18
	s_waitcnt lgkmcnt(0)
	s_barrier
	buffer_wbinvl1_vol
	s_and_saveexec_b64 s[12:13], s[2:3]
	s_cbranch_execz .LBB184_90
; %bb.85:
	v_lshlrev_b32_e32 v23, 9, v20
	v_lshlrev_b32_e32 v22, 4, v19
	ds_read_b128 v[11:14], v23 offset:14784
	ds_read_b128 v[24:27], v22 offset:14720
	v_cmp_gt_u32_e64 s[10:11], 12, v18
	s_waitcnt lgkmcnt(0)
	v_mul_f64 v[28:29], v[13:14], v[26:27]
	v_mul_f64 v[26:27], v[11:12], v[26:27]
	v_fma_f64 v[11:12], v[11:12], v[24:25], -v[28:29]
	v_fma_f64 v[13:14], v[13:14], v[24:25], v[26:27]
	v_add_f64 v[11:12], v[11:12], 0
	v_add_f64 v[13:14], v[13:14], 0
	s_and_saveexec_b64 s[14:15], s[10:11]
	s_cbranch_execnz .LBB184_520
; %bb.86:
	s_or_b64 exec, exec, s[14:15]
	v_cmp_gt_u32_e64 s[10:11], 8, v18
	s_and_saveexec_b64 s[14:15], s[10:11]
	s_cbranch_execnz .LBB184_521
.LBB184_87:
	s_or_b64 exec, exec, s[14:15]
	v_cmp_gt_u32_e64 s[10:11], 4, v18
	s_and_saveexec_b64 s[14:15], s[10:11]
	s_cbranch_execz .LBB184_89
.LBB184_88:
	v_lshlrev_b32_e32 v26, 4, v0
	v_mov_b32_e32 v22, 0
	ds_read_b128 v[22:25], v22 offset:16368
	ds_read_b128 v[26:29], v26 offset:16256
	s_waitcnt lgkmcnt(0)
	v_mul_f64 v[30:31], v[24:25], v[28:29]
	v_mul_f64 v[28:29], v[22:23], v[28:29]
	v_fma_f64 v[22:23], v[22:23], v[26:27], -v[30:31]
	v_fma_f64 v[24:25], v[24:25], v[26:27], v[28:29]
	v_add_f64 v[11:12], v[11:12], v[22:23]
	v_add_f64 v[13:14], v[13:14], v[24:25]
.LBB184_89:
	s_or_b64 exec, exec, s[14:15]
.LBB184_90:
	s_or_b64 exec, exec, s[12:13]
	v_mov_b32_e32 v22, 0x4000
	v_cmp_eq_u32_e64 s[10:11], 3, v19
	s_xor_b64 s[12:13], s[8:9], -1
	v_lshl_add_u32 v21, v21, 4, v22
	s_and_b64 s[44:45], s[10:11], s[12:13]
	s_and_saveexec_b64 s[8:9], s[44:45]
	s_cbranch_execz .LBB184_92
; %bb.91:
	v_mov_b32_e32 v22, 0
	ds_read_b128 v[22:25], v22 offset:14256
	s_waitcnt lgkmcnt(0)
	v_mul_f64 v[26:27], v[13:14], v[24:25]
	v_mul_f64 v[24:25], v[11:12], v[24:25]
	v_fma_f64 v[11:12], v[11:12], v[22:23], -v[26:27]
	v_fma_f64 v[13:14], v[13:14], v[22:23], v[24:25]
	v_xor_b32_e32 v23, 0x80000000, v12
	v_xor_b32_e32 v25, 0x80000000, v14
	v_mov_b32_e32 v22, v11
	v_mov_b32_e32 v24, v13
	ds_write_b128 v21, v[22:25]
.LBB184_92:
	s_or_b64 exec, exec, s[8:9]
	v_cmp_ne_u32_e64 s[8:9], 3, v19
	s_and_b64 s[46:47], s[8:9], s[12:13]
	s_waitcnt lgkmcnt(0)
	s_barrier
	s_and_saveexec_b64 s[8:9], s[46:47]
	s_cbranch_execz .LBB184_94
; %bb.93:
	v_lshlrev_b32_e32 v26, 4, v19
	ds_read_b128 v[22:25], v21
	ds_read_b128 v[26:29], v26 offset:14208
	s_waitcnt lgkmcnt(0)
	v_mul_f64 v[30:31], v[24:25], v[28:29]
	v_mul_f64 v[28:29], v[22:23], v[28:29]
	v_fma_f64 v[22:23], v[22:23], v[26:27], -v[30:31]
	v_fma_f64 v[24:25], v[24:25], v[26:27], v[28:29]
	v_add_f64 v[11:12], v[11:12], -v[22:23]
	v_add_f64 v[13:14], v[13:14], -v[24:25]
.LBB184_94:
	s_or_b64 exec, exec, s[8:9]
	v_cmp_eq_u32_e64 s[8:9], 2, v19
	s_and_b64 s[48:49], s[8:9], s[12:13]
	s_barrier
	s_and_saveexec_b64 s[8:9], s[48:49]
	s_cbranch_execz .LBB184_96
; %bb.95:
	v_mov_b32_e32 v22, 0
	ds_read_b128 v[22:25], v22 offset:13728
	s_waitcnt lgkmcnt(0)
	v_mul_f64 v[26:27], v[13:14], v[24:25]
	v_mul_f64 v[24:25], v[11:12], v[24:25]
	v_fma_f64 v[11:12], v[11:12], v[22:23], -v[26:27]
	v_fma_f64 v[13:14], v[13:14], v[22:23], v[24:25]
	v_xor_b32_e32 v23, 0x80000000, v12
	v_xor_b32_e32 v25, 0x80000000, v14
	v_mov_b32_e32 v22, v11
	v_mov_b32_e32 v24, v13
	ds_write_b128 v21, v[22:25]
.LBB184_96:
	s_or_b64 exec, exec, s[8:9]
	v_cmp_gt_u32_e64 s[8:9], 2, v19
	s_and_b64 s[50:51], s[8:9], s[12:13]
	s_waitcnt lgkmcnt(0)
	s_barrier
	s_and_saveexec_b64 s[8:9], s[50:51]
	s_cbranch_execz .LBB184_98
; %bb.97:
	v_lshlrev_b32_e32 v26, 4, v19
	ds_read_b128 v[22:25], v21
	ds_read_b128 v[26:29], v26 offset:13696
	s_waitcnt lgkmcnt(0)
	v_mul_f64 v[30:31], v[24:25], v[28:29]
	v_mul_f64 v[28:29], v[22:23], v[28:29]
	v_fma_f64 v[22:23], v[22:23], v[26:27], -v[30:31]
	v_fma_f64 v[24:25], v[24:25], v[26:27], v[28:29]
	v_add_f64 v[11:12], v[11:12], -v[22:23]
	v_add_f64 v[13:14], v[13:14], -v[24:25]
.LBB184_98:
	s_or_b64 exec, exec, s[8:9]
	v_cmp_eq_u32_e64 s[8:9], 1, v19
	s_and_b64 s[52:53], s[8:9], s[12:13]
	s_barrier
	s_and_saveexec_b64 s[8:9], s[52:53]
	s_cbranch_execz .LBB184_100
; %bb.99:
	v_mov_b32_e32 v22, 0
	ds_read_b128 v[22:25], v22 offset:13200
	s_waitcnt lgkmcnt(0)
	v_mul_f64 v[26:27], v[13:14], v[24:25]
	v_mul_f64 v[24:25], v[11:12], v[24:25]
	v_fma_f64 v[11:12], v[11:12], v[22:23], -v[26:27]
	v_fma_f64 v[13:14], v[13:14], v[22:23], v[24:25]
	v_xor_b32_e32 v23, 0x80000000, v12
	v_xor_b32_e32 v25, 0x80000000, v14
	v_mov_b32_e32 v22, v11
	v_mov_b32_e32 v24, v13
	ds_write_b128 v21, v[22:25]
.LBB184_100:
	s_or_b64 exec, exec, s[8:9]
	v_cmp_eq_u32_e64 s[8:9], 0, v19
	s_and_b64 s[42:43], s[8:9], s[12:13]
	s_waitcnt lgkmcnt(0)
	s_barrier
	s_and_saveexec_b64 s[8:9], s[42:43]
	s_cbranch_execz .LBB184_102
; %bb.101:
	v_mov_b32_e32 v26, 0
	ds_read_b128 v[22:25], v21
	ds_read_b128 v[26:29], v26 offset:13184
	s_waitcnt lgkmcnt(0)
	v_mul_f64 v[30:31], v[24:25], v[28:29]
	v_mul_f64 v[28:29], v[22:23], v[28:29]
	v_fma_f64 v[22:23], v[22:23], v[26:27], -v[30:31]
	v_fma_f64 v[24:25], v[24:25], v[26:27], v[28:29]
	v_add_f64 v[11:12], v[11:12], -v[22:23]
	v_add_f64 v[13:14], v[13:14], -v[24:25]
.LBB184_102:
	s_or_b64 exec, exec, s[8:9]
	s_barrier
	s_and_saveexec_b64 s[8:9], s[42:43]
	s_cbranch_execz .LBB184_104
; %bb.103:
	v_mov_b32_e32 v22, 0
	ds_read_b128 v[22:25], v22 offset:12672
	s_waitcnt lgkmcnt(0)
	v_mul_f64 v[26:27], v[13:14], v[24:25]
	v_mul_f64 v[24:25], v[11:12], v[24:25]
	v_fma_f64 v[11:12], v[11:12], v[22:23], -v[26:27]
	v_fma_f64 v[13:14], v[13:14], v[22:23], v[24:25]
	v_xor_b32_e32 v23, 0x80000000, v12
	v_xor_b32_e32 v25, 0x80000000, v14
	v_mov_b32_e32 v22, v11
	v_mov_b32_e32 v24, v13
	ds_write_b128 v21, v[22:25]
.LBB184_104:
	s_or_b64 exec, exec, s[8:9]
	s_waitcnt lgkmcnt(0)
	s_barrier
	s_barrier
	s_and_saveexec_b64 s[8:9], s[2:3]
; %bb.105:
	v_lshlrev_b32_e32 v22, 4, v19
	v_lshl_or_b32 v22, v20, 9, v22
	ds_write_b128 v22, v[11:14] offset:14720
; %bb.106:
	s_or_b64 exec, exec, s[8:9]
	s_waitcnt lgkmcnt(0)
	s_barrier
	s_barrier
	s_and_saveexec_b64 s[8:9], vcc
	s_cbranch_execz .LBB184_108
; %bb.107:
	v_mov_b32_e32 v32, 0
	ds_read_b128 v[11:14], v32 offset:14256
	ds_read_b128 v[22:25], v32 offset:13728
	;; [unrolled: 1-line block ×3, first 2 shown]
	s_waitcnt lgkmcnt(1)
	v_mul_f64 v[30:31], v[11:12], v[24:25]
	v_mul_f64 v[24:25], v[13:14], v[24:25]
	v_fma_f64 v[13:14], v[13:14], v[22:23], v[30:31]
	v_fma_f64 v[11:12], v[11:12], v[22:23], -v[24:25]
	s_waitcnt lgkmcnt(0)
	v_mul_f64 v[22:23], v[13:14], v[28:29]
	v_mul_f64 v[24:25], v[11:12], v[28:29]
	v_fma_f64 v[11:12], v[26:27], v[11:12], -v[22:23]
	v_fma_f64 v[13:14], v[26:27], v[13:14], v[24:25]
	ds_write_b128 v32, v[11:14] offset:14240
.LBB184_108:
	s_or_b64 exec, exec, s[8:9]
	v_mov_b32_e32 v11, 0
	v_mov_b32_e32 v13, 0
	;; [unrolled: 1-line block ×4, first 2 shown]
	s_waitcnt lgkmcnt(0)
	s_barrier
	buffer_wbinvl1_vol
	s_and_saveexec_b64 s[10:11], s[0:1]
	s_cbranch_execz .LBB184_112
; %bb.109:
	v_lshlrev_b32_e32 v22, 4, v15
	v_lshlrev_b32_e32 v11, 9, v16
	ds_read_b128 v[11:14], v11 offset:13728
	ds_read_b128 v[22:25], v22 offset:13696
	v_cmp_gt_u32_e64 s[8:9], 2, v18
	s_waitcnt lgkmcnt(0)
	v_mul_f64 v[26:27], v[13:14], v[24:25]
	v_mul_f64 v[24:25], v[11:12], v[24:25]
	v_fma_f64 v[11:12], v[11:12], v[22:23], -v[26:27]
	v_fma_f64 v[13:14], v[13:14], v[22:23], v[24:25]
	v_add_f64 v[11:12], v[11:12], 0
	v_add_f64 v[13:14], v[13:14], 0
	s_and_saveexec_b64 s[12:13], s[8:9]
	s_cbranch_execz .LBB184_111
; %bb.110:
	v_lshlrev_b32_e32 v26, 4, v0
	v_mov_b32_e32 v22, 0
	ds_read_b128 v[22:25], v22 offset:14256
	ds_read_b128 v[26:29], v26 offset:14208
	s_waitcnt lgkmcnt(0)
	v_mul_f64 v[30:31], v[24:25], v[28:29]
	v_mul_f64 v[28:29], v[22:23], v[28:29]
	v_fma_f64 v[22:23], v[22:23], v[26:27], -v[30:31]
	v_fma_f64 v[24:25], v[24:25], v[26:27], v[28:29]
	v_add_f64 v[11:12], v[11:12], v[22:23]
	v_add_f64 v[13:14], v[13:14], v[24:25]
.LBB184_111:
	s_or_b64 exec, exec, s[12:13]
.LBB184_112:
	s_or_b64 exec, exec, s[10:11]
	s_and_saveexec_b64 s[8:9], s[40:41]
	s_cbranch_execz .LBB184_114
; %bb.113:
	v_mov_b32_e32 v22, 0
	ds_read_b128 v[22:25], v22 offset:13200
	s_waitcnt lgkmcnt(0)
	v_mul_f64 v[26:27], v[13:14], v[24:25]
	v_mul_f64 v[24:25], v[11:12], v[24:25]
	v_fma_f64 v[11:12], v[11:12], v[22:23], -v[26:27]
	v_fma_f64 v[13:14], v[13:14], v[22:23], v[24:25]
	v_xor_b32_e32 v23, 0x80000000, v12
	v_xor_b32_e32 v25, 0x80000000, v14
	v_mov_b32_e32 v22, v11
	v_mov_b32_e32 v24, v13
	ds_write_b128 v17, v[22:25]
.LBB184_114:
	s_or_b64 exec, exec, s[8:9]
	s_waitcnt lgkmcnt(0)
	s_barrier
	s_and_saveexec_b64 s[8:9], s[38:39]
	s_cbranch_execz .LBB184_116
; %bb.115:
	v_mov_b32_e32 v26, 0
	ds_read_b128 v[22:25], v17
	ds_read_b128 v[26:29], v26 offset:13184
	s_waitcnt lgkmcnt(0)
	v_mul_f64 v[30:31], v[24:25], v[28:29]
	v_mul_f64 v[28:29], v[22:23], v[28:29]
	v_fma_f64 v[22:23], v[22:23], v[26:27], -v[30:31]
	v_fma_f64 v[24:25], v[24:25], v[26:27], v[28:29]
	v_add_f64 v[11:12], v[11:12], -v[22:23]
	v_add_f64 v[13:14], v[13:14], -v[24:25]
.LBB184_116:
	s_or_b64 exec, exec, s[8:9]
	s_barrier
	s_and_saveexec_b64 s[8:9], s[38:39]
	s_cbranch_execz .LBB184_118
; %bb.117:
	v_mov_b32_e32 v22, 0
	ds_read_b128 v[22:25], v22 offset:12672
	s_waitcnt lgkmcnt(0)
	v_mul_f64 v[26:27], v[13:14], v[24:25]
	v_mul_f64 v[24:25], v[11:12], v[24:25]
	v_fma_f64 v[11:12], v[11:12], v[22:23], -v[26:27]
	v_fma_f64 v[13:14], v[13:14], v[22:23], v[24:25]
	v_xor_b32_e32 v23, 0x80000000, v12
	v_xor_b32_e32 v25, 0x80000000, v14
	v_mov_b32_e32 v22, v11
	v_mov_b32_e32 v24, v13
	ds_write_b128 v17, v[22:25]
.LBB184_118:
	s_or_b64 exec, exec, s[8:9]
	s_waitcnt lgkmcnt(0)
	s_barrier
	s_barrier
	s_and_saveexec_b64 s[8:9], s[0:1]
; %bb.119:
	v_lshlrev_b32_e32 v22, 4, v15
	v_lshl_or_b32 v22, v16, 9, v22
	ds_write_b128 v22, v[11:14] offset:13696
; %bb.120:
	s_or_b64 exec, exec, s[8:9]
	s_waitcnt lgkmcnt(0)
	s_barrier
	s_barrier
	s_and_saveexec_b64 s[8:9], vcc
	s_cbranch_execz .LBB184_122
; %bb.121:
	v_mov_b32_e32 v32, 0
	ds_read_b128 v[11:14], v32 offset:13200
	ds_read_b128 v[22:25], v32 offset:12672
	;; [unrolled: 1-line block ×3, first 2 shown]
	s_waitcnt lgkmcnt(1)
	v_mul_f64 v[30:31], v[11:12], v[24:25]
	v_mul_f64 v[24:25], v[13:14], v[24:25]
	v_fma_f64 v[13:14], v[13:14], v[22:23], v[30:31]
	v_fma_f64 v[11:12], v[11:12], v[22:23], -v[24:25]
	s_waitcnt lgkmcnt(0)
	v_mul_f64 v[22:23], v[13:14], v[28:29]
	v_mul_f64 v[24:25], v[11:12], v[28:29]
	v_fma_f64 v[11:12], v[26:27], v[11:12], -v[22:23]
	v_fma_f64 v[13:14], v[26:27], v[13:14], v[24:25]
	ds_write_b128 v32, v[11:14] offset:13184
.LBB184_122:
	s_or_b64 exec, exec, s[8:9]
	v_lshrrev_b32_e32 v24, 3, v18
	v_mov_b32_e32 v13, 0
	v_mov_b32_e32 v11, 0
	v_and_b32_e32 v22, 7, v0
	v_sub_u32_e32 v23, 7, v24
	v_cmp_lt_u32_e64 s[8:9], 63, v18
	v_mov_b32_e32 v14, 0
	v_mov_b32_e32 v12, 0
	v_cmp_gt_u32_e64 s[12:13], 64, v18
	s_waitcnt lgkmcnt(0)
	s_barrier
	buffer_wbinvl1_vol
	s_and_saveexec_b64 s[14:15], s[12:13]
	s_cbranch_execz .LBB184_132
; %bb.123:
	v_lshlrev_b32_e32 v26, 9, v23
	v_lshlrev_b32_e32 v25, 4, v22
	ds_read_b128 v[11:14], v26 offset:12672
	ds_read_b128 v[27:30], v25 offset:12544
	v_cmp_gt_u32_e64 s[10:11], 56, v18
	s_waitcnt lgkmcnt(0)
	v_mul_f64 v[31:32], v[13:14], v[29:30]
	v_mul_f64 v[29:30], v[11:12], v[29:30]
	v_fma_f64 v[11:12], v[11:12], v[27:28], -v[31:32]
	v_fma_f64 v[13:14], v[13:14], v[27:28], v[29:30]
	v_add_f64 v[11:12], v[11:12], 0
	v_add_f64 v[13:14], v[13:14], 0
	s_and_saveexec_b64 s[54:55], s[10:11]
	s_cbranch_execnz .LBB184_522
; %bb.124:
	s_or_b64 exec, exec, s[54:55]
	v_cmp_gt_u32_e64 s[10:11], 48, v18
	s_and_saveexec_b64 s[54:55], s[10:11]
	s_cbranch_execnz .LBB184_523
.LBB184_125:
	s_or_b64 exec, exec, s[54:55]
	v_cmp_gt_u32_e64 s[10:11], 40, v18
	s_and_saveexec_b64 s[54:55], s[10:11]
	s_cbranch_execnz .LBB184_524
.LBB184_126:
	s_or_b64 exec, exec, s[54:55]
	v_cmp_gt_u32_e64 s[10:11], 32, v18
	s_and_saveexec_b64 s[54:55], s[10:11]
	s_cbranch_execnz .LBB184_525
.LBB184_127:
	s_or_b64 exec, exec, s[54:55]
	v_cmp_gt_u32_e64 s[10:11], 24, v18
	s_and_saveexec_b64 s[54:55], s[10:11]
	s_cbranch_execnz .LBB184_526
.LBB184_128:
	s_or_b64 exec, exec, s[54:55]
	s_and_saveexec_b64 s[10:11], s[2:3]
	s_cbranch_execnz .LBB184_527
.LBB184_129:
	s_or_b64 exec, exec, s[10:11]
	v_cmp_gt_u32_e64 s[10:11], 8, v18
	s_and_saveexec_b64 s[54:55], s[10:11]
	s_cbranch_execz .LBB184_131
.LBB184_130:
	v_lshlrev_b32_e32 v29, 4, v0
	v_mov_b32_e32 v25, 0
	ds_read_b128 v[25:28], v25 offset:16368
	ds_read_b128 v[29:32], v29 offset:16128
	s_waitcnt lgkmcnt(0)
	v_mul_f64 v[33:34], v[27:28], v[31:32]
	v_mul_f64 v[31:32], v[25:26], v[31:32]
	v_fma_f64 v[25:26], v[25:26], v[29:30], -v[33:34]
	v_fma_f64 v[27:28], v[27:28], v[29:30], v[31:32]
	v_add_f64 v[11:12], v[11:12], v[25:26]
	v_add_f64 v[13:14], v[13:14], v[27:28]
.LBB184_131:
	s_or_b64 exec, exec, s[54:55]
.LBB184_132:
	s_or_b64 exec, exec, s[14:15]
	v_mov_b32_e32 v25, 0x4000
	v_cmp_eq_u32_e64 s[10:11], 7, v22
	s_xor_b64 s[14:15], s[8:9], -1
	v_lshl_add_u32 v24, v24, 4, v25
	s_and_b64 s[56:57], s[10:11], s[14:15]
	s_and_saveexec_b64 s[8:9], s[56:57]
	s_cbranch_execz .LBB184_134
; %bb.133:
	v_mov_b32_e32 v25, 0
	ds_read_b128 v[25:28], v25 offset:12144
	s_waitcnt lgkmcnt(0)
	v_mul_f64 v[29:30], v[13:14], v[27:28]
	v_mul_f64 v[27:28], v[11:12], v[27:28]
	v_fma_f64 v[11:12], v[11:12], v[25:26], -v[29:30]
	v_fma_f64 v[13:14], v[13:14], v[25:26], v[27:28]
	v_xor_b32_e32 v26, 0x80000000, v12
	v_xor_b32_e32 v28, 0x80000000, v14
	v_mov_b32_e32 v25, v11
	v_mov_b32_e32 v27, v13
	ds_write_b128 v24, v[25:28]
.LBB184_134:
	s_or_b64 exec, exec, s[8:9]
	v_cmp_ne_u32_e64 s[8:9], 7, v22
	s_and_b64 s[58:59], s[8:9], s[14:15]
	s_waitcnt lgkmcnt(0)
	s_barrier
	s_and_saveexec_b64 s[8:9], s[58:59]
	s_cbranch_execz .LBB184_136
; %bb.135:
	v_lshlrev_b32_e32 v29, 4, v22
	ds_read_b128 v[25:28], v24
	ds_read_b128 v[29:32], v29 offset:12032
	s_waitcnt lgkmcnt(0)
	v_mul_f64 v[33:34], v[27:28], v[31:32]
	v_mul_f64 v[31:32], v[25:26], v[31:32]
	v_fma_f64 v[25:26], v[25:26], v[29:30], -v[33:34]
	v_fma_f64 v[27:28], v[27:28], v[29:30], v[31:32]
	v_add_f64 v[11:12], v[11:12], -v[25:26]
	v_add_f64 v[13:14], v[13:14], -v[27:28]
.LBB184_136:
	s_or_b64 exec, exec, s[8:9]
	v_cmp_eq_u32_e64 s[8:9], 6, v22
	s_and_b64 s[60:61], s[8:9], s[14:15]
	s_barrier
	s_and_saveexec_b64 s[8:9], s[60:61]
	s_cbranch_execz .LBB184_138
; %bb.137:
	v_mov_b32_e32 v25, 0
	ds_read_b128 v[25:28], v25 offset:11616
	s_waitcnt lgkmcnt(0)
	v_mul_f64 v[29:30], v[13:14], v[27:28]
	v_mul_f64 v[27:28], v[11:12], v[27:28]
	v_fma_f64 v[11:12], v[11:12], v[25:26], -v[29:30]
	v_fma_f64 v[13:14], v[13:14], v[25:26], v[27:28]
	v_xor_b32_e32 v26, 0x80000000, v12
	v_xor_b32_e32 v28, 0x80000000, v14
	v_mov_b32_e32 v25, v11
	v_mov_b32_e32 v27, v13
	ds_write_b128 v24, v[25:28]
.LBB184_138:
	s_or_b64 exec, exec, s[8:9]
	v_cmp_gt_u32_e64 s[8:9], 6, v22
	s_and_b64 s[62:63], s[8:9], s[14:15]
	s_waitcnt lgkmcnt(0)
	s_barrier
	s_and_saveexec_b64 s[8:9], s[62:63]
	s_cbranch_execz .LBB184_140
; %bb.139:
	v_lshlrev_b32_e32 v29, 4, v22
	ds_read_b128 v[25:28], v24
	ds_read_b128 v[29:32], v29 offset:11520
	s_waitcnt lgkmcnt(0)
	v_mul_f64 v[33:34], v[27:28], v[31:32]
	v_mul_f64 v[31:32], v[25:26], v[31:32]
	v_fma_f64 v[25:26], v[25:26], v[29:30], -v[33:34]
	v_fma_f64 v[27:28], v[27:28], v[29:30], v[31:32]
	v_add_f64 v[11:12], v[11:12], -v[25:26]
	v_add_f64 v[13:14], v[13:14], -v[27:28]
.LBB184_140:
	s_or_b64 exec, exec, s[8:9]
	v_cmp_eq_u32_e64 s[8:9], 5, v22
	s_and_b64 s[64:65], s[8:9], s[14:15]
	s_barrier
	s_and_saveexec_b64 s[8:9], s[64:65]
	s_cbranch_execz .LBB184_142
; %bb.141:
	v_mov_b32_e32 v25, 0
	ds_read_b128 v[25:28], v25 offset:11088
	s_waitcnt lgkmcnt(0)
	v_mul_f64 v[29:30], v[13:14], v[27:28]
	v_mul_f64 v[27:28], v[11:12], v[27:28]
	v_fma_f64 v[11:12], v[11:12], v[25:26], -v[29:30]
	v_fma_f64 v[13:14], v[13:14], v[25:26], v[27:28]
	v_xor_b32_e32 v26, 0x80000000, v12
	v_xor_b32_e32 v28, 0x80000000, v14
	v_mov_b32_e32 v25, v11
	v_mov_b32_e32 v27, v13
	ds_write_b128 v24, v[25:28]
.LBB184_142:
	s_or_b64 exec, exec, s[8:9]
	v_cmp_gt_u32_e64 s[8:9], 5, v22
	;; [unrolled: 39-line block ×5, first 2 shown]
	s_and_b64 s[78:79], s[8:9], s[14:15]
	s_waitcnt lgkmcnt(0)
	s_barrier
	s_and_saveexec_b64 s[8:9], s[78:79]
	s_cbranch_execz .LBB184_156
; %bb.155:
	v_lshlrev_b32_e32 v29, 4, v22
	ds_read_b128 v[25:28], v24
	ds_read_b128 v[29:32], v29 offset:9472
	s_waitcnt lgkmcnt(0)
	v_mul_f64 v[33:34], v[27:28], v[31:32]
	v_mul_f64 v[31:32], v[25:26], v[31:32]
	v_fma_f64 v[25:26], v[25:26], v[29:30], -v[33:34]
	v_fma_f64 v[27:28], v[27:28], v[29:30], v[31:32]
	v_add_f64 v[11:12], v[11:12], -v[25:26]
	v_add_f64 v[13:14], v[13:14], -v[27:28]
.LBB184_156:
	s_or_b64 exec, exec, s[8:9]
	v_cmp_eq_u32_e64 s[8:9], 1, v22
	s_and_b64 s[80:81], s[8:9], s[14:15]
	s_barrier
	s_and_saveexec_b64 s[8:9], s[80:81]
	s_cbranch_execz .LBB184_158
; %bb.157:
	v_mov_b32_e32 v25, 0
	ds_read_b128 v[25:28], v25 offset:8976
	s_waitcnt lgkmcnt(0)
	v_mul_f64 v[29:30], v[13:14], v[27:28]
	v_mul_f64 v[27:28], v[11:12], v[27:28]
	v_fma_f64 v[11:12], v[11:12], v[25:26], -v[29:30]
	v_fma_f64 v[13:14], v[13:14], v[25:26], v[27:28]
	v_xor_b32_e32 v26, 0x80000000, v12
	v_xor_b32_e32 v28, 0x80000000, v14
	v_mov_b32_e32 v25, v11
	v_mov_b32_e32 v27, v13
	ds_write_b128 v24, v[25:28]
.LBB184_158:
	s_or_b64 exec, exec, s[8:9]
	v_cmp_eq_u32_e64 s[8:9], 0, v22
	s_and_b64 s[54:55], s[8:9], s[14:15]
	s_waitcnt lgkmcnt(0)
	s_barrier
	s_and_saveexec_b64 s[8:9], s[54:55]
	s_cbranch_execz .LBB184_160
; %bb.159:
	v_mov_b32_e32 v29, 0
	ds_read_b128 v[25:28], v24
	ds_read_b128 v[29:32], v29 offset:8960
	s_waitcnt lgkmcnt(0)
	v_mul_f64 v[33:34], v[27:28], v[31:32]
	v_mul_f64 v[31:32], v[25:26], v[31:32]
	v_fma_f64 v[25:26], v[25:26], v[29:30], -v[33:34]
	v_fma_f64 v[27:28], v[27:28], v[29:30], v[31:32]
	v_add_f64 v[11:12], v[11:12], -v[25:26]
	v_add_f64 v[13:14], v[13:14], -v[27:28]
.LBB184_160:
	s_or_b64 exec, exec, s[8:9]
	s_barrier
	s_and_saveexec_b64 s[8:9], s[54:55]
	s_cbranch_execz .LBB184_162
; %bb.161:
	v_mov_b32_e32 v25, 0
	ds_read_b128 v[25:28], v25 offset:8448
	s_waitcnt lgkmcnt(0)
	v_mul_f64 v[29:30], v[13:14], v[27:28]
	v_mul_f64 v[27:28], v[11:12], v[27:28]
	v_fma_f64 v[11:12], v[11:12], v[25:26], -v[29:30]
	v_fma_f64 v[13:14], v[13:14], v[25:26], v[27:28]
	v_xor_b32_e32 v26, 0x80000000, v12
	v_xor_b32_e32 v28, 0x80000000, v14
	v_mov_b32_e32 v25, v11
	v_mov_b32_e32 v27, v13
	ds_write_b128 v24, v[25:28]
.LBB184_162:
	s_or_b64 exec, exec, s[8:9]
	s_waitcnt lgkmcnt(0)
	s_barrier
	s_barrier
	s_and_saveexec_b64 s[8:9], s[12:13]
; %bb.163:
	v_lshlrev_b32_e32 v25, 4, v22
	v_lshl_or_b32 v25, v23, 9, v25
	ds_write_b128 v25, v[11:14] offset:12544
; %bb.164:
	s_or_b64 exec, exec, s[8:9]
	s_waitcnt lgkmcnt(0)
	s_barrier
	s_barrier
	s_and_saveexec_b64 s[8:9], vcc
	s_cbranch_execz .LBB184_166
; %bb.165:
	v_mov_b32_e32 v35, 0
	ds_read_b128 v[11:14], v35 offset:12144
	ds_read_b128 v[25:28], v35 offset:11616
	;; [unrolled: 1-line block ×3, first 2 shown]
	s_waitcnt lgkmcnt(1)
	v_mul_f64 v[33:34], v[11:12], v[27:28]
	v_mul_f64 v[27:28], v[13:14], v[27:28]
	v_fma_f64 v[13:14], v[13:14], v[25:26], v[33:34]
	v_fma_f64 v[11:12], v[11:12], v[25:26], -v[27:28]
	s_waitcnt lgkmcnt(0)
	v_mul_f64 v[25:26], v[13:14], v[31:32]
	v_mul_f64 v[27:28], v[11:12], v[31:32]
	v_fma_f64 v[11:12], v[29:30], v[11:12], -v[25:26]
	v_fma_f64 v[13:14], v[29:30], v[13:14], v[27:28]
	ds_write_b128 v35, v[11:14] offset:12128
.LBB184_166:
	s_or_b64 exec, exec, s[8:9]
	v_mov_b32_e32 v11, 0
	v_mov_b32_e32 v13, 0
	;; [unrolled: 1-line block ×4, first 2 shown]
	s_waitcnt lgkmcnt(0)
	s_barrier
	buffer_wbinvl1_vol
	s_and_saveexec_b64 s[10:11], s[0:1]
	s_cbranch_execz .LBB184_170
; %bb.167:
	v_lshlrev_b32_e32 v25, 4, v15
	v_lshlrev_b32_e32 v11, 9, v16
	ds_read_b128 v[11:14], v11 offset:11616
	ds_read_b128 v[25:28], v25 offset:11584
	v_cmp_gt_u32_e64 s[8:9], 2, v18
	s_waitcnt lgkmcnt(0)
	v_mul_f64 v[29:30], v[13:14], v[27:28]
	v_mul_f64 v[27:28], v[11:12], v[27:28]
	v_fma_f64 v[11:12], v[11:12], v[25:26], -v[29:30]
	v_fma_f64 v[13:14], v[13:14], v[25:26], v[27:28]
	v_add_f64 v[11:12], v[11:12], 0
	v_add_f64 v[13:14], v[13:14], 0
	s_and_saveexec_b64 s[14:15], s[8:9]
	s_cbranch_execz .LBB184_169
; %bb.168:
	v_lshlrev_b32_e32 v29, 4, v0
	v_mov_b32_e32 v25, 0
	ds_read_b128 v[25:28], v25 offset:12144
	ds_read_b128 v[29:32], v29 offset:12096
	s_waitcnt lgkmcnt(0)
	v_mul_f64 v[33:34], v[27:28], v[31:32]
	v_mul_f64 v[31:32], v[25:26], v[31:32]
	v_fma_f64 v[25:26], v[25:26], v[29:30], -v[33:34]
	v_fma_f64 v[27:28], v[27:28], v[29:30], v[31:32]
	v_add_f64 v[11:12], v[11:12], v[25:26]
	v_add_f64 v[13:14], v[13:14], v[27:28]
.LBB184_169:
	s_or_b64 exec, exec, s[14:15]
.LBB184_170:
	s_or_b64 exec, exec, s[10:11]
	s_and_saveexec_b64 s[8:9], s[40:41]
	s_cbranch_execz .LBB184_172
; %bb.171:
	v_mov_b32_e32 v25, 0
	ds_read_b128 v[25:28], v25 offset:11088
	s_waitcnt lgkmcnt(0)
	v_mul_f64 v[29:30], v[13:14], v[27:28]
	v_mul_f64 v[27:28], v[11:12], v[27:28]
	v_fma_f64 v[11:12], v[11:12], v[25:26], -v[29:30]
	v_fma_f64 v[13:14], v[13:14], v[25:26], v[27:28]
	v_xor_b32_e32 v26, 0x80000000, v12
	v_xor_b32_e32 v28, 0x80000000, v14
	v_mov_b32_e32 v25, v11
	v_mov_b32_e32 v27, v13
	ds_write_b128 v17, v[25:28]
.LBB184_172:
	s_or_b64 exec, exec, s[8:9]
	s_waitcnt lgkmcnt(0)
	s_barrier
	s_and_saveexec_b64 s[8:9], s[38:39]
	s_cbranch_execz .LBB184_174
; %bb.173:
	v_mov_b32_e32 v29, 0
	ds_read_b128 v[25:28], v17
	ds_read_b128 v[29:32], v29 offset:11072
	s_waitcnt lgkmcnt(0)
	v_mul_f64 v[33:34], v[27:28], v[31:32]
	v_mul_f64 v[31:32], v[25:26], v[31:32]
	v_fma_f64 v[25:26], v[25:26], v[29:30], -v[33:34]
	v_fma_f64 v[27:28], v[27:28], v[29:30], v[31:32]
	v_add_f64 v[11:12], v[11:12], -v[25:26]
	v_add_f64 v[13:14], v[13:14], -v[27:28]
.LBB184_174:
	s_or_b64 exec, exec, s[8:9]
	s_barrier
	s_and_saveexec_b64 s[8:9], s[38:39]
	s_cbranch_execz .LBB184_176
; %bb.175:
	v_mov_b32_e32 v25, 0
	ds_read_b128 v[25:28], v25 offset:10560
	s_waitcnt lgkmcnt(0)
	v_mul_f64 v[29:30], v[13:14], v[27:28]
	v_mul_f64 v[27:28], v[11:12], v[27:28]
	v_fma_f64 v[11:12], v[11:12], v[25:26], -v[29:30]
	v_fma_f64 v[13:14], v[13:14], v[25:26], v[27:28]
	v_xor_b32_e32 v26, 0x80000000, v12
	v_xor_b32_e32 v28, 0x80000000, v14
	v_mov_b32_e32 v25, v11
	v_mov_b32_e32 v27, v13
	ds_write_b128 v17, v[25:28]
.LBB184_176:
	s_or_b64 exec, exec, s[8:9]
	s_waitcnt lgkmcnt(0)
	s_barrier
	s_barrier
	s_and_saveexec_b64 s[8:9], s[0:1]
; %bb.177:
	v_lshlrev_b32_e32 v25, 4, v15
	v_lshl_or_b32 v25, v16, 9, v25
	ds_write_b128 v25, v[11:14] offset:11584
; %bb.178:
	s_or_b64 exec, exec, s[8:9]
	s_waitcnt lgkmcnt(0)
	s_barrier
	s_barrier
	s_and_saveexec_b64 s[8:9], vcc
	s_cbranch_execz .LBB184_180
; %bb.179:
	v_mov_b32_e32 v35, 0
	ds_read_b128 v[11:14], v35 offset:11088
	ds_read_b128 v[25:28], v35 offset:10560
	;; [unrolled: 1-line block ×3, first 2 shown]
	s_waitcnt lgkmcnt(1)
	v_mul_f64 v[33:34], v[11:12], v[27:28]
	v_mul_f64 v[27:28], v[13:14], v[27:28]
	v_fma_f64 v[13:14], v[13:14], v[25:26], v[33:34]
	v_fma_f64 v[11:12], v[11:12], v[25:26], -v[27:28]
	s_waitcnt lgkmcnt(0)
	v_mul_f64 v[25:26], v[13:14], v[31:32]
	v_mul_f64 v[27:28], v[11:12], v[31:32]
	v_fma_f64 v[11:12], v[29:30], v[11:12], -v[25:26]
	v_fma_f64 v[13:14], v[29:30], v[13:14], v[27:28]
	ds_write_b128 v35, v[11:14] offset:11072
.LBB184_180:
	s_or_b64 exec, exec, s[8:9]
	v_mov_b32_e32 v13, 0
	v_mov_b32_e32 v11, 0
	;; [unrolled: 1-line block ×4, first 2 shown]
	s_waitcnt lgkmcnt(0)
	s_barrier
	buffer_wbinvl1_vol
	s_and_saveexec_b64 s[10:11], s[2:3]
	s_cbranch_execz .LBB184_186
; %bb.181:
	v_lshlrev_b32_e32 v26, 9, v20
	v_lshlrev_b32_e32 v25, 4, v19
	ds_read_b128 v[11:14], v26 offset:10560
	ds_read_b128 v[27:30], v25 offset:10496
	v_cmp_gt_u32_e64 s[8:9], 12, v18
	s_waitcnt lgkmcnt(0)
	v_mul_f64 v[31:32], v[13:14], v[29:30]
	v_mul_f64 v[29:30], v[11:12], v[29:30]
	v_fma_f64 v[11:12], v[11:12], v[27:28], -v[31:32]
	v_fma_f64 v[13:14], v[13:14], v[27:28], v[29:30]
	v_add_f64 v[11:12], v[11:12], 0
	v_add_f64 v[13:14], v[13:14], 0
	s_and_saveexec_b64 s[14:15], s[8:9]
	s_cbranch_execnz .LBB184_528
; %bb.182:
	s_or_b64 exec, exec, s[14:15]
	v_cmp_gt_u32_e64 s[8:9], 8, v18
	s_and_saveexec_b64 s[14:15], s[8:9]
	s_cbranch_execnz .LBB184_529
.LBB184_183:
	s_or_b64 exec, exec, s[14:15]
	v_cmp_gt_u32_e64 s[8:9], 4, v18
	s_and_saveexec_b64 s[14:15], s[8:9]
	s_cbranch_execz .LBB184_185
.LBB184_184:
	v_lshlrev_b32_e32 v29, 4, v0
	v_mov_b32_e32 v25, 0
	ds_read_b128 v[25:28], v25 offset:12144
	ds_read_b128 v[29:32], v29 offset:12032
	s_waitcnt lgkmcnt(0)
	v_mul_f64 v[33:34], v[27:28], v[31:32]
	v_mul_f64 v[31:32], v[25:26], v[31:32]
	v_fma_f64 v[25:26], v[25:26], v[29:30], -v[33:34]
	v_fma_f64 v[27:28], v[27:28], v[29:30], v[31:32]
	v_add_f64 v[11:12], v[11:12], v[25:26]
	v_add_f64 v[13:14], v[13:14], v[27:28]
.LBB184_185:
	s_or_b64 exec, exec, s[14:15]
.LBB184_186:
	s_or_b64 exec, exec, s[10:11]
	s_and_saveexec_b64 s[8:9], s[44:45]
	s_cbranch_execz .LBB184_188
; %bb.187:
	v_mov_b32_e32 v25, 0
	ds_read_b128 v[25:28], v25 offset:10032
	s_waitcnt lgkmcnt(0)
	v_mul_f64 v[29:30], v[13:14], v[27:28]
	v_mul_f64 v[27:28], v[11:12], v[27:28]
	v_fma_f64 v[11:12], v[11:12], v[25:26], -v[29:30]
	v_fma_f64 v[13:14], v[13:14], v[25:26], v[27:28]
	v_xor_b32_e32 v26, 0x80000000, v12
	v_xor_b32_e32 v28, 0x80000000, v14
	v_mov_b32_e32 v25, v11
	v_mov_b32_e32 v27, v13
	ds_write_b128 v21, v[25:28]
.LBB184_188:
	s_or_b64 exec, exec, s[8:9]
	s_waitcnt lgkmcnt(0)
	s_barrier
	s_and_saveexec_b64 s[8:9], s[46:47]
	s_cbranch_execz .LBB184_190
; %bb.189:
	v_lshlrev_b32_e32 v29, 4, v19
	ds_read_b128 v[25:28], v21
	ds_read_b128 v[29:32], v29 offset:9984
	s_waitcnt lgkmcnt(0)
	v_mul_f64 v[33:34], v[27:28], v[31:32]
	v_mul_f64 v[31:32], v[25:26], v[31:32]
	v_fma_f64 v[25:26], v[25:26], v[29:30], -v[33:34]
	v_fma_f64 v[27:28], v[27:28], v[29:30], v[31:32]
	v_add_f64 v[11:12], v[11:12], -v[25:26]
	v_add_f64 v[13:14], v[13:14], -v[27:28]
.LBB184_190:
	s_or_b64 exec, exec, s[8:9]
	s_barrier
	s_and_saveexec_b64 s[8:9], s[48:49]
	s_cbranch_execz .LBB184_192
; %bb.191:
	v_mov_b32_e32 v25, 0
	ds_read_b128 v[25:28], v25 offset:9504
	s_waitcnt lgkmcnt(0)
	v_mul_f64 v[29:30], v[13:14], v[27:28]
	v_mul_f64 v[27:28], v[11:12], v[27:28]
	v_fma_f64 v[11:12], v[11:12], v[25:26], -v[29:30]
	v_fma_f64 v[13:14], v[13:14], v[25:26], v[27:28]
	v_xor_b32_e32 v26, 0x80000000, v12
	v_xor_b32_e32 v28, 0x80000000, v14
	v_mov_b32_e32 v25, v11
	v_mov_b32_e32 v27, v13
	ds_write_b128 v21, v[25:28]
.LBB184_192:
	s_or_b64 exec, exec, s[8:9]
	s_waitcnt lgkmcnt(0)
	s_barrier
	s_and_saveexec_b64 s[8:9], s[50:51]
	s_cbranch_execz .LBB184_194
; %bb.193:
	v_lshlrev_b32_e32 v29, 4, v19
	ds_read_b128 v[25:28], v21
	ds_read_b128 v[29:32], v29 offset:9472
	s_waitcnt lgkmcnt(0)
	v_mul_f64 v[33:34], v[27:28], v[31:32]
	v_mul_f64 v[31:32], v[25:26], v[31:32]
	v_fma_f64 v[25:26], v[25:26], v[29:30], -v[33:34]
	v_fma_f64 v[27:28], v[27:28], v[29:30], v[31:32]
	v_add_f64 v[11:12], v[11:12], -v[25:26]
	v_add_f64 v[13:14], v[13:14], -v[27:28]
.LBB184_194:
	s_or_b64 exec, exec, s[8:9]
	s_barrier
	s_and_saveexec_b64 s[8:9], s[52:53]
	s_cbranch_execz .LBB184_196
; %bb.195:
	v_mov_b32_e32 v25, 0
	ds_read_b128 v[25:28], v25 offset:8976
	s_waitcnt lgkmcnt(0)
	v_mul_f64 v[29:30], v[13:14], v[27:28]
	v_mul_f64 v[27:28], v[11:12], v[27:28]
	v_fma_f64 v[11:12], v[11:12], v[25:26], -v[29:30]
	v_fma_f64 v[13:14], v[13:14], v[25:26], v[27:28]
	v_xor_b32_e32 v26, 0x80000000, v12
	v_xor_b32_e32 v28, 0x80000000, v14
	v_mov_b32_e32 v25, v11
	v_mov_b32_e32 v27, v13
	ds_write_b128 v21, v[25:28]
.LBB184_196:
	s_or_b64 exec, exec, s[8:9]
	s_waitcnt lgkmcnt(0)
	s_barrier
	s_and_saveexec_b64 s[8:9], s[42:43]
	s_cbranch_execz .LBB184_198
; %bb.197:
	v_mov_b32_e32 v29, 0
	ds_read_b128 v[25:28], v21
	ds_read_b128 v[29:32], v29 offset:8960
	s_waitcnt lgkmcnt(0)
	v_mul_f64 v[33:34], v[27:28], v[31:32]
	v_mul_f64 v[31:32], v[25:26], v[31:32]
	v_fma_f64 v[25:26], v[25:26], v[29:30], -v[33:34]
	v_fma_f64 v[27:28], v[27:28], v[29:30], v[31:32]
	v_add_f64 v[11:12], v[11:12], -v[25:26]
	v_add_f64 v[13:14], v[13:14], -v[27:28]
.LBB184_198:
	s_or_b64 exec, exec, s[8:9]
	s_barrier
	s_and_saveexec_b64 s[8:9], s[42:43]
	s_cbranch_execz .LBB184_200
; %bb.199:
	v_mov_b32_e32 v25, 0
	ds_read_b128 v[25:28], v25 offset:8448
	s_waitcnt lgkmcnt(0)
	v_mul_f64 v[29:30], v[13:14], v[27:28]
	v_mul_f64 v[27:28], v[11:12], v[27:28]
	v_fma_f64 v[11:12], v[11:12], v[25:26], -v[29:30]
	v_fma_f64 v[13:14], v[13:14], v[25:26], v[27:28]
	v_xor_b32_e32 v26, 0x80000000, v12
	v_xor_b32_e32 v28, 0x80000000, v14
	v_mov_b32_e32 v25, v11
	v_mov_b32_e32 v27, v13
	ds_write_b128 v21, v[25:28]
.LBB184_200:
	s_or_b64 exec, exec, s[8:9]
	s_waitcnt lgkmcnt(0)
	s_barrier
	s_barrier
	s_and_saveexec_b64 s[8:9], s[2:3]
; %bb.201:
	v_lshlrev_b32_e32 v25, 4, v19
	v_lshl_or_b32 v25, v20, 9, v25
	ds_write_b128 v25, v[11:14] offset:10496
; %bb.202:
	s_or_b64 exec, exec, s[8:9]
	s_waitcnt lgkmcnt(0)
	s_barrier
	s_barrier
	s_and_saveexec_b64 s[8:9], vcc
	s_cbranch_execz .LBB184_204
; %bb.203:
	v_mov_b32_e32 v35, 0
	ds_read_b128 v[11:14], v35 offset:10032
	ds_read_b128 v[25:28], v35 offset:9504
	;; [unrolled: 1-line block ×3, first 2 shown]
	s_waitcnt lgkmcnt(1)
	v_mul_f64 v[33:34], v[11:12], v[27:28]
	v_mul_f64 v[27:28], v[13:14], v[27:28]
	v_fma_f64 v[13:14], v[13:14], v[25:26], v[33:34]
	v_fma_f64 v[11:12], v[11:12], v[25:26], -v[27:28]
	s_waitcnt lgkmcnt(0)
	v_mul_f64 v[25:26], v[13:14], v[31:32]
	v_mul_f64 v[27:28], v[11:12], v[31:32]
	v_fma_f64 v[11:12], v[29:30], v[11:12], -v[25:26]
	v_fma_f64 v[13:14], v[29:30], v[13:14], v[27:28]
	ds_write_b128 v35, v[11:14] offset:10016
.LBB184_204:
	s_or_b64 exec, exec, s[8:9]
	v_mov_b32_e32 v11, 0
	v_mov_b32_e32 v13, 0
	;; [unrolled: 1-line block ×4, first 2 shown]
	s_waitcnt lgkmcnt(0)
	s_barrier
	buffer_wbinvl1_vol
	s_and_saveexec_b64 s[10:11], s[0:1]
	s_cbranch_execz .LBB184_208
; %bb.205:
	v_lshlrev_b32_e32 v25, 4, v15
	v_lshlrev_b32_e32 v11, 9, v16
	ds_read_b128 v[11:14], v11 offset:9504
	ds_read_b128 v[25:28], v25 offset:9472
	v_cmp_gt_u32_e64 s[8:9], 2, v18
	s_waitcnt lgkmcnt(0)
	v_mul_f64 v[29:30], v[13:14], v[27:28]
	v_mul_f64 v[27:28], v[11:12], v[27:28]
	v_fma_f64 v[11:12], v[11:12], v[25:26], -v[29:30]
	v_fma_f64 v[13:14], v[13:14], v[25:26], v[27:28]
	v_add_f64 v[11:12], v[11:12], 0
	v_add_f64 v[13:14], v[13:14], 0
	s_and_saveexec_b64 s[14:15], s[8:9]
	s_cbranch_execz .LBB184_207
; %bb.206:
	v_lshlrev_b32_e32 v29, 4, v0
	v_mov_b32_e32 v25, 0
	ds_read_b128 v[25:28], v25 offset:10032
	ds_read_b128 v[29:32], v29 offset:9984
	s_waitcnt lgkmcnt(0)
	v_mul_f64 v[33:34], v[27:28], v[31:32]
	v_mul_f64 v[31:32], v[25:26], v[31:32]
	v_fma_f64 v[25:26], v[25:26], v[29:30], -v[33:34]
	v_fma_f64 v[27:28], v[27:28], v[29:30], v[31:32]
	v_add_f64 v[11:12], v[11:12], v[25:26]
	v_add_f64 v[13:14], v[13:14], v[27:28]
.LBB184_207:
	s_or_b64 exec, exec, s[14:15]
.LBB184_208:
	s_or_b64 exec, exec, s[10:11]
	s_and_saveexec_b64 s[8:9], s[40:41]
	s_cbranch_execz .LBB184_210
; %bb.209:
	v_mov_b32_e32 v25, 0
	ds_read_b128 v[25:28], v25 offset:8976
	s_waitcnt lgkmcnt(0)
	v_mul_f64 v[29:30], v[13:14], v[27:28]
	v_mul_f64 v[27:28], v[11:12], v[27:28]
	v_fma_f64 v[11:12], v[11:12], v[25:26], -v[29:30]
	v_fma_f64 v[13:14], v[13:14], v[25:26], v[27:28]
	v_xor_b32_e32 v26, 0x80000000, v12
	v_xor_b32_e32 v28, 0x80000000, v14
	v_mov_b32_e32 v25, v11
	v_mov_b32_e32 v27, v13
	ds_write_b128 v17, v[25:28]
.LBB184_210:
	s_or_b64 exec, exec, s[8:9]
	s_waitcnt lgkmcnt(0)
	s_barrier
	s_and_saveexec_b64 s[8:9], s[38:39]
	s_cbranch_execz .LBB184_212
; %bb.211:
	v_mov_b32_e32 v29, 0
	ds_read_b128 v[25:28], v17
	ds_read_b128 v[29:32], v29 offset:8960
	s_waitcnt lgkmcnt(0)
	v_mul_f64 v[33:34], v[27:28], v[31:32]
	v_mul_f64 v[31:32], v[25:26], v[31:32]
	v_fma_f64 v[25:26], v[25:26], v[29:30], -v[33:34]
	v_fma_f64 v[27:28], v[27:28], v[29:30], v[31:32]
	v_add_f64 v[11:12], v[11:12], -v[25:26]
	v_add_f64 v[13:14], v[13:14], -v[27:28]
.LBB184_212:
	s_or_b64 exec, exec, s[8:9]
	s_barrier
	s_and_saveexec_b64 s[8:9], s[38:39]
	s_cbranch_execz .LBB184_214
; %bb.213:
	v_mov_b32_e32 v25, 0
	ds_read_b128 v[25:28], v25 offset:8448
	s_waitcnt lgkmcnt(0)
	v_mul_f64 v[29:30], v[13:14], v[27:28]
	v_mul_f64 v[27:28], v[11:12], v[27:28]
	v_fma_f64 v[11:12], v[11:12], v[25:26], -v[29:30]
	v_fma_f64 v[13:14], v[13:14], v[25:26], v[27:28]
	v_xor_b32_e32 v26, 0x80000000, v12
	v_xor_b32_e32 v28, 0x80000000, v14
	v_mov_b32_e32 v25, v11
	v_mov_b32_e32 v27, v13
	ds_write_b128 v17, v[25:28]
.LBB184_214:
	s_or_b64 exec, exec, s[8:9]
	s_waitcnt lgkmcnt(0)
	s_barrier
	s_barrier
	s_and_saveexec_b64 s[8:9], s[0:1]
; %bb.215:
	v_lshlrev_b32_e32 v25, 4, v15
	v_lshl_or_b32 v25, v16, 9, v25
	ds_write_b128 v25, v[11:14] offset:9472
; %bb.216:
	s_or_b64 exec, exec, s[8:9]
	s_waitcnt lgkmcnt(0)
	s_barrier
	s_barrier
	s_and_saveexec_b64 s[8:9], vcc
	s_cbranch_execz .LBB184_218
; %bb.217:
	v_mov_b32_e32 v35, 0
	ds_read_b128 v[11:14], v35 offset:8976
	ds_read_b128 v[25:28], v35 offset:8448
	;; [unrolled: 1-line block ×3, first 2 shown]
	s_waitcnt lgkmcnt(1)
	v_mul_f64 v[33:34], v[11:12], v[27:28]
	v_mul_f64 v[27:28], v[13:14], v[27:28]
	v_fma_f64 v[13:14], v[13:14], v[25:26], v[33:34]
	v_fma_f64 v[11:12], v[11:12], v[25:26], -v[27:28]
	s_waitcnt lgkmcnt(0)
	v_mul_f64 v[25:26], v[13:14], v[31:32]
	v_mul_f64 v[27:28], v[11:12], v[31:32]
	v_fma_f64 v[11:12], v[29:30], v[11:12], -v[25:26]
	v_fma_f64 v[13:14], v[29:30], v[13:14], v[27:28]
	ds_write_b128 v35, v[11:14] offset:8960
.LBB184_218:
	s_or_b64 exec, exec, s[8:9]
	s_movk_i32 s8, 0xff
	v_lshrrev_b32_e32 v27, 4, v18
	v_cmp_lt_u32_e64 s[10:11], s8, v18
	s_movk_i32 s8, 0x100
	v_mov_b32_e32 v13, 0
	v_mov_b32_e32 v11, 0
	v_and_b32_e32 v25, 15, v0
	v_sub_u32_e32 v26, 15, v27
	v_mov_b32_e32 v14, 0
	v_mov_b32_e32 v12, 0
	v_cmp_gt_u32_e64 s[8:9], s8, v18
	s_waitcnt lgkmcnt(0)
	s_barrier
	buffer_wbinvl1_vol
	s_and_saveexec_b64 s[82:83], s[8:9]
	s_cbranch_execz .LBB184_246
; %bb.219:
	v_lshlrev_b32_e32 v29, 9, v26
	v_lshlrev_b32_e32 v28, 4, v25
	ds_read_b128 v[11:14], v29 offset:8448
	ds_read_b128 v[30:33], v28 offset:8192
	s_movk_i32 s14, 0xf0
	v_cmp_gt_u32_e64 s[14:15], s14, v18
	s_waitcnt lgkmcnt(0)
	v_mul_f64 v[34:35], v[13:14], v[32:33]
	v_mul_f64 v[32:33], v[11:12], v[32:33]
	v_fma_f64 v[11:12], v[11:12], v[30:31], -v[34:35]
	v_fma_f64 v[13:14], v[13:14], v[30:31], v[32:33]
	v_add_f64 v[11:12], v[11:12], 0
	v_add_f64 v[13:14], v[13:14], 0
	s_and_saveexec_b64 s[84:85], s[14:15]
	s_cbranch_execz .LBB184_221
; %bb.220:
	ds_read_b128 v[30:33], v29 offset:8464
	ds_read_b128 v[34:37], v28 offset:8704
	s_waitcnt lgkmcnt(0)
	v_mul_f64 v[38:39], v[32:33], v[36:37]
	v_mul_f64 v[36:37], v[30:31], v[36:37]
	v_fma_f64 v[30:31], v[30:31], v[34:35], -v[38:39]
	v_fma_f64 v[32:33], v[32:33], v[34:35], v[36:37]
	v_add_f64 v[11:12], v[11:12], v[30:31]
	v_add_f64 v[13:14], v[13:14], v[32:33]
.LBB184_221:
	s_or_b64 exec, exec, s[84:85]
	s_movk_i32 s14, 0xe0
	v_cmp_gt_u32_e64 s[14:15], s14, v18
	s_and_saveexec_b64 s[84:85], s[14:15]
	s_cbranch_execz .LBB184_223
; %bb.222:
	ds_read_b128 v[30:33], v29 offset:8480
	ds_read_b128 v[34:37], v28 offset:9216
	s_waitcnt lgkmcnt(0)
	v_mul_f64 v[38:39], v[32:33], v[36:37]
	v_mul_f64 v[36:37], v[30:31], v[36:37]
	v_fma_f64 v[30:31], v[30:31], v[34:35], -v[38:39]
	v_fma_f64 v[32:33], v[32:33], v[34:35], v[36:37]
	v_add_f64 v[11:12], v[11:12], v[30:31]
	v_add_f64 v[13:14], v[13:14], v[32:33]
.LBB184_223:
	s_or_b64 exec, exec, s[84:85]
	s_movk_i32 s14, 0xd0
	v_cmp_gt_u32_e64 s[14:15], s14, v18
	s_and_saveexec_b64 s[84:85], s[14:15]
	s_cbranch_execz .LBB184_225
; %bb.224:
	ds_read_b128 v[30:33], v29 offset:8496
	ds_read_b128 v[34:37], v28 offset:9728
	s_waitcnt lgkmcnt(0)
	v_mul_f64 v[38:39], v[32:33], v[36:37]
	v_mul_f64 v[36:37], v[30:31], v[36:37]
	v_fma_f64 v[30:31], v[30:31], v[34:35], -v[38:39]
	v_fma_f64 v[32:33], v[32:33], v[34:35], v[36:37]
	v_add_f64 v[11:12], v[11:12], v[30:31]
	v_add_f64 v[13:14], v[13:14], v[32:33]
.LBB184_225:
	s_or_b64 exec, exec, s[84:85]
	s_movk_i32 s14, 0xc0
	v_cmp_gt_u32_e64 s[14:15], s14, v18
	s_and_saveexec_b64 s[84:85], s[14:15]
	s_cbranch_execz .LBB184_227
; %bb.226:
	ds_read_b128 v[30:33], v29 offset:8512
	ds_read_b128 v[34:37], v28 offset:10240
	s_waitcnt lgkmcnt(0)
	v_mul_f64 v[38:39], v[32:33], v[36:37]
	v_mul_f64 v[36:37], v[30:31], v[36:37]
	v_fma_f64 v[30:31], v[30:31], v[34:35], -v[38:39]
	v_fma_f64 v[32:33], v[32:33], v[34:35], v[36:37]
	v_add_f64 v[11:12], v[11:12], v[30:31]
	v_add_f64 v[13:14], v[13:14], v[32:33]
.LBB184_227:
	s_or_b64 exec, exec, s[84:85]
	s_movk_i32 s14, 0xb0
	v_cmp_gt_u32_e64 s[14:15], s14, v18
	s_and_saveexec_b64 s[84:85], s[14:15]
	s_cbranch_execz .LBB184_229
; %bb.228:
	ds_read_b128 v[30:33], v29 offset:8528
	ds_read_b128 v[34:37], v28 offset:10752
	s_waitcnt lgkmcnt(0)
	v_mul_f64 v[38:39], v[32:33], v[36:37]
	v_mul_f64 v[36:37], v[30:31], v[36:37]
	v_fma_f64 v[30:31], v[30:31], v[34:35], -v[38:39]
	v_fma_f64 v[32:33], v[32:33], v[34:35], v[36:37]
	v_add_f64 v[11:12], v[11:12], v[30:31]
	v_add_f64 v[13:14], v[13:14], v[32:33]
.LBB184_229:
	s_or_b64 exec, exec, s[84:85]
	s_movk_i32 s14, 0xa0
	v_cmp_gt_u32_e64 s[14:15], s14, v18
	s_and_saveexec_b64 s[84:85], s[14:15]
	s_cbranch_execz .LBB184_231
; %bb.230:
	ds_read_b128 v[30:33], v29 offset:8544
	ds_read_b128 v[34:37], v28 offset:11264
	s_waitcnt lgkmcnt(0)
	v_mul_f64 v[38:39], v[32:33], v[36:37]
	v_mul_f64 v[36:37], v[30:31], v[36:37]
	v_fma_f64 v[30:31], v[30:31], v[34:35], -v[38:39]
	v_fma_f64 v[32:33], v[32:33], v[34:35], v[36:37]
	v_add_f64 v[11:12], v[11:12], v[30:31]
	v_add_f64 v[13:14], v[13:14], v[32:33]
.LBB184_231:
	s_or_b64 exec, exec, s[84:85]
	s_movk_i32 s14, 0x90
	v_cmp_gt_u32_e64 s[14:15], s14, v18
	s_and_saveexec_b64 s[84:85], s[14:15]
	s_cbranch_execz .LBB184_233
; %bb.232:
	ds_read_b128 v[30:33], v29 offset:8560
	ds_read_b128 v[34:37], v28 offset:11776
	s_waitcnt lgkmcnt(0)
	v_mul_f64 v[38:39], v[32:33], v[36:37]
	v_mul_f64 v[36:37], v[30:31], v[36:37]
	v_fma_f64 v[30:31], v[30:31], v[34:35], -v[38:39]
	v_fma_f64 v[32:33], v[32:33], v[34:35], v[36:37]
	v_add_f64 v[11:12], v[11:12], v[30:31]
	v_add_f64 v[13:14], v[13:14], v[32:33]
.LBB184_233:
	s_or_b64 exec, exec, s[84:85]
	s_movk_i32 s14, 0x80
	v_cmp_gt_u32_e64 s[14:15], s14, v18
	s_and_saveexec_b64 s[84:85], s[14:15]
	s_cbranch_execz .LBB184_235
; %bb.234:
	ds_read_b128 v[30:33], v29 offset:8576
	ds_read_b128 v[34:37], v28 offset:12288
	s_waitcnt lgkmcnt(0)
	v_mul_f64 v[38:39], v[32:33], v[36:37]
	v_mul_f64 v[36:37], v[30:31], v[36:37]
	v_fma_f64 v[30:31], v[30:31], v[34:35], -v[38:39]
	v_fma_f64 v[32:33], v[32:33], v[34:35], v[36:37]
	v_add_f64 v[11:12], v[11:12], v[30:31]
	v_add_f64 v[13:14], v[13:14], v[32:33]
.LBB184_235:
	s_or_b64 exec, exec, s[84:85]
	s_movk_i32 s14, 0x70
	v_cmp_gt_u32_e64 s[14:15], s14, v18
	s_and_saveexec_b64 s[84:85], s[14:15]
	s_cbranch_execz .LBB184_237
; %bb.236:
	ds_read_b128 v[30:33], v29 offset:8592
	ds_read_b128 v[34:37], v28 offset:12800
	s_waitcnt lgkmcnt(0)
	v_mul_f64 v[38:39], v[32:33], v[36:37]
	v_mul_f64 v[36:37], v[30:31], v[36:37]
	v_fma_f64 v[30:31], v[30:31], v[34:35], -v[38:39]
	v_fma_f64 v[32:33], v[32:33], v[34:35], v[36:37]
	v_add_f64 v[11:12], v[11:12], v[30:31]
	v_add_f64 v[13:14], v[13:14], v[32:33]
.LBB184_237:
	s_or_b64 exec, exec, s[84:85]
	s_movk_i32 s14, 0x60
	v_cmp_gt_u32_e64 s[14:15], s14, v18
	s_and_saveexec_b64 s[84:85], s[14:15]
	s_cbranch_execz .LBB184_239
; %bb.238:
	ds_read_b128 v[30:33], v29 offset:8608
	ds_read_b128 v[34:37], v28 offset:13312
	s_waitcnt lgkmcnt(0)
	v_mul_f64 v[38:39], v[32:33], v[36:37]
	v_mul_f64 v[36:37], v[30:31], v[36:37]
	v_fma_f64 v[30:31], v[30:31], v[34:35], -v[38:39]
	v_fma_f64 v[32:33], v[32:33], v[34:35], v[36:37]
	v_add_f64 v[11:12], v[11:12], v[30:31]
	v_add_f64 v[13:14], v[13:14], v[32:33]
.LBB184_239:
	s_or_b64 exec, exec, s[84:85]
	s_movk_i32 s14, 0x50
	v_cmp_gt_u32_e64 s[14:15], s14, v18
	s_and_saveexec_b64 s[84:85], s[14:15]
	s_cbranch_execnz .LBB184_530
; %bb.240:
	s_or_b64 exec, exec, s[84:85]
	s_and_saveexec_b64 s[14:15], s[12:13]
	s_cbranch_execnz .LBB184_531
.LBB184_241:
	s_or_b64 exec, exec, s[14:15]
	v_cmp_gt_u32_e64 s[14:15], 48, v18
	s_and_saveexec_b64 s[84:85], s[14:15]
	s_cbranch_execnz .LBB184_532
.LBB184_242:
	s_or_b64 exec, exec, s[84:85]
	v_cmp_gt_u32_e64 s[14:15], 32, v18
	s_and_saveexec_b64 s[84:85], s[14:15]
	s_cbranch_execnz .LBB184_533
.LBB184_243:
	s_or_b64 exec, exec, s[84:85]
	v_cmp_gt_u32_e64 s[14:15], 16, v18
	s_and_saveexec_b64 s[84:85], s[14:15]
	s_cbranch_execz .LBB184_245
.LBB184_244:
	v_lshlrev_b32_e32 v32, 4, v0
	v_mov_b32_e32 v28, 0
	ds_read_b128 v[28:31], v28 offset:16368
	ds_read_b128 v[32:35], v32 offset:15872
	s_waitcnt lgkmcnt(0)
	v_mul_f64 v[36:37], v[30:31], v[34:35]
	v_mul_f64 v[34:35], v[28:29], v[34:35]
	v_fma_f64 v[28:29], v[28:29], v[32:33], -v[36:37]
	v_fma_f64 v[30:31], v[30:31], v[32:33], v[34:35]
	v_add_f64 v[11:12], v[11:12], v[28:29]
	v_add_f64 v[13:14], v[13:14], v[30:31]
.LBB184_245:
	s_or_b64 exec, exec, s[84:85]
.LBB184_246:
	s_or_b64 exec, exec, s[82:83]
	v_mov_b32_e32 v28, 0x4000
	v_cmp_eq_u32_e64 s[14:15], 15, v25
	s_xor_b64 s[82:83], s[10:11], -1
	v_lshl_add_u32 v27, v27, 4, v28
	s_and_b64 s[14:15], s[14:15], s[82:83]
	s_and_saveexec_b64 s[10:11], s[14:15]
	s_cbranch_execz .LBB184_248
; %bb.247:
	v_mov_b32_e32 v28, 0
	ds_read_b128 v[28:31], v28 offset:7920
	s_waitcnt lgkmcnt(0)
	v_mul_f64 v[32:33], v[13:14], v[30:31]
	v_mul_f64 v[30:31], v[11:12], v[30:31]
	v_fma_f64 v[11:12], v[11:12], v[28:29], -v[32:33]
	v_fma_f64 v[13:14], v[13:14], v[28:29], v[30:31]
	v_xor_b32_e32 v29, 0x80000000, v12
	v_xor_b32_e32 v31, 0x80000000, v14
	v_mov_b32_e32 v28, v11
	v_mov_b32_e32 v30, v13
	ds_write_b128 v27, v[28:31]
.LBB184_248:
	s_or_b64 exec, exec, s[10:11]
	v_cmp_ne_u32_e64 s[10:11], 15, v25
	s_and_b64 s[14:15], s[10:11], s[82:83]
	s_waitcnt lgkmcnt(0)
	s_barrier
	s_and_saveexec_b64 s[10:11], s[14:15]
	s_cbranch_execz .LBB184_250
; %bb.249:
	v_lshlrev_b32_e32 v32, 4, v25
	ds_read_b128 v[28:31], v27
	ds_read_b128 v[32:35], v32 offset:7680
	s_waitcnt lgkmcnt(0)
	v_mul_f64 v[36:37], v[30:31], v[34:35]
	v_mul_f64 v[34:35], v[28:29], v[34:35]
	v_fma_f64 v[28:29], v[28:29], v[32:33], -v[36:37]
	v_fma_f64 v[30:31], v[30:31], v[32:33], v[34:35]
	v_add_f64 v[11:12], v[11:12], -v[28:29]
	v_add_f64 v[13:14], v[13:14], -v[30:31]
.LBB184_250:
	s_or_b64 exec, exec, s[10:11]
	v_cmp_eq_u32_e64 s[10:11], 14, v25
	s_and_b64 s[14:15], s[10:11], s[82:83]
	s_barrier
	s_and_saveexec_b64 s[10:11], s[14:15]
	s_cbranch_execz .LBB184_252
; %bb.251:
	v_mov_b32_e32 v28, 0
	ds_read_b128 v[28:31], v28 offset:7392
	s_waitcnt lgkmcnt(0)
	v_mul_f64 v[32:33], v[13:14], v[30:31]
	v_mul_f64 v[30:31], v[11:12], v[30:31]
	v_fma_f64 v[11:12], v[11:12], v[28:29], -v[32:33]
	v_fma_f64 v[13:14], v[13:14], v[28:29], v[30:31]
	v_xor_b32_e32 v29, 0x80000000, v12
	v_xor_b32_e32 v31, 0x80000000, v14
	v_mov_b32_e32 v28, v11
	v_mov_b32_e32 v30, v13
	ds_write_b128 v27, v[28:31]
.LBB184_252:
	s_or_b64 exec, exec, s[10:11]
	v_cmp_gt_u32_e64 s[10:11], 14, v25
	s_and_b64 s[14:15], s[10:11], s[82:83]
	s_waitcnt lgkmcnt(0)
	s_barrier
	s_and_saveexec_b64 s[10:11], s[14:15]
	s_cbranch_execz .LBB184_254
; %bb.253:
	v_lshlrev_b32_e32 v32, 4, v25
	ds_read_b128 v[28:31], v27
	ds_read_b128 v[32:35], v32 offset:7168
	s_waitcnt lgkmcnt(0)
	v_mul_f64 v[36:37], v[30:31], v[34:35]
	v_mul_f64 v[34:35], v[28:29], v[34:35]
	v_fma_f64 v[28:29], v[28:29], v[32:33], -v[36:37]
	v_fma_f64 v[30:31], v[30:31], v[32:33], v[34:35]
	v_add_f64 v[11:12], v[11:12], -v[28:29]
	v_add_f64 v[13:14], v[13:14], -v[30:31]
.LBB184_254:
	s_or_b64 exec, exec, s[10:11]
	v_cmp_eq_u32_e64 s[10:11], 13, v25
	s_and_b64 s[14:15], s[10:11], s[82:83]
	s_barrier
	s_and_saveexec_b64 s[10:11], s[14:15]
	s_cbranch_execz .LBB184_256
; %bb.255:
	v_mov_b32_e32 v28, 0
	ds_read_b128 v[28:31], v28 offset:6864
	s_waitcnt lgkmcnt(0)
	v_mul_f64 v[32:33], v[13:14], v[30:31]
	v_mul_f64 v[30:31], v[11:12], v[30:31]
	v_fma_f64 v[11:12], v[11:12], v[28:29], -v[32:33]
	v_fma_f64 v[13:14], v[13:14], v[28:29], v[30:31]
	v_xor_b32_e32 v29, 0x80000000, v12
	v_xor_b32_e32 v31, 0x80000000, v14
	v_mov_b32_e32 v28, v11
	v_mov_b32_e32 v30, v13
	ds_write_b128 v27, v[28:31]
.LBB184_256:
	s_or_b64 exec, exec, s[10:11]
	v_cmp_gt_u32_e64 s[10:11], 13, v25
	;; [unrolled: 39-line block ×13, first 2 shown]
	s_and_b64 s[14:15], s[10:11], s[82:83]
	s_waitcnt lgkmcnt(0)
	s_barrier
	s_and_saveexec_b64 s[10:11], s[14:15]
	s_cbranch_execz .LBB184_302
; %bb.301:
	v_lshlrev_b32_e32 v32, 4, v25
	ds_read_b128 v[28:31], v27
	ds_read_b128 v[32:35], v32 offset:1024
	s_waitcnt lgkmcnt(0)
	v_mul_f64 v[36:37], v[30:31], v[34:35]
	v_mul_f64 v[34:35], v[28:29], v[34:35]
	v_fma_f64 v[28:29], v[28:29], v[32:33], -v[36:37]
	v_fma_f64 v[30:31], v[30:31], v[32:33], v[34:35]
	v_add_f64 v[11:12], v[11:12], -v[28:29]
	v_add_f64 v[13:14], v[13:14], -v[30:31]
.LBB184_302:
	s_or_b64 exec, exec, s[10:11]
	v_cmp_eq_u32_e64 s[10:11], 1, v25
	s_and_b64 s[14:15], s[10:11], s[82:83]
	s_barrier
	s_and_saveexec_b64 s[10:11], s[14:15]
	s_cbranch_execz .LBB184_304
; %bb.303:
	v_mov_b32_e32 v28, 0
	ds_read_b128 v[28:31], v28 offset:528
	s_waitcnt lgkmcnt(0)
	v_mul_f64 v[32:33], v[13:14], v[30:31]
	v_mul_f64 v[30:31], v[11:12], v[30:31]
	v_fma_f64 v[11:12], v[11:12], v[28:29], -v[32:33]
	v_fma_f64 v[13:14], v[13:14], v[28:29], v[30:31]
	v_xor_b32_e32 v29, 0x80000000, v12
	v_xor_b32_e32 v31, 0x80000000, v14
	v_mov_b32_e32 v28, v11
	v_mov_b32_e32 v30, v13
	ds_write_b128 v27, v[28:31]
.LBB184_304:
	s_or_b64 exec, exec, s[10:11]
	v_cmp_eq_u32_e64 s[10:11], 0, v25
	s_and_b64 s[10:11], s[10:11], s[82:83]
	s_waitcnt lgkmcnt(0)
	s_barrier
	s_and_saveexec_b64 s[14:15], s[10:11]
	s_cbranch_execz .LBB184_306
; %bb.305:
	v_mov_b32_e32 v32, 0
	ds_read_b128 v[28:31], v27
	ds_read_b128 v[32:35], v32 offset:512
	s_waitcnt lgkmcnt(0)
	v_mul_f64 v[36:37], v[30:31], v[34:35]
	v_mul_f64 v[34:35], v[28:29], v[34:35]
	v_fma_f64 v[28:29], v[28:29], v[32:33], -v[36:37]
	v_fma_f64 v[30:31], v[30:31], v[32:33], v[34:35]
	v_add_f64 v[11:12], v[11:12], -v[28:29]
	v_add_f64 v[13:14], v[13:14], -v[30:31]
.LBB184_306:
	s_or_b64 exec, exec, s[14:15]
	s_barrier
	s_and_saveexec_b64 s[14:15], s[10:11]
	s_cbranch_execz .LBB184_308
; %bb.307:
	v_mov_b32_e32 v28, 0
	ds_read_b128 v[28:31], v28
	s_waitcnt lgkmcnt(0)
	v_mul_f64 v[32:33], v[13:14], v[30:31]
	v_mul_f64 v[30:31], v[11:12], v[30:31]
	v_fma_f64 v[11:12], v[11:12], v[28:29], -v[32:33]
	v_fma_f64 v[13:14], v[13:14], v[28:29], v[30:31]
	v_xor_b32_e32 v29, 0x80000000, v12
	v_xor_b32_e32 v31, 0x80000000, v14
	v_mov_b32_e32 v28, v11
	v_mov_b32_e32 v30, v13
	ds_write_b128 v27, v[28:31]
.LBB184_308:
	s_or_b64 exec, exec, s[14:15]
	s_waitcnt lgkmcnt(0)
	s_barrier
	s_barrier
	s_and_saveexec_b64 s[10:11], s[8:9]
; %bb.309:
	v_lshlrev_b32_e32 v25, 4, v25
	v_lshl_or_b32 v25, v26, 9, v25
	ds_write_b128 v25, v[11:14] offset:8192
; %bb.310:
	s_or_b64 exec, exec, s[10:11]
	s_waitcnt lgkmcnt(0)
	s_barrier
	s_barrier
	s_and_saveexec_b64 s[8:9], vcc
	s_cbranch_execz .LBB184_312
; %bb.311:
	v_mov_b32_e32 v35, 0
	ds_read_b128 v[11:14], v35 offset:7920
	ds_read_b128 v[25:28], v35 offset:7392
	;; [unrolled: 1-line block ×3, first 2 shown]
	s_waitcnt lgkmcnt(1)
	v_mul_f64 v[33:34], v[11:12], v[27:28]
	v_mul_f64 v[27:28], v[13:14], v[27:28]
	v_fma_f64 v[13:14], v[13:14], v[25:26], v[33:34]
	v_fma_f64 v[11:12], v[11:12], v[25:26], -v[27:28]
	s_waitcnt lgkmcnt(0)
	v_mul_f64 v[25:26], v[13:14], v[31:32]
	v_mul_f64 v[27:28], v[11:12], v[31:32]
	v_fma_f64 v[11:12], v[29:30], v[11:12], -v[25:26]
	v_fma_f64 v[13:14], v[29:30], v[13:14], v[27:28]
	ds_write_b128 v35, v[11:14] offset:7904
.LBB184_312:
	s_or_b64 exec, exec, s[8:9]
	v_mov_b32_e32 v11, 0
	v_mov_b32_e32 v13, 0
	;; [unrolled: 1-line block ×4, first 2 shown]
	s_waitcnt lgkmcnt(0)
	s_barrier
	buffer_wbinvl1_vol
	s_and_saveexec_b64 s[10:11], s[0:1]
	s_cbranch_execz .LBB184_316
; %bb.313:
	v_lshlrev_b32_e32 v25, 4, v15
	v_lshlrev_b32_e32 v11, 9, v16
	ds_read_b128 v[11:14], v11 offset:7392
	ds_read_b128 v[25:28], v25 offset:7360
	v_cmp_gt_u32_e64 s[8:9], 2, v18
	s_waitcnt lgkmcnt(0)
	v_mul_f64 v[29:30], v[13:14], v[27:28]
	v_mul_f64 v[27:28], v[11:12], v[27:28]
	v_fma_f64 v[11:12], v[11:12], v[25:26], -v[29:30]
	v_fma_f64 v[13:14], v[13:14], v[25:26], v[27:28]
	v_add_f64 v[11:12], v[11:12], 0
	v_add_f64 v[13:14], v[13:14], 0
	s_and_saveexec_b64 s[14:15], s[8:9]
	s_cbranch_execz .LBB184_315
; %bb.314:
	v_lshlrev_b32_e32 v29, 4, v0
	v_mov_b32_e32 v25, 0
	ds_read_b128 v[25:28], v25 offset:7920
	ds_read_b128 v[29:32], v29 offset:7872
	s_waitcnt lgkmcnt(0)
	v_mul_f64 v[33:34], v[27:28], v[31:32]
	v_mul_f64 v[31:32], v[25:26], v[31:32]
	v_fma_f64 v[25:26], v[25:26], v[29:30], -v[33:34]
	v_fma_f64 v[27:28], v[27:28], v[29:30], v[31:32]
	v_add_f64 v[11:12], v[11:12], v[25:26]
	v_add_f64 v[13:14], v[13:14], v[27:28]
.LBB184_315:
	s_or_b64 exec, exec, s[14:15]
.LBB184_316:
	s_or_b64 exec, exec, s[10:11]
	s_and_saveexec_b64 s[8:9], s[40:41]
	s_cbranch_execz .LBB184_318
; %bb.317:
	v_mov_b32_e32 v25, 0
	ds_read_b128 v[25:28], v25 offset:6864
	s_waitcnt lgkmcnt(0)
	v_mul_f64 v[29:30], v[13:14], v[27:28]
	v_mul_f64 v[27:28], v[11:12], v[27:28]
	v_fma_f64 v[11:12], v[11:12], v[25:26], -v[29:30]
	v_fma_f64 v[13:14], v[13:14], v[25:26], v[27:28]
	v_xor_b32_e32 v26, 0x80000000, v12
	v_xor_b32_e32 v28, 0x80000000, v14
	v_mov_b32_e32 v25, v11
	v_mov_b32_e32 v27, v13
	ds_write_b128 v17, v[25:28]
.LBB184_318:
	s_or_b64 exec, exec, s[8:9]
	s_waitcnt lgkmcnt(0)
	s_barrier
	s_and_saveexec_b64 s[8:9], s[38:39]
	s_cbranch_execz .LBB184_320
; %bb.319:
	v_mov_b32_e32 v29, 0
	ds_read_b128 v[25:28], v17
	ds_read_b128 v[29:32], v29 offset:6848
	s_waitcnt lgkmcnt(0)
	v_mul_f64 v[33:34], v[27:28], v[31:32]
	v_mul_f64 v[31:32], v[25:26], v[31:32]
	v_fma_f64 v[25:26], v[25:26], v[29:30], -v[33:34]
	v_fma_f64 v[27:28], v[27:28], v[29:30], v[31:32]
	v_add_f64 v[11:12], v[11:12], -v[25:26]
	v_add_f64 v[13:14], v[13:14], -v[27:28]
.LBB184_320:
	s_or_b64 exec, exec, s[8:9]
	s_barrier
	s_and_saveexec_b64 s[8:9], s[38:39]
	s_cbranch_execz .LBB184_322
; %bb.321:
	v_mov_b32_e32 v25, 0
	ds_read_b128 v[25:28], v25 offset:6336
	s_waitcnt lgkmcnt(0)
	v_mul_f64 v[29:30], v[13:14], v[27:28]
	v_mul_f64 v[27:28], v[11:12], v[27:28]
	v_fma_f64 v[11:12], v[11:12], v[25:26], -v[29:30]
	v_fma_f64 v[13:14], v[13:14], v[25:26], v[27:28]
	v_xor_b32_e32 v26, 0x80000000, v12
	v_xor_b32_e32 v28, 0x80000000, v14
	v_mov_b32_e32 v25, v11
	v_mov_b32_e32 v27, v13
	ds_write_b128 v17, v[25:28]
.LBB184_322:
	s_or_b64 exec, exec, s[8:9]
	s_waitcnt lgkmcnt(0)
	s_barrier
	s_barrier
	s_and_saveexec_b64 s[8:9], s[0:1]
; %bb.323:
	v_lshlrev_b32_e32 v25, 4, v15
	v_lshl_or_b32 v25, v16, 9, v25
	ds_write_b128 v25, v[11:14] offset:7360
; %bb.324:
	s_or_b64 exec, exec, s[8:9]
	s_waitcnt lgkmcnt(0)
	s_barrier
	s_barrier
	s_and_saveexec_b64 s[8:9], vcc
	s_cbranch_execz .LBB184_326
; %bb.325:
	v_mov_b32_e32 v35, 0
	ds_read_b128 v[11:14], v35 offset:6864
	ds_read_b128 v[25:28], v35 offset:6336
	;; [unrolled: 1-line block ×3, first 2 shown]
	s_waitcnt lgkmcnt(1)
	v_mul_f64 v[33:34], v[11:12], v[27:28]
	v_mul_f64 v[27:28], v[13:14], v[27:28]
	v_fma_f64 v[13:14], v[13:14], v[25:26], v[33:34]
	v_fma_f64 v[11:12], v[11:12], v[25:26], -v[27:28]
	s_waitcnt lgkmcnt(0)
	v_mul_f64 v[25:26], v[13:14], v[31:32]
	v_mul_f64 v[27:28], v[11:12], v[31:32]
	v_fma_f64 v[11:12], v[29:30], v[11:12], -v[25:26]
	v_fma_f64 v[13:14], v[29:30], v[13:14], v[27:28]
	ds_write_b128 v35, v[11:14] offset:6848
.LBB184_326:
	s_or_b64 exec, exec, s[8:9]
	v_mov_b32_e32 v13, 0
	v_mov_b32_e32 v11, 0
	;; [unrolled: 1-line block ×4, first 2 shown]
	s_waitcnt lgkmcnt(0)
	s_barrier
	buffer_wbinvl1_vol
	s_and_saveexec_b64 s[10:11], s[2:3]
	s_cbranch_execz .LBB184_332
; %bb.327:
	v_lshlrev_b32_e32 v26, 9, v20
	v_lshlrev_b32_e32 v25, 4, v19
	ds_read_b128 v[11:14], v26 offset:6336
	ds_read_b128 v[27:30], v25 offset:6272
	v_cmp_gt_u32_e64 s[8:9], 12, v18
	s_waitcnt lgkmcnt(0)
	v_mul_f64 v[31:32], v[13:14], v[29:30]
	v_mul_f64 v[29:30], v[11:12], v[29:30]
	v_fma_f64 v[11:12], v[11:12], v[27:28], -v[31:32]
	v_fma_f64 v[13:14], v[13:14], v[27:28], v[29:30]
	v_add_f64 v[11:12], v[11:12], 0
	v_add_f64 v[13:14], v[13:14], 0
	s_and_saveexec_b64 s[14:15], s[8:9]
	s_cbranch_execnz .LBB184_534
; %bb.328:
	s_or_b64 exec, exec, s[14:15]
	v_cmp_gt_u32_e64 s[8:9], 8, v18
	s_and_saveexec_b64 s[14:15], s[8:9]
	s_cbranch_execnz .LBB184_535
.LBB184_329:
	s_or_b64 exec, exec, s[14:15]
	v_cmp_gt_u32_e64 s[8:9], 4, v18
	s_and_saveexec_b64 s[14:15], s[8:9]
	s_cbranch_execz .LBB184_331
.LBB184_330:
	v_lshlrev_b32_e32 v29, 4, v0
	v_mov_b32_e32 v25, 0
	ds_read_b128 v[25:28], v25 offset:7920
	ds_read_b128 v[29:32], v29 offset:7808
	s_waitcnt lgkmcnt(0)
	v_mul_f64 v[33:34], v[27:28], v[31:32]
	v_mul_f64 v[31:32], v[25:26], v[31:32]
	v_fma_f64 v[25:26], v[25:26], v[29:30], -v[33:34]
	v_fma_f64 v[27:28], v[27:28], v[29:30], v[31:32]
	v_add_f64 v[11:12], v[11:12], v[25:26]
	v_add_f64 v[13:14], v[13:14], v[27:28]
.LBB184_331:
	s_or_b64 exec, exec, s[14:15]
.LBB184_332:
	s_or_b64 exec, exec, s[10:11]
	s_and_saveexec_b64 s[8:9], s[44:45]
	s_cbranch_execz .LBB184_334
; %bb.333:
	v_mov_b32_e32 v25, 0
	ds_read_b128 v[25:28], v25 offset:5808
	s_waitcnt lgkmcnt(0)
	v_mul_f64 v[29:30], v[13:14], v[27:28]
	v_mul_f64 v[27:28], v[11:12], v[27:28]
	v_fma_f64 v[11:12], v[11:12], v[25:26], -v[29:30]
	v_fma_f64 v[13:14], v[13:14], v[25:26], v[27:28]
	v_xor_b32_e32 v26, 0x80000000, v12
	v_xor_b32_e32 v28, 0x80000000, v14
	v_mov_b32_e32 v25, v11
	v_mov_b32_e32 v27, v13
	ds_write_b128 v21, v[25:28]
.LBB184_334:
	s_or_b64 exec, exec, s[8:9]
	s_waitcnt lgkmcnt(0)
	s_barrier
	s_and_saveexec_b64 s[8:9], s[46:47]
	s_cbranch_execz .LBB184_336
; %bb.335:
	v_lshlrev_b32_e32 v29, 4, v19
	ds_read_b128 v[25:28], v21
	ds_read_b128 v[29:32], v29 offset:5760
	s_waitcnt lgkmcnt(0)
	v_mul_f64 v[33:34], v[27:28], v[31:32]
	v_mul_f64 v[31:32], v[25:26], v[31:32]
	v_fma_f64 v[25:26], v[25:26], v[29:30], -v[33:34]
	v_fma_f64 v[27:28], v[27:28], v[29:30], v[31:32]
	v_add_f64 v[11:12], v[11:12], -v[25:26]
	v_add_f64 v[13:14], v[13:14], -v[27:28]
.LBB184_336:
	s_or_b64 exec, exec, s[8:9]
	s_barrier
	s_and_saveexec_b64 s[8:9], s[48:49]
	s_cbranch_execz .LBB184_338
; %bb.337:
	v_mov_b32_e32 v25, 0
	ds_read_b128 v[25:28], v25 offset:5280
	s_waitcnt lgkmcnt(0)
	v_mul_f64 v[29:30], v[13:14], v[27:28]
	v_mul_f64 v[27:28], v[11:12], v[27:28]
	v_fma_f64 v[11:12], v[11:12], v[25:26], -v[29:30]
	v_fma_f64 v[13:14], v[13:14], v[25:26], v[27:28]
	v_xor_b32_e32 v26, 0x80000000, v12
	v_xor_b32_e32 v28, 0x80000000, v14
	v_mov_b32_e32 v25, v11
	v_mov_b32_e32 v27, v13
	ds_write_b128 v21, v[25:28]
.LBB184_338:
	s_or_b64 exec, exec, s[8:9]
	s_waitcnt lgkmcnt(0)
	s_barrier
	s_and_saveexec_b64 s[8:9], s[50:51]
	s_cbranch_execz .LBB184_340
; %bb.339:
	v_lshlrev_b32_e32 v29, 4, v19
	ds_read_b128 v[25:28], v21
	ds_read_b128 v[29:32], v29 offset:5248
	s_waitcnt lgkmcnt(0)
	v_mul_f64 v[33:34], v[27:28], v[31:32]
	v_mul_f64 v[31:32], v[25:26], v[31:32]
	v_fma_f64 v[25:26], v[25:26], v[29:30], -v[33:34]
	v_fma_f64 v[27:28], v[27:28], v[29:30], v[31:32]
	v_add_f64 v[11:12], v[11:12], -v[25:26]
	v_add_f64 v[13:14], v[13:14], -v[27:28]
.LBB184_340:
	s_or_b64 exec, exec, s[8:9]
	s_barrier
	s_and_saveexec_b64 s[8:9], s[52:53]
	s_cbranch_execz .LBB184_342
; %bb.341:
	v_mov_b32_e32 v25, 0
	ds_read_b128 v[25:28], v25 offset:4752
	s_waitcnt lgkmcnt(0)
	v_mul_f64 v[29:30], v[13:14], v[27:28]
	v_mul_f64 v[27:28], v[11:12], v[27:28]
	v_fma_f64 v[11:12], v[11:12], v[25:26], -v[29:30]
	v_fma_f64 v[13:14], v[13:14], v[25:26], v[27:28]
	v_xor_b32_e32 v26, 0x80000000, v12
	v_xor_b32_e32 v28, 0x80000000, v14
	v_mov_b32_e32 v25, v11
	v_mov_b32_e32 v27, v13
	ds_write_b128 v21, v[25:28]
.LBB184_342:
	s_or_b64 exec, exec, s[8:9]
	s_waitcnt lgkmcnt(0)
	s_barrier
	s_and_saveexec_b64 s[8:9], s[42:43]
	s_cbranch_execz .LBB184_344
; %bb.343:
	v_mov_b32_e32 v29, 0
	ds_read_b128 v[25:28], v21
	ds_read_b128 v[29:32], v29 offset:4736
	s_waitcnt lgkmcnt(0)
	v_mul_f64 v[33:34], v[27:28], v[31:32]
	v_mul_f64 v[31:32], v[25:26], v[31:32]
	v_fma_f64 v[25:26], v[25:26], v[29:30], -v[33:34]
	v_fma_f64 v[27:28], v[27:28], v[29:30], v[31:32]
	v_add_f64 v[11:12], v[11:12], -v[25:26]
	v_add_f64 v[13:14], v[13:14], -v[27:28]
.LBB184_344:
	s_or_b64 exec, exec, s[8:9]
	s_barrier
	s_and_saveexec_b64 s[8:9], s[42:43]
	s_cbranch_execz .LBB184_346
; %bb.345:
	v_mov_b32_e32 v25, 0
	ds_read_b128 v[25:28], v25 offset:4224
	s_waitcnt lgkmcnt(0)
	v_mul_f64 v[29:30], v[13:14], v[27:28]
	v_mul_f64 v[27:28], v[11:12], v[27:28]
	v_fma_f64 v[11:12], v[11:12], v[25:26], -v[29:30]
	v_fma_f64 v[13:14], v[13:14], v[25:26], v[27:28]
	v_xor_b32_e32 v26, 0x80000000, v12
	v_xor_b32_e32 v28, 0x80000000, v14
	v_mov_b32_e32 v25, v11
	v_mov_b32_e32 v27, v13
	ds_write_b128 v21, v[25:28]
.LBB184_346:
	s_or_b64 exec, exec, s[8:9]
	s_waitcnt lgkmcnt(0)
	s_barrier
	s_barrier
	s_and_saveexec_b64 s[8:9], s[2:3]
; %bb.347:
	v_lshlrev_b32_e32 v25, 4, v19
	v_lshl_or_b32 v25, v20, 9, v25
	ds_write_b128 v25, v[11:14] offset:6272
; %bb.348:
	s_or_b64 exec, exec, s[8:9]
	s_waitcnt lgkmcnt(0)
	s_barrier
	s_barrier
	s_and_saveexec_b64 s[8:9], vcc
	s_cbranch_execz .LBB184_350
; %bb.349:
	v_mov_b32_e32 v35, 0
	ds_read_b128 v[11:14], v35 offset:5808
	ds_read_b128 v[25:28], v35 offset:5280
	;; [unrolled: 1-line block ×3, first 2 shown]
	s_waitcnt lgkmcnt(1)
	v_mul_f64 v[33:34], v[11:12], v[27:28]
	v_mul_f64 v[27:28], v[13:14], v[27:28]
	v_fma_f64 v[13:14], v[13:14], v[25:26], v[33:34]
	v_fma_f64 v[11:12], v[11:12], v[25:26], -v[27:28]
	s_waitcnt lgkmcnt(0)
	v_mul_f64 v[25:26], v[13:14], v[31:32]
	v_mul_f64 v[27:28], v[11:12], v[31:32]
	v_fma_f64 v[11:12], v[29:30], v[11:12], -v[25:26]
	v_fma_f64 v[13:14], v[29:30], v[13:14], v[27:28]
	ds_write_b128 v35, v[11:14] offset:5792
.LBB184_350:
	s_or_b64 exec, exec, s[8:9]
	v_mov_b32_e32 v11, 0
	v_mov_b32_e32 v13, 0
	;; [unrolled: 1-line block ×4, first 2 shown]
	s_waitcnt lgkmcnt(0)
	s_barrier
	buffer_wbinvl1_vol
	s_and_saveexec_b64 s[10:11], s[0:1]
	s_cbranch_execz .LBB184_354
; %bb.351:
	v_lshlrev_b32_e32 v25, 4, v15
	v_lshlrev_b32_e32 v11, 9, v16
	ds_read_b128 v[11:14], v11 offset:5280
	ds_read_b128 v[25:28], v25 offset:5248
	v_cmp_gt_u32_e64 s[8:9], 2, v18
	s_waitcnt lgkmcnt(0)
	v_mul_f64 v[29:30], v[13:14], v[27:28]
	v_mul_f64 v[27:28], v[11:12], v[27:28]
	v_fma_f64 v[11:12], v[11:12], v[25:26], -v[29:30]
	v_fma_f64 v[13:14], v[13:14], v[25:26], v[27:28]
	v_add_f64 v[11:12], v[11:12], 0
	v_add_f64 v[13:14], v[13:14], 0
	s_and_saveexec_b64 s[14:15], s[8:9]
	s_cbranch_execz .LBB184_353
; %bb.352:
	v_lshlrev_b32_e32 v29, 4, v0
	v_mov_b32_e32 v25, 0
	ds_read_b128 v[25:28], v25 offset:5808
	ds_read_b128 v[29:32], v29 offset:5760
	s_waitcnt lgkmcnt(0)
	v_mul_f64 v[33:34], v[27:28], v[31:32]
	v_mul_f64 v[31:32], v[25:26], v[31:32]
	v_fma_f64 v[25:26], v[25:26], v[29:30], -v[33:34]
	v_fma_f64 v[27:28], v[27:28], v[29:30], v[31:32]
	v_add_f64 v[11:12], v[11:12], v[25:26]
	v_add_f64 v[13:14], v[13:14], v[27:28]
.LBB184_353:
	s_or_b64 exec, exec, s[14:15]
.LBB184_354:
	s_or_b64 exec, exec, s[10:11]
	s_and_saveexec_b64 s[8:9], s[40:41]
	s_cbranch_execz .LBB184_356
; %bb.355:
	v_mov_b32_e32 v25, 0
	ds_read_b128 v[25:28], v25 offset:4752
	s_waitcnt lgkmcnt(0)
	v_mul_f64 v[29:30], v[13:14], v[27:28]
	v_mul_f64 v[27:28], v[11:12], v[27:28]
	v_fma_f64 v[11:12], v[11:12], v[25:26], -v[29:30]
	v_fma_f64 v[13:14], v[13:14], v[25:26], v[27:28]
	v_xor_b32_e32 v26, 0x80000000, v12
	v_xor_b32_e32 v28, 0x80000000, v14
	v_mov_b32_e32 v25, v11
	v_mov_b32_e32 v27, v13
	ds_write_b128 v17, v[25:28]
.LBB184_356:
	s_or_b64 exec, exec, s[8:9]
	s_waitcnt lgkmcnt(0)
	s_barrier
	s_and_saveexec_b64 s[8:9], s[38:39]
	s_cbranch_execz .LBB184_358
; %bb.357:
	v_mov_b32_e32 v29, 0
	ds_read_b128 v[25:28], v17
	ds_read_b128 v[29:32], v29 offset:4736
	s_waitcnt lgkmcnt(0)
	v_mul_f64 v[33:34], v[27:28], v[31:32]
	v_mul_f64 v[31:32], v[25:26], v[31:32]
	v_fma_f64 v[25:26], v[25:26], v[29:30], -v[33:34]
	v_fma_f64 v[27:28], v[27:28], v[29:30], v[31:32]
	v_add_f64 v[11:12], v[11:12], -v[25:26]
	v_add_f64 v[13:14], v[13:14], -v[27:28]
.LBB184_358:
	s_or_b64 exec, exec, s[8:9]
	s_barrier
	s_and_saveexec_b64 s[8:9], s[38:39]
	s_cbranch_execz .LBB184_360
; %bb.359:
	v_mov_b32_e32 v25, 0
	ds_read_b128 v[25:28], v25 offset:4224
	s_waitcnt lgkmcnt(0)
	v_mul_f64 v[29:30], v[13:14], v[27:28]
	v_mul_f64 v[27:28], v[11:12], v[27:28]
	v_fma_f64 v[11:12], v[11:12], v[25:26], -v[29:30]
	v_fma_f64 v[13:14], v[13:14], v[25:26], v[27:28]
	v_xor_b32_e32 v26, 0x80000000, v12
	v_xor_b32_e32 v28, 0x80000000, v14
	v_mov_b32_e32 v25, v11
	v_mov_b32_e32 v27, v13
	ds_write_b128 v17, v[25:28]
.LBB184_360:
	s_or_b64 exec, exec, s[8:9]
	s_waitcnt lgkmcnt(0)
	s_barrier
	s_barrier
	s_and_saveexec_b64 s[8:9], s[0:1]
; %bb.361:
	v_lshlrev_b32_e32 v25, 4, v15
	v_lshl_or_b32 v25, v16, 9, v25
	ds_write_b128 v25, v[11:14] offset:5248
; %bb.362:
	s_or_b64 exec, exec, s[8:9]
	s_waitcnt lgkmcnt(0)
	s_barrier
	s_barrier
	s_and_saveexec_b64 s[8:9], vcc
	s_cbranch_execz .LBB184_364
; %bb.363:
	v_mov_b32_e32 v35, 0
	ds_read_b128 v[11:14], v35 offset:4752
	ds_read_b128 v[25:28], v35 offset:4224
	;; [unrolled: 1-line block ×3, first 2 shown]
	s_waitcnt lgkmcnt(1)
	v_mul_f64 v[33:34], v[11:12], v[27:28]
	v_mul_f64 v[27:28], v[13:14], v[27:28]
	v_fma_f64 v[13:14], v[13:14], v[25:26], v[33:34]
	v_fma_f64 v[11:12], v[11:12], v[25:26], -v[27:28]
	s_waitcnt lgkmcnt(0)
	v_mul_f64 v[25:26], v[13:14], v[31:32]
	v_mul_f64 v[27:28], v[11:12], v[31:32]
	v_fma_f64 v[11:12], v[29:30], v[11:12], -v[25:26]
	v_fma_f64 v[13:14], v[29:30], v[13:14], v[27:28]
	ds_write_b128 v35, v[11:14] offset:4736
.LBB184_364:
	s_or_b64 exec, exec, s[8:9]
	v_mov_b32_e32 v13, 0
	v_mov_b32_e32 v11, 0
	;; [unrolled: 1-line block ×4, first 2 shown]
	s_waitcnt lgkmcnt(0)
	s_barrier
	buffer_wbinvl1_vol
	s_and_saveexec_b64 s[10:11], s[12:13]
	s_cbranch_execz .LBB184_374
; %bb.365:
	v_lshlrev_b32_e32 v26, 9, v23
	v_lshlrev_b32_e32 v25, 4, v22
	ds_read_b128 v[11:14], v26 offset:4224
	ds_read_b128 v[27:30], v25 offset:4096
	v_cmp_gt_u32_e64 s[8:9], 56, v18
	s_waitcnt lgkmcnt(0)
	v_mul_f64 v[31:32], v[13:14], v[29:30]
	v_mul_f64 v[29:30], v[11:12], v[29:30]
	v_fma_f64 v[11:12], v[11:12], v[27:28], -v[31:32]
	v_fma_f64 v[13:14], v[13:14], v[27:28], v[29:30]
	v_add_f64 v[11:12], v[11:12], 0
	v_add_f64 v[13:14], v[13:14], 0
	s_and_saveexec_b64 s[14:15], s[8:9]
	s_cbranch_execnz .LBB184_536
; %bb.366:
	s_or_b64 exec, exec, s[14:15]
	v_cmp_gt_u32_e64 s[8:9], 48, v18
	s_and_saveexec_b64 s[14:15], s[8:9]
	s_cbranch_execnz .LBB184_537
.LBB184_367:
	s_or_b64 exec, exec, s[14:15]
	v_cmp_gt_u32_e64 s[8:9], 40, v18
	s_and_saveexec_b64 s[14:15], s[8:9]
	s_cbranch_execnz .LBB184_538
.LBB184_368:
	s_or_b64 exec, exec, s[14:15]
	v_cmp_gt_u32_e64 s[8:9], 32, v18
	s_and_saveexec_b64 s[14:15], s[8:9]
	s_cbranch_execnz .LBB184_539
.LBB184_369:
	s_or_b64 exec, exec, s[14:15]
	v_cmp_gt_u32_e64 s[8:9], 24, v18
	s_and_saveexec_b64 s[14:15], s[8:9]
	s_cbranch_execnz .LBB184_540
.LBB184_370:
	s_or_b64 exec, exec, s[14:15]
	s_and_saveexec_b64 s[8:9], s[2:3]
	s_cbranch_execnz .LBB184_541
.LBB184_371:
	s_or_b64 exec, exec, s[8:9]
	v_cmp_gt_u32_e64 s[8:9], 8, v18
	s_and_saveexec_b64 s[14:15], s[8:9]
	s_cbranch_execz .LBB184_373
.LBB184_372:
	v_lshlrev_b32_e32 v29, 4, v0
	v_mov_b32_e32 v25, 0
	ds_read_b128 v[25:28], v25 offset:7920
	ds_read_b128 v[29:32], v29 offset:7680
	s_waitcnt lgkmcnt(0)
	v_mul_f64 v[33:34], v[27:28], v[31:32]
	v_mul_f64 v[31:32], v[25:26], v[31:32]
	v_fma_f64 v[25:26], v[25:26], v[29:30], -v[33:34]
	v_fma_f64 v[27:28], v[27:28], v[29:30], v[31:32]
	v_add_f64 v[11:12], v[11:12], v[25:26]
	v_add_f64 v[13:14], v[13:14], v[27:28]
.LBB184_373:
	s_or_b64 exec, exec, s[14:15]
.LBB184_374:
	s_or_b64 exec, exec, s[10:11]
	s_and_saveexec_b64 s[8:9], s[56:57]
	s_cbranch_execz .LBB184_376
; %bb.375:
	v_mov_b32_e32 v25, 0
	ds_read_b128 v[25:28], v25 offset:3696
	s_waitcnt lgkmcnt(0)
	v_mul_f64 v[29:30], v[13:14], v[27:28]
	v_mul_f64 v[27:28], v[11:12], v[27:28]
	v_fma_f64 v[11:12], v[11:12], v[25:26], -v[29:30]
	v_fma_f64 v[13:14], v[13:14], v[25:26], v[27:28]
	v_xor_b32_e32 v26, 0x80000000, v12
	v_xor_b32_e32 v28, 0x80000000, v14
	v_mov_b32_e32 v25, v11
	v_mov_b32_e32 v27, v13
	ds_write_b128 v24, v[25:28]
.LBB184_376:
	s_or_b64 exec, exec, s[8:9]
	s_waitcnt lgkmcnt(0)
	s_barrier
	s_and_saveexec_b64 s[8:9], s[58:59]
	s_cbranch_execz .LBB184_378
; %bb.377:
	v_lshlrev_b32_e32 v29, 4, v22
	ds_read_b128 v[25:28], v24
	ds_read_b128 v[29:32], v29 offset:3584
	s_waitcnt lgkmcnt(0)
	v_mul_f64 v[33:34], v[27:28], v[31:32]
	v_mul_f64 v[31:32], v[25:26], v[31:32]
	v_fma_f64 v[25:26], v[25:26], v[29:30], -v[33:34]
	v_fma_f64 v[27:28], v[27:28], v[29:30], v[31:32]
	v_add_f64 v[11:12], v[11:12], -v[25:26]
	v_add_f64 v[13:14], v[13:14], -v[27:28]
.LBB184_378:
	s_or_b64 exec, exec, s[8:9]
	s_barrier
	s_and_saveexec_b64 s[8:9], s[60:61]
	s_cbranch_execz .LBB184_380
; %bb.379:
	v_mov_b32_e32 v25, 0
	ds_read_b128 v[25:28], v25 offset:3168
	s_waitcnt lgkmcnt(0)
	v_mul_f64 v[29:30], v[13:14], v[27:28]
	v_mul_f64 v[27:28], v[11:12], v[27:28]
	v_fma_f64 v[11:12], v[11:12], v[25:26], -v[29:30]
	v_fma_f64 v[13:14], v[13:14], v[25:26], v[27:28]
	v_xor_b32_e32 v26, 0x80000000, v12
	v_xor_b32_e32 v28, 0x80000000, v14
	v_mov_b32_e32 v25, v11
	v_mov_b32_e32 v27, v13
	ds_write_b128 v24, v[25:28]
.LBB184_380:
	s_or_b64 exec, exec, s[8:9]
	s_waitcnt lgkmcnt(0)
	s_barrier
	s_and_saveexec_b64 s[8:9], s[62:63]
	s_cbranch_execz .LBB184_382
; %bb.381:
	v_lshlrev_b32_e32 v29, 4, v22
	ds_read_b128 v[25:28], v24
	ds_read_b128 v[29:32], v29 offset:3072
	s_waitcnt lgkmcnt(0)
	v_mul_f64 v[33:34], v[27:28], v[31:32]
	v_mul_f64 v[31:32], v[25:26], v[31:32]
	v_fma_f64 v[25:26], v[25:26], v[29:30], -v[33:34]
	v_fma_f64 v[27:28], v[27:28], v[29:30], v[31:32]
	v_add_f64 v[11:12], v[11:12], -v[25:26]
	v_add_f64 v[13:14], v[13:14], -v[27:28]
.LBB184_382:
	s_or_b64 exec, exec, s[8:9]
	s_barrier
	;; [unrolled: 35-line block ×6, first 2 shown]
	s_and_saveexec_b64 s[8:9], s[80:81]
	s_cbranch_execz .LBB184_400
; %bb.399:
	v_mov_b32_e32 v25, 0
	ds_read_b128 v[25:28], v25 offset:528
	s_waitcnt lgkmcnt(0)
	v_mul_f64 v[29:30], v[13:14], v[27:28]
	v_mul_f64 v[27:28], v[11:12], v[27:28]
	v_fma_f64 v[11:12], v[11:12], v[25:26], -v[29:30]
	v_fma_f64 v[13:14], v[13:14], v[25:26], v[27:28]
	v_xor_b32_e32 v26, 0x80000000, v12
	v_xor_b32_e32 v28, 0x80000000, v14
	v_mov_b32_e32 v25, v11
	v_mov_b32_e32 v27, v13
	ds_write_b128 v24, v[25:28]
.LBB184_400:
	s_or_b64 exec, exec, s[8:9]
	s_waitcnt lgkmcnt(0)
	s_barrier
	s_and_saveexec_b64 s[8:9], s[54:55]
	s_cbranch_execz .LBB184_402
; %bb.401:
	v_mov_b32_e32 v29, 0
	ds_read_b128 v[25:28], v24
	ds_read_b128 v[29:32], v29 offset:512
	s_waitcnt lgkmcnt(0)
	v_mul_f64 v[33:34], v[27:28], v[31:32]
	v_mul_f64 v[31:32], v[25:26], v[31:32]
	v_fma_f64 v[25:26], v[25:26], v[29:30], -v[33:34]
	v_fma_f64 v[27:28], v[27:28], v[29:30], v[31:32]
	v_add_f64 v[11:12], v[11:12], -v[25:26]
	v_add_f64 v[13:14], v[13:14], -v[27:28]
.LBB184_402:
	s_or_b64 exec, exec, s[8:9]
	s_barrier
	s_and_saveexec_b64 s[8:9], s[54:55]
	s_cbranch_execz .LBB184_404
; %bb.403:
	v_mov_b32_e32 v25, 0
	ds_read_b128 v[25:28], v25
	s_waitcnt lgkmcnt(0)
	v_mul_f64 v[29:30], v[13:14], v[27:28]
	v_mul_f64 v[27:28], v[11:12], v[27:28]
	v_fma_f64 v[11:12], v[11:12], v[25:26], -v[29:30]
	v_fma_f64 v[13:14], v[13:14], v[25:26], v[27:28]
	v_xor_b32_e32 v26, 0x80000000, v12
	v_xor_b32_e32 v28, 0x80000000, v14
	v_mov_b32_e32 v25, v11
	v_mov_b32_e32 v27, v13
	ds_write_b128 v24, v[25:28]
.LBB184_404:
	s_or_b64 exec, exec, s[8:9]
	s_waitcnt lgkmcnt(0)
	s_barrier
	s_barrier
	s_and_saveexec_b64 s[8:9], s[12:13]
; %bb.405:
	v_lshlrev_b32_e32 v22, 4, v22
	v_lshl_or_b32 v22, v23, 9, v22
	ds_write_b128 v22, v[11:14] offset:4096
; %bb.406:
	s_or_b64 exec, exec, s[8:9]
	s_waitcnt lgkmcnt(0)
	s_barrier
	s_barrier
	s_and_saveexec_b64 s[8:9], vcc
	s_cbranch_execz .LBB184_408
; %bb.407:
	v_mov_b32_e32 v32, 0
	ds_read_b128 v[11:14], v32 offset:3696
	ds_read_b128 v[22:25], v32 offset:3168
	;; [unrolled: 1-line block ×3, first 2 shown]
	s_waitcnt lgkmcnt(1)
	v_mul_f64 v[30:31], v[11:12], v[24:25]
	v_mul_f64 v[24:25], v[13:14], v[24:25]
	v_fma_f64 v[13:14], v[13:14], v[22:23], v[30:31]
	v_fma_f64 v[11:12], v[11:12], v[22:23], -v[24:25]
	s_waitcnt lgkmcnt(0)
	v_mul_f64 v[22:23], v[13:14], v[28:29]
	v_mul_f64 v[24:25], v[11:12], v[28:29]
	v_fma_f64 v[11:12], v[26:27], v[11:12], -v[22:23]
	v_fma_f64 v[13:14], v[26:27], v[13:14], v[24:25]
	ds_write_b128 v32, v[11:14] offset:3680
.LBB184_408:
	s_or_b64 exec, exec, s[8:9]
	v_mov_b32_e32 v11, 0
	v_mov_b32_e32 v13, 0
	;; [unrolled: 1-line block ×4, first 2 shown]
	s_waitcnt lgkmcnt(0)
	s_barrier
	buffer_wbinvl1_vol
	s_and_saveexec_b64 s[10:11], s[0:1]
	s_cbranch_execz .LBB184_412
; %bb.409:
	v_lshlrev_b32_e32 v22, 4, v15
	v_lshlrev_b32_e32 v11, 9, v16
	ds_read_b128 v[11:14], v11 offset:3168
	ds_read_b128 v[22:25], v22 offset:3136
	v_cmp_gt_u32_e64 s[8:9], 2, v18
	s_waitcnt lgkmcnt(0)
	v_mul_f64 v[26:27], v[13:14], v[24:25]
	v_mul_f64 v[24:25], v[11:12], v[24:25]
	v_fma_f64 v[11:12], v[11:12], v[22:23], -v[26:27]
	v_fma_f64 v[13:14], v[13:14], v[22:23], v[24:25]
	v_add_f64 v[11:12], v[11:12], 0
	v_add_f64 v[13:14], v[13:14], 0
	s_and_saveexec_b64 s[12:13], s[8:9]
	s_cbranch_execz .LBB184_411
; %bb.410:
	v_lshlrev_b32_e32 v26, 4, v0
	v_mov_b32_e32 v22, 0
	ds_read_b128 v[22:25], v22 offset:3696
	ds_read_b128 v[26:29], v26 offset:3648
	s_waitcnt lgkmcnt(0)
	v_mul_f64 v[30:31], v[24:25], v[28:29]
	v_mul_f64 v[28:29], v[22:23], v[28:29]
	v_fma_f64 v[22:23], v[22:23], v[26:27], -v[30:31]
	v_fma_f64 v[24:25], v[24:25], v[26:27], v[28:29]
	v_add_f64 v[11:12], v[11:12], v[22:23]
	v_add_f64 v[13:14], v[13:14], v[24:25]
.LBB184_411:
	s_or_b64 exec, exec, s[12:13]
.LBB184_412:
	s_or_b64 exec, exec, s[10:11]
	s_and_saveexec_b64 s[8:9], s[40:41]
	s_cbranch_execz .LBB184_414
; %bb.413:
	v_mov_b32_e32 v22, 0
	ds_read_b128 v[22:25], v22 offset:2640
	s_waitcnt lgkmcnt(0)
	v_mul_f64 v[26:27], v[13:14], v[24:25]
	v_mul_f64 v[24:25], v[11:12], v[24:25]
	v_fma_f64 v[11:12], v[11:12], v[22:23], -v[26:27]
	v_fma_f64 v[13:14], v[13:14], v[22:23], v[24:25]
	v_xor_b32_e32 v23, 0x80000000, v12
	v_xor_b32_e32 v25, 0x80000000, v14
	v_mov_b32_e32 v22, v11
	v_mov_b32_e32 v24, v13
	ds_write_b128 v17, v[22:25]
.LBB184_414:
	s_or_b64 exec, exec, s[8:9]
	s_waitcnt lgkmcnt(0)
	s_barrier
	s_and_saveexec_b64 s[8:9], s[38:39]
	s_cbranch_execz .LBB184_416
; %bb.415:
	v_mov_b32_e32 v26, 0
	ds_read_b128 v[22:25], v17
	ds_read_b128 v[26:29], v26 offset:2624
	s_waitcnt lgkmcnt(0)
	v_mul_f64 v[30:31], v[24:25], v[28:29]
	v_mul_f64 v[28:29], v[22:23], v[28:29]
	v_fma_f64 v[22:23], v[22:23], v[26:27], -v[30:31]
	v_fma_f64 v[24:25], v[24:25], v[26:27], v[28:29]
	v_add_f64 v[11:12], v[11:12], -v[22:23]
	v_add_f64 v[13:14], v[13:14], -v[24:25]
.LBB184_416:
	s_or_b64 exec, exec, s[8:9]
	s_barrier
	s_and_saveexec_b64 s[8:9], s[38:39]
	s_cbranch_execz .LBB184_418
; %bb.417:
	v_mov_b32_e32 v22, 0
	ds_read_b128 v[22:25], v22 offset:2112
	s_waitcnt lgkmcnt(0)
	v_mul_f64 v[26:27], v[13:14], v[24:25]
	v_mul_f64 v[24:25], v[11:12], v[24:25]
	v_fma_f64 v[11:12], v[11:12], v[22:23], -v[26:27]
	v_fma_f64 v[13:14], v[13:14], v[22:23], v[24:25]
	v_xor_b32_e32 v23, 0x80000000, v12
	v_xor_b32_e32 v25, 0x80000000, v14
	v_mov_b32_e32 v22, v11
	v_mov_b32_e32 v24, v13
	ds_write_b128 v17, v[22:25]
.LBB184_418:
	s_or_b64 exec, exec, s[8:9]
	s_waitcnt lgkmcnt(0)
	s_barrier
	s_barrier
	s_and_saveexec_b64 s[8:9], s[0:1]
; %bb.419:
	v_lshlrev_b32_e32 v22, 4, v15
	v_lshl_or_b32 v22, v16, 9, v22
	ds_write_b128 v22, v[11:14] offset:3136
; %bb.420:
	s_or_b64 exec, exec, s[8:9]
	s_waitcnt lgkmcnt(0)
	s_barrier
	s_barrier
	s_and_saveexec_b64 s[8:9], vcc
	s_cbranch_execz .LBB184_422
; %bb.421:
	v_mov_b32_e32 v32, 0
	ds_read_b128 v[11:14], v32 offset:2640
	ds_read_b128 v[22:25], v32 offset:2112
	;; [unrolled: 1-line block ×3, first 2 shown]
	s_waitcnt lgkmcnt(1)
	v_mul_f64 v[30:31], v[11:12], v[24:25]
	v_mul_f64 v[24:25], v[13:14], v[24:25]
	v_fma_f64 v[13:14], v[13:14], v[22:23], v[30:31]
	v_fma_f64 v[11:12], v[11:12], v[22:23], -v[24:25]
	s_waitcnt lgkmcnt(0)
	v_mul_f64 v[22:23], v[13:14], v[28:29]
	v_mul_f64 v[24:25], v[11:12], v[28:29]
	v_fma_f64 v[11:12], v[26:27], v[11:12], -v[22:23]
	v_fma_f64 v[13:14], v[26:27], v[13:14], v[24:25]
	ds_write_b128 v32, v[11:14] offset:2624
.LBB184_422:
	s_or_b64 exec, exec, s[8:9]
	v_mov_b32_e32 v13, 0
	v_mov_b32_e32 v11, 0
	v_mov_b32_e32 v14, 0
	v_mov_b32_e32 v12, 0
	s_waitcnt lgkmcnt(0)
	s_barrier
	buffer_wbinvl1_vol
	s_and_saveexec_b64 s[10:11], s[2:3]
	s_cbranch_execz .LBB184_428
; %bb.423:
	v_lshlrev_b32_e32 v23, 9, v20
	v_lshlrev_b32_e32 v22, 4, v19
	ds_read_b128 v[11:14], v23 offset:2112
	ds_read_b128 v[24:27], v22 offset:2048
	v_cmp_gt_u32_e64 s[8:9], 12, v18
	s_waitcnt lgkmcnt(0)
	v_mul_f64 v[28:29], v[13:14], v[26:27]
	v_mul_f64 v[26:27], v[11:12], v[26:27]
	v_fma_f64 v[11:12], v[11:12], v[24:25], -v[28:29]
	v_fma_f64 v[13:14], v[13:14], v[24:25], v[26:27]
	v_add_f64 v[11:12], v[11:12], 0
	v_add_f64 v[13:14], v[13:14], 0
	s_and_saveexec_b64 s[12:13], s[8:9]
	s_cbranch_execnz .LBB184_542
; %bb.424:
	s_or_b64 exec, exec, s[12:13]
	v_cmp_gt_u32_e64 s[8:9], 8, v18
	s_and_saveexec_b64 s[12:13], s[8:9]
	s_cbranch_execnz .LBB184_543
.LBB184_425:
	s_or_b64 exec, exec, s[12:13]
	v_cmp_gt_u32_e64 s[8:9], 4, v18
	s_and_saveexec_b64 s[12:13], s[8:9]
	s_cbranch_execz .LBB184_427
.LBB184_426:
	v_lshlrev_b32_e32 v26, 4, v0
	v_mov_b32_e32 v22, 0
	ds_read_b128 v[22:25], v22 offset:3696
	ds_read_b128 v[26:29], v26 offset:3584
	s_waitcnt lgkmcnt(0)
	v_mul_f64 v[30:31], v[24:25], v[28:29]
	v_mul_f64 v[28:29], v[22:23], v[28:29]
	v_fma_f64 v[22:23], v[22:23], v[26:27], -v[30:31]
	v_fma_f64 v[24:25], v[24:25], v[26:27], v[28:29]
	v_add_f64 v[11:12], v[11:12], v[22:23]
	v_add_f64 v[13:14], v[13:14], v[24:25]
.LBB184_427:
	s_or_b64 exec, exec, s[12:13]
.LBB184_428:
	s_or_b64 exec, exec, s[10:11]
	s_and_saveexec_b64 s[8:9], s[44:45]
	s_cbranch_execz .LBB184_430
; %bb.429:
	v_mov_b32_e32 v22, 0
	ds_read_b128 v[22:25], v22 offset:1584
	s_waitcnt lgkmcnt(0)
	v_mul_f64 v[26:27], v[13:14], v[24:25]
	v_mul_f64 v[24:25], v[11:12], v[24:25]
	v_fma_f64 v[11:12], v[11:12], v[22:23], -v[26:27]
	v_fma_f64 v[13:14], v[13:14], v[22:23], v[24:25]
	v_xor_b32_e32 v23, 0x80000000, v12
	v_xor_b32_e32 v25, 0x80000000, v14
	v_mov_b32_e32 v22, v11
	v_mov_b32_e32 v24, v13
	ds_write_b128 v21, v[22:25]
.LBB184_430:
	s_or_b64 exec, exec, s[8:9]
	s_waitcnt lgkmcnt(0)
	s_barrier
	s_and_saveexec_b64 s[8:9], s[46:47]
	s_cbranch_execz .LBB184_432
; %bb.431:
	v_lshlrev_b32_e32 v26, 4, v19
	ds_read_b128 v[22:25], v21
	ds_read_b128 v[26:29], v26 offset:1536
	s_waitcnt lgkmcnt(0)
	v_mul_f64 v[30:31], v[24:25], v[28:29]
	v_mul_f64 v[28:29], v[22:23], v[28:29]
	v_fma_f64 v[22:23], v[22:23], v[26:27], -v[30:31]
	v_fma_f64 v[24:25], v[24:25], v[26:27], v[28:29]
	v_add_f64 v[11:12], v[11:12], -v[22:23]
	v_add_f64 v[13:14], v[13:14], -v[24:25]
.LBB184_432:
	s_or_b64 exec, exec, s[8:9]
	s_barrier
	s_and_saveexec_b64 s[8:9], s[48:49]
	s_cbranch_execz .LBB184_434
; %bb.433:
	v_mov_b32_e32 v22, 0
	ds_read_b128 v[22:25], v22 offset:1056
	s_waitcnt lgkmcnt(0)
	v_mul_f64 v[26:27], v[13:14], v[24:25]
	v_mul_f64 v[24:25], v[11:12], v[24:25]
	v_fma_f64 v[11:12], v[11:12], v[22:23], -v[26:27]
	v_fma_f64 v[13:14], v[13:14], v[22:23], v[24:25]
	v_xor_b32_e32 v23, 0x80000000, v12
	v_xor_b32_e32 v25, 0x80000000, v14
	v_mov_b32_e32 v22, v11
	v_mov_b32_e32 v24, v13
	ds_write_b128 v21, v[22:25]
.LBB184_434:
	s_or_b64 exec, exec, s[8:9]
	s_waitcnt lgkmcnt(0)
	s_barrier
	s_and_saveexec_b64 s[8:9], s[50:51]
	s_cbranch_execz .LBB184_436
; %bb.435:
	v_lshlrev_b32_e32 v26, 4, v19
	ds_read_b128 v[22:25], v21
	ds_read_b128 v[26:29], v26 offset:1024
	s_waitcnt lgkmcnt(0)
	v_mul_f64 v[30:31], v[24:25], v[28:29]
	v_mul_f64 v[28:29], v[22:23], v[28:29]
	v_fma_f64 v[22:23], v[22:23], v[26:27], -v[30:31]
	v_fma_f64 v[24:25], v[24:25], v[26:27], v[28:29]
	v_add_f64 v[11:12], v[11:12], -v[22:23]
	v_add_f64 v[13:14], v[13:14], -v[24:25]
.LBB184_436:
	s_or_b64 exec, exec, s[8:9]
	s_barrier
	s_and_saveexec_b64 s[8:9], s[52:53]
	s_cbranch_execz .LBB184_438
; %bb.437:
	v_mov_b32_e32 v22, 0
	ds_read_b128 v[22:25], v22 offset:528
	s_waitcnt lgkmcnt(0)
	v_mul_f64 v[26:27], v[13:14], v[24:25]
	v_mul_f64 v[24:25], v[11:12], v[24:25]
	v_fma_f64 v[11:12], v[11:12], v[22:23], -v[26:27]
	v_fma_f64 v[13:14], v[13:14], v[22:23], v[24:25]
	v_xor_b32_e32 v23, 0x80000000, v12
	v_xor_b32_e32 v25, 0x80000000, v14
	v_mov_b32_e32 v22, v11
	v_mov_b32_e32 v24, v13
	ds_write_b128 v21, v[22:25]
.LBB184_438:
	s_or_b64 exec, exec, s[8:9]
	s_waitcnt lgkmcnt(0)
	s_barrier
	s_and_saveexec_b64 s[8:9], s[42:43]
	s_cbranch_execz .LBB184_440
; %bb.439:
	v_mov_b32_e32 v26, 0
	ds_read_b128 v[22:25], v21
	ds_read_b128 v[26:29], v26 offset:512
	s_waitcnt lgkmcnt(0)
	v_mul_f64 v[30:31], v[24:25], v[28:29]
	v_mul_f64 v[28:29], v[22:23], v[28:29]
	v_fma_f64 v[22:23], v[22:23], v[26:27], -v[30:31]
	v_fma_f64 v[24:25], v[24:25], v[26:27], v[28:29]
	v_add_f64 v[11:12], v[11:12], -v[22:23]
	v_add_f64 v[13:14], v[13:14], -v[24:25]
.LBB184_440:
	s_or_b64 exec, exec, s[8:9]
	s_barrier
	s_and_saveexec_b64 s[8:9], s[42:43]
	s_cbranch_execz .LBB184_442
; %bb.441:
	v_mov_b32_e32 v22, 0
	ds_read_b128 v[22:25], v22
	s_waitcnt lgkmcnt(0)
	v_mul_f64 v[26:27], v[13:14], v[24:25]
	v_mul_f64 v[24:25], v[11:12], v[24:25]
	v_fma_f64 v[11:12], v[11:12], v[22:23], -v[26:27]
	v_fma_f64 v[13:14], v[13:14], v[22:23], v[24:25]
	v_xor_b32_e32 v23, 0x80000000, v12
	v_xor_b32_e32 v25, 0x80000000, v14
	v_mov_b32_e32 v22, v11
	v_mov_b32_e32 v24, v13
	ds_write_b128 v21, v[22:25]
.LBB184_442:
	s_or_b64 exec, exec, s[8:9]
	s_waitcnt lgkmcnt(0)
	s_barrier
	s_barrier
	s_and_saveexec_b64 s[8:9], s[2:3]
; %bb.443:
	v_lshlrev_b32_e32 v19, 4, v19
	v_lshl_or_b32 v19, v20, 9, v19
	ds_write_b128 v19, v[11:14] offset:2048
; %bb.444:
	s_or_b64 exec, exec, s[8:9]
	s_waitcnt lgkmcnt(0)
	s_barrier
	s_barrier
	s_and_saveexec_b64 s[2:3], vcc
	s_cbranch_execz .LBB184_446
; %bb.445:
	v_mov_b32_e32 v29, 0
	ds_read_b128 v[11:14], v29 offset:1584
	ds_read_b128 v[19:22], v29 offset:1056
	;; [unrolled: 1-line block ×3, first 2 shown]
	s_waitcnt lgkmcnt(1)
	v_mul_f64 v[27:28], v[11:12], v[21:22]
	v_mul_f64 v[21:22], v[13:14], v[21:22]
	v_fma_f64 v[13:14], v[13:14], v[19:20], v[27:28]
	v_fma_f64 v[11:12], v[11:12], v[19:20], -v[21:22]
	s_waitcnt lgkmcnt(0)
	v_mul_f64 v[19:20], v[13:14], v[25:26]
	v_mul_f64 v[21:22], v[11:12], v[25:26]
	v_fma_f64 v[11:12], v[23:24], v[11:12], -v[19:20]
	v_fma_f64 v[13:14], v[23:24], v[13:14], v[21:22]
	ds_write_b128 v29, v[11:14] offset:1568
.LBB184_446:
	s_or_b64 exec, exec, s[2:3]
	v_mov_b32_e32 v11, 0
	v_mov_b32_e32 v13, 0
	v_mov_b32_e32 v12, 0
	v_mov_b32_e32 v14, 0
	s_waitcnt lgkmcnt(0)
	s_barrier
	buffer_wbinvl1_vol
	s_and_saveexec_b64 s[8:9], s[0:1]
	s_cbranch_execz .LBB184_450
; %bb.447:
	v_lshlrev_b32_e32 v19, 4, v15
	v_lshlrev_b32_e32 v11, 9, v16
	ds_read_b128 v[11:14], v11 offset:1056
	ds_read_b128 v[19:22], v19 offset:1024
	v_cmp_gt_u32_e64 s[2:3], 2, v18
	s_waitcnt lgkmcnt(0)
	v_mul_f64 v[23:24], v[13:14], v[21:22]
	v_mul_f64 v[21:22], v[11:12], v[21:22]
	v_fma_f64 v[11:12], v[11:12], v[19:20], -v[23:24]
	v_fma_f64 v[13:14], v[13:14], v[19:20], v[21:22]
	v_add_f64 v[11:12], v[11:12], 0
	v_add_f64 v[13:14], v[13:14], 0
	s_and_saveexec_b64 s[10:11], s[2:3]
	s_cbranch_execz .LBB184_449
; %bb.448:
	v_lshlrev_b32_e32 v22, 4, v0
	v_mov_b32_e32 v18, 0
	ds_read_b128 v[18:21], v18 offset:1584
	ds_read_b128 v[22:25], v22 offset:1536
	s_waitcnt lgkmcnt(0)
	v_mul_f64 v[26:27], v[20:21], v[24:25]
	v_mul_f64 v[24:25], v[18:19], v[24:25]
	v_fma_f64 v[18:19], v[18:19], v[22:23], -v[26:27]
	v_fma_f64 v[20:21], v[20:21], v[22:23], v[24:25]
	v_add_f64 v[11:12], v[11:12], v[18:19]
	v_add_f64 v[13:14], v[13:14], v[20:21]
.LBB184_449:
	s_or_b64 exec, exec, s[10:11]
.LBB184_450:
	s_or_b64 exec, exec, s[8:9]
	s_and_saveexec_b64 s[2:3], s[40:41]
	s_cbranch_execz .LBB184_452
; %bb.451:
	v_mov_b32_e32 v18, 0
	ds_read_b128 v[18:21], v18 offset:528
	s_waitcnt lgkmcnt(0)
	v_mul_f64 v[22:23], v[13:14], v[20:21]
	v_mul_f64 v[20:21], v[11:12], v[20:21]
	v_fma_f64 v[11:12], v[11:12], v[18:19], -v[22:23]
	v_fma_f64 v[13:14], v[13:14], v[18:19], v[20:21]
	v_xor_b32_e32 v19, 0x80000000, v12
	v_xor_b32_e32 v21, 0x80000000, v14
	v_mov_b32_e32 v18, v11
	v_mov_b32_e32 v20, v13
	ds_write_b128 v17, v[18:21]
.LBB184_452:
	s_or_b64 exec, exec, s[2:3]
	s_waitcnt lgkmcnt(0)
	s_barrier
	s_and_saveexec_b64 s[2:3], s[38:39]
	s_cbranch_execz .LBB184_454
; %bb.453:
	v_mov_b32_e32 v22, 0
	ds_read_b128 v[18:21], v17
	ds_read_b128 v[22:25], v22 offset:512
	s_waitcnt lgkmcnt(0)
	v_mul_f64 v[26:27], v[20:21], v[24:25]
	v_mul_f64 v[24:25], v[18:19], v[24:25]
	v_fma_f64 v[18:19], v[18:19], v[22:23], -v[26:27]
	v_fma_f64 v[20:21], v[20:21], v[22:23], v[24:25]
	v_add_f64 v[11:12], v[11:12], -v[18:19]
	v_add_f64 v[13:14], v[13:14], -v[20:21]
.LBB184_454:
	s_or_b64 exec, exec, s[2:3]
	s_barrier
	s_and_saveexec_b64 s[2:3], s[38:39]
	s_cbranch_execz .LBB184_456
; %bb.455:
	v_mov_b32_e32 v18, 0
	ds_read_b128 v[18:21], v18
	s_waitcnt lgkmcnt(0)
	v_mul_f64 v[22:23], v[13:14], v[20:21]
	v_mul_f64 v[20:21], v[11:12], v[20:21]
	v_fma_f64 v[11:12], v[11:12], v[18:19], -v[22:23]
	v_fma_f64 v[13:14], v[13:14], v[18:19], v[20:21]
	v_xor_b32_e32 v19, 0x80000000, v12
	v_xor_b32_e32 v21, 0x80000000, v14
	v_mov_b32_e32 v18, v11
	v_mov_b32_e32 v20, v13
	ds_write_b128 v17, v[18:21]
.LBB184_456:
	s_or_b64 exec, exec, s[2:3]
	s_waitcnt lgkmcnt(0)
	s_barrier
	s_barrier
	s_and_saveexec_b64 s[2:3], s[0:1]
; %bb.457:
	v_lshlrev_b32_e32 v15, 4, v15
	v_lshl_or_b32 v15, v16, 9, v15
	ds_write_b128 v15, v[11:14] offset:1024
; %bb.458:
	s_or_b64 exec, exec, s[2:3]
	s_waitcnt lgkmcnt(0)
	s_barrier
	s_barrier
	s_and_saveexec_b64 s[0:1], vcc
	s_cbranch_execz .LBB184_460
; %bb.459:
	v_mov_b32_e32 v25, 0
	ds_read_b128 v[11:14], v25 offset:528
	ds_read_b128 v[15:18], v25
	ds_read_b128 v[19:22], v25 offset:512
	s_waitcnt lgkmcnt(1)
	v_mul_f64 v[23:24], v[11:12], v[17:18]
	v_mul_f64 v[17:18], v[13:14], v[17:18]
	v_fma_f64 v[13:14], v[13:14], v[15:16], v[23:24]
	v_fma_f64 v[11:12], v[11:12], v[15:16], -v[17:18]
	s_waitcnt lgkmcnt(0)
	v_mul_f64 v[15:16], v[13:14], v[21:22]
	v_mul_f64 v[17:18], v[11:12], v[21:22]
	v_fma_f64 v[11:12], v[19:20], v[11:12], -v[15:16]
	v_fma_f64 v[13:14], v[19:20], v[13:14], v[17:18]
	ds_write_b128 v25, v[11:14] offset:512
.LBB184_460:
	s_or_b64 exec, exec, s[0:1]
.LBB184_461:
	s_lshl_b64 s[0:1], s[22:23], 4
	s_add_u32 s34, s34, s0
	v_cmp_le_i32_e32 vcc, s87, v0
	s_addc_u32 s35, s35, s1
	s_and_b64 s[14:15], vcc, s[30:31]
	v_cmp_eq_u32_e64 s[0:1], 0, v2
	s_xor_b64 s[2:3], s[14:15], -1
	v_mov_b32_e32 v13, 0
	v_mov_b32_e32 v11, 0
	s_and_b64 s[8:9], s[0:1], s[2:3]
	v_mov_b32_e32 v14, 0
	v_mov_b32_e32 v12, 0
	v_add_u32_e32 v16, s33, v0
	s_waitcnt lgkmcnt(0)
	s_barrier
	s_and_saveexec_b64 s[2:3], s[8:9]
	s_cbranch_execz .LBB184_463
; %bb.462:
	v_ashrrev_i32_e32 v13, 31, v16
	v_mul_lo_u32 v14, s21, v16
	v_mad_u64_u32 v[11:12], s[8:9], s20, v16, 0
	v_mul_lo_u32 v13, s20, v13
	v_add3_u32 v12, v12, v13, v14
	v_lshlrev_b64 v[11:12], 4, v[11:12]
	v_mov_b32_e32 v13, s35
	v_add_co_u32_e32 v11, vcc, s34, v11
	v_addc_co_u32_e32 v12, vcc, v13, v12, vcc
	flat_load_dwordx4 v[11:14], v[11:12]
	s_waitcnt vmcnt(0) lgkmcnt(0)
	v_mul_f64 v[17:18], s[16:17], v[11:12]
	v_mul_f64 v[19:20], s[16:17], v[13:14]
	v_fma_f64 v[13:14], s[18:19], v[13:14], -v[17:18]
	v_fma_f64 v[11:12], v[11:12], -s[18:19], -v[19:20]
.LBB184_463:
	s_or_b64 exec, exec, s[2:3]
	s_load_dwordx2 s[12:13], s[4:5], 0x58
	s_and_b32 s2, 0xffff, s91
	v_mad_u32_u24 v22, v2, s2, v0
	v_mov_b32_e32 v15, 0
	s_cmp_lt_i32 s6, 1
	v_cmp_eq_u32_e64 s[2:3], 0, v22
	s_cbranch_scc1 .LBB184_486
; %bb.464:
	v_ashrrev_i32_e32 v17, 31, v16
	v_cmp_gt_i32_e64 s[10:11], s26, v16
	v_lshlrev_b64 v[16:17], 4, v[16:17]
	s_lshl_b64 s[4:5], s[24:25], 2
	v_mov_b32_e32 v18, 0x6000
	s_waitcnt lgkmcnt(0)
	s_add_u32 s16, s12, s4
	v_lshl_add_u32 v23, v22, 4, v18
	v_lshl_or_b32 v24, v2, 4, v18
	v_mov_b32_e32 v18, s89
	v_add_co_u32_e32 v25, vcc, s88, v16
	s_mov_b32 s38, 0
	s_addc_u32 s17, s13, s5
	v_cmp_gt_u32_e64 s[4:5], 32, v22
	s_add_i32 s90, s90, 1
	v_addc_co_u32_e32 v26, vcc, v18, v17, vcc
	s_lshl_b64 s[18:19], s[28:29], 8
	v_mov_b32_e32 v27, -1
	s_branch .LBB184_467
.LBB184_465:                            ;   in Loop: Header=BB184_467 Depth=1
	ds_read_b128 v[28:31], v24 offset:256
	s_waitcnt vmcnt(0) lgkmcnt(0)
	v_mul_f64 v[18:19], v[20:21], v[30:31]
	v_mul_f64 v[30:31], v[16:17], v[30:31]
	v_fma_f64 v[16:17], v[16:17], v[28:29], -v[18:19]
	v_fma_f64 v[18:19], v[20:21], v[28:29], v[30:31]
	v_add_f64 v[13:14], v[13:14], v[16:17]
	v_add_f64 v[11:12], v[11:12], v[18:19]
.LBB184_466:                            ;   in Loop: Header=BB184_467 Depth=1
	s_or_b64 exec, exec, s[22:23]
	s_add_i32 s38, s38, 1
	s_cmp_eq_u32 s38, s6
	s_cbranch_scc1 .LBB184_486
.LBB184_467:                            ; =>This Loop Header: Depth=1
                                        ;     Child Loop BB184_469 Depth 2
	v_cmp_gt_i32_e32 vcc, s38, v27
	s_and_b64 s[22:23], s[2:3], vcc
	s_and_saveexec_b64 s[8:9], s[22:23]
	s_cbranch_execz .LBB184_470
; %bb.468:                              ;   in Loop: Header=BB184_467 Depth=1
	global_load_dword v27, v15, s[16:17]
	s_waitcnt vmcnt(0)
	v_cmp_le_i32_e32 vcc, s38, v27
	s_cbranch_vccnz .LBB184_470
.LBB184_469:                            ;   Parent Loop BB184_467 Depth=1
                                        ; =>  This Inner Loop Header: Depth=2
	buffer_wbinvl1_vol
	global_load_dword v27, v15, s[16:17]
	s_waitcnt vmcnt(0)
	v_cmp_gt_i32_e32 vcc, s38, v27
	s_cbranch_vccnz .LBB184_469
.LBB184_470:                            ;   in Loop: Header=BB184_467 Depth=1
	s_or_b64 exec, exec, s[8:9]
	s_sub_i32 s39, s7, s38
	s_lshl_b32 s40, s39, 5
	buffer_wbinvl1_vol
	s_barrier
	s_and_saveexec_b64 s[8:9], s[4:5]
	s_cbranch_execz .LBB184_475
; %bb.471:                              ;   in Loop: Header=BB184_467 Depth=1
	s_ashr_i32 s22, s40, 31
	v_mov_b32_e32 v17, s22
	v_or_b32_e32 v16, s40, v22
	v_cmp_le_i64_e32 vcc, s[26:27], v[16:17]
	s_and_saveexec_b64 s[22:23], vcc
	s_xor_b64 s[22:23], exec, s[22:23]
; %bb.472:                              ;   in Loop: Header=BB184_467 Depth=1
	v_mov_b32_e32 v16, v15
	v_mov_b32_e32 v17, v15
	;; [unrolled: 1-line block ×3, first 2 shown]
	ds_write_b128 v23, v[15:18]
                                        ; implicit-def: $vgpr16_vgpr17
; %bb.473:                              ;   in Loop: Header=BB184_467 Depth=1
	s_andn2_saveexec_b64 s[22:23], s[22:23]
	s_cbranch_execz .LBB184_475
; %bb.474:                              ;   in Loop: Header=BB184_467 Depth=1
	v_mul_lo_u32 v18, v17, s20
	v_mul_lo_u32 v19, v16, s21
	v_mad_u64_u32 v[16:17], s[22:23], v16, s20, 0
	v_add3_u32 v17, v17, v19, v18
	v_lshlrev_b64 v[16:17], 4, v[16:17]
	v_mov_b32_e32 v18, s35
	v_add_co_u32_e32 v16, vcc, s34, v16
	v_addc_co_u32_e32 v17, vcc, v18, v17, vcc
	flat_load_dwordx4 v[16:19], v[16:17]
	s_waitcnt vmcnt(0) lgkmcnt(0)
	ds_write2_b64 v23, v[16:17], v[18:19] offset1:1
.LBB184_475:                            ;   in Loop: Header=BB184_467 Depth=1
	s_or_b64 exec, exec, s[8:9]
	v_add_u32_e32 v28, s40, v2
	v_ashrrev_i32_e32 v18, 31, v28
	v_mul_lo_u32 v19, s29, v28
	v_mad_u64_u32 v[16:17], s[8:9], s28, v28, 0
	v_mul_lo_u32 v18, s28, v18
	s_cmp_lg_u32 s39, s90
	s_cselect_b64 s[8:9], -1, 0
	s_waitcnt lgkmcnt(0)
	v_add3_u32 v17, v17, v18, v19
	v_lshlrev_b64 v[16:17], 4, v[16:17]
	v_cndmask_b32_e64 v18, 0, 1, s[8:9]
	v_add_co_u32_e32 v16, vcc, v25, v16
	v_addc_co_u32_e32 v17, vcc, v26, v17, vcc
	v_cmp_gt_i32_e32 vcc, s26, v28
	s_and_b64 s[40:41], s[10:11], vcc
	v_cmp_ne_u32_e64 s[8:9], 1, v18
	s_barrier
	s_and_saveexec_b64 s[22:23], s[40:41]
	s_cbranch_execz .LBB184_481
; %bb.476:                              ;   in Loop: Header=BB184_467 Depth=1
	v_mov_b32_e32 v19, v4
	s_and_b64 vcc, exec, s[8:9]
	v_mov_b32_e32 v18, v3
	s_cbranch_vccnz .LBB184_478
; %bb.477:                              ;   in Loop: Header=BB184_467 Depth=1
	flat_load_dwordx2 v[18:19], v[16:17]
.LBB184_478:                            ;   in Loop: Header=BB184_467 Depth=1
	v_mov_b32_e32 v21, v6
	s_and_b64 vcc, exec, s[8:9]
	v_mov_b32_e32 v20, v5
	s_cbranch_vccnz .LBB184_480
; %bb.479:                              ;   in Loop: Header=BB184_467 Depth=1
	flat_load_dwordx2 v[20:21], v[16:17] offset:8
.LBB184_480:                            ;   in Loop: Header=BB184_467 Depth=1
	ds_read_b128 v[29:32], v24
	s_waitcnt vmcnt(0) lgkmcnt(0)
	v_mul_f64 v[33:34], v[20:21], v[31:32]
	v_mul_f64 v[31:32], v[18:19], v[31:32]
	v_fma_f64 v[18:19], v[18:19], v[29:30], -v[33:34]
	v_fma_f64 v[20:21], v[20:21], v[29:30], v[31:32]
	v_add_f64 v[13:14], v[13:14], v[18:19]
	v_add_f64 v[11:12], v[11:12], v[20:21]
.LBB184_481:                            ;   in Loop: Header=BB184_467 Depth=1
	s_or_b64 exec, exec, s[22:23]
	v_add_u32_e32 v18, 16, v28
	v_cmp_gt_i32_e32 vcc, s26, v18
	s_and_b64 s[40:41], s[10:11], vcc
	s_and_saveexec_b64 s[22:23], s[40:41]
	s_cbranch_execz .LBB184_466
; %bb.482:                              ;   in Loop: Header=BB184_467 Depth=1
	v_mov_b32_e32 v19, s19
	v_add_co_u32_e32 v18, vcc, s18, v16
	v_addc_co_u32_e32 v19, vcc, v17, v19, vcc
	v_mov_b32_e32 v17, v8
	s_and_b64 vcc, exec, s[8:9]
	v_mov_b32_e32 v16, v7
	s_cbranch_vccnz .LBB184_484
; %bb.483:                              ;   in Loop: Header=BB184_467 Depth=1
	flat_load_dwordx2 v[16:17], v[18:19]
.LBB184_484:                            ;   in Loop: Header=BB184_467 Depth=1
	v_mov_b32_e32 v21, v10
	s_and_b64 vcc, exec, s[8:9]
	v_mov_b32_e32 v20, v9
	s_cbranch_vccnz .LBB184_465
; %bb.485:                              ;   in Loop: Header=BB184_467 Depth=1
	flat_load_dwordx2 v[20:21], v[18:19] offset:8
	s_branch .LBB184_465
.LBB184_486:
	s_xor_b64 s[2:3], s[30:31], -1
	s_xor_b64 s[4:5], s[36:37], -1
	v_lshlrev_b32_e32 v1, 4, v1
	v_mov_b32_e32 v15, v11
	v_mov_b32_e32 v16, v12
	ds_write_b128 v1, v[13:16] offset:16384
	s_waitcnt lgkmcnt(0)
	s_barrier
	s_and_saveexec_b64 s[6:7], s[0:1]
	s_cbranch_execz .LBB184_488
; %bb.487:
	v_lshlrev_b32_e32 v15, 4, v0
	ds_read_b128 v[3:6], v15 offset:16896
	ds_read_b128 v[7:10], v15 offset:17408
	s_waitcnt lgkmcnt(1)
	v_add_f64 v[3:4], v[13:14], v[3:4]
	v_add_f64 v[5:6], v[11:12], v[5:6]
	s_waitcnt lgkmcnt(0)
	v_add_f64 v[11:12], v[3:4], v[7:8]
	v_add_f64 v[13:14], v[5:6], v[9:10]
	ds_read_b128 v[3:6], v15 offset:17920
	ds_read_b128 v[7:10], v15 offset:18432
	s_waitcnt lgkmcnt(1)
	v_add_f64 v[3:4], v[11:12], v[3:4]
	v_add_f64 v[5:6], v[13:14], v[5:6]
	s_waitcnt lgkmcnt(0)
	v_add_f64 v[11:12], v[3:4], v[7:8]
	v_add_f64 v[13:14], v[5:6], v[9:10]
	;; [unrolled: 8-line block ×7, first 2 shown]
	ds_read_b128 v[3:6], v15 offset:24064
	s_waitcnt lgkmcnt(0)
	v_add_f64 v[3:4], v[7:8], v[3:4]
	v_add_f64 v[5:6], v[9:10], v[5:6]
	v_xor_b32_e32 v4, 0x80000000, v4
	v_xor_b32_e32 v6, 0x80000000, v6
	v_cndmask_b32_e64 v13, v3, 0, s[14:15]
	v_cndmask_b32_e64 v14, v4, 0, s[14:15]
	;; [unrolled: 1-line block ×4, first 2 shown]
.LBB184_488:
	s_or_b64 exec, exec, s[6:7]
	s_andn2_b64 vcc, exec, s[4:5]
	s_cbranch_vccnz .LBB184_497
; %bb.489:
	v_mov_b32_e32 v3, 0x6000
	v_lshl_or_b32 v7, v2, 4, v3
	s_and_saveexec_b64 s[4:5], s[0:1]
; %bb.490:
	v_lshl_add_u32 v3, v0, 4, v7
	v_mov_b32_e32 v15, v11
	v_mov_b32_e32 v16, v12
	ds_write_b128 v3, v[13:16]
; %bb.491:
	s_or_b64 exec, exec, s[4:5]
	v_mov_b32_e32 v3, 0
	v_mov_b32_e32 v5, 0
	;; [unrolled: 1-line block ×4, first 2 shown]
	v_cmp_le_u32_e32 vcc, v0, v2
	s_waitcnt lgkmcnt(0)
	s_barrier
	s_and_saveexec_b64 s[4:5], vcc
	s_cbranch_execz .LBB184_493
; %bb.492:
	ds_read_b128 v[3:6], v7
	ds_read_b128 v[15:18], v1
	s_waitcnt lgkmcnt(0)
	v_mul_f64 v[8:9], v[5:6], v[17:18]
	v_mul_f64 v[17:18], v[3:4], v[17:18]
	v_fma_f64 v[3:4], v[3:4], v[15:16], -v[8:9]
	v_fma_f64 v[5:6], v[5:6], v[15:16], v[17:18]
	v_add_f64 v[3:4], v[3:4], 0
	v_add_f64 v[5:6], v[5:6], 0
.LBB184_493:
	s_or_b64 exec, exec, s[4:5]
	v_add_u32_e32 v2, 16, v2
	v_add_u32_e32 v8, 0x4000, v1
	v_cmp_le_u32_e32 vcc, v0, v2
	s_and_saveexec_b64 s[4:5], vcc
	s_cbranch_execz .LBB184_495
; %bb.494:
	ds_read_b128 v[15:18], v7 offset:256
	ds_read_b128 v[23:26], v1 offset:8192
	s_waitcnt lgkmcnt(0)
	v_mul_f64 v[1:2], v[17:18], v[25:26]
	v_mul_f64 v[9:10], v[15:16], v[25:26]
	v_fma_f64 v[1:2], v[15:16], v[23:24], -v[1:2]
	v_fma_f64 v[9:10], v[17:18], v[23:24], v[9:10]
	v_add_f64 v[3:4], v[3:4], v[1:2]
	v_add_f64 v[5:6], v[5:6], v[9:10]
.LBB184_495:
	s_or_b64 exec, exec, s[4:5]
	s_mov_b64 s[6:7], 0
	s_mov_b64 s[4:5], 0
	ds_write_b128 v8, v[3:6]
	s_waitcnt lgkmcnt(0)
	s_barrier
                                        ; implicit-def: $vgpr1_vgpr2
                                        ; implicit-def: $vgpr7_vgpr8
	s_and_saveexec_b64 s[8:9], s[0:1]
	s_cbranch_execz .LBB184_516
; %bb.496:
	v_lshlrev_b32_e32 v19, 4, v0
	ds_read_b128 v[7:10], v19 offset:16896
	ds_read_b128 v[15:18], v19 offset:17408
	s_mov_b64 s[4:5], exec
	s_waitcnt lgkmcnt(1)
	v_add_f64 v[1:2], v[3:4], v[7:8]
	v_add_f64 v[3:4], v[5:6], v[9:10]
	s_waitcnt lgkmcnt(0)
	v_add_f64 v[9:10], v[1:2], v[15:16]
	v_add_f64 v[15:16], v[3:4], v[17:18]
	ds_read_b128 v[1:4], v19 offset:17920
	ds_read_b128 v[5:8], v19 offset:18432
	s_waitcnt lgkmcnt(1)
	v_add_f64 v[1:2], v[9:10], v[1:2]
	v_add_f64 v[3:4], v[15:16], v[3:4]
	s_waitcnt lgkmcnt(0)
	v_add_f64 v[9:10], v[1:2], v[5:6]
	v_add_f64 v[15:16], v[3:4], v[7:8]
	ds_read_b128 v[1:4], v19 offset:18944
	ds_read_b128 v[5:8], v19 offset:19456
	;; [unrolled: 8-line block ×6, first 2 shown]
	s_waitcnt lgkmcnt(1)
	v_add_f64 v[1:2], v[9:10], v[1:2]
	v_add_f64 v[3:4], v[15:16], v[3:4]
	s_waitcnt lgkmcnt(0)
	v_add_f64 v[5:6], v[1:2], v[5:6]
	v_add_f64 v[9:10], v[3:4], v[7:8]
	ds_read_b128 v[1:4], v19 offset:24064
	s_waitcnt lgkmcnt(0)
	v_add_f64 v[7:8], v[5:6], v[1:2]
	v_add_f64 v[1:2], v[9:10], v[3:4]
	s_or_b64 exec, exec, s[8:9]
	s_and_b64 vcc, exec, s[6:7]
	s_cbranch_vccnz .LBB184_498
	s_branch .LBB184_517
.LBB184_497:
	s_mov_b64 s[4:5], 0
                                        ; implicit-def: $vgpr1_vgpr2
                                        ; implicit-def: $vgpr7_vgpr8
	s_cbranch_execz .LBB184_517
.LBB184_498:
	s_movk_i32 s6, 0x210
	v_lshlrev_b32_e32 v2, 9, v0
	v_mov_b32_e32 v3, 0x3c00
	v_mul_u32_u24_e32 v1, 0x210, v0
	v_sub_u32_e32 v2, 0, v2
	v_mad_u32_u24 v3, v0, s6, v3
	s_mov_b32 s8, 31
	s_movk_i32 s9, 0xc200
	v_mov_b32_e32 v4, 0
	s_branch .LBB184_500
.LBB184_499:                            ;   in Loop: Header=BB184_500 Depth=1
	s_or_b64 exec, exec, s[6:7]
	s_add_i32 s8, s8, -2
	s_cmp_lg_u32 s10, 0
	v_add_u32_e32 v2, 0xfffffc00, v2
	s_barrier
	s_cbranch_scc0 .LBB184_508
.LBB184_500:                            ; =>This Inner Loop Header: Depth=1
	v_cmp_eq_u32_e32 vcc, s9, v2
	s_and_b64 s[10:11], s[0:1], vcc
	s_and_saveexec_b64 s[6:7], s[10:11]
	s_cbranch_execz .LBB184_502
; %bb.501:                              ;   in Loop: Header=BB184_500 Depth=1
	ds_read_b128 v[5:8], v1
	s_waitcnt lgkmcnt(0)
	v_mul_f64 v[9:10], v[11:12], v[7:8]
	v_mul_f64 v[7:8], v[13:14], v[7:8]
	v_fma_f64 v[9:10], v[13:14], v[5:6], -v[9:10]
	v_fma_f64 v[11:12], v[11:12], v[5:6], v[7:8]
	v_mov_b32_e32 v14, v10
	v_mov_b32_e32 v13, v9
	ds_write_b128 v4, v[9:12] offset:25088
.LBB184_502:                            ;   in Loop: Header=BB184_500 Depth=1
	s_or_b64 exec, exec, s[6:7]
	v_cmp_gt_u32_e32 vcc, s8, v0
	s_and_b64 s[10:11], s[0:1], vcc
	v_add_u32_e32 v5, v3, v2
	s_waitcnt lgkmcnt(0)
	s_barrier
	s_and_saveexec_b64 s[6:7], s[10:11]
	s_cbranch_execz .LBB184_504
; %bb.503:                              ;   in Loop: Header=BB184_500 Depth=1
	ds_read_b128 v[6:9], v4 offset:25088
	ds_read_b128 v[15:18], v5 offset:512
	s_waitcnt lgkmcnt(0)
	v_mul_f64 v[19:20], v[8:9], v[17:18]
	v_mul_f64 v[17:18], v[6:7], v[17:18]
	v_fma_f64 v[6:7], v[6:7], v[15:16], -v[19:20]
	v_fma_f64 v[8:9], v[8:9], v[15:16], v[17:18]
	v_add_f64 v[13:14], v[13:14], v[6:7]
	v_add_f64 v[11:12], v[11:12], v[8:9]
.LBB184_504:                            ;   in Loop: Header=BB184_500 Depth=1
	s_or_b64 exec, exec, s[6:7]
	s_add_i32 s10, s8, -1
	v_cmp_eq_u32_e32 vcc, s10, v0
	s_and_b64 s[14:15], s[0:1], vcc
	s_barrier
	s_and_saveexec_b64 s[6:7], s[14:15]
	s_cbranch_execz .LBB184_506
; %bb.505:                              ;   in Loop: Header=BB184_500 Depth=1
	ds_read_b128 v[6:9], v1
	s_waitcnt lgkmcnt(0)
	v_mul_f64 v[15:16], v[11:12], v[8:9]
	v_mul_f64 v[17:18], v[13:14], v[8:9]
	v_fma_f64 v[9:10], v[13:14], v[6:7], -v[15:16]
	v_fma_f64 v[11:12], v[11:12], v[6:7], v[17:18]
	v_mov_b32_e32 v14, v10
	v_mov_b32_e32 v13, v9
	ds_write_b128 v4, v[9:12] offset:25088
.LBB184_506:                            ;   in Loop: Header=BB184_500 Depth=1
	s_or_b64 exec, exec, s[6:7]
	v_cmp_gt_u32_e32 vcc, s10, v0
	s_and_b64 s[14:15], s[0:1], vcc
	s_waitcnt lgkmcnt(0)
	s_barrier
	s_and_saveexec_b64 s[6:7], s[14:15]
	s_cbranch_execz .LBB184_499
; %bb.507:                              ;   in Loop: Header=BB184_500 Depth=1
	ds_read_b128 v[6:9], v4 offset:25088
	ds_read_b128 v[15:18], v5
	s_waitcnt lgkmcnt(0)
	v_mul_f64 v[19:20], v[8:9], v[17:18]
	v_mul_f64 v[17:18], v[6:7], v[17:18]
	v_fma_f64 v[5:6], v[6:7], v[15:16], -v[19:20]
	v_fma_f64 v[7:8], v[8:9], v[15:16], v[17:18]
	v_add_f64 v[13:14], v[13:14], v[5:6]
	v_add_f64 v[11:12], v[11:12], v[7:8]
	s_branch .LBB184_499
.LBB184_508:
	s_mov_b64 s[6:7], -1
	s_and_b64 vcc, exec, s[2:3]
	s_cbranch_vccnz .LBB184_518
; %bb.509:
	s_andn2_b64 vcc, exec, s[6:7]
	s_cbranch_vccz .LBB184_519
.LBB184_510:
	s_and_saveexec_b64 s[0:1], s[4:5]
	s_cbranch_execz .LBB184_512
.LBB184_511:
	v_mov_b32_e32 v0, s86
	v_add_co_u32_e32 v1, vcc, s33, v22
	v_addc_co_u32_e32 v0, vcc, 0, v0, vcc
	v_mul_lo_u32 v2, v0, s20
	v_mul_lo_u32 v3, v1, s21
	v_mad_u64_u32 v[0:1], s[2:3], v1, s20, 0
	v_mov_b32_e32 v15, v11
	v_mov_b32_e32 v16, v12
	v_add3_u32 v1, v1, v3, v2
	v_lshlrev_b64 v[0:1], 4, v[0:1]
	v_mov_b32_e32 v2, s35
	v_add_co_u32_e32 v0, vcc, s34, v0
	v_addc_co_u32_e32 v1, vcc, v2, v1, vcc
	flat_store_dwordx4 v[0:1], v[13:16]
.LBB184_512:
	s_or_b64 exec, exec, s[0:1]
	v_cmp_eq_u32_e32 vcc, 0, v22
	s_waitcnt vmcnt(0) lgkmcnt(0)
	buffer_wbinvl1_vol
	s_barrier
	s_and_saveexec_b64 s[0:1], vcc
	s_cbranch_execz .LBB184_514
; %bb.513:
	s_lshl_b64 s[2:3], s[24:25], 2
	s_add_u32 s2, s12, s2
	s_addc_u32 s3, s13, s3
	v_mov_b32_e32 v0, 0
	global_load_dword v1, v0, s[2:3]
	s_waitcnt vmcnt(0)
	v_add_u32_e32 v1, 1, v1
	global_store_dword v0, v1, s[2:3]
.LBB184_514:
	s_or_b64 exec, exec, s[0:1]
	s_waitcnt vmcnt(0)
	buffer_wbinvl1_vol
	s_endpgm
.LBB184_515:
                                        ; implicit-def: $vgpr9_vgpr10
                                        ; implicit-def: $vgpr5_vgpr6
                                        ; implicit-def: $sgpr33
	s_cbranch_execnz .LBB184_6
	s_branch .LBB184_7
.LBB184_516:
	s_or_b64 exec, exec, s[8:9]
	s_and_b64 vcc, exec, s[6:7]
	s_cbranch_vccnz .LBB184_498
.LBB184_517:
	v_mov_b32_e32 v12, v2
	v_mov_b32_e32 v14, v8
	;; [unrolled: 1-line block ×4, first 2 shown]
	s_and_saveexec_b64 s[0:1], s[4:5]
	s_cbranch_execnz .LBB184_511
	s_branch .LBB184_512
.LBB184_518:
	s_andn2_b64 s[2:3], s[4:5], exec
	s_and_b64 s[4:5], s[0:1], exec
	s_or_b64 s[4:5], s[2:3], s[4:5]
	s_cbranch_execnz .LBB184_510
.LBB184_519:
	v_cmp_gt_i32_e32 vcc, s87, v0
	s_and_b64 s[0:1], s[0:1], vcc
	s_andn2_b64 s[2:3], s[4:5], exec
	s_and_b64 s[0:1], s[0:1], exec
	s_or_b64 s[4:5], s[2:3], s[0:1]
	s_and_saveexec_b64 s[0:1], s[4:5]
	s_cbranch_execnz .LBB184_511
	s_branch .LBB184_512
.LBB184_520:
	ds_read_b128 v[24:27], v23 offset:14800
	ds_read_b128 v[28:31], v22 offset:15232
	s_waitcnt lgkmcnt(0)
	v_mul_f64 v[32:33], v[26:27], v[30:31]
	v_mul_f64 v[30:31], v[24:25], v[30:31]
	v_fma_f64 v[24:25], v[24:25], v[28:29], -v[32:33]
	v_fma_f64 v[26:27], v[26:27], v[28:29], v[30:31]
	v_add_f64 v[11:12], v[11:12], v[24:25]
	v_add_f64 v[13:14], v[13:14], v[26:27]
	s_or_b64 exec, exec, s[14:15]
	v_cmp_gt_u32_e64 s[10:11], 8, v18
	s_and_saveexec_b64 s[14:15], s[10:11]
	s_cbranch_execz .LBB184_87
.LBB184_521:
	ds_read_b128 v[23:26], v23 offset:14816
	ds_read_b128 v[27:30], v22 offset:15744
	s_waitcnt lgkmcnt(0)
	v_mul_f64 v[31:32], v[25:26], v[29:30]
	v_mul_f64 v[29:30], v[23:24], v[29:30]
	v_fma_f64 v[22:23], v[23:24], v[27:28], -v[31:32]
	v_fma_f64 v[24:25], v[25:26], v[27:28], v[29:30]
	v_add_f64 v[11:12], v[11:12], v[22:23]
	v_add_f64 v[13:14], v[13:14], v[24:25]
	s_or_b64 exec, exec, s[14:15]
	v_cmp_gt_u32_e64 s[10:11], 4, v18
	s_and_saveexec_b64 s[14:15], s[10:11]
	s_cbranch_execnz .LBB184_88
	s_branch .LBB184_89
.LBB184_522:
	ds_read_b128 v[27:30], v26 offset:12688
	ds_read_b128 v[31:34], v25 offset:13056
	s_waitcnt lgkmcnt(0)
	v_mul_f64 v[35:36], v[29:30], v[33:34]
	v_mul_f64 v[33:34], v[27:28], v[33:34]
	v_fma_f64 v[27:28], v[27:28], v[31:32], -v[35:36]
	v_fma_f64 v[29:30], v[29:30], v[31:32], v[33:34]
	v_add_f64 v[11:12], v[11:12], v[27:28]
	v_add_f64 v[13:14], v[13:14], v[29:30]
	s_or_b64 exec, exec, s[54:55]
	v_cmp_gt_u32_e64 s[10:11], 48, v18
	s_and_saveexec_b64 s[54:55], s[10:11]
	s_cbranch_execz .LBB184_125
.LBB184_523:
	ds_read_b128 v[27:30], v26 offset:12704
	ds_read_b128 v[31:34], v25 offset:13568
	s_waitcnt lgkmcnt(0)
	v_mul_f64 v[35:36], v[29:30], v[33:34]
	v_mul_f64 v[33:34], v[27:28], v[33:34]
	v_fma_f64 v[27:28], v[27:28], v[31:32], -v[35:36]
	v_fma_f64 v[29:30], v[29:30], v[31:32], v[33:34]
	v_add_f64 v[11:12], v[11:12], v[27:28]
	v_add_f64 v[13:14], v[13:14], v[29:30]
	s_or_b64 exec, exec, s[54:55]
	v_cmp_gt_u32_e64 s[10:11], 40, v18
	s_and_saveexec_b64 s[54:55], s[10:11]
	s_cbranch_execz .LBB184_126
.LBB184_524:
	ds_read_b128 v[27:30], v26 offset:12720
	ds_read_b128 v[31:34], v25 offset:14080
	s_waitcnt lgkmcnt(0)
	v_mul_f64 v[35:36], v[29:30], v[33:34]
	v_mul_f64 v[33:34], v[27:28], v[33:34]
	v_fma_f64 v[27:28], v[27:28], v[31:32], -v[35:36]
	v_fma_f64 v[29:30], v[29:30], v[31:32], v[33:34]
	v_add_f64 v[11:12], v[11:12], v[27:28]
	v_add_f64 v[13:14], v[13:14], v[29:30]
	s_or_b64 exec, exec, s[54:55]
	v_cmp_gt_u32_e64 s[10:11], 32, v18
	s_and_saveexec_b64 s[54:55], s[10:11]
	s_cbranch_execz .LBB184_127
.LBB184_525:
	ds_read_b128 v[27:30], v26 offset:12736
	ds_read_b128 v[31:34], v25 offset:14592
	s_waitcnt lgkmcnt(0)
	v_mul_f64 v[35:36], v[29:30], v[33:34]
	v_mul_f64 v[33:34], v[27:28], v[33:34]
	v_fma_f64 v[27:28], v[27:28], v[31:32], -v[35:36]
	v_fma_f64 v[29:30], v[29:30], v[31:32], v[33:34]
	v_add_f64 v[11:12], v[11:12], v[27:28]
	v_add_f64 v[13:14], v[13:14], v[29:30]
	s_or_b64 exec, exec, s[54:55]
	v_cmp_gt_u32_e64 s[10:11], 24, v18
	s_and_saveexec_b64 s[54:55], s[10:11]
	s_cbranch_execz .LBB184_128
.LBB184_526:
	ds_read_b128 v[27:30], v26 offset:12752
	ds_read_b128 v[31:34], v25 offset:15104
	s_waitcnt lgkmcnt(0)
	v_mul_f64 v[35:36], v[29:30], v[33:34]
	v_mul_f64 v[33:34], v[27:28], v[33:34]
	v_fma_f64 v[27:28], v[27:28], v[31:32], -v[35:36]
	v_fma_f64 v[29:30], v[29:30], v[31:32], v[33:34]
	v_add_f64 v[11:12], v[11:12], v[27:28]
	v_add_f64 v[13:14], v[13:14], v[29:30]
	s_or_b64 exec, exec, s[54:55]
	s_and_saveexec_b64 s[10:11], s[2:3]
	s_cbranch_execz .LBB184_129
.LBB184_527:
	ds_read_b128 v[26:29], v26 offset:12768
	ds_read_b128 v[30:33], v25 offset:15616
	s_waitcnt lgkmcnt(0)
	v_mul_f64 v[34:35], v[28:29], v[32:33]
	v_mul_f64 v[32:33], v[26:27], v[32:33]
	v_fma_f64 v[25:26], v[26:27], v[30:31], -v[34:35]
	v_fma_f64 v[27:28], v[28:29], v[30:31], v[32:33]
	v_add_f64 v[11:12], v[11:12], v[25:26]
	v_add_f64 v[13:14], v[13:14], v[27:28]
	s_or_b64 exec, exec, s[10:11]
	v_cmp_gt_u32_e64 s[10:11], 8, v18
	s_and_saveexec_b64 s[54:55], s[10:11]
	s_cbranch_execnz .LBB184_130
	s_branch .LBB184_131
.LBB184_528:
	ds_read_b128 v[27:30], v26 offset:10576
	ds_read_b128 v[31:34], v25 offset:11008
	s_waitcnt lgkmcnt(0)
	v_mul_f64 v[35:36], v[29:30], v[33:34]
	v_mul_f64 v[33:34], v[27:28], v[33:34]
	v_fma_f64 v[27:28], v[27:28], v[31:32], -v[35:36]
	v_fma_f64 v[29:30], v[29:30], v[31:32], v[33:34]
	v_add_f64 v[11:12], v[11:12], v[27:28]
	v_add_f64 v[13:14], v[13:14], v[29:30]
	s_or_b64 exec, exec, s[14:15]
	v_cmp_gt_u32_e64 s[8:9], 8, v18
	s_and_saveexec_b64 s[14:15], s[8:9]
	s_cbranch_execz .LBB184_183
.LBB184_529:
	ds_read_b128 v[26:29], v26 offset:10592
	ds_read_b128 v[30:33], v25 offset:11520
	s_waitcnt lgkmcnt(0)
	v_mul_f64 v[34:35], v[28:29], v[32:33]
	v_mul_f64 v[32:33], v[26:27], v[32:33]
	v_fma_f64 v[25:26], v[26:27], v[30:31], -v[34:35]
	v_fma_f64 v[27:28], v[28:29], v[30:31], v[32:33]
	v_add_f64 v[11:12], v[11:12], v[25:26]
	v_add_f64 v[13:14], v[13:14], v[27:28]
	s_or_b64 exec, exec, s[14:15]
	v_cmp_gt_u32_e64 s[8:9], 4, v18
	s_and_saveexec_b64 s[14:15], s[8:9]
	s_cbranch_execnz .LBB184_184
	s_branch .LBB184_185
.LBB184_530:
	ds_read_b128 v[30:33], v29 offset:8624
	ds_read_b128 v[34:37], v28 offset:13824
	s_waitcnt lgkmcnt(0)
	v_mul_f64 v[38:39], v[32:33], v[36:37]
	v_mul_f64 v[36:37], v[30:31], v[36:37]
	v_fma_f64 v[30:31], v[30:31], v[34:35], -v[38:39]
	v_fma_f64 v[32:33], v[32:33], v[34:35], v[36:37]
	v_add_f64 v[11:12], v[11:12], v[30:31]
	v_add_f64 v[13:14], v[13:14], v[32:33]
	s_or_b64 exec, exec, s[84:85]
	s_and_saveexec_b64 s[14:15], s[12:13]
	s_cbranch_execz .LBB184_241
.LBB184_531:
	ds_read_b128 v[30:33], v29 offset:8640
	ds_read_b128 v[34:37], v28 offset:14336
	s_waitcnt lgkmcnt(0)
	v_mul_f64 v[38:39], v[32:33], v[36:37]
	v_mul_f64 v[36:37], v[30:31], v[36:37]
	v_fma_f64 v[30:31], v[30:31], v[34:35], -v[38:39]
	v_fma_f64 v[32:33], v[32:33], v[34:35], v[36:37]
	v_add_f64 v[11:12], v[11:12], v[30:31]
	v_add_f64 v[13:14], v[13:14], v[32:33]
	s_or_b64 exec, exec, s[14:15]
	v_cmp_gt_u32_e64 s[14:15], 48, v18
	s_and_saveexec_b64 s[84:85], s[14:15]
	s_cbranch_execz .LBB184_242
.LBB184_532:
	ds_read_b128 v[30:33], v29 offset:8656
	ds_read_b128 v[34:37], v28 offset:14848
	s_waitcnt lgkmcnt(0)
	v_mul_f64 v[38:39], v[32:33], v[36:37]
	v_mul_f64 v[36:37], v[30:31], v[36:37]
	v_fma_f64 v[30:31], v[30:31], v[34:35], -v[38:39]
	v_fma_f64 v[32:33], v[32:33], v[34:35], v[36:37]
	v_add_f64 v[11:12], v[11:12], v[30:31]
	v_add_f64 v[13:14], v[13:14], v[32:33]
	s_or_b64 exec, exec, s[84:85]
	v_cmp_gt_u32_e64 s[14:15], 32, v18
	s_and_saveexec_b64 s[84:85], s[14:15]
	s_cbranch_execz .LBB184_243
.LBB184_533:
	ds_read_b128 v[29:32], v29 offset:8672
	ds_read_b128 v[33:36], v28 offset:15360
	s_waitcnt lgkmcnt(0)
	v_mul_f64 v[37:38], v[31:32], v[35:36]
	v_mul_f64 v[35:36], v[29:30], v[35:36]
	v_fma_f64 v[28:29], v[29:30], v[33:34], -v[37:38]
	v_fma_f64 v[30:31], v[31:32], v[33:34], v[35:36]
	v_add_f64 v[11:12], v[11:12], v[28:29]
	v_add_f64 v[13:14], v[13:14], v[30:31]
	s_or_b64 exec, exec, s[84:85]
	v_cmp_gt_u32_e64 s[14:15], 16, v18
	s_and_saveexec_b64 s[84:85], s[14:15]
	s_cbranch_execnz .LBB184_244
	s_branch .LBB184_245
.LBB184_534:
	ds_read_b128 v[27:30], v26 offset:6352
	ds_read_b128 v[31:34], v25 offset:6784
	s_waitcnt lgkmcnt(0)
	v_mul_f64 v[35:36], v[29:30], v[33:34]
	v_mul_f64 v[33:34], v[27:28], v[33:34]
	v_fma_f64 v[27:28], v[27:28], v[31:32], -v[35:36]
	v_fma_f64 v[29:30], v[29:30], v[31:32], v[33:34]
	v_add_f64 v[11:12], v[11:12], v[27:28]
	v_add_f64 v[13:14], v[13:14], v[29:30]
	s_or_b64 exec, exec, s[14:15]
	v_cmp_gt_u32_e64 s[8:9], 8, v18
	s_and_saveexec_b64 s[14:15], s[8:9]
	s_cbranch_execz .LBB184_329
.LBB184_535:
	ds_read_b128 v[26:29], v26 offset:6368
	ds_read_b128 v[30:33], v25 offset:7296
	s_waitcnt lgkmcnt(0)
	v_mul_f64 v[34:35], v[28:29], v[32:33]
	v_mul_f64 v[32:33], v[26:27], v[32:33]
	v_fma_f64 v[25:26], v[26:27], v[30:31], -v[34:35]
	v_fma_f64 v[27:28], v[28:29], v[30:31], v[32:33]
	v_add_f64 v[11:12], v[11:12], v[25:26]
	v_add_f64 v[13:14], v[13:14], v[27:28]
	s_or_b64 exec, exec, s[14:15]
	v_cmp_gt_u32_e64 s[8:9], 4, v18
	s_and_saveexec_b64 s[14:15], s[8:9]
	s_cbranch_execnz .LBB184_330
	s_branch .LBB184_331
.LBB184_536:
	ds_read_b128 v[27:30], v26 offset:4240
	ds_read_b128 v[31:34], v25 offset:4608
	s_waitcnt lgkmcnt(0)
	v_mul_f64 v[35:36], v[29:30], v[33:34]
	v_mul_f64 v[33:34], v[27:28], v[33:34]
	v_fma_f64 v[27:28], v[27:28], v[31:32], -v[35:36]
	v_fma_f64 v[29:30], v[29:30], v[31:32], v[33:34]
	v_add_f64 v[11:12], v[11:12], v[27:28]
	v_add_f64 v[13:14], v[13:14], v[29:30]
	s_or_b64 exec, exec, s[14:15]
	v_cmp_gt_u32_e64 s[8:9], 48, v18
	s_and_saveexec_b64 s[14:15], s[8:9]
	s_cbranch_execz .LBB184_367
.LBB184_537:
	ds_read_b128 v[27:30], v26 offset:4256
	ds_read_b128 v[31:34], v25 offset:5120
	s_waitcnt lgkmcnt(0)
	v_mul_f64 v[35:36], v[29:30], v[33:34]
	v_mul_f64 v[33:34], v[27:28], v[33:34]
	v_fma_f64 v[27:28], v[27:28], v[31:32], -v[35:36]
	v_fma_f64 v[29:30], v[29:30], v[31:32], v[33:34]
	v_add_f64 v[11:12], v[11:12], v[27:28]
	v_add_f64 v[13:14], v[13:14], v[29:30]
	s_or_b64 exec, exec, s[14:15]
	v_cmp_gt_u32_e64 s[8:9], 40, v18
	s_and_saveexec_b64 s[14:15], s[8:9]
	s_cbranch_execz .LBB184_368
.LBB184_538:
	ds_read_b128 v[27:30], v26 offset:4272
	ds_read_b128 v[31:34], v25 offset:5632
	s_waitcnt lgkmcnt(0)
	v_mul_f64 v[35:36], v[29:30], v[33:34]
	v_mul_f64 v[33:34], v[27:28], v[33:34]
	v_fma_f64 v[27:28], v[27:28], v[31:32], -v[35:36]
	v_fma_f64 v[29:30], v[29:30], v[31:32], v[33:34]
	v_add_f64 v[11:12], v[11:12], v[27:28]
	v_add_f64 v[13:14], v[13:14], v[29:30]
	s_or_b64 exec, exec, s[14:15]
	v_cmp_gt_u32_e64 s[8:9], 32, v18
	s_and_saveexec_b64 s[14:15], s[8:9]
	s_cbranch_execz .LBB184_369
.LBB184_539:
	ds_read_b128 v[27:30], v26 offset:4288
	ds_read_b128 v[31:34], v25 offset:6144
	s_waitcnt lgkmcnt(0)
	v_mul_f64 v[35:36], v[29:30], v[33:34]
	v_mul_f64 v[33:34], v[27:28], v[33:34]
	v_fma_f64 v[27:28], v[27:28], v[31:32], -v[35:36]
	v_fma_f64 v[29:30], v[29:30], v[31:32], v[33:34]
	v_add_f64 v[11:12], v[11:12], v[27:28]
	v_add_f64 v[13:14], v[13:14], v[29:30]
	s_or_b64 exec, exec, s[14:15]
	v_cmp_gt_u32_e64 s[8:9], 24, v18
	s_and_saveexec_b64 s[14:15], s[8:9]
	s_cbranch_execz .LBB184_370
.LBB184_540:
	ds_read_b128 v[27:30], v26 offset:4304
	ds_read_b128 v[31:34], v25 offset:6656
	s_waitcnt lgkmcnt(0)
	v_mul_f64 v[35:36], v[29:30], v[33:34]
	v_mul_f64 v[33:34], v[27:28], v[33:34]
	v_fma_f64 v[27:28], v[27:28], v[31:32], -v[35:36]
	v_fma_f64 v[29:30], v[29:30], v[31:32], v[33:34]
	v_add_f64 v[11:12], v[11:12], v[27:28]
	v_add_f64 v[13:14], v[13:14], v[29:30]
	s_or_b64 exec, exec, s[14:15]
	s_and_saveexec_b64 s[8:9], s[2:3]
	s_cbranch_execz .LBB184_371
.LBB184_541:
	ds_read_b128 v[26:29], v26 offset:4320
	ds_read_b128 v[30:33], v25 offset:7168
	s_waitcnt lgkmcnt(0)
	v_mul_f64 v[34:35], v[28:29], v[32:33]
	v_mul_f64 v[32:33], v[26:27], v[32:33]
	v_fma_f64 v[25:26], v[26:27], v[30:31], -v[34:35]
	v_fma_f64 v[27:28], v[28:29], v[30:31], v[32:33]
	v_add_f64 v[11:12], v[11:12], v[25:26]
	v_add_f64 v[13:14], v[13:14], v[27:28]
	s_or_b64 exec, exec, s[8:9]
	v_cmp_gt_u32_e64 s[8:9], 8, v18
	s_and_saveexec_b64 s[14:15], s[8:9]
	s_cbranch_execnz .LBB184_372
	s_branch .LBB184_373
.LBB184_542:
	ds_read_b128 v[24:27], v23 offset:2128
	ds_read_b128 v[28:31], v22 offset:2560
	s_waitcnt lgkmcnt(0)
	v_mul_f64 v[32:33], v[26:27], v[30:31]
	v_mul_f64 v[30:31], v[24:25], v[30:31]
	v_fma_f64 v[24:25], v[24:25], v[28:29], -v[32:33]
	v_fma_f64 v[26:27], v[26:27], v[28:29], v[30:31]
	v_add_f64 v[11:12], v[11:12], v[24:25]
	v_add_f64 v[13:14], v[13:14], v[26:27]
	s_or_b64 exec, exec, s[12:13]
	v_cmp_gt_u32_e64 s[8:9], 8, v18
	s_and_saveexec_b64 s[12:13], s[8:9]
	s_cbranch_execz .LBB184_425
.LBB184_543:
	ds_read_b128 v[23:26], v23 offset:2144
	ds_read_b128 v[27:30], v22 offset:3072
	s_waitcnt lgkmcnt(0)
	v_mul_f64 v[31:32], v[25:26], v[29:30]
	v_mul_f64 v[29:30], v[23:24], v[29:30]
	v_fma_f64 v[22:23], v[23:24], v[27:28], -v[31:32]
	v_fma_f64 v[24:25], v[25:26], v[27:28], v[29:30]
	v_add_f64 v[11:12], v[11:12], v[22:23]
	v_add_f64 v[13:14], v[13:14], v[24:25]
	s_or_b64 exec, exec, s[12:13]
	v_cmp_gt_u32_e64 s[8:9], 4, v18
	s_and_saveexec_b64 s[12:13], s[8:9]
	s_cbranch_execnz .LBB184_426
	s_branch .LBB184_427
	.section	.rodata,"a",@progbits
	.p2align	6, 0x0
	.amdhsa_kernel _ZL19rocblas_trsv_deviceILi32ELi16ELb0ELb0ELb0ELb0E19rocblas_complex_numIdES1_PKPKS1_PKPS1_EviT7_lllT6_T8_lllPii
		.amdhsa_group_segment_fixed_size 25104
		.amdhsa_private_segment_fixed_size 0
		.amdhsa_kernarg_size 360
		.amdhsa_user_sgpr_count 6
		.amdhsa_user_sgpr_private_segment_buffer 1
		.amdhsa_user_sgpr_dispatch_ptr 0
		.amdhsa_user_sgpr_queue_ptr 0
		.amdhsa_user_sgpr_kernarg_segment_ptr 1
		.amdhsa_user_sgpr_dispatch_id 0
		.amdhsa_user_sgpr_flat_scratch_init 0
		.amdhsa_user_sgpr_private_segment_size 0
		.amdhsa_uses_dynamic_stack 0
		.amdhsa_system_sgpr_private_segment_wavefront_offset 0
		.amdhsa_system_sgpr_workgroup_id_x 1
		.amdhsa_system_sgpr_workgroup_id_y 0
		.amdhsa_system_sgpr_workgroup_id_z 1
		.amdhsa_system_sgpr_workgroup_info 0
		.amdhsa_system_vgpr_workitem_id 1
		.amdhsa_next_free_vgpr 49
		.amdhsa_next_free_sgpr 98
		.amdhsa_reserve_vcc 1
		.amdhsa_reserve_flat_scratch 0
		.amdhsa_float_round_mode_32 0
		.amdhsa_float_round_mode_16_64 0
		.amdhsa_float_denorm_mode_32 3
		.amdhsa_float_denorm_mode_16_64 3
		.amdhsa_dx10_clamp 1
		.amdhsa_ieee_mode 1
		.amdhsa_fp16_overflow 0
		.amdhsa_exception_fp_ieee_invalid_op 0
		.amdhsa_exception_fp_denorm_src 0
		.amdhsa_exception_fp_ieee_div_zero 0
		.amdhsa_exception_fp_ieee_overflow 0
		.amdhsa_exception_fp_ieee_underflow 0
		.amdhsa_exception_fp_ieee_inexact 0
		.amdhsa_exception_int_div_zero 0
	.end_amdhsa_kernel
	.section	.text._ZL19rocblas_trsv_deviceILi32ELi16ELb0ELb0ELb0ELb0E19rocblas_complex_numIdES1_PKPKS1_PKPS1_EviT7_lllT6_T8_lllPii,"axG",@progbits,_ZL19rocblas_trsv_deviceILi32ELi16ELb0ELb0ELb0ELb0E19rocblas_complex_numIdES1_PKPKS1_PKPS1_EviT7_lllT6_T8_lllPii,comdat
.Lfunc_end184:
	.size	_ZL19rocblas_trsv_deviceILi32ELi16ELb0ELb0ELb0ELb0E19rocblas_complex_numIdES1_PKPKS1_PKPS1_EviT7_lllT6_T8_lllPii, .Lfunc_end184-_ZL19rocblas_trsv_deviceILi32ELi16ELb0ELb0ELb0ELb0E19rocblas_complex_numIdES1_PKPKS1_PKPS1_EviT7_lllT6_T8_lllPii
                                        ; -- End function
	.set _ZL19rocblas_trsv_deviceILi32ELi16ELb0ELb0ELb0ELb0E19rocblas_complex_numIdES1_PKPKS1_PKPS1_EviT7_lllT6_T8_lllPii.num_vgpr, 40
	.set _ZL19rocblas_trsv_deviceILi32ELi16ELb0ELb0ELb0ELb0E19rocblas_complex_numIdES1_PKPKS1_PKPS1_EviT7_lllT6_T8_lllPii.num_agpr, 0
	.set _ZL19rocblas_trsv_deviceILi32ELi16ELb0ELb0ELb0ELb0E19rocblas_complex_numIdES1_PKPKS1_PKPS1_EviT7_lllT6_T8_lllPii.numbered_sgpr, 92
	.set _ZL19rocblas_trsv_deviceILi32ELi16ELb0ELb0ELb0ELb0E19rocblas_complex_numIdES1_PKPKS1_PKPS1_EviT7_lllT6_T8_lllPii.num_named_barrier, 0
	.set _ZL19rocblas_trsv_deviceILi32ELi16ELb0ELb0ELb0ELb0E19rocblas_complex_numIdES1_PKPKS1_PKPS1_EviT7_lllT6_T8_lllPii.private_seg_size, 0
	.set _ZL19rocblas_trsv_deviceILi32ELi16ELb0ELb0ELb0ELb0E19rocblas_complex_numIdES1_PKPKS1_PKPS1_EviT7_lllT6_T8_lllPii.uses_vcc, 1
	.set _ZL19rocblas_trsv_deviceILi32ELi16ELb0ELb0ELb0ELb0E19rocblas_complex_numIdES1_PKPKS1_PKPS1_EviT7_lllT6_T8_lllPii.uses_flat_scratch, 0
	.set _ZL19rocblas_trsv_deviceILi32ELi16ELb0ELb0ELb0ELb0E19rocblas_complex_numIdES1_PKPKS1_PKPS1_EviT7_lllT6_T8_lllPii.has_dyn_sized_stack, 0
	.set _ZL19rocblas_trsv_deviceILi32ELi16ELb0ELb0ELb0ELb0E19rocblas_complex_numIdES1_PKPKS1_PKPS1_EviT7_lllT6_T8_lllPii.has_recursion, 0
	.set _ZL19rocblas_trsv_deviceILi32ELi16ELb0ELb0ELb0ELb0E19rocblas_complex_numIdES1_PKPKS1_PKPS1_EviT7_lllT6_T8_lllPii.has_indirect_call, 0
	.section	.AMDGPU.csdata,"",@progbits
; Kernel info:
; codeLenInByte = 26976
; TotalNumSgprs: 96
; NumVgprs: 40
; ScratchSize: 0
; MemoryBound: 1
; FloatMode: 240
; IeeeMode: 1
; LDSByteSize: 25104 bytes/workgroup (compile time only)
; SGPRBlocks: 12
; VGPRBlocks: 12
; NumSGPRsForWavesPerEU: 102
; NumVGPRsForWavesPerEU: 49
; Occupancy: 4
; WaveLimiterHint : 1
; COMPUTE_PGM_RSRC2:SCRATCH_EN: 0
; COMPUTE_PGM_RSRC2:USER_SGPR: 6
; COMPUTE_PGM_RSRC2:TRAP_HANDLER: 0
; COMPUTE_PGM_RSRC2:TGID_X_EN: 1
; COMPUTE_PGM_RSRC2:TGID_Y_EN: 0
; COMPUTE_PGM_RSRC2:TGID_Z_EN: 1
; COMPUTE_PGM_RSRC2:TIDIG_COMP_CNT: 1
	.section	.text._ZL19rocblas_trsv_deviceILi32ELi16ELb0ELb1ELb0ELb0E19rocblas_complex_numIdES1_PKPKS1_PKPS1_EviT7_lllT6_T8_lllPii,"axG",@progbits,_ZL19rocblas_trsv_deviceILi32ELi16ELb0ELb1ELb0ELb0E19rocblas_complex_numIdES1_PKPKS1_PKPS1_EviT7_lllT6_T8_lllPii,comdat
	.globl	_ZL19rocblas_trsv_deviceILi32ELi16ELb0ELb1ELb0ELb0E19rocblas_complex_numIdES1_PKPKS1_PKPS1_EviT7_lllT6_T8_lllPii ; -- Begin function _ZL19rocblas_trsv_deviceILi32ELi16ELb0ELb1ELb0ELb0E19rocblas_complex_numIdES1_PKPKS1_PKPS1_EviT7_lllT6_T8_lllPii
	.p2align	8
	.type	_ZL19rocblas_trsv_deviceILi32ELi16ELb0ELb1ELb0ELb0E19rocblas_complex_numIdES1_PKPKS1_PKPS1_EviT7_lllT6_T8_lllPii,@function
_ZL19rocblas_trsv_deviceILi32ELi16ELb0ELb1ELb0ELb0E19rocblas_complex_numIdES1_PKPKS1_PKPS1_EviT7_lllT6_T8_lllPii: ; @_ZL19rocblas_trsv_deviceILi32ELi16ELb0ELb1ELb0ELb0E19rocblas_complex_numIdES1_PKPKS1_PKPS1_EviT7_lllT6_T8_lllPii
; %bb.0:
	s_load_dwordx4 s[0:3], s[4:5], 0x8
	s_mov_b32 s28, s7
	s_mov_b32 s29, 0
	s_lshl_b64 s[8:9], s[28:29], 3
	v_mov_b32_e32 v2, v1
	s_waitcnt lgkmcnt(0)
	s_add_u32 s0, s0, s8
	s_addc_u32 s1, s1, s9
	s_load_dwordx2 s[10:11], s[0:1], 0x0
	s_load_dword s7, s[4:5], 0x0
	s_load_dwordx8 s[20:27], s[4:5], 0x28
	s_load_dwordx2 s[34:35], s[4:5], 0x18
	s_lshl_b64 s[0:1], s[2:3], 4
	s_waitcnt lgkmcnt(0)
	s_add_u32 s94, s10, s0
	s_addc_u32 s95, s11, s1
	s_add_u32 s0, s24, s8
	s_addc_u32 s1, s25, s9
	s_load_dwordx2 s[36:37], s[0:1], 0x0
	s_load_dwordx2 s[24:25], s[4:5], 0x48
	s_load_dword s46, s[4:5], 0x74
	s_cmp_eq_u32 s6, 0
	s_cbranch_scc1 .LBB185_6
; %bb.1:
	s_lshl_b32 s33, s6, 5
	v_add_u32_e32 v1, s33, v0
	v_ashrrev_i32_e32 v3, 31, v1
	v_mul_lo_u32 v7, s34, v3
	v_mul_lo_u32 v8, s35, v1
	v_mad_u64_u32 v[5:6], s[0:1], s34, v1, 0
	v_add_u32_e32 v3, s33, v2
	v_subrev_u32_e32 v3, 32, v3
	v_add3_u32 v6, v6, v7, v8
	v_lshlrev_b64 v[5:6], 4, v[5:6]
	v_ashrrev_i32_e32 v4, 31, v3
	v_cmp_gt_i32_e32 vcc, s7, v1
	v_mov_b32_e32 v1, s95
	v_add_co_u32_e64 v7, s[0:1], s94, v5
	v_lshlrev_b64 v[4:5], 4, v[3:4]
	v_addc_co_u32_e64 v1, s[0:1], v1, v6, s[0:1]
	v_add_co_u32_e64 v11, s[0:1], v7, v4
	v_addc_co_u32_e64 v12, s[0:1], v1, v5, s[0:1]
	v_cmp_gt_i32_e64 s[0:1], s7, v3
	v_mov_b32_e32 v5, 0
	v_mov_b32_e32 v7, 0
	;; [unrolled: 1-line block ×6, first 2 shown]
	s_and_b64 s[2:3], s[0:1], vcc
	s_waitcnt lgkmcnt(0)
	s_barrier
	s_and_saveexec_b64 s[0:1], s[2:3]
	s_cbranch_execz .LBB185_3
; %bb.2:
	flat_load_dwordx4 v[7:10], v[11:12]
.LBB185_3:
	s_or_b64 exec, exec, s[0:1]
	v_add_u32_e32 v1, 16, v3
	v_cmp_gt_i32_e64 s[0:1], s7, v1
	v_mov_b32_e32 v3, 0
	v_mov_b32_e32 v4, 0
	s_and_b64 s[2:3], s[0:1], vcc
	s_waitcnt vmcnt(0) lgkmcnt(0)
	s_barrier
	s_and_saveexec_b64 s[0:1], s[2:3]
	s_cbranch_execz .LBB185_5
; %bb.4:
	flat_load_dwordx4 v[3:6], v[11:12] offset:256
.LBB185_5:
	s_or_b64 exec, exec, s[0:1]
	s_branch .LBB185_7
.LBB185_6:
                                        ; implicit-def: $vgpr5_vgpr6
                                        ; implicit-def: $vgpr9_vgpr10
	s_mov_b32 s33, s29
.LBB185_7:
	s_ashr_i32 s0, s7, 31
	s_lshr_b32 s0, s0, 27
	s_add_i32 s0, s7, s0
	s_andn2_b32 s0, s0, 31
	s_sub_i32 s93, s7, s0
	s_add_i32 s0, s7, -1
	s_ashr_i32 s1, s0, 31
	s_lshr_b32 s1, s1, 27
	s_add_i32 s0, s0, s1
	s_ashr_i32 s0, s0, 5
	s_cmp_eq_u32 s0, s6
	s_cselect_b64 s[0:1], -1, 0
	s_cmp_lg_u32 s93, 0
	s_cselect_b64 s[2:3], -1, 0
	s_and_b64 s[30:31], s[2:3], s[0:1]
	s_cmp_lt_i32 s6, 5
	s_cselect_b64 s[2:3], -1, 0
	s_or_b64 s[0:1], s[2:3], s[30:31]
	s_ashr_i32 s92, s33, 31
	s_add_u32 s10, s34, 1
	v_mov_b32_e32 v1, 0
	v_mov_b32_e32 v11, s33
	v_mad_u64_u32 v[19:20], s[8:9], s10, v11, v[0:1]
	s_addc_u32 s11, s35, 0
	s_mul_i32 s8, s10, s92
	s_mul_i32 s11, s11, s33
	v_lshlrev_b32_e32 v21, 5, v0
	s_add_i32 s8, s8, s11
	s_mov_b64 s[12:13], -1
	v_add_u32_e32 v20, s8, v20
	s_and_b64 vcc, exec, s[30:31]
	v_add_u32_e32 v22, v2, v21
	v_cmp_le_u32_e64 s[8:9], v2, v0
	v_lshl_add_u32 v1, v2, 5, v0
	s_cbranch_vccnz .LBB185_37
; %bb.8:
	v_mad_u64_u32 v[11:12], s[10:11], s34, v2, v[19:20]
	v_cndmask_b32_e64 v23, v1, v22, s[2:3]
	v_mad_u64_u32 v[12:13], s[10:11], s35, v2, v[12:13]
	s_and_saveexec_b64 s[2:3], s[8:9]
	s_xor_b64 s[2:3], exec, s[2:3]
	s_cbranch_execz .LBB185_20
; %bb.9:
	v_cmp_ne_u32_e32 vcc, v0, v2
	s_and_saveexec_b64 s[8:9], vcc
	s_xor_b64 s[8:9], exec, s[8:9]
	s_cbranch_execz .LBB185_13
; %bb.10:
	v_or_b32_e32 v11, v2, v0
	v_cmp_gt_u32_e32 vcc, 32, v11
	s_and_saveexec_b64 s[10:11], vcc
	s_cbranch_execz .LBB185_12
; %bb.11:
	v_mov_b32_e32 v11, 0
	v_lshlrev_b32_e32 v15, 4, v23
	v_mov_b32_e32 v12, v11
	v_mov_b32_e32 v13, v11
	;; [unrolled: 1-line block ×3, first 2 shown]
	ds_write_b128 v15, v[11:14]
.LBB185_12:
	s_or_b64 exec, exec, s[10:11]
                                        ; implicit-def: $vgpr23
                                        ; implicit-def: $vgpr11_vgpr12
.LBB185_13:
	s_andn2_saveexec_b64 s[8:9], s[8:9]
	s_cbranch_execz .LBB185_19
; %bb.14:
	v_lshlrev_b64 v[11:12], 4, v[11:12]
	v_mov_b32_e32 v13, s95
	v_add_co_u32_e32 v11, vcc, s94, v11
	v_addc_co_u32_e32 v12, vcc, v13, v12, vcc
	flat_load_dwordx4 v[11:14], v[11:12]
                                        ; implicit-def: $vgpr15_vgpr16
	s_waitcnt vmcnt(0) lgkmcnt(0)
	v_cmp_ngt_f64_e64 s[10:11], |v[11:12]|, |v[13:14]|
	s_and_saveexec_b64 s[12:13], s[10:11]
	s_xor_b64 s[10:11], exec, s[12:13]
	s_cbranch_execz .LBB185_16
; %bb.15:
	v_div_scale_f64 v[15:16], s[12:13], v[13:14], v[13:14], v[11:12]
	v_rcp_f64_e32 v[17:18], v[15:16]
	v_fma_f64 v[24:25], -v[15:16], v[17:18], 1.0
	v_fma_f64 v[17:18], v[17:18], v[24:25], v[17:18]
	v_div_scale_f64 v[24:25], vcc, v[11:12], v[13:14], v[11:12]
	v_fma_f64 v[26:27], -v[15:16], v[17:18], 1.0
	v_fma_f64 v[17:18], v[17:18], v[26:27], v[17:18]
	v_mul_f64 v[26:27], v[24:25], v[17:18]
	v_fma_f64 v[15:16], -v[15:16], v[26:27], v[24:25]
	v_div_fmas_f64 v[15:16], v[15:16], v[17:18], v[26:27]
	v_div_fixup_f64 v[15:16], v[15:16], v[13:14], v[11:12]
	v_fma_f64 v[11:12], v[11:12], v[15:16], v[13:14]
	v_div_scale_f64 v[13:14], s[12:13], v[11:12], v[11:12], 1.0
	v_div_scale_f64 v[26:27], vcc, 1.0, v[11:12], 1.0
	v_rcp_f64_e32 v[17:18], v[13:14]
	v_fma_f64 v[24:25], -v[13:14], v[17:18], 1.0
	v_fma_f64 v[17:18], v[17:18], v[24:25], v[17:18]
	v_fma_f64 v[24:25], -v[13:14], v[17:18], 1.0
	v_fma_f64 v[17:18], v[17:18], v[24:25], v[17:18]
	v_mul_f64 v[24:25], v[26:27], v[17:18]
	v_fma_f64 v[13:14], -v[13:14], v[24:25], v[26:27]
	v_div_fmas_f64 v[13:14], v[13:14], v[17:18], v[24:25]
	v_div_fixup_f64 v[17:18], v[13:14], v[11:12], 1.0
                                        ; implicit-def: $vgpr11_vgpr12
	v_mul_f64 v[15:16], v[15:16], v[17:18]
	v_xor_b32_e32 v18, 0x80000000, v18
.LBB185_16:
	s_andn2_saveexec_b64 s[10:11], s[10:11]
	s_cbranch_execz .LBB185_18
; %bb.17:
	v_div_scale_f64 v[15:16], s[12:13], v[11:12], v[11:12], v[13:14]
	v_rcp_f64_e32 v[17:18], v[15:16]
	v_fma_f64 v[24:25], -v[15:16], v[17:18], 1.0
	v_fma_f64 v[17:18], v[17:18], v[24:25], v[17:18]
	v_div_scale_f64 v[24:25], vcc, v[13:14], v[11:12], v[13:14]
	v_fma_f64 v[26:27], -v[15:16], v[17:18], 1.0
	v_fma_f64 v[17:18], v[17:18], v[26:27], v[17:18]
	v_mul_f64 v[26:27], v[24:25], v[17:18]
	v_fma_f64 v[15:16], -v[15:16], v[26:27], v[24:25]
	v_div_fmas_f64 v[15:16], v[15:16], v[17:18], v[26:27]
	v_div_fixup_f64 v[17:18], v[15:16], v[11:12], v[13:14]
	v_fma_f64 v[11:12], v[13:14], v[17:18], v[11:12]
	v_div_scale_f64 v[13:14], s[12:13], v[11:12], v[11:12], 1.0
	v_div_scale_f64 v[26:27], vcc, 1.0, v[11:12], 1.0
	v_rcp_f64_e32 v[15:16], v[13:14]
	v_fma_f64 v[24:25], -v[13:14], v[15:16], 1.0
	v_fma_f64 v[15:16], v[15:16], v[24:25], v[15:16]
	v_fma_f64 v[24:25], -v[13:14], v[15:16], 1.0
	v_fma_f64 v[15:16], v[15:16], v[24:25], v[15:16]
	v_mul_f64 v[24:25], v[26:27], v[15:16]
	v_fma_f64 v[13:14], -v[13:14], v[24:25], v[26:27]
	v_div_fmas_f64 v[13:14], v[13:14], v[15:16], v[24:25]
	v_div_fixup_f64 v[15:16], v[13:14], v[11:12], 1.0
	v_mul_f64 v[17:18], v[17:18], -v[15:16]
.LBB185_18:
	s_or_b64 exec, exec, s[10:11]
	v_lshlrev_b32_e32 v11, 4, v23
	ds_write_b128 v11, v[15:18]
.LBB185_19:
	s_or_b64 exec, exec, s[8:9]
                                        ; implicit-def: $vgpr11_vgpr12
                                        ; implicit-def: $vgpr23
.LBB185_20:
	s_andn2_saveexec_b64 s[2:3], s[2:3]
	s_cbranch_execz .LBB185_22
; %bb.21:
	v_lshlrev_b64 v[11:12], 4, v[11:12]
	v_mov_b32_e32 v13, s95
	v_add_co_u32_e32 v11, vcc, s94, v11
	v_addc_co_u32_e32 v12, vcc, v13, v12, vcc
	flat_load_dwordx4 v[11:14], v[11:12]
	v_lshlrev_b32_e32 v15, 4, v23
	s_waitcnt vmcnt(0) lgkmcnt(0)
	v_xor_b32_e32 v12, 0x80000000, v12
	v_xor_b32_e32 v14, 0x80000000, v14
	ds_write_b128 v15, v[11:14]
.LBB185_22:
	s_or_b64 exec, exec, s[2:3]
	v_add_u32_e32 v13, 16, v2
	v_mad_u64_u32 v[11:12], s[2:3], s34, v13, v[19:20]
	v_cmp_le_u32_e32 vcc, v13, v0
	v_mad_u64_u32 v[14:15], s[2:3], s35, v13, v[12:13]
	v_add_u32_e32 v12, v13, v21
	v_lshl_add_u32 v15, v13, 5, v0
	v_cndmask_b32_e64 v23, v15, v12, s[0:1]
	v_mov_b32_e32 v12, v14
	s_and_saveexec_b64 s[2:3], vcc
	s_xor_b64 s[2:3], exec, s[2:3]
	s_cbranch_execz .LBB185_34
; %bb.23:
	v_cmp_ne_u32_e32 vcc, v0, v13
	s_and_saveexec_b64 s[8:9], vcc
	s_xor_b64 s[8:9], exec, s[8:9]
	s_cbranch_execz .LBB185_27
; %bb.24:
	v_or_b32_e32 v11, v13, v0
	v_cmp_gt_u32_e32 vcc, 32, v11
	s_and_saveexec_b64 s[10:11], vcc
	s_cbranch_execz .LBB185_26
; %bb.25:
	v_mov_b32_e32 v11, 0
	v_lshlrev_b32_e32 v15, 4, v23
	v_mov_b32_e32 v12, v11
	v_mov_b32_e32 v13, v11
	;; [unrolled: 1-line block ×3, first 2 shown]
	ds_write_b128 v15, v[11:14]
.LBB185_26:
	s_or_b64 exec, exec, s[10:11]
                                        ; implicit-def: $vgpr23
                                        ; implicit-def: $vgpr11_vgpr12
.LBB185_27:
	s_andn2_saveexec_b64 s[8:9], s[8:9]
	s_cbranch_execz .LBB185_33
; %bb.28:
	v_lshlrev_b64 v[11:12], 4, v[11:12]
	v_mov_b32_e32 v13, s95
	v_add_co_u32_e32 v11, vcc, s94, v11
	v_addc_co_u32_e32 v12, vcc, v13, v12, vcc
	flat_load_dwordx4 v[11:14], v[11:12]
                                        ; implicit-def: $vgpr15_vgpr16
	s_waitcnt vmcnt(0) lgkmcnt(0)
	v_cmp_ngt_f64_e64 s[10:11], |v[11:12]|, |v[13:14]|
	s_and_saveexec_b64 s[12:13], s[10:11]
	s_xor_b64 s[10:11], exec, s[12:13]
	s_cbranch_execz .LBB185_30
; %bb.29:
	v_div_scale_f64 v[15:16], s[12:13], v[13:14], v[13:14], v[11:12]
	v_rcp_f64_e32 v[17:18], v[15:16]
	v_fma_f64 v[24:25], -v[15:16], v[17:18], 1.0
	v_fma_f64 v[17:18], v[17:18], v[24:25], v[17:18]
	v_div_scale_f64 v[24:25], vcc, v[11:12], v[13:14], v[11:12]
	v_fma_f64 v[26:27], -v[15:16], v[17:18], 1.0
	v_fma_f64 v[17:18], v[17:18], v[26:27], v[17:18]
	v_mul_f64 v[26:27], v[24:25], v[17:18]
	v_fma_f64 v[15:16], -v[15:16], v[26:27], v[24:25]
	v_div_fmas_f64 v[15:16], v[15:16], v[17:18], v[26:27]
	v_div_fixup_f64 v[15:16], v[15:16], v[13:14], v[11:12]
	v_fma_f64 v[11:12], v[11:12], v[15:16], v[13:14]
	v_div_scale_f64 v[13:14], s[12:13], v[11:12], v[11:12], 1.0
	v_div_scale_f64 v[26:27], vcc, 1.0, v[11:12], 1.0
	v_rcp_f64_e32 v[17:18], v[13:14]
	v_fma_f64 v[24:25], -v[13:14], v[17:18], 1.0
	v_fma_f64 v[17:18], v[17:18], v[24:25], v[17:18]
	v_fma_f64 v[24:25], -v[13:14], v[17:18], 1.0
	v_fma_f64 v[17:18], v[17:18], v[24:25], v[17:18]
	v_mul_f64 v[24:25], v[26:27], v[17:18]
	v_fma_f64 v[13:14], -v[13:14], v[24:25], v[26:27]
	v_div_fmas_f64 v[13:14], v[13:14], v[17:18], v[24:25]
	v_div_fixup_f64 v[17:18], v[13:14], v[11:12], 1.0
                                        ; implicit-def: $vgpr11_vgpr12
	v_mul_f64 v[15:16], v[15:16], v[17:18]
	v_xor_b32_e32 v18, 0x80000000, v18
.LBB185_30:
	s_andn2_saveexec_b64 s[10:11], s[10:11]
	s_cbranch_execz .LBB185_32
; %bb.31:
	v_div_scale_f64 v[15:16], s[12:13], v[11:12], v[11:12], v[13:14]
	v_rcp_f64_e32 v[17:18], v[15:16]
	v_fma_f64 v[24:25], -v[15:16], v[17:18], 1.0
	v_fma_f64 v[17:18], v[17:18], v[24:25], v[17:18]
	v_div_scale_f64 v[24:25], vcc, v[13:14], v[11:12], v[13:14]
	v_fma_f64 v[26:27], -v[15:16], v[17:18], 1.0
	v_fma_f64 v[17:18], v[17:18], v[26:27], v[17:18]
	v_mul_f64 v[26:27], v[24:25], v[17:18]
	v_fma_f64 v[15:16], -v[15:16], v[26:27], v[24:25]
	v_div_fmas_f64 v[15:16], v[15:16], v[17:18], v[26:27]
	v_div_fixup_f64 v[17:18], v[15:16], v[11:12], v[13:14]
	v_fma_f64 v[11:12], v[13:14], v[17:18], v[11:12]
	v_div_scale_f64 v[13:14], s[12:13], v[11:12], v[11:12], 1.0
	v_div_scale_f64 v[26:27], vcc, 1.0, v[11:12], 1.0
	v_rcp_f64_e32 v[15:16], v[13:14]
	v_fma_f64 v[24:25], -v[13:14], v[15:16], 1.0
	v_fma_f64 v[15:16], v[15:16], v[24:25], v[15:16]
	v_fma_f64 v[24:25], -v[13:14], v[15:16], 1.0
	v_fma_f64 v[15:16], v[15:16], v[24:25], v[15:16]
	v_mul_f64 v[24:25], v[26:27], v[15:16]
	v_fma_f64 v[13:14], -v[13:14], v[24:25], v[26:27]
	v_div_fmas_f64 v[13:14], v[13:14], v[15:16], v[24:25]
	v_div_fixup_f64 v[15:16], v[13:14], v[11:12], 1.0
	v_mul_f64 v[17:18], v[17:18], -v[15:16]
.LBB185_32:
	s_or_b64 exec, exec, s[10:11]
	v_lshlrev_b32_e32 v11, 4, v23
	ds_write_b128 v11, v[15:18]
.LBB185_33:
	s_or_b64 exec, exec, s[8:9]
                                        ; implicit-def: $vgpr11_vgpr12
                                        ; implicit-def: $vgpr23
.LBB185_34:
	s_andn2_saveexec_b64 s[2:3], s[2:3]
	s_cbranch_execz .LBB185_36
; %bb.35:
	v_lshlrev_b64 v[11:12], 4, v[11:12]
	v_mov_b32_e32 v13, s95
	v_add_co_u32_e32 v11, vcc, s94, v11
	v_addc_co_u32_e32 v12, vcc, v13, v12, vcc
	flat_load_dwordx4 v[11:14], v[11:12]
	v_lshlrev_b32_e32 v15, 4, v23
	s_waitcnt vmcnt(0) lgkmcnt(0)
	v_xor_b32_e32 v12, 0x80000000, v12
	v_xor_b32_e32 v14, 0x80000000, v14
	ds_write_b128 v15, v[11:14]
.LBB185_36:
	s_or_b64 exec, exec, s[2:3]
	s_mov_b64 s[12:13], 0
.LBB185_37:
	s_xor_b64 s[10:11], s[0:1], -1
	s_and_b64 vcc, exec, s[12:13]
	s_cbranch_vccz .LBB185_67
; %bb.38:
	v_mad_u64_u32 v[11:12], s[2:3], s34, v2, v[19:20]
	v_cmp_le_u32_e32 vcc, v2, v0
	v_cmp_gt_i32_e64 s[2:3], s93, v0
	v_mad_u64_u32 v[12:13], s[8:9], s35, v2, v[12:13]
	v_max_i32_e32 v13, v2, v0
	v_cmp_le_i32_e64 s[8:9], s93, v13
	s_or_b64 s[8:9], s[8:9], vcc
	s_and_saveexec_b64 s[12:13], s[8:9]
	s_xor_b64 s[8:9], exec, s[12:13]
	s_cbranch_execz .LBB185_50
; %bb.39:
	v_cmp_ne_u32_e32 vcc, v0, v2
	s_xor_b64 s[12:13], s[2:3], -1
	s_or_b64 s[12:13], s[12:13], vcc
	s_and_saveexec_b64 s[14:15], s[12:13]
	s_xor_b64 s[12:13], exec, s[14:15]
	s_cbranch_execz .LBB185_43
; %bb.40:
	v_or_b32_e32 v11, v2, v0
	v_cmp_gt_u32_e32 vcc, 32, v11
	s_and_saveexec_b64 s[14:15], vcc
	s_cbranch_execz .LBB185_42
; %bb.41:
	v_mov_b32_e32 v11, 0
	v_lshlrev_b32_e32 v15, 4, v22
	v_mov_b32_e32 v12, v11
	v_mov_b32_e32 v13, v11
	v_mov_b32_e32 v14, v11
	ds_write_b128 v15, v[11:14]
.LBB185_42:
	s_or_b64 exec, exec, s[14:15]
                                        ; implicit-def: $vgpr22
                                        ; implicit-def: $vgpr11_vgpr12
.LBB185_43:
	s_andn2_saveexec_b64 s[12:13], s[12:13]
	s_cbranch_execz .LBB185_49
; %bb.44:
	v_lshlrev_b64 v[11:12], 4, v[11:12]
	v_mov_b32_e32 v13, s95
	v_add_co_u32_e32 v11, vcc, s94, v11
	v_addc_co_u32_e32 v12, vcc, v13, v12, vcc
	flat_load_dwordx4 v[11:14], v[11:12]
                                        ; implicit-def: $vgpr15_vgpr16
	s_waitcnt vmcnt(0) lgkmcnt(0)
	v_cmp_ngt_f64_e64 s[14:15], |v[11:12]|, |v[13:14]|
	s_and_saveexec_b64 s[16:17], s[14:15]
	s_xor_b64 s[14:15], exec, s[16:17]
	s_cbranch_execz .LBB185_46
; %bb.45:
	v_div_scale_f64 v[15:16], s[16:17], v[13:14], v[13:14], v[11:12]
	v_rcp_f64_e32 v[17:18], v[15:16]
	v_fma_f64 v[23:24], -v[15:16], v[17:18], 1.0
	v_fma_f64 v[17:18], v[17:18], v[23:24], v[17:18]
	v_div_scale_f64 v[23:24], vcc, v[11:12], v[13:14], v[11:12]
	v_fma_f64 v[25:26], -v[15:16], v[17:18], 1.0
	v_fma_f64 v[17:18], v[17:18], v[25:26], v[17:18]
	v_mul_f64 v[25:26], v[23:24], v[17:18]
	v_fma_f64 v[15:16], -v[15:16], v[25:26], v[23:24]
	v_div_fmas_f64 v[15:16], v[15:16], v[17:18], v[25:26]
	v_div_fixup_f64 v[15:16], v[15:16], v[13:14], v[11:12]
	v_fma_f64 v[11:12], v[11:12], v[15:16], v[13:14]
	v_div_scale_f64 v[13:14], s[16:17], v[11:12], v[11:12], 1.0
	v_div_scale_f64 v[25:26], vcc, 1.0, v[11:12], 1.0
	v_rcp_f64_e32 v[17:18], v[13:14]
	v_fma_f64 v[23:24], -v[13:14], v[17:18], 1.0
	v_fma_f64 v[17:18], v[17:18], v[23:24], v[17:18]
	v_fma_f64 v[23:24], -v[13:14], v[17:18], 1.0
	v_fma_f64 v[17:18], v[17:18], v[23:24], v[17:18]
	v_mul_f64 v[23:24], v[25:26], v[17:18]
	v_fma_f64 v[13:14], -v[13:14], v[23:24], v[25:26]
	v_div_fmas_f64 v[13:14], v[13:14], v[17:18], v[23:24]
	v_div_fixup_f64 v[17:18], v[13:14], v[11:12], 1.0
                                        ; implicit-def: $vgpr11_vgpr12
	v_mul_f64 v[15:16], v[15:16], v[17:18]
	v_xor_b32_e32 v18, 0x80000000, v18
.LBB185_46:
	s_andn2_saveexec_b64 s[14:15], s[14:15]
	s_cbranch_execz .LBB185_48
; %bb.47:
	v_div_scale_f64 v[15:16], s[16:17], v[11:12], v[11:12], v[13:14]
	v_rcp_f64_e32 v[17:18], v[15:16]
	v_fma_f64 v[23:24], -v[15:16], v[17:18], 1.0
	v_fma_f64 v[17:18], v[17:18], v[23:24], v[17:18]
	v_div_scale_f64 v[23:24], vcc, v[13:14], v[11:12], v[13:14]
	v_fma_f64 v[25:26], -v[15:16], v[17:18], 1.0
	v_fma_f64 v[17:18], v[17:18], v[25:26], v[17:18]
	v_mul_f64 v[25:26], v[23:24], v[17:18]
	v_fma_f64 v[15:16], -v[15:16], v[25:26], v[23:24]
	v_div_fmas_f64 v[15:16], v[15:16], v[17:18], v[25:26]
	v_div_fixup_f64 v[17:18], v[15:16], v[11:12], v[13:14]
	v_fma_f64 v[11:12], v[13:14], v[17:18], v[11:12]
	v_div_scale_f64 v[13:14], s[16:17], v[11:12], v[11:12], 1.0
	v_div_scale_f64 v[25:26], vcc, 1.0, v[11:12], 1.0
	v_rcp_f64_e32 v[15:16], v[13:14]
	v_fma_f64 v[23:24], -v[13:14], v[15:16], 1.0
	v_fma_f64 v[15:16], v[15:16], v[23:24], v[15:16]
	v_fma_f64 v[23:24], -v[13:14], v[15:16], 1.0
	v_fma_f64 v[15:16], v[15:16], v[23:24], v[15:16]
	v_mul_f64 v[23:24], v[25:26], v[15:16]
	v_fma_f64 v[13:14], -v[13:14], v[23:24], v[25:26]
	v_div_fmas_f64 v[13:14], v[13:14], v[15:16], v[23:24]
	v_div_fixup_f64 v[15:16], v[13:14], v[11:12], 1.0
	v_mul_f64 v[17:18], v[17:18], -v[15:16]
.LBB185_48:
	s_or_b64 exec, exec, s[14:15]
	v_lshlrev_b32_e32 v11, 4, v22
	ds_write_b128 v11, v[15:18]
.LBB185_49:
	s_or_b64 exec, exec, s[12:13]
                                        ; implicit-def: $vgpr11_vgpr12
                                        ; implicit-def: $vgpr22
.LBB185_50:
	s_andn2_saveexec_b64 s[8:9], s[8:9]
	s_cbranch_execz .LBB185_52
; %bb.51:
	v_lshlrev_b64 v[11:12], 4, v[11:12]
	v_mov_b32_e32 v13, s95
	v_add_co_u32_e32 v11, vcc, s94, v11
	v_addc_co_u32_e32 v12, vcc, v13, v12, vcc
	flat_load_dwordx4 v[11:14], v[11:12]
	v_lshlrev_b32_e32 v15, 4, v22
	s_waitcnt vmcnt(0) lgkmcnt(0)
	v_xor_b32_e32 v12, 0x80000000, v12
	v_xor_b32_e32 v14, 0x80000000, v14
	ds_write_b128 v15, v[11:14]
.LBB185_52:
	s_or_b64 exec, exec, s[8:9]
	v_add_u32_e32 v13, 16, v2
	v_mad_u64_u32 v[11:12], s[8:9], s34, v13, v[19:20]
	v_add_u32_e32 v16, v13, v21
	v_cmp_gt_u32_e32 vcc, v13, v0
	v_mad_u64_u32 v[14:15], s[8:9], s35, v13, v[12:13]
	v_lshl_add_u32 v12, v13, 5, v0
	v_cndmask_b32_e64 v19, v12, v16, s[0:1]
	v_cmp_gt_i32_e64 s[0:1], s93, v13
	s_and_b64 s[0:1], vcc, s[0:1]
	s_and_b64 s[0:1], s[2:3], s[0:1]
	v_mov_b32_e32 v12, v14
	s_xor_b64 s[0:1], s[0:1], -1
	s_and_saveexec_b64 s[8:9], s[0:1]
	s_xor_b64 s[0:1], exec, s[8:9]
	s_cbranch_execz .LBB185_64
; %bb.53:
	v_cmp_ne_u32_e32 vcc, v0, v13
	s_xor_b64 s[2:3], s[2:3], -1
	s_or_b64 s[2:3], s[2:3], vcc
	s_and_saveexec_b64 s[8:9], s[2:3]
	s_xor_b64 s[2:3], exec, s[8:9]
	s_cbranch_execz .LBB185_57
; %bb.54:
	v_or_b32_e32 v11, v13, v0
	v_cmp_gt_u32_e32 vcc, 32, v11
	s_and_saveexec_b64 s[8:9], vcc
	s_cbranch_execz .LBB185_56
; %bb.55:
	v_mov_b32_e32 v11, 0
	v_lshlrev_b32_e32 v15, 4, v19
	v_mov_b32_e32 v12, v11
	v_mov_b32_e32 v13, v11
	;; [unrolled: 1-line block ×3, first 2 shown]
	ds_write_b128 v15, v[11:14]
.LBB185_56:
	s_or_b64 exec, exec, s[8:9]
                                        ; implicit-def: $vgpr19
                                        ; implicit-def: $vgpr11_vgpr12
.LBB185_57:
	s_andn2_saveexec_b64 s[2:3], s[2:3]
	s_cbranch_execz .LBB185_63
; %bb.58:
	v_lshlrev_b64 v[11:12], 4, v[11:12]
	v_mov_b32_e32 v13, s95
	v_add_co_u32_e32 v11, vcc, s94, v11
	v_addc_co_u32_e32 v12, vcc, v13, v12, vcc
	flat_load_dwordx4 v[11:14], v[11:12]
                                        ; implicit-def: $vgpr15_vgpr16
	s_waitcnt vmcnt(0) lgkmcnt(0)
	v_cmp_ngt_f64_e64 s[8:9], |v[11:12]|, |v[13:14]|
	s_and_saveexec_b64 s[12:13], s[8:9]
	s_xor_b64 s[8:9], exec, s[12:13]
	s_cbranch_execz .LBB185_60
; %bb.59:
	v_div_scale_f64 v[15:16], s[12:13], v[13:14], v[13:14], v[11:12]
	v_rcp_f64_e32 v[17:18], v[15:16]
	v_fma_f64 v[20:21], -v[15:16], v[17:18], 1.0
	v_fma_f64 v[17:18], v[17:18], v[20:21], v[17:18]
	v_div_scale_f64 v[20:21], vcc, v[11:12], v[13:14], v[11:12]
	v_fma_f64 v[22:23], -v[15:16], v[17:18], 1.0
	v_fma_f64 v[17:18], v[17:18], v[22:23], v[17:18]
	v_mul_f64 v[22:23], v[20:21], v[17:18]
	v_fma_f64 v[15:16], -v[15:16], v[22:23], v[20:21]
	v_div_fmas_f64 v[15:16], v[15:16], v[17:18], v[22:23]
	v_div_fixup_f64 v[15:16], v[15:16], v[13:14], v[11:12]
	v_fma_f64 v[11:12], v[11:12], v[15:16], v[13:14]
	v_div_scale_f64 v[13:14], s[12:13], v[11:12], v[11:12], 1.0
	v_div_scale_f64 v[22:23], vcc, 1.0, v[11:12], 1.0
	v_rcp_f64_e32 v[17:18], v[13:14]
	v_fma_f64 v[20:21], -v[13:14], v[17:18], 1.0
	v_fma_f64 v[17:18], v[17:18], v[20:21], v[17:18]
	v_fma_f64 v[20:21], -v[13:14], v[17:18], 1.0
	v_fma_f64 v[17:18], v[17:18], v[20:21], v[17:18]
	v_mul_f64 v[20:21], v[22:23], v[17:18]
	v_fma_f64 v[13:14], -v[13:14], v[20:21], v[22:23]
	v_div_fmas_f64 v[13:14], v[13:14], v[17:18], v[20:21]
	v_div_fixup_f64 v[17:18], v[13:14], v[11:12], 1.0
                                        ; implicit-def: $vgpr11_vgpr12
	v_mul_f64 v[15:16], v[15:16], v[17:18]
	v_xor_b32_e32 v18, 0x80000000, v18
.LBB185_60:
	s_andn2_saveexec_b64 s[8:9], s[8:9]
	s_cbranch_execz .LBB185_62
; %bb.61:
	v_div_scale_f64 v[15:16], s[12:13], v[11:12], v[11:12], v[13:14]
	v_rcp_f64_e32 v[17:18], v[15:16]
	v_fma_f64 v[20:21], -v[15:16], v[17:18], 1.0
	v_fma_f64 v[17:18], v[17:18], v[20:21], v[17:18]
	v_div_scale_f64 v[20:21], vcc, v[13:14], v[11:12], v[13:14]
	v_fma_f64 v[22:23], -v[15:16], v[17:18], 1.0
	v_fma_f64 v[17:18], v[17:18], v[22:23], v[17:18]
	v_mul_f64 v[22:23], v[20:21], v[17:18]
	v_fma_f64 v[15:16], -v[15:16], v[22:23], v[20:21]
	v_div_fmas_f64 v[15:16], v[15:16], v[17:18], v[22:23]
	v_div_fixup_f64 v[17:18], v[15:16], v[11:12], v[13:14]
	v_fma_f64 v[11:12], v[13:14], v[17:18], v[11:12]
	v_div_scale_f64 v[13:14], s[12:13], v[11:12], v[11:12], 1.0
	v_div_scale_f64 v[22:23], vcc, 1.0, v[11:12], 1.0
	v_rcp_f64_e32 v[15:16], v[13:14]
	v_fma_f64 v[20:21], -v[13:14], v[15:16], 1.0
	v_fma_f64 v[15:16], v[15:16], v[20:21], v[15:16]
	v_fma_f64 v[20:21], -v[13:14], v[15:16], 1.0
	v_fma_f64 v[15:16], v[15:16], v[20:21], v[15:16]
	v_mul_f64 v[20:21], v[22:23], v[15:16]
	v_fma_f64 v[13:14], -v[13:14], v[20:21], v[22:23]
	v_div_fmas_f64 v[13:14], v[13:14], v[15:16], v[20:21]
	v_div_fixup_f64 v[15:16], v[13:14], v[11:12], 1.0
	v_mul_f64 v[17:18], v[17:18], -v[15:16]
.LBB185_62:
	s_or_b64 exec, exec, s[8:9]
	v_lshlrev_b32_e32 v11, 4, v19
	ds_write_b128 v11, v[15:18]
.LBB185_63:
	s_or_b64 exec, exec, s[2:3]
                                        ; implicit-def: $vgpr11_vgpr12
                                        ; implicit-def: $vgpr19
.LBB185_64:
	s_andn2_saveexec_b64 s[0:1], s[0:1]
	s_cbranch_execz .LBB185_66
; %bb.65:
	v_lshlrev_b64 v[11:12], 4, v[11:12]
	v_mov_b32_e32 v13, s95
	v_add_co_u32_e32 v11, vcc, s94, v11
	v_addc_co_u32_e32 v12, vcc, v13, v12, vcc
	flat_load_dwordx4 v[11:14], v[11:12]
	v_lshlrev_b32_e32 v15, 4, v19
	s_waitcnt vmcnt(0) lgkmcnt(0)
	v_xor_b32_e32 v12, 0x80000000, v12
	v_xor_b32_e32 v14, 0x80000000, v14
	ds_write_b128 v15, v[11:14]
.LBB185_66:
	s_or_b64 exec, exec, s[0:1]
.LBB185_67:
	v_cndmask_b32_e64 v11, 0, 1, s[10:11]
	v_cmp_ne_u32_e64 s[0:1], 1, v11
	s_andn2_b64 vcc, exec, s[10:11]
	s_waitcnt vmcnt(0) lgkmcnt(0)
	s_barrier
	s_cbranch_vccnz .LBB185_491
; %bb.68:
	v_or_b32_e32 v11, v0, v2
	v_cmp_eq_u32_e32 vcc, 0, v11
	s_and_saveexec_b64 s[2:3], vcc
	s_cbranch_execz .LBB185_70
; %bb.69:
	v_mov_b32_e32 v25, 0
	ds_read_b128 v[11:14], v25 offset:16368
	ds_read_b128 v[15:18], v25 offset:15840
	;; [unrolled: 1-line block ×3, first 2 shown]
	s_waitcnt lgkmcnt(1)
	v_mul_f64 v[23:24], v[11:12], v[17:18]
	v_mul_f64 v[17:18], v[13:14], v[17:18]
	v_fma_f64 v[13:14], v[13:14], v[15:16], v[23:24]
	v_fma_f64 v[11:12], v[11:12], v[15:16], -v[17:18]
	s_waitcnt lgkmcnt(0)
	v_mul_f64 v[15:16], v[13:14], v[21:22]
	v_mul_f64 v[17:18], v[11:12], v[21:22]
	v_fma_f64 v[11:12], v[19:20], v[11:12], -v[15:16]
	v_fma_f64 v[13:14], v[19:20], v[13:14], v[17:18]
	ds_write_b128 v25, v[11:14] offset:16352
	ds_write_b128 v25, v[11:14] offset:15856
.LBB185_70:
	s_or_b64 exec, exec, s[2:3]
	v_lshlrev_b32_e32 v11, 5, v2
	v_add_u32_e32 v18, v11, v0
	v_add_u16_e32 v11, v11, v0
	v_lshrrev_b16_e32 v17, 1, v11
	v_mov_b32_e32 v11, 0
	v_mov_b32_e32 v13, 0
	v_and_b32_e32 v15, 1, v0
	v_sub_u32_e32 v16, 1, v17
	v_cmp_lt_u32_e64 s[8:9], 3, v18
	v_mov_b32_e32 v12, 0
	v_mov_b32_e32 v14, 0
	v_cmp_gt_u32_e64 s[2:3], 4, v18
	s_waitcnt lgkmcnt(0)
	s_barrier
	buffer_wbinvl1_vol
	s_and_saveexec_b64 s[12:13], s[2:3]
	s_cbranch_execz .LBB185_74
; %bb.71:
	v_lshlrev_b32_e32 v19, 4, v15
	v_lshlrev_b32_e32 v11, 9, v16
	ds_read_b128 v[11:14], v11 offset:15840
	ds_read_b128 v[19:22], v19 offset:15808
	v_cmp_gt_u32_e64 s[10:11], 2, v18
	s_waitcnt lgkmcnt(0)
	v_mul_f64 v[23:24], v[13:14], v[21:22]
	v_mul_f64 v[21:22], v[11:12], v[21:22]
	v_fma_f64 v[11:12], v[11:12], v[19:20], -v[23:24]
	v_fma_f64 v[13:14], v[13:14], v[19:20], v[21:22]
	v_add_f64 v[11:12], v[11:12], 0
	v_add_f64 v[13:14], v[13:14], 0
	s_and_saveexec_b64 s[14:15], s[10:11]
	s_cbranch_execz .LBB185_73
; %bb.72:
	v_lshlrev_b32_e32 v23, 4, v0
	v_mov_b32_e32 v19, 0
	ds_read_b128 v[19:22], v19 offset:16368
	ds_read_b128 v[23:26], v23 offset:16320
	s_waitcnt lgkmcnt(0)
	v_mul_f64 v[27:28], v[21:22], v[25:26]
	v_mul_f64 v[25:26], v[19:20], v[25:26]
	v_fma_f64 v[19:20], v[19:20], v[23:24], -v[27:28]
	v_fma_f64 v[21:22], v[21:22], v[23:24], v[25:26]
	v_add_f64 v[11:12], v[11:12], v[19:20]
	v_add_f64 v[13:14], v[13:14], v[21:22]
.LBB185_73:
	s_or_b64 exec, exec, s[14:15]
.LBB185_74:
	s_or_b64 exec, exec, s[12:13]
	v_mov_b32_e32 v19, 0x4000
	v_cmp_ne_u32_e64 s[10:11], 0, v15
	s_xor_b64 s[12:13], s[8:9], -1
	v_lshl_add_u32 v17, v17, 4, v19
	s_and_b64 s[40:41], s[10:11], s[12:13]
	s_and_saveexec_b64 s[8:9], s[40:41]
	s_cbranch_execz .LBB185_76
; %bb.75:
	v_mov_b32_e32 v19, 0
	ds_read_b128 v[19:22], v19 offset:15312
	s_waitcnt lgkmcnt(0)
	v_mul_f64 v[23:24], v[13:14], v[21:22]
	v_mul_f64 v[21:22], v[11:12], v[21:22]
	v_fma_f64 v[11:12], v[11:12], v[19:20], -v[23:24]
	v_fma_f64 v[13:14], v[13:14], v[19:20], v[21:22]
	v_xor_b32_e32 v20, 0x80000000, v12
	v_xor_b32_e32 v22, 0x80000000, v14
	v_mov_b32_e32 v19, v11
	v_mov_b32_e32 v21, v13
	ds_write_b128 v17, v[19:22]
.LBB185_76:
	s_or_b64 exec, exec, s[8:9]
	v_cmp_eq_u32_e64 s[8:9], 0, v15
	s_and_b64 s[38:39], s[8:9], s[12:13]
	s_waitcnt lgkmcnt(0)
	s_barrier
	s_and_saveexec_b64 s[8:9], s[38:39]
	s_cbranch_execz .LBB185_78
; %bb.77:
	v_mov_b32_e32 v23, 0
	ds_read_b128 v[19:22], v17
	ds_read_b128 v[23:26], v23 offset:15296
	s_waitcnt lgkmcnt(0)
	v_mul_f64 v[27:28], v[21:22], v[25:26]
	v_mul_f64 v[25:26], v[19:20], v[25:26]
	v_fma_f64 v[19:20], v[19:20], v[23:24], -v[27:28]
	v_fma_f64 v[21:22], v[21:22], v[23:24], v[25:26]
	v_add_f64 v[11:12], v[11:12], -v[19:20]
	v_add_f64 v[13:14], v[13:14], -v[21:22]
.LBB185_78:
	s_or_b64 exec, exec, s[8:9]
	s_barrier
	s_and_saveexec_b64 s[8:9], s[38:39]
	s_cbranch_execz .LBB185_80
; %bb.79:
	v_mov_b32_e32 v19, 0
	ds_read_b128 v[19:22], v19 offset:14784
	s_waitcnt lgkmcnt(0)
	v_mul_f64 v[23:24], v[13:14], v[21:22]
	v_mul_f64 v[21:22], v[11:12], v[21:22]
	v_fma_f64 v[11:12], v[11:12], v[19:20], -v[23:24]
	v_fma_f64 v[13:14], v[13:14], v[19:20], v[21:22]
	v_xor_b32_e32 v20, 0x80000000, v12
	v_xor_b32_e32 v22, 0x80000000, v14
	v_mov_b32_e32 v19, v11
	v_mov_b32_e32 v21, v13
	ds_write_b128 v17, v[19:22]
.LBB185_80:
	s_or_b64 exec, exec, s[8:9]
	s_waitcnt lgkmcnt(0)
	s_barrier
	s_barrier
	s_and_saveexec_b64 s[8:9], s[2:3]
; %bb.81:
	v_lshlrev_b32_e32 v19, 4, v15
	v_lshl_or_b32 v19, v16, 9, v19
	ds_write_b128 v19, v[11:14] offset:15808
; %bb.82:
	s_or_b64 exec, exec, s[8:9]
	v_cmp_eq_u32_e64 s[10:11], 0, v2
	v_cmp_gt_u32_e64 s[8:9], 2, v0
	s_and_b64 s[42:43], s[10:11], s[8:9]
	s_waitcnt lgkmcnt(0)
	s_barrier
	s_barrier
	s_and_saveexec_b64 s[8:9], s[42:43]
	s_cbranch_execz .LBB185_84
; %bb.83:
	v_lshlrev_b32_e32 v19, 9, v0
	ds_read_b128 v[11:14], v19 offset:15808
	s_movk_i32 s12, 0xfe10
	v_mad_i32_i24 v20, v0, s12, v19
	s_waitcnt lgkmcnt(0)
	ds_write_b128 v20, v[11:14] offset:14816
	ds_read_b128 v[11:14], v19 offset:15824
	s_waitcnt lgkmcnt(0)
	ds_write_b128 v20, v[11:14] offset:15328
.LBB185_84:
	s_or_b64 exec, exec, s[8:9]
	s_waitcnt lgkmcnt(0)
	s_barrier
	s_and_saveexec_b64 s[8:9], vcc
	s_cbranch_execz .LBB185_86
; %bb.85:
	v_mov_b32_e32 v29, 0
	ds_read_b128 v[11:14], v29 offset:15312
	ds_read_b128 v[19:22], v29 offset:14784
	ds_read_b128 v[23:26], v29 offset:15296
	s_waitcnt lgkmcnt(1)
	v_mul_f64 v[27:28], v[11:12], v[21:22]
	v_mul_f64 v[21:22], v[13:14], v[21:22]
	v_fma_f64 v[13:14], v[13:14], v[19:20], v[27:28]
	v_fma_f64 v[11:12], v[11:12], v[19:20], -v[21:22]
	s_waitcnt lgkmcnt(0)
	v_mul_f64 v[19:20], v[13:14], v[25:26]
	v_mul_f64 v[21:22], v[11:12], v[25:26]
	v_fma_f64 v[11:12], v[23:24], v[11:12], -v[19:20]
	v_fma_f64 v[13:14], v[23:24], v[13:14], v[21:22]
	ds_write_b128 v29, v[11:14] offset:15296
	ds_write_b128 v29, v[11:14] offset:14800
.LBB185_86:
	s_or_b64 exec, exec, s[8:9]
	v_lshrrev_b32_e32 v21, 2, v18
	v_mov_b32_e32 v13, 0
	v_mov_b32_e32 v11, 0
	v_and_b32_e32 v19, 3, v0
	v_sub_u32_e32 v20, 3, v21
	v_cmp_lt_u32_e64 s[8:9], 15, v18
	v_mov_b32_e32 v14, 0
	v_mov_b32_e32 v12, 0
	v_cmp_gt_u32_e64 s[16:17], 16, v18
	s_waitcnt lgkmcnt(0)
	s_barrier
	buffer_wbinvl1_vol
	s_and_saveexec_b64 s[14:15], s[16:17]
	s_cbranch_execz .LBB185_92
; %bb.87:
	v_lshlrev_b32_e32 v23, 9, v20
	v_lshlrev_b32_e32 v22, 4, v19
	ds_read_b128 v[11:14], v23 offset:14784
	ds_read_b128 v[24:27], v22 offset:14720
	v_cmp_gt_u32_e64 s[12:13], 12, v18
	s_waitcnt lgkmcnt(0)
	v_mul_f64 v[28:29], v[13:14], v[26:27]
	v_mul_f64 v[26:27], v[11:12], v[26:27]
	v_fma_f64 v[11:12], v[11:12], v[24:25], -v[28:29]
	v_fma_f64 v[13:14], v[13:14], v[24:25], v[26:27]
	v_add_f64 v[11:12], v[11:12], 0
	v_add_f64 v[13:14], v[13:14], 0
	s_and_saveexec_b64 s[18:19], s[12:13]
	s_cbranch_execnz .LBB185_551
; %bb.88:
	s_or_b64 exec, exec, s[18:19]
	v_cmp_gt_u32_e64 s[12:13], 8, v18
	s_and_saveexec_b64 s[18:19], s[12:13]
	s_cbranch_execnz .LBB185_552
.LBB185_89:
	s_or_b64 exec, exec, s[18:19]
	v_cmp_gt_u32_e64 s[12:13], 4, v18
	s_and_saveexec_b64 s[18:19], s[12:13]
	s_cbranch_execz .LBB185_91
.LBB185_90:
	v_lshlrev_b32_e32 v26, 4, v0
	v_mov_b32_e32 v22, 0
	ds_read_b128 v[22:25], v22 offset:16368
	ds_read_b128 v[26:29], v26 offset:16256
	s_waitcnt lgkmcnt(0)
	v_mul_f64 v[30:31], v[24:25], v[28:29]
	v_mul_f64 v[28:29], v[22:23], v[28:29]
	v_fma_f64 v[22:23], v[22:23], v[26:27], -v[30:31]
	v_fma_f64 v[24:25], v[24:25], v[26:27], v[28:29]
	v_add_f64 v[11:12], v[11:12], v[22:23]
	v_add_f64 v[13:14], v[13:14], v[24:25]
.LBB185_91:
	s_or_b64 exec, exec, s[18:19]
.LBB185_92:
	s_or_b64 exec, exec, s[14:15]
	v_mov_b32_e32 v22, 0x4000
	v_cmp_eq_u32_e64 s[12:13], 3, v19
	s_xor_b64 s[14:15], s[8:9], -1
	v_lshl_add_u32 v21, v21, 4, v22
	s_and_b64 s[46:47], s[12:13], s[14:15]
	s_and_saveexec_b64 s[8:9], s[46:47]
	s_cbranch_execz .LBB185_94
; %bb.93:
	v_mov_b32_e32 v22, 0
	ds_read_b128 v[22:25], v22 offset:14256
	s_waitcnt lgkmcnt(0)
	v_mul_f64 v[26:27], v[13:14], v[24:25]
	v_mul_f64 v[24:25], v[11:12], v[24:25]
	v_fma_f64 v[11:12], v[11:12], v[22:23], -v[26:27]
	v_fma_f64 v[13:14], v[13:14], v[22:23], v[24:25]
	v_xor_b32_e32 v23, 0x80000000, v12
	v_xor_b32_e32 v25, 0x80000000, v14
	v_mov_b32_e32 v22, v11
	v_mov_b32_e32 v24, v13
	ds_write_b128 v21, v[22:25]
.LBB185_94:
	s_or_b64 exec, exec, s[8:9]
	v_cmp_ne_u32_e64 s[8:9], 3, v19
	s_and_b64 s[48:49], s[8:9], s[14:15]
	s_waitcnt lgkmcnt(0)
	s_barrier
	s_and_saveexec_b64 s[8:9], s[48:49]
	s_cbranch_execz .LBB185_96
; %bb.95:
	v_lshlrev_b32_e32 v26, 4, v19
	ds_read_b128 v[22:25], v21
	ds_read_b128 v[26:29], v26 offset:14208
	s_waitcnt lgkmcnt(0)
	v_mul_f64 v[30:31], v[24:25], v[28:29]
	v_mul_f64 v[28:29], v[22:23], v[28:29]
	v_fma_f64 v[22:23], v[22:23], v[26:27], -v[30:31]
	v_fma_f64 v[24:25], v[24:25], v[26:27], v[28:29]
	v_add_f64 v[11:12], v[11:12], -v[22:23]
	v_add_f64 v[13:14], v[13:14], -v[24:25]
.LBB185_96:
	s_or_b64 exec, exec, s[8:9]
	v_cmp_eq_u32_e64 s[8:9], 2, v19
	s_and_b64 s[50:51], s[8:9], s[14:15]
	s_barrier
	s_and_saveexec_b64 s[8:9], s[50:51]
	s_cbranch_execz .LBB185_98
; %bb.97:
	v_mov_b32_e32 v22, 0
	ds_read_b128 v[22:25], v22 offset:13728
	s_waitcnt lgkmcnt(0)
	v_mul_f64 v[26:27], v[13:14], v[24:25]
	v_mul_f64 v[24:25], v[11:12], v[24:25]
	v_fma_f64 v[11:12], v[11:12], v[22:23], -v[26:27]
	v_fma_f64 v[13:14], v[13:14], v[22:23], v[24:25]
	v_xor_b32_e32 v23, 0x80000000, v12
	v_xor_b32_e32 v25, 0x80000000, v14
	v_mov_b32_e32 v22, v11
	v_mov_b32_e32 v24, v13
	ds_write_b128 v21, v[22:25]
.LBB185_98:
	s_or_b64 exec, exec, s[8:9]
	v_cmp_gt_u32_e64 s[8:9], 2, v19
	s_and_b64 s[52:53], s[8:9], s[14:15]
	s_waitcnt lgkmcnt(0)
	s_barrier
	s_and_saveexec_b64 s[8:9], s[52:53]
	s_cbranch_execz .LBB185_100
; %bb.99:
	v_lshlrev_b32_e32 v26, 4, v19
	ds_read_b128 v[22:25], v21
	ds_read_b128 v[26:29], v26 offset:13696
	s_waitcnt lgkmcnt(0)
	v_mul_f64 v[30:31], v[24:25], v[28:29]
	v_mul_f64 v[28:29], v[22:23], v[28:29]
	v_fma_f64 v[22:23], v[22:23], v[26:27], -v[30:31]
	v_fma_f64 v[24:25], v[24:25], v[26:27], v[28:29]
	v_add_f64 v[11:12], v[11:12], -v[22:23]
	v_add_f64 v[13:14], v[13:14], -v[24:25]
.LBB185_100:
	s_or_b64 exec, exec, s[8:9]
	v_cmp_eq_u32_e64 s[8:9], 1, v19
	s_and_b64 s[54:55], s[8:9], s[14:15]
	s_barrier
	s_and_saveexec_b64 s[8:9], s[54:55]
	s_cbranch_execz .LBB185_102
; %bb.101:
	v_mov_b32_e32 v22, 0
	ds_read_b128 v[22:25], v22 offset:13200
	s_waitcnt lgkmcnt(0)
	v_mul_f64 v[26:27], v[13:14], v[24:25]
	v_mul_f64 v[24:25], v[11:12], v[24:25]
	v_fma_f64 v[11:12], v[11:12], v[22:23], -v[26:27]
	v_fma_f64 v[13:14], v[13:14], v[22:23], v[24:25]
	v_xor_b32_e32 v23, 0x80000000, v12
	v_xor_b32_e32 v25, 0x80000000, v14
	v_mov_b32_e32 v22, v11
	v_mov_b32_e32 v24, v13
	ds_write_b128 v21, v[22:25]
.LBB185_102:
	s_or_b64 exec, exec, s[8:9]
	v_cmp_eq_u32_e64 s[8:9], 0, v19
	s_and_b64 s[44:45], s[8:9], s[14:15]
	s_waitcnt lgkmcnt(0)
	s_barrier
	s_and_saveexec_b64 s[8:9], s[44:45]
	s_cbranch_execz .LBB185_104
; %bb.103:
	v_mov_b32_e32 v26, 0
	ds_read_b128 v[22:25], v21
	ds_read_b128 v[26:29], v26 offset:13184
	s_waitcnt lgkmcnt(0)
	v_mul_f64 v[30:31], v[24:25], v[28:29]
	v_mul_f64 v[28:29], v[22:23], v[28:29]
	v_fma_f64 v[22:23], v[22:23], v[26:27], -v[30:31]
	v_fma_f64 v[24:25], v[24:25], v[26:27], v[28:29]
	v_add_f64 v[11:12], v[11:12], -v[22:23]
	v_add_f64 v[13:14], v[13:14], -v[24:25]
.LBB185_104:
	s_or_b64 exec, exec, s[8:9]
	s_barrier
	s_and_saveexec_b64 s[8:9], s[44:45]
	s_cbranch_execz .LBB185_106
; %bb.105:
	v_mov_b32_e32 v22, 0
	ds_read_b128 v[22:25], v22 offset:12672
	s_waitcnt lgkmcnt(0)
	v_mul_f64 v[26:27], v[13:14], v[24:25]
	v_mul_f64 v[24:25], v[11:12], v[24:25]
	v_fma_f64 v[11:12], v[11:12], v[22:23], -v[26:27]
	v_fma_f64 v[13:14], v[13:14], v[22:23], v[24:25]
	v_xor_b32_e32 v23, 0x80000000, v12
	v_xor_b32_e32 v25, 0x80000000, v14
	v_mov_b32_e32 v22, v11
	v_mov_b32_e32 v24, v13
	ds_write_b128 v21, v[22:25]
.LBB185_106:
	s_or_b64 exec, exec, s[8:9]
	s_waitcnt lgkmcnt(0)
	s_barrier
	s_barrier
	s_and_saveexec_b64 s[8:9], s[16:17]
; %bb.107:
	v_lshlrev_b32_e32 v22, 4, v19
	v_lshl_or_b32 v22, v20, 9, v22
	ds_write_b128 v22, v[11:14] offset:14720
; %bb.108:
	s_or_b64 exec, exec, s[8:9]
	v_cmp_gt_u32_e64 s[8:9], 4, v0
	s_and_b64 s[56:57], s[10:11], s[8:9]
	s_waitcnt lgkmcnt(0)
	s_barrier
	s_barrier
	s_and_saveexec_b64 s[8:9], s[56:57]
	s_cbranch_execz .LBB185_110
; %bb.109:
	v_lshlrev_b32_e32 v22, 4, v0
	s_movk_i32 s12, 0x1f0
	v_mad_u32_u24 v23, v0, s12, v22
	ds_read_b128 v[11:14], v23 offset:14720
	s_waitcnt lgkmcnt(0)
	ds_write_b128 v22, v[11:14] offset:12736
	ds_read_b128 v[11:14], v23 offset:14736
	s_waitcnt lgkmcnt(0)
	ds_write_b128 v22, v[11:14] offset:13248
	;; [unrolled: 3-line block ×4, first 2 shown]
.LBB185_110:
	s_or_b64 exec, exec, s[8:9]
	s_waitcnt lgkmcnt(0)
	s_barrier
	s_and_saveexec_b64 s[8:9], vcc
	s_cbranch_execz .LBB185_112
; %bb.111:
	v_mov_b32_e32 v32, 0
	ds_read_b128 v[11:14], v32 offset:14256
	ds_read_b128 v[22:25], v32 offset:13728
	ds_read_b128 v[26:29], v32 offset:14240
	s_waitcnt lgkmcnt(1)
	v_mul_f64 v[30:31], v[11:12], v[24:25]
	v_mul_f64 v[24:25], v[13:14], v[24:25]
	v_fma_f64 v[13:14], v[13:14], v[22:23], v[30:31]
	v_fma_f64 v[11:12], v[11:12], v[22:23], -v[24:25]
	s_waitcnt lgkmcnt(0)
	v_mul_f64 v[22:23], v[13:14], v[28:29]
	v_mul_f64 v[24:25], v[11:12], v[28:29]
	v_fma_f64 v[11:12], v[26:27], v[11:12], -v[22:23]
	v_fma_f64 v[13:14], v[26:27], v[13:14], v[24:25]
	ds_write_b128 v32, v[11:14] offset:14240
	ds_write_b128 v32, v[11:14] offset:13744
.LBB185_112:
	s_or_b64 exec, exec, s[8:9]
	v_mov_b32_e32 v11, 0
	v_mov_b32_e32 v13, 0
	;; [unrolled: 1-line block ×4, first 2 shown]
	s_waitcnt lgkmcnt(0)
	s_barrier
	buffer_wbinvl1_vol
	s_and_saveexec_b64 s[12:13], s[2:3]
	s_cbranch_execz .LBB185_116
; %bb.113:
	v_lshlrev_b32_e32 v22, 4, v15
	v_lshlrev_b32_e32 v11, 9, v16
	ds_read_b128 v[11:14], v11 offset:13728
	ds_read_b128 v[22:25], v22 offset:13696
	v_cmp_gt_u32_e64 s[8:9], 2, v18
	s_waitcnt lgkmcnt(0)
	v_mul_f64 v[26:27], v[13:14], v[24:25]
	v_mul_f64 v[24:25], v[11:12], v[24:25]
	v_fma_f64 v[11:12], v[11:12], v[22:23], -v[26:27]
	v_fma_f64 v[13:14], v[13:14], v[22:23], v[24:25]
	v_add_f64 v[11:12], v[11:12], 0
	v_add_f64 v[13:14], v[13:14], 0
	s_and_saveexec_b64 s[14:15], s[8:9]
	s_cbranch_execz .LBB185_115
; %bb.114:
	v_lshlrev_b32_e32 v26, 4, v0
	v_mov_b32_e32 v22, 0
	ds_read_b128 v[22:25], v22 offset:14256
	ds_read_b128 v[26:29], v26 offset:14208
	s_waitcnt lgkmcnt(0)
	v_mul_f64 v[30:31], v[24:25], v[28:29]
	v_mul_f64 v[28:29], v[22:23], v[28:29]
	v_fma_f64 v[22:23], v[22:23], v[26:27], -v[30:31]
	v_fma_f64 v[24:25], v[24:25], v[26:27], v[28:29]
	v_add_f64 v[11:12], v[11:12], v[22:23]
	v_add_f64 v[13:14], v[13:14], v[24:25]
.LBB185_115:
	s_or_b64 exec, exec, s[14:15]
.LBB185_116:
	s_or_b64 exec, exec, s[12:13]
	s_and_saveexec_b64 s[8:9], s[40:41]
	s_cbranch_execz .LBB185_118
; %bb.117:
	v_mov_b32_e32 v22, 0
	ds_read_b128 v[22:25], v22 offset:13200
	s_waitcnt lgkmcnt(0)
	v_mul_f64 v[26:27], v[13:14], v[24:25]
	v_mul_f64 v[24:25], v[11:12], v[24:25]
	v_fma_f64 v[11:12], v[11:12], v[22:23], -v[26:27]
	v_fma_f64 v[13:14], v[13:14], v[22:23], v[24:25]
	v_xor_b32_e32 v23, 0x80000000, v12
	v_xor_b32_e32 v25, 0x80000000, v14
	v_mov_b32_e32 v22, v11
	v_mov_b32_e32 v24, v13
	ds_write_b128 v17, v[22:25]
.LBB185_118:
	s_or_b64 exec, exec, s[8:9]
	s_waitcnt lgkmcnt(0)
	s_barrier
	s_and_saveexec_b64 s[8:9], s[38:39]
	s_cbranch_execz .LBB185_120
; %bb.119:
	v_mov_b32_e32 v26, 0
	ds_read_b128 v[22:25], v17
	ds_read_b128 v[26:29], v26 offset:13184
	s_waitcnt lgkmcnt(0)
	v_mul_f64 v[30:31], v[24:25], v[28:29]
	v_mul_f64 v[28:29], v[22:23], v[28:29]
	v_fma_f64 v[22:23], v[22:23], v[26:27], -v[30:31]
	v_fma_f64 v[24:25], v[24:25], v[26:27], v[28:29]
	v_add_f64 v[11:12], v[11:12], -v[22:23]
	v_add_f64 v[13:14], v[13:14], -v[24:25]
.LBB185_120:
	s_or_b64 exec, exec, s[8:9]
	s_barrier
	s_and_saveexec_b64 s[8:9], s[38:39]
	s_cbranch_execz .LBB185_122
; %bb.121:
	v_mov_b32_e32 v22, 0
	ds_read_b128 v[22:25], v22 offset:12672
	s_waitcnt lgkmcnt(0)
	v_mul_f64 v[26:27], v[13:14], v[24:25]
	v_mul_f64 v[24:25], v[11:12], v[24:25]
	v_fma_f64 v[11:12], v[11:12], v[22:23], -v[26:27]
	v_fma_f64 v[13:14], v[13:14], v[22:23], v[24:25]
	v_xor_b32_e32 v23, 0x80000000, v12
	v_xor_b32_e32 v25, 0x80000000, v14
	v_mov_b32_e32 v22, v11
	v_mov_b32_e32 v24, v13
	ds_write_b128 v17, v[22:25]
.LBB185_122:
	s_or_b64 exec, exec, s[8:9]
	s_waitcnt lgkmcnt(0)
	s_barrier
	s_barrier
	s_and_saveexec_b64 s[8:9], s[2:3]
; %bb.123:
	v_lshlrev_b32_e32 v22, 4, v15
	v_lshl_or_b32 v22, v16, 9, v22
	ds_write_b128 v22, v[11:14] offset:13696
; %bb.124:
	s_or_b64 exec, exec, s[8:9]
	s_waitcnt lgkmcnt(0)
	s_barrier
	s_barrier
	s_and_saveexec_b64 s[8:9], s[42:43]
	s_cbranch_execz .LBB185_126
; %bb.125:
	v_lshlrev_b32_e32 v22, 9, v0
	ds_read_b128 v[11:14], v22 offset:13696
	s_movk_i32 s12, 0xfe10
	v_mad_i32_i24 v23, v0, s12, v22
	s_waitcnt lgkmcnt(0)
	ds_write_b128 v23, v[11:14] offset:12704
	ds_read_b128 v[11:14], v22 offset:13712
	s_waitcnt lgkmcnt(0)
	ds_write_b128 v23, v[11:14] offset:13216
.LBB185_126:
	s_or_b64 exec, exec, s[8:9]
	s_waitcnt lgkmcnt(0)
	s_barrier
	s_and_saveexec_b64 s[8:9], vcc
	s_cbranch_execz .LBB185_128
; %bb.127:
	v_mov_b32_e32 v32, 0
	ds_read_b128 v[11:14], v32 offset:13200
	ds_read_b128 v[22:25], v32 offset:12672
	;; [unrolled: 1-line block ×3, first 2 shown]
	s_waitcnt lgkmcnt(1)
	v_mul_f64 v[30:31], v[11:12], v[24:25]
	v_mul_f64 v[24:25], v[13:14], v[24:25]
	v_fma_f64 v[13:14], v[13:14], v[22:23], v[30:31]
	v_fma_f64 v[11:12], v[11:12], v[22:23], -v[24:25]
	s_waitcnt lgkmcnt(0)
	v_mul_f64 v[22:23], v[13:14], v[28:29]
	v_mul_f64 v[24:25], v[11:12], v[28:29]
	v_fma_f64 v[11:12], v[26:27], v[11:12], -v[22:23]
	v_fma_f64 v[13:14], v[26:27], v[13:14], v[24:25]
	ds_write_b128 v32, v[11:14] offset:13184
	ds_write_b128 v32, v[11:14] offset:12688
.LBB185_128:
	s_or_b64 exec, exec, s[8:9]
	v_lshrrev_b32_e32 v24, 3, v18
	v_mov_b32_e32 v13, 0
	v_mov_b32_e32 v11, 0
	v_and_b32_e32 v22, 7, v0
	v_sub_u32_e32 v23, 7, v24
	v_cmp_lt_u32_e64 s[12:13], 63, v18
	v_mov_b32_e32 v14, 0
	v_mov_b32_e32 v12, 0
	v_cmp_gt_u32_e64 s[8:9], 64, v18
	s_waitcnt lgkmcnt(0)
	s_barrier
	buffer_wbinvl1_vol
	s_and_saveexec_b64 s[18:19], s[8:9]
	s_cbranch_execz .LBB185_138
; %bb.129:
	v_lshlrev_b32_e32 v26, 9, v23
	v_lshlrev_b32_e32 v25, 4, v22
	ds_read_b128 v[11:14], v26 offset:12672
	ds_read_b128 v[27:30], v25 offset:12544
	v_cmp_gt_u32_e64 s[14:15], 56, v18
	s_waitcnt lgkmcnt(0)
	v_mul_f64 v[31:32], v[13:14], v[29:30]
	v_mul_f64 v[29:30], v[11:12], v[29:30]
	v_fma_f64 v[11:12], v[11:12], v[27:28], -v[31:32]
	v_fma_f64 v[13:14], v[13:14], v[27:28], v[29:30]
	v_add_f64 v[11:12], v[11:12], 0
	v_add_f64 v[13:14], v[13:14], 0
	s_and_saveexec_b64 s[58:59], s[14:15]
	s_cbranch_execnz .LBB185_553
; %bb.130:
	s_or_b64 exec, exec, s[58:59]
	v_cmp_gt_u32_e64 s[14:15], 48, v18
	s_and_saveexec_b64 s[58:59], s[14:15]
	s_cbranch_execnz .LBB185_554
.LBB185_131:
	s_or_b64 exec, exec, s[58:59]
	v_cmp_gt_u32_e64 s[14:15], 40, v18
	s_and_saveexec_b64 s[58:59], s[14:15]
	s_cbranch_execnz .LBB185_555
.LBB185_132:
	s_or_b64 exec, exec, s[58:59]
	v_cmp_gt_u32_e64 s[14:15], 32, v18
	s_and_saveexec_b64 s[58:59], s[14:15]
	s_cbranch_execnz .LBB185_556
.LBB185_133:
	s_or_b64 exec, exec, s[58:59]
	v_cmp_gt_u32_e64 s[14:15], 24, v18
	s_and_saveexec_b64 s[58:59], s[14:15]
	s_cbranch_execnz .LBB185_557
.LBB185_134:
	s_or_b64 exec, exec, s[58:59]
	s_and_saveexec_b64 s[14:15], s[16:17]
	s_cbranch_execnz .LBB185_558
.LBB185_135:
	s_or_b64 exec, exec, s[14:15]
	v_cmp_gt_u32_e64 s[14:15], 8, v18
	s_and_saveexec_b64 s[58:59], s[14:15]
	s_cbranch_execz .LBB185_137
.LBB185_136:
	v_lshlrev_b32_e32 v29, 4, v0
	v_mov_b32_e32 v25, 0
	ds_read_b128 v[25:28], v25 offset:16368
	ds_read_b128 v[29:32], v29 offset:16128
	s_waitcnt lgkmcnt(0)
	v_mul_f64 v[33:34], v[27:28], v[31:32]
	v_mul_f64 v[31:32], v[25:26], v[31:32]
	v_fma_f64 v[25:26], v[25:26], v[29:30], -v[33:34]
	v_fma_f64 v[27:28], v[27:28], v[29:30], v[31:32]
	v_add_f64 v[11:12], v[11:12], v[25:26]
	v_add_f64 v[13:14], v[13:14], v[27:28]
.LBB185_137:
	s_or_b64 exec, exec, s[58:59]
.LBB185_138:
	s_or_b64 exec, exec, s[18:19]
	v_mov_b32_e32 v25, 0x4000
	v_cmp_eq_u32_e64 s[14:15], 7, v22
	s_xor_b64 s[18:19], s[12:13], -1
	v_lshl_add_u32 v24, v24, 4, v25
	s_and_b64 s[60:61], s[14:15], s[18:19]
	s_and_saveexec_b64 s[12:13], s[60:61]
	s_cbranch_execz .LBB185_140
; %bb.139:
	v_mov_b32_e32 v25, 0
	ds_read_b128 v[25:28], v25 offset:12144
	s_waitcnt lgkmcnt(0)
	v_mul_f64 v[29:30], v[13:14], v[27:28]
	v_mul_f64 v[27:28], v[11:12], v[27:28]
	v_fma_f64 v[11:12], v[11:12], v[25:26], -v[29:30]
	v_fma_f64 v[13:14], v[13:14], v[25:26], v[27:28]
	v_xor_b32_e32 v26, 0x80000000, v12
	v_xor_b32_e32 v28, 0x80000000, v14
	v_mov_b32_e32 v25, v11
	v_mov_b32_e32 v27, v13
	ds_write_b128 v24, v[25:28]
.LBB185_140:
	s_or_b64 exec, exec, s[12:13]
	v_cmp_ne_u32_e64 s[12:13], 7, v22
	s_and_b64 s[62:63], s[12:13], s[18:19]
	s_waitcnt lgkmcnt(0)
	s_barrier
	s_and_saveexec_b64 s[12:13], s[62:63]
	s_cbranch_execz .LBB185_142
; %bb.141:
	v_lshlrev_b32_e32 v29, 4, v22
	ds_read_b128 v[25:28], v24
	ds_read_b128 v[29:32], v29 offset:12032
	s_waitcnt lgkmcnt(0)
	v_mul_f64 v[33:34], v[27:28], v[31:32]
	v_mul_f64 v[31:32], v[25:26], v[31:32]
	v_fma_f64 v[25:26], v[25:26], v[29:30], -v[33:34]
	v_fma_f64 v[27:28], v[27:28], v[29:30], v[31:32]
	v_add_f64 v[11:12], v[11:12], -v[25:26]
	v_add_f64 v[13:14], v[13:14], -v[27:28]
.LBB185_142:
	s_or_b64 exec, exec, s[12:13]
	v_cmp_eq_u32_e64 s[12:13], 6, v22
	s_and_b64 s[64:65], s[12:13], s[18:19]
	s_barrier
	s_and_saveexec_b64 s[12:13], s[64:65]
	s_cbranch_execz .LBB185_144
; %bb.143:
	v_mov_b32_e32 v25, 0
	ds_read_b128 v[25:28], v25 offset:11616
	s_waitcnt lgkmcnt(0)
	v_mul_f64 v[29:30], v[13:14], v[27:28]
	v_mul_f64 v[27:28], v[11:12], v[27:28]
	v_fma_f64 v[11:12], v[11:12], v[25:26], -v[29:30]
	v_fma_f64 v[13:14], v[13:14], v[25:26], v[27:28]
	v_xor_b32_e32 v26, 0x80000000, v12
	v_xor_b32_e32 v28, 0x80000000, v14
	v_mov_b32_e32 v25, v11
	v_mov_b32_e32 v27, v13
	ds_write_b128 v24, v[25:28]
.LBB185_144:
	s_or_b64 exec, exec, s[12:13]
	v_cmp_gt_u32_e64 s[12:13], 6, v22
	s_and_b64 s[66:67], s[12:13], s[18:19]
	s_waitcnt lgkmcnt(0)
	s_barrier
	s_and_saveexec_b64 s[12:13], s[66:67]
	s_cbranch_execz .LBB185_146
; %bb.145:
	v_lshlrev_b32_e32 v29, 4, v22
	ds_read_b128 v[25:28], v24
	ds_read_b128 v[29:32], v29 offset:11520
	s_waitcnt lgkmcnt(0)
	v_mul_f64 v[33:34], v[27:28], v[31:32]
	v_mul_f64 v[31:32], v[25:26], v[31:32]
	v_fma_f64 v[25:26], v[25:26], v[29:30], -v[33:34]
	v_fma_f64 v[27:28], v[27:28], v[29:30], v[31:32]
	v_add_f64 v[11:12], v[11:12], -v[25:26]
	v_add_f64 v[13:14], v[13:14], -v[27:28]
.LBB185_146:
	s_or_b64 exec, exec, s[12:13]
	v_cmp_eq_u32_e64 s[12:13], 5, v22
	s_and_b64 s[68:69], s[12:13], s[18:19]
	s_barrier
	s_and_saveexec_b64 s[12:13], s[68:69]
	s_cbranch_execz .LBB185_148
; %bb.147:
	v_mov_b32_e32 v25, 0
	ds_read_b128 v[25:28], v25 offset:11088
	s_waitcnt lgkmcnt(0)
	v_mul_f64 v[29:30], v[13:14], v[27:28]
	v_mul_f64 v[27:28], v[11:12], v[27:28]
	v_fma_f64 v[11:12], v[11:12], v[25:26], -v[29:30]
	v_fma_f64 v[13:14], v[13:14], v[25:26], v[27:28]
	v_xor_b32_e32 v26, 0x80000000, v12
	v_xor_b32_e32 v28, 0x80000000, v14
	v_mov_b32_e32 v25, v11
	v_mov_b32_e32 v27, v13
	ds_write_b128 v24, v[25:28]
.LBB185_148:
	s_or_b64 exec, exec, s[12:13]
	v_cmp_gt_u32_e64 s[12:13], 5, v22
	;; [unrolled: 39-line block ×5, first 2 shown]
	s_and_b64 s[82:83], s[12:13], s[18:19]
	s_waitcnt lgkmcnt(0)
	s_barrier
	s_and_saveexec_b64 s[12:13], s[82:83]
	s_cbranch_execz .LBB185_162
; %bb.161:
	v_lshlrev_b32_e32 v29, 4, v22
	ds_read_b128 v[25:28], v24
	ds_read_b128 v[29:32], v29 offset:9472
	s_waitcnt lgkmcnt(0)
	v_mul_f64 v[33:34], v[27:28], v[31:32]
	v_mul_f64 v[31:32], v[25:26], v[31:32]
	v_fma_f64 v[25:26], v[25:26], v[29:30], -v[33:34]
	v_fma_f64 v[27:28], v[27:28], v[29:30], v[31:32]
	v_add_f64 v[11:12], v[11:12], -v[25:26]
	v_add_f64 v[13:14], v[13:14], -v[27:28]
.LBB185_162:
	s_or_b64 exec, exec, s[12:13]
	v_cmp_eq_u32_e64 s[12:13], 1, v22
	s_and_b64 s[84:85], s[12:13], s[18:19]
	s_barrier
	s_and_saveexec_b64 s[12:13], s[84:85]
	s_cbranch_execz .LBB185_164
; %bb.163:
	v_mov_b32_e32 v25, 0
	ds_read_b128 v[25:28], v25 offset:8976
	s_waitcnt lgkmcnt(0)
	v_mul_f64 v[29:30], v[13:14], v[27:28]
	v_mul_f64 v[27:28], v[11:12], v[27:28]
	v_fma_f64 v[11:12], v[11:12], v[25:26], -v[29:30]
	v_fma_f64 v[13:14], v[13:14], v[25:26], v[27:28]
	v_xor_b32_e32 v26, 0x80000000, v12
	v_xor_b32_e32 v28, 0x80000000, v14
	v_mov_b32_e32 v25, v11
	v_mov_b32_e32 v27, v13
	ds_write_b128 v24, v[25:28]
.LBB185_164:
	s_or_b64 exec, exec, s[12:13]
	v_cmp_eq_u32_e64 s[12:13], 0, v22
	s_and_b64 s[58:59], s[12:13], s[18:19]
	s_waitcnt lgkmcnt(0)
	s_barrier
	s_and_saveexec_b64 s[12:13], s[58:59]
	s_cbranch_execz .LBB185_166
; %bb.165:
	v_mov_b32_e32 v29, 0
	ds_read_b128 v[25:28], v24
	ds_read_b128 v[29:32], v29 offset:8960
	s_waitcnt lgkmcnt(0)
	v_mul_f64 v[33:34], v[27:28], v[31:32]
	v_mul_f64 v[31:32], v[25:26], v[31:32]
	v_fma_f64 v[25:26], v[25:26], v[29:30], -v[33:34]
	v_fma_f64 v[27:28], v[27:28], v[29:30], v[31:32]
	v_add_f64 v[11:12], v[11:12], -v[25:26]
	v_add_f64 v[13:14], v[13:14], -v[27:28]
.LBB185_166:
	s_or_b64 exec, exec, s[12:13]
	s_barrier
	s_and_saveexec_b64 s[12:13], s[58:59]
	s_cbranch_execz .LBB185_168
; %bb.167:
	v_mov_b32_e32 v25, 0
	ds_read_b128 v[25:28], v25 offset:8448
	s_waitcnt lgkmcnt(0)
	v_mul_f64 v[29:30], v[13:14], v[27:28]
	v_mul_f64 v[27:28], v[11:12], v[27:28]
	v_fma_f64 v[11:12], v[11:12], v[25:26], -v[29:30]
	v_fma_f64 v[13:14], v[13:14], v[25:26], v[27:28]
	v_xor_b32_e32 v26, 0x80000000, v12
	v_xor_b32_e32 v28, 0x80000000, v14
	v_mov_b32_e32 v25, v11
	v_mov_b32_e32 v27, v13
	ds_write_b128 v24, v[25:28]
.LBB185_168:
	s_or_b64 exec, exec, s[12:13]
	s_waitcnt lgkmcnt(0)
	s_barrier
	s_barrier
	s_and_saveexec_b64 s[12:13], s[8:9]
; %bb.169:
	v_lshlrev_b32_e32 v25, 4, v22
	v_lshl_or_b32 v25, v23, 9, v25
	ds_write_b128 v25, v[11:14] offset:12544
; %bb.170:
	s_or_b64 exec, exec, s[12:13]
	v_cmp_gt_u32_e64 s[12:13], 8, v0
	s_and_b64 s[86:87], s[10:11], s[12:13]
	s_waitcnt lgkmcnt(0)
	s_barrier
	s_barrier
	s_and_saveexec_b64 s[12:13], s[86:87]
	s_cbranch_execz .LBB185_172
; %bb.171:
	v_lshlrev_b32_e32 v25, 9, v0
	ds_read_b128 v[11:14], v25 offset:12544
	s_movk_i32 s14, 0xfe10
	v_mad_i32_i24 v26, v0, s14, v25
	s_waitcnt lgkmcnt(0)
	ds_write_b128 v26, v[11:14] offset:8576
	ds_read_b128 v[11:14], v25 offset:12560
	s_waitcnt lgkmcnt(0)
	ds_write_b128 v26, v[11:14] offset:9088
	ds_read_b128 v[11:14], v25 offset:12576
	;; [unrolled: 3-line block ×7, first 2 shown]
	s_waitcnt lgkmcnt(0)
	ds_write_b128 v26, v[11:14] offset:12160
.LBB185_172:
	s_or_b64 exec, exec, s[12:13]
	s_waitcnt lgkmcnt(0)
	s_barrier
	s_and_saveexec_b64 s[12:13], vcc
	s_cbranch_execz .LBB185_174
; %bb.173:
	v_mov_b32_e32 v35, 0
	ds_read_b128 v[11:14], v35 offset:12144
	ds_read_b128 v[25:28], v35 offset:11616
	ds_read_b128 v[29:32], v35 offset:12128
	s_waitcnt lgkmcnt(1)
	v_mul_f64 v[33:34], v[11:12], v[27:28]
	v_mul_f64 v[27:28], v[13:14], v[27:28]
	v_fma_f64 v[13:14], v[13:14], v[25:26], v[33:34]
	v_fma_f64 v[11:12], v[11:12], v[25:26], -v[27:28]
	s_waitcnt lgkmcnt(0)
	v_mul_f64 v[25:26], v[13:14], v[31:32]
	v_mul_f64 v[27:28], v[11:12], v[31:32]
	v_fma_f64 v[11:12], v[29:30], v[11:12], -v[25:26]
	v_fma_f64 v[13:14], v[29:30], v[13:14], v[27:28]
	ds_write_b128 v35, v[11:14] offset:12128
	ds_write_b128 v35, v[11:14] offset:11632
.LBB185_174:
	s_or_b64 exec, exec, s[12:13]
	v_mov_b32_e32 v11, 0
	v_mov_b32_e32 v13, 0
	;; [unrolled: 1-line block ×4, first 2 shown]
	s_waitcnt lgkmcnt(0)
	s_barrier
	buffer_wbinvl1_vol
	s_and_saveexec_b64 s[14:15], s[2:3]
	s_cbranch_execz .LBB185_178
; %bb.175:
	v_lshlrev_b32_e32 v25, 4, v15
	v_lshlrev_b32_e32 v11, 9, v16
	ds_read_b128 v[11:14], v11 offset:11616
	ds_read_b128 v[25:28], v25 offset:11584
	v_cmp_gt_u32_e64 s[12:13], 2, v18
	s_waitcnt lgkmcnt(0)
	v_mul_f64 v[29:30], v[13:14], v[27:28]
	v_mul_f64 v[27:28], v[11:12], v[27:28]
	v_fma_f64 v[11:12], v[11:12], v[25:26], -v[29:30]
	v_fma_f64 v[13:14], v[13:14], v[25:26], v[27:28]
	v_add_f64 v[11:12], v[11:12], 0
	v_add_f64 v[13:14], v[13:14], 0
	s_and_saveexec_b64 s[18:19], s[12:13]
	s_cbranch_execz .LBB185_177
; %bb.176:
	v_lshlrev_b32_e32 v29, 4, v0
	v_mov_b32_e32 v25, 0
	ds_read_b128 v[25:28], v25 offset:12144
	ds_read_b128 v[29:32], v29 offset:12096
	s_waitcnt lgkmcnt(0)
	v_mul_f64 v[33:34], v[27:28], v[31:32]
	v_mul_f64 v[31:32], v[25:26], v[31:32]
	v_fma_f64 v[25:26], v[25:26], v[29:30], -v[33:34]
	v_fma_f64 v[27:28], v[27:28], v[29:30], v[31:32]
	v_add_f64 v[11:12], v[11:12], v[25:26]
	v_add_f64 v[13:14], v[13:14], v[27:28]
.LBB185_177:
	s_or_b64 exec, exec, s[18:19]
.LBB185_178:
	s_or_b64 exec, exec, s[14:15]
	s_and_saveexec_b64 s[12:13], s[40:41]
	s_cbranch_execz .LBB185_180
; %bb.179:
	v_mov_b32_e32 v25, 0
	ds_read_b128 v[25:28], v25 offset:11088
	s_waitcnt lgkmcnt(0)
	v_mul_f64 v[29:30], v[13:14], v[27:28]
	v_mul_f64 v[27:28], v[11:12], v[27:28]
	v_fma_f64 v[11:12], v[11:12], v[25:26], -v[29:30]
	v_fma_f64 v[13:14], v[13:14], v[25:26], v[27:28]
	v_xor_b32_e32 v26, 0x80000000, v12
	v_xor_b32_e32 v28, 0x80000000, v14
	v_mov_b32_e32 v25, v11
	v_mov_b32_e32 v27, v13
	ds_write_b128 v17, v[25:28]
.LBB185_180:
	s_or_b64 exec, exec, s[12:13]
	s_waitcnt lgkmcnt(0)
	s_barrier
	s_and_saveexec_b64 s[12:13], s[38:39]
	s_cbranch_execz .LBB185_182
; %bb.181:
	v_mov_b32_e32 v29, 0
	ds_read_b128 v[25:28], v17
	ds_read_b128 v[29:32], v29 offset:11072
	s_waitcnt lgkmcnt(0)
	v_mul_f64 v[33:34], v[27:28], v[31:32]
	v_mul_f64 v[31:32], v[25:26], v[31:32]
	v_fma_f64 v[25:26], v[25:26], v[29:30], -v[33:34]
	v_fma_f64 v[27:28], v[27:28], v[29:30], v[31:32]
	v_add_f64 v[11:12], v[11:12], -v[25:26]
	v_add_f64 v[13:14], v[13:14], -v[27:28]
.LBB185_182:
	s_or_b64 exec, exec, s[12:13]
	s_barrier
	s_and_saveexec_b64 s[12:13], s[38:39]
	s_cbranch_execz .LBB185_184
; %bb.183:
	v_mov_b32_e32 v25, 0
	ds_read_b128 v[25:28], v25 offset:10560
	s_waitcnt lgkmcnt(0)
	v_mul_f64 v[29:30], v[13:14], v[27:28]
	v_mul_f64 v[27:28], v[11:12], v[27:28]
	v_fma_f64 v[11:12], v[11:12], v[25:26], -v[29:30]
	v_fma_f64 v[13:14], v[13:14], v[25:26], v[27:28]
	v_xor_b32_e32 v26, 0x80000000, v12
	v_xor_b32_e32 v28, 0x80000000, v14
	v_mov_b32_e32 v25, v11
	v_mov_b32_e32 v27, v13
	ds_write_b128 v17, v[25:28]
.LBB185_184:
	s_or_b64 exec, exec, s[12:13]
	s_waitcnt lgkmcnt(0)
	s_barrier
	s_barrier
	s_and_saveexec_b64 s[12:13], s[2:3]
; %bb.185:
	v_lshlrev_b32_e32 v25, 4, v15
	v_lshl_or_b32 v25, v16, 9, v25
	ds_write_b128 v25, v[11:14] offset:11584
; %bb.186:
	s_or_b64 exec, exec, s[12:13]
	s_waitcnt lgkmcnt(0)
	s_barrier
	s_barrier
	s_and_saveexec_b64 s[12:13], s[42:43]
	s_cbranch_execz .LBB185_188
; %bb.187:
	v_lshlrev_b32_e32 v25, 9, v0
	ds_read_b128 v[11:14], v25 offset:11584
	s_movk_i32 s14, 0xfe10
	v_mad_i32_i24 v26, v0, s14, v25
	s_waitcnt lgkmcnt(0)
	ds_write_b128 v26, v[11:14] offset:10592
	ds_read_b128 v[11:14], v25 offset:11600
	s_waitcnt lgkmcnt(0)
	ds_write_b128 v26, v[11:14] offset:11104
.LBB185_188:
	s_or_b64 exec, exec, s[12:13]
	s_waitcnt lgkmcnt(0)
	s_barrier
	s_and_saveexec_b64 s[12:13], vcc
	s_cbranch_execz .LBB185_190
; %bb.189:
	v_mov_b32_e32 v35, 0
	ds_read_b128 v[11:14], v35 offset:11088
	ds_read_b128 v[25:28], v35 offset:10560
	;; [unrolled: 1-line block ×3, first 2 shown]
	s_waitcnt lgkmcnt(1)
	v_mul_f64 v[33:34], v[11:12], v[27:28]
	v_mul_f64 v[27:28], v[13:14], v[27:28]
	v_fma_f64 v[13:14], v[13:14], v[25:26], v[33:34]
	v_fma_f64 v[11:12], v[11:12], v[25:26], -v[27:28]
	s_waitcnt lgkmcnt(0)
	v_mul_f64 v[25:26], v[13:14], v[31:32]
	v_mul_f64 v[27:28], v[11:12], v[31:32]
	v_fma_f64 v[11:12], v[29:30], v[11:12], -v[25:26]
	v_fma_f64 v[13:14], v[29:30], v[13:14], v[27:28]
	ds_write_b128 v35, v[11:14] offset:11072
	ds_write_b128 v35, v[11:14] offset:10576
.LBB185_190:
	s_or_b64 exec, exec, s[12:13]
	v_mov_b32_e32 v13, 0
	v_mov_b32_e32 v11, 0
	;; [unrolled: 1-line block ×4, first 2 shown]
	s_waitcnt lgkmcnt(0)
	s_barrier
	buffer_wbinvl1_vol
	s_and_saveexec_b64 s[14:15], s[16:17]
	s_cbranch_execz .LBB185_196
; %bb.191:
	v_lshlrev_b32_e32 v26, 9, v20
	v_lshlrev_b32_e32 v25, 4, v19
	ds_read_b128 v[11:14], v26 offset:10560
	ds_read_b128 v[27:30], v25 offset:10496
	v_cmp_gt_u32_e64 s[12:13], 12, v18
	s_waitcnt lgkmcnt(0)
	v_mul_f64 v[31:32], v[13:14], v[29:30]
	v_mul_f64 v[29:30], v[11:12], v[29:30]
	v_fma_f64 v[11:12], v[11:12], v[27:28], -v[31:32]
	v_fma_f64 v[13:14], v[13:14], v[27:28], v[29:30]
	v_add_f64 v[11:12], v[11:12], 0
	v_add_f64 v[13:14], v[13:14], 0
	s_and_saveexec_b64 s[18:19], s[12:13]
	s_cbranch_execnz .LBB185_559
; %bb.192:
	s_or_b64 exec, exec, s[18:19]
	v_cmp_gt_u32_e64 s[12:13], 8, v18
	s_and_saveexec_b64 s[18:19], s[12:13]
	s_cbranch_execnz .LBB185_560
.LBB185_193:
	s_or_b64 exec, exec, s[18:19]
	v_cmp_gt_u32_e64 s[12:13], 4, v18
	s_and_saveexec_b64 s[18:19], s[12:13]
	s_cbranch_execz .LBB185_195
.LBB185_194:
	v_lshlrev_b32_e32 v29, 4, v0
	v_mov_b32_e32 v25, 0
	ds_read_b128 v[25:28], v25 offset:12144
	ds_read_b128 v[29:32], v29 offset:12032
	s_waitcnt lgkmcnt(0)
	v_mul_f64 v[33:34], v[27:28], v[31:32]
	v_mul_f64 v[31:32], v[25:26], v[31:32]
	v_fma_f64 v[25:26], v[25:26], v[29:30], -v[33:34]
	v_fma_f64 v[27:28], v[27:28], v[29:30], v[31:32]
	v_add_f64 v[11:12], v[11:12], v[25:26]
	v_add_f64 v[13:14], v[13:14], v[27:28]
.LBB185_195:
	s_or_b64 exec, exec, s[18:19]
.LBB185_196:
	s_or_b64 exec, exec, s[14:15]
	s_and_saveexec_b64 s[12:13], s[46:47]
	s_cbranch_execz .LBB185_198
; %bb.197:
	v_mov_b32_e32 v25, 0
	ds_read_b128 v[25:28], v25 offset:10032
	s_waitcnt lgkmcnt(0)
	v_mul_f64 v[29:30], v[13:14], v[27:28]
	v_mul_f64 v[27:28], v[11:12], v[27:28]
	v_fma_f64 v[11:12], v[11:12], v[25:26], -v[29:30]
	v_fma_f64 v[13:14], v[13:14], v[25:26], v[27:28]
	v_xor_b32_e32 v26, 0x80000000, v12
	v_xor_b32_e32 v28, 0x80000000, v14
	v_mov_b32_e32 v25, v11
	v_mov_b32_e32 v27, v13
	ds_write_b128 v21, v[25:28]
.LBB185_198:
	s_or_b64 exec, exec, s[12:13]
	s_waitcnt lgkmcnt(0)
	s_barrier
	s_and_saveexec_b64 s[12:13], s[48:49]
	s_cbranch_execz .LBB185_200
; %bb.199:
	v_lshlrev_b32_e32 v29, 4, v19
	ds_read_b128 v[25:28], v21
	ds_read_b128 v[29:32], v29 offset:9984
	s_waitcnt lgkmcnt(0)
	v_mul_f64 v[33:34], v[27:28], v[31:32]
	v_mul_f64 v[31:32], v[25:26], v[31:32]
	v_fma_f64 v[25:26], v[25:26], v[29:30], -v[33:34]
	v_fma_f64 v[27:28], v[27:28], v[29:30], v[31:32]
	v_add_f64 v[11:12], v[11:12], -v[25:26]
	v_add_f64 v[13:14], v[13:14], -v[27:28]
.LBB185_200:
	s_or_b64 exec, exec, s[12:13]
	s_barrier
	s_and_saveexec_b64 s[12:13], s[50:51]
	s_cbranch_execz .LBB185_202
; %bb.201:
	v_mov_b32_e32 v25, 0
	ds_read_b128 v[25:28], v25 offset:9504
	s_waitcnt lgkmcnt(0)
	v_mul_f64 v[29:30], v[13:14], v[27:28]
	v_mul_f64 v[27:28], v[11:12], v[27:28]
	v_fma_f64 v[11:12], v[11:12], v[25:26], -v[29:30]
	v_fma_f64 v[13:14], v[13:14], v[25:26], v[27:28]
	v_xor_b32_e32 v26, 0x80000000, v12
	v_xor_b32_e32 v28, 0x80000000, v14
	v_mov_b32_e32 v25, v11
	v_mov_b32_e32 v27, v13
	ds_write_b128 v21, v[25:28]
.LBB185_202:
	s_or_b64 exec, exec, s[12:13]
	s_waitcnt lgkmcnt(0)
	s_barrier
	s_and_saveexec_b64 s[12:13], s[52:53]
	s_cbranch_execz .LBB185_204
; %bb.203:
	v_lshlrev_b32_e32 v29, 4, v19
	ds_read_b128 v[25:28], v21
	ds_read_b128 v[29:32], v29 offset:9472
	s_waitcnt lgkmcnt(0)
	v_mul_f64 v[33:34], v[27:28], v[31:32]
	v_mul_f64 v[31:32], v[25:26], v[31:32]
	v_fma_f64 v[25:26], v[25:26], v[29:30], -v[33:34]
	v_fma_f64 v[27:28], v[27:28], v[29:30], v[31:32]
	v_add_f64 v[11:12], v[11:12], -v[25:26]
	v_add_f64 v[13:14], v[13:14], -v[27:28]
.LBB185_204:
	s_or_b64 exec, exec, s[12:13]
	s_barrier
	s_and_saveexec_b64 s[12:13], s[54:55]
	s_cbranch_execz .LBB185_206
; %bb.205:
	v_mov_b32_e32 v25, 0
	ds_read_b128 v[25:28], v25 offset:8976
	s_waitcnt lgkmcnt(0)
	v_mul_f64 v[29:30], v[13:14], v[27:28]
	v_mul_f64 v[27:28], v[11:12], v[27:28]
	v_fma_f64 v[11:12], v[11:12], v[25:26], -v[29:30]
	v_fma_f64 v[13:14], v[13:14], v[25:26], v[27:28]
	v_xor_b32_e32 v26, 0x80000000, v12
	v_xor_b32_e32 v28, 0x80000000, v14
	v_mov_b32_e32 v25, v11
	v_mov_b32_e32 v27, v13
	ds_write_b128 v21, v[25:28]
.LBB185_206:
	s_or_b64 exec, exec, s[12:13]
	s_waitcnt lgkmcnt(0)
	s_barrier
	s_and_saveexec_b64 s[12:13], s[44:45]
	s_cbranch_execz .LBB185_208
; %bb.207:
	v_mov_b32_e32 v29, 0
	ds_read_b128 v[25:28], v21
	ds_read_b128 v[29:32], v29 offset:8960
	s_waitcnt lgkmcnt(0)
	v_mul_f64 v[33:34], v[27:28], v[31:32]
	v_mul_f64 v[31:32], v[25:26], v[31:32]
	v_fma_f64 v[25:26], v[25:26], v[29:30], -v[33:34]
	v_fma_f64 v[27:28], v[27:28], v[29:30], v[31:32]
	v_add_f64 v[11:12], v[11:12], -v[25:26]
	v_add_f64 v[13:14], v[13:14], -v[27:28]
.LBB185_208:
	s_or_b64 exec, exec, s[12:13]
	s_barrier
	s_and_saveexec_b64 s[12:13], s[44:45]
	s_cbranch_execz .LBB185_210
; %bb.209:
	v_mov_b32_e32 v25, 0
	ds_read_b128 v[25:28], v25 offset:8448
	s_waitcnt lgkmcnt(0)
	v_mul_f64 v[29:30], v[13:14], v[27:28]
	v_mul_f64 v[27:28], v[11:12], v[27:28]
	v_fma_f64 v[11:12], v[11:12], v[25:26], -v[29:30]
	v_fma_f64 v[13:14], v[13:14], v[25:26], v[27:28]
	v_xor_b32_e32 v26, 0x80000000, v12
	v_xor_b32_e32 v28, 0x80000000, v14
	v_mov_b32_e32 v25, v11
	v_mov_b32_e32 v27, v13
	ds_write_b128 v21, v[25:28]
.LBB185_210:
	s_or_b64 exec, exec, s[12:13]
	s_waitcnt lgkmcnt(0)
	s_barrier
	s_barrier
	s_and_saveexec_b64 s[12:13], s[16:17]
; %bb.211:
	v_lshlrev_b32_e32 v25, 4, v19
	v_lshl_or_b32 v25, v20, 9, v25
	ds_write_b128 v25, v[11:14] offset:10496
; %bb.212:
	s_or_b64 exec, exec, s[12:13]
	s_waitcnt lgkmcnt(0)
	s_barrier
	s_barrier
	s_and_saveexec_b64 s[12:13], s[56:57]
	s_cbranch_execz .LBB185_214
; %bb.213:
	v_lshlrev_b32_e32 v25, 4, v0
	s_movk_i32 s14, 0x1f0
	v_mad_u32_u24 v26, v0, s14, v25
	ds_read_b128 v[11:14], v26 offset:10496
	s_waitcnt lgkmcnt(0)
	ds_write_b128 v25, v[11:14] offset:8512
	ds_read_b128 v[11:14], v26 offset:10512
	s_waitcnt lgkmcnt(0)
	ds_write_b128 v25, v[11:14] offset:9024
	;; [unrolled: 3-line block ×4, first 2 shown]
.LBB185_214:
	s_or_b64 exec, exec, s[12:13]
	s_waitcnt lgkmcnt(0)
	s_barrier
	s_and_saveexec_b64 s[12:13], vcc
	s_cbranch_execz .LBB185_216
; %bb.215:
	v_mov_b32_e32 v35, 0
	ds_read_b128 v[11:14], v35 offset:10032
	ds_read_b128 v[25:28], v35 offset:9504
	;; [unrolled: 1-line block ×3, first 2 shown]
	s_waitcnt lgkmcnt(1)
	v_mul_f64 v[33:34], v[11:12], v[27:28]
	v_mul_f64 v[27:28], v[13:14], v[27:28]
	v_fma_f64 v[13:14], v[13:14], v[25:26], v[33:34]
	v_fma_f64 v[11:12], v[11:12], v[25:26], -v[27:28]
	s_waitcnt lgkmcnt(0)
	v_mul_f64 v[25:26], v[13:14], v[31:32]
	v_mul_f64 v[27:28], v[11:12], v[31:32]
	v_fma_f64 v[11:12], v[29:30], v[11:12], -v[25:26]
	v_fma_f64 v[13:14], v[29:30], v[13:14], v[27:28]
	ds_write_b128 v35, v[11:14] offset:10016
	ds_write_b128 v35, v[11:14] offset:9520
.LBB185_216:
	s_or_b64 exec, exec, s[12:13]
	v_mov_b32_e32 v11, 0
	v_mov_b32_e32 v13, 0
	;; [unrolled: 1-line block ×4, first 2 shown]
	s_waitcnt lgkmcnt(0)
	s_barrier
	buffer_wbinvl1_vol
	s_and_saveexec_b64 s[14:15], s[2:3]
	s_cbranch_execz .LBB185_220
; %bb.217:
	v_lshlrev_b32_e32 v25, 4, v15
	v_lshlrev_b32_e32 v11, 9, v16
	ds_read_b128 v[11:14], v11 offset:9504
	ds_read_b128 v[25:28], v25 offset:9472
	v_cmp_gt_u32_e64 s[12:13], 2, v18
	s_waitcnt lgkmcnt(0)
	v_mul_f64 v[29:30], v[13:14], v[27:28]
	v_mul_f64 v[27:28], v[11:12], v[27:28]
	v_fma_f64 v[11:12], v[11:12], v[25:26], -v[29:30]
	v_fma_f64 v[13:14], v[13:14], v[25:26], v[27:28]
	v_add_f64 v[11:12], v[11:12], 0
	v_add_f64 v[13:14], v[13:14], 0
	s_and_saveexec_b64 s[18:19], s[12:13]
	s_cbranch_execz .LBB185_219
; %bb.218:
	v_lshlrev_b32_e32 v29, 4, v0
	v_mov_b32_e32 v25, 0
	ds_read_b128 v[25:28], v25 offset:10032
	ds_read_b128 v[29:32], v29 offset:9984
	s_waitcnt lgkmcnt(0)
	v_mul_f64 v[33:34], v[27:28], v[31:32]
	v_mul_f64 v[31:32], v[25:26], v[31:32]
	v_fma_f64 v[25:26], v[25:26], v[29:30], -v[33:34]
	v_fma_f64 v[27:28], v[27:28], v[29:30], v[31:32]
	v_add_f64 v[11:12], v[11:12], v[25:26]
	v_add_f64 v[13:14], v[13:14], v[27:28]
.LBB185_219:
	s_or_b64 exec, exec, s[18:19]
.LBB185_220:
	s_or_b64 exec, exec, s[14:15]
	s_and_saveexec_b64 s[12:13], s[40:41]
	s_cbranch_execz .LBB185_222
; %bb.221:
	v_mov_b32_e32 v25, 0
	ds_read_b128 v[25:28], v25 offset:8976
	s_waitcnt lgkmcnt(0)
	v_mul_f64 v[29:30], v[13:14], v[27:28]
	v_mul_f64 v[27:28], v[11:12], v[27:28]
	v_fma_f64 v[11:12], v[11:12], v[25:26], -v[29:30]
	v_fma_f64 v[13:14], v[13:14], v[25:26], v[27:28]
	v_xor_b32_e32 v26, 0x80000000, v12
	v_xor_b32_e32 v28, 0x80000000, v14
	v_mov_b32_e32 v25, v11
	v_mov_b32_e32 v27, v13
	ds_write_b128 v17, v[25:28]
.LBB185_222:
	s_or_b64 exec, exec, s[12:13]
	s_waitcnt lgkmcnt(0)
	s_barrier
	s_and_saveexec_b64 s[12:13], s[38:39]
	s_cbranch_execz .LBB185_224
; %bb.223:
	v_mov_b32_e32 v29, 0
	ds_read_b128 v[25:28], v17
	ds_read_b128 v[29:32], v29 offset:8960
	s_waitcnt lgkmcnt(0)
	v_mul_f64 v[33:34], v[27:28], v[31:32]
	v_mul_f64 v[31:32], v[25:26], v[31:32]
	v_fma_f64 v[25:26], v[25:26], v[29:30], -v[33:34]
	v_fma_f64 v[27:28], v[27:28], v[29:30], v[31:32]
	v_add_f64 v[11:12], v[11:12], -v[25:26]
	v_add_f64 v[13:14], v[13:14], -v[27:28]
.LBB185_224:
	s_or_b64 exec, exec, s[12:13]
	s_barrier
	s_and_saveexec_b64 s[12:13], s[38:39]
	s_cbranch_execz .LBB185_226
; %bb.225:
	v_mov_b32_e32 v25, 0
	ds_read_b128 v[25:28], v25 offset:8448
	s_waitcnt lgkmcnt(0)
	v_mul_f64 v[29:30], v[13:14], v[27:28]
	v_mul_f64 v[27:28], v[11:12], v[27:28]
	v_fma_f64 v[11:12], v[11:12], v[25:26], -v[29:30]
	v_fma_f64 v[13:14], v[13:14], v[25:26], v[27:28]
	v_xor_b32_e32 v26, 0x80000000, v12
	v_xor_b32_e32 v28, 0x80000000, v14
	v_mov_b32_e32 v25, v11
	v_mov_b32_e32 v27, v13
	ds_write_b128 v17, v[25:28]
.LBB185_226:
	s_or_b64 exec, exec, s[12:13]
	s_waitcnt lgkmcnt(0)
	s_barrier
	s_barrier
	s_and_saveexec_b64 s[12:13], s[2:3]
; %bb.227:
	v_lshlrev_b32_e32 v25, 4, v15
	v_lshl_or_b32 v25, v16, 9, v25
	ds_write_b128 v25, v[11:14] offset:9472
; %bb.228:
	s_or_b64 exec, exec, s[12:13]
	s_waitcnt lgkmcnt(0)
	s_barrier
	s_barrier
	s_and_saveexec_b64 s[12:13], s[42:43]
	s_cbranch_execz .LBB185_230
; %bb.229:
	v_lshlrev_b32_e32 v25, 9, v0
	ds_read_b128 v[11:14], v25 offset:9472
	s_movk_i32 s14, 0xfe10
	v_mad_i32_i24 v26, v0, s14, v25
	s_waitcnt lgkmcnt(0)
	ds_write_b128 v26, v[11:14] offset:8480
	ds_read_b128 v[11:14], v25 offset:9488
	s_waitcnt lgkmcnt(0)
	ds_write_b128 v26, v[11:14] offset:8992
.LBB185_230:
	s_or_b64 exec, exec, s[12:13]
	s_waitcnt lgkmcnt(0)
	s_barrier
	s_and_saveexec_b64 s[12:13], vcc
	s_cbranch_execz .LBB185_232
; %bb.231:
	v_mov_b32_e32 v35, 0
	ds_read_b128 v[11:14], v35 offset:8976
	ds_read_b128 v[25:28], v35 offset:8448
	;; [unrolled: 1-line block ×3, first 2 shown]
	s_waitcnt lgkmcnt(1)
	v_mul_f64 v[33:34], v[11:12], v[27:28]
	v_mul_f64 v[27:28], v[13:14], v[27:28]
	v_fma_f64 v[13:14], v[13:14], v[25:26], v[33:34]
	v_fma_f64 v[11:12], v[11:12], v[25:26], -v[27:28]
	s_waitcnt lgkmcnt(0)
	v_mul_f64 v[25:26], v[13:14], v[31:32]
	v_mul_f64 v[27:28], v[11:12], v[31:32]
	v_fma_f64 v[11:12], v[29:30], v[11:12], -v[25:26]
	v_fma_f64 v[13:14], v[29:30], v[13:14], v[27:28]
	ds_write_b128 v35, v[11:14] offset:8960
	ds_write_b128 v35, v[11:14] offset:8464
.LBB185_232:
	s_or_b64 exec, exec, s[12:13]
	s_movk_i32 s12, 0xff
	v_lshrrev_b32_e32 v27, 4, v18
	v_cmp_lt_u32_e64 s[14:15], s12, v18
	s_movk_i32 s12, 0x100
	v_mov_b32_e32 v13, 0
	v_mov_b32_e32 v11, 0
	v_and_b32_e32 v25, 15, v0
	v_sub_u32_e32 v26, 15, v27
	v_mov_b32_e32 v14, 0
	v_mov_b32_e32 v12, 0
	v_cmp_gt_u32_e64 s[12:13], s12, v18
	s_waitcnt lgkmcnt(0)
	s_barrier
	buffer_wbinvl1_vol
	s_and_saveexec_b64 s[88:89], s[12:13]
	s_cbranch_execz .LBB185_260
; %bb.233:
	v_lshlrev_b32_e32 v29, 9, v26
	v_lshlrev_b32_e32 v28, 4, v25
	ds_read_b128 v[11:14], v29 offset:8448
	ds_read_b128 v[30:33], v28 offset:8192
	s_movk_i32 s18, 0xf0
	v_cmp_gt_u32_e64 s[18:19], s18, v18
	s_waitcnt lgkmcnt(0)
	v_mul_f64 v[34:35], v[13:14], v[32:33]
	v_mul_f64 v[32:33], v[11:12], v[32:33]
	v_fma_f64 v[11:12], v[11:12], v[30:31], -v[34:35]
	v_fma_f64 v[13:14], v[13:14], v[30:31], v[32:33]
	v_add_f64 v[11:12], v[11:12], 0
	v_add_f64 v[13:14], v[13:14], 0
	s_and_saveexec_b64 s[90:91], s[18:19]
	s_cbranch_execz .LBB185_235
; %bb.234:
	ds_read_b128 v[30:33], v29 offset:8464
	ds_read_b128 v[34:37], v28 offset:8704
	s_waitcnt lgkmcnt(0)
	v_mul_f64 v[38:39], v[32:33], v[36:37]
	v_mul_f64 v[36:37], v[30:31], v[36:37]
	v_fma_f64 v[30:31], v[30:31], v[34:35], -v[38:39]
	v_fma_f64 v[32:33], v[32:33], v[34:35], v[36:37]
	v_add_f64 v[11:12], v[11:12], v[30:31]
	v_add_f64 v[13:14], v[13:14], v[32:33]
.LBB185_235:
	s_or_b64 exec, exec, s[90:91]
	s_movk_i32 s18, 0xe0
	v_cmp_gt_u32_e64 s[18:19], s18, v18
	s_and_saveexec_b64 s[90:91], s[18:19]
	s_cbranch_execz .LBB185_237
; %bb.236:
	ds_read_b128 v[30:33], v29 offset:8480
	ds_read_b128 v[34:37], v28 offset:9216
	s_waitcnt lgkmcnt(0)
	v_mul_f64 v[38:39], v[32:33], v[36:37]
	v_mul_f64 v[36:37], v[30:31], v[36:37]
	v_fma_f64 v[30:31], v[30:31], v[34:35], -v[38:39]
	v_fma_f64 v[32:33], v[32:33], v[34:35], v[36:37]
	v_add_f64 v[11:12], v[11:12], v[30:31]
	v_add_f64 v[13:14], v[13:14], v[32:33]
.LBB185_237:
	s_or_b64 exec, exec, s[90:91]
	s_movk_i32 s18, 0xd0
	v_cmp_gt_u32_e64 s[18:19], s18, v18
	;; [unrolled: 16-line block ×10, first 2 shown]
	s_and_saveexec_b64 s[90:91], s[18:19]
	s_cbranch_execnz .LBB185_561
; %bb.254:
	s_or_b64 exec, exec, s[90:91]
	s_and_saveexec_b64 s[18:19], s[8:9]
	s_cbranch_execnz .LBB185_562
.LBB185_255:
	s_or_b64 exec, exec, s[18:19]
	v_cmp_gt_u32_e64 s[18:19], 48, v18
	s_and_saveexec_b64 s[90:91], s[18:19]
	s_cbranch_execnz .LBB185_563
.LBB185_256:
	s_or_b64 exec, exec, s[90:91]
	v_cmp_gt_u32_e64 s[18:19], 32, v18
	s_and_saveexec_b64 s[90:91], s[18:19]
	s_cbranch_execnz .LBB185_564
.LBB185_257:
	s_or_b64 exec, exec, s[90:91]
	v_cmp_gt_u32_e64 s[18:19], 16, v18
	s_and_saveexec_b64 s[90:91], s[18:19]
	s_cbranch_execz .LBB185_259
.LBB185_258:
	v_lshlrev_b32_e32 v32, 4, v0
	v_mov_b32_e32 v28, 0
	ds_read_b128 v[28:31], v28 offset:16368
	ds_read_b128 v[32:35], v32 offset:15872
	s_waitcnt lgkmcnt(0)
	v_mul_f64 v[36:37], v[30:31], v[34:35]
	v_mul_f64 v[34:35], v[28:29], v[34:35]
	v_fma_f64 v[28:29], v[28:29], v[32:33], -v[36:37]
	v_fma_f64 v[30:31], v[30:31], v[32:33], v[34:35]
	v_add_f64 v[11:12], v[11:12], v[28:29]
	v_add_f64 v[13:14], v[13:14], v[30:31]
.LBB185_259:
	s_or_b64 exec, exec, s[90:91]
.LBB185_260:
	s_or_b64 exec, exec, s[88:89]
	v_mov_b32_e32 v28, 0x4000
	v_cmp_eq_u32_e64 s[18:19], 15, v25
	s_xor_b64 s[88:89], s[14:15], -1
	v_lshl_add_u32 v27, v27, 4, v28
	s_and_b64 s[18:19], s[18:19], s[88:89]
	s_and_saveexec_b64 s[14:15], s[18:19]
	s_cbranch_execz .LBB185_262
; %bb.261:
	v_mov_b32_e32 v28, 0
	ds_read_b128 v[28:31], v28 offset:7920
	s_waitcnt lgkmcnt(0)
	v_mul_f64 v[32:33], v[13:14], v[30:31]
	v_mul_f64 v[30:31], v[11:12], v[30:31]
	v_fma_f64 v[11:12], v[11:12], v[28:29], -v[32:33]
	v_fma_f64 v[13:14], v[13:14], v[28:29], v[30:31]
	v_xor_b32_e32 v29, 0x80000000, v12
	v_xor_b32_e32 v31, 0x80000000, v14
	v_mov_b32_e32 v28, v11
	v_mov_b32_e32 v30, v13
	ds_write_b128 v27, v[28:31]
.LBB185_262:
	s_or_b64 exec, exec, s[14:15]
	v_cmp_ne_u32_e64 s[14:15], 15, v25
	s_and_b64 s[18:19], s[14:15], s[88:89]
	s_waitcnt lgkmcnt(0)
	s_barrier
	s_and_saveexec_b64 s[14:15], s[18:19]
	s_cbranch_execz .LBB185_264
; %bb.263:
	v_lshlrev_b32_e32 v32, 4, v25
	ds_read_b128 v[28:31], v27
	ds_read_b128 v[32:35], v32 offset:7680
	s_waitcnt lgkmcnt(0)
	v_mul_f64 v[36:37], v[30:31], v[34:35]
	v_mul_f64 v[34:35], v[28:29], v[34:35]
	v_fma_f64 v[28:29], v[28:29], v[32:33], -v[36:37]
	v_fma_f64 v[30:31], v[30:31], v[32:33], v[34:35]
	v_add_f64 v[11:12], v[11:12], -v[28:29]
	v_add_f64 v[13:14], v[13:14], -v[30:31]
.LBB185_264:
	s_or_b64 exec, exec, s[14:15]
	v_cmp_eq_u32_e64 s[14:15], 14, v25
	s_and_b64 s[18:19], s[14:15], s[88:89]
	s_barrier
	s_and_saveexec_b64 s[14:15], s[18:19]
	s_cbranch_execz .LBB185_266
; %bb.265:
	v_mov_b32_e32 v28, 0
	ds_read_b128 v[28:31], v28 offset:7392
	s_waitcnt lgkmcnt(0)
	v_mul_f64 v[32:33], v[13:14], v[30:31]
	v_mul_f64 v[30:31], v[11:12], v[30:31]
	v_fma_f64 v[11:12], v[11:12], v[28:29], -v[32:33]
	v_fma_f64 v[13:14], v[13:14], v[28:29], v[30:31]
	v_xor_b32_e32 v29, 0x80000000, v12
	v_xor_b32_e32 v31, 0x80000000, v14
	v_mov_b32_e32 v28, v11
	v_mov_b32_e32 v30, v13
	ds_write_b128 v27, v[28:31]
.LBB185_266:
	s_or_b64 exec, exec, s[14:15]
	v_cmp_gt_u32_e64 s[14:15], 14, v25
	s_and_b64 s[18:19], s[14:15], s[88:89]
	s_waitcnt lgkmcnt(0)
	s_barrier
	s_and_saveexec_b64 s[14:15], s[18:19]
	s_cbranch_execz .LBB185_268
; %bb.267:
	v_lshlrev_b32_e32 v32, 4, v25
	ds_read_b128 v[28:31], v27
	ds_read_b128 v[32:35], v32 offset:7168
	s_waitcnt lgkmcnt(0)
	v_mul_f64 v[36:37], v[30:31], v[34:35]
	v_mul_f64 v[34:35], v[28:29], v[34:35]
	v_fma_f64 v[28:29], v[28:29], v[32:33], -v[36:37]
	v_fma_f64 v[30:31], v[30:31], v[32:33], v[34:35]
	v_add_f64 v[11:12], v[11:12], -v[28:29]
	v_add_f64 v[13:14], v[13:14], -v[30:31]
.LBB185_268:
	s_or_b64 exec, exec, s[14:15]
	v_cmp_eq_u32_e64 s[14:15], 13, v25
	s_and_b64 s[18:19], s[14:15], s[88:89]
	s_barrier
	s_and_saveexec_b64 s[14:15], s[18:19]
	s_cbranch_execz .LBB185_270
; %bb.269:
	v_mov_b32_e32 v28, 0
	ds_read_b128 v[28:31], v28 offset:6864
	s_waitcnt lgkmcnt(0)
	v_mul_f64 v[32:33], v[13:14], v[30:31]
	v_mul_f64 v[30:31], v[11:12], v[30:31]
	v_fma_f64 v[11:12], v[11:12], v[28:29], -v[32:33]
	v_fma_f64 v[13:14], v[13:14], v[28:29], v[30:31]
	v_xor_b32_e32 v29, 0x80000000, v12
	v_xor_b32_e32 v31, 0x80000000, v14
	v_mov_b32_e32 v28, v11
	v_mov_b32_e32 v30, v13
	ds_write_b128 v27, v[28:31]
.LBB185_270:
	s_or_b64 exec, exec, s[14:15]
	v_cmp_gt_u32_e64 s[14:15], 13, v25
	;; [unrolled: 39-line block ×13, first 2 shown]
	s_and_b64 s[18:19], s[14:15], s[88:89]
	s_waitcnt lgkmcnt(0)
	s_barrier
	s_and_saveexec_b64 s[14:15], s[18:19]
	s_cbranch_execz .LBB185_316
; %bb.315:
	v_lshlrev_b32_e32 v32, 4, v25
	ds_read_b128 v[28:31], v27
	ds_read_b128 v[32:35], v32 offset:1024
	s_waitcnt lgkmcnt(0)
	v_mul_f64 v[36:37], v[30:31], v[34:35]
	v_mul_f64 v[34:35], v[28:29], v[34:35]
	v_fma_f64 v[28:29], v[28:29], v[32:33], -v[36:37]
	v_fma_f64 v[30:31], v[30:31], v[32:33], v[34:35]
	v_add_f64 v[11:12], v[11:12], -v[28:29]
	v_add_f64 v[13:14], v[13:14], -v[30:31]
.LBB185_316:
	s_or_b64 exec, exec, s[14:15]
	v_cmp_eq_u32_e64 s[14:15], 1, v25
	s_and_b64 s[18:19], s[14:15], s[88:89]
	s_barrier
	s_and_saveexec_b64 s[14:15], s[18:19]
	s_cbranch_execz .LBB185_318
; %bb.317:
	v_mov_b32_e32 v28, 0
	ds_read_b128 v[28:31], v28 offset:528
	s_waitcnt lgkmcnt(0)
	v_mul_f64 v[32:33], v[13:14], v[30:31]
	v_mul_f64 v[30:31], v[11:12], v[30:31]
	v_fma_f64 v[11:12], v[11:12], v[28:29], -v[32:33]
	v_fma_f64 v[13:14], v[13:14], v[28:29], v[30:31]
	v_xor_b32_e32 v29, 0x80000000, v12
	v_xor_b32_e32 v31, 0x80000000, v14
	v_mov_b32_e32 v28, v11
	v_mov_b32_e32 v30, v13
	ds_write_b128 v27, v[28:31]
.LBB185_318:
	s_or_b64 exec, exec, s[14:15]
	v_cmp_eq_u32_e64 s[14:15], 0, v25
	s_and_b64 s[14:15], s[14:15], s[88:89]
	s_waitcnt lgkmcnt(0)
	s_barrier
	s_and_saveexec_b64 s[18:19], s[14:15]
	s_cbranch_execz .LBB185_320
; %bb.319:
	v_mov_b32_e32 v32, 0
	ds_read_b128 v[28:31], v27
	ds_read_b128 v[32:35], v32 offset:512
	s_waitcnt lgkmcnt(0)
	v_mul_f64 v[36:37], v[30:31], v[34:35]
	v_mul_f64 v[34:35], v[28:29], v[34:35]
	v_fma_f64 v[28:29], v[28:29], v[32:33], -v[36:37]
	v_fma_f64 v[30:31], v[30:31], v[32:33], v[34:35]
	v_add_f64 v[11:12], v[11:12], -v[28:29]
	v_add_f64 v[13:14], v[13:14], -v[30:31]
.LBB185_320:
	s_or_b64 exec, exec, s[18:19]
	s_barrier
	s_and_saveexec_b64 s[18:19], s[14:15]
	s_cbranch_execz .LBB185_322
; %bb.321:
	v_mov_b32_e32 v28, 0
	ds_read_b128 v[28:31], v28
	s_waitcnt lgkmcnt(0)
	v_mul_f64 v[32:33], v[13:14], v[30:31]
	v_mul_f64 v[30:31], v[11:12], v[30:31]
	v_fma_f64 v[11:12], v[11:12], v[28:29], -v[32:33]
	v_fma_f64 v[13:14], v[13:14], v[28:29], v[30:31]
	v_xor_b32_e32 v29, 0x80000000, v12
	v_xor_b32_e32 v31, 0x80000000, v14
	v_mov_b32_e32 v28, v11
	v_mov_b32_e32 v30, v13
	ds_write_b128 v27, v[28:31]
.LBB185_322:
	s_or_b64 exec, exec, s[18:19]
	s_waitcnt lgkmcnt(0)
	s_barrier
	s_barrier
	s_and_saveexec_b64 s[14:15], s[12:13]
; %bb.323:
	v_lshlrev_b32_e32 v25, 4, v25
	v_lshl_or_b32 v25, v26, 9, v25
	ds_write_b128 v25, v[11:14] offset:8192
; %bb.324:
	s_or_b64 exec, exec, s[14:15]
	v_cmp_gt_u32_e64 s[12:13], 16, v0
	s_and_b64 s[12:13], s[10:11], s[12:13]
	s_waitcnt lgkmcnt(0)
	s_barrier
	s_barrier
	s_and_saveexec_b64 s[10:11], s[12:13]
	s_cbranch_execz .LBB185_326
; %bb.325:
	v_lshlrev_b32_e32 v25, 9, v0
	ds_read_b128 v[11:14], v25 offset:8192
	s_movk_i32 s12, 0xfe10
	v_mad_i32_i24 v26, v0, s12, v25
	s_waitcnt lgkmcnt(0)
	ds_write_b128 v26, v[11:14] offset:256
	ds_read_b128 v[11:14], v25 offset:8208
	s_waitcnt lgkmcnt(0)
	ds_write_b128 v26, v[11:14] offset:768
	ds_read_b128 v[11:14], v25 offset:8224
	;; [unrolled: 3-line block ×15, first 2 shown]
	s_waitcnt lgkmcnt(0)
	ds_write_b128 v26, v[11:14] offset:7936
.LBB185_326:
	s_or_b64 exec, exec, s[10:11]
	s_waitcnt lgkmcnt(0)
	s_barrier
	s_and_saveexec_b64 s[10:11], vcc
	s_cbranch_execz .LBB185_328
; %bb.327:
	v_mov_b32_e32 v35, 0
	ds_read_b128 v[11:14], v35 offset:7920
	ds_read_b128 v[25:28], v35 offset:7392
	;; [unrolled: 1-line block ×3, first 2 shown]
	s_waitcnt lgkmcnt(1)
	v_mul_f64 v[33:34], v[11:12], v[27:28]
	v_mul_f64 v[27:28], v[13:14], v[27:28]
	v_fma_f64 v[13:14], v[13:14], v[25:26], v[33:34]
	v_fma_f64 v[11:12], v[11:12], v[25:26], -v[27:28]
	s_waitcnt lgkmcnt(0)
	v_mul_f64 v[25:26], v[13:14], v[31:32]
	v_mul_f64 v[27:28], v[11:12], v[31:32]
	v_fma_f64 v[11:12], v[29:30], v[11:12], -v[25:26]
	v_fma_f64 v[13:14], v[29:30], v[13:14], v[27:28]
	ds_write_b128 v35, v[11:14] offset:7904
	ds_write_b128 v35, v[11:14] offset:7408
.LBB185_328:
	s_or_b64 exec, exec, s[10:11]
	v_mov_b32_e32 v11, 0
	v_mov_b32_e32 v13, 0
	;; [unrolled: 1-line block ×4, first 2 shown]
	s_waitcnt lgkmcnt(0)
	s_barrier
	buffer_wbinvl1_vol
	s_and_saveexec_b64 s[12:13], s[2:3]
	s_cbranch_execz .LBB185_332
; %bb.329:
	v_lshlrev_b32_e32 v25, 4, v15
	v_lshlrev_b32_e32 v11, 9, v16
	ds_read_b128 v[11:14], v11 offset:7392
	ds_read_b128 v[25:28], v25 offset:7360
	v_cmp_gt_u32_e64 s[10:11], 2, v18
	s_waitcnt lgkmcnt(0)
	v_mul_f64 v[29:30], v[13:14], v[27:28]
	v_mul_f64 v[27:28], v[11:12], v[27:28]
	v_fma_f64 v[11:12], v[11:12], v[25:26], -v[29:30]
	v_fma_f64 v[13:14], v[13:14], v[25:26], v[27:28]
	v_add_f64 v[11:12], v[11:12], 0
	v_add_f64 v[13:14], v[13:14], 0
	s_and_saveexec_b64 s[14:15], s[10:11]
	s_cbranch_execz .LBB185_331
; %bb.330:
	v_lshlrev_b32_e32 v29, 4, v0
	v_mov_b32_e32 v25, 0
	ds_read_b128 v[25:28], v25 offset:7920
	ds_read_b128 v[29:32], v29 offset:7872
	s_waitcnt lgkmcnt(0)
	v_mul_f64 v[33:34], v[27:28], v[31:32]
	v_mul_f64 v[31:32], v[25:26], v[31:32]
	v_fma_f64 v[25:26], v[25:26], v[29:30], -v[33:34]
	v_fma_f64 v[27:28], v[27:28], v[29:30], v[31:32]
	v_add_f64 v[11:12], v[11:12], v[25:26]
	v_add_f64 v[13:14], v[13:14], v[27:28]
.LBB185_331:
	s_or_b64 exec, exec, s[14:15]
.LBB185_332:
	s_or_b64 exec, exec, s[12:13]
	s_and_saveexec_b64 s[10:11], s[40:41]
	s_cbranch_execz .LBB185_334
; %bb.333:
	v_mov_b32_e32 v25, 0
	ds_read_b128 v[25:28], v25 offset:6864
	s_waitcnt lgkmcnt(0)
	v_mul_f64 v[29:30], v[13:14], v[27:28]
	v_mul_f64 v[27:28], v[11:12], v[27:28]
	v_fma_f64 v[11:12], v[11:12], v[25:26], -v[29:30]
	v_fma_f64 v[13:14], v[13:14], v[25:26], v[27:28]
	v_xor_b32_e32 v26, 0x80000000, v12
	v_xor_b32_e32 v28, 0x80000000, v14
	v_mov_b32_e32 v25, v11
	v_mov_b32_e32 v27, v13
	ds_write_b128 v17, v[25:28]
.LBB185_334:
	s_or_b64 exec, exec, s[10:11]
	s_waitcnt lgkmcnt(0)
	s_barrier
	s_and_saveexec_b64 s[10:11], s[38:39]
	s_cbranch_execz .LBB185_336
; %bb.335:
	v_mov_b32_e32 v29, 0
	ds_read_b128 v[25:28], v17
	ds_read_b128 v[29:32], v29 offset:6848
	s_waitcnt lgkmcnt(0)
	v_mul_f64 v[33:34], v[27:28], v[31:32]
	v_mul_f64 v[31:32], v[25:26], v[31:32]
	v_fma_f64 v[25:26], v[25:26], v[29:30], -v[33:34]
	v_fma_f64 v[27:28], v[27:28], v[29:30], v[31:32]
	v_add_f64 v[11:12], v[11:12], -v[25:26]
	v_add_f64 v[13:14], v[13:14], -v[27:28]
.LBB185_336:
	s_or_b64 exec, exec, s[10:11]
	s_barrier
	s_and_saveexec_b64 s[10:11], s[38:39]
	s_cbranch_execz .LBB185_338
; %bb.337:
	v_mov_b32_e32 v25, 0
	ds_read_b128 v[25:28], v25 offset:6336
	s_waitcnt lgkmcnt(0)
	v_mul_f64 v[29:30], v[13:14], v[27:28]
	v_mul_f64 v[27:28], v[11:12], v[27:28]
	v_fma_f64 v[11:12], v[11:12], v[25:26], -v[29:30]
	v_fma_f64 v[13:14], v[13:14], v[25:26], v[27:28]
	v_xor_b32_e32 v26, 0x80000000, v12
	v_xor_b32_e32 v28, 0x80000000, v14
	v_mov_b32_e32 v25, v11
	v_mov_b32_e32 v27, v13
	ds_write_b128 v17, v[25:28]
.LBB185_338:
	s_or_b64 exec, exec, s[10:11]
	s_waitcnt lgkmcnt(0)
	s_barrier
	s_barrier
	s_and_saveexec_b64 s[10:11], s[2:3]
; %bb.339:
	v_lshlrev_b32_e32 v25, 4, v15
	v_lshl_or_b32 v25, v16, 9, v25
	ds_write_b128 v25, v[11:14] offset:7360
; %bb.340:
	s_or_b64 exec, exec, s[10:11]
	s_waitcnt lgkmcnt(0)
	s_barrier
	s_barrier
	s_and_saveexec_b64 s[10:11], s[42:43]
	s_cbranch_execz .LBB185_342
; %bb.341:
	v_lshlrev_b32_e32 v25, 9, v0
	ds_read_b128 v[11:14], v25 offset:7360
	s_movk_i32 s12, 0xfe10
	v_mad_i32_i24 v26, v0, s12, v25
	s_waitcnt lgkmcnt(0)
	ds_write_b128 v26, v[11:14] offset:6368
	ds_read_b128 v[11:14], v25 offset:7376
	s_waitcnt lgkmcnt(0)
	ds_write_b128 v26, v[11:14] offset:6880
.LBB185_342:
	s_or_b64 exec, exec, s[10:11]
	s_waitcnt lgkmcnt(0)
	s_barrier
	s_and_saveexec_b64 s[10:11], vcc
	s_cbranch_execz .LBB185_344
; %bb.343:
	v_mov_b32_e32 v35, 0
	ds_read_b128 v[11:14], v35 offset:6864
	ds_read_b128 v[25:28], v35 offset:6336
	;; [unrolled: 1-line block ×3, first 2 shown]
	s_waitcnt lgkmcnt(1)
	v_mul_f64 v[33:34], v[11:12], v[27:28]
	v_mul_f64 v[27:28], v[13:14], v[27:28]
	v_fma_f64 v[13:14], v[13:14], v[25:26], v[33:34]
	v_fma_f64 v[11:12], v[11:12], v[25:26], -v[27:28]
	s_waitcnt lgkmcnt(0)
	v_mul_f64 v[25:26], v[13:14], v[31:32]
	v_mul_f64 v[27:28], v[11:12], v[31:32]
	v_fma_f64 v[11:12], v[29:30], v[11:12], -v[25:26]
	v_fma_f64 v[13:14], v[29:30], v[13:14], v[27:28]
	ds_write_b128 v35, v[11:14] offset:6848
	ds_write_b128 v35, v[11:14] offset:6352
.LBB185_344:
	s_or_b64 exec, exec, s[10:11]
	v_mov_b32_e32 v13, 0
	v_mov_b32_e32 v11, 0
	v_mov_b32_e32 v14, 0
	v_mov_b32_e32 v12, 0
	s_waitcnt lgkmcnt(0)
	s_barrier
	buffer_wbinvl1_vol
	s_and_saveexec_b64 s[12:13], s[16:17]
	s_cbranch_execz .LBB185_350
; %bb.345:
	v_lshlrev_b32_e32 v26, 9, v20
	v_lshlrev_b32_e32 v25, 4, v19
	ds_read_b128 v[11:14], v26 offset:6336
	ds_read_b128 v[27:30], v25 offset:6272
	v_cmp_gt_u32_e64 s[10:11], 12, v18
	s_waitcnt lgkmcnt(0)
	v_mul_f64 v[31:32], v[13:14], v[29:30]
	v_mul_f64 v[29:30], v[11:12], v[29:30]
	v_fma_f64 v[11:12], v[11:12], v[27:28], -v[31:32]
	v_fma_f64 v[13:14], v[13:14], v[27:28], v[29:30]
	v_add_f64 v[11:12], v[11:12], 0
	v_add_f64 v[13:14], v[13:14], 0
	s_and_saveexec_b64 s[14:15], s[10:11]
	s_cbranch_execnz .LBB185_565
; %bb.346:
	s_or_b64 exec, exec, s[14:15]
	v_cmp_gt_u32_e64 s[10:11], 8, v18
	s_and_saveexec_b64 s[14:15], s[10:11]
	s_cbranch_execnz .LBB185_566
.LBB185_347:
	s_or_b64 exec, exec, s[14:15]
	v_cmp_gt_u32_e64 s[10:11], 4, v18
	s_and_saveexec_b64 s[14:15], s[10:11]
	s_cbranch_execz .LBB185_349
.LBB185_348:
	v_lshlrev_b32_e32 v29, 4, v0
	v_mov_b32_e32 v25, 0
	ds_read_b128 v[25:28], v25 offset:7920
	ds_read_b128 v[29:32], v29 offset:7808
	s_waitcnt lgkmcnt(0)
	v_mul_f64 v[33:34], v[27:28], v[31:32]
	v_mul_f64 v[31:32], v[25:26], v[31:32]
	v_fma_f64 v[25:26], v[25:26], v[29:30], -v[33:34]
	v_fma_f64 v[27:28], v[27:28], v[29:30], v[31:32]
	v_add_f64 v[11:12], v[11:12], v[25:26]
	v_add_f64 v[13:14], v[13:14], v[27:28]
.LBB185_349:
	s_or_b64 exec, exec, s[14:15]
.LBB185_350:
	s_or_b64 exec, exec, s[12:13]
	s_and_saveexec_b64 s[10:11], s[46:47]
	s_cbranch_execz .LBB185_352
; %bb.351:
	v_mov_b32_e32 v25, 0
	ds_read_b128 v[25:28], v25 offset:5808
	s_waitcnt lgkmcnt(0)
	v_mul_f64 v[29:30], v[13:14], v[27:28]
	v_mul_f64 v[27:28], v[11:12], v[27:28]
	v_fma_f64 v[11:12], v[11:12], v[25:26], -v[29:30]
	v_fma_f64 v[13:14], v[13:14], v[25:26], v[27:28]
	v_xor_b32_e32 v26, 0x80000000, v12
	v_xor_b32_e32 v28, 0x80000000, v14
	v_mov_b32_e32 v25, v11
	v_mov_b32_e32 v27, v13
	ds_write_b128 v21, v[25:28]
.LBB185_352:
	s_or_b64 exec, exec, s[10:11]
	s_waitcnt lgkmcnt(0)
	s_barrier
	s_and_saveexec_b64 s[10:11], s[48:49]
	s_cbranch_execz .LBB185_354
; %bb.353:
	v_lshlrev_b32_e32 v29, 4, v19
	ds_read_b128 v[25:28], v21
	ds_read_b128 v[29:32], v29 offset:5760
	s_waitcnt lgkmcnt(0)
	v_mul_f64 v[33:34], v[27:28], v[31:32]
	v_mul_f64 v[31:32], v[25:26], v[31:32]
	v_fma_f64 v[25:26], v[25:26], v[29:30], -v[33:34]
	v_fma_f64 v[27:28], v[27:28], v[29:30], v[31:32]
	v_add_f64 v[11:12], v[11:12], -v[25:26]
	v_add_f64 v[13:14], v[13:14], -v[27:28]
.LBB185_354:
	s_or_b64 exec, exec, s[10:11]
	s_barrier
	s_and_saveexec_b64 s[10:11], s[50:51]
	s_cbranch_execz .LBB185_356
; %bb.355:
	v_mov_b32_e32 v25, 0
	ds_read_b128 v[25:28], v25 offset:5280
	s_waitcnt lgkmcnt(0)
	v_mul_f64 v[29:30], v[13:14], v[27:28]
	v_mul_f64 v[27:28], v[11:12], v[27:28]
	v_fma_f64 v[11:12], v[11:12], v[25:26], -v[29:30]
	v_fma_f64 v[13:14], v[13:14], v[25:26], v[27:28]
	v_xor_b32_e32 v26, 0x80000000, v12
	v_xor_b32_e32 v28, 0x80000000, v14
	v_mov_b32_e32 v25, v11
	v_mov_b32_e32 v27, v13
	ds_write_b128 v21, v[25:28]
.LBB185_356:
	s_or_b64 exec, exec, s[10:11]
	s_waitcnt lgkmcnt(0)
	s_barrier
	s_and_saveexec_b64 s[10:11], s[52:53]
	s_cbranch_execz .LBB185_358
; %bb.357:
	v_lshlrev_b32_e32 v29, 4, v19
	ds_read_b128 v[25:28], v21
	ds_read_b128 v[29:32], v29 offset:5248
	s_waitcnt lgkmcnt(0)
	v_mul_f64 v[33:34], v[27:28], v[31:32]
	v_mul_f64 v[31:32], v[25:26], v[31:32]
	v_fma_f64 v[25:26], v[25:26], v[29:30], -v[33:34]
	v_fma_f64 v[27:28], v[27:28], v[29:30], v[31:32]
	v_add_f64 v[11:12], v[11:12], -v[25:26]
	v_add_f64 v[13:14], v[13:14], -v[27:28]
.LBB185_358:
	s_or_b64 exec, exec, s[10:11]
	s_barrier
	s_and_saveexec_b64 s[10:11], s[54:55]
	s_cbranch_execz .LBB185_360
; %bb.359:
	v_mov_b32_e32 v25, 0
	ds_read_b128 v[25:28], v25 offset:4752
	s_waitcnt lgkmcnt(0)
	v_mul_f64 v[29:30], v[13:14], v[27:28]
	v_mul_f64 v[27:28], v[11:12], v[27:28]
	v_fma_f64 v[11:12], v[11:12], v[25:26], -v[29:30]
	v_fma_f64 v[13:14], v[13:14], v[25:26], v[27:28]
	v_xor_b32_e32 v26, 0x80000000, v12
	v_xor_b32_e32 v28, 0x80000000, v14
	v_mov_b32_e32 v25, v11
	v_mov_b32_e32 v27, v13
	ds_write_b128 v21, v[25:28]
.LBB185_360:
	s_or_b64 exec, exec, s[10:11]
	s_waitcnt lgkmcnt(0)
	s_barrier
	s_and_saveexec_b64 s[10:11], s[44:45]
	s_cbranch_execz .LBB185_362
; %bb.361:
	v_mov_b32_e32 v29, 0
	ds_read_b128 v[25:28], v21
	ds_read_b128 v[29:32], v29 offset:4736
	s_waitcnt lgkmcnt(0)
	v_mul_f64 v[33:34], v[27:28], v[31:32]
	v_mul_f64 v[31:32], v[25:26], v[31:32]
	v_fma_f64 v[25:26], v[25:26], v[29:30], -v[33:34]
	v_fma_f64 v[27:28], v[27:28], v[29:30], v[31:32]
	v_add_f64 v[11:12], v[11:12], -v[25:26]
	v_add_f64 v[13:14], v[13:14], -v[27:28]
.LBB185_362:
	s_or_b64 exec, exec, s[10:11]
	s_barrier
	s_and_saveexec_b64 s[10:11], s[44:45]
	s_cbranch_execz .LBB185_364
; %bb.363:
	v_mov_b32_e32 v25, 0
	ds_read_b128 v[25:28], v25 offset:4224
	s_waitcnt lgkmcnt(0)
	v_mul_f64 v[29:30], v[13:14], v[27:28]
	v_mul_f64 v[27:28], v[11:12], v[27:28]
	v_fma_f64 v[11:12], v[11:12], v[25:26], -v[29:30]
	v_fma_f64 v[13:14], v[13:14], v[25:26], v[27:28]
	v_xor_b32_e32 v26, 0x80000000, v12
	v_xor_b32_e32 v28, 0x80000000, v14
	v_mov_b32_e32 v25, v11
	v_mov_b32_e32 v27, v13
	ds_write_b128 v21, v[25:28]
.LBB185_364:
	s_or_b64 exec, exec, s[10:11]
	s_waitcnt lgkmcnt(0)
	s_barrier
	s_barrier
	s_and_saveexec_b64 s[10:11], s[16:17]
; %bb.365:
	v_lshlrev_b32_e32 v25, 4, v19
	v_lshl_or_b32 v25, v20, 9, v25
	ds_write_b128 v25, v[11:14] offset:6272
; %bb.366:
	s_or_b64 exec, exec, s[10:11]
	s_waitcnt lgkmcnt(0)
	s_barrier
	s_barrier
	s_and_saveexec_b64 s[10:11], s[56:57]
	s_cbranch_execz .LBB185_368
; %bb.367:
	v_lshlrev_b32_e32 v25, 4, v0
	s_movk_i32 s12, 0x1f0
	v_mad_u32_u24 v26, v0, s12, v25
	ds_read_b128 v[11:14], v26 offset:6272
	s_waitcnt lgkmcnt(0)
	ds_write_b128 v25, v[11:14] offset:4288
	ds_read_b128 v[11:14], v26 offset:6288
	s_waitcnt lgkmcnt(0)
	ds_write_b128 v25, v[11:14] offset:4800
	;; [unrolled: 3-line block ×4, first 2 shown]
.LBB185_368:
	s_or_b64 exec, exec, s[10:11]
	s_waitcnt lgkmcnt(0)
	s_barrier
	s_and_saveexec_b64 s[10:11], vcc
	s_cbranch_execz .LBB185_370
; %bb.369:
	v_mov_b32_e32 v35, 0
	ds_read_b128 v[11:14], v35 offset:5808
	ds_read_b128 v[25:28], v35 offset:5280
	;; [unrolled: 1-line block ×3, first 2 shown]
	s_waitcnt lgkmcnt(1)
	v_mul_f64 v[33:34], v[11:12], v[27:28]
	v_mul_f64 v[27:28], v[13:14], v[27:28]
	v_fma_f64 v[13:14], v[13:14], v[25:26], v[33:34]
	v_fma_f64 v[11:12], v[11:12], v[25:26], -v[27:28]
	s_waitcnt lgkmcnt(0)
	v_mul_f64 v[25:26], v[13:14], v[31:32]
	v_mul_f64 v[27:28], v[11:12], v[31:32]
	v_fma_f64 v[11:12], v[29:30], v[11:12], -v[25:26]
	v_fma_f64 v[13:14], v[29:30], v[13:14], v[27:28]
	ds_write_b128 v35, v[11:14] offset:5792
	ds_write_b128 v35, v[11:14] offset:5296
.LBB185_370:
	s_or_b64 exec, exec, s[10:11]
	v_mov_b32_e32 v11, 0
	v_mov_b32_e32 v13, 0
	;; [unrolled: 1-line block ×4, first 2 shown]
	s_waitcnt lgkmcnt(0)
	s_barrier
	buffer_wbinvl1_vol
	s_and_saveexec_b64 s[12:13], s[2:3]
	s_cbranch_execz .LBB185_374
; %bb.371:
	v_lshlrev_b32_e32 v25, 4, v15
	v_lshlrev_b32_e32 v11, 9, v16
	ds_read_b128 v[11:14], v11 offset:5280
	ds_read_b128 v[25:28], v25 offset:5248
	v_cmp_gt_u32_e64 s[10:11], 2, v18
	s_waitcnt lgkmcnt(0)
	v_mul_f64 v[29:30], v[13:14], v[27:28]
	v_mul_f64 v[27:28], v[11:12], v[27:28]
	v_fma_f64 v[11:12], v[11:12], v[25:26], -v[29:30]
	v_fma_f64 v[13:14], v[13:14], v[25:26], v[27:28]
	v_add_f64 v[11:12], v[11:12], 0
	v_add_f64 v[13:14], v[13:14], 0
	s_and_saveexec_b64 s[14:15], s[10:11]
	s_cbranch_execz .LBB185_373
; %bb.372:
	v_lshlrev_b32_e32 v29, 4, v0
	v_mov_b32_e32 v25, 0
	ds_read_b128 v[25:28], v25 offset:5808
	ds_read_b128 v[29:32], v29 offset:5760
	s_waitcnt lgkmcnt(0)
	v_mul_f64 v[33:34], v[27:28], v[31:32]
	v_mul_f64 v[31:32], v[25:26], v[31:32]
	v_fma_f64 v[25:26], v[25:26], v[29:30], -v[33:34]
	v_fma_f64 v[27:28], v[27:28], v[29:30], v[31:32]
	v_add_f64 v[11:12], v[11:12], v[25:26]
	v_add_f64 v[13:14], v[13:14], v[27:28]
.LBB185_373:
	s_or_b64 exec, exec, s[14:15]
.LBB185_374:
	s_or_b64 exec, exec, s[12:13]
	s_and_saveexec_b64 s[10:11], s[40:41]
	s_cbranch_execz .LBB185_376
; %bb.375:
	v_mov_b32_e32 v25, 0
	ds_read_b128 v[25:28], v25 offset:4752
	s_waitcnt lgkmcnt(0)
	v_mul_f64 v[29:30], v[13:14], v[27:28]
	v_mul_f64 v[27:28], v[11:12], v[27:28]
	v_fma_f64 v[11:12], v[11:12], v[25:26], -v[29:30]
	v_fma_f64 v[13:14], v[13:14], v[25:26], v[27:28]
	v_xor_b32_e32 v26, 0x80000000, v12
	v_xor_b32_e32 v28, 0x80000000, v14
	v_mov_b32_e32 v25, v11
	v_mov_b32_e32 v27, v13
	ds_write_b128 v17, v[25:28]
.LBB185_376:
	s_or_b64 exec, exec, s[10:11]
	s_waitcnt lgkmcnt(0)
	s_barrier
	s_and_saveexec_b64 s[10:11], s[38:39]
	s_cbranch_execz .LBB185_378
; %bb.377:
	v_mov_b32_e32 v29, 0
	ds_read_b128 v[25:28], v17
	ds_read_b128 v[29:32], v29 offset:4736
	s_waitcnt lgkmcnt(0)
	v_mul_f64 v[33:34], v[27:28], v[31:32]
	v_mul_f64 v[31:32], v[25:26], v[31:32]
	v_fma_f64 v[25:26], v[25:26], v[29:30], -v[33:34]
	v_fma_f64 v[27:28], v[27:28], v[29:30], v[31:32]
	v_add_f64 v[11:12], v[11:12], -v[25:26]
	v_add_f64 v[13:14], v[13:14], -v[27:28]
.LBB185_378:
	s_or_b64 exec, exec, s[10:11]
	s_barrier
	s_and_saveexec_b64 s[10:11], s[38:39]
	s_cbranch_execz .LBB185_380
; %bb.379:
	v_mov_b32_e32 v25, 0
	ds_read_b128 v[25:28], v25 offset:4224
	s_waitcnt lgkmcnt(0)
	v_mul_f64 v[29:30], v[13:14], v[27:28]
	v_mul_f64 v[27:28], v[11:12], v[27:28]
	v_fma_f64 v[11:12], v[11:12], v[25:26], -v[29:30]
	v_fma_f64 v[13:14], v[13:14], v[25:26], v[27:28]
	v_xor_b32_e32 v26, 0x80000000, v12
	v_xor_b32_e32 v28, 0x80000000, v14
	v_mov_b32_e32 v25, v11
	v_mov_b32_e32 v27, v13
	ds_write_b128 v17, v[25:28]
.LBB185_380:
	s_or_b64 exec, exec, s[10:11]
	s_waitcnt lgkmcnt(0)
	s_barrier
	s_barrier
	s_and_saveexec_b64 s[10:11], s[2:3]
; %bb.381:
	v_lshlrev_b32_e32 v25, 4, v15
	v_lshl_or_b32 v25, v16, 9, v25
	ds_write_b128 v25, v[11:14] offset:5248
; %bb.382:
	s_or_b64 exec, exec, s[10:11]
	s_waitcnt lgkmcnt(0)
	s_barrier
	s_barrier
	s_and_saveexec_b64 s[10:11], s[42:43]
	s_cbranch_execz .LBB185_384
; %bb.383:
	v_lshlrev_b32_e32 v25, 9, v0
	ds_read_b128 v[11:14], v25 offset:5248
	s_movk_i32 s12, 0xfe10
	v_mad_i32_i24 v26, v0, s12, v25
	s_waitcnt lgkmcnt(0)
	ds_write_b128 v26, v[11:14] offset:4256
	ds_read_b128 v[11:14], v25 offset:5264
	s_waitcnt lgkmcnt(0)
	ds_write_b128 v26, v[11:14] offset:4768
.LBB185_384:
	s_or_b64 exec, exec, s[10:11]
	s_waitcnt lgkmcnt(0)
	s_barrier
	s_and_saveexec_b64 s[10:11], vcc
	s_cbranch_execz .LBB185_386
; %bb.385:
	v_mov_b32_e32 v35, 0
	ds_read_b128 v[11:14], v35 offset:4752
	ds_read_b128 v[25:28], v35 offset:4224
	;; [unrolled: 1-line block ×3, first 2 shown]
	s_waitcnt lgkmcnt(1)
	v_mul_f64 v[33:34], v[11:12], v[27:28]
	v_mul_f64 v[27:28], v[13:14], v[27:28]
	v_fma_f64 v[13:14], v[13:14], v[25:26], v[33:34]
	v_fma_f64 v[11:12], v[11:12], v[25:26], -v[27:28]
	s_waitcnt lgkmcnt(0)
	v_mul_f64 v[25:26], v[13:14], v[31:32]
	v_mul_f64 v[27:28], v[11:12], v[31:32]
	v_fma_f64 v[11:12], v[29:30], v[11:12], -v[25:26]
	v_fma_f64 v[13:14], v[29:30], v[13:14], v[27:28]
	ds_write_b128 v35, v[11:14] offset:4736
	ds_write_b128 v35, v[11:14] offset:4240
.LBB185_386:
	s_or_b64 exec, exec, s[10:11]
	v_mov_b32_e32 v13, 0
	v_mov_b32_e32 v11, 0
	;; [unrolled: 1-line block ×4, first 2 shown]
	s_waitcnt lgkmcnt(0)
	s_barrier
	buffer_wbinvl1_vol
	s_and_saveexec_b64 s[12:13], s[8:9]
	s_cbranch_execz .LBB185_396
; %bb.387:
	v_lshlrev_b32_e32 v26, 9, v23
	v_lshlrev_b32_e32 v25, 4, v22
	ds_read_b128 v[11:14], v26 offset:4224
	ds_read_b128 v[27:30], v25 offset:4096
	v_cmp_gt_u32_e64 s[10:11], 56, v18
	s_waitcnt lgkmcnt(0)
	v_mul_f64 v[31:32], v[13:14], v[29:30]
	v_mul_f64 v[29:30], v[11:12], v[29:30]
	v_fma_f64 v[11:12], v[11:12], v[27:28], -v[31:32]
	v_fma_f64 v[13:14], v[13:14], v[27:28], v[29:30]
	v_add_f64 v[11:12], v[11:12], 0
	v_add_f64 v[13:14], v[13:14], 0
	s_and_saveexec_b64 s[14:15], s[10:11]
	s_cbranch_execnz .LBB185_567
; %bb.388:
	s_or_b64 exec, exec, s[14:15]
	v_cmp_gt_u32_e64 s[10:11], 48, v18
	s_and_saveexec_b64 s[14:15], s[10:11]
	s_cbranch_execnz .LBB185_568
.LBB185_389:
	s_or_b64 exec, exec, s[14:15]
	v_cmp_gt_u32_e64 s[10:11], 40, v18
	s_and_saveexec_b64 s[14:15], s[10:11]
	s_cbranch_execnz .LBB185_569
.LBB185_390:
	s_or_b64 exec, exec, s[14:15]
	v_cmp_gt_u32_e64 s[10:11], 32, v18
	s_and_saveexec_b64 s[14:15], s[10:11]
	s_cbranch_execnz .LBB185_570
.LBB185_391:
	s_or_b64 exec, exec, s[14:15]
	v_cmp_gt_u32_e64 s[10:11], 24, v18
	s_and_saveexec_b64 s[14:15], s[10:11]
	s_cbranch_execnz .LBB185_571
.LBB185_392:
	s_or_b64 exec, exec, s[14:15]
	s_and_saveexec_b64 s[10:11], s[16:17]
	s_cbranch_execnz .LBB185_572
.LBB185_393:
	s_or_b64 exec, exec, s[10:11]
	v_cmp_gt_u32_e64 s[10:11], 8, v18
	s_and_saveexec_b64 s[14:15], s[10:11]
	s_cbranch_execz .LBB185_395
.LBB185_394:
	v_lshlrev_b32_e32 v29, 4, v0
	v_mov_b32_e32 v25, 0
	ds_read_b128 v[25:28], v25 offset:7920
	ds_read_b128 v[29:32], v29 offset:7680
	s_waitcnt lgkmcnt(0)
	v_mul_f64 v[33:34], v[27:28], v[31:32]
	v_mul_f64 v[31:32], v[25:26], v[31:32]
	v_fma_f64 v[25:26], v[25:26], v[29:30], -v[33:34]
	v_fma_f64 v[27:28], v[27:28], v[29:30], v[31:32]
	v_add_f64 v[11:12], v[11:12], v[25:26]
	v_add_f64 v[13:14], v[13:14], v[27:28]
.LBB185_395:
	s_or_b64 exec, exec, s[14:15]
.LBB185_396:
	s_or_b64 exec, exec, s[12:13]
	s_and_saveexec_b64 s[10:11], s[60:61]
	s_cbranch_execz .LBB185_398
; %bb.397:
	v_mov_b32_e32 v25, 0
	ds_read_b128 v[25:28], v25 offset:3696
	s_waitcnt lgkmcnt(0)
	v_mul_f64 v[29:30], v[13:14], v[27:28]
	v_mul_f64 v[27:28], v[11:12], v[27:28]
	v_fma_f64 v[11:12], v[11:12], v[25:26], -v[29:30]
	v_fma_f64 v[13:14], v[13:14], v[25:26], v[27:28]
	v_xor_b32_e32 v26, 0x80000000, v12
	v_xor_b32_e32 v28, 0x80000000, v14
	v_mov_b32_e32 v25, v11
	v_mov_b32_e32 v27, v13
	ds_write_b128 v24, v[25:28]
.LBB185_398:
	s_or_b64 exec, exec, s[10:11]
	s_waitcnt lgkmcnt(0)
	s_barrier
	s_and_saveexec_b64 s[10:11], s[62:63]
	s_cbranch_execz .LBB185_400
; %bb.399:
	v_lshlrev_b32_e32 v29, 4, v22
	ds_read_b128 v[25:28], v24
	ds_read_b128 v[29:32], v29 offset:3584
	s_waitcnt lgkmcnt(0)
	v_mul_f64 v[33:34], v[27:28], v[31:32]
	v_mul_f64 v[31:32], v[25:26], v[31:32]
	v_fma_f64 v[25:26], v[25:26], v[29:30], -v[33:34]
	v_fma_f64 v[27:28], v[27:28], v[29:30], v[31:32]
	v_add_f64 v[11:12], v[11:12], -v[25:26]
	v_add_f64 v[13:14], v[13:14], -v[27:28]
.LBB185_400:
	s_or_b64 exec, exec, s[10:11]
	s_barrier
	s_and_saveexec_b64 s[10:11], s[64:65]
	s_cbranch_execz .LBB185_402
; %bb.401:
	v_mov_b32_e32 v25, 0
	ds_read_b128 v[25:28], v25 offset:3168
	s_waitcnt lgkmcnt(0)
	v_mul_f64 v[29:30], v[13:14], v[27:28]
	v_mul_f64 v[27:28], v[11:12], v[27:28]
	v_fma_f64 v[11:12], v[11:12], v[25:26], -v[29:30]
	v_fma_f64 v[13:14], v[13:14], v[25:26], v[27:28]
	v_xor_b32_e32 v26, 0x80000000, v12
	v_xor_b32_e32 v28, 0x80000000, v14
	v_mov_b32_e32 v25, v11
	v_mov_b32_e32 v27, v13
	ds_write_b128 v24, v[25:28]
.LBB185_402:
	s_or_b64 exec, exec, s[10:11]
	s_waitcnt lgkmcnt(0)
	s_barrier
	s_and_saveexec_b64 s[10:11], s[66:67]
	s_cbranch_execz .LBB185_404
; %bb.403:
	v_lshlrev_b32_e32 v29, 4, v22
	ds_read_b128 v[25:28], v24
	ds_read_b128 v[29:32], v29 offset:3072
	s_waitcnt lgkmcnt(0)
	v_mul_f64 v[33:34], v[27:28], v[31:32]
	v_mul_f64 v[31:32], v[25:26], v[31:32]
	v_fma_f64 v[25:26], v[25:26], v[29:30], -v[33:34]
	v_fma_f64 v[27:28], v[27:28], v[29:30], v[31:32]
	v_add_f64 v[11:12], v[11:12], -v[25:26]
	v_add_f64 v[13:14], v[13:14], -v[27:28]
.LBB185_404:
	s_or_b64 exec, exec, s[10:11]
	s_barrier
	;; [unrolled: 35-line block ×6, first 2 shown]
	s_and_saveexec_b64 s[10:11], s[84:85]
	s_cbranch_execz .LBB185_422
; %bb.421:
	v_mov_b32_e32 v25, 0
	ds_read_b128 v[25:28], v25 offset:528
	s_waitcnt lgkmcnt(0)
	v_mul_f64 v[29:30], v[13:14], v[27:28]
	v_mul_f64 v[27:28], v[11:12], v[27:28]
	v_fma_f64 v[11:12], v[11:12], v[25:26], -v[29:30]
	v_fma_f64 v[13:14], v[13:14], v[25:26], v[27:28]
	v_xor_b32_e32 v26, 0x80000000, v12
	v_xor_b32_e32 v28, 0x80000000, v14
	v_mov_b32_e32 v25, v11
	v_mov_b32_e32 v27, v13
	ds_write_b128 v24, v[25:28]
.LBB185_422:
	s_or_b64 exec, exec, s[10:11]
	s_waitcnt lgkmcnt(0)
	s_barrier
	s_and_saveexec_b64 s[10:11], s[58:59]
	s_cbranch_execz .LBB185_424
; %bb.423:
	v_mov_b32_e32 v29, 0
	ds_read_b128 v[25:28], v24
	ds_read_b128 v[29:32], v29 offset:512
	s_waitcnt lgkmcnt(0)
	v_mul_f64 v[33:34], v[27:28], v[31:32]
	v_mul_f64 v[31:32], v[25:26], v[31:32]
	v_fma_f64 v[25:26], v[25:26], v[29:30], -v[33:34]
	v_fma_f64 v[27:28], v[27:28], v[29:30], v[31:32]
	v_add_f64 v[11:12], v[11:12], -v[25:26]
	v_add_f64 v[13:14], v[13:14], -v[27:28]
.LBB185_424:
	s_or_b64 exec, exec, s[10:11]
	s_barrier
	s_and_saveexec_b64 s[10:11], s[58:59]
	s_cbranch_execz .LBB185_426
; %bb.425:
	v_mov_b32_e32 v25, 0
	ds_read_b128 v[25:28], v25
	s_waitcnt lgkmcnt(0)
	v_mul_f64 v[29:30], v[13:14], v[27:28]
	v_mul_f64 v[27:28], v[11:12], v[27:28]
	v_fma_f64 v[11:12], v[11:12], v[25:26], -v[29:30]
	v_fma_f64 v[13:14], v[13:14], v[25:26], v[27:28]
	v_xor_b32_e32 v26, 0x80000000, v12
	v_xor_b32_e32 v28, 0x80000000, v14
	v_mov_b32_e32 v25, v11
	v_mov_b32_e32 v27, v13
	ds_write_b128 v24, v[25:28]
.LBB185_426:
	s_or_b64 exec, exec, s[10:11]
	s_waitcnt lgkmcnt(0)
	s_barrier
	s_barrier
	s_and_saveexec_b64 s[10:11], s[8:9]
; %bb.427:
	v_lshlrev_b32_e32 v22, 4, v22
	v_lshl_or_b32 v22, v23, 9, v22
	ds_write_b128 v22, v[11:14] offset:4096
; %bb.428:
	s_or_b64 exec, exec, s[10:11]
	s_waitcnt lgkmcnt(0)
	s_barrier
	s_barrier
	s_and_saveexec_b64 s[8:9], s[86:87]
	s_cbranch_execz .LBB185_430
; %bb.429:
	v_lshlrev_b32_e32 v22, 9, v0
	ds_read_b128 v[11:14], v22 offset:4096
	s_movk_i32 s10, 0xfe10
	v_mad_i32_i24 v23, v0, s10, v22
	s_waitcnt lgkmcnt(0)
	ds_write_b128 v23, v[11:14] offset:128
	ds_read_b128 v[11:14], v22 offset:4112
	s_waitcnt lgkmcnt(0)
	ds_write_b128 v23, v[11:14] offset:640
	ds_read_b128 v[11:14], v22 offset:4128
	;; [unrolled: 3-line block ×7, first 2 shown]
	s_waitcnt lgkmcnt(0)
	ds_write_b128 v23, v[11:14] offset:3712
.LBB185_430:
	s_or_b64 exec, exec, s[8:9]
	s_waitcnt lgkmcnt(0)
	s_barrier
	s_and_saveexec_b64 s[8:9], vcc
	s_cbranch_execz .LBB185_432
; %bb.431:
	v_mov_b32_e32 v32, 0
	ds_read_b128 v[11:14], v32 offset:3696
	ds_read_b128 v[22:25], v32 offset:3168
	;; [unrolled: 1-line block ×3, first 2 shown]
	s_waitcnt lgkmcnt(1)
	v_mul_f64 v[30:31], v[11:12], v[24:25]
	v_mul_f64 v[24:25], v[13:14], v[24:25]
	v_fma_f64 v[13:14], v[13:14], v[22:23], v[30:31]
	v_fma_f64 v[11:12], v[11:12], v[22:23], -v[24:25]
	s_waitcnt lgkmcnt(0)
	v_mul_f64 v[22:23], v[13:14], v[28:29]
	v_mul_f64 v[24:25], v[11:12], v[28:29]
	v_fma_f64 v[11:12], v[26:27], v[11:12], -v[22:23]
	v_fma_f64 v[13:14], v[26:27], v[13:14], v[24:25]
	ds_write_b128 v32, v[11:14] offset:3680
	ds_write_b128 v32, v[11:14] offset:3184
.LBB185_432:
	s_or_b64 exec, exec, s[8:9]
	v_mov_b32_e32 v11, 0
	v_mov_b32_e32 v13, 0
	;; [unrolled: 1-line block ×4, first 2 shown]
	s_waitcnt lgkmcnt(0)
	s_barrier
	buffer_wbinvl1_vol
	s_and_saveexec_b64 s[10:11], s[2:3]
	s_cbranch_execz .LBB185_436
; %bb.433:
	v_lshlrev_b32_e32 v22, 4, v15
	v_lshlrev_b32_e32 v11, 9, v16
	ds_read_b128 v[11:14], v11 offset:3168
	ds_read_b128 v[22:25], v22 offset:3136
	v_cmp_gt_u32_e64 s[8:9], 2, v18
	s_waitcnt lgkmcnt(0)
	v_mul_f64 v[26:27], v[13:14], v[24:25]
	v_mul_f64 v[24:25], v[11:12], v[24:25]
	v_fma_f64 v[11:12], v[11:12], v[22:23], -v[26:27]
	v_fma_f64 v[13:14], v[13:14], v[22:23], v[24:25]
	v_add_f64 v[11:12], v[11:12], 0
	v_add_f64 v[13:14], v[13:14], 0
	s_and_saveexec_b64 s[12:13], s[8:9]
	s_cbranch_execz .LBB185_435
; %bb.434:
	v_lshlrev_b32_e32 v26, 4, v0
	v_mov_b32_e32 v22, 0
	ds_read_b128 v[22:25], v22 offset:3696
	ds_read_b128 v[26:29], v26 offset:3648
	s_waitcnt lgkmcnt(0)
	v_mul_f64 v[30:31], v[24:25], v[28:29]
	v_mul_f64 v[28:29], v[22:23], v[28:29]
	v_fma_f64 v[22:23], v[22:23], v[26:27], -v[30:31]
	v_fma_f64 v[24:25], v[24:25], v[26:27], v[28:29]
	v_add_f64 v[11:12], v[11:12], v[22:23]
	v_add_f64 v[13:14], v[13:14], v[24:25]
.LBB185_435:
	s_or_b64 exec, exec, s[12:13]
.LBB185_436:
	s_or_b64 exec, exec, s[10:11]
	s_and_saveexec_b64 s[8:9], s[40:41]
	s_cbranch_execz .LBB185_438
; %bb.437:
	v_mov_b32_e32 v22, 0
	ds_read_b128 v[22:25], v22 offset:2640
	s_waitcnt lgkmcnt(0)
	v_mul_f64 v[26:27], v[13:14], v[24:25]
	v_mul_f64 v[24:25], v[11:12], v[24:25]
	v_fma_f64 v[11:12], v[11:12], v[22:23], -v[26:27]
	v_fma_f64 v[13:14], v[13:14], v[22:23], v[24:25]
	v_xor_b32_e32 v23, 0x80000000, v12
	v_xor_b32_e32 v25, 0x80000000, v14
	v_mov_b32_e32 v22, v11
	v_mov_b32_e32 v24, v13
	ds_write_b128 v17, v[22:25]
.LBB185_438:
	s_or_b64 exec, exec, s[8:9]
	s_waitcnt lgkmcnt(0)
	s_barrier
	s_and_saveexec_b64 s[8:9], s[38:39]
	s_cbranch_execz .LBB185_440
; %bb.439:
	v_mov_b32_e32 v26, 0
	ds_read_b128 v[22:25], v17
	ds_read_b128 v[26:29], v26 offset:2624
	s_waitcnt lgkmcnt(0)
	v_mul_f64 v[30:31], v[24:25], v[28:29]
	v_mul_f64 v[28:29], v[22:23], v[28:29]
	v_fma_f64 v[22:23], v[22:23], v[26:27], -v[30:31]
	v_fma_f64 v[24:25], v[24:25], v[26:27], v[28:29]
	v_add_f64 v[11:12], v[11:12], -v[22:23]
	v_add_f64 v[13:14], v[13:14], -v[24:25]
.LBB185_440:
	s_or_b64 exec, exec, s[8:9]
	s_barrier
	s_and_saveexec_b64 s[8:9], s[38:39]
	s_cbranch_execz .LBB185_442
; %bb.441:
	v_mov_b32_e32 v22, 0
	ds_read_b128 v[22:25], v22 offset:2112
	s_waitcnt lgkmcnt(0)
	v_mul_f64 v[26:27], v[13:14], v[24:25]
	v_mul_f64 v[24:25], v[11:12], v[24:25]
	v_fma_f64 v[11:12], v[11:12], v[22:23], -v[26:27]
	v_fma_f64 v[13:14], v[13:14], v[22:23], v[24:25]
	v_xor_b32_e32 v23, 0x80000000, v12
	v_xor_b32_e32 v25, 0x80000000, v14
	v_mov_b32_e32 v22, v11
	v_mov_b32_e32 v24, v13
	ds_write_b128 v17, v[22:25]
.LBB185_442:
	s_or_b64 exec, exec, s[8:9]
	s_waitcnt lgkmcnt(0)
	s_barrier
	s_barrier
	s_and_saveexec_b64 s[8:9], s[2:3]
; %bb.443:
	v_lshlrev_b32_e32 v22, 4, v15
	v_lshl_or_b32 v22, v16, 9, v22
	ds_write_b128 v22, v[11:14] offset:3136
; %bb.444:
	s_or_b64 exec, exec, s[8:9]
	s_waitcnt lgkmcnt(0)
	s_barrier
	s_barrier
	s_and_saveexec_b64 s[8:9], s[42:43]
	s_cbranch_execz .LBB185_446
; %bb.445:
	v_lshlrev_b32_e32 v22, 9, v0
	ds_read_b128 v[11:14], v22 offset:3136
	s_movk_i32 s10, 0xfe10
	v_mad_i32_i24 v23, v0, s10, v22
	s_waitcnt lgkmcnt(0)
	ds_write_b128 v23, v[11:14] offset:2144
	ds_read_b128 v[11:14], v22 offset:3152
	s_waitcnt lgkmcnt(0)
	ds_write_b128 v23, v[11:14] offset:2656
.LBB185_446:
	s_or_b64 exec, exec, s[8:9]
	s_waitcnt lgkmcnt(0)
	s_barrier
	s_and_saveexec_b64 s[8:9], vcc
	s_cbranch_execz .LBB185_448
; %bb.447:
	v_mov_b32_e32 v32, 0
	ds_read_b128 v[11:14], v32 offset:2640
	ds_read_b128 v[22:25], v32 offset:2112
	;; [unrolled: 1-line block ×3, first 2 shown]
	s_waitcnt lgkmcnt(1)
	v_mul_f64 v[30:31], v[11:12], v[24:25]
	v_mul_f64 v[24:25], v[13:14], v[24:25]
	v_fma_f64 v[13:14], v[13:14], v[22:23], v[30:31]
	v_fma_f64 v[11:12], v[11:12], v[22:23], -v[24:25]
	s_waitcnt lgkmcnt(0)
	v_mul_f64 v[22:23], v[13:14], v[28:29]
	v_mul_f64 v[24:25], v[11:12], v[28:29]
	v_fma_f64 v[11:12], v[26:27], v[11:12], -v[22:23]
	v_fma_f64 v[13:14], v[26:27], v[13:14], v[24:25]
	ds_write_b128 v32, v[11:14] offset:2624
	ds_write_b128 v32, v[11:14] offset:2128
.LBB185_448:
	s_or_b64 exec, exec, s[8:9]
	v_mov_b32_e32 v13, 0
	v_mov_b32_e32 v11, 0
	;; [unrolled: 1-line block ×4, first 2 shown]
	s_waitcnt lgkmcnt(0)
	s_barrier
	buffer_wbinvl1_vol
	s_and_saveexec_b64 s[10:11], s[16:17]
	s_cbranch_execz .LBB185_454
; %bb.449:
	v_lshlrev_b32_e32 v23, 9, v20
	v_lshlrev_b32_e32 v22, 4, v19
	ds_read_b128 v[11:14], v23 offset:2112
	ds_read_b128 v[24:27], v22 offset:2048
	v_cmp_gt_u32_e64 s[8:9], 12, v18
	s_waitcnt lgkmcnt(0)
	v_mul_f64 v[28:29], v[13:14], v[26:27]
	v_mul_f64 v[26:27], v[11:12], v[26:27]
	v_fma_f64 v[11:12], v[11:12], v[24:25], -v[28:29]
	v_fma_f64 v[13:14], v[13:14], v[24:25], v[26:27]
	v_add_f64 v[11:12], v[11:12], 0
	v_add_f64 v[13:14], v[13:14], 0
	s_and_saveexec_b64 s[12:13], s[8:9]
	s_cbranch_execnz .LBB185_573
; %bb.450:
	s_or_b64 exec, exec, s[12:13]
	v_cmp_gt_u32_e64 s[8:9], 8, v18
	s_and_saveexec_b64 s[12:13], s[8:9]
	s_cbranch_execnz .LBB185_574
.LBB185_451:
	s_or_b64 exec, exec, s[12:13]
	v_cmp_gt_u32_e64 s[8:9], 4, v18
	s_and_saveexec_b64 s[12:13], s[8:9]
	s_cbranch_execz .LBB185_453
.LBB185_452:
	v_lshlrev_b32_e32 v26, 4, v0
	v_mov_b32_e32 v22, 0
	ds_read_b128 v[22:25], v22 offset:3696
	ds_read_b128 v[26:29], v26 offset:3584
	s_waitcnt lgkmcnt(0)
	v_mul_f64 v[30:31], v[24:25], v[28:29]
	v_mul_f64 v[28:29], v[22:23], v[28:29]
	v_fma_f64 v[22:23], v[22:23], v[26:27], -v[30:31]
	v_fma_f64 v[24:25], v[24:25], v[26:27], v[28:29]
	v_add_f64 v[11:12], v[11:12], v[22:23]
	v_add_f64 v[13:14], v[13:14], v[24:25]
.LBB185_453:
	s_or_b64 exec, exec, s[12:13]
.LBB185_454:
	s_or_b64 exec, exec, s[10:11]
	s_and_saveexec_b64 s[8:9], s[46:47]
	s_cbranch_execz .LBB185_456
; %bb.455:
	v_mov_b32_e32 v22, 0
	ds_read_b128 v[22:25], v22 offset:1584
	s_waitcnt lgkmcnt(0)
	v_mul_f64 v[26:27], v[13:14], v[24:25]
	v_mul_f64 v[24:25], v[11:12], v[24:25]
	v_fma_f64 v[11:12], v[11:12], v[22:23], -v[26:27]
	v_fma_f64 v[13:14], v[13:14], v[22:23], v[24:25]
	v_xor_b32_e32 v23, 0x80000000, v12
	v_xor_b32_e32 v25, 0x80000000, v14
	v_mov_b32_e32 v22, v11
	v_mov_b32_e32 v24, v13
	ds_write_b128 v21, v[22:25]
.LBB185_456:
	s_or_b64 exec, exec, s[8:9]
	s_waitcnt lgkmcnt(0)
	s_barrier
	s_and_saveexec_b64 s[8:9], s[48:49]
	s_load_dword s46, s[4:5], 0x74
	s_cbranch_execz .LBB185_458
; %bb.457:
	v_lshlrev_b32_e32 v26, 4, v19
	ds_read_b128 v[22:25], v21
	ds_read_b128 v[26:29], v26 offset:1536
	s_waitcnt lgkmcnt(0)
	v_mul_f64 v[30:31], v[24:25], v[28:29]
	v_mul_f64 v[28:29], v[22:23], v[28:29]
	v_fma_f64 v[22:23], v[22:23], v[26:27], -v[30:31]
	v_fma_f64 v[24:25], v[24:25], v[26:27], v[28:29]
	v_add_f64 v[11:12], v[11:12], -v[22:23]
	v_add_f64 v[13:14], v[13:14], -v[24:25]
.LBB185_458:
	s_or_b64 exec, exec, s[8:9]
	s_waitcnt lgkmcnt(0)
	s_barrier
	s_and_saveexec_b64 s[8:9], s[50:51]
	s_cbranch_execz .LBB185_460
; %bb.459:
	v_mov_b32_e32 v22, 0
	ds_read_b128 v[22:25], v22 offset:1056
	s_waitcnt lgkmcnt(0)
	v_mul_f64 v[26:27], v[13:14], v[24:25]
	v_mul_f64 v[24:25], v[11:12], v[24:25]
	v_fma_f64 v[11:12], v[11:12], v[22:23], -v[26:27]
	v_fma_f64 v[13:14], v[13:14], v[22:23], v[24:25]
	v_xor_b32_e32 v23, 0x80000000, v12
	v_xor_b32_e32 v25, 0x80000000, v14
	v_mov_b32_e32 v22, v11
	v_mov_b32_e32 v24, v13
	ds_write_b128 v21, v[22:25]
.LBB185_460:
	s_or_b64 exec, exec, s[8:9]
	s_waitcnt lgkmcnt(0)
	s_barrier
	s_and_saveexec_b64 s[8:9], s[52:53]
	s_cbranch_execz .LBB185_462
; %bb.461:
	v_lshlrev_b32_e32 v26, 4, v19
	ds_read_b128 v[22:25], v21
	ds_read_b128 v[26:29], v26 offset:1024
	s_waitcnt lgkmcnt(0)
	v_mul_f64 v[30:31], v[24:25], v[28:29]
	v_mul_f64 v[28:29], v[22:23], v[28:29]
	v_fma_f64 v[22:23], v[22:23], v[26:27], -v[30:31]
	v_fma_f64 v[24:25], v[24:25], v[26:27], v[28:29]
	v_add_f64 v[11:12], v[11:12], -v[22:23]
	v_add_f64 v[13:14], v[13:14], -v[24:25]
.LBB185_462:
	s_or_b64 exec, exec, s[8:9]
	s_barrier
	s_and_saveexec_b64 s[8:9], s[54:55]
	s_cbranch_execz .LBB185_464
; %bb.463:
	v_mov_b32_e32 v22, 0
	ds_read_b128 v[22:25], v22 offset:528
	s_waitcnt lgkmcnt(0)
	v_mul_f64 v[26:27], v[13:14], v[24:25]
	v_mul_f64 v[24:25], v[11:12], v[24:25]
	v_fma_f64 v[11:12], v[11:12], v[22:23], -v[26:27]
	v_fma_f64 v[13:14], v[13:14], v[22:23], v[24:25]
	v_xor_b32_e32 v23, 0x80000000, v12
	v_xor_b32_e32 v25, 0x80000000, v14
	v_mov_b32_e32 v22, v11
	v_mov_b32_e32 v24, v13
	ds_write_b128 v21, v[22:25]
.LBB185_464:
	s_or_b64 exec, exec, s[8:9]
	s_waitcnt lgkmcnt(0)
	s_barrier
	s_and_saveexec_b64 s[8:9], s[44:45]
	s_cbranch_execz .LBB185_466
; %bb.465:
	v_mov_b32_e32 v26, 0
	ds_read_b128 v[22:25], v21
	ds_read_b128 v[26:29], v26 offset:512
	s_waitcnt lgkmcnt(0)
	v_mul_f64 v[30:31], v[24:25], v[28:29]
	v_mul_f64 v[28:29], v[22:23], v[28:29]
	v_fma_f64 v[22:23], v[22:23], v[26:27], -v[30:31]
	v_fma_f64 v[24:25], v[24:25], v[26:27], v[28:29]
	v_add_f64 v[11:12], v[11:12], -v[22:23]
	v_add_f64 v[13:14], v[13:14], -v[24:25]
.LBB185_466:
	s_or_b64 exec, exec, s[8:9]
	s_barrier
	s_and_saveexec_b64 s[8:9], s[44:45]
	s_cbranch_execz .LBB185_468
; %bb.467:
	v_mov_b32_e32 v22, 0
	ds_read_b128 v[22:25], v22
	s_waitcnt lgkmcnt(0)
	v_mul_f64 v[26:27], v[13:14], v[24:25]
	v_mul_f64 v[24:25], v[11:12], v[24:25]
	v_fma_f64 v[11:12], v[11:12], v[22:23], -v[26:27]
	v_fma_f64 v[13:14], v[13:14], v[22:23], v[24:25]
	v_xor_b32_e32 v23, 0x80000000, v12
	v_xor_b32_e32 v25, 0x80000000, v14
	v_mov_b32_e32 v22, v11
	v_mov_b32_e32 v24, v13
	ds_write_b128 v21, v[22:25]
.LBB185_468:
	s_or_b64 exec, exec, s[8:9]
	s_waitcnt lgkmcnt(0)
	s_barrier
	s_barrier
	s_and_saveexec_b64 s[8:9], s[16:17]
; %bb.469:
	v_lshlrev_b32_e32 v19, 4, v19
	v_lshl_or_b32 v19, v20, 9, v19
	ds_write_b128 v19, v[11:14] offset:2048
; %bb.470:
	s_or_b64 exec, exec, s[8:9]
	s_waitcnt lgkmcnt(0)
	s_barrier
	s_barrier
	s_and_saveexec_b64 s[8:9], s[56:57]
	s_cbranch_execz .LBB185_472
; %bb.471:
	v_lshlrev_b32_e32 v19, 4, v0
	s_movk_i32 s10, 0x1f0
	v_mad_u32_u24 v20, v0, s10, v19
	ds_read_b128 v[11:14], v20 offset:2048
	s_waitcnt lgkmcnt(0)
	ds_write_b128 v19, v[11:14] offset:64
	ds_read_b128 v[11:14], v20 offset:2064
	s_waitcnt lgkmcnt(0)
	ds_write_b128 v19, v[11:14] offset:576
	;; [unrolled: 3-line block ×4, first 2 shown]
.LBB185_472:
	s_or_b64 exec, exec, s[8:9]
	s_waitcnt lgkmcnt(0)
	s_barrier
	s_and_saveexec_b64 s[8:9], vcc
	s_cbranch_execz .LBB185_474
; %bb.473:
	v_mov_b32_e32 v29, 0
	ds_read_b128 v[11:14], v29 offset:1584
	ds_read_b128 v[19:22], v29 offset:1056
	;; [unrolled: 1-line block ×3, first 2 shown]
	s_waitcnt lgkmcnt(1)
	v_mul_f64 v[27:28], v[11:12], v[21:22]
	v_mul_f64 v[21:22], v[13:14], v[21:22]
	v_fma_f64 v[13:14], v[13:14], v[19:20], v[27:28]
	v_fma_f64 v[11:12], v[11:12], v[19:20], -v[21:22]
	s_waitcnt lgkmcnt(0)
	v_mul_f64 v[19:20], v[13:14], v[25:26]
	v_mul_f64 v[21:22], v[11:12], v[25:26]
	v_fma_f64 v[11:12], v[23:24], v[11:12], -v[19:20]
	v_fma_f64 v[13:14], v[23:24], v[13:14], v[21:22]
	ds_write_b128 v29, v[11:14] offset:1568
	ds_write_b128 v29, v[11:14] offset:1072
.LBB185_474:
	s_or_b64 exec, exec, s[8:9]
	v_mov_b32_e32 v11, 0
	v_mov_b32_e32 v13, 0
	v_mov_b32_e32 v12, 0
	v_mov_b32_e32 v14, 0
	s_waitcnt lgkmcnt(0)
	s_barrier
	buffer_wbinvl1_vol
	s_and_saveexec_b64 s[10:11], s[2:3]
	s_cbranch_execz .LBB185_478
; %bb.475:
	v_lshlrev_b32_e32 v19, 4, v15
	v_lshlrev_b32_e32 v11, 9, v16
	ds_read_b128 v[11:14], v11 offset:1056
	ds_read_b128 v[19:22], v19 offset:1024
	v_cmp_gt_u32_e64 s[8:9], 2, v18
	s_waitcnt lgkmcnt(0)
	v_mul_f64 v[23:24], v[13:14], v[21:22]
	v_mul_f64 v[21:22], v[11:12], v[21:22]
	v_fma_f64 v[11:12], v[11:12], v[19:20], -v[23:24]
	v_fma_f64 v[13:14], v[13:14], v[19:20], v[21:22]
	v_add_f64 v[11:12], v[11:12], 0
	v_add_f64 v[13:14], v[13:14], 0
	s_and_saveexec_b64 s[12:13], s[8:9]
	s_cbranch_execz .LBB185_477
; %bb.476:
	v_lshlrev_b32_e32 v22, 4, v0
	v_mov_b32_e32 v18, 0
	ds_read_b128 v[18:21], v18 offset:1584
	ds_read_b128 v[22:25], v22 offset:1536
	s_waitcnt lgkmcnt(0)
	v_mul_f64 v[26:27], v[20:21], v[24:25]
	v_mul_f64 v[24:25], v[18:19], v[24:25]
	v_fma_f64 v[18:19], v[18:19], v[22:23], -v[26:27]
	v_fma_f64 v[20:21], v[20:21], v[22:23], v[24:25]
	v_add_f64 v[11:12], v[11:12], v[18:19]
	v_add_f64 v[13:14], v[13:14], v[20:21]
.LBB185_477:
	s_or_b64 exec, exec, s[12:13]
.LBB185_478:
	s_or_b64 exec, exec, s[10:11]
	s_and_saveexec_b64 s[8:9], s[40:41]
	s_cbranch_execz .LBB185_480
; %bb.479:
	v_mov_b32_e32 v18, 0
	ds_read_b128 v[18:21], v18 offset:528
	s_waitcnt lgkmcnt(0)
	v_mul_f64 v[22:23], v[13:14], v[20:21]
	v_mul_f64 v[20:21], v[11:12], v[20:21]
	v_fma_f64 v[11:12], v[11:12], v[18:19], -v[22:23]
	v_fma_f64 v[13:14], v[13:14], v[18:19], v[20:21]
	v_xor_b32_e32 v19, 0x80000000, v12
	v_xor_b32_e32 v21, 0x80000000, v14
	v_mov_b32_e32 v18, v11
	v_mov_b32_e32 v20, v13
	ds_write_b128 v17, v[18:21]
.LBB185_480:
	s_or_b64 exec, exec, s[8:9]
	s_waitcnt lgkmcnt(0)
	s_barrier
	s_and_saveexec_b64 s[8:9], s[38:39]
	s_cbranch_execz .LBB185_482
; %bb.481:
	v_mov_b32_e32 v22, 0
	ds_read_b128 v[18:21], v17
	ds_read_b128 v[22:25], v22 offset:512
	s_waitcnt lgkmcnt(0)
	v_mul_f64 v[26:27], v[20:21], v[24:25]
	v_mul_f64 v[24:25], v[18:19], v[24:25]
	v_fma_f64 v[18:19], v[18:19], v[22:23], -v[26:27]
	v_fma_f64 v[20:21], v[20:21], v[22:23], v[24:25]
	v_add_f64 v[11:12], v[11:12], -v[18:19]
	v_add_f64 v[13:14], v[13:14], -v[20:21]
.LBB185_482:
	s_or_b64 exec, exec, s[8:9]
	s_barrier
	s_and_saveexec_b64 s[8:9], s[38:39]
	s_cbranch_execz .LBB185_484
; %bb.483:
	v_mov_b32_e32 v18, 0
	ds_read_b128 v[18:21], v18
	s_waitcnt lgkmcnt(0)
	v_mul_f64 v[22:23], v[13:14], v[20:21]
	v_mul_f64 v[20:21], v[11:12], v[20:21]
	v_fma_f64 v[11:12], v[11:12], v[18:19], -v[22:23]
	v_fma_f64 v[13:14], v[13:14], v[18:19], v[20:21]
	v_xor_b32_e32 v19, 0x80000000, v12
	v_xor_b32_e32 v21, 0x80000000, v14
	v_mov_b32_e32 v18, v11
	v_mov_b32_e32 v20, v13
	ds_write_b128 v17, v[18:21]
.LBB185_484:
	s_or_b64 exec, exec, s[8:9]
	s_waitcnt lgkmcnt(0)
	s_barrier
	s_barrier
	s_and_saveexec_b64 s[8:9], s[2:3]
; %bb.485:
	v_lshlrev_b32_e32 v15, 4, v15
	v_lshl_or_b32 v15, v16, 9, v15
	ds_write_b128 v15, v[11:14] offset:1024
; %bb.486:
	s_or_b64 exec, exec, s[8:9]
	s_waitcnt lgkmcnt(0)
	s_barrier
	s_barrier
	s_and_saveexec_b64 s[2:3], s[42:43]
	s_cbranch_execz .LBB185_488
; %bb.487:
	v_lshlrev_b32_e32 v15, 9, v0
	ds_read_b128 v[11:14], v15 offset:1024
	s_movk_i32 s8, 0xfe10
	v_mad_i32_i24 v16, v0, s8, v15
	s_waitcnt lgkmcnt(0)
	ds_write_b128 v16, v[11:14] offset:32
	ds_read_b128 v[11:14], v15 offset:1040
	s_waitcnt lgkmcnt(0)
	ds_write_b128 v16, v[11:14] offset:544
.LBB185_488:
	s_or_b64 exec, exec, s[2:3]
	s_waitcnt lgkmcnt(0)
	s_barrier
	s_and_saveexec_b64 s[2:3], vcc
	s_cbranch_execz .LBB185_490
; %bb.489:
	v_mov_b32_e32 v25, 0
	ds_read_b128 v[11:14], v25 offset:528
	ds_read_b128 v[15:18], v25
	ds_read_b128 v[19:22], v25 offset:512
	s_waitcnt lgkmcnt(1)
	v_mul_f64 v[23:24], v[11:12], v[17:18]
	v_mul_f64 v[17:18], v[13:14], v[17:18]
	v_fma_f64 v[13:14], v[13:14], v[15:16], v[23:24]
	v_fma_f64 v[11:12], v[11:12], v[15:16], -v[17:18]
	s_waitcnt lgkmcnt(0)
	v_mul_f64 v[15:16], v[13:14], v[21:22]
	v_mul_f64 v[17:18], v[11:12], v[21:22]
	v_fma_f64 v[11:12], v[19:20], v[11:12], -v[15:16]
	v_fma_f64 v[13:14], v[19:20], v[13:14], v[17:18]
	ds_write_b128 v25, v[11:14] offset:512
	ds_write_b128 v25, v[11:14] offset:16
.LBB185_490:
	s_or_b64 exec, exec, s[2:3]
.LBB185_491:
	s_lshl_b64 s[2:3], s[26:27], 4
	s_add_u32 s26, s36, s2
	v_cmp_le_i32_e32 vcc, s93, v0
	s_addc_u32 s27, s37, s3
	s_and_b64 s[16:17], vcc, s[30:31]
	v_cmp_eq_u32_e64 s[2:3], 0, v2
	s_xor_b64 s[8:9], s[16:17], -1
	v_mov_b32_e32 v13, 0
	v_mov_b32_e32 v11, 0
	s_and_b64 s[10:11], s[2:3], s[8:9]
	v_mov_b32_e32 v14, 0
	v_mov_b32_e32 v12, 0
	v_add_u32_e32 v15, s33, v0
	s_waitcnt lgkmcnt(0)
	s_barrier
	s_and_saveexec_b64 s[8:9], s[10:11]
	s_cbranch_execz .LBB185_493
; %bb.492:
	v_ashrrev_i32_e32 v13, 31, v15
	v_mul_lo_u32 v14, s25, v15
	v_mad_u64_u32 v[11:12], s[10:11], s24, v15, 0
	v_mul_lo_u32 v13, s24, v13
	v_add3_u32 v12, v12, v13, v14
	v_lshlrev_b64 v[11:12], 4, v[11:12]
	v_mov_b32_e32 v13, s27
	v_add_co_u32_e32 v11, vcc, s26, v11
	v_addc_co_u32_e32 v12, vcc, v13, v12, vcc
	flat_load_dwordx4 v[11:14], v[11:12]
	s_waitcnt vmcnt(0) lgkmcnt(0)
	v_mul_f64 v[16:17], s[20:21], v[11:12]
	v_mul_f64 v[18:19], s[20:21], v[13:14]
	v_fma_f64 v[13:14], s[22:23], v[13:14], -v[16:17]
	v_fma_f64 v[11:12], v[11:12], -s[22:23], -v[18:19]
.LBB185_493:
	s_or_b64 exec, exec, s[8:9]
	s_load_dwordx2 s[14:15], s[4:5], 0x58
	s_and_b32 s4, 0xffff, s46
	v_mad_u32_u24 v23, v2, s4, v0
	v_mov_b32_e32 v16, 0
	s_cmp_lt_i32 s6, 1
	v_cmp_eq_u32_e64 s[4:5], 0, v23
	s_cbranch_scc1 .LBB185_516
; %bb.494:
	v_mad_u64_u32 v[17:18], s[8:9], s34, v15, 0
	s_mov_b32 s22, 0
	v_cmp_gt_u32_e64 s[12:13], 32, v23
	v_mad_u64_u32 v[18:19], s[8:9], s35, v15, v[18:19]
	s_lshl_b64 s[8:9], s[28:29], 2
	s_waitcnt lgkmcnt(0)
	s_add_u32 s18, s14, s8
	v_lshlrev_b64 v[17:18], 4, v[17:18]
	s_addc_u32 s19, s15, s9
	v_mov_b32_e32 v19, 0x6000
	v_cmp_gt_i32_e64 s[8:9], s7, v15
	v_mov_b32_e32 v15, s95
	v_add_co_u32_e32 v26, vcc, s94, v17
	v_lshl_add_u32 v24, v23, 4, v19
	v_lshl_or_b32 v25, v2, 4, v19
	s_add_i32 s23, s6, -1
	v_addc_co_u32_e32 v27, vcc, v15, v18, vcc
	v_mov_b32_e32 v28, -1
	s_branch .LBB185_497
.LBB185_495:                            ;   in Loop: Header=BB185_497 Depth=1
	ds_read_b128 v[29:32], v25 offset:256
	s_waitcnt vmcnt(0) lgkmcnt(0)
	v_mul_f64 v[17:18], v[21:22], v[31:32]
	v_mul_f64 v[31:32], v[19:20], v[31:32]
	v_fma_f64 v[17:18], v[19:20], v[29:30], -v[17:18]
	v_fma_f64 v[19:20], v[21:22], v[29:30], v[31:32]
	v_add_f64 v[13:14], v[13:14], v[17:18]
	v_add_f64 v[11:12], v[11:12], v[19:20]
.LBB185_496:                            ;   in Loop: Header=BB185_497 Depth=1
	s_or_b64 exec, exec, s[20:21]
	s_add_i32 s22, s22, 1
	s_cmp_eq_u32 s22, s6
	s_cbranch_scc1 .LBB185_516
.LBB185_497:                            ; =>This Loop Header: Depth=1
                                        ;     Child Loop BB185_499 Depth 2
	v_cmp_gt_i32_e32 vcc, s22, v28
	s_and_b64 s[20:21], s[4:5], vcc
	s_and_saveexec_b64 s[10:11], s[20:21]
	s_cbranch_execz .LBB185_500
; %bb.498:                              ;   in Loop: Header=BB185_497 Depth=1
	global_load_dword v28, v16, s[18:19]
	s_waitcnt vmcnt(0)
	v_cmp_le_i32_e32 vcc, s22, v28
	s_cbranch_vccnz .LBB185_500
.LBB185_499:                            ;   Parent Loop BB185_497 Depth=1
                                        ; =>  This Inner Loop Header: Depth=2
	buffer_wbinvl1_vol
	global_load_dword v28, v16, s[18:19]
	s_waitcnt vmcnt(0)
	v_cmp_gt_i32_e32 vcc, s22, v28
	s_cbranch_vccnz .LBB185_499
.LBB185_500:                            ;   in Loop: Header=BB185_497 Depth=1
	s_or_b64 exec, exec, s[10:11]
	s_lshl_b32 s34, s22, 5
	buffer_wbinvl1_vol
	s_barrier
	s_and_saveexec_b64 s[10:11], s[12:13]
	s_cbranch_execz .LBB185_505
; %bb.501:                              ;   in Loop: Header=BB185_497 Depth=1
	v_or_b32_e32 v15, s34, v23
	v_cmp_le_i32_e32 vcc, s7, v15
	s_and_saveexec_b64 s[20:21], vcc
	s_xor_b64 s[20:21], exec, s[20:21]
; %bb.502:                              ;   in Loop: Header=BB185_497 Depth=1
	v_mov_b32_e32 v15, v16
	v_mov_b32_e32 v17, v16
	;; [unrolled: 1-line block ×3, first 2 shown]
	ds_write_b128 v24, v[15:18]
                                        ; implicit-def: $vgpr15
; %bb.503:                              ;   in Loop: Header=BB185_497 Depth=1
	s_andn2_saveexec_b64 s[20:21], s[20:21]
	s_cbranch_execz .LBB185_505
; %bb.504:                              ;   in Loop: Header=BB185_497 Depth=1
	v_mad_u64_u32 v[17:18], s[20:21], s24, v15, 0
	v_mad_u64_u32 v[18:19], s[20:21], s25, v15, v[18:19]
	v_mov_b32_e32 v15, s27
	v_lshlrev_b64 v[17:18], 4, v[17:18]
	v_add_co_u32_e32 v17, vcc, s26, v17
	v_addc_co_u32_e32 v18, vcc, v15, v18, vcc
	flat_load_dwordx4 v[17:20], v[17:18]
	s_waitcnt vmcnt(0) lgkmcnt(0)
	ds_write2_b64 v24, v[17:18], v[19:20] offset1:1
.LBB185_505:                            ;   in Loop: Header=BB185_497 Depth=1
	s_or_b64 exec, exec, s[10:11]
	v_add_u32_e32 v15, s34, v2
	v_lshlrev_b64 v[17:18], 4, v[15:16]
	s_cmp_lg_u32 s22, s23
	v_add_co_u32_e32 v17, vcc, v26, v17
	s_cselect_b64 s[10:11], -1, 0
	v_addc_co_u32_e32 v18, vcc, v27, v18, vcc
	v_cmp_gt_i32_e32 vcc, s7, v15
	v_cndmask_b32_e64 v19, 0, 1, s[10:11]
	s_and_b64 s[34:35], vcc, s[8:9]
	v_cmp_ne_u32_e64 s[10:11], 1, v19
	s_waitcnt lgkmcnt(0)
	s_barrier
	s_and_saveexec_b64 s[20:21], s[34:35]
	s_cbranch_execz .LBB185_511
; %bb.506:                              ;   in Loop: Header=BB185_497 Depth=1
	v_mov_b32_e32 v20, v8
	s_and_b64 vcc, exec, s[10:11]
	v_mov_b32_e32 v19, v7
	s_cbranch_vccnz .LBB185_508
; %bb.507:                              ;   in Loop: Header=BB185_497 Depth=1
	flat_load_dwordx2 v[19:20], v[17:18]
.LBB185_508:                            ;   in Loop: Header=BB185_497 Depth=1
	v_mov_b32_e32 v22, v10
	s_and_b64 vcc, exec, s[10:11]
	v_mov_b32_e32 v21, v9
	s_cbranch_vccnz .LBB185_510
; %bb.509:                              ;   in Loop: Header=BB185_497 Depth=1
	flat_load_dwordx2 v[21:22], v[17:18] offset:8
.LBB185_510:                            ;   in Loop: Header=BB185_497 Depth=1
	ds_read_b128 v[29:32], v25
	s_waitcnt vmcnt(0) lgkmcnt(0)
	v_mul_f64 v[33:34], v[21:22], v[31:32]
	v_mul_f64 v[31:32], v[19:20], v[31:32]
	v_fma_f64 v[19:20], v[19:20], v[29:30], -v[33:34]
	v_fma_f64 v[21:22], v[21:22], v[29:30], v[31:32]
	v_add_f64 v[13:14], v[13:14], v[19:20]
	v_add_f64 v[11:12], v[11:12], v[21:22]
.LBB185_511:                            ;   in Loop: Header=BB185_497 Depth=1
	s_or_b64 exec, exec, s[20:21]
	v_add_u32_e32 v15, 16, v15
	v_cmp_gt_i32_e32 vcc, s7, v15
	s_and_b64 s[34:35], vcc, s[8:9]
	s_and_saveexec_b64 s[20:21], s[34:35]
	s_cbranch_execz .LBB185_496
; %bb.512:                              ;   in Loop: Header=BB185_497 Depth=1
	v_mov_b32_e32 v20, v4
	s_and_b64 vcc, exec, s[10:11]
	v_mov_b32_e32 v19, v3
	s_cbranch_vccnz .LBB185_514
; %bb.513:                              ;   in Loop: Header=BB185_497 Depth=1
	flat_load_dwordx2 v[19:20], v[17:18] offset:256
.LBB185_514:                            ;   in Loop: Header=BB185_497 Depth=1
	v_mov_b32_e32 v22, v6
	s_and_b64 vcc, exec, s[10:11]
	v_mov_b32_e32 v21, v5
	s_cbranch_vccnz .LBB185_495
; %bb.515:                              ;   in Loop: Header=BB185_497 Depth=1
	flat_load_dwordx2 v[21:22], v[17:18] offset:264
	s_branch .LBB185_495
.LBB185_516:
	s_xor_b64 s[4:5], s[30:31], -1
	v_lshlrev_b32_e32 v1, 4, v1
	v_mov_b32_e32 v15, v11
	v_mov_b32_e32 v16, v12
	ds_write_b128 v1, v[13:16] offset:16384
	s_waitcnt lgkmcnt(0)
	s_barrier
	s_and_saveexec_b64 s[6:7], s[2:3]
	s_cbranch_execz .LBB185_518
; %bb.517:
	v_lshlrev_b32_e32 v15, 4, v0
	ds_read_b128 v[3:6], v15 offset:16896
	ds_read_b128 v[7:10], v15 offset:17408
	s_waitcnt lgkmcnt(1)
	v_add_f64 v[3:4], v[13:14], v[3:4]
	v_add_f64 v[5:6], v[11:12], v[5:6]
	s_waitcnt lgkmcnt(0)
	v_add_f64 v[11:12], v[3:4], v[7:8]
	v_add_f64 v[13:14], v[5:6], v[9:10]
	ds_read_b128 v[3:6], v15 offset:17920
	ds_read_b128 v[7:10], v15 offset:18432
	s_waitcnt lgkmcnt(1)
	v_add_f64 v[3:4], v[11:12], v[3:4]
	v_add_f64 v[5:6], v[13:14], v[5:6]
	s_waitcnt lgkmcnt(0)
	v_add_f64 v[11:12], v[3:4], v[7:8]
	v_add_f64 v[13:14], v[5:6], v[9:10]
	;; [unrolled: 8-line block ×7, first 2 shown]
	ds_read_b128 v[3:6], v15 offset:24064
	s_waitcnt lgkmcnt(0)
	v_add_f64 v[3:4], v[7:8], v[3:4]
	v_add_f64 v[5:6], v[9:10], v[5:6]
	v_xor_b32_e32 v4, 0x80000000, v4
	v_xor_b32_e32 v6, 0x80000000, v6
	v_cndmask_b32_e64 v13, v3, 0, s[16:17]
	v_cndmask_b32_e64 v14, v4, 0, s[16:17]
	;; [unrolled: 1-line block ×4, first 2 shown]
.LBB185_518:
	s_or_b64 exec, exec, s[6:7]
	s_and_b64 vcc, exec, s[0:1]
	s_cbranch_vccnz .LBB185_527
; %bb.519:
	v_mov_b32_e32 v3, 0x6000
	v_lshl_or_b32 v7, v2, 4, v3
	s_and_saveexec_b64 s[0:1], s[2:3]
; %bb.520:
	v_lshl_add_u32 v3, v0, 4, v7
	v_mov_b32_e32 v15, v11
	v_mov_b32_e32 v16, v12
	ds_write_b128 v3, v[13:16]
; %bb.521:
	s_or_b64 exec, exec, s[0:1]
	v_mov_b32_e32 v3, 0
	v_mov_b32_e32 v5, 0
	;; [unrolled: 1-line block ×4, first 2 shown]
	v_cmp_le_u32_e32 vcc, v2, v0
	s_waitcnt lgkmcnt(0)
	s_barrier
	s_and_saveexec_b64 s[0:1], vcc
	s_cbranch_execz .LBB185_523
; %bb.522:
	ds_read_b128 v[3:6], v7
	ds_read_b128 v[15:18], v1
	s_waitcnt lgkmcnt(0)
	v_mul_f64 v[8:9], v[5:6], v[17:18]
	v_mul_f64 v[17:18], v[3:4], v[17:18]
	v_fma_f64 v[3:4], v[3:4], v[15:16], -v[8:9]
	v_fma_f64 v[5:6], v[5:6], v[15:16], v[17:18]
	v_add_f64 v[3:4], v[3:4], 0
	v_add_f64 v[5:6], v[5:6], 0
.LBB185_523:
	s_or_b64 exec, exec, s[0:1]
	v_add_u32_e32 v2, 16, v2
	v_add_u32_e32 v8, 0x4000, v1
	v_cmp_ge_u32_e32 vcc, v0, v2
	s_and_saveexec_b64 s[0:1], vcc
	s_cbranch_execz .LBB185_525
; %bb.524:
	ds_read_b128 v[15:18], v7 offset:256
	ds_read_b128 v[19:22], v1 offset:8192
	s_waitcnt lgkmcnt(0)
	v_mul_f64 v[1:2], v[17:18], v[21:22]
	v_mul_f64 v[9:10], v[15:16], v[21:22]
	v_fma_f64 v[1:2], v[15:16], v[19:20], -v[1:2]
	v_fma_f64 v[9:10], v[17:18], v[19:20], v[9:10]
	v_add_f64 v[3:4], v[3:4], v[1:2]
	v_add_f64 v[5:6], v[5:6], v[9:10]
.LBB185_525:
	s_or_b64 exec, exec, s[0:1]
	s_mov_b64 s[6:7], 0
	s_mov_b64 s[0:1], 0
	ds_write_b128 v8, v[3:6]
	s_waitcnt lgkmcnt(0)
	s_barrier
                                        ; implicit-def: $vgpr7_vgpr8
                                        ; implicit-def: $vgpr9_vgpr10
                                        ; implicit-def: $vgpr1_vgpr2
	s_and_saveexec_b64 s[8:9], s[2:3]
	s_cbranch_execz .LBB185_540
; %bb.526:
	v_lshlrev_b32_e32 v19, 4, v0
	ds_read_b128 v[7:10], v19 offset:16896
	ds_read_b128 v[15:18], v19 offset:17408
	s_mov_b64 s[0:1], exec
	s_waitcnt lgkmcnt(1)
	v_add_f64 v[1:2], v[3:4], v[7:8]
	v_add_f64 v[3:4], v[5:6], v[9:10]
	s_waitcnt lgkmcnt(0)
	v_add_f64 v[9:10], v[1:2], v[15:16]
	v_add_f64 v[15:16], v[3:4], v[17:18]
	ds_read_b128 v[1:4], v19 offset:17920
	ds_read_b128 v[5:8], v19 offset:18432
	s_waitcnt lgkmcnt(1)
	v_add_f64 v[1:2], v[9:10], v[1:2]
	v_add_f64 v[3:4], v[15:16], v[3:4]
	s_waitcnt lgkmcnt(0)
	v_add_f64 v[9:10], v[1:2], v[5:6]
	v_add_f64 v[15:16], v[3:4], v[7:8]
	ds_read_b128 v[1:4], v19 offset:18944
	ds_read_b128 v[5:8], v19 offset:19456
	;; [unrolled: 8-line block ×6, first 2 shown]
	s_waitcnt lgkmcnt(1)
	v_add_f64 v[1:2], v[9:10], v[1:2]
	v_add_f64 v[3:4], v[15:16], v[3:4]
	v_add_u32_e32 v15, s33, v23
	s_waitcnt lgkmcnt(0)
	v_add_f64 v[9:10], v[1:2], v[5:6]
	v_add_f64 v[7:8], v[3:4], v[7:8]
	ds_read_b128 v[3:6], v19 offset:24064
	v_mad_u64_u32 v[1:2], s[10:11], s24, v15, 0
	s_waitcnt lgkmcnt(0)
	v_add_f64 v[9:10], v[9:10], v[3:4]
	v_add_f64 v[7:8], v[7:8], v[5:6]
	v_mad_u64_u32 v[2:3], s[10:11], s25, v15, v[2:3]
	s_or_b64 exec, exec, s[8:9]
	s_and_b64 vcc, exec, s[6:7]
	s_cbranch_vccnz .LBB185_528
	s_branch .LBB185_541
.LBB185_527:
	s_mov_b64 s[0:1], 0
                                        ; implicit-def: $vgpr7_vgpr8
                                        ; implicit-def: $vgpr9_vgpr10
                                        ; implicit-def: $vgpr1_vgpr2
	s_cbranch_execz .LBB185_541
.LBB185_528:
	v_mul_u32_u24_e32 v1, 0x210, v0
	v_lshlrev_b32_e32 v2, 9, v0
	v_sub_u32_e32 v2, v1, v2
	s_mov_b32 s8, 0
	v_mov_b32_e32 v3, 0
	v_mov_b32_e32 v4, v0
	s_branch .LBB185_530
.LBB185_529:                            ;   in Loop: Header=BB185_530 Depth=1
	s_or_b64 exec, exec, s[6:7]
	s_add_i32 s8, s8, 2
	v_add_u32_e32 v2, 0x400, v2
	s_cmp_lg_u32 s8, 32
	v_add_u32_e32 v4, -2, v4
	s_barrier
	s_cbranch_scc0 .LBB185_538
.LBB185_530:                            ; =>This Inner Loop Header: Depth=1
	v_cmp_eq_u32_e32 vcc, 0, v4
	s_and_b64 s[10:11], s[2:3], vcc
	s_and_saveexec_b64 s[6:7], s[10:11]
	s_cbranch_execz .LBB185_532
; %bb.531:                              ;   in Loop: Header=BB185_530 Depth=1
	ds_read_b128 v[5:8], v1
	s_waitcnt lgkmcnt(0)
	v_mul_f64 v[9:10], v[11:12], v[7:8]
	v_mul_f64 v[7:8], v[13:14], v[7:8]
	v_fma_f64 v[9:10], v[13:14], v[5:6], -v[9:10]
	v_fma_f64 v[11:12], v[11:12], v[5:6], v[7:8]
	v_mov_b32_e32 v14, v10
	v_mov_b32_e32 v13, v9
	ds_write_b128 v3, v[9:12] offset:25088
.LBB185_532:                            ;   in Loop: Header=BB185_530 Depth=1
	s_or_b64 exec, exec, s[6:7]
	v_cmp_lt_u32_e32 vcc, s8, v0
	s_and_b64 s[10:11], s[2:3], vcc
	s_waitcnt lgkmcnt(0)
	s_barrier
	s_and_saveexec_b64 s[6:7], s[10:11]
	s_cbranch_execz .LBB185_534
; %bb.533:                              ;   in Loop: Header=BB185_530 Depth=1
	ds_read_b128 v[5:8], v3 offset:25088
	ds_read_b128 v[15:18], v2
	s_waitcnt lgkmcnt(0)
	v_mul_f64 v[9:10], v[7:8], v[17:18]
	v_mul_f64 v[17:18], v[5:6], v[17:18]
	v_fma_f64 v[5:6], v[5:6], v[15:16], -v[9:10]
	v_fma_f64 v[7:8], v[7:8], v[15:16], v[17:18]
	v_add_f64 v[13:14], v[13:14], v[5:6]
	v_add_f64 v[11:12], v[11:12], v[7:8]
.LBB185_534:                            ;   in Loop: Header=BB185_530 Depth=1
	s_or_b64 exec, exec, s[6:7]
	s_or_b32 s9, s8, 1
	v_cmp_eq_u32_e32 vcc, s9, v0
	s_and_b64 s[10:11], s[2:3], vcc
	s_barrier
	s_and_saveexec_b64 s[6:7], s[10:11]
	s_cbranch_execz .LBB185_536
; %bb.535:                              ;   in Loop: Header=BB185_530 Depth=1
	ds_read_b128 v[5:8], v1
	s_waitcnt lgkmcnt(0)
	v_mul_f64 v[9:10], v[11:12], v[7:8]
	v_mul_f64 v[7:8], v[13:14], v[7:8]
	v_fma_f64 v[9:10], v[13:14], v[5:6], -v[9:10]
	v_fma_f64 v[11:12], v[11:12], v[5:6], v[7:8]
	v_mov_b32_e32 v14, v10
	v_mov_b32_e32 v13, v9
	ds_write_b128 v3, v[9:12] offset:25088
.LBB185_536:                            ;   in Loop: Header=BB185_530 Depth=1
	s_or_b64 exec, exec, s[6:7]
	v_cmp_lt_u32_e32 vcc, s9, v0
	s_and_b64 s[10:11], s[2:3], vcc
	s_waitcnt lgkmcnt(0)
	s_barrier
	s_and_saveexec_b64 s[6:7], s[10:11]
	s_cbranch_execz .LBB185_529
; %bb.537:                              ;   in Loop: Header=BB185_530 Depth=1
	ds_read_b128 v[5:8], v3 offset:25088
	ds_read_b128 v[15:18], v2 offset:512
	s_waitcnt lgkmcnt(0)
	v_mul_f64 v[9:10], v[7:8], v[17:18]
	v_mul_f64 v[17:18], v[5:6], v[17:18]
	v_fma_f64 v[5:6], v[5:6], v[15:16], -v[9:10]
	v_fma_f64 v[7:8], v[7:8], v[15:16], v[17:18]
	v_add_f64 v[13:14], v[13:14], v[5:6]
	v_add_f64 v[11:12], v[11:12], v[7:8]
	s_branch .LBB185_529
.LBB185_538:
	s_and_b64 vcc, exec, s[4:5]
	s_cbranch_vccz .LBB185_542
; %bb.539:
	s_and_b64 s[4:5], s[2:3], exec
	s_cbranch_execz .LBB185_543
	s_branch .LBB185_544
.LBB185_540:
	s_or_b64 exec, exec, s[8:9]
	s_and_b64 vcc, exec, s[6:7]
	s_cbranch_vccnz .LBB185_528
.LBB185_541:
	v_mov_b32_e32 v12, v8
	v_mov_b32_e32 v14, v10
	v_mov_b32_e32 v11, v7
	v_mov_b32_e32 v13, v9
	s_and_saveexec_b64 s[2:3], s[0:1]
	s_cbranch_execnz .LBB185_547
	s_branch .LBB185_548
.LBB185_542:
	s_mov_b64 s[4:5], 0
.LBB185_543:
	v_cmp_gt_i32_e32 vcc, s93, v0
	s_and_b64 s[2:3], s[2:3], vcc
	s_andn2_b64 s[4:5], s[4:5], exec
	s_and_b64 s[2:3], s[2:3], exec
	s_or_b64 s[4:5], s[4:5], s[2:3]
.LBB185_544:
                                        ; implicit-def: $vgpr1_vgpr2
	s_and_saveexec_b64 s[2:3], s[4:5]
	s_cbranch_execz .LBB185_546
; %bb.545:
	v_mov_b32_e32 v0, s92
	v_add_co_u32_e32 v1, vcc, s33, v23
	v_addc_co_u32_e32 v0, vcc, 0, v0, vcc
	v_mul_lo_u32 v0, v0, s24
	v_mul_lo_u32 v3, v1, s25
	v_mad_u64_u32 v[1:2], s[4:5], v1, s24, 0
	s_or_b64 s[0:1], s[0:1], exec
	v_add3_u32 v2, v2, v3, v0
.LBB185_546:
	s_or_b64 exec, exec, s[2:3]
	s_and_saveexec_b64 s[2:3], s[0:1]
	s_cbranch_execz .LBB185_548
.LBB185_547:
	v_lshlrev_b64 v[0:1], 4, v[1:2]
	v_mov_b32_e32 v2, s27
	v_add_co_u32_e32 v0, vcc, s26, v0
	v_addc_co_u32_e32 v1, vcc, v2, v1, vcc
	v_mov_b32_e32 v15, v11
	v_mov_b32_e32 v16, v12
	flat_store_dwordx4 v[0:1], v[13:16]
.LBB185_548:
	s_or_b64 exec, exec, s[2:3]
	v_cmp_eq_u32_e32 vcc, 0, v23
	s_waitcnt vmcnt(0) lgkmcnt(0)
	buffer_wbinvl1_vol
	s_barrier
	s_and_saveexec_b64 s[0:1], vcc
	s_cbranch_execz .LBB185_550
; %bb.549:
	s_lshl_b64 s[2:3], s[28:29], 2
	s_add_u32 s2, s14, s2
	s_addc_u32 s3, s15, s3
	v_mov_b32_e32 v0, 0
	global_load_dword v1, v0, s[2:3]
	s_waitcnt vmcnt(0)
	v_add_u32_e32 v1, 1, v1
	global_store_dword v0, v1, s[2:3]
.LBB185_550:
	s_or_b64 exec, exec, s[0:1]
	s_waitcnt vmcnt(0)
	buffer_wbinvl1_vol
	s_endpgm
.LBB185_551:
	ds_read_b128 v[24:27], v23 offset:14800
	ds_read_b128 v[28:31], v22 offset:15232
	s_waitcnt lgkmcnt(0)
	v_mul_f64 v[32:33], v[26:27], v[30:31]
	v_mul_f64 v[30:31], v[24:25], v[30:31]
	v_fma_f64 v[24:25], v[24:25], v[28:29], -v[32:33]
	v_fma_f64 v[26:27], v[26:27], v[28:29], v[30:31]
	v_add_f64 v[11:12], v[11:12], v[24:25]
	v_add_f64 v[13:14], v[13:14], v[26:27]
	s_or_b64 exec, exec, s[18:19]
	v_cmp_gt_u32_e64 s[12:13], 8, v18
	s_and_saveexec_b64 s[18:19], s[12:13]
	s_cbranch_execz .LBB185_89
.LBB185_552:
	ds_read_b128 v[23:26], v23 offset:14816
	ds_read_b128 v[27:30], v22 offset:15744
	s_waitcnt lgkmcnt(0)
	v_mul_f64 v[31:32], v[25:26], v[29:30]
	v_mul_f64 v[29:30], v[23:24], v[29:30]
	v_fma_f64 v[22:23], v[23:24], v[27:28], -v[31:32]
	v_fma_f64 v[24:25], v[25:26], v[27:28], v[29:30]
	v_add_f64 v[11:12], v[11:12], v[22:23]
	v_add_f64 v[13:14], v[13:14], v[24:25]
	s_or_b64 exec, exec, s[18:19]
	v_cmp_gt_u32_e64 s[12:13], 4, v18
	s_and_saveexec_b64 s[18:19], s[12:13]
	s_cbranch_execnz .LBB185_90
	s_branch .LBB185_91
.LBB185_553:
	ds_read_b128 v[27:30], v26 offset:12688
	ds_read_b128 v[31:34], v25 offset:13056
	s_waitcnt lgkmcnt(0)
	v_mul_f64 v[35:36], v[29:30], v[33:34]
	v_mul_f64 v[33:34], v[27:28], v[33:34]
	v_fma_f64 v[27:28], v[27:28], v[31:32], -v[35:36]
	v_fma_f64 v[29:30], v[29:30], v[31:32], v[33:34]
	v_add_f64 v[11:12], v[11:12], v[27:28]
	v_add_f64 v[13:14], v[13:14], v[29:30]
	s_or_b64 exec, exec, s[58:59]
	v_cmp_gt_u32_e64 s[14:15], 48, v18
	s_and_saveexec_b64 s[58:59], s[14:15]
	s_cbranch_execz .LBB185_131
.LBB185_554:
	ds_read_b128 v[27:30], v26 offset:12704
	ds_read_b128 v[31:34], v25 offset:13568
	s_waitcnt lgkmcnt(0)
	v_mul_f64 v[35:36], v[29:30], v[33:34]
	v_mul_f64 v[33:34], v[27:28], v[33:34]
	v_fma_f64 v[27:28], v[27:28], v[31:32], -v[35:36]
	v_fma_f64 v[29:30], v[29:30], v[31:32], v[33:34]
	v_add_f64 v[11:12], v[11:12], v[27:28]
	v_add_f64 v[13:14], v[13:14], v[29:30]
	s_or_b64 exec, exec, s[58:59]
	v_cmp_gt_u32_e64 s[14:15], 40, v18
	s_and_saveexec_b64 s[58:59], s[14:15]
	s_cbranch_execz .LBB185_132
.LBB185_555:
	ds_read_b128 v[27:30], v26 offset:12720
	ds_read_b128 v[31:34], v25 offset:14080
	s_waitcnt lgkmcnt(0)
	v_mul_f64 v[35:36], v[29:30], v[33:34]
	v_mul_f64 v[33:34], v[27:28], v[33:34]
	v_fma_f64 v[27:28], v[27:28], v[31:32], -v[35:36]
	v_fma_f64 v[29:30], v[29:30], v[31:32], v[33:34]
	v_add_f64 v[11:12], v[11:12], v[27:28]
	v_add_f64 v[13:14], v[13:14], v[29:30]
	s_or_b64 exec, exec, s[58:59]
	v_cmp_gt_u32_e64 s[14:15], 32, v18
	s_and_saveexec_b64 s[58:59], s[14:15]
	s_cbranch_execz .LBB185_133
.LBB185_556:
	ds_read_b128 v[27:30], v26 offset:12736
	ds_read_b128 v[31:34], v25 offset:14592
	s_waitcnt lgkmcnt(0)
	v_mul_f64 v[35:36], v[29:30], v[33:34]
	v_mul_f64 v[33:34], v[27:28], v[33:34]
	v_fma_f64 v[27:28], v[27:28], v[31:32], -v[35:36]
	v_fma_f64 v[29:30], v[29:30], v[31:32], v[33:34]
	v_add_f64 v[11:12], v[11:12], v[27:28]
	v_add_f64 v[13:14], v[13:14], v[29:30]
	s_or_b64 exec, exec, s[58:59]
	v_cmp_gt_u32_e64 s[14:15], 24, v18
	s_and_saveexec_b64 s[58:59], s[14:15]
	s_cbranch_execz .LBB185_134
.LBB185_557:
	ds_read_b128 v[27:30], v26 offset:12752
	ds_read_b128 v[31:34], v25 offset:15104
	s_waitcnt lgkmcnt(0)
	v_mul_f64 v[35:36], v[29:30], v[33:34]
	v_mul_f64 v[33:34], v[27:28], v[33:34]
	v_fma_f64 v[27:28], v[27:28], v[31:32], -v[35:36]
	v_fma_f64 v[29:30], v[29:30], v[31:32], v[33:34]
	v_add_f64 v[11:12], v[11:12], v[27:28]
	v_add_f64 v[13:14], v[13:14], v[29:30]
	s_or_b64 exec, exec, s[58:59]
	s_and_saveexec_b64 s[14:15], s[16:17]
	s_cbranch_execz .LBB185_135
.LBB185_558:
	ds_read_b128 v[26:29], v26 offset:12768
	ds_read_b128 v[30:33], v25 offset:15616
	s_waitcnt lgkmcnt(0)
	v_mul_f64 v[34:35], v[28:29], v[32:33]
	v_mul_f64 v[32:33], v[26:27], v[32:33]
	v_fma_f64 v[25:26], v[26:27], v[30:31], -v[34:35]
	v_fma_f64 v[27:28], v[28:29], v[30:31], v[32:33]
	v_add_f64 v[11:12], v[11:12], v[25:26]
	v_add_f64 v[13:14], v[13:14], v[27:28]
	s_or_b64 exec, exec, s[14:15]
	v_cmp_gt_u32_e64 s[14:15], 8, v18
	s_and_saveexec_b64 s[58:59], s[14:15]
	s_cbranch_execnz .LBB185_136
	s_branch .LBB185_137
.LBB185_559:
	ds_read_b128 v[27:30], v26 offset:10576
	ds_read_b128 v[31:34], v25 offset:11008
	s_waitcnt lgkmcnt(0)
	v_mul_f64 v[35:36], v[29:30], v[33:34]
	v_mul_f64 v[33:34], v[27:28], v[33:34]
	v_fma_f64 v[27:28], v[27:28], v[31:32], -v[35:36]
	v_fma_f64 v[29:30], v[29:30], v[31:32], v[33:34]
	v_add_f64 v[11:12], v[11:12], v[27:28]
	v_add_f64 v[13:14], v[13:14], v[29:30]
	s_or_b64 exec, exec, s[18:19]
	v_cmp_gt_u32_e64 s[12:13], 8, v18
	s_and_saveexec_b64 s[18:19], s[12:13]
	s_cbranch_execz .LBB185_193
.LBB185_560:
	ds_read_b128 v[26:29], v26 offset:10592
	ds_read_b128 v[30:33], v25 offset:11520
	s_waitcnt lgkmcnt(0)
	v_mul_f64 v[34:35], v[28:29], v[32:33]
	v_mul_f64 v[32:33], v[26:27], v[32:33]
	v_fma_f64 v[25:26], v[26:27], v[30:31], -v[34:35]
	v_fma_f64 v[27:28], v[28:29], v[30:31], v[32:33]
	v_add_f64 v[11:12], v[11:12], v[25:26]
	v_add_f64 v[13:14], v[13:14], v[27:28]
	s_or_b64 exec, exec, s[18:19]
	v_cmp_gt_u32_e64 s[12:13], 4, v18
	s_and_saveexec_b64 s[18:19], s[12:13]
	s_cbranch_execnz .LBB185_194
	s_branch .LBB185_195
.LBB185_561:
	ds_read_b128 v[30:33], v29 offset:8624
	ds_read_b128 v[34:37], v28 offset:13824
	s_waitcnt lgkmcnt(0)
	v_mul_f64 v[38:39], v[32:33], v[36:37]
	v_mul_f64 v[36:37], v[30:31], v[36:37]
	v_fma_f64 v[30:31], v[30:31], v[34:35], -v[38:39]
	v_fma_f64 v[32:33], v[32:33], v[34:35], v[36:37]
	v_add_f64 v[11:12], v[11:12], v[30:31]
	v_add_f64 v[13:14], v[13:14], v[32:33]
	s_or_b64 exec, exec, s[90:91]
	s_and_saveexec_b64 s[18:19], s[8:9]
	s_cbranch_execz .LBB185_255
.LBB185_562:
	ds_read_b128 v[30:33], v29 offset:8640
	ds_read_b128 v[34:37], v28 offset:14336
	s_waitcnt lgkmcnt(0)
	v_mul_f64 v[38:39], v[32:33], v[36:37]
	v_mul_f64 v[36:37], v[30:31], v[36:37]
	v_fma_f64 v[30:31], v[30:31], v[34:35], -v[38:39]
	v_fma_f64 v[32:33], v[32:33], v[34:35], v[36:37]
	v_add_f64 v[11:12], v[11:12], v[30:31]
	v_add_f64 v[13:14], v[13:14], v[32:33]
	s_or_b64 exec, exec, s[18:19]
	v_cmp_gt_u32_e64 s[18:19], 48, v18
	s_and_saveexec_b64 s[90:91], s[18:19]
	s_cbranch_execz .LBB185_256
.LBB185_563:
	ds_read_b128 v[30:33], v29 offset:8656
	ds_read_b128 v[34:37], v28 offset:14848
	s_waitcnt lgkmcnt(0)
	v_mul_f64 v[38:39], v[32:33], v[36:37]
	v_mul_f64 v[36:37], v[30:31], v[36:37]
	v_fma_f64 v[30:31], v[30:31], v[34:35], -v[38:39]
	v_fma_f64 v[32:33], v[32:33], v[34:35], v[36:37]
	v_add_f64 v[11:12], v[11:12], v[30:31]
	v_add_f64 v[13:14], v[13:14], v[32:33]
	s_or_b64 exec, exec, s[90:91]
	v_cmp_gt_u32_e64 s[18:19], 32, v18
	s_and_saveexec_b64 s[90:91], s[18:19]
	s_cbranch_execz .LBB185_257
.LBB185_564:
	ds_read_b128 v[29:32], v29 offset:8672
	ds_read_b128 v[33:36], v28 offset:15360
	s_waitcnt lgkmcnt(0)
	v_mul_f64 v[37:38], v[31:32], v[35:36]
	v_mul_f64 v[35:36], v[29:30], v[35:36]
	v_fma_f64 v[28:29], v[29:30], v[33:34], -v[37:38]
	v_fma_f64 v[30:31], v[31:32], v[33:34], v[35:36]
	v_add_f64 v[11:12], v[11:12], v[28:29]
	v_add_f64 v[13:14], v[13:14], v[30:31]
	s_or_b64 exec, exec, s[90:91]
	v_cmp_gt_u32_e64 s[18:19], 16, v18
	s_and_saveexec_b64 s[90:91], s[18:19]
	s_cbranch_execnz .LBB185_258
	s_branch .LBB185_259
.LBB185_565:
	ds_read_b128 v[27:30], v26 offset:6352
	ds_read_b128 v[31:34], v25 offset:6784
	s_waitcnt lgkmcnt(0)
	v_mul_f64 v[35:36], v[29:30], v[33:34]
	v_mul_f64 v[33:34], v[27:28], v[33:34]
	v_fma_f64 v[27:28], v[27:28], v[31:32], -v[35:36]
	v_fma_f64 v[29:30], v[29:30], v[31:32], v[33:34]
	v_add_f64 v[11:12], v[11:12], v[27:28]
	v_add_f64 v[13:14], v[13:14], v[29:30]
	s_or_b64 exec, exec, s[14:15]
	v_cmp_gt_u32_e64 s[10:11], 8, v18
	s_and_saveexec_b64 s[14:15], s[10:11]
	s_cbranch_execz .LBB185_347
.LBB185_566:
	ds_read_b128 v[26:29], v26 offset:6368
	ds_read_b128 v[30:33], v25 offset:7296
	s_waitcnt lgkmcnt(0)
	v_mul_f64 v[34:35], v[28:29], v[32:33]
	v_mul_f64 v[32:33], v[26:27], v[32:33]
	v_fma_f64 v[25:26], v[26:27], v[30:31], -v[34:35]
	v_fma_f64 v[27:28], v[28:29], v[30:31], v[32:33]
	v_add_f64 v[11:12], v[11:12], v[25:26]
	v_add_f64 v[13:14], v[13:14], v[27:28]
	s_or_b64 exec, exec, s[14:15]
	v_cmp_gt_u32_e64 s[10:11], 4, v18
	s_and_saveexec_b64 s[14:15], s[10:11]
	s_cbranch_execnz .LBB185_348
	s_branch .LBB185_349
.LBB185_567:
	ds_read_b128 v[27:30], v26 offset:4240
	ds_read_b128 v[31:34], v25 offset:4608
	s_waitcnt lgkmcnt(0)
	v_mul_f64 v[35:36], v[29:30], v[33:34]
	v_mul_f64 v[33:34], v[27:28], v[33:34]
	v_fma_f64 v[27:28], v[27:28], v[31:32], -v[35:36]
	v_fma_f64 v[29:30], v[29:30], v[31:32], v[33:34]
	v_add_f64 v[11:12], v[11:12], v[27:28]
	v_add_f64 v[13:14], v[13:14], v[29:30]
	s_or_b64 exec, exec, s[14:15]
	v_cmp_gt_u32_e64 s[10:11], 48, v18
	s_and_saveexec_b64 s[14:15], s[10:11]
	s_cbranch_execz .LBB185_389
.LBB185_568:
	ds_read_b128 v[27:30], v26 offset:4256
	ds_read_b128 v[31:34], v25 offset:5120
	s_waitcnt lgkmcnt(0)
	v_mul_f64 v[35:36], v[29:30], v[33:34]
	v_mul_f64 v[33:34], v[27:28], v[33:34]
	v_fma_f64 v[27:28], v[27:28], v[31:32], -v[35:36]
	v_fma_f64 v[29:30], v[29:30], v[31:32], v[33:34]
	v_add_f64 v[11:12], v[11:12], v[27:28]
	v_add_f64 v[13:14], v[13:14], v[29:30]
	s_or_b64 exec, exec, s[14:15]
	v_cmp_gt_u32_e64 s[10:11], 40, v18
	s_and_saveexec_b64 s[14:15], s[10:11]
	s_cbranch_execz .LBB185_390
.LBB185_569:
	ds_read_b128 v[27:30], v26 offset:4272
	ds_read_b128 v[31:34], v25 offset:5632
	s_waitcnt lgkmcnt(0)
	v_mul_f64 v[35:36], v[29:30], v[33:34]
	v_mul_f64 v[33:34], v[27:28], v[33:34]
	v_fma_f64 v[27:28], v[27:28], v[31:32], -v[35:36]
	v_fma_f64 v[29:30], v[29:30], v[31:32], v[33:34]
	v_add_f64 v[11:12], v[11:12], v[27:28]
	v_add_f64 v[13:14], v[13:14], v[29:30]
	s_or_b64 exec, exec, s[14:15]
	v_cmp_gt_u32_e64 s[10:11], 32, v18
	s_and_saveexec_b64 s[14:15], s[10:11]
	s_cbranch_execz .LBB185_391
.LBB185_570:
	ds_read_b128 v[27:30], v26 offset:4288
	ds_read_b128 v[31:34], v25 offset:6144
	s_waitcnt lgkmcnt(0)
	v_mul_f64 v[35:36], v[29:30], v[33:34]
	v_mul_f64 v[33:34], v[27:28], v[33:34]
	v_fma_f64 v[27:28], v[27:28], v[31:32], -v[35:36]
	v_fma_f64 v[29:30], v[29:30], v[31:32], v[33:34]
	v_add_f64 v[11:12], v[11:12], v[27:28]
	v_add_f64 v[13:14], v[13:14], v[29:30]
	s_or_b64 exec, exec, s[14:15]
	v_cmp_gt_u32_e64 s[10:11], 24, v18
	s_and_saveexec_b64 s[14:15], s[10:11]
	s_cbranch_execz .LBB185_392
.LBB185_571:
	ds_read_b128 v[27:30], v26 offset:4304
	ds_read_b128 v[31:34], v25 offset:6656
	s_waitcnt lgkmcnt(0)
	v_mul_f64 v[35:36], v[29:30], v[33:34]
	v_mul_f64 v[33:34], v[27:28], v[33:34]
	v_fma_f64 v[27:28], v[27:28], v[31:32], -v[35:36]
	v_fma_f64 v[29:30], v[29:30], v[31:32], v[33:34]
	v_add_f64 v[11:12], v[11:12], v[27:28]
	v_add_f64 v[13:14], v[13:14], v[29:30]
	s_or_b64 exec, exec, s[14:15]
	s_and_saveexec_b64 s[10:11], s[16:17]
	s_cbranch_execz .LBB185_393
.LBB185_572:
	ds_read_b128 v[26:29], v26 offset:4320
	ds_read_b128 v[30:33], v25 offset:7168
	s_waitcnt lgkmcnt(0)
	v_mul_f64 v[34:35], v[28:29], v[32:33]
	v_mul_f64 v[32:33], v[26:27], v[32:33]
	v_fma_f64 v[25:26], v[26:27], v[30:31], -v[34:35]
	v_fma_f64 v[27:28], v[28:29], v[30:31], v[32:33]
	v_add_f64 v[11:12], v[11:12], v[25:26]
	v_add_f64 v[13:14], v[13:14], v[27:28]
	s_or_b64 exec, exec, s[10:11]
	v_cmp_gt_u32_e64 s[10:11], 8, v18
	s_and_saveexec_b64 s[14:15], s[10:11]
	s_cbranch_execnz .LBB185_394
	s_branch .LBB185_395
.LBB185_573:
	ds_read_b128 v[24:27], v23 offset:2128
	ds_read_b128 v[28:31], v22 offset:2560
	s_waitcnt lgkmcnt(0)
	v_mul_f64 v[32:33], v[26:27], v[30:31]
	v_mul_f64 v[30:31], v[24:25], v[30:31]
	v_fma_f64 v[24:25], v[24:25], v[28:29], -v[32:33]
	v_fma_f64 v[26:27], v[26:27], v[28:29], v[30:31]
	v_add_f64 v[11:12], v[11:12], v[24:25]
	v_add_f64 v[13:14], v[13:14], v[26:27]
	s_or_b64 exec, exec, s[12:13]
	v_cmp_gt_u32_e64 s[8:9], 8, v18
	s_and_saveexec_b64 s[12:13], s[8:9]
	s_cbranch_execz .LBB185_451
.LBB185_574:
	ds_read_b128 v[23:26], v23 offset:2144
	ds_read_b128 v[27:30], v22 offset:3072
	s_waitcnt lgkmcnt(0)
	v_mul_f64 v[31:32], v[25:26], v[29:30]
	v_mul_f64 v[29:30], v[23:24], v[29:30]
	v_fma_f64 v[22:23], v[23:24], v[27:28], -v[31:32]
	v_fma_f64 v[24:25], v[25:26], v[27:28], v[29:30]
	v_add_f64 v[11:12], v[11:12], v[22:23]
	v_add_f64 v[13:14], v[13:14], v[24:25]
	s_or_b64 exec, exec, s[12:13]
	v_cmp_gt_u32_e64 s[8:9], 4, v18
	s_and_saveexec_b64 s[12:13], s[8:9]
	s_cbranch_execnz .LBB185_452
	s_branch .LBB185_453
	.section	.rodata,"a",@progbits
	.p2align	6, 0x0
	.amdhsa_kernel _ZL19rocblas_trsv_deviceILi32ELi16ELb0ELb1ELb0ELb0E19rocblas_complex_numIdES1_PKPKS1_PKPS1_EviT7_lllT6_T8_lllPii
		.amdhsa_group_segment_fixed_size 25104
		.amdhsa_private_segment_fixed_size 0
		.amdhsa_kernarg_size 360
		.amdhsa_user_sgpr_count 6
		.amdhsa_user_sgpr_private_segment_buffer 1
		.amdhsa_user_sgpr_dispatch_ptr 0
		.amdhsa_user_sgpr_queue_ptr 0
		.amdhsa_user_sgpr_kernarg_segment_ptr 1
		.amdhsa_user_sgpr_dispatch_id 0
		.amdhsa_user_sgpr_flat_scratch_init 0
		.amdhsa_user_sgpr_private_segment_size 0
		.amdhsa_uses_dynamic_stack 0
		.amdhsa_system_sgpr_private_segment_wavefront_offset 0
		.amdhsa_system_sgpr_workgroup_id_x 1
		.amdhsa_system_sgpr_workgroup_id_y 0
		.amdhsa_system_sgpr_workgroup_id_z 1
		.amdhsa_system_sgpr_workgroup_info 0
		.amdhsa_system_vgpr_workitem_id 1
		.amdhsa_next_free_vgpr 49
		.amdhsa_next_free_sgpr 98
		.amdhsa_reserve_vcc 1
		.amdhsa_reserve_flat_scratch 0
		.amdhsa_float_round_mode_32 0
		.amdhsa_float_round_mode_16_64 0
		.amdhsa_float_denorm_mode_32 3
		.amdhsa_float_denorm_mode_16_64 3
		.amdhsa_dx10_clamp 1
		.amdhsa_ieee_mode 1
		.amdhsa_fp16_overflow 0
		.amdhsa_exception_fp_ieee_invalid_op 0
		.amdhsa_exception_fp_denorm_src 0
		.amdhsa_exception_fp_ieee_div_zero 0
		.amdhsa_exception_fp_ieee_overflow 0
		.amdhsa_exception_fp_ieee_underflow 0
		.amdhsa_exception_fp_ieee_inexact 0
		.amdhsa_exception_int_div_zero 0
	.end_amdhsa_kernel
	.section	.text._ZL19rocblas_trsv_deviceILi32ELi16ELb0ELb1ELb0ELb0E19rocblas_complex_numIdES1_PKPKS1_PKPS1_EviT7_lllT6_T8_lllPii,"axG",@progbits,_ZL19rocblas_trsv_deviceILi32ELi16ELb0ELb1ELb0ELb0E19rocblas_complex_numIdES1_PKPKS1_PKPS1_EviT7_lllT6_T8_lllPii,comdat
.Lfunc_end185:
	.size	_ZL19rocblas_trsv_deviceILi32ELi16ELb0ELb1ELb0ELb0E19rocblas_complex_numIdES1_PKPKS1_PKPS1_EviT7_lllT6_T8_lllPii, .Lfunc_end185-_ZL19rocblas_trsv_deviceILi32ELi16ELb0ELb1ELb0ELb0E19rocblas_complex_numIdES1_PKPKS1_PKPS1_EviT7_lllT6_T8_lllPii
                                        ; -- End function
	.set _ZL19rocblas_trsv_deviceILi32ELi16ELb0ELb1ELb0ELb0E19rocblas_complex_numIdES1_PKPKS1_PKPS1_EviT7_lllT6_T8_lllPii.num_vgpr, 40
	.set _ZL19rocblas_trsv_deviceILi32ELi16ELb0ELb1ELb0ELb0E19rocblas_complex_numIdES1_PKPKS1_PKPS1_EviT7_lllT6_T8_lllPii.num_agpr, 0
	.set _ZL19rocblas_trsv_deviceILi32ELi16ELb0ELb1ELb0ELb0E19rocblas_complex_numIdES1_PKPKS1_PKPS1_EviT7_lllT6_T8_lllPii.numbered_sgpr, 96
	.set _ZL19rocblas_trsv_deviceILi32ELi16ELb0ELb1ELb0ELb0E19rocblas_complex_numIdES1_PKPKS1_PKPS1_EviT7_lllT6_T8_lllPii.num_named_barrier, 0
	.set _ZL19rocblas_trsv_deviceILi32ELi16ELb0ELb1ELb0ELb0E19rocblas_complex_numIdES1_PKPKS1_PKPS1_EviT7_lllT6_T8_lllPii.private_seg_size, 0
	.set _ZL19rocblas_trsv_deviceILi32ELi16ELb0ELb1ELb0ELb0E19rocblas_complex_numIdES1_PKPKS1_PKPS1_EviT7_lllT6_T8_lllPii.uses_vcc, 1
	.set _ZL19rocblas_trsv_deviceILi32ELi16ELb0ELb1ELb0ELb0E19rocblas_complex_numIdES1_PKPKS1_PKPS1_EviT7_lllT6_T8_lllPii.uses_flat_scratch, 0
	.set _ZL19rocblas_trsv_deviceILi32ELi16ELb0ELb1ELb0ELb0E19rocblas_complex_numIdES1_PKPKS1_PKPS1_EviT7_lllT6_T8_lllPii.has_dyn_sized_stack, 0
	.set _ZL19rocblas_trsv_deviceILi32ELi16ELb0ELb1ELb0ELb0E19rocblas_complex_numIdES1_PKPKS1_PKPS1_EviT7_lllT6_T8_lllPii.has_recursion, 0
	.set _ZL19rocblas_trsv_deviceILi32ELi16ELb0ELb1ELb0ELb0E19rocblas_complex_numIdES1_PKPKS1_PKPS1_EviT7_lllT6_T8_lllPii.has_indirect_call, 0
	.section	.AMDGPU.csdata,"",@progbits
; Kernel info:
; codeLenInByte = 28932
; TotalNumSgprs: 100
; NumVgprs: 40
; ScratchSize: 0
; MemoryBound: 1
; FloatMode: 240
; IeeeMode: 1
; LDSByteSize: 25104 bytes/workgroup (compile time only)
; SGPRBlocks: 12
; VGPRBlocks: 12
; NumSGPRsForWavesPerEU: 102
; NumVGPRsForWavesPerEU: 49
; Occupancy: 4
; WaveLimiterHint : 1
; COMPUTE_PGM_RSRC2:SCRATCH_EN: 0
; COMPUTE_PGM_RSRC2:USER_SGPR: 6
; COMPUTE_PGM_RSRC2:TRAP_HANDLER: 0
; COMPUTE_PGM_RSRC2:TGID_X_EN: 1
; COMPUTE_PGM_RSRC2:TGID_Y_EN: 0
; COMPUTE_PGM_RSRC2:TGID_Z_EN: 1
; COMPUTE_PGM_RSRC2:TIDIG_COMP_CNT: 1
	.section	.text._ZL19rocblas_trsv_deviceILi32ELi16ELb0ELb1ELb1ELb0E19rocblas_complex_numIdES1_PKPKS1_PKPS1_EviT7_lllT6_T8_lllPii,"axG",@progbits,_ZL19rocblas_trsv_deviceILi32ELi16ELb0ELb1ELb1ELb0E19rocblas_complex_numIdES1_PKPKS1_PKPS1_EviT7_lllT6_T8_lllPii,comdat
	.globl	_ZL19rocblas_trsv_deviceILi32ELi16ELb0ELb1ELb1ELb0E19rocblas_complex_numIdES1_PKPKS1_PKPS1_EviT7_lllT6_T8_lllPii ; -- Begin function _ZL19rocblas_trsv_deviceILi32ELi16ELb0ELb1ELb1ELb0E19rocblas_complex_numIdES1_PKPKS1_PKPS1_EviT7_lllT6_T8_lllPii
	.p2align	8
	.type	_ZL19rocblas_trsv_deviceILi32ELi16ELb0ELb1ELb1ELb0E19rocblas_complex_numIdES1_PKPKS1_PKPS1_EviT7_lllT6_T8_lllPii,@function
_ZL19rocblas_trsv_deviceILi32ELi16ELb0ELb1ELb1ELb0E19rocblas_complex_numIdES1_PKPKS1_PKPS1_EviT7_lllT6_T8_lllPii: ; @_ZL19rocblas_trsv_deviceILi32ELi16ELb0ELb1ELb1ELb0E19rocblas_complex_numIdES1_PKPKS1_PKPS1_EviT7_lllT6_T8_lllPii
; %bb.0:
	s_load_dwordx4 s[0:3], s[4:5], 0x8
	s_mov_b32 s28, s7
	s_mov_b32 s29, 0
	s_lshl_b64 s[8:9], s[28:29], 3
	v_mov_b32_e32 v2, v1
	s_waitcnt lgkmcnt(0)
	s_add_u32 s0, s0, s8
	s_addc_u32 s1, s1, s9
	s_load_dwordx2 s[10:11], s[0:1], 0x0
	s_load_dword s7, s[4:5], 0x0
	s_load_dwordx8 s[20:27], s[4:5], 0x28
	s_load_dwordx2 s[34:35], s[4:5], 0x18
	s_lshl_b64 s[0:1], s[2:3], 4
	s_waitcnt lgkmcnt(0)
	s_add_u32 s94, s10, s0
	s_addc_u32 s95, s11, s1
	s_add_u32 s0, s24, s8
	s_addc_u32 s1, s25, s9
	s_load_dwordx2 s[36:37], s[0:1], 0x0
	s_load_dwordx2 s[24:25], s[4:5], 0x48
	s_load_dword s46, s[4:5], 0x74
	s_cmp_eq_u32 s6, 0
	s_cbranch_scc1 .LBB186_6
; %bb.1:
	s_lshl_b32 s33, s6, 5
	v_add_u32_e32 v1, s33, v0
	v_ashrrev_i32_e32 v3, 31, v1
	v_mul_lo_u32 v7, s34, v3
	v_mul_lo_u32 v8, s35, v1
	v_mad_u64_u32 v[5:6], s[0:1], s34, v1, 0
	v_add_u32_e32 v3, s33, v2
	v_subrev_u32_e32 v3, 32, v3
	v_add3_u32 v6, v6, v7, v8
	v_lshlrev_b64 v[5:6], 4, v[5:6]
	v_ashrrev_i32_e32 v4, 31, v3
	v_cmp_gt_i32_e32 vcc, s7, v1
	v_mov_b32_e32 v1, s95
	v_add_co_u32_e64 v7, s[0:1], s94, v5
	v_lshlrev_b64 v[4:5], 4, v[3:4]
	v_addc_co_u32_e64 v1, s[0:1], v1, v6, s[0:1]
	v_add_co_u32_e64 v11, s[0:1], v7, v4
	v_addc_co_u32_e64 v12, s[0:1], v1, v5, s[0:1]
	v_cmp_gt_i32_e64 s[0:1], s7, v3
	v_mov_b32_e32 v5, 0
	v_mov_b32_e32 v7, 0
	;; [unrolled: 1-line block ×6, first 2 shown]
	s_and_b64 s[2:3], s[0:1], vcc
	s_waitcnt lgkmcnt(0)
	s_barrier
	s_and_saveexec_b64 s[0:1], s[2:3]
	s_cbranch_execz .LBB186_3
; %bb.2:
	flat_load_dwordx4 v[7:10], v[11:12]
.LBB186_3:
	s_or_b64 exec, exec, s[0:1]
	v_add_u32_e32 v1, 16, v3
	v_cmp_gt_i32_e64 s[0:1], s7, v1
	v_mov_b32_e32 v3, 0
	v_mov_b32_e32 v4, 0
	s_and_b64 s[2:3], s[0:1], vcc
	s_waitcnt vmcnt(0) lgkmcnt(0)
	s_barrier
	s_and_saveexec_b64 s[0:1], s[2:3]
	s_cbranch_execz .LBB186_5
; %bb.4:
	flat_load_dwordx4 v[3:6], v[11:12] offset:256
.LBB186_5:
	s_or_b64 exec, exec, s[0:1]
	s_branch .LBB186_7
.LBB186_6:
                                        ; implicit-def: $vgpr5_vgpr6
                                        ; implicit-def: $vgpr9_vgpr10
	s_mov_b32 s33, s29
.LBB186_7:
	s_ashr_i32 s0, s7, 31
	s_lshr_b32 s0, s0, 27
	s_add_i32 s0, s7, s0
	s_andn2_b32 s0, s0, 31
	s_sub_i32 s93, s7, s0
	s_add_i32 s0, s7, -1
	s_ashr_i32 s1, s0, 31
	s_lshr_b32 s1, s1, 27
	s_add_i32 s0, s0, s1
	s_ashr_i32 s0, s0, 5
	s_cmp_eq_u32 s0, s6
	s_cselect_b64 s[0:1], -1, 0
	s_cmp_lg_u32 s93, 0
	s_cselect_b64 s[2:3], -1, 0
	s_and_b64 s[30:31], s[2:3], s[0:1]
	s_cmp_lt_i32 s6, 5
	s_cselect_b64 s[2:3], -1, 0
	s_or_b64 s[0:1], s[2:3], s[30:31]
	s_ashr_i32 s92, s33, 31
	s_add_u32 s10, s34, 1
	v_mov_b32_e32 v1, 0
	v_mov_b32_e32 v11, s33
	v_mad_u64_u32 v[19:20], s[8:9], s10, v11, v[0:1]
	s_addc_u32 s11, s35, 0
	s_mul_i32 s8, s10, s92
	s_mul_i32 s11, s11, s33
	v_lshlrev_b32_e32 v21, 5, v0
	s_add_i32 s8, s8, s11
	s_mov_b64 s[12:13], -1
	v_add_u32_e32 v20, s8, v20
	s_and_b64 vcc, exec, s[30:31]
	v_add_u32_e32 v22, v2, v21
	v_cmp_le_u32_e64 s[8:9], v2, v0
	v_lshl_add_u32 v1, v2, 5, v0
	s_cbranch_vccnz .LBB186_37
; %bb.8:
	v_mad_u64_u32 v[11:12], s[10:11], s34, v2, v[19:20]
	v_cndmask_b32_e64 v23, v1, v22, s[2:3]
	v_mad_u64_u32 v[12:13], s[10:11], s35, v2, v[12:13]
	s_and_saveexec_b64 s[2:3], s[8:9]
	s_xor_b64 s[2:3], exec, s[2:3]
	s_cbranch_execz .LBB186_20
; %bb.9:
	v_cmp_ne_u32_e32 vcc, v0, v2
	s_and_saveexec_b64 s[8:9], vcc
	s_xor_b64 s[8:9], exec, s[8:9]
	s_cbranch_execz .LBB186_13
; %bb.10:
	v_or_b32_e32 v11, v2, v0
	v_cmp_gt_u32_e32 vcc, 32, v11
	s_and_saveexec_b64 s[10:11], vcc
	s_cbranch_execz .LBB186_12
; %bb.11:
	v_mov_b32_e32 v11, 0
	v_lshlrev_b32_e32 v15, 4, v23
	v_mov_b32_e32 v12, v11
	v_mov_b32_e32 v13, v11
	;; [unrolled: 1-line block ×3, first 2 shown]
	ds_write_b128 v15, v[11:14]
.LBB186_12:
	s_or_b64 exec, exec, s[10:11]
                                        ; implicit-def: $vgpr23
                                        ; implicit-def: $vgpr11_vgpr12
.LBB186_13:
	s_andn2_saveexec_b64 s[8:9], s[8:9]
	s_cbranch_execz .LBB186_19
; %bb.14:
	v_lshlrev_b64 v[11:12], 4, v[11:12]
	v_mov_b32_e32 v13, s95
	v_add_co_u32_e32 v11, vcc, s94, v11
	v_addc_co_u32_e32 v12, vcc, v13, v12, vcc
	flat_load_dwordx4 v[11:14], v[11:12]
                                        ; implicit-def: $vgpr15_vgpr16
	s_waitcnt vmcnt(0) lgkmcnt(0)
	v_cmp_ngt_f64_e64 s[10:11], |v[11:12]|, |v[13:14]|
	s_and_saveexec_b64 s[12:13], s[10:11]
	s_xor_b64 s[10:11], exec, s[12:13]
	s_cbranch_execz .LBB186_16
; %bb.15:
	v_div_scale_f64 v[15:16], s[12:13], -v[13:14], -v[13:14], v[11:12]
	v_rcp_f64_e32 v[17:18], v[15:16]
	v_fma_f64 v[24:25], -v[15:16], v[17:18], 1.0
	v_fma_f64 v[17:18], v[17:18], v[24:25], v[17:18]
	v_div_scale_f64 v[24:25], vcc, v[11:12], -v[13:14], v[11:12]
	v_fma_f64 v[26:27], -v[15:16], v[17:18], 1.0
	v_fma_f64 v[17:18], v[17:18], v[26:27], v[17:18]
	v_mul_f64 v[26:27], v[24:25], v[17:18]
	v_fma_f64 v[15:16], -v[15:16], v[26:27], v[24:25]
	v_div_fmas_f64 v[15:16], v[15:16], v[17:18], v[26:27]
	v_div_fixup_f64 v[15:16], v[15:16], -v[13:14], v[11:12]
	v_fma_f64 v[11:12], v[11:12], v[15:16], -v[13:14]
	v_div_scale_f64 v[13:14], s[12:13], v[11:12], v[11:12], 1.0
	v_div_scale_f64 v[26:27], vcc, 1.0, v[11:12], 1.0
	v_rcp_f64_e32 v[17:18], v[13:14]
	v_fma_f64 v[24:25], -v[13:14], v[17:18], 1.0
	v_fma_f64 v[17:18], v[17:18], v[24:25], v[17:18]
	v_fma_f64 v[24:25], -v[13:14], v[17:18], 1.0
	v_fma_f64 v[17:18], v[17:18], v[24:25], v[17:18]
	v_mul_f64 v[24:25], v[26:27], v[17:18]
	v_fma_f64 v[13:14], -v[13:14], v[24:25], v[26:27]
	v_div_fmas_f64 v[13:14], v[13:14], v[17:18], v[24:25]
	v_div_fixup_f64 v[17:18], v[13:14], v[11:12], 1.0
                                        ; implicit-def: $vgpr11_vgpr12
	v_mul_f64 v[15:16], v[15:16], v[17:18]
	v_xor_b32_e32 v18, 0x80000000, v18
.LBB186_16:
	s_andn2_saveexec_b64 s[10:11], s[10:11]
	s_cbranch_execz .LBB186_18
; %bb.17:
	v_div_scale_f64 v[15:16], s[12:13], v[11:12], v[11:12], -v[13:14]
	v_rcp_f64_e32 v[17:18], v[15:16]
	v_fma_f64 v[24:25], -v[15:16], v[17:18], 1.0
	v_fma_f64 v[17:18], v[17:18], v[24:25], v[17:18]
	v_div_scale_f64 v[24:25], vcc, -v[13:14], v[11:12], -v[13:14]
	v_fma_f64 v[26:27], -v[15:16], v[17:18], 1.0
	v_fma_f64 v[17:18], v[17:18], v[26:27], v[17:18]
	v_mul_f64 v[26:27], v[24:25], v[17:18]
	v_fma_f64 v[15:16], -v[15:16], v[26:27], v[24:25]
	v_div_fmas_f64 v[15:16], v[15:16], v[17:18], v[26:27]
	v_div_fixup_f64 v[17:18], v[15:16], v[11:12], -v[13:14]
	v_fma_f64 v[11:12], -v[13:14], v[17:18], v[11:12]
	v_div_scale_f64 v[13:14], s[12:13], v[11:12], v[11:12], 1.0
	v_div_scale_f64 v[26:27], vcc, 1.0, v[11:12], 1.0
	v_rcp_f64_e32 v[15:16], v[13:14]
	v_fma_f64 v[24:25], -v[13:14], v[15:16], 1.0
	v_fma_f64 v[15:16], v[15:16], v[24:25], v[15:16]
	v_fma_f64 v[24:25], -v[13:14], v[15:16], 1.0
	v_fma_f64 v[15:16], v[15:16], v[24:25], v[15:16]
	v_mul_f64 v[24:25], v[26:27], v[15:16]
	v_fma_f64 v[13:14], -v[13:14], v[24:25], v[26:27]
	v_div_fmas_f64 v[13:14], v[13:14], v[15:16], v[24:25]
	v_div_fixup_f64 v[15:16], v[13:14], v[11:12], 1.0
	v_mul_f64 v[17:18], v[17:18], -v[15:16]
.LBB186_18:
	s_or_b64 exec, exec, s[10:11]
	v_lshlrev_b32_e32 v11, 4, v23
	ds_write_b128 v11, v[15:18]
.LBB186_19:
	s_or_b64 exec, exec, s[8:9]
                                        ; implicit-def: $vgpr11_vgpr12
                                        ; implicit-def: $vgpr23
.LBB186_20:
	s_andn2_saveexec_b64 s[2:3], s[2:3]
	s_cbranch_execz .LBB186_22
; %bb.21:
	v_lshlrev_b64 v[11:12], 4, v[11:12]
	v_mov_b32_e32 v13, s95
	v_add_co_u32_e32 v11, vcc, s94, v11
	v_addc_co_u32_e32 v12, vcc, v13, v12, vcc
	flat_load_dwordx4 v[11:14], v[11:12]
	v_lshlrev_b32_e32 v15, 4, v23
	s_waitcnt vmcnt(0) lgkmcnt(0)
	v_xor_b32_e32 v12, 0x80000000, v12
	ds_write_b128 v15, v[11:14]
.LBB186_22:
	s_or_b64 exec, exec, s[2:3]
	v_add_u32_e32 v13, 16, v2
	v_mad_u64_u32 v[11:12], s[2:3], s34, v13, v[19:20]
	v_cmp_le_u32_e32 vcc, v13, v0
	v_mad_u64_u32 v[14:15], s[2:3], s35, v13, v[12:13]
	v_add_u32_e32 v12, v13, v21
	v_lshl_add_u32 v15, v13, 5, v0
	v_cndmask_b32_e64 v23, v15, v12, s[0:1]
	v_mov_b32_e32 v12, v14
	s_and_saveexec_b64 s[2:3], vcc
	s_xor_b64 s[2:3], exec, s[2:3]
	s_cbranch_execz .LBB186_34
; %bb.23:
	v_cmp_ne_u32_e32 vcc, v0, v13
	s_and_saveexec_b64 s[8:9], vcc
	s_xor_b64 s[8:9], exec, s[8:9]
	s_cbranch_execz .LBB186_27
; %bb.24:
	v_or_b32_e32 v11, v13, v0
	v_cmp_gt_u32_e32 vcc, 32, v11
	s_and_saveexec_b64 s[10:11], vcc
	s_cbranch_execz .LBB186_26
; %bb.25:
	v_mov_b32_e32 v11, 0
	v_lshlrev_b32_e32 v15, 4, v23
	v_mov_b32_e32 v12, v11
	v_mov_b32_e32 v13, v11
	;; [unrolled: 1-line block ×3, first 2 shown]
	ds_write_b128 v15, v[11:14]
.LBB186_26:
	s_or_b64 exec, exec, s[10:11]
                                        ; implicit-def: $vgpr23
                                        ; implicit-def: $vgpr11_vgpr12
.LBB186_27:
	s_andn2_saveexec_b64 s[8:9], s[8:9]
	s_cbranch_execz .LBB186_33
; %bb.28:
	v_lshlrev_b64 v[11:12], 4, v[11:12]
	v_mov_b32_e32 v13, s95
	v_add_co_u32_e32 v11, vcc, s94, v11
	v_addc_co_u32_e32 v12, vcc, v13, v12, vcc
	flat_load_dwordx4 v[11:14], v[11:12]
                                        ; implicit-def: $vgpr15_vgpr16
	s_waitcnt vmcnt(0) lgkmcnt(0)
	v_cmp_ngt_f64_e64 s[10:11], |v[11:12]|, |v[13:14]|
	s_and_saveexec_b64 s[12:13], s[10:11]
	s_xor_b64 s[10:11], exec, s[12:13]
	s_cbranch_execz .LBB186_30
; %bb.29:
	v_div_scale_f64 v[15:16], s[12:13], -v[13:14], -v[13:14], v[11:12]
	v_rcp_f64_e32 v[17:18], v[15:16]
	v_fma_f64 v[24:25], -v[15:16], v[17:18], 1.0
	v_fma_f64 v[17:18], v[17:18], v[24:25], v[17:18]
	v_div_scale_f64 v[24:25], vcc, v[11:12], -v[13:14], v[11:12]
	v_fma_f64 v[26:27], -v[15:16], v[17:18], 1.0
	v_fma_f64 v[17:18], v[17:18], v[26:27], v[17:18]
	v_mul_f64 v[26:27], v[24:25], v[17:18]
	v_fma_f64 v[15:16], -v[15:16], v[26:27], v[24:25]
	v_div_fmas_f64 v[15:16], v[15:16], v[17:18], v[26:27]
	v_div_fixup_f64 v[15:16], v[15:16], -v[13:14], v[11:12]
	v_fma_f64 v[11:12], v[11:12], v[15:16], -v[13:14]
	v_div_scale_f64 v[13:14], s[12:13], v[11:12], v[11:12], 1.0
	v_div_scale_f64 v[26:27], vcc, 1.0, v[11:12], 1.0
	v_rcp_f64_e32 v[17:18], v[13:14]
	v_fma_f64 v[24:25], -v[13:14], v[17:18], 1.0
	v_fma_f64 v[17:18], v[17:18], v[24:25], v[17:18]
	v_fma_f64 v[24:25], -v[13:14], v[17:18], 1.0
	v_fma_f64 v[17:18], v[17:18], v[24:25], v[17:18]
	v_mul_f64 v[24:25], v[26:27], v[17:18]
	v_fma_f64 v[13:14], -v[13:14], v[24:25], v[26:27]
	v_div_fmas_f64 v[13:14], v[13:14], v[17:18], v[24:25]
	v_div_fixup_f64 v[17:18], v[13:14], v[11:12], 1.0
                                        ; implicit-def: $vgpr11_vgpr12
	v_mul_f64 v[15:16], v[15:16], v[17:18]
	v_xor_b32_e32 v18, 0x80000000, v18
.LBB186_30:
	s_andn2_saveexec_b64 s[10:11], s[10:11]
	s_cbranch_execz .LBB186_32
; %bb.31:
	v_div_scale_f64 v[15:16], s[12:13], v[11:12], v[11:12], -v[13:14]
	v_rcp_f64_e32 v[17:18], v[15:16]
	v_fma_f64 v[24:25], -v[15:16], v[17:18], 1.0
	v_fma_f64 v[17:18], v[17:18], v[24:25], v[17:18]
	v_div_scale_f64 v[24:25], vcc, -v[13:14], v[11:12], -v[13:14]
	v_fma_f64 v[26:27], -v[15:16], v[17:18], 1.0
	v_fma_f64 v[17:18], v[17:18], v[26:27], v[17:18]
	v_mul_f64 v[26:27], v[24:25], v[17:18]
	v_fma_f64 v[15:16], -v[15:16], v[26:27], v[24:25]
	v_div_fmas_f64 v[15:16], v[15:16], v[17:18], v[26:27]
	v_div_fixup_f64 v[17:18], v[15:16], v[11:12], -v[13:14]
	v_fma_f64 v[11:12], -v[13:14], v[17:18], v[11:12]
	v_div_scale_f64 v[13:14], s[12:13], v[11:12], v[11:12], 1.0
	v_div_scale_f64 v[26:27], vcc, 1.0, v[11:12], 1.0
	v_rcp_f64_e32 v[15:16], v[13:14]
	v_fma_f64 v[24:25], -v[13:14], v[15:16], 1.0
	v_fma_f64 v[15:16], v[15:16], v[24:25], v[15:16]
	v_fma_f64 v[24:25], -v[13:14], v[15:16], 1.0
	v_fma_f64 v[15:16], v[15:16], v[24:25], v[15:16]
	v_mul_f64 v[24:25], v[26:27], v[15:16]
	v_fma_f64 v[13:14], -v[13:14], v[24:25], v[26:27]
	v_div_fmas_f64 v[13:14], v[13:14], v[15:16], v[24:25]
	v_div_fixup_f64 v[15:16], v[13:14], v[11:12], 1.0
	v_mul_f64 v[17:18], v[17:18], -v[15:16]
.LBB186_32:
	s_or_b64 exec, exec, s[10:11]
	v_lshlrev_b32_e32 v11, 4, v23
	ds_write_b128 v11, v[15:18]
.LBB186_33:
	s_or_b64 exec, exec, s[8:9]
                                        ; implicit-def: $vgpr11_vgpr12
                                        ; implicit-def: $vgpr23
.LBB186_34:
	s_andn2_saveexec_b64 s[2:3], s[2:3]
	s_cbranch_execz .LBB186_36
; %bb.35:
	v_lshlrev_b64 v[11:12], 4, v[11:12]
	v_mov_b32_e32 v13, s95
	v_add_co_u32_e32 v11, vcc, s94, v11
	v_addc_co_u32_e32 v12, vcc, v13, v12, vcc
	flat_load_dwordx4 v[11:14], v[11:12]
	v_lshlrev_b32_e32 v15, 4, v23
	s_waitcnt vmcnt(0) lgkmcnt(0)
	v_xor_b32_e32 v12, 0x80000000, v12
	ds_write_b128 v15, v[11:14]
.LBB186_36:
	s_or_b64 exec, exec, s[2:3]
	s_mov_b64 s[12:13], 0
.LBB186_37:
	s_xor_b64 s[10:11], s[0:1], -1
	s_and_b64 vcc, exec, s[12:13]
	s_cbranch_vccz .LBB186_67
; %bb.38:
	v_mad_u64_u32 v[11:12], s[2:3], s34, v2, v[19:20]
	v_cmp_le_u32_e32 vcc, v2, v0
	v_cmp_gt_i32_e64 s[2:3], s93, v0
	v_mad_u64_u32 v[12:13], s[8:9], s35, v2, v[12:13]
	v_max_i32_e32 v13, v2, v0
	v_cmp_le_i32_e64 s[8:9], s93, v13
	s_or_b64 s[8:9], s[8:9], vcc
	s_and_saveexec_b64 s[12:13], s[8:9]
	s_xor_b64 s[8:9], exec, s[12:13]
	s_cbranch_execz .LBB186_50
; %bb.39:
	v_cmp_ne_u32_e32 vcc, v0, v2
	s_xor_b64 s[12:13], s[2:3], -1
	s_or_b64 s[12:13], s[12:13], vcc
	s_and_saveexec_b64 s[14:15], s[12:13]
	s_xor_b64 s[12:13], exec, s[14:15]
	s_cbranch_execz .LBB186_43
; %bb.40:
	v_or_b32_e32 v11, v2, v0
	v_cmp_gt_u32_e32 vcc, 32, v11
	s_and_saveexec_b64 s[14:15], vcc
	s_cbranch_execz .LBB186_42
; %bb.41:
	v_mov_b32_e32 v11, 0
	v_lshlrev_b32_e32 v15, 4, v22
	v_mov_b32_e32 v12, v11
	v_mov_b32_e32 v13, v11
	;; [unrolled: 1-line block ×3, first 2 shown]
	ds_write_b128 v15, v[11:14]
.LBB186_42:
	s_or_b64 exec, exec, s[14:15]
                                        ; implicit-def: $vgpr22
                                        ; implicit-def: $vgpr11_vgpr12
.LBB186_43:
	s_andn2_saveexec_b64 s[12:13], s[12:13]
	s_cbranch_execz .LBB186_49
; %bb.44:
	v_lshlrev_b64 v[11:12], 4, v[11:12]
	v_mov_b32_e32 v13, s95
	v_add_co_u32_e32 v11, vcc, s94, v11
	v_addc_co_u32_e32 v12, vcc, v13, v12, vcc
	flat_load_dwordx4 v[11:14], v[11:12]
                                        ; implicit-def: $vgpr15_vgpr16
	s_waitcnt vmcnt(0) lgkmcnt(0)
	v_cmp_ngt_f64_e64 s[14:15], |v[11:12]|, |v[13:14]|
	s_and_saveexec_b64 s[16:17], s[14:15]
	s_xor_b64 s[14:15], exec, s[16:17]
	s_cbranch_execz .LBB186_46
; %bb.45:
	v_div_scale_f64 v[15:16], s[16:17], -v[13:14], -v[13:14], v[11:12]
	v_rcp_f64_e32 v[17:18], v[15:16]
	v_fma_f64 v[23:24], -v[15:16], v[17:18], 1.0
	v_fma_f64 v[17:18], v[17:18], v[23:24], v[17:18]
	v_div_scale_f64 v[23:24], vcc, v[11:12], -v[13:14], v[11:12]
	v_fma_f64 v[25:26], -v[15:16], v[17:18], 1.0
	v_fma_f64 v[17:18], v[17:18], v[25:26], v[17:18]
	v_mul_f64 v[25:26], v[23:24], v[17:18]
	v_fma_f64 v[15:16], -v[15:16], v[25:26], v[23:24]
	v_div_fmas_f64 v[15:16], v[15:16], v[17:18], v[25:26]
	v_div_fixup_f64 v[15:16], v[15:16], -v[13:14], v[11:12]
	v_fma_f64 v[11:12], v[11:12], v[15:16], -v[13:14]
	v_div_scale_f64 v[13:14], s[16:17], v[11:12], v[11:12], 1.0
	v_div_scale_f64 v[25:26], vcc, 1.0, v[11:12], 1.0
	v_rcp_f64_e32 v[17:18], v[13:14]
	v_fma_f64 v[23:24], -v[13:14], v[17:18], 1.0
	v_fma_f64 v[17:18], v[17:18], v[23:24], v[17:18]
	v_fma_f64 v[23:24], -v[13:14], v[17:18], 1.0
	v_fma_f64 v[17:18], v[17:18], v[23:24], v[17:18]
	v_mul_f64 v[23:24], v[25:26], v[17:18]
	v_fma_f64 v[13:14], -v[13:14], v[23:24], v[25:26]
	v_div_fmas_f64 v[13:14], v[13:14], v[17:18], v[23:24]
	v_div_fixup_f64 v[17:18], v[13:14], v[11:12], 1.0
                                        ; implicit-def: $vgpr11_vgpr12
	v_mul_f64 v[15:16], v[15:16], v[17:18]
	v_xor_b32_e32 v18, 0x80000000, v18
.LBB186_46:
	s_andn2_saveexec_b64 s[14:15], s[14:15]
	s_cbranch_execz .LBB186_48
; %bb.47:
	v_div_scale_f64 v[15:16], s[16:17], v[11:12], v[11:12], -v[13:14]
	v_rcp_f64_e32 v[17:18], v[15:16]
	v_fma_f64 v[23:24], -v[15:16], v[17:18], 1.0
	v_fma_f64 v[17:18], v[17:18], v[23:24], v[17:18]
	v_div_scale_f64 v[23:24], vcc, -v[13:14], v[11:12], -v[13:14]
	v_fma_f64 v[25:26], -v[15:16], v[17:18], 1.0
	v_fma_f64 v[17:18], v[17:18], v[25:26], v[17:18]
	v_mul_f64 v[25:26], v[23:24], v[17:18]
	v_fma_f64 v[15:16], -v[15:16], v[25:26], v[23:24]
	v_div_fmas_f64 v[15:16], v[15:16], v[17:18], v[25:26]
	v_div_fixup_f64 v[17:18], v[15:16], v[11:12], -v[13:14]
	v_fma_f64 v[11:12], -v[13:14], v[17:18], v[11:12]
	v_div_scale_f64 v[13:14], s[16:17], v[11:12], v[11:12], 1.0
	v_div_scale_f64 v[25:26], vcc, 1.0, v[11:12], 1.0
	v_rcp_f64_e32 v[15:16], v[13:14]
	v_fma_f64 v[23:24], -v[13:14], v[15:16], 1.0
	v_fma_f64 v[15:16], v[15:16], v[23:24], v[15:16]
	v_fma_f64 v[23:24], -v[13:14], v[15:16], 1.0
	v_fma_f64 v[15:16], v[15:16], v[23:24], v[15:16]
	v_mul_f64 v[23:24], v[25:26], v[15:16]
	v_fma_f64 v[13:14], -v[13:14], v[23:24], v[25:26]
	v_div_fmas_f64 v[13:14], v[13:14], v[15:16], v[23:24]
	v_div_fixup_f64 v[15:16], v[13:14], v[11:12], 1.0
	v_mul_f64 v[17:18], v[17:18], -v[15:16]
.LBB186_48:
	s_or_b64 exec, exec, s[14:15]
	v_lshlrev_b32_e32 v11, 4, v22
	ds_write_b128 v11, v[15:18]
.LBB186_49:
	s_or_b64 exec, exec, s[12:13]
                                        ; implicit-def: $vgpr11_vgpr12
                                        ; implicit-def: $vgpr22
.LBB186_50:
	s_andn2_saveexec_b64 s[8:9], s[8:9]
	s_cbranch_execz .LBB186_52
; %bb.51:
	v_lshlrev_b64 v[11:12], 4, v[11:12]
	v_mov_b32_e32 v13, s95
	v_add_co_u32_e32 v11, vcc, s94, v11
	v_addc_co_u32_e32 v12, vcc, v13, v12, vcc
	flat_load_dwordx4 v[11:14], v[11:12]
	v_lshlrev_b32_e32 v15, 4, v22
	s_waitcnt vmcnt(0) lgkmcnt(0)
	v_xor_b32_e32 v12, 0x80000000, v12
	ds_write_b128 v15, v[11:14]
.LBB186_52:
	s_or_b64 exec, exec, s[8:9]
	v_add_u32_e32 v13, 16, v2
	v_mad_u64_u32 v[11:12], s[8:9], s34, v13, v[19:20]
	v_add_u32_e32 v16, v13, v21
	v_cmp_gt_u32_e32 vcc, v13, v0
	v_mad_u64_u32 v[14:15], s[8:9], s35, v13, v[12:13]
	v_lshl_add_u32 v12, v13, 5, v0
	v_cndmask_b32_e64 v19, v12, v16, s[0:1]
	v_cmp_gt_i32_e64 s[0:1], s93, v13
	s_and_b64 s[0:1], vcc, s[0:1]
	s_and_b64 s[0:1], s[2:3], s[0:1]
	v_mov_b32_e32 v12, v14
	s_xor_b64 s[0:1], s[0:1], -1
	s_and_saveexec_b64 s[8:9], s[0:1]
	s_xor_b64 s[0:1], exec, s[8:9]
	s_cbranch_execz .LBB186_64
; %bb.53:
	v_cmp_ne_u32_e32 vcc, v0, v13
	s_xor_b64 s[2:3], s[2:3], -1
	s_or_b64 s[2:3], s[2:3], vcc
	s_and_saveexec_b64 s[8:9], s[2:3]
	s_xor_b64 s[2:3], exec, s[8:9]
	s_cbranch_execz .LBB186_57
; %bb.54:
	v_or_b32_e32 v11, v13, v0
	v_cmp_gt_u32_e32 vcc, 32, v11
	s_and_saveexec_b64 s[8:9], vcc
	s_cbranch_execz .LBB186_56
; %bb.55:
	v_mov_b32_e32 v11, 0
	v_lshlrev_b32_e32 v15, 4, v19
	v_mov_b32_e32 v12, v11
	v_mov_b32_e32 v13, v11
	;; [unrolled: 1-line block ×3, first 2 shown]
	ds_write_b128 v15, v[11:14]
.LBB186_56:
	s_or_b64 exec, exec, s[8:9]
                                        ; implicit-def: $vgpr19
                                        ; implicit-def: $vgpr11_vgpr12
.LBB186_57:
	s_andn2_saveexec_b64 s[2:3], s[2:3]
	s_cbranch_execz .LBB186_63
; %bb.58:
	v_lshlrev_b64 v[11:12], 4, v[11:12]
	v_mov_b32_e32 v13, s95
	v_add_co_u32_e32 v11, vcc, s94, v11
	v_addc_co_u32_e32 v12, vcc, v13, v12, vcc
	flat_load_dwordx4 v[11:14], v[11:12]
                                        ; implicit-def: $vgpr15_vgpr16
	s_waitcnt vmcnt(0) lgkmcnt(0)
	v_cmp_ngt_f64_e64 s[8:9], |v[11:12]|, |v[13:14]|
	s_and_saveexec_b64 s[12:13], s[8:9]
	s_xor_b64 s[8:9], exec, s[12:13]
	s_cbranch_execz .LBB186_60
; %bb.59:
	v_div_scale_f64 v[15:16], s[12:13], -v[13:14], -v[13:14], v[11:12]
	v_rcp_f64_e32 v[17:18], v[15:16]
	v_fma_f64 v[20:21], -v[15:16], v[17:18], 1.0
	v_fma_f64 v[17:18], v[17:18], v[20:21], v[17:18]
	v_div_scale_f64 v[20:21], vcc, v[11:12], -v[13:14], v[11:12]
	v_fma_f64 v[22:23], -v[15:16], v[17:18], 1.0
	v_fma_f64 v[17:18], v[17:18], v[22:23], v[17:18]
	v_mul_f64 v[22:23], v[20:21], v[17:18]
	v_fma_f64 v[15:16], -v[15:16], v[22:23], v[20:21]
	v_div_fmas_f64 v[15:16], v[15:16], v[17:18], v[22:23]
	v_div_fixup_f64 v[15:16], v[15:16], -v[13:14], v[11:12]
	v_fma_f64 v[11:12], v[11:12], v[15:16], -v[13:14]
	v_div_scale_f64 v[13:14], s[12:13], v[11:12], v[11:12], 1.0
	v_div_scale_f64 v[22:23], vcc, 1.0, v[11:12], 1.0
	v_rcp_f64_e32 v[17:18], v[13:14]
	v_fma_f64 v[20:21], -v[13:14], v[17:18], 1.0
	v_fma_f64 v[17:18], v[17:18], v[20:21], v[17:18]
	v_fma_f64 v[20:21], -v[13:14], v[17:18], 1.0
	v_fma_f64 v[17:18], v[17:18], v[20:21], v[17:18]
	v_mul_f64 v[20:21], v[22:23], v[17:18]
	v_fma_f64 v[13:14], -v[13:14], v[20:21], v[22:23]
	v_div_fmas_f64 v[13:14], v[13:14], v[17:18], v[20:21]
	v_div_fixup_f64 v[17:18], v[13:14], v[11:12], 1.0
                                        ; implicit-def: $vgpr11_vgpr12
	v_mul_f64 v[15:16], v[15:16], v[17:18]
	v_xor_b32_e32 v18, 0x80000000, v18
.LBB186_60:
	s_andn2_saveexec_b64 s[8:9], s[8:9]
	s_cbranch_execz .LBB186_62
; %bb.61:
	v_div_scale_f64 v[15:16], s[12:13], v[11:12], v[11:12], -v[13:14]
	v_rcp_f64_e32 v[17:18], v[15:16]
	v_fma_f64 v[20:21], -v[15:16], v[17:18], 1.0
	v_fma_f64 v[17:18], v[17:18], v[20:21], v[17:18]
	v_div_scale_f64 v[20:21], vcc, -v[13:14], v[11:12], -v[13:14]
	v_fma_f64 v[22:23], -v[15:16], v[17:18], 1.0
	v_fma_f64 v[17:18], v[17:18], v[22:23], v[17:18]
	v_mul_f64 v[22:23], v[20:21], v[17:18]
	v_fma_f64 v[15:16], -v[15:16], v[22:23], v[20:21]
	v_div_fmas_f64 v[15:16], v[15:16], v[17:18], v[22:23]
	v_div_fixup_f64 v[17:18], v[15:16], v[11:12], -v[13:14]
	v_fma_f64 v[11:12], -v[13:14], v[17:18], v[11:12]
	v_div_scale_f64 v[13:14], s[12:13], v[11:12], v[11:12], 1.0
	v_div_scale_f64 v[22:23], vcc, 1.0, v[11:12], 1.0
	v_rcp_f64_e32 v[15:16], v[13:14]
	v_fma_f64 v[20:21], -v[13:14], v[15:16], 1.0
	v_fma_f64 v[15:16], v[15:16], v[20:21], v[15:16]
	v_fma_f64 v[20:21], -v[13:14], v[15:16], 1.0
	v_fma_f64 v[15:16], v[15:16], v[20:21], v[15:16]
	v_mul_f64 v[20:21], v[22:23], v[15:16]
	v_fma_f64 v[13:14], -v[13:14], v[20:21], v[22:23]
	v_div_fmas_f64 v[13:14], v[13:14], v[15:16], v[20:21]
	v_div_fixup_f64 v[15:16], v[13:14], v[11:12], 1.0
	v_mul_f64 v[17:18], v[17:18], -v[15:16]
.LBB186_62:
	s_or_b64 exec, exec, s[8:9]
	v_lshlrev_b32_e32 v11, 4, v19
	ds_write_b128 v11, v[15:18]
.LBB186_63:
	s_or_b64 exec, exec, s[2:3]
                                        ; implicit-def: $vgpr11_vgpr12
                                        ; implicit-def: $vgpr19
.LBB186_64:
	s_andn2_saveexec_b64 s[0:1], s[0:1]
	s_cbranch_execz .LBB186_66
; %bb.65:
	v_lshlrev_b64 v[11:12], 4, v[11:12]
	v_mov_b32_e32 v13, s95
	v_add_co_u32_e32 v11, vcc, s94, v11
	v_addc_co_u32_e32 v12, vcc, v13, v12, vcc
	flat_load_dwordx4 v[11:14], v[11:12]
	v_lshlrev_b32_e32 v15, 4, v19
	s_waitcnt vmcnt(0) lgkmcnt(0)
	v_xor_b32_e32 v12, 0x80000000, v12
	ds_write_b128 v15, v[11:14]
.LBB186_66:
	s_or_b64 exec, exec, s[0:1]
.LBB186_67:
	v_cndmask_b32_e64 v11, 0, 1, s[10:11]
	v_cmp_ne_u32_e64 s[0:1], 1, v11
	s_andn2_b64 vcc, exec, s[10:11]
	s_waitcnt vmcnt(0) lgkmcnt(0)
	s_barrier
	s_cbranch_vccnz .LBB186_491
; %bb.68:
	v_or_b32_e32 v11, v0, v2
	v_cmp_eq_u32_e32 vcc, 0, v11
	s_and_saveexec_b64 s[2:3], vcc
	s_cbranch_execz .LBB186_70
; %bb.69:
	v_mov_b32_e32 v25, 0
	ds_read_b128 v[11:14], v25 offset:16368
	ds_read_b128 v[15:18], v25 offset:15840
	;; [unrolled: 1-line block ×3, first 2 shown]
	s_waitcnt lgkmcnt(1)
	v_mul_f64 v[23:24], v[11:12], v[17:18]
	v_mul_f64 v[17:18], v[13:14], v[17:18]
	v_fma_f64 v[13:14], v[13:14], v[15:16], v[23:24]
	v_fma_f64 v[11:12], v[11:12], v[15:16], -v[17:18]
	s_waitcnt lgkmcnt(0)
	v_mul_f64 v[15:16], v[13:14], v[21:22]
	v_mul_f64 v[17:18], v[11:12], v[21:22]
	v_fma_f64 v[11:12], v[19:20], v[11:12], -v[15:16]
	v_fma_f64 v[13:14], v[19:20], v[13:14], v[17:18]
	ds_write_b128 v25, v[11:14] offset:16352
	ds_write_b128 v25, v[11:14] offset:15856
.LBB186_70:
	s_or_b64 exec, exec, s[2:3]
	v_lshlrev_b32_e32 v11, 5, v2
	v_add_u32_e32 v18, v11, v0
	v_add_u16_e32 v11, v11, v0
	v_lshrrev_b16_e32 v17, 1, v11
	v_mov_b32_e32 v11, 0
	v_mov_b32_e32 v13, 0
	v_and_b32_e32 v15, 1, v0
	v_sub_u32_e32 v16, 1, v17
	v_cmp_lt_u32_e64 s[8:9], 3, v18
	v_mov_b32_e32 v12, 0
	v_mov_b32_e32 v14, 0
	v_cmp_gt_u32_e64 s[2:3], 4, v18
	s_waitcnt lgkmcnt(0)
	s_barrier
	buffer_wbinvl1_vol
	s_and_saveexec_b64 s[12:13], s[2:3]
	s_cbranch_execz .LBB186_74
; %bb.71:
	v_lshlrev_b32_e32 v19, 4, v15
	v_lshlrev_b32_e32 v11, 9, v16
	ds_read_b128 v[11:14], v11 offset:15840
	ds_read_b128 v[19:22], v19 offset:15808
	v_cmp_gt_u32_e64 s[10:11], 2, v18
	s_waitcnt lgkmcnt(0)
	v_mul_f64 v[23:24], v[13:14], v[21:22]
	v_mul_f64 v[21:22], v[11:12], v[21:22]
	v_fma_f64 v[11:12], v[11:12], v[19:20], -v[23:24]
	v_fma_f64 v[13:14], v[13:14], v[19:20], v[21:22]
	v_add_f64 v[11:12], v[11:12], 0
	v_add_f64 v[13:14], v[13:14], 0
	s_and_saveexec_b64 s[14:15], s[10:11]
	s_cbranch_execz .LBB186_73
; %bb.72:
	v_lshlrev_b32_e32 v23, 4, v0
	v_mov_b32_e32 v19, 0
	ds_read_b128 v[19:22], v19 offset:16368
	ds_read_b128 v[23:26], v23 offset:16320
	s_waitcnt lgkmcnt(0)
	v_mul_f64 v[27:28], v[21:22], v[25:26]
	v_mul_f64 v[25:26], v[19:20], v[25:26]
	v_fma_f64 v[19:20], v[19:20], v[23:24], -v[27:28]
	v_fma_f64 v[21:22], v[21:22], v[23:24], v[25:26]
	v_add_f64 v[11:12], v[11:12], v[19:20]
	v_add_f64 v[13:14], v[13:14], v[21:22]
.LBB186_73:
	s_or_b64 exec, exec, s[14:15]
.LBB186_74:
	s_or_b64 exec, exec, s[12:13]
	v_mov_b32_e32 v19, 0x4000
	v_cmp_ne_u32_e64 s[10:11], 0, v15
	s_xor_b64 s[12:13], s[8:9], -1
	v_lshl_add_u32 v17, v17, 4, v19
	s_and_b64 s[40:41], s[10:11], s[12:13]
	s_and_saveexec_b64 s[8:9], s[40:41]
	s_cbranch_execz .LBB186_76
; %bb.75:
	v_mov_b32_e32 v19, 0
	ds_read_b128 v[19:22], v19 offset:15312
	s_waitcnt lgkmcnt(0)
	v_mul_f64 v[23:24], v[13:14], v[21:22]
	v_mul_f64 v[21:22], v[11:12], v[21:22]
	v_fma_f64 v[11:12], v[11:12], v[19:20], -v[23:24]
	v_fma_f64 v[13:14], v[13:14], v[19:20], v[21:22]
	v_xor_b32_e32 v20, 0x80000000, v12
	v_xor_b32_e32 v22, 0x80000000, v14
	v_mov_b32_e32 v19, v11
	v_mov_b32_e32 v21, v13
	ds_write_b128 v17, v[19:22]
.LBB186_76:
	s_or_b64 exec, exec, s[8:9]
	v_cmp_eq_u32_e64 s[8:9], 0, v15
	s_and_b64 s[38:39], s[8:9], s[12:13]
	s_waitcnt lgkmcnt(0)
	s_barrier
	s_and_saveexec_b64 s[8:9], s[38:39]
	s_cbranch_execz .LBB186_78
; %bb.77:
	v_mov_b32_e32 v23, 0
	ds_read_b128 v[19:22], v17
	ds_read_b128 v[23:26], v23 offset:15296
	s_waitcnt lgkmcnt(0)
	v_mul_f64 v[27:28], v[21:22], v[25:26]
	v_mul_f64 v[25:26], v[19:20], v[25:26]
	v_fma_f64 v[19:20], v[19:20], v[23:24], -v[27:28]
	v_fma_f64 v[21:22], v[21:22], v[23:24], v[25:26]
	v_add_f64 v[11:12], v[11:12], -v[19:20]
	v_add_f64 v[13:14], v[13:14], -v[21:22]
.LBB186_78:
	s_or_b64 exec, exec, s[8:9]
	s_barrier
	s_and_saveexec_b64 s[8:9], s[38:39]
	s_cbranch_execz .LBB186_80
; %bb.79:
	v_mov_b32_e32 v19, 0
	ds_read_b128 v[19:22], v19 offset:14784
	s_waitcnt lgkmcnt(0)
	v_mul_f64 v[23:24], v[13:14], v[21:22]
	v_mul_f64 v[21:22], v[11:12], v[21:22]
	v_fma_f64 v[11:12], v[11:12], v[19:20], -v[23:24]
	v_fma_f64 v[13:14], v[13:14], v[19:20], v[21:22]
	v_xor_b32_e32 v20, 0x80000000, v12
	v_xor_b32_e32 v22, 0x80000000, v14
	v_mov_b32_e32 v19, v11
	v_mov_b32_e32 v21, v13
	ds_write_b128 v17, v[19:22]
.LBB186_80:
	s_or_b64 exec, exec, s[8:9]
	s_waitcnt lgkmcnt(0)
	s_barrier
	s_barrier
	s_and_saveexec_b64 s[8:9], s[2:3]
; %bb.81:
	v_lshlrev_b32_e32 v19, 4, v15
	v_lshl_or_b32 v19, v16, 9, v19
	ds_write_b128 v19, v[11:14] offset:15808
; %bb.82:
	s_or_b64 exec, exec, s[8:9]
	v_cmp_eq_u32_e64 s[10:11], 0, v2
	v_cmp_gt_u32_e64 s[8:9], 2, v0
	s_and_b64 s[42:43], s[10:11], s[8:9]
	s_waitcnt lgkmcnt(0)
	s_barrier
	s_barrier
	s_and_saveexec_b64 s[8:9], s[42:43]
	s_cbranch_execz .LBB186_84
; %bb.83:
	v_lshlrev_b32_e32 v19, 9, v0
	ds_read_b128 v[11:14], v19 offset:15808
	s_movk_i32 s12, 0xfe10
	v_mad_i32_i24 v20, v0, s12, v19
	s_waitcnt lgkmcnt(0)
	ds_write_b128 v20, v[11:14] offset:14816
	ds_read_b128 v[11:14], v19 offset:15824
	s_waitcnt lgkmcnt(0)
	ds_write_b128 v20, v[11:14] offset:15328
.LBB186_84:
	s_or_b64 exec, exec, s[8:9]
	s_waitcnt lgkmcnt(0)
	s_barrier
	s_and_saveexec_b64 s[8:9], vcc
	s_cbranch_execz .LBB186_86
; %bb.85:
	v_mov_b32_e32 v29, 0
	ds_read_b128 v[11:14], v29 offset:15312
	ds_read_b128 v[19:22], v29 offset:14784
	;; [unrolled: 1-line block ×3, first 2 shown]
	s_waitcnt lgkmcnt(1)
	v_mul_f64 v[27:28], v[11:12], v[21:22]
	v_mul_f64 v[21:22], v[13:14], v[21:22]
	v_fma_f64 v[13:14], v[13:14], v[19:20], v[27:28]
	v_fma_f64 v[11:12], v[11:12], v[19:20], -v[21:22]
	s_waitcnt lgkmcnt(0)
	v_mul_f64 v[19:20], v[13:14], v[25:26]
	v_mul_f64 v[21:22], v[11:12], v[25:26]
	v_fma_f64 v[11:12], v[23:24], v[11:12], -v[19:20]
	v_fma_f64 v[13:14], v[23:24], v[13:14], v[21:22]
	ds_write_b128 v29, v[11:14] offset:15296
	ds_write_b128 v29, v[11:14] offset:14800
.LBB186_86:
	s_or_b64 exec, exec, s[8:9]
	v_lshrrev_b32_e32 v21, 2, v18
	v_mov_b32_e32 v13, 0
	v_mov_b32_e32 v11, 0
	v_and_b32_e32 v19, 3, v0
	v_sub_u32_e32 v20, 3, v21
	v_cmp_lt_u32_e64 s[8:9], 15, v18
	v_mov_b32_e32 v14, 0
	v_mov_b32_e32 v12, 0
	v_cmp_gt_u32_e64 s[16:17], 16, v18
	s_waitcnt lgkmcnt(0)
	s_barrier
	buffer_wbinvl1_vol
	s_and_saveexec_b64 s[14:15], s[16:17]
	s_cbranch_execz .LBB186_92
; %bb.87:
	v_lshlrev_b32_e32 v23, 9, v20
	v_lshlrev_b32_e32 v22, 4, v19
	ds_read_b128 v[11:14], v23 offset:14784
	ds_read_b128 v[24:27], v22 offset:14720
	v_cmp_gt_u32_e64 s[12:13], 12, v18
	s_waitcnt lgkmcnt(0)
	v_mul_f64 v[28:29], v[13:14], v[26:27]
	v_mul_f64 v[26:27], v[11:12], v[26:27]
	v_fma_f64 v[11:12], v[11:12], v[24:25], -v[28:29]
	v_fma_f64 v[13:14], v[13:14], v[24:25], v[26:27]
	v_add_f64 v[11:12], v[11:12], 0
	v_add_f64 v[13:14], v[13:14], 0
	s_and_saveexec_b64 s[18:19], s[12:13]
	s_cbranch_execnz .LBB186_551
; %bb.88:
	s_or_b64 exec, exec, s[18:19]
	v_cmp_gt_u32_e64 s[12:13], 8, v18
	s_and_saveexec_b64 s[18:19], s[12:13]
	s_cbranch_execnz .LBB186_552
.LBB186_89:
	s_or_b64 exec, exec, s[18:19]
	v_cmp_gt_u32_e64 s[12:13], 4, v18
	s_and_saveexec_b64 s[18:19], s[12:13]
	s_cbranch_execz .LBB186_91
.LBB186_90:
	v_lshlrev_b32_e32 v26, 4, v0
	v_mov_b32_e32 v22, 0
	ds_read_b128 v[22:25], v22 offset:16368
	ds_read_b128 v[26:29], v26 offset:16256
	s_waitcnt lgkmcnt(0)
	v_mul_f64 v[30:31], v[24:25], v[28:29]
	v_mul_f64 v[28:29], v[22:23], v[28:29]
	v_fma_f64 v[22:23], v[22:23], v[26:27], -v[30:31]
	v_fma_f64 v[24:25], v[24:25], v[26:27], v[28:29]
	v_add_f64 v[11:12], v[11:12], v[22:23]
	v_add_f64 v[13:14], v[13:14], v[24:25]
.LBB186_91:
	s_or_b64 exec, exec, s[18:19]
.LBB186_92:
	s_or_b64 exec, exec, s[14:15]
	v_mov_b32_e32 v22, 0x4000
	v_cmp_eq_u32_e64 s[12:13], 3, v19
	s_xor_b64 s[14:15], s[8:9], -1
	v_lshl_add_u32 v21, v21, 4, v22
	s_and_b64 s[46:47], s[12:13], s[14:15]
	s_and_saveexec_b64 s[8:9], s[46:47]
	s_cbranch_execz .LBB186_94
; %bb.93:
	v_mov_b32_e32 v22, 0
	ds_read_b128 v[22:25], v22 offset:14256
	s_waitcnt lgkmcnt(0)
	v_mul_f64 v[26:27], v[13:14], v[24:25]
	v_mul_f64 v[24:25], v[11:12], v[24:25]
	v_fma_f64 v[11:12], v[11:12], v[22:23], -v[26:27]
	v_fma_f64 v[13:14], v[13:14], v[22:23], v[24:25]
	v_xor_b32_e32 v23, 0x80000000, v12
	v_xor_b32_e32 v25, 0x80000000, v14
	v_mov_b32_e32 v22, v11
	v_mov_b32_e32 v24, v13
	ds_write_b128 v21, v[22:25]
.LBB186_94:
	s_or_b64 exec, exec, s[8:9]
	v_cmp_ne_u32_e64 s[8:9], 3, v19
	s_and_b64 s[48:49], s[8:9], s[14:15]
	s_waitcnt lgkmcnt(0)
	s_barrier
	s_and_saveexec_b64 s[8:9], s[48:49]
	s_cbranch_execz .LBB186_96
; %bb.95:
	v_lshlrev_b32_e32 v26, 4, v19
	ds_read_b128 v[22:25], v21
	ds_read_b128 v[26:29], v26 offset:14208
	s_waitcnt lgkmcnt(0)
	v_mul_f64 v[30:31], v[24:25], v[28:29]
	v_mul_f64 v[28:29], v[22:23], v[28:29]
	v_fma_f64 v[22:23], v[22:23], v[26:27], -v[30:31]
	v_fma_f64 v[24:25], v[24:25], v[26:27], v[28:29]
	v_add_f64 v[11:12], v[11:12], -v[22:23]
	v_add_f64 v[13:14], v[13:14], -v[24:25]
.LBB186_96:
	s_or_b64 exec, exec, s[8:9]
	v_cmp_eq_u32_e64 s[8:9], 2, v19
	s_and_b64 s[50:51], s[8:9], s[14:15]
	s_barrier
	s_and_saveexec_b64 s[8:9], s[50:51]
	s_cbranch_execz .LBB186_98
; %bb.97:
	v_mov_b32_e32 v22, 0
	ds_read_b128 v[22:25], v22 offset:13728
	s_waitcnt lgkmcnt(0)
	v_mul_f64 v[26:27], v[13:14], v[24:25]
	v_mul_f64 v[24:25], v[11:12], v[24:25]
	v_fma_f64 v[11:12], v[11:12], v[22:23], -v[26:27]
	v_fma_f64 v[13:14], v[13:14], v[22:23], v[24:25]
	v_xor_b32_e32 v23, 0x80000000, v12
	v_xor_b32_e32 v25, 0x80000000, v14
	v_mov_b32_e32 v22, v11
	v_mov_b32_e32 v24, v13
	ds_write_b128 v21, v[22:25]
.LBB186_98:
	s_or_b64 exec, exec, s[8:9]
	v_cmp_gt_u32_e64 s[8:9], 2, v19
	s_and_b64 s[52:53], s[8:9], s[14:15]
	s_waitcnt lgkmcnt(0)
	s_barrier
	s_and_saveexec_b64 s[8:9], s[52:53]
	s_cbranch_execz .LBB186_100
; %bb.99:
	v_lshlrev_b32_e32 v26, 4, v19
	ds_read_b128 v[22:25], v21
	ds_read_b128 v[26:29], v26 offset:13696
	s_waitcnt lgkmcnt(0)
	v_mul_f64 v[30:31], v[24:25], v[28:29]
	v_mul_f64 v[28:29], v[22:23], v[28:29]
	v_fma_f64 v[22:23], v[22:23], v[26:27], -v[30:31]
	v_fma_f64 v[24:25], v[24:25], v[26:27], v[28:29]
	v_add_f64 v[11:12], v[11:12], -v[22:23]
	v_add_f64 v[13:14], v[13:14], -v[24:25]
.LBB186_100:
	s_or_b64 exec, exec, s[8:9]
	v_cmp_eq_u32_e64 s[8:9], 1, v19
	s_and_b64 s[54:55], s[8:9], s[14:15]
	s_barrier
	s_and_saveexec_b64 s[8:9], s[54:55]
	s_cbranch_execz .LBB186_102
; %bb.101:
	v_mov_b32_e32 v22, 0
	ds_read_b128 v[22:25], v22 offset:13200
	s_waitcnt lgkmcnt(0)
	v_mul_f64 v[26:27], v[13:14], v[24:25]
	v_mul_f64 v[24:25], v[11:12], v[24:25]
	v_fma_f64 v[11:12], v[11:12], v[22:23], -v[26:27]
	v_fma_f64 v[13:14], v[13:14], v[22:23], v[24:25]
	v_xor_b32_e32 v23, 0x80000000, v12
	v_xor_b32_e32 v25, 0x80000000, v14
	v_mov_b32_e32 v22, v11
	v_mov_b32_e32 v24, v13
	ds_write_b128 v21, v[22:25]
.LBB186_102:
	s_or_b64 exec, exec, s[8:9]
	v_cmp_eq_u32_e64 s[8:9], 0, v19
	s_and_b64 s[44:45], s[8:9], s[14:15]
	s_waitcnt lgkmcnt(0)
	s_barrier
	s_and_saveexec_b64 s[8:9], s[44:45]
	s_cbranch_execz .LBB186_104
; %bb.103:
	v_mov_b32_e32 v26, 0
	ds_read_b128 v[22:25], v21
	ds_read_b128 v[26:29], v26 offset:13184
	s_waitcnt lgkmcnt(0)
	v_mul_f64 v[30:31], v[24:25], v[28:29]
	v_mul_f64 v[28:29], v[22:23], v[28:29]
	v_fma_f64 v[22:23], v[22:23], v[26:27], -v[30:31]
	v_fma_f64 v[24:25], v[24:25], v[26:27], v[28:29]
	v_add_f64 v[11:12], v[11:12], -v[22:23]
	v_add_f64 v[13:14], v[13:14], -v[24:25]
.LBB186_104:
	s_or_b64 exec, exec, s[8:9]
	s_barrier
	s_and_saveexec_b64 s[8:9], s[44:45]
	s_cbranch_execz .LBB186_106
; %bb.105:
	v_mov_b32_e32 v22, 0
	ds_read_b128 v[22:25], v22 offset:12672
	s_waitcnt lgkmcnt(0)
	v_mul_f64 v[26:27], v[13:14], v[24:25]
	v_mul_f64 v[24:25], v[11:12], v[24:25]
	v_fma_f64 v[11:12], v[11:12], v[22:23], -v[26:27]
	v_fma_f64 v[13:14], v[13:14], v[22:23], v[24:25]
	v_xor_b32_e32 v23, 0x80000000, v12
	v_xor_b32_e32 v25, 0x80000000, v14
	v_mov_b32_e32 v22, v11
	v_mov_b32_e32 v24, v13
	ds_write_b128 v21, v[22:25]
.LBB186_106:
	s_or_b64 exec, exec, s[8:9]
	s_waitcnt lgkmcnt(0)
	s_barrier
	s_barrier
	s_and_saveexec_b64 s[8:9], s[16:17]
; %bb.107:
	v_lshlrev_b32_e32 v22, 4, v19
	v_lshl_or_b32 v22, v20, 9, v22
	ds_write_b128 v22, v[11:14] offset:14720
; %bb.108:
	s_or_b64 exec, exec, s[8:9]
	v_cmp_gt_u32_e64 s[8:9], 4, v0
	s_and_b64 s[56:57], s[10:11], s[8:9]
	s_waitcnt lgkmcnt(0)
	s_barrier
	s_barrier
	s_and_saveexec_b64 s[8:9], s[56:57]
	s_cbranch_execz .LBB186_110
; %bb.109:
	v_lshlrev_b32_e32 v22, 4, v0
	s_movk_i32 s12, 0x1f0
	v_mad_u32_u24 v23, v0, s12, v22
	ds_read_b128 v[11:14], v23 offset:14720
	s_waitcnt lgkmcnt(0)
	ds_write_b128 v22, v[11:14] offset:12736
	ds_read_b128 v[11:14], v23 offset:14736
	s_waitcnt lgkmcnt(0)
	ds_write_b128 v22, v[11:14] offset:13248
	;; [unrolled: 3-line block ×4, first 2 shown]
.LBB186_110:
	s_or_b64 exec, exec, s[8:9]
	s_waitcnt lgkmcnt(0)
	s_barrier
	s_and_saveexec_b64 s[8:9], vcc
	s_cbranch_execz .LBB186_112
; %bb.111:
	v_mov_b32_e32 v32, 0
	ds_read_b128 v[11:14], v32 offset:14256
	ds_read_b128 v[22:25], v32 offset:13728
	;; [unrolled: 1-line block ×3, first 2 shown]
	s_waitcnt lgkmcnt(1)
	v_mul_f64 v[30:31], v[11:12], v[24:25]
	v_mul_f64 v[24:25], v[13:14], v[24:25]
	v_fma_f64 v[13:14], v[13:14], v[22:23], v[30:31]
	v_fma_f64 v[11:12], v[11:12], v[22:23], -v[24:25]
	s_waitcnt lgkmcnt(0)
	v_mul_f64 v[22:23], v[13:14], v[28:29]
	v_mul_f64 v[24:25], v[11:12], v[28:29]
	v_fma_f64 v[11:12], v[26:27], v[11:12], -v[22:23]
	v_fma_f64 v[13:14], v[26:27], v[13:14], v[24:25]
	ds_write_b128 v32, v[11:14] offset:14240
	ds_write_b128 v32, v[11:14] offset:13744
.LBB186_112:
	s_or_b64 exec, exec, s[8:9]
	v_mov_b32_e32 v11, 0
	v_mov_b32_e32 v13, 0
	;; [unrolled: 1-line block ×4, first 2 shown]
	s_waitcnt lgkmcnt(0)
	s_barrier
	buffer_wbinvl1_vol
	s_and_saveexec_b64 s[12:13], s[2:3]
	s_cbranch_execz .LBB186_116
; %bb.113:
	v_lshlrev_b32_e32 v22, 4, v15
	v_lshlrev_b32_e32 v11, 9, v16
	ds_read_b128 v[11:14], v11 offset:13728
	ds_read_b128 v[22:25], v22 offset:13696
	v_cmp_gt_u32_e64 s[8:9], 2, v18
	s_waitcnt lgkmcnt(0)
	v_mul_f64 v[26:27], v[13:14], v[24:25]
	v_mul_f64 v[24:25], v[11:12], v[24:25]
	v_fma_f64 v[11:12], v[11:12], v[22:23], -v[26:27]
	v_fma_f64 v[13:14], v[13:14], v[22:23], v[24:25]
	v_add_f64 v[11:12], v[11:12], 0
	v_add_f64 v[13:14], v[13:14], 0
	s_and_saveexec_b64 s[14:15], s[8:9]
	s_cbranch_execz .LBB186_115
; %bb.114:
	v_lshlrev_b32_e32 v26, 4, v0
	v_mov_b32_e32 v22, 0
	ds_read_b128 v[22:25], v22 offset:14256
	ds_read_b128 v[26:29], v26 offset:14208
	s_waitcnt lgkmcnt(0)
	v_mul_f64 v[30:31], v[24:25], v[28:29]
	v_mul_f64 v[28:29], v[22:23], v[28:29]
	v_fma_f64 v[22:23], v[22:23], v[26:27], -v[30:31]
	v_fma_f64 v[24:25], v[24:25], v[26:27], v[28:29]
	v_add_f64 v[11:12], v[11:12], v[22:23]
	v_add_f64 v[13:14], v[13:14], v[24:25]
.LBB186_115:
	s_or_b64 exec, exec, s[14:15]
.LBB186_116:
	s_or_b64 exec, exec, s[12:13]
	s_and_saveexec_b64 s[8:9], s[40:41]
	s_cbranch_execz .LBB186_118
; %bb.117:
	v_mov_b32_e32 v22, 0
	ds_read_b128 v[22:25], v22 offset:13200
	s_waitcnt lgkmcnt(0)
	v_mul_f64 v[26:27], v[13:14], v[24:25]
	v_mul_f64 v[24:25], v[11:12], v[24:25]
	v_fma_f64 v[11:12], v[11:12], v[22:23], -v[26:27]
	v_fma_f64 v[13:14], v[13:14], v[22:23], v[24:25]
	v_xor_b32_e32 v23, 0x80000000, v12
	v_xor_b32_e32 v25, 0x80000000, v14
	v_mov_b32_e32 v22, v11
	v_mov_b32_e32 v24, v13
	ds_write_b128 v17, v[22:25]
.LBB186_118:
	s_or_b64 exec, exec, s[8:9]
	s_waitcnt lgkmcnt(0)
	s_barrier
	s_and_saveexec_b64 s[8:9], s[38:39]
	s_cbranch_execz .LBB186_120
; %bb.119:
	v_mov_b32_e32 v26, 0
	ds_read_b128 v[22:25], v17
	ds_read_b128 v[26:29], v26 offset:13184
	s_waitcnt lgkmcnt(0)
	v_mul_f64 v[30:31], v[24:25], v[28:29]
	v_mul_f64 v[28:29], v[22:23], v[28:29]
	v_fma_f64 v[22:23], v[22:23], v[26:27], -v[30:31]
	v_fma_f64 v[24:25], v[24:25], v[26:27], v[28:29]
	v_add_f64 v[11:12], v[11:12], -v[22:23]
	v_add_f64 v[13:14], v[13:14], -v[24:25]
.LBB186_120:
	s_or_b64 exec, exec, s[8:9]
	s_barrier
	s_and_saveexec_b64 s[8:9], s[38:39]
	s_cbranch_execz .LBB186_122
; %bb.121:
	v_mov_b32_e32 v22, 0
	ds_read_b128 v[22:25], v22 offset:12672
	s_waitcnt lgkmcnt(0)
	v_mul_f64 v[26:27], v[13:14], v[24:25]
	v_mul_f64 v[24:25], v[11:12], v[24:25]
	v_fma_f64 v[11:12], v[11:12], v[22:23], -v[26:27]
	v_fma_f64 v[13:14], v[13:14], v[22:23], v[24:25]
	v_xor_b32_e32 v23, 0x80000000, v12
	v_xor_b32_e32 v25, 0x80000000, v14
	v_mov_b32_e32 v22, v11
	v_mov_b32_e32 v24, v13
	ds_write_b128 v17, v[22:25]
.LBB186_122:
	s_or_b64 exec, exec, s[8:9]
	s_waitcnt lgkmcnt(0)
	s_barrier
	s_barrier
	s_and_saveexec_b64 s[8:9], s[2:3]
; %bb.123:
	v_lshlrev_b32_e32 v22, 4, v15
	v_lshl_or_b32 v22, v16, 9, v22
	ds_write_b128 v22, v[11:14] offset:13696
; %bb.124:
	s_or_b64 exec, exec, s[8:9]
	s_waitcnt lgkmcnt(0)
	s_barrier
	s_barrier
	s_and_saveexec_b64 s[8:9], s[42:43]
	s_cbranch_execz .LBB186_126
; %bb.125:
	v_lshlrev_b32_e32 v22, 9, v0
	ds_read_b128 v[11:14], v22 offset:13696
	s_movk_i32 s12, 0xfe10
	v_mad_i32_i24 v23, v0, s12, v22
	s_waitcnt lgkmcnt(0)
	ds_write_b128 v23, v[11:14] offset:12704
	ds_read_b128 v[11:14], v22 offset:13712
	s_waitcnt lgkmcnt(0)
	ds_write_b128 v23, v[11:14] offset:13216
.LBB186_126:
	s_or_b64 exec, exec, s[8:9]
	s_waitcnt lgkmcnt(0)
	s_barrier
	s_and_saveexec_b64 s[8:9], vcc
	s_cbranch_execz .LBB186_128
; %bb.127:
	v_mov_b32_e32 v32, 0
	ds_read_b128 v[11:14], v32 offset:13200
	ds_read_b128 v[22:25], v32 offset:12672
	;; [unrolled: 1-line block ×3, first 2 shown]
	s_waitcnt lgkmcnt(1)
	v_mul_f64 v[30:31], v[11:12], v[24:25]
	v_mul_f64 v[24:25], v[13:14], v[24:25]
	v_fma_f64 v[13:14], v[13:14], v[22:23], v[30:31]
	v_fma_f64 v[11:12], v[11:12], v[22:23], -v[24:25]
	s_waitcnt lgkmcnt(0)
	v_mul_f64 v[22:23], v[13:14], v[28:29]
	v_mul_f64 v[24:25], v[11:12], v[28:29]
	v_fma_f64 v[11:12], v[26:27], v[11:12], -v[22:23]
	v_fma_f64 v[13:14], v[26:27], v[13:14], v[24:25]
	ds_write_b128 v32, v[11:14] offset:13184
	ds_write_b128 v32, v[11:14] offset:12688
.LBB186_128:
	s_or_b64 exec, exec, s[8:9]
	v_lshrrev_b32_e32 v24, 3, v18
	v_mov_b32_e32 v13, 0
	v_mov_b32_e32 v11, 0
	v_and_b32_e32 v22, 7, v0
	v_sub_u32_e32 v23, 7, v24
	v_cmp_lt_u32_e64 s[12:13], 63, v18
	v_mov_b32_e32 v14, 0
	v_mov_b32_e32 v12, 0
	v_cmp_gt_u32_e64 s[8:9], 64, v18
	s_waitcnt lgkmcnt(0)
	s_barrier
	buffer_wbinvl1_vol
	s_and_saveexec_b64 s[18:19], s[8:9]
	s_cbranch_execz .LBB186_138
; %bb.129:
	v_lshlrev_b32_e32 v26, 9, v23
	v_lshlrev_b32_e32 v25, 4, v22
	ds_read_b128 v[11:14], v26 offset:12672
	ds_read_b128 v[27:30], v25 offset:12544
	v_cmp_gt_u32_e64 s[14:15], 56, v18
	s_waitcnt lgkmcnt(0)
	v_mul_f64 v[31:32], v[13:14], v[29:30]
	v_mul_f64 v[29:30], v[11:12], v[29:30]
	v_fma_f64 v[11:12], v[11:12], v[27:28], -v[31:32]
	v_fma_f64 v[13:14], v[13:14], v[27:28], v[29:30]
	v_add_f64 v[11:12], v[11:12], 0
	v_add_f64 v[13:14], v[13:14], 0
	s_and_saveexec_b64 s[58:59], s[14:15]
	s_cbranch_execnz .LBB186_553
; %bb.130:
	s_or_b64 exec, exec, s[58:59]
	v_cmp_gt_u32_e64 s[14:15], 48, v18
	s_and_saveexec_b64 s[58:59], s[14:15]
	s_cbranch_execnz .LBB186_554
.LBB186_131:
	s_or_b64 exec, exec, s[58:59]
	v_cmp_gt_u32_e64 s[14:15], 40, v18
	s_and_saveexec_b64 s[58:59], s[14:15]
	s_cbranch_execnz .LBB186_555
.LBB186_132:
	s_or_b64 exec, exec, s[58:59]
	v_cmp_gt_u32_e64 s[14:15], 32, v18
	s_and_saveexec_b64 s[58:59], s[14:15]
	s_cbranch_execnz .LBB186_556
.LBB186_133:
	s_or_b64 exec, exec, s[58:59]
	v_cmp_gt_u32_e64 s[14:15], 24, v18
	s_and_saveexec_b64 s[58:59], s[14:15]
	s_cbranch_execnz .LBB186_557
.LBB186_134:
	s_or_b64 exec, exec, s[58:59]
	s_and_saveexec_b64 s[14:15], s[16:17]
	s_cbranch_execnz .LBB186_558
.LBB186_135:
	s_or_b64 exec, exec, s[14:15]
	v_cmp_gt_u32_e64 s[14:15], 8, v18
	s_and_saveexec_b64 s[58:59], s[14:15]
	s_cbranch_execz .LBB186_137
.LBB186_136:
	v_lshlrev_b32_e32 v29, 4, v0
	v_mov_b32_e32 v25, 0
	ds_read_b128 v[25:28], v25 offset:16368
	ds_read_b128 v[29:32], v29 offset:16128
	s_waitcnt lgkmcnt(0)
	v_mul_f64 v[33:34], v[27:28], v[31:32]
	v_mul_f64 v[31:32], v[25:26], v[31:32]
	v_fma_f64 v[25:26], v[25:26], v[29:30], -v[33:34]
	v_fma_f64 v[27:28], v[27:28], v[29:30], v[31:32]
	v_add_f64 v[11:12], v[11:12], v[25:26]
	v_add_f64 v[13:14], v[13:14], v[27:28]
.LBB186_137:
	s_or_b64 exec, exec, s[58:59]
.LBB186_138:
	s_or_b64 exec, exec, s[18:19]
	v_mov_b32_e32 v25, 0x4000
	v_cmp_eq_u32_e64 s[14:15], 7, v22
	s_xor_b64 s[18:19], s[12:13], -1
	v_lshl_add_u32 v24, v24, 4, v25
	s_and_b64 s[60:61], s[14:15], s[18:19]
	s_and_saveexec_b64 s[12:13], s[60:61]
	s_cbranch_execz .LBB186_140
; %bb.139:
	v_mov_b32_e32 v25, 0
	ds_read_b128 v[25:28], v25 offset:12144
	s_waitcnt lgkmcnt(0)
	v_mul_f64 v[29:30], v[13:14], v[27:28]
	v_mul_f64 v[27:28], v[11:12], v[27:28]
	v_fma_f64 v[11:12], v[11:12], v[25:26], -v[29:30]
	v_fma_f64 v[13:14], v[13:14], v[25:26], v[27:28]
	v_xor_b32_e32 v26, 0x80000000, v12
	v_xor_b32_e32 v28, 0x80000000, v14
	v_mov_b32_e32 v25, v11
	v_mov_b32_e32 v27, v13
	ds_write_b128 v24, v[25:28]
.LBB186_140:
	s_or_b64 exec, exec, s[12:13]
	v_cmp_ne_u32_e64 s[12:13], 7, v22
	s_and_b64 s[62:63], s[12:13], s[18:19]
	s_waitcnt lgkmcnt(0)
	s_barrier
	s_and_saveexec_b64 s[12:13], s[62:63]
	s_cbranch_execz .LBB186_142
; %bb.141:
	v_lshlrev_b32_e32 v29, 4, v22
	ds_read_b128 v[25:28], v24
	ds_read_b128 v[29:32], v29 offset:12032
	s_waitcnt lgkmcnt(0)
	v_mul_f64 v[33:34], v[27:28], v[31:32]
	v_mul_f64 v[31:32], v[25:26], v[31:32]
	v_fma_f64 v[25:26], v[25:26], v[29:30], -v[33:34]
	v_fma_f64 v[27:28], v[27:28], v[29:30], v[31:32]
	v_add_f64 v[11:12], v[11:12], -v[25:26]
	v_add_f64 v[13:14], v[13:14], -v[27:28]
.LBB186_142:
	s_or_b64 exec, exec, s[12:13]
	v_cmp_eq_u32_e64 s[12:13], 6, v22
	s_and_b64 s[64:65], s[12:13], s[18:19]
	s_barrier
	s_and_saveexec_b64 s[12:13], s[64:65]
	s_cbranch_execz .LBB186_144
; %bb.143:
	v_mov_b32_e32 v25, 0
	ds_read_b128 v[25:28], v25 offset:11616
	s_waitcnt lgkmcnt(0)
	v_mul_f64 v[29:30], v[13:14], v[27:28]
	v_mul_f64 v[27:28], v[11:12], v[27:28]
	v_fma_f64 v[11:12], v[11:12], v[25:26], -v[29:30]
	v_fma_f64 v[13:14], v[13:14], v[25:26], v[27:28]
	v_xor_b32_e32 v26, 0x80000000, v12
	v_xor_b32_e32 v28, 0x80000000, v14
	v_mov_b32_e32 v25, v11
	v_mov_b32_e32 v27, v13
	ds_write_b128 v24, v[25:28]
.LBB186_144:
	s_or_b64 exec, exec, s[12:13]
	v_cmp_gt_u32_e64 s[12:13], 6, v22
	s_and_b64 s[66:67], s[12:13], s[18:19]
	s_waitcnt lgkmcnt(0)
	s_barrier
	s_and_saveexec_b64 s[12:13], s[66:67]
	s_cbranch_execz .LBB186_146
; %bb.145:
	v_lshlrev_b32_e32 v29, 4, v22
	ds_read_b128 v[25:28], v24
	ds_read_b128 v[29:32], v29 offset:11520
	s_waitcnt lgkmcnt(0)
	v_mul_f64 v[33:34], v[27:28], v[31:32]
	v_mul_f64 v[31:32], v[25:26], v[31:32]
	v_fma_f64 v[25:26], v[25:26], v[29:30], -v[33:34]
	v_fma_f64 v[27:28], v[27:28], v[29:30], v[31:32]
	v_add_f64 v[11:12], v[11:12], -v[25:26]
	v_add_f64 v[13:14], v[13:14], -v[27:28]
.LBB186_146:
	s_or_b64 exec, exec, s[12:13]
	v_cmp_eq_u32_e64 s[12:13], 5, v22
	s_and_b64 s[68:69], s[12:13], s[18:19]
	s_barrier
	s_and_saveexec_b64 s[12:13], s[68:69]
	s_cbranch_execz .LBB186_148
; %bb.147:
	v_mov_b32_e32 v25, 0
	ds_read_b128 v[25:28], v25 offset:11088
	s_waitcnt lgkmcnt(0)
	v_mul_f64 v[29:30], v[13:14], v[27:28]
	v_mul_f64 v[27:28], v[11:12], v[27:28]
	v_fma_f64 v[11:12], v[11:12], v[25:26], -v[29:30]
	v_fma_f64 v[13:14], v[13:14], v[25:26], v[27:28]
	v_xor_b32_e32 v26, 0x80000000, v12
	v_xor_b32_e32 v28, 0x80000000, v14
	v_mov_b32_e32 v25, v11
	v_mov_b32_e32 v27, v13
	ds_write_b128 v24, v[25:28]
.LBB186_148:
	s_or_b64 exec, exec, s[12:13]
	v_cmp_gt_u32_e64 s[12:13], 5, v22
	;; [unrolled: 39-line block ×5, first 2 shown]
	s_and_b64 s[82:83], s[12:13], s[18:19]
	s_waitcnt lgkmcnt(0)
	s_barrier
	s_and_saveexec_b64 s[12:13], s[82:83]
	s_cbranch_execz .LBB186_162
; %bb.161:
	v_lshlrev_b32_e32 v29, 4, v22
	ds_read_b128 v[25:28], v24
	ds_read_b128 v[29:32], v29 offset:9472
	s_waitcnt lgkmcnt(0)
	v_mul_f64 v[33:34], v[27:28], v[31:32]
	v_mul_f64 v[31:32], v[25:26], v[31:32]
	v_fma_f64 v[25:26], v[25:26], v[29:30], -v[33:34]
	v_fma_f64 v[27:28], v[27:28], v[29:30], v[31:32]
	v_add_f64 v[11:12], v[11:12], -v[25:26]
	v_add_f64 v[13:14], v[13:14], -v[27:28]
.LBB186_162:
	s_or_b64 exec, exec, s[12:13]
	v_cmp_eq_u32_e64 s[12:13], 1, v22
	s_and_b64 s[84:85], s[12:13], s[18:19]
	s_barrier
	s_and_saveexec_b64 s[12:13], s[84:85]
	s_cbranch_execz .LBB186_164
; %bb.163:
	v_mov_b32_e32 v25, 0
	ds_read_b128 v[25:28], v25 offset:8976
	s_waitcnt lgkmcnt(0)
	v_mul_f64 v[29:30], v[13:14], v[27:28]
	v_mul_f64 v[27:28], v[11:12], v[27:28]
	v_fma_f64 v[11:12], v[11:12], v[25:26], -v[29:30]
	v_fma_f64 v[13:14], v[13:14], v[25:26], v[27:28]
	v_xor_b32_e32 v26, 0x80000000, v12
	v_xor_b32_e32 v28, 0x80000000, v14
	v_mov_b32_e32 v25, v11
	v_mov_b32_e32 v27, v13
	ds_write_b128 v24, v[25:28]
.LBB186_164:
	s_or_b64 exec, exec, s[12:13]
	v_cmp_eq_u32_e64 s[12:13], 0, v22
	s_and_b64 s[58:59], s[12:13], s[18:19]
	s_waitcnt lgkmcnt(0)
	s_barrier
	s_and_saveexec_b64 s[12:13], s[58:59]
	s_cbranch_execz .LBB186_166
; %bb.165:
	v_mov_b32_e32 v29, 0
	ds_read_b128 v[25:28], v24
	ds_read_b128 v[29:32], v29 offset:8960
	s_waitcnt lgkmcnt(0)
	v_mul_f64 v[33:34], v[27:28], v[31:32]
	v_mul_f64 v[31:32], v[25:26], v[31:32]
	v_fma_f64 v[25:26], v[25:26], v[29:30], -v[33:34]
	v_fma_f64 v[27:28], v[27:28], v[29:30], v[31:32]
	v_add_f64 v[11:12], v[11:12], -v[25:26]
	v_add_f64 v[13:14], v[13:14], -v[27:28]
.LBB186_166:
	s_or_b64 exec, exec, s[12:13]
	s_barrier
	s_and_saveexec_b64 s[12:13], s[58:59]
	s_cbranch_execz .LBB186_168
; %bb.167:
	v_mov_b32_e32 v25, 0
	ds_read_b128 v[25:28], v25 offset:8448
	s_waitcnt lgkmcnt(0)
	v_mul_f64 v[29:30], v[13:14], v[27:28]
	v_mul_f64 v[27:28], v[11:12], v[27:28]
	v_fma_f64 v[11:12], v[11:12], v[25:26], -v[29:30]
	v_fma_f64 v[13:14], v[13:14], v[25:26], v[27:28]
	v_xor_b32_e32 v26, 0x80000000, v12
	v_xor_b32_e32 v28, 0x80000000, v14
	v_mov_b32_e32 v25, v11
	v_mov_b32_e32 v27, v13
	ds_write_b128 v24, v[25:28]
.LBB186_168:
	s_or_b64 exec, exec, s[12:13]
	s_waitcnt lgkmcnt(0)
	s_barrier
	s_barrier
	s_and_saveexec_b64 s[12:13], s[8:9]
; %bb.169:
	v_lshlrev_b32_e32 v25, 4, v22
	v_lshl_or_b32 v25, v23, 9, v25
	ds_write_b128 v25, v[11:14] offset:12544
; %bb.170:
	s_or_b64 exec, exec, s[12:13]
	v_cmp_gt_u32_e64 s[12:13], 8, v0
	s_and_b64 s[86:87], s[10:11], s[12:13]
	s_waitcnt lgkmcnt(0)
	s_barrier
	s_barrier
	s_and_saveexec_b64 s[12:13], s[86:87]
	s_cbranch_execz .LBB186_172
; %bb.171:
	v_lshlrev_b32_e32 v25, 9, v0
	ds_read_b128 v[11:14], v25 offset:12544
	s_movk_i32 s14, 0xfe10
	v_mad_i32_i24 v26, v0, s14, v25
	s_waitcnt lgkmcnt(0)
	ds_write_b128 v26, v[11:14] offset:8576
	ds_read_b128 v[11:14], v25 offset:12560
	s_waitcnt lgkmcnt(0)
	ds_write_b128 v26, v[11:14] offset:9088
	ds_read_b128 v[11:14], v25 offset:12576
	;; [unrolled: 3-line block ×7, first 2 shown]
	s_waitcnt lgkmcnt(0)
	ds_write_b128 v26, v[11:14] offset:12160
.LBB186_172:
	s_or_b64 exec, exec, s[12:13]
	s_waitcnt lgkmcnt(0)
	s_barrier
	s_and_saveexec_b64 s[12:13], vcc
	s_cbranch_execz .LBB186_174
; %bb.173:
	v_mov_b32_e32 v35, 0
	ds_read_b128 v[11:14], v35 offset:12144
	ds_read_b128 v[25:28], v35 offset:11616
	;; [unrolled: 1-line block ×3, first 2 shown]
	s_waitcnt lgkmcnt(1)
	v_mul_f64 v[33:34], v[11:12], v[27:28]
	v_mul_f64 v[27:28], v[13:14], v[27:28]
	v_fma_f64 v[13:14], v[13:14], v[25:26], v[33:34]
	v_fma_f64 v[11:12], v[11:12], v[25:26], -v[27:28]
	s_waitcnt lgkmcnt(0)
	v_mul_f64 v[25:26], v[13:14], v[31:32]
	v_mul_f64 v[27:28], v[11:12], v[31:32]
	v_fma_f64 v[11:12], v[29:30], v[11:12], -v[25:26]
	v_fma_f64 v[13:14], v[29:30], v[13:14], v[27:28]
	ds_write_b128 v35, v[11:14] offset:12128
	ds_write_b128 v35, v[11:14] offset:11632
.LBB186_174:
	s_or_b64 exec, exec, s[12:13]
	v_mov_b32_e32 v11, 0
	v_mov_b32_e32 v13, 0
	v_mov_b32_e32 v12, 0
	v_mov_b32_e32 v14, 0
	s_waitcnt lgkmcnt(0)
	s_barrier
	buffer_wbinvl1_vol
	s_and_saveexec_b64 s[14:15], s[2:3]
	s_cbranch_execz .LBB186_178
; %bb.175:
	v_lshlrev_b32_e32 v25, 4, v15
	v_lshlrev_b32_e32 v11, 9, v16
	ds_read_b128 v[11:14], v11 offset:11616
	ds_read_b128 v[25:28], v25 offset:11584
	v_cmp_gt_u32_e64 s[12:13], 2, v18
	s_waitcnt lgkmcnt(0)
	v_mul_f64 v[29:30], v[13:14], v[27:28]
	v_mul_f64 v[27:28], v[11:12], v[27:28]
	v_fma_f64 v[11:12], v[11:12], v[25:26], -v[29:30]
	v_fma_f64 v[13:14], v[13:14], v[25:26], v[27:28]
	v_add_f64 v[11:12], v[11:12], 0
	v_add_f64 v[13:14], v[13:14], 0
	s_and_saveexec_b64 s[18:19], s[12:13]
	s_cbranch_execz .LBB186_177
; %bb.176:
	v_lshlrev_b32_e32 v29, 4, v0
	v_mov_b32_e32 v25, 0
	ds_read_b128 v[25:28], v25 offset:12144
	ds_read_b128 v[29:32], v29 offset:12096
	s_waitcnt lgkmcnt(0)
	v_mul_f64 v[33:34], v[27:28], v[31:32]
	v_mul_f64 v[31:32], v[25:26], v[31:32]
	v_fma_f64 v[25:26], v[25:26], v[29:30], -v[33:34]
	v_fma_f64 v[27:28], v[27:28], v[29:30], v[31:32]
	v_add_f64 v[11:12], v[11:12], v[25:26]
	v_add_f64 v[13:14], v[13:14], v[27:28]
.LBB186_177:
	s_or_b64 exec, exec, s[18:19]
.LBB186_178:
	s_or_b64 exec, exec, s[14:15]
	s_and_saveexec_b64 s[12:13], s[40:41]
	s_cbranch_execz .LBB186_180
; %bb.179:
	v_mov_b32_e32 v25, 0
	ds_read_b128 v[25:28], v25 offset:11088
	s_waitcnt lgkmcnt(0)
	v_mul_f64 v[29:30], v[13:14], v[27:28]
	v_mul_f64 v[27:28], v[11:12], v[27:28]
	v_fma_f64 v[11:12], v[11:12], v[25:26], -v[29:30]
	v_fma_f64 v[13:14], v[13:14], v[25:26], v[27:28]
	v_xor_b32_e32 v26, 0x80000000, v12
	v_xor_b32_e32 v28, 0x80000000, v14
	v_mov_b32_e32 v25, v11
	v_mov_b32_e32 v27, v13
	ds_write_b128 v17, v[25:28]
.LBB186_180:
	s_or_b64 exec, exec, s[12:13]
	s_waitcnt lgkmcnt(0)
	s_barrier
	s_and_saveexec_b64 s[12:13], s[38:39]
	s_cbranch_execz .LBB186_182
; %bb.181:
	v_mov_b32_e32 v29, 0
	ds_read_b128 v[25:28], v17
	ds_read_b128 v[29:32], v29 offset:11072
	s_waitcnt lgkmcnt(0)
	v_mul_f64 v[33:34], v[27:28], v[31:32]
	v_mul_f64 v[31:32], v[25:26], v[31:32]
	v_fma_f64 v[25:26], v[25:26], v[29:30], -v[33:34]
	v_fma_f64 v[27:28], v[27:28], v[29:30], v[31:32]
	v_add_f64 v[11:12], v[11:12], -v[25:26]
	v_add_f64 v[13:14], v[13:14], -v[27:28]
.LBB186_182:
	s_or_b64 exec, exec, s[12:13]
	s_barrier
	s_and_saveexec_b64 s[12:13], s[38:39]
	s_cbranch_execz .LBB186_184
; %bb.183:
	v_mov_b32_e32 v25, 0
	ds_read_b128 v[25:28], v25 offset:10560
	s_waitcnt lgkmcnt(0)
	v_mul_f64 v[29:30], v[13:14], v[27:28]
	v_mul_f64 v[27:28], v[11:12], v[27:28]
	v_fma_f64 v[11:12], v[11:12], v[25:26], -v[29:30]
	v_fma_f64 v[13:14], v[13:14], v[25:26], v[27:28]
	v_xor_b32_e32 v26, 0x80000000, v12
	v_xor_b32_e32 v28, 0x80000000, v14
	v_mov_b32_e32 v25, v11
	v_mov_b32_e32 v27, v13
	ds_write_b128 v17, v[25:28]
.LBB186_184:
	s_or_b64 exec, exec, s[12:13]
	s_waitcnt lgkmcnt(0)
	s_barrier
	s_barrier
	s_and_saveexec_b64 s[12:13], s[2:3]
; %bb.185:
	v_lshlrev_b32_e32 v25, 4, v15
	v_lshl_or_b32 v25, v16, 9, v25
	ds_write_b128 v25, v[11:14] offset:11584
; %bb.186:
	s_or_b64 exec, exec, s[12:13]
	s_waitcnt lgkmcnt(0)
	s_barrier
	s_barrier
	s_and_saveexec_b64 s[12:13], s[42:43]
	s_cbranch_execz .LBB186_188
; %bb.187:
	v_lshlrev_b32_e32 v25, 9, v0
	ds_read_b128 v[11:14], v25 offset:11584
	s_movk_i32 s14, 0xfe10
	v_mad_i32_i24 v26, v0, s14, v25
	s_waitcnt lgkmcnt(0)
	ds_write_b128 v26, v[11:14] offset:10592
	ds_read_b128 v[11:14], v25 offset:11600
	s_waitcnt lgkmcnt(0)
	ds_write_b128 v26, v[11:14] offset:11104
.LBB186_188:
	s_or_b64 exec, exec, s[12:13]
	s_waitcnt lgkmcnt(0)
	s_barrier
	s_and_saveexec_b64 s[12:13], vcc
	s_cbranch_execz .LBB186_190
; %bb.189:
	v_mov_b32_e32 v35, 0
	ds_read_b128 v[11:14], v35 offset:11088
	ds_read_b128 v[25:28], v35 offset:10560
	;; [unrolled: 1-line block ×3, first 2 shown]
	s_waitcnt lgkmcnt(1)
	v_mul_f64 v[33:34], v[11:12], v[27:28]
	v_mul_f64 v[27:28], v[13:14], v[27:28]
	v_fma_f64 v[13:14], v[13:14], v[25:26], v[33:34]
	v_fma_f64 v[11:12], v[11:12], v[25:26], -v[27:28]
	s_waitcnt lgkmcnt(0)
	v_mul_f64 v[25:26], v[13:14], v[31:32]
	v_mul_f64 v[27:28], v[11:12], v[31:32]
	v_fma_f64 v[11:12], v[29:30], v[11:12], -v[25:26]
	v_fma_f64 v[13:14], v[29:30], v[13:14], v[27:28]
	ds_write_b128 v35, v[11:14] offset:11072
	ds_write_b128 v35, v[11:14] offset:10576
.LBB186_190:
	s_or_b64 exec, exec, s[12:13]
	v_mov_b32_e32 v13, 0
	v_mov_b32_e32 v11, 0
	;; [unrolled: 1-line block ×4, first 2 shown]
	s_waitcnt lgkmcnt(0)
	s_barrier
	buffer_wbinvl1_vol
	s_and_saveexec_b64 s[14:15], s[16:17]
	s_cbranch_execz .LBB186_196
; %bb.191:
	v_lshlrev_b32_e32 v26, 9, v20
	v_lshlrev_b32_e32 v25, 4, v19
	ds_read_b128 v[11:14], v26 offset:10560
	ds_read_b128 v[27:30], v25 offset:10496
	v_cmp_gt_u32_e64 s[12:13], 12, v18
	s_waitcnt lgkmcnt(0)
	v_mul_f64 v[31:32], v[13:14], v[29:30]
	v_mul_f64 v[29:30], v[11:12], v[29:30]
	v_fma_f64 v[11:12], v[11:12], v[27:28], -v[31:32]
	v_fma_f64 v[13:14], v[13:14], v[27:28], v[29:30]
	v_add_f64 v[11:12], v[11:12], 0
	v_add_f64 v[13:14], v[13:14], 0
	s_and_saveexec_b64 s[18:19], s[12:13]
	s_cbranch_execnz .LBB186_559
; %bb.192:
	s_or_b64 exec, exec, s[18:19]
	v_cmp_gt_u32_e64 s[12:13], 8, v18
	s_and_saveexec_b64 s[18:19], s[12:13]
	s_cbranch_execnz .LBB186_560
.LBB186_193:
	s_or_b64 exec, exec, s[18:19]
	v_cmp_gt_u32_e64 s[12:13], 4, v18
	s_and_saveexec_b64 s[18:19], s[12:13]
	s_cbranch_execz .LBB186_195
.LBB186_194:
	v_lshlrev_b32_e32 v29, 4, v0
	v_mov_b32_e32 v25, 0
	ds_read_b128 v[25:28], v25 offset:12144
	ds_read_b128 v[29:32], v29 offset:12032
	s_waitcnt lgkmcnt(0)
	v_mul_f64 v[33:34], v[27:28], v[31:32]
	v_mul_f64 v[31:32], v[25:26], v[31:32]
	v_fma_f64 v[25:26], v[25:26], v[29:30], -v[33:34]
	v_fma_f64 v[27:28], v[27:28], v[29:30], v[31:32]
	v_add_f64 v[11:12], v[11:12], v[25:26]
	v_add_f64 v[13:14], v[13:14], v[27:28]
.LBB186_195:
	s_or_b64 exec, exec, s[18:19]
.LBB186_196:
	s_or_b64 exec, exec, s[14:15]
	s_and_saveexec_b64 s[12:13], s[46:47]
	s_cbranch_execz .LBB186_198
; %bb.197:
	v_mov_b32_e32 v25, 0
	ds_read_b128 v[25:28], v25 offset:10032
	s_waitcnt lgkmcnt(0)
	v_mul_f64 v[29:30], v[13:14], v[27:28]
	v_mul_f64 v[27:28], v[11:12], v[27:28]
	v_fma_f64 v[11:12], v[11:12], v[25:26], -v[29:30]
	v_fma_f64 v[13:14], v[13:14], v[25:26], v[27:28]
	v_xor_b32_e32 v26, 0x80000000, v12
	v_xor_b32_e32 v28, 0x80000000, v14
	v_mov_b32_e32 v25, v11
	v_mov_b32_e32 v27, v13
	ds_write_b128 v21, v[25:28]
.LBB186_198:
	s_or_b64 exec, exec, s[12:13]
	s_waitcnt lgkmcnt(0)
	s_barrier
	s_and_saveexec_b64 s[12:13], s[48:49]
	s_cbranch_execz .LBB186_200
; %bb.199:
	v_lshlrev_b32_e32 v29, 4, v19
	ds_read_b128 v[25:28], v21
	ds_read_b128 v[29:32], v29 offset:9984
	s_waitcnt lgkmcnt(0)
	v_mul_f64 v[33:34], v[27:28], v[31:32]
	v_mul_f64 v[31:32], v[25:26], v[31:32]
	v_fma_f64 v[25:26], v[25:26], v[29:30], -v[33:34]
	v_fma_f64 v[27:28], v[27:28], v[29:30], v[31:32]
	v_add_f64 v[11:12], v[11:12], -v[25:26]
	v_add_f64 v[13:14], v[13:14], -v[27:28]
.LBB186_200:
	s_or_b64 exec, exec, s[12:13]
	s_barrier
	s_and_saveexec_b64 s[12:13], s[50:51]
	s_cbranch_execz .LBB186_202
; %bb.201:
	v_mov_b32_e32 v25, 0
	ds_read_b128 v[25:28], v25 offset:9504
	s_waitcnt lgkmcnt(0)
	v_mul_f64 v[29:30], v[13:14], v[27:28]
	v_mul_f64 v[27:28], v[11:12], v[27:28]
	v_fma_f64 v[11:12], v[11:12], v[25:26], -v[29:30]
	v_fma_f64 v[13:14], v[13:14], v[25:26], v[27:28]
	v_xor_b32_e32 v26, 0x80000000, v12
	v_xor_b32_e32 v28, 0x80000000, v14
	v_mov_b32_e32 v25, v11
	v_mov_b32_e32 v27, v13
	ds_write_b128 v21, v[25:28]
.LBB186_202:
	s_or_b64 exec, exec, s[12:13]
	s_waitcnt lgkmcnt(0)
	s_barrier
	s_and_saveexec_b64 s[12:13], s[52:53]
	s_cbranch_execz .LBB186_204
; %bb.203:
	v_lshlrev_b32_e32 v29, 4, v19
	ds_read_b128 v[25:28], v21
	ds_read_b128 v[29:32], v29 offset:9472
	s_waitcnt lgkmcnt(0)
	v_mul_f64 v[33:34], v[27:28], v[31:32]
	v_mul_f64 v[31:32], v[25:26], v[31:32]
	v_fma_f64 v[25:26], v[25:26], v[29:30], -v[33:34]
	v_fma_f64 v[27:28], v[27:28], v[29:30], v[31:32]
	v_add_f64 v[11:12], v[11:12], -v[25:26]
	v_add_f64 v[13:14], v[13:14], -v[27:28]
.LBB186_204:
	s_or_b64 exec, exec, s[12:13]
	s_barrier
	s_and_saveexec_b64 s[12:13], s[54:55]
	s_cbranch_execz .LBB186_206
; %bb.205:
	v_mov_b32_e32 v25, 0
	ds_read_b128 v[25:28], v25 offset:8976
	s_waitcnt lgkmcnt(0)
	v_mul_f64 v[29:30], v[13:14], v[27:28]
	v_mul_f64 v[27:28], v[11:12], v[27:28]
	v_fma_f64 v[11:12], v[11:12], v[25:26], -v[29:30]
	v_fma_f64 v[13:14], v[13:14], v[25:26], v[27:28]
	v_xor_b32_e32 v26, 0x80000000, v12
	v_xor_b32_e32 v28, 0x80000000, v14
	v_mov_b32_e32 v25, v11
	v_mov_b32_e32 v27, v13
	ds_write_b128 v21, v[25:28]
.LBB186_206:
	s_or_b64 exec, exec, s[12:13]
	s_waitcnt lgkmcnt(0)
	s_barrier
	s_and_saveexec_b64 s[12:13], s[44:45]
	s_cbranch_execz .LBB186_208
; %bb.207:
	v_mov_b32_e32 v29, 0
	ds_read_b128 v[25:28], v21
	ds_read_b128 v[29:32], v29 offset:8960
	s_waitcnt lgkmcnt(0)
	v_mul_f64 v[33:34], v[27:28], v[31:32]
	v_mul_f64 v[31:32], v[25:26], v[31:32]
	v_fma_f64 v[25:26], v[25:26], v[29:30], -v[33:34]
	v_fma_f64 v[27:28], v[27:28], v[29:30], v[31:32]
	v_add_f64 v[11:12], v[11:12], -v[25:26]
	v_add_f64 v[13:14], v[13:14], -v[27:28]
.LBB186_208:
	s_or_b64 exec, exec, s[12:13]
	s_barrier
	s_and_saveexec_b64 s[12:13], s[44:45]
	s_cbranch_execz .LBB186_210
; %bb.209:
	v_mov_b32_e32 v25, 0
	ds_read_b128 v[25:28], v25 offset:8448
	s_waitcnt lgkmcnt(0)
	v_mul_f64 v[29:30], v[13:14], v[27:28]
	v_mul_f64 v[27:28], v[11:12], v[27:28]
	v_fma_f64 v[11:12], v[11:12], v[25:26], -v[29:30]
	v_fma_f64 v[13:14], v[13:14], v[25:26], v[27:28]
	v_xor_b32_e32 v26, 0x80000000, v12
	v_xor_b32_e32 v28, 0x80000000, v14
	v_mov_b32_e32 v25, v11
	v_mov_b32_e32 v27, v13
	ds_write_b128 v21, v[25:28]
.LBB186_210:
	s_or_b64 exec, exec, s[12:13]
	s_waitcnt lgkmcnt(0)
	s_barrier
	s_barrier
	s_and_saveexec_b64 s[12:13], s[16:17]
; %bb.211:
	v_lshlrev_b32_e32 v25, 4, v19
	v_lshl_or_b32 v25, v20, 9, v25
	ds_write_b128 v25, v[11:14] offset:10496
; %bb.212:
	s_or_b64 exec, exec, s[12:13]
	s_waitcnt lgkmcnt(0)
	s_barrier
	s_barrier
	s_and_saveexec_b64 s[12:13], s[56:57]
	s_cbranch_execz .LBB186_214
; %bb.213:
	v_lshlrev_b32_e32 v25, 4, v0
	s_movk_i32 s14, 0x1f0
	v_mad_u32_u24 v26, v0, s14, v25
	ds_read_b128 v[11:14], v26 offset:10496
	s_waitcnt lgkmcnt(0)
	ds_write_b128 v25, v[11:14] offset:8512
	ds_read_b128 v[11:14], v26 offset:10512
	s_waitcnt lgkmcnt(0)
	ds_write_b128 v25, v[11:14] offset:9024
	;; [unrolled: 3-line block ×4, first 2 shown]
.LBB186_214:
	s_or_b64 exec, exec, s[12:13]
	s_waitcnt lgkmcnt(0)
	s_barrier
	s_and_saveexec_b64 s[12:13], vcc
	s_cbranch_execz .LBB186_216
; %bb.215:
	v_mov_b32_e32 v35, 0
	ds_read_b128 v[11:14], v35 offset:10032
	ds_read_b128 v[25:28], v35 offset:9504
	;; [unrolled: 1-line block ×3, first 2 shown]
	s_waitcnt lgkmcnt(1)
	v_mul_f64 v[33:34], v[11:12], v[27:28]
	v_mul_f64 v[27:28], v[13:14], v[27:28]
	v_fma_f64 v[13:14], v[13:14], v[25:26], v[33:34]
	v_fma_f64 v[11:12], v[11:12], v[25:26], -v[27:28]
	s_waitcnt lgkmcnt(0)
	v_mul_f64 v[25:26], v[13:14], v[31:32]
	v_mul_f64 v[27:28], v[11:12], v[31:32]
	v_fma_f64 v[11:12], v[29:30], v[11:12], -v[25:26]
	v_fma_f64 v[13:14], v[29:30], v[13:14], v[27:28]
	ds_write_b128 v35, v[11:14] offset:10016
	ds_write_b128 v35, v[11:14] offset:9520
.LBB186_216:
	s_or_b64 exec, exec, s[12:13]
	v_mov_b32_e32 v11, 0
	v_mov_b32_e32 v13, 0
	;; [unrolled: 1-line block ×4, first 2 shown]
	s_waitcnt lgkmcnt(0)
	s_barrier
	buffer_wbinvl1_vol
	s_and_saveexec_b64 s[14:15], s[2:3]
	s_cbranch_execz .LBB186_220
; %bb.217:
	v_lshlrev_b32_e32 v25, 4, v15
	v_lshlrev_b32_e32 v11, 9, v16
	ds_read_b128 v[11:14], v11 offset:9504
	ds_read_b128 v[25:28], v25 offset:9472
	v_cmp_gt_u32_e64 s[12:13], 2, v18
	s_waitcnt lgkmcnt(0)
	v_mul_f64 v[29:30], v[13:14], v[27:28]
	v_mul_f64 v[27:28], v[11:12], v[27:28]
	v_fma_f64 v[11:12], v[11:12], v[25:26], -v[29:30]
	v_fma_f64 v[13:14], v[13:14], v[25:26], v[27:28]
	v_add_f64 v[11:12], v[11:12], 0
	v_add_f64 v[13:14], v[13:14], 0
	s_and_saveexec_b64 s[18:19], s[12:13]
	s_cbranch_execz .LBB186_219
; %bb.218:
	v_lshlrev_b32_e32 v29, 4, v0
	v_mov_b32_e32 v25, 0
	ds_read_b128 v[25:28], v25 offset:10032
	ds_read_b128 v[29:32], v29 offset:9984
	s_waitcnt lgkmcnt(0)
	v_mul_f64 v[33:34], v[27:28], v[31:32]
	v_mul_f64 v[31:32], v[25:26], v[31:32]
	v_fma_f64 v[25:26], v[25:26], v[29:30], -v[33:34]
	v_fma_f64 v[27:28], v[27:28], v[29:30], v[31:32]
	v_add_f64 v[11:12], v[11:12], v[25:26]
	v_add_f64 v[13:14], v[13:14], v[27:28]
.LBB186_219:
	s_or_b64 exec, exec, s[18:19]
.LBB186_220:
	s_or_b64 exec, exec, s[14:15]
	s_and_saveexec_b64 s[12:13], s[40:41]
	s_cbranch_execz .LBB186_222
; %bb.221:
	v_mov_b32_e32 v25, 0
	ds_read_b128 v[25:28], v25 offset:8976
	s_waitcnt lgkmcnt(0)
	v_mul_f64 v[29:30], v[13:14], v[27:28]
	v_mul_f64 v[27:28], v[11:12], v[27:28]
	v_fma_f64 v[11:12], v[11:12], v[25:26], -v[29:30]
	v_fma_f64 v[13:14], v[13:14], v[25:26], v[27:28]
	v_xor_b32_e32 v26, 0x80000000, v12
	v_xor_b32_e32 v28, 0x80000000, v14
	v_mov_b32_e32 v25, v11
	v_mov_b32_e32 v27, v13
	ds_write_b128 v17, v[25:28]
.LBB186_222:
	s_or_b64 exec, exec, s[12:13]
	s_waitcnt lgkmcnt(0)
	s_barrier
	s_and_saveexec_b64 s[12:13], s[38:39]
	s_cbranch_execz .LBB186_224
; %bb.223:
	v_mov_b32_e32 v29, 0
	ds_read_b128 v[25:28], v17
	ds_read_b128 v[29:32], v29 offset:8960
	s_waitcnt lgkmcnt(0)
	v_mul_f64 v[33:34], v[27:28], v[31:32]
	v_mul_f64 v[31:32], v[25:26], v[31:32]
	v_fma_f64 v[25:26], v[25:26], v[29:30], -v[33:34]
	v_fma_f64 v[27:28], v[27:28], v[29:30], v[31:32]
	v_add_f64 v[11:12], v[11:12], -v[25:26]
	v_add_f64 v[13:14], v[13:14], -v[27:28]
.LBB186_224:
	s_or_b64 exec, exec, s[12:13]
	s_barrier
	s_and_saveexec_b64 s[12:13], s[38:39]
	s_cbranch_execz .LBB186_226
; %bb.225:
	v_mov_b32_e32 v25, 0
	ds_read_b128 v[25:28], v25 offset:8448
	s_waitcnt lgkmcnt(0)
	v_mul_f64 v[29:30], v[13:14], v[27:28]
	v_mul_f64 v[27:28], v[11:12], v[27:28]
	v_fma_f64 v[11:12], v[11:12], v[25:26], -v[29:30]
	v_fma_f64 v[13:14], v[13:14], v[25:26], v[27:28]
	v_xor_b32_e32 v26, 0x80000000, v12
	v_xor_b32_e32 v28, 0x80000000, v14
	v_mov_b32_e32 v25, v11
	v_mov_b32_e32 v27, v13
	ds_write_b128 v17, v[25:28]
.LBB186_226:
	s_or_b64 exec, exec, s[12:13]
	s_waitcnt lgkmcnt(0)
	s_barrier
	s_barrier
	s_and_saveexec_b64 s[12:13], s[2:3]
; %bb.227:
	v_lshlrev_b32_e32 v25, 4, v15
	v_lshl_or_b32 v25, v16, 9, v25
	ds_write_b128 v25, v[11:14] offset:9472
; %bb.228:
	s_or_b64 exec, exec, s[12:13]
	s_waitcnt lgkmcnt(0)
	s_barrier
	s_barrier
	s_and_saveexec_b64 s[12:13], s[42:43]
	s_cbranch_execz .LBB186_230
; %bb.229:
	v_lshlrev_b32_e32 v25, 9, v0
	ds_read_b128 v[11:14], v25 offset:9472
	s_movk_i32 s14, 0xfe10
	v_mad_i32_i24 v26, v0, s14, v25
	s_waitcnt lgkmcnt(0)
	ds_write_b128 v26, v[11:14] offset:8480
	ds_read_b128 v[11:14], v25 offset:9488
	s_waitcnt lgkmcnt(0)
	ds_write_b128 v26, v[11:14] offset:8992
.LBB186_230:
	s_or_b64 exec, exec, s[12:13]
	s_waitcnt lgkmcnt(0)
	s_barrier
	s_and_saveexec_b64 s[12:13], vcc
	s_cbranch_execz .LBB186_232
; %bb.231:
	v_mov_b32_e32 v35, 0
	ds_read_b128 v[11:14], v35 offset:8976
	ds_read_b128 v[25:28], v35 offset:8448
	;; [unrolled: 1-line block ×3, first 2 shown]
	s_waitcnt lgkmcnt(1)
	v_mul_f64 v[33:34], v[11:12], v[27:28]
	v_mul_f64 v[27:28], v[13:14], v[27:28]
	v_fma_f64 v[13:14], v[13:14], v[25:26], v[33:34]
	v_fma_f64 v[11:12], v[11:12], v[25:26], -v[27:28]
	s_waitcnt lgkmcnt(0)
	v_mul_f64 v[25:26], v[13:14], v[31:32]
	v_mul_f64 v[27:28], v[11:12], v[31:32]
	v_fma_f64 v[11:12], v[29:30], v[11:12], -v[25:26]
	v_fma_f64 v[13:14], v[29:30], v[13:14], v[27:28]
	ds_write_b128 v35, v[11:14] offset:8960
	ds_write_b128 v35, v[11:14] offset:8464
.LBB186_232:
	s_or_b64 exec, exec, s[12:13]
	s_movk_i32 s12, 0xff
	v_lshrrev_b32_e32 v27, 4, v18
	v_cmp_lt_u32_e64 s[14:15], s12, v18
	s_movk_i32 s12, 0x100
	v_mov_b32_e32 v13, 0
	v_mov_b32_e32 v11, 0
	v_and_b32_e32 v25, 15, v0
	v_sub_u32_e32 v26, 15, v27
	v_mov_b32_e32 v14, 0
	v_mov_b32_e32 v12, 0
	v_cmp_gt_u32_e64 s[12:13], s12, v18
	s_waitcnt lgkmcnt(0)
	s_barrier
	buffer_wbinvl1_vol
	s_and_saveexec_b64 s[88:89], s[12:13]
	s_cbranch_execz .LBB186_260
; %bb.233:
	v_lshlrev_b32_e32 v29, 9, v26
	v_lshlrev_b32_e32 v28, 4, v25
	ds_read_b128 v[11:14], v29 offset:8448
	ds_read_b128 v[30:33], v28 offset:8192
	s_movk_i32 s18, 0xf0
	v_cmp_gt_u32_e64 s[18:19], s18, v18
	s_waitcnt lgkmcnt(0)
	v_mul_f64 v[34:35], v[13:14], v[32:33]
	v_mul_f64 v[32:33], v[11:12], v[32:33]
	v_fma_f64 v[11:12], v[11:12], v[30:31], -v[34:35]
	v_fma_f64 v[13:14], v[13:14], v[30:31], v[32:33]
	v_add_f64 v[11:12], v[11:12], 0
	v_add_f64 v[13:14], v[13:14], 0
	s_and_saveexec_b64 s[90:91], s[18:19]
	s_cbranch_execz .LBB186_235
; %bb.234:
	ds_read_b128 v[30:33], v29 offset:8464
	ds_read_b128 v[34:37], v28 offset:8704
	s_waitcnt lgkmcnt(0)
	v_mul_f64 v[38:39], v[32:33], v[36:37]
	v_mul_f64 v[36:37], v[30:31], v[36:37]
	v_fma_f64 v[30:31], v[30:31], v[34:35], -v[38:39]
	v_fma_f64 v[32:33], v[32:33], v[34:35], v[36:37]
	v_add_f64 v[11:12], v[11:12], v[30:31]
	v_add_f64 v[13:14], v[13:14], v[32:33]
.LBB186_235:
	s_or_b64 exec, exec, s[90:91]
	s_movk_i32 s18, 0xe0
	v_cmp_gt_u32_e64 s[18:19], s18, v18
	s_and_saveexec_b64 s[90:91], s[18:19]
	s_cbranch_execz .LBB186_237
; %bb.236:
	ds_read_b128 v[30:33], v29 offset:8480
	ds_read_b128 v[34:37], v28 offset:9216
	s_waitcnt lgkmcnt(0)
	v_mul_f64 v[38:39], v[32:33], v[36:37]
	v_mul_f64 v[36:37], v[30:31], v[36:37]
	v_fma_f64 v[30:31], v[30:31], v[34:35], -v[38:39]
	v_fma_f64 v[32:33], v[32:33], v[34:35], v[36:37]
	v_add_f64 v[11:12], v[11:12], v[30:31]
	v_add_f64 v[13:14], v[13:14], v[32:33]
.LBB186_237:
	s_or_b64 exec, exec, s[90:91]
	s_movk_i32 s18, 0xd0
	v_cmp_gt_u32_e64 s[18:19], s18, v18
	;; [unrolled: 16-line block ×10, first 2 shown]
	s_and_saveexec_b64 s[90:91], s[18:19]
	s_cbranch_execnz .LBB186_561
; %bb.254:
	s_or_b64 exec, exec, s[90:91]
	s_and_saveexec_b64 s[18:19], s[8:9]
	s_cbranch_execnz .LBB186_562
.LBB186_255:
	s_or_b64 exec, exec, s[18:19]
	v_cmp_gt_u32_e64 s[18:19], 48, v18
	s_and_saveexec_b64 s[90:91], s[18:19]
	s_cbranch_execnz .LBB186_563
.LBB186_256:
	s_or_b64 exec, exec, s[90:91]
	v_cmp_gt_u32_e64 s[18:19], 32, v18
	s_and_saveexec_b64 s[90:91], s[18:19]
	s_cbranch_execnz .LBB186_564
.LBB186_257:
	s_or_b64 exec, exec, s[90:91]
	v_cmp_gt_u32_e64 s[18:19], 16, v18
	s_and_saveexec_b64 s[90:91], s[18:19]
	s_cbranch_execz .LBB186_259
.LBB186_258:
	v_lshlrev_b32_e32 v32, 4, v0
	v_mov_b32_e32 v28, 0
	ds_read_b128 v[28:31], v28 offset:16368
	ds_read_b128 v[32:35], v32 offset:15872
	s_waitcnt lgkmcnt(0)
	v_mul_f64 v[36:37], v[30:31], v[34:35]
	v_mul_f64 v[34:35], v[28:29], v[34:35]
	v_fma_f64 v[28:29], v[28:29], v[32:33], -v[36:37]
	v_fma_f64 v[30:31], v[30:31], v[32:33], v[34:35]
	v_add_f64 v[11:12], v[11:12], v[28:29]
	v_add_f64 v[13:14], v[13:14], v[30:31]
.LBB186_259:
	s_or_b64 exec, exec, s[90:91]
.LBB186_260:
	s_or_b64 exec, exec, s[88:89]
	v_mov_b32_e32 v28, 0x4000
	v_cmp_eq_u32_e64 s[18:19], 15, v25
	s_xor_b64 s[88:89], s[14:15], -1
	v_lshl_add_u32 v27, v27, 4, v28
	s_and_b64 s[18:19], s[18:19], s[88:89]
	s_and_saveexec_b64 s[14:15], s[18:19]
	s_cbranch_execz .LBB186_262
; %bb.261:
	v_mov_b32_e32 v28, 0
	ds_read_b128 v[28:31], v28 offset:7920
	s_waitcnt lgkmcnt(0)
	v_mul_f64 v[32:33], v[13:14], v[30:31]
	v_mul_f64 v[30:31], v[11:12], v[30:31]
	v_fma_f64 v[11:12], v[11:12], v[28:29], -v[32:33]
	v_fma_f64 v[13:14], v[13:14], v[28:29], v[30:31]
	v_xor_b32_e32 v29, 0x80000000, v12
	v_xor_b32_e32 v31, 0x80000000, v14
	v_mov_b32_e32 v28, v11
	v_mov_b32_e32 v30, v13
	ds_write_b128 v27, v[28:31]
.LBB186_262:
	s_or_b64 exec, exec, s[14:15]
	v_cmp_ne_u32_e64 s[14:15], 15, v25
	s_and_b64 s[18:19], s[14:15], s[88:89]
	s_waitcnt lgkmcnt(0)
	s_barrier
	s_and_saveexec_b64 s[14:15], s[18:19]
	s_cbranch_execz .LBB186_264
; %bb.263:
	v_lshlrev_b32_e32 v32, 4, v25
	ds_read_b128 v[28:31], v27
	ds_read_b128 v[32:35], v32 offset:7680
	s_waitcnt lgkmcnt(0)
	v_mul_f64 v[36:37], v[30:31], v[34:35]
	v_mul_f64 v[34:35], v[28:29], v[34:35]
	v_fma_f64 v[28:29], v[28:29], v[32:33], -v[36:37]
	v_fma_f64 v[30:31], v[30:31], v[32:33], v[34:35]
	v_add_f64 v[11:12], v[11:12], -v[28:29]
	v_add_f64 v[13:14], v[13:14], -v[30:31]
.LBB186_264:
	s_or_b64 exec, exec, s[14:15]
	v_cmp_eq_u32_e64 s[14:15], 14, v25
	s_and_b64 s[18:19], s[14:15], s[88:89]
	s_barrier
	s_and_saveexec_b64 s[14:15], s[18:19]
	s_cbranch_execz .LBB186_266
; %bb.265:
	v_mov_b32_e32 v28, 0
	ds_read_b128 v[28:31], v28 offset:7392
	s_waitcnt lgkmcnt(0)
	v_mul_f64 v[32:33], v[13:14], v[30:31]
	v_mul_f64 v[30:31], v[11:12], v[30:31]
	v_fma_f64 v[11:12], v[11:12], v[28:29], -v[32:33]
	v_fma_f64 v[13:14], v[13:14], v[28:29], v[30:31]
	v_xor_b32_e32 v29, 0x80000000, v12
	v_xor_b32_e32 v31, 0x80000000, v14
	v_mov_b32_e32 v28, v11
	v_mov_b32_e32 v30, v13
	ds_write_b128 v27, v[28:31]
.LBB186_266:
	s_or_b64 exec, exec, s[14:15]
	v_cmp_gt_u32_e64 s[14:15], 14, v25
	s_and_b64 s[18:19], s[14:15], s[88:89]
	s_waitcnt lgkmcnt(0)
	s_barrier
	s_and_saveexec_b64 s[14:15], s[18:19]
	s_cbranch_execz .LBB186_268
; %bb.267:
	v_lshlrev_b32_e32 v32, 4, v25
	ds_read_b128 v[28:31], v27
	ds_read_b128 v[32:35], v32 offset:7168
	s_waitcnt lgkmcnt(0)
	v_mul_f64 v[36:37], v[30:31], v[34:35]
	v_mul_f64 v[34:35], v[28:29], v[34:35]
	v_fma_f64 v[28:29], v[28:29], v[32:33], -v[36:37]
	v_fma_f64 v[30:31], v[30:31], v[32:33], v[34:35]
	v_add_f64 v[11:12], v[11:12], -v[28:29]
	v_add_f64 v[13:14], v[13:14], -v[30:31]
.LBB186_268:
	s_or_b64 exec, exec, s[14:15]
	v_cmp_eq_u32_e64 s[14:15], 13, v25
	s_and_b64 s[18:19], s[14:15], s[88:89]
	s_barrier
	s_and_saveexec_b64 s[14:15], s[18:19]
	s_cbranch_execz .LBB186_270
; %bb.269:
	v_mov_b32_e32 v28, 0
	ds_read_b128 v[28:31], v28 offset:6864
	s_waitcnt lgkmcnt(0)
	v_mul_f64 v[32:33], v[13:14], v[30:31]
	v_mul_f64 v[30:31], v[11:12], v[30:31]
	v_fma_f64 v[11:12], v[11:12], v[28:29], -v[32:33]
	v_fma_f64 v[13:14], v[13:14], v[28:29], v[30:31]
	v_xor_b32_e32 v29, 0x80000000, v12
	v_xor_b32_e32 v31, 0x80000000, v14
	v_mov_b32_e32 v28, v11
	v_mov_b32_e32 v30, v13
	ds_write_b128 v27, v[28:31]
.LBB186_270:
	s_or_b64 exec, exec, s[14:15]
	v_cmp_gt_u32_e64 s[14:15], 13, v25
	;; [unrolled: 39-line block ×13, first 2 shown]
	s_and_b64 s[18:19], s[14:15], s[88:89]
	s_waitcnt lgkmcnt(0)
	s_barrier
	s_and_saveexec_b64 s[14:15], s[18:19]
	s_cbranch_execz .LBB186_316
; %bb.315:
	v_lshlrev_b32_e32 v32, 4, v25
	ds_read_b128 v[28:31], v27
	ds_read_b128 v[32:35], v32 offset:1024
	s_waitcnt lgkmcnt(0)
	v_mul_f64 v[36:37], v[30:31], v[34:35]
	v_mul_f64 v[34:35], v[28:29], v[34:35]
	v_fma_f64 v[28:29], v[28:29], v[32:33], -v[36:37]
	v_fma_f64 v[30:31], v[30:31], v[32:33], v[34:35]
	v_add_f64 v[11:12], v[11:12], -v[28:29]
	v_add_f64 v[13:14], v[13:14], -v[30:31]
.LBB186_316:
	s_or_b64 exec, exec, s[14:15]
	v_cmp_eq_u32_e64 s[14:15], 1, v25
	s_and_b64 s[18:19], s[14:15], s[88:89]
	s_barrier
	s_and_saveexec_b64 s[14:15], s[18:19]
	s_cbranch_execz .LBB186_318
; %bb.317:
	v_mov_b32_e32 v28, 0
	ds_read_b128 v[28:31], v28 offset:528
	s_waitcnt lgkmcnt(0)
	v_mul_f64 v[32:33], v[13:14], v[30:31]
	v_mul_f64 v[30:31], v[11:12], v[30:31]
	v_fma_f64 v[11:12], v[11:12], v[28:29], -v[32:33]
	v_fma_f64 v[13:14], v[13:14], v[28:29], v[30:31]
	v_xor_b32_e32 v29, 0x80000000, v12
	v_xor_b32_e32 v31, 0x80000000, v14
	v_mov_b32_e32 v28, v11
	v_mov_b32_e32 v30, v13
	ds_write_b128 v27, v[28:31]
.LBB186_318:
	s_or_b64 exec, exec, s[14:15]
	v_cmp_eq_u32_e64 s[14:15], 0, v25
	s_and_b64 s[14:15], s[14:15], s[88:89]
	s_waitcnt lgkmcnt(0)
	s_barrier
	s_and_saveexec_b64 s[18:19], s[14:15]
	s_cbranch_execz .LBB186_320
; %bb.319:
	v_mov_b32_e32 v32, 0
	ds_read_b128 v[28:31], v27
	ds_read_b128 v[32:35], v32 offset:512
	s_waitcnt lgkmcnt(0)
	v_mul_f64 v[36:37], v[30:31], v[34:35]
	v_mul_f64 v[34:35], v[28:29], v[34:35]
	v_fma_f64 v[28:29], v[28:29], v[32:33], -v[36:37]
	v_fma_f64 v[30:31], v[30:31], v[32:33], v[34:35]
	v_add_f64 v[11:12], v[11:12], -v[28:29]
	v_add_f64 v[13:14], v[13:14], -v[30:31]
.LBB186_320:
	s_or_b64 exec, exec, s[18:19]
	s_barrier
	s_and_saveexec_b64 s[18:19], s[14:15]
	s_cbranch_execz .LBB186_322
; %bb.321:
	v_mov_b32_e32 v28, 0
	ds_read_b128 v[28:31], v28
	s_waitcnt lgkmcnt(0)
	v_mul_f64 v[32:33], v[13:14], v[30:31]
	v_mul_f64 v[30:31], v[11:12], v[30:31]
	v_fma_f64 v[11:12], v[11:12], v[28:29], -v[32:33]
	v_fma_f64 v[13:14], v[13:14], v[28:29], v[30:31]
	v_xor_b32_e32 v29, 0x80000000, v12
	v_xor_b32_e32 v31, 0x80000000, v14
	v_mov_b32_e32 v28, v11
	v_mov_b32_e32 v30, v13
	ds_write_b128 v27, v[28:31]
.LBB186_322:
	s_or_b64 exec, exec, s[18:19]
	s_waitcnt lgkmcnt(0)
	s_barrier
	s_barrier
	s_and_saveexec_b64 s[14:15], s[12:13]
; %bb.323:
	v_lshlrev_b32_e32 v25, 4, v25
	v_lshl_or_b32 v25, v26, 9, v25
	ds_write_b128 v25, v[11:14] offset:8192
; %bb.324:
	s_or_b64 exec, exec, s[14:15]
	v_cmp_gt_u32_e64 s[12:13], 16, v0
	s_and_b64 s[12:13], s[10:11], s[12:13]
	s_waitcnt lgkmcnt(0)
	s_barrier
	s_barrier
	s_and_saveexec_b64 s[10:11], s[12:13]
	s_cbranch_execz .LBB186_326
; %bb.325:
	v_lshlrev_b32_e32 v25, 9, v0
	ds_read_b128 v[11:14], v25 offset:8192
	s_movk_i32 s12, 0xfe10
	v_mad_i32_i24 v26, v0, s12, v25
	s_waitcnt lgkmcnt(0)
	ds_write_b128 v26, v[11:14] offset:256
	ds_read_b128 v[11:14], v25 offset:8208
	s_waitcnt lgkmcnt(0)
	ds_write_b128 v26, v[11:14] offset:768
	ds_read_b128 v[11:14], v25 offset:8224
	;; [unrolled: 3-line block ×15, first 2 shown]
	s_waitcnt lgkmcnt(0)
	ds_write_b128 v26, v[11:14] offset:7936
.LBB186_326:
	s_or_b64 exec, exec, s[10:11]
	s_waitcnt lgkmcnt(0)
	s_barrier
	s_and_saveexec_b64 s[10:11], vcc
	s_cbranch_execz .LBB186_328
; %bb.327:
	v_mov_b32_e32 v35, 0
	ds_read_b128 v[11:14], v35 offset:7920
	ds_read_b128 v[25:28], v35 offset:7392
	;; [unrolled: 1-line block ×3, first 2 shown]
	s_waitcnt lgkmcnt(1)
	v_mul_f64 v[33:34], v[11:12], v[27:28]
	v_mul_f64 v[27:28], v[13:14], v[27:28]
	v_fma_f64 v[13:14], v[13:14], v[25:26], v[33:34]
	v_fma_f64 v[11:12], v[11:12], v[25:26], -v[27:28]
	s_waitcnt lgkmcnt(0)
	v_mul_f64 v[25:26], v[13:14], v[31:32]
	v_mul_f64 v[27:28], v[11:12], v[31:32]
	v_fma_f64 v[11:12], v[29:30], v[11:12], -v[25:26]
	v_fma_f64 v[13:14], v[29:30], v[13:14], v[27:28]
	ds_write_b128 v35, v[11:14] offset:7904
	ds_write_b128 v35, v[11:14] offset:7408
.LBB186_328:
	s_or_b64 exec, exec, s[10:11]
	v_mov_b32_e32 v11, 0
	v_mov_b32_e32 v13, 0
	;; [unrolled: 1-line block ×4, first 2 shown]
	s_waitcnt lgkmcnt(0)
	s_barrier
	buffer_wbinvl1_vol
	s_and_saveexec_b64 s[12:13], s[2:3]
	s_cbranch_execz .LBB186_332
; %bb.329:
	v_lshlrev_b32_e32 v25, 4, v15
	v_lshlrev_b32_e32 v11, 9, v16
	ds_read_b128 v[11:14], v11 offset:7392
	ds_read_b128 v[25:28], v25 offset:7360
	v_cmp_gt_u32_e64 s[10:11], 2, v18
	s_waitcnt lgkmcnt(0)
	v_mul_f64 v[29:30], v[13:14], v[27:28]
	v_mul_f64 v[27:28], v[11:12], v[27:28]
	v_fma_f64 v[11:12], v[11:12], v[25:26], -v[29:30]
	v_fma_f64 v[13:14], v[13:14], v[25:26], v[27:28]
	v_add_f64 v[11:12], v[11:12], 0
	v_add_f64 v[13:14], v[13:14], 0
	s_and_saveexec_b64 s[14:15], s[10:11]
	s_cbranch_execz .LBB186_331
; %bb.330:
	v_lshlrev_b32_e32 v29, 4, v0
	v_mov_b32_e32 v25, 0
	ds_read_b128 v[25:28], v25 offset:7920
	ds_read_b128 v[29:32], v29 offset:7872
	s_waitcnt lgkmcnt(0)
	v_mul_f64 v[33:34], v[27:28], v[31:32]
	v_mul_f64 v[31:32], v[25:26], v[31:32]
	v_fma_f64 v[25:26], v[25:26], v[29:30], -v[33:34]
	v_fma_f64 v[27:28], v[27:28], v[29:30], v[31:32]
	v_add_f64 v[11:12], v[11:12], v[25:26]
	v_add_f64 v[13:14], v[13:14], v[27:28]
.LBB186_331:
	s_or_b64 exec, exec, s[14:15]
.LBB186_332:
	s_or_b64 exec, exec, s[12:13]
	s_and_saveexec_b64 s[10:11], s[40:41]
	s_cbranch_execz .LBB186_334
; %bb.333:
	v_mov_b32_e32 v25, 0
	ds_read_b128 v[25:28], v25 offset:6864
	s_waitcnt lgkmcnt(0)
	v_mul_f64 v[29:30], v[13:14], v[27:28]
	v_mul_f64 v[27:28], v[11:12], v[27:28]
	v_fma_f64 v[11:12], v[11:12], v[25:26], -v[29:30]
	v_fma_f64 v[13:14], v[13:14], v[25:26], v[27:28]
	v_xor_b32_e32 v26, 0x80000000, v12
	v_xor_b32_e32 v28, 0x80000000, v14
	v_mov_b32_e32 v25, v11
	v_mov_b32_e32 v27, v13
	ds_write_b128 v17, v[25:28]
.LBB186_334:
	s_or_b64 exec, exec, s[10:11]
	s_waitcnt lgkmcnt(0)
	s_barrier
	s_and_saveexec_b64 s[10:11], s[38:39]
	s_cbranch_execz .LBB186_336
; %bb.335:
	v_mov_b32_e32 v29, 0
	ds_read_b128 v[25:28], v17
	ds_read_b128 v[29:32], v29 offset:6848
	s_waitcnt lgkmcnt(0)
	v_mul_f64 v[33:34], v[27:28], v[31:32]
	v_mul_f64 v[31:32], v[25:26], v[31:32]
	v_fma_f64 v[25:26], v[25:26], v[29:30], -v[33:34]
	v_fma_f64 v[27:28], v[27:28], v[29:30], v[31:32]
	v_add_f64 v[11:12], v[11:12], -v[25:26]
	v_add_f64 v[13:14], v[13:14], -v[27:28]
.LBB186_336:
	s_or_b64 exec, exec, s[10:11]
	s_barrier
	s_and_saveexec_b64 s[10:11], s[38:39]
	s_cbranch_execz .LBB186_338
; %bb.337:
	v_mov_b32_e32 v25, 0
	ds_read_b128 v[25:28], v25 offset:6336
	s_waitcnt lgkmcnt(0)
	v_mul_f64 v[29:30], v[13:14], v[27:28]
	v_mul_f64 v[27:28], v[11:12], v[27:28]
	v_fma_f64 v[11:12], v[11:12], v[25:26], -v[29:30]
	v_fma_f64 v[13:14], v[13:14], v[25:26], v[27:28]
	v_xor_b32_e32 v26, 0x80000000, v12
	v_xor_b32_e32 v28, 0x80000000, v14
	v_mov_b32_e32 v25, v11
	v_mov_b32_e32 v27, v13
	ds_write_b128 v17, v[25:28]
.LBB186_338:
	s_or_b64 exec, exec, s[10:11]
	s_waitcnt lgkmcnt(0)
	s_barrier
	s_barrier
	s_and_saveexec_b64 s[10:11], s[2:3]
; %bb.339:
	v_lshlrev_b32_e32 v25, 4, v15
	v_lshl_or_b32 v25, v16, 9, v25
	ds_write_b128 v25, v[11:14] offset:7360
; %bb.340:
	s_or_b64 exec, exec, s[10:11]
	s_waitcnt lgkmcnt(0)
	s_barrier
	s_barrier
	s_and_saveexec_b64 s[10:11], s[42:43]
	s_cbranch_execz .LBB186_342
; %bb.341:
	v_lshlrev_b32_e32 v25, 9, v0
	ds_read_b128 v[11:14], v25 offset:7360
	s_movk_i32 s12, 0xfe10
	v_mad_i32_i24 v26, v0, s12, v25
	s_waitcnt lgkmcnt(0)
	ds_write_b128 v26, v[11:14] offset:6368
	ds_read_b128 v[11:14], v25 offset:7376
	s_waitcnt lgkmcnt(0)
	ds_write_b128 v26, v[11:14] offset:6880
.LBB186_342:
	s_or_b64 exec, exec, s[10:11]
	s_waitcnt lgkmcnt(0)
	s_barrier
	s_and_saveexec_b64 s[10:11], vcc
	s_cbranch_execz .LBB186_344
; %bb.343:
	v_mov_b32_e32 v35, 0
	ds_read_b128 v[11:14], v35 offset:6864
	ds_read_b128 v[25:28], v35 offset:6336
	;; [unrolled: 1-line block ×3, first 2 shown]
	s_waitcnt lgkmcnt(1)
	v_mul_f64 v[33:34], v[11:12], v[27:28]
	v_mul_f64 v[27:28], v[13:14], v[27:28]
	v_fma_f64 v[13:14], v[13:14], v[25:26], v[33:34]
	v_fma_f64 v[11:12], v[11:12], v[25:26], -v[27:28]
	s_waitcnt lgkmcnt(0)
	v_mul_f64 v[25:26], v[13:14], v[31:32]
	v_mul_f64 v[27:28], v[11:12], v[31:32]
	v_fma_f64 v[11:12], v[29:30], v[11:12], -v[25:26]
	v_fma_f64 v[13:14], v[29:30], v[13:14], v[27:28]
	ds_write_b128 v35, v[11:14] offset:6848
	ds_write_b128 v35, v[11:14] offset:6352
.LBB186_344:
	s_or_b64 exec, exec, s[10:11]
	v_mov_b32_e32 v13, 0
	v_mov_b32_e32 v11, 0
	;; [unrolled: 1-line block ×4, first 2 shown]
	s_waitcnt lgkmcnt(0)
	s_barrier
	buffer_wbinvl1_vol
	s_and_saveexec_b64 s[12:13], s[16:17]
	s_cbranch_execz .LBB186_350
; %bb.345:
	v_lshlrev_b32_e32 v26, 9, v20
	v_lshlrev_b32_e32 v25, 4, v19
	ds_read_b128 v[11:14], v26 offset:6336
	ds_read_b128 v[27:30], v25 offset:6272
	v_cmp_gt_u32_e64 s[10:11], 12, v18
	s_waitcnt lgkmcnt(0)
	v_mul_f64 v[31:32], v[13:14], v[29:30]
	v_mul_f64 v[29:30], v[11:12], v[29:30]
	v_fma_f64 v[11:12], v[11:12], v[27:28], -v[31:32]
	v_fma_f64 v[13:14], v[13:14], v[27:28], v[29:30]
	v_add_f64 v[11:12], v[11:12], 0
	v_add_f64 v[13:14], v[13:14], 0
	s_and_saveexec_b64 s[14:15], s[10:11]
	s_cbranch_execnz .LBB186_565
; %bb.346:
	s_or_b64 exec, exec, s[14:15]
	v_cmp_gt_u32_e64 s[10:11], 8, v18
	s_and_saveexec_b64 s[14:15], s[10:11]
	s_cbranch_execnz .LBB186_566
.LBB186_347:
	s_or_b64 exec, exec, s[14:15]
	v_cmp_gt_u32_e64 s[10:11], 4, v18
	s_and_saveexec_b64 s[14:15], s[10:11]
	s_cbranch_execz .LBB186_349
.LBB186_348:
	v_lshlrev_b32_e32 v29, 4, v0
	v_mov_b32_e32 v25, 0
	ds_read_b128 v[25:28], v25 offset:7920
	ds_read_b128 v[29:32], v29 offset:7808
	s_waitcnt lgkmcnt(0)
	v_mul_f64 v[33:34], v[27:28], v[31:32]
	v_mul_f64 v[31:32], v[25:26], v[31:32]
	v_fma_f64 v[25:26], v[25:26], v[29:30], -v[33:34]
	v_fma_f64 v[27:28], v[27:28], v[29:30], v[31:32]
	v_add_f64 v[11:12], v[11:12], v[25:26]
	v_add_f64 v[13:14], v[13:14], v[27:28]
.LBB186_349:
	s_or_b64 exec, exec, s[14:15]
.LBB186_350:
	s_or_b64 exec, exec, s[12:13]
	s_and_saveexec_b64 s[10:11], s[46:47]
	s_cbranch_execz .LBB186_352
; %bb.351:
	v_mov_b32_e32 v25, 0
	ds_read_b128 v[25:28], v25 offset:5808
	s_waitcnt lgkmcnt(0)
	v_mul_f64 v[29:30], v[13:14], v[27:28]
	v_mul_f64 v[27:28], v[11:12], v[27:28]
	v_fma_f64 v[11:12], v[11:12], v[25:26], -v[29:30]
	v_fma_f64 v[13:14], v[13:14], v[25:26], v[27:28]
	v_xor_b32_e32 v26, 0x80000000, v12
	v_xor_b32_e32 v28, 0x80000000, v14
	v_mov_b32_e32 v25, v11
	v_mov_b32_e32 v27, v13
	ds_write_b128 v21, v[25:28]
.LBB186_352:
	s_or_b64 exec, exec, s[10:11]
	s_waitcnt lgkmcnt(0)
	s_barrier
	s_and_saveexec_b64 s[10:11], s[48:49]
	s_cbranch_execz .LBB186_354
; %bb.353:
	v_lshlrev_b32_e32 v29, 4, v19
	ds_read_b128 v[25:28], v21
	ds_read_b128 v[29:32], v29 offset:5760
	s_waitcnt lgkmcnt(0)
	v_mul_f64 v[33:34], v[27:28], v[31:32]
	v_mul_f64 v[31:32], v[25:26], v[31:32]
	v_fma_f64 v[25:26], v[25:26], v[29:30], -v[33:34]
	v_fma_f64 v[27:28], v[27:28], v[29:30], v[31:32]
	v_add_f64 v[11:12], v[11:12], -v[25:26]
	v_add_f64 v[13:14], v[13:14], -v[27:28]
.LBB186_354:
	s_or_b64 exec, exec, s[10:11]
	s_barrier
	s_and_saveexec_b64 s[10:11], s[50:51]
	s_cbranch_execz .LBB186_356
; %bb.355:
	v_mov_b32_e32 v25, 0
	ds_read_b128 v[25:28], v25 offset:5280
	s_waitcnt lgkmcnt(0)
	v_mul_f64 v[29:30], v[13:14], v[27:28]
	v_mul_f64 v[27:28], v[11:12], v[27:28]
	v_fma_f64 v[11:12], v[11:12], v[25:26], -v[29:30]
	v_fma_f64 v[13:14], v[13:14], v[25:26], v[27:28]
	v_xor_b32_e32 v26, 0x80000000, v12
	v_xor_b32_e32 v28, 0x80000000, v14
	v_mov_b32_e32 v25, v11
	v_mov_b32_e32 v27, v13
	ds_write_b128 v21, v[25:28]
.LBB186_356:
	s_or_b64 exec, exec, s[10:11]
	s_waitcnt lgkmcnt(0)
	s_barrier
	s_and_saveexec_b64 s[10:11], s[52:53]
	s_cbranch_execz .LBB186_358
; %bb.357:
	v_lshlrev_b32_e32 v29, 4, v19
	ds_read_b128 v[25:28], v21
	ds_read_b128 v[29:32], v29 offset:5248
	s_waitcnt lgkmcnt(0)
	v_mul_f64 v[33:34], v[27:28], v[31:32]
	v_mul_f64 v[31:32], v[25:26], v[31:32]
	v_fma_f64 v[25:26], v[25:26], v[29:30], -v[33:34]
	v_fma_f64 v[27:28], v[27:28], v[29:30], v[31:32]
	v_add_f64 v[11:12], v[11:12], -v[25:26]
	v_add_f64 v[13:14], v[13:14], -v[27:28]
.LBB186_358:
	s_or_b64 exec, exec, s[10:11]
	s_barrier
	s_and_saveexec_b64 s[10:11], s[54:55]
	s_cbranch_execz .LBB186_360
; %bb.359:
	v_mov_b32_e32 v25, 0
	ds_read_b128 v[25:28], v25 offset:4752
	s_waitcnt lgkmcnt(0)
	v_mul_f64 v[29:30], v[13:14], v[27:28]
	v_mul_f64 v[27:28], v[11:12], v[27:28]
	v_fma_f64 v[11:12], v[11:12], v[25:26], -v[29:30]
	v_fma_f64 v[13:14], v[13:14], v[25:26], v[27:28]
	v_xor_b32_e32 v26, 0x80000000, v12
	v_xor_b32_e32 v28, 0x80000000, v14
	v_mov_b32_e32 v25, v11
	v_mov_b32_e32 v27, v13
	ds_write_b128 v21, v[25:28]
.LBB186_360:
	s_or_b64 exec, exec, s[10:11]
	s_waitcnt lgkmcnt(0)
	s_barrier
	s_and_saveexec_b64 s[10:11], s[44:45]
	s_cbranch_execz .LBB186_362
; %bb.361:
	v_mov_b32_e32 v29, 0
	ds_read_b128 v[25:28], v21
	ds_read_b128 v[29:32], v29 offset:4736
	s_waitcnt lgkmcnt(0)
	v_mul_f64 v[33:34], v[27:28], v[31:32]
	v_mul_f64 v[31:32], v[25:26], v[31:32]
	v_fma_f64 v[25:26], v[25:26], v[29:30], -v[33:34]
	v_fma_f64 v[27:28], v[27:28], v[29:30], v[31:32]
	v_add_f64 v[11:12], v[11:12], -v[25:26]
	v_add_f64 v[13:14], v[13:14], -v[27:28]
.LBB186_362:
	s_or_b64 exec, exec, s[10:11]
	s_barrier
	s_and_saveexec_b64 s[10:11], s[44:45]
	s_cbranch_execz .LBB186_364
; %bb.363:
	v_mov_b32_e32 v25, 0
	ds_read_b128 v[25:28], v25 offset:4224
	s_waitcnt lgkmcnt(0)
	v_mul_f64 v[29:30], v[13:14], v[27:28]
	v_mul_f64 v[27:28], v[11:12], v[27:28]
	v_fma_f64 v[11:12], v[11:12], v[25:26], -v[29:30]
	v_fma_f64 v[13:14], v[13:14], v[25:26], v[27:28]
	v_xor_b32_e32 v26, 0x80000000, v12
	v_xor_b32_e32 v28, 0x80000000, v14
	v_mov_b32_e32 v25, v11
	v_mov_b32_e32 v27, v13
	ds_write_b128 v21, v[25:28]
.LBB186_364:
	s_or_b64 exec, exec, s[10:11]
	s_waitcnt lgkmcnt(0)
	s_barrier
	s_barrier
	s_and_saveexec_b64 s[10:11], s[16:17]
; %bb.365:
	v_lshlrev_b32_e32 v25, 4, v19
	v_lshl_or_b32 v25, v20, 9, v25
	ds_write_b128 v25, v[11:14] offset:6272
; %bb.366:
	s_or_b64 exec, exec, s[10:11]
	s_waitcnt lgkmcnt(0)
	s_barrier
	s_barrier
	s_and_saveexec_b64 s[10:11], s[56:57]
	s_cbranch_execz .LBB186_368
; %bb.367:
	v_lshlrev_b32_e32 v25, 4, v0
	s_movk_i32 s12, 0x1f0
	v_mad_u32_u24 v26, v0, s12, v25
	ds_read_b128 v[11:14], v26 offset:6272
	s_waitcnt lgkmcnt(0)
	ds_write_b128 v25, v[11:14] offset:4288
	ds_read_b128 v[11:14], v26 offset:6288
	s_waitcnt lgkmcnt(0)
	ds_write_b128 v25, v[11:14] offset:4800
	;; [unrolled: 3-line block ×4, first 2 shown]
.LBB186_368:
	s_or_b64 exec, exec, s[10:11]
	s_waitcnt lgkmcnt(0)
	s_barrier
	s_and_saveexec_b64 s[10:11], vcc
	s_cbranch_execz .LBB186_370
; %bb.369:
	v_mov_b32_e32 v35, 0
	ds_read_b128 v[11:14], v35 offset:5808
	ds_read_b128 v[25:28], v35 offset:5280
	;; [unrolled: 1-line block ×3, first 2 shown]
	s_waitcnt lgkmcnt(1)
	v_mul_f64 v[33:34], v[11:12], v[27:28]
	v_mul_f64 v[27:28], v[13:14], v[27:28]
	v_fma_f64 v[13:14], v[13:14], v[25:26], v[33:34]
	v_fma_f64 v[11:12], v[11:12], v[25:26], -v[27:28]
	s_waitcnt lgkmcnt(0)
	v_mul_f64 v[25:26], v[13:14], v[31:32]
	v_mul_f64 v[27:28], v[11:12], v[31:32]
	v_fma_f64 v[11:12], v[29:30], v[11:12], -v[25:26]
	v_fma_f64 v[13:14], v[29:30], v[13:14], v[27:28]
	ds_write_b128 v35, v[11:14] offset:5792
	ds_write_b128 v35, v[11:14] offset:5296
.LBB186_370:
	s_or_b64 exec, exec, s[10:11]
	v_mov_b32_e32 v11, 0
	v_mov_b32_e32 v13, 0
	;; [unrolled: 1-line block ×4, first 2 shown]
	s_waitcnt lgkmcnt(0)
	s_barrier
	buffer_wbinvl1_vol
	s_and_saveexec_b64 s[12:13], s[2:3]
	s_cbranch_execz .LBB186_374
; %bb.371:
	v_lshlrev_b32_e32 v25, 4, v15
	v_lshlrev_b32_e32 v11, 9, v16
	ds_read_b128 v[11:14], v11 offset:5280
	ds_read_b128 v[25:28], v25 offset:5248
	v_cmp_gt_u32_e64 s[10:11], 2, v18
	s_waitcnt lgkmcnt(0)
	v_mul_f64 v[29:30], v[13:14], v[27:28]
	v_mul_f64 v[27:28], v[11:12], v[27:28]
	v_fma_f64 v[11:12], v[11:12], v[25:26], -v[29:30]
	v_fma_f64 v[13:14], v[13:14], v[25:26], v[27:28]
	v_add_f64 v[11:12], v[11:12], 0
	v_add_f64 v[13:14], v[13:14], 0
	s_and_saveexec_b64 s[14:15], s[10:11]
	s_cbranch_execz .LBB186_373
; %bb.372:
	v_lshlrev_b32_e32 v29, 4, v0
	v_mov_b32_e32 v25, 0
	ds_read_b128 v[25:28], v25 offset:5808
	ds_read_b128 v[29:32], v29 offset:5760
	s_waitcnt lgkmcnt(0)
	v_mul_f64 v[33:34], v[27:28], v[31:32]
	v_mul_f64 v[31:32], v[25:26], v[31:32]
	v_fma_f64 v[25:26], v[25:26], v[29:30], -v[33:34]
	v_fma_f64 v[27:28], v[27:28], v[29:30], v[31:32]
	v_add_f64 v[11:12], v[11:12], v[25:26]
	v_add_f64 v[13:14], v[13:14], v[27:28]
.LBB186_373:
	s_or_b64 exec, exec, s[14:15]
.LBB186_374:
	s_or_b64 exec, exec, s[12:13]
	s_and_saveexec_b64 s[10:11], s[40:41]
	s_cbranch_execz .LBB186_376
; %bb.375:
	v_mov_b32_e32 v25, 0
	ds_read_b128 v[25:28], v25 offset:4752
	s_waitcnt lgkmcnt(0)
	v_mul_f64 v[29:30], v[13:14], v[27:28]
	v_mul_f64 v[27:28], v[11:12], v[27:28]
	v_fma_f64 v[11:12], v[11:12], v[25:26], -v[29:30]
	v_fma_f64 v[13:14], v[13:14], v[25:26], v[27:28]
	v_xor_b32_e32 v26, 0x80000000, v12
	v_xor_b32_e32 v28, 0x80000000, v14
	v_mov_b32_e32 v25, v11
	v_mov_b32_e32 v27, v13
	ds_write_b128 v17, v[25:28]
.LBB186_376:
	s_or_b64 exec, exec, s[10:11]
	s_waitcnt lgkmcnt(0)
	s_barrier
	s_and_saveexec_b64 s[10:11], s[38:39]
	s_cbranch_execz .LBB186_378
; %bb.377:
	v_mov_b32_e32 v29, 0
	ds_read_b128 v[25:28], v17
	ds_read_b128 v[29:32], v29 offset:4736
	s_waitcnt lgkmcnt(0)
	v_mul_f64 v[33:34], v[27:28], v[31:32]
	v_mul_f64 v[31:32], v[25:26], v[31:32]
	v_fma_f64 v[25:26], v[25:26], v[29:30], -v[33:34]
	v_fma_f64 v[27:28], v[27:28], v[29:30], v[31:32]
	v_add_f64 v[11:12], v[11:12], -v[25:26]
	v_add_f64 v[13:14], v[13:14], -v[27:28]
.LBB186_378:
	s_or_b64 exec, exec, s[10:11]
	s_barrier
	s_and_saveexec_b64 s[10:11], s[38:39]
	s_cbranch_execz .LBB186_380
; %bb.379:
	v_mov_b32_e32 v25, 0
	ds_read_b128 v[25:28], v25 offset:4224
	s_waitcnt lgkmcnt(0)
	v_mul_f64 v[29:30], v[13:14], v[27:28]
	v_mul_f64 v[27:28], v[11:12], v[27:28]
	v_fma_f64 v[11:12], v[11:12], v[25:26], -v[29:30]
	v_fma_f64 v[13:14], v[13:14], v[25:26], v[27:28]
	v_xor_b32_e32 v26, 0x80000000, v12
	v_xor_b32_e32 v28, 0x80000000, v14
	v_mov_b32_e32 v25, v11
	v_mov_b32_e32 v27, v13
	ds_write_b128 v17, v[25:28]
.LBB186_380:
	s_or_b64 exec, exec, s[10:11]
	s_waitcnt lgkmcnt(0)
	s_barrier
	s_barrier
	s_and_saveexec_b64 s[10:11], s[2:3]
; %bb.381:
	v_lshlrev_b32_e32 v25, 4, v15
	v_lshl_or_b32 v25, v16, 9, v25
	ds_write_b128 v25, v[11:14] offset:5248
; %bb.382:
	s_or_b64 exec, exec, s[10:11]
	s_waitcnt lgkmcnt(0)
	s_barrier
	s_barrier
	s_and_saveexec_b64 s[10:11], s[42:43]
	s_cbranch_execz .LBB186_384
; %bb.383:
	v_lshlrev_b32_e32 v25, 9, v0
	ds_read_b128 v[11:14], v25 offset:5248
	s_movk_i32 s12, 0xfe10
	v_mad_i32_i24 v26, v0, s12, v25
	s_waitcnt lgkmcnt(0)
	ds_write_b128 v26, v[11:14] offset:4256
	ds_read_b128 v[11:14], v25 offset:5264
	s_waitcnt lgkmcnt(0)
	ds_write_b128 v26, v[11:14] offset:4768
.LBB186_384:
	s_or_b64 exec, exec, s[10:11]
	s_waitcnt lgkmcnt(0)
	s_barrier
	s_and_saveexec_b64 s[10:11], vcc
	s_cbranch_execz .LBB186_386
; %bb.385:
	v_mov_b32_e32 v35, 0
	ds_read_b128 v[11:14], v35 offset:4752
	ds_read_b128 v[25:28], v35 offset:4224
	;; [unrolled: 1-line block ×3, first 2 shown]
	s_waitcnt lgkmcnt(1)
	v_mul_f64 v[33:34], v[11:12], v[27:28]
	v_mul_f64 v[27:28], v[13:14], v[27:28]
	v_fma_f64 v[13:14], v[13:14], v[25:26], v[33:34]
	v_fma_f64 v[11:12], v[11:12], v[25:26], -v[27:28]
	s_waitcnt lgkmcnt(0)
	v_mul_f64 v[25:26], v[13:14], v[31:32]
	v_mul_f64 v[27:28], v[11:12], v[31:32]
	v_fma_f64 v[11:12], v[29:30], v[11:12], -v[25:26]
	v_fma_f64 v[13:14], v[29:30], v[13:14], v[27:28]
	ds_write_b128 v35, v[11:14] offset:4736
	ds_write_b128 v35, v[11:14] offset:4240
.LBB186_386:
	s_or_b64 exec, exec, s[10:11]
	v_mov_b32_e32 v13, 0
	v_mov_b32_e32 v11, 0
	;; [unrolled: 1-line block ×4, first 2 shown]
	s_waitcnt lgkmcnt(0)
	s_barrier
	buffer_wbinvl1_vol
	s_and_saveexec_b64 s[12:13], s[8:9]
	s_cbranch_execz .LBB186_396
; %bb.387:
	v_lshlrev_b32_e32 v26, 9, v23
	v_lshlrev_b32_e32 v25, 4, v22
	ds_read_b128 v[11:14], v26 offset:4224
	ds_read_b128 v[27:30], v25 offset:4096
	v_cmp_gt_u32_e64 s[10:11], 56, v18
	s_waitcnt lgkmcnt(0)
	v_mul_f64 v[31:32], v[13:14], v[29:30]
	v_mul_f64 v[29:30], v[11:12], v[29:30]
	v_fma_f64 v[11:12], v[11:12], v[27:28], -v[31:32]
	v_fma_f64 v[13:14], v[13:14], v[27:28], v[29:30]
	v_add_f64 v[11:12], v[11:12], 0
	v_add_f64 v[13:14], v[13:14], 0
	s_and_saveexec_b64 s[14:15], s[10:11]
	s_cbranch_execnz .LBB186_567
; %bb.388:
	s_or_b64 exec, exec, s[14:15]
	v_cmp_gt_u32_e64 s[10:11], 48, v18
	s_and_saveexec_b64 s[14:15], s[10:11]
	s_cbranch_execnz .LBB186_568
.LBB186_389:
	s_or_b64 exec, exec, s[14:15]
	v_cmp_gt_u32_e64 s[10:11], 40, v18
	s_and_saveexec_b64 s[14:15], s[10:11]
	s_cbranch_execnz .LBB186_569
.LBB186_390:
	s_or_b64 exec, exec, s[14:15]
	v_cmp_gt_u32_e64 s[10:11], 32, v18
	s_and_saveexec_b64 s[14:15], s[10:11]
	s_cbranch_execnz .LBB186_570
.LBB186_391:
	s_or_b64 exec, exec, s[14:15]
	v_cmp_gt_u32_e64 s[10:11], 24, v18
	s_and_saveexec_b64 s[14:15], s[10:11]
	s_cbranch_execnz .LBB186_571
.LBB186_392:
	s_or_b64 exec, exec, s[14:15]
	s_and_saveexec_b64 s[10:11], s[16:17]
	s_cbranch_execnz .LBB186_572
.LBB186_393:
	s_or_b64 exec, exec, s[10:11]
	v_cmp_gt_u32_e64 s[10:11], 8, v18
	s_and_saveexec_b64 s[14:15], s[10:11]
	s_cbranch_execz .LBB186_395
.LBB186_394:
	v_lshlrev_b32_e32 v29, 4, v0
	v_mov_b32_e32 v25, 0
	ds_read_b128 v[25:28], v25 offset:7920
	ds_read_b128 v[29:32], v29 offset:7680
	s_waitcnt lgkmcnt(0)
	v_mul_f64 v[33:34], v[27:28], v[31:32]
	v_mul_f64 v[31:32], v[25:26], v[31:32]
	v_fma_f64 v[25:26], v[25:26], v[29:30], -v[33:34]
	v_fma_f64 v[27:28], v[27:28], v[29:30], v[31:32]
	v_add_f64 v[11:12], v[11:12], v[25:26]
	v_add_f64 v[13:14], v[13:14], v[27:28]
.LBB186_395:
	s_or_b64 exec, exec, s[14:15]
.LBB186_396:
	s_or_b64 exec, exec, s[12:13]
	s_and_saveexec_b64 s[10:11], s[60:61]
	s_cbranch_execz .LBB186_398
; %bb.397:
	v_mov_b32_e32 v25, 0
	ds_read_b128 v[25:28], v25 offset:3696
	s_waitcnt lgkmcnt(0)
	v_mul_f64 v[29:30], v[13:14], v[27:28]
	v_mul_f64 v[27:28], v[11:12], v[27:28]
	v_fma_f64 v[11:12], v[11:12], v[25:26], -v[29:30]
	v_fma_f64 v[13:14], v[13:14], v[25:26], v[27:28]
	v_xor_b32_e32 v26, 0x80000000, v12
	v_xor_b32_e32 v28, 0x80000000, v14
	v_mov_b32_e32 v25, v11
	v_mov_b32_e32 v27, v13
	ds_write_b128 v24, v[25:28]
.LBB186_398:
	s_or_b64 exec, exec, s[10:11]
	s_waitcnt lgkmcnt(0)
	s_barrier
	s_and_saveexec_b64 s[10:11], s[62:63]
	s_cbranch_execz .LBB186_400
; %bb.399:
	v_lshlrev_b32_e32 v29, 4, v22
	ds_read_b128 v[25:28], v24
	ds_read_b128 v[29:32], v29 offset:3584
	s_waitcnt lgkmcnt(0)
	v_mul_f64 v[33:34], v[27:28], v[31:32]
	v_mul_f64 v[31:32], v[25:26], v[31:32]
	v_fma_f64 v[25:26], v[25:26], v[29:30], -v[33:34]
	v_fma_f64 v[27:28], v[27:28], v[29:30], v[31:32]
	v_add_f64 v[11:12], v[11:12], -v[25:26]
	v_add_f64 v[13:14], v[13:14], -v[27:28]
.LBB186_400:
	s_or_b64 exec, exec, s[10:11]
	s_barrier
	s_and_saveexec_b64 s[10:11], s[64:65]
	s_cbranch_execz .LBB186_402
; %bb.401:
	v_mov_b32_e32 v25, 0
	ds_read_b128 v[25:28], v25 offset:3168
	s_waitcnt lgkmcnt(0)
	v_mul_f64 v[29:30], v[13:14], v[27:28]
	v_mul_f64 v[27:28], v[11:12], v[27:28]
	v_fma_f64 v[11:12], v[11:12], v[25:26], -v[29:30]
	v_fma_f64 v[13:14], v[13:14], v[25:26], v[27:28]
	v_xor_b32_e32 v26, 0x80000000, v12
	v_xor_b32_e32 v28, 0x80000000, v14
	v_mov_b32_e32 v25, v11
	v_mov_b32_e32 v27, v13
	ds_write_b128 v24, v[25:28]
.LBB186_402:
	s_or_b64 exec, exec, s[10:11]
	s_waitcnt lgkmcnt(0)
	s_barrier
	s_and_saveexec_b64 s[10:11], s[66:67]
	s_cbranch_execz .LBB186_404
; %bb.403:
	v_lshlrev_b32_e32 v29, 4, v22
	ds_read_b128 v[25:28], v24
	ds_read_b128 v[29:32], v29 offset:3072
	s_waitcnt lgkmcnt(0)
	v_mul_f64 v[33:34], v[27:28], v[31:32]
	v_mul_f64 v[31:32], v[25:26], v[31:32]
	v_fma_f64 v[25:26], v[25:26], v[29:30], -v[33:34]
	v_fma_f64 v[27:28], v[27:28], v[29:30], v[31:32]
	v_add_f64 v[11:12], v[11:12], -v[25:26]
	v_add_f64 v[13:14], v[13:14], -v[27:28]
.LBB186_404:
	s_or_b64 exec, exec, s[10:11]
	s_barrier
	;; [unrolled: 35-line block ×6, first 2 shown]
	s_and_saveexec_b64 s[10:11], s[84:85]
	s_cbranch_execz .LBB186_422
; %bb.421:
	v_mov_b32_e32 v25, 0
	ds_read_b128 v[25:28], v25 offset:528
	s_waitcnt lgkmcnt(0)
	v_mul_f64 v[29:30], v[13:14], v[27:28]
	v_mul_f64 v[27:28], v[11:12], v[27:28]
	v_fma_f64 v[11:12], v[11:12], v[25:26], -v[29:30]
	v_fma_f64 v[13:14], v[13:14], v[25:26], v[27:28]
	v_xor_b32_e32 v26, 0x80000000, v12
	v_xor_b32_e32 v28, 0x80000000, v14
	v_mov_b32_e32 v25, v11
	v_mov_b32_e32 v27, v13
	ds_write_b128 v24, v[25:28]
.LBB186_422:
	s_or_b64 exec, exec, s[10:11]
	s_waitcnt lgkmcnt(0)
	s_barrier
	s_and_saveexec_b64 s[10:11], s[58:59]
	s_cbranch_execz .LBB186_424
; %bb.423:
	v_mov_b32_e32 v29, 0
	ds_read_b128 v[25:28], v24
	ds_read_b128 v[29:32], v29 offset:512
	s_waitcnt lgkmcnt(0)
	v_mul_f64 v[33:34], v[27:28], v[31:32]
	v_mul_f64 v[31:32], v[25:26], v[31:32]
	v_fma_f64 v[25:26], v[25:26], v[29:30], -v[33:34]
	v_fma_f64 v[27:28], v[27:28], v[29:30], v[31:32]
	v_add_f64 v[11:12], v[11:12], -v[25:26]
	v_add_f64 v[13:14], v[13:14], -v[27:28]
.LBB186_424:
	s_or_b64 exec, exec, s[10:11]
	s_barrier
	s_and_saveexec_b64 s[10:11], s[58:59]
	s_cbranch_execz .LBB186_426
; %bb.425:
	v_mov_b32_e32 v25, 0
	ds_read_b128 v[25:28], v25
	s_waitcnt lgkmcnt(0)
	v_mul_f64 v[29:30], v[13:14], v[27:28]
	v_mul_f64 v[27:28], v[11:12], v[27:28]
	v_fma_f64 v[11:12], v[11:12], v[25:26], -v[29:30]
	v_fma_f64 v[13:14], v[13:14], v[25:26], v[27:28]
	v_xor_b32_e32 v26, 0x80000000, v12
	v_xor_b32_e32 v28, 0x80000000, v14
	v_mov_b32_e32 v25, v11
	v_mov_b32_e32 v27, v13
	ds_write_b128 v24, v[25:28]
.LBB186_426:
	s_or_b64 exec, exec, s[10:11]
	s_waitcnt lgkmcnt(0)
	s_barrier
	s_barrier
	s_and_saveexec_b64 s[10:11], s[8:9]
; %bb.427:
	v_lshlrev_b32_e32 v22, 4, v22
	v_lshl_or_b32 v22, v23, 9, v22
	ds_write_b128 v22, v[11:14] offset:4096
; %bb.428:
	s_or_b64 exec, exec, s[10:11]
	s_waitcnt lgkmcnt(0)
	s_barrier
	s_barrier
	s_and_saveexec_b64 s[8:9], s[86:87]
	s_cbranch_execz .LBB186_430
; %bb.429:
	v_lshlrev_b32_e32 v22, 9, v0
	ds_read_b128 v[11:14], v22 offset:4096
	s_movk_i32 s10, 0xfe10
	v_mad_i32_i24 v23, v0, s10, v22
	s_waitcnt lgkmcnt(0)
	ds_write_b128 v23, v[11:14] offset:128
	ds_read_b128 v[11:14], v22 offset:4112
	s_waitcnt lgkmcnt(0)
	ds_write_b128 v23, v[11:14] offset:640
	ds_read_b128 v[11:14], v22 offset:4128
	;; [unrolled: 3-line block ×7, first 2 shown]
	s_waitcnt lgkmcnt(0)
	ds_write_b128 v23, v[11:14] offset:3712
.LBB186_430:
	s_or_b64 exec, exec, s[8:9]
	s_waitcnt lgkmcnt(0)
	s_barrier
	s_and_saveexec_b64 s[8:9], vcc
	s_cbranch_execz .LBB186_432
; %bb.431:
	v_mov_b32_e32 v32, 0
	ds_read_b128 v[11:14], v32 offset:3696
	ds_read_b128 v[22:25], v32 offset:3168
	;; [unrolled: 1-line block ×3, first 2 shown]
	s_waitcnt lgkmcnt(1)
	v_mul_f64 v[30:31], v[11:12], v[24:25]
	v_mul_f64 v[24:25], v[13:14], v[24:25]
	v_fma_f64 v[13:14], v[13:14], v[22:23], v[30:31]
	v_fma_f64 v[11:12], v[11:12], v[22:23], -v[24:25]
	s_waitcnt lgkmcnt(0)
	v_mul_f64 v[22:23], v[13:14], v[28:29]
	v_mul_f64 v[24:25], v[11:12], v[28:29]
	v_fma_f64 v[11:12], v[26:27], v[11:12], -v[22:23]
	v_fma_f64 v[13:14], v[26:27], v[13:14], v[24:25]
	ds_write_b128 v32, v[11:14] offset:3680
	ds_write_b128 v32, v[11:14] offset:3184
.LBB186_432:
	s_or_b64 exec, exec, s[8:9]
	v_mov_b32_e32 v11, 0
	v_mov_b32_e32 v13, 0
	;; [unrolled: 1-line block ×4, first 2 shown]
	s_waitcnt lgkmcnt(0)
	s_barrier
	buffer_wbinvl1_vol
	s_and_saveexec_b64 s[10:11], s[2:3]
	s_cbranch_execz .LBB186_436
; %bb.433:
	v_lshlrev_b32_e32 v22, 4, v15
	v_lshlrev_b32_e32 v11, 9, v16
	ds_read_b128 v[11:14], v11 offset:3168
	ds_read_b128 v[22:25], v22 offset:3136
	v_cmp_gt_u32_e64 s[8:9], 2, v18
	s_waitcnt lgkmcnt(0)
	v_mul_f64 v[26:27], v[13:14], v[24:25]
	v_mul_f64 v[24:25], v[11:12], v[24:25]
	v_fma_f64 v[11:12], v[11:12], v[22:23], -v[26:27]
	v_fma_f64 v[13:14], v[13:14], v[22:23], v[24:25]
	v_add_f64 v[11:12], v[11:12], 0
	v_add_f64 v[13:14], v[13:14], 0
	s_and_saveexec_b64 s[12:13], s[8:9]
	s_cbranch_execz .LBB186_435
; %bb.434:
	v_lshlrev_b32_e32 v26, 4, v0
	v_mov_b32_e32 v22, 0
	ds_read_b128 v[22:25], v22 offset:3696
	ds_read_b128 v[26:29], v26 offset:3648
	s_waitcnt lgkmcnt(0)
	v_mul_f64 v[30:31], v[24:25], v[28:29]
	v_mul_f64 v[28:29], v[22:23], v[28:29]
	v_fma_f64 v[22:23], v[22:23], v[26:27], -v[30:31]
	v_fma_f64 v[24:25], v[24:25], v[26:27], v[28:29]
	v_add_f64 v[11:12], v[11:12], v[22:23]
	v_add_f64 v[13:14], v[13:14], v[24:25]
.LBB186_435:
	s_or_b64 exec, exec, s[12:13]
.LBB186_436:
	s_or_b64 exec, exec, s[10:11]
	s_and_saveexec_b64 s[8:9], s[40:41]
	s_cbranch_execz .LBB186_438
; %bb.437:
	v_mov_b32_e32 v22, 0
	ds_read_b128 v[22:25], v22 offset:2640
	s_waitcnt lgkmcnt(0)
	v_mul_f64 v[26:27], v[13:14], v[24:25]
	v_mul_f64 v[24:25], v[11:12], v[24:25]
	v_fma_f64 v[11:12], v[11:12], v[22:23], -v[26:27]
	v_fma_f64 v[13:14], v[13:14], v[22:23], v[24:25]
	v_xor_b32_e32 v23, 0x80000000, v12
	v_xor_b32_e32 v25, 0x80000000, v14
	v_mov_b32_e32 v22, v11
	v_mov_b32_e32 v24, v13
	ds_write_b128 v17, v[22:25]
.LBB186_438:
	s_or_b64 exec, exec, s[8:9]
	s_waitcnt lgkmcnt(0)
	s_barrier
	s_and_saveexec_b64 s[8:9], s[38:39]
	s_cbranch_execz .LBB186_440
; %bb.439:
	v_mov_b32_e32 v26, 0
	ds_read_b128 v[22:25], v17
	ds_read_b128 v[26:29], v26 offset:2624
	s_waitcnt lgkmcnt(0)
	v_mul_f64 v[30:31], v[24:25], v[28:29]
	v_mul_f64 v[28:29], v[22:23], v[28:29]
	v_fma_f64 v[22:23], v[22:23], v[26:27], -v[30:31]
	v_fma_f64 v[24:25], v[24:25], v[26:27], v[28:29]
	v_add_f64 v[11:12], v[11:12], -v[22:23]
	v_add_f64 v[13:14], v[13:14], -v[24:25]
.LBB186_440:
	s_or_b64 exec, exec, s[8:9]
	s_barrier
	s_and_saveexec_b64 s[8:9], s[38:39]
	s_cbranch_execz .LBB186_442
; %bb.441:
	v_mov_b32_e32 v22, 0
	ds_read_b128 v[22:25], v22 offset:2112
	s_waitcnt lgkmcnt(0)
	v_mul_f64 v[26:27], v[13:14], v[24:25]
	v_mul_f64 v[24:25], v[11:12], v[24:25]
	v_fma_f64 v[11:12], v[11:12], v[22:23], -v[26:27]
	v_fma_f64 v[13:14], v[13:14], v[22:23], v[24:25]
	v_xor_b32_e32 v23, 0x80000000, v12
	v_xor_b32_e32 v25, 0x80000000, v14
	v_mov_b32_e32 v22, v11
	v_mov_b32_e32 v24, v13
	ds_write_b128 v17, v[22:25]
.LBB186_442:
	s_or_b64 exec, exec, s[8:9]
	s_waitcnt lgkmcnt(0)
	s_barrier
	s_barrier
	s_and_saveexec_b64 s[8:9], s[2:3]
; %bb.443:
	v_lshlrev_b32_e32 v22, 4, v15
	v_lshl_or_b32 v22, v16, 9, v22
	ds_write_b128 v22, v[11:14] offset:3136
; %bb.444:
	s_or_b64 exec, exec, s[8:9]
	s_waitcnt lgkmcnt(0)
	s_barrier
	s_barrier
	s_and_saveexec_b64 s[8:9], s[42:43]
	s_cbranch_execz .LBB186_446
; %bb.445:
	v_lshlrev_b32_e32 v22, 9, v0
	ds_read_b128 v[11:14], v22 offset:3136
	s_movk_i32 s10, 0xfe10
	v_mad_i32_i24 v23, v0, s10, v22
	s_waitcnt lgkmcnt(0)
	ds_write_b128 v23, v[11:14] offset:2144
	ds_read_b128 v[11:14], v22 offset:3152
	s_waitcnt lgkmcnt(0)
	ds_write_b128 v23, v[11:14] offset:2656
.LBB186_446:
	s_or_b64 exec, exec, s[8:9]
	s_waitcnt lgkmcnt(0)
	s_barrier
	s_and_saveexec_b64 s[8:9], vcc
	s_cbranch_execz .LBB186_448
; %bb.447:
	v_mov_b32_e32 v32, 0
	ds_read_b128 v[11:14], v32 offset:2640
	ds_read_b128 v[22:25], v32 offset:2112
	;; [unrolled: 1-line block ×3, first 2 shown]
	s_waitcnt lgkmcnt(1)
	v_mul_f64 v[30:31], v[11:12], v[24:25]
	v_mul_f64 v[24:25], v[13:14], v[24:25]
	v_fma_f64 v[13:14], v[13:14], v[22:23], v[30:31]
	v_fma_f64 v[11:12], v[11:12], v[22:23], -v[24:25]
	s_waitcnt lgkmcnt(0)
	v_mul_f64 v[22:23], v[13:14], v[28:29]
	v_mul_f64 v[24:25], v[11:12], v[28:29]
	v_fma_f64 v[11:12], v[26:27], v[11:12], -v[22:23]
	v_fma_f64 v[13:14], v[26:27], v[13:14], v[24:25]
	ds_write_b128 v32, v[11:14] offset:2624
	ds_write_b128 v32, v[11:14] offset:2128
.LBB186_448:
	s_or_b64 exec, exec, s[8:9]
	v_mov_b32_e32 v13, 0
	v_mov_b32_e32 v11, 0
	;; [unrolled: 1-line block ×4, first 2 shown]
	s_waitcnt lgkmcnt(0)
	s_barrier
	buffer_wbinvl1_vol
	s_and_saveexec_b64 s[10:11], s[16:17]
	s_cbranch_execz .LBB186_454
; %bb.449:
	v_lshlrev_b32_e32 v23, 9, v20
	v_lshlrev_b32_e32 v22, 4, v19
	ds_read_b128 v[11:14], v23 offset:2112
	ds_read_b128 v[24:27], v22 offset:2048
	v_cmp_gt_u32_e64 s[8:9], 12, v18
	s_waitcnt lgkmcnt(0)
	v_mul_f64 v[28:29], v[13:14], v[26:27]
	v_mul_f64 v[26:27], v[11:12], v[26:27]
	v_fma_f64 v[11:12], v[11:12], v[24:25], -v[28:29]
	v_fma_f64 v[13:14], v[13:14], v[24:25], v[26:27]
	v_add_f64 v[11:12], v[11:12], 0
	v_add_f64 v[13:14], v[13:14], 0
	s_and_saveexec_b64 s[12:13], s[8:9]
	s_cbranch_execnz .LBB186_573
; %bb.450:
	s_or_b64 exec, exec, s[12:13]
	v_cmp_gt_u32_e64 s[8:9], 8, v18
	s_and_saveexec_b64 s[12:13], s[8:9]
	s_cbranch_execnz .LBB186_574
.LBB186_451:
	s_or_b64 exec, exec, s[12:13]
	v_cmp_gt_u32_e64 s[8:9], 4, v18
	s_and_saveexec_b64 s[12:13], s[8:9]
	s_cbranch_execz .LBB186_453
.LBB186_452:
	v_lshlrev_b32_e32 v26, 4, v0
	v_mov_b32_e32 v22, 0
	ds_read_b128 v[22:25], v22 offset:3696
	ds_read_b128 v[26:29], v26 offset:3584
	s_waitcnt lgkmcnt(0)
	v_mul_f64 v[30:31], v[24:25], v[28:29]
	v_mul_f64 v[28:29], v[22:23], v[28:29]
	v_fma_f64 v[22:23], v[22:23], v[26:27], -v[30:31]
	v_fma_f64 v[24:25], v[24:25], v[26:27], v[28:29]
	v_add_f64 v[11:12], v[11:12], v[22:23]
	v_add_f64 v[13:14], v[13:14], v[24:25]
.LBB186_453:
	s_or_b64 exec, exec, s[12:13]
.LBB186_454:
	s_or_b64 exec, exec, s[10:11]
	s_and_saveexec_b64 s[8:9], s[46:47]
	s_cbranch_execz .LBB186_456
; %bb.455:
	v_mov_b32_e32 v22, 0
	ds_read_b128 v[22:25], v22 offset:1584
	s_waitcnt lgkmcnt(0)
	v_mul_f64 v[26:27], v[13:14], v[24:25]
	v_mul_f64 v[24:25], v[11:12], v[24:25]
	v_fma_f64 v[11:12], v[11:12], v[22:23], -v[26:27]
	v_fma_f64 v[13:14], v[13:14], v[22:23], v[24:25]
	v_xor_b32_e32 v23, 0x80000000, v12
	v_xor_b32_e32 v25, 0x80000000, v14
	v_mov_b32_e32 v22, v11
	v_mov_b32_e32 v24, v13
	ds_write_b128 v21, v[22:25]
.LBB186_456:
	s_or_b64 exec, exec, s[8:9]
	s_waitcnt lgkmcnt(0)
	s_barrier
	s_and_saveexec_b64 s[8:9], s[48:49]
	s_load_dword s46, s[4:5], 0x74
	s_cbranch_execz .LBB186_458
; %bb.457:
	v_lshlrev_b32_e32 v26, 4, v19
	ds_read_b128 v[22:25], v21
	ds_read_b128 v[26:29], v26 offset:1536
	s_waitcnt lgkmcnt(0)
	v_mul_f64 v[30:31], v[24:25], v[28:29]
	v_mul_f64 v[28:29], v[22:23], v[28:29]
	v_fma_f64 v[22:23], v[22:23], v[26:27], -v[30:31]
	v_fma_f64 v[24:25], v[24:25], v[26:27], v[28:29]
	v_add_f64 v[11:12], v[11:12], -v[22:23]
	v_add_f64 v[13:14], v[13:14], -v[24:25]
.LBB186_458:
	s_or_b64 exec, exec, s[8:9]
	s_waitcnt lgkmcnt(0)
	s_barrier
	s_and_saveexec_b64 s[8:9], s[50:51]
	s_cbranch_execz .LBB186_460
; %bb.459:
	v_mov_b32_e32 v22, 0
	ds_read_b128 v[22:25], v22 offset:1056
	s_waitcnt lgkmcnt(0)
	v_mul_f64 v[26:27], v[13:14], v[24:25]
	v_mul_f64 v[24:25], v[11:12], v[24:25]
	v_fma_f64 v[11:12], v[11:12], v[22:23], -v[26:27]
	v_fma_f64 v[13:14], v[13:14], v[22:23], v[24:25]
	v_xor_b32_e32 v23, 0x80000000, v12
	v_xor_b32_e32 v25, 0x80000000, v14
	v_mov_b32_e32 v22, v11
	v_mov_b32_e32 v24, v13
	ds_write_b128 v21, v[22:25]
.LBB186_460:
	s_or_b64 exec, exec, s[8:9]
	s_waitcnt lgkmcnt(0)
	s_barrier
	s_and_saveexec_b64 s[8:9], s[52:53]
	s_cbranch_execz .LBB186_462
; %bb.461:
	v_lshlrev_b32_e32 v26, 4, v19
	ds_read_b128 v[22:25], v21
	ds_read_b128 v[26:29], v26 offset:1024
	s_waitcnt lgkmcnt(0)
	v_mul_f64 v[30:31], v[24:25], v[28:29]
	v_mul_f64 v[28:29], v[22:23], v[28:29]
	v_fma_f64 v[22:23], v[22:23], v[26:27], -v[30:31]
	v_fma_f64 v[24:25], v[24:25], v[26:27], v[28:29]
	v_add_f64 v[11:12], v[11:12], -v[22:23]
	v_add_f64 v[13:14], v[13:14], -v[24:25]
.LBB186_462:
	s_or_b64 exec, exec, s[8:9]
	s_barrier
	s_and_saveexec_b64 s[8:9], s[54:55]
	s_cbranch_execz .LBB186_464
; %bb.463:
	v_mov_b32_e32 v22, 0
	ds_read_b128 v[22:25], v22 offset:528
	s_waitcnt lgkmcnt(0)
	v_mul_f64 v[26:27], v[13:14], v[24:25]
	v_mul_f64 v[24:25], v[11:12], v[24:25]
	v_fma_f64 v[11:12], v[11:12], v[22:23], -v[26:27]
	v_fma_f64 v[13:14], v[13:14], v[22:23], v[24:25]
	v_xor_b32_e32 v23, 0x80000000, v12
	v_xor_b32_e32 v25, 0x80000000, v14
	v_mov_b32_e32 v22, v11
	v_mov_b32_e32 v24, v13
	ds_write_b128 v21, v[22:25]
.LBB186_464:
	s_or_b64 exec, exec, s[8:9]
	s_waitcnt lgkmcnt(0)
	s_barrier
	s_and_saveexec_b64 s[8:9], s[44:45]
	s_cbranch_execz .LBB186_466
; %bb.465:
	v_mov_b32_e32 v26, 0
	ds_read_b128 v[22:25], v21
	ds_read_b128 v[26:29], v26 offset:512
	s_waitcnt lgkmcnt(0)
	v_mul_f64 v[30:31], v[24:25], v[28:29]
	v_mul_f64 v[28:29], v[22:23], v[28:29]
	v_fma_f64 v[22:23], v[22:23], v[26:27], -v[30:31]
	v_fma_f64 v[24:25], v[24:25], v[26:27], v[28:29]
	v_add_f64 v[11:12], v[11:12], -v[22:23]
	v_add_f64 v[13:14], v[13:14], -v[24:25]
.LBB186_466:
	s_or_b64 exec, exec, s[8:9]
	s_barrier
	s_and_saveexec_b64 s[8:9], s[44:45]
	s_cbranch_execz .LBB186_468
; %bb.467:
	v_mov_b32_e32 v22, 0
	ds_read_b128 v[22:25], v22
	s_waitcnt lgkmcnt(0)
	v_mul_f64 v[26:27], v[13:14], v[24:25]
	v_mul_f64 v[24:25], v[11:12], v[24:25]
	v_fma_f64 v[11:12], v[11:12], v[22:23], -v[26:27]
	v_fma_f64 v[13:14], v[13:14], v[22:23], v[24:25]
	v_xor_b32_e32 v23, 0x80000000, v12
	v_xor_b32_e32 v25, 0x80000000, v14
	v_mov_b32_e32 v22, v11
	v_mov_b32_e32 v24, v13
	ds_write_b128 v21, v[22:25]
.LBB186_468:
	s_or_b64 exec, exec, s[8:9]
	s_waitcnt lgkmcnt(0)
	s_barrier
	s_barrier
	s_and_saveexec_b64 s[8:9], s[16:17]
; %bb.469:
	v_lshlrev_b32_e32 v19, 4, v19
	v_lshl_or_b32 v19, v20, 9, v19
	ds_write_b128 v19, v[11:14] offset:2048
; %bb.470:
	s_or_b64 exec, exec, s[8:9]
	s_waitcnt lgkmcnt(0)
	s_barrier
	s_barrier
	s_and_saveexec_b64 s[8:9], s[56:57]
	s_cbranch_execz .LBB186_472
; %bb.471:
	v_lshlrev_b32_e32 v19, 4, v0
	s_movk_i32 s10, 0x1f0
	v_mad_u32_u24 v20, v0, s10, v19
	ds_read_b128 v[11:14], v20 offset:2048
	s_waitcnt lgkmcnt(0)
	ds_write_b128 v19, v[11:14] offset:64
	ds_read_b128 v[11:14], v20 offset:2064
	s_waitcnt lgkmcnt(0)
	ds_write_b128 v19, v[11:14] offset:576
	;; [unrolled: 3-line block ×4, first 2 shown]
.LBB186_472:
	s_or_b64 exec, exec, s[8:9]
	s_waitcnt lgkmcnt(0)
	s_barrier
	s_and_saveexec_b64 s[8:9], vcc
	s_cbranch_execz .LBB186_474
; %bb.473:
	v_mov_b32_e32 v29, 0
	ds_read_b128 v[11:14], v29 offset:1584
	ds_read_b128 v[19:22], v29 offset:1056
	ds_read_b128 v[23:26], v29 offset:1568
	s_waitcnt lgkmcnt(1)
	v_mul_f64 v[27:28], v[11:12], v[21:22]
	v_mul_f64 v[21:22], v[13:14], v[21:22]
	v_fma_f64 v[13:14], v[13:14], v[19:20], v[27:28]
	v_fma_f64 v[11:12], v[11:12], v[19:20], -v[21:22]
	s_waitcnt lgkmcnt(0)
	v_mul_f64 v[19:20], v[13:14], v[25:26]
	v_mul_f64 v[21:22], v[11:12], v[25:26]
	v_fma_f64 v[11:12], v[23:24], v[11:12], -v[19:20]
	v_fma_f64 v[13:14], v[23:24], v[13:14], v[21:22]
	ds_write_b128 v29, v[11:14] offset:1568
	ds_write_b128 v29, v[11:14] offset:1072
.LBB186_474:
	s_or_b64 exec, exec, s[8:9]
	v_mov_b32_e32 v11, 0
	v_mov_b32_e32 v13, 0
	;; [unrolled: 1-line block ×4, first 2 shown]
	s_waitcnt lgkmcnt(0)
	s_barrier
	buffer_wbinvl1_vol
	s_and_saveexec_b64 s[10:11], s[2:3]
	s_cbranch_execz .LBB186_478
; %bb.475:
	v_lshlrev_b32_e32 v19, 4, v15
	v_lshlrev_b32_e32 v11, 9, v16
	ds_read_b128 v[11:14], v11 offset:1056
	ds_read_b128 v[19:22], v19 offset:1024
	v_cmp_gt_u32_e64 s[8:9], 2, v18
	s_waitcnt lgkmcnt(0)
	v_mul_f64 v[23:24], v[13:14], v[21:22]
	v_mul_f64 v[21:22], v[11:12], v[21:22]
	v_fma_f64 v[11:12], v[11:12], v[19:20], -v[23:24]
	v_fma_f64 v[13:14], v[13:14], v[19:20], v[21:22]
	v_add_f64 v[11:12], v[11:12], 0
	v_add_f64 v[13:14], v[13:14], 0
	s_and_saveexec_b64 s[12:13], s[8:9]
	s_cbranch_execz .LBB186_477
; %bb.476:
	v_lshlrev_b32_e32 v22, 4, v0
	v_mov_b32_e32 v18, 0
	ds_read_b128 v[18:21], v18 offset:1584
	ds_read_b128 v[22:25], v22 offset:1536
	s_waitcnt lgkmcnt(0)
	v_mul_f64 v[26:27], v[20:21], v[24:25]
	v_mul_f64 v[24:25], v[18:19], v[24:25]
	v_fma_f64 v[18:19], v[18:19], v[22:23], -v[26:27]
	v_fma_f64 v[20:21], v[20:21], v[22:23], v[24:25]
	v_add_f64 v[11:12], v[11:12], v[18:19]
	v_add_f64 v[13:14], v[13:14], v[20:21]
.LBB186_477:
	s_or_b64 exec, exec, s[12:13]
.LBB186_478:
	s_or_b64 exec, exec, s[10:11]
	s_and_saveexec_b64 s[8:9], s[40:41]
	s_cbranch_execz .LBB186_480
; %bb.479:
	v_mov_b32_e32 v18, 0
	ds_read_b128 v[18:21], v18 offset:528
	s_waitcnt lgkmcnt(0)
	v_mul_f64 v[22:23], v[13:14], v[20:21]
	v_mul_f64 v[20:21], v[11:12], v[20:21]
	v_fma_f64 v[11:12], v[11:12], v[18:19], -v[22:23]
	v_fma_f64 v[13:14], v[13:14], v[18:19], v[20:21]
	v_xor_b32_e32 v19, 0x80000000, v12
	v_xor_b32_e32 v21, 0x80000000, v14
	v_mov_b32_e32 v18, v11
	v_mov_b32_e32 v20, v13
	ds_write_b128 v17, v[18:21]
.LBB186_480:
	s_or_b64 exec, exec, s[8:9]
	s_waitcnt lgkmcnt(0)
	s_barrier
	s_and_saveexec_b64 s[8:9], s[38:39]
	s_cbranch_execz .LBB186_482
; %bb.481:
	v_mov_b32_e32 v22, 0
	ds_read_b128 v[18:21], v17
	ds_read_b128 v[22:25], v22 offset:512
	s_waitcnt lgkmcnt(0)
	v_mul_f64 v[26:27], v[20:21], v[24:25]
	v_mul_f64 v[24:25], v[18:19], v[24:25]
	v_fma_f64 v[18:19], v[18:19], v[22:23], -v[26:27]
	v_fma_f64 v[20:21], v[20:21], v[22:23], v[24:25]
	v_add_f64 v[11:12], v[11:12], -v[18:19]
	v_add_f64 v[13:14], v[13:14], -v[20:21]
.LBB186_482:
	s_or_b64 exec, exec, s[8:9]
	s_barrier
	s_and_saveexec_b64 s[8:9], s[38:39]
	s_cbranch_execz .LBB186_484
; %bb.483:
	v_mov_b32_e32 v18, 0
	ds_read_b128 v[18:21], v18
	s_waitcnt lgkmcnt(0)
	v_mul_f64 v[22:23], v[13:14], v[20:21]
	v_mul_f64 v[20:21], v[11:12], v[20:21]
	v_fma_f64 v[11:12], v[11:12], v[18:19], -v[22:23]
	v_fma_f64 v[13:14], v[13:14], v[18:19], v[20:21]
	v_xor_b32_e32 v19, 0x80000000, v12
	v_xor_b32_e32 v21, 0x80000000, v14
	v_mov_b32_e32 v18, v11
	v_mov_b32_e32 v20, v13
	ds_write_b128 v17, v[18:21]
.LBB186_484:
	s_or_b64 exec, exec, s[8:9]
	s_waitcnt lgkmcnt(0)
	s_barrier
	s_barrier
	s_and_saveexec_b64 s[8:9], s[2:3]
; %bb.485:
	v_lshlrev_b32_e32 v15, 4, v15
	v_lshl_or_b32 v15, v16, 9, v15
	ds_write_b128 v15, v[11:14] offset:1024
; %bb.486:
	s_or_b64 exec, exec, s[8:9]
	s_waitcnt lgkmcnt(0)
	s_barrier
	s_barrier
	s_and_saveexec_b64 s[2:3], s[42:43]
	s_cbranch_execz .LBB186_488
; %bb.487:
	v_lshlrev_b32_e32 v15, 9, v0
	ds_read_b128 v[11:14], v15 offset:1024
	s_movk_i32 s8, 0xfe10
	v_mad_i32_i24 v16, v0, s8, v15
	s_waitcnt lgkmcnt(0)
	ds_write_b128 v16, v[11:14] offset:32
	ds_read_b128 v[11:14], v15 offset:1040
	s_waitcnt lgkmcnt(0)
	ds_write_b128 v16, v[11:14] offset:544
.LBB186_488:
	s_or_b64 exec, exec, s[2:3]
	s_waitcnt lgkmcnt(0)
	s_barrier
	s_and_saveexec_b64 s[2:3], vcc
	s_cbranch_execz .LBB186_490
; %bb.489:
	v_mov_b32_e32 v25, 0
	ds_read_b128 v[11:14], v25 offset:528
	ds_read_b128 v[15:18], v25
	ds_read_b128 v[19:22], v25 offset:512
	s_waitcnt lgkmcnt(1)
	v_mul_f64 v[23:24], v[11:12], v[17:18]
	v_mul_f64 v[17:18], v[13:14], v[17:18]
	v_fma_f64 v[13:14], v[13:14], v[15:16], v[23:24]
	v_fma_f64 v[11:12], v[11:12], v[15:16], -v[17:18]
	s_waitcnt lgkmcnt(0)
	v_mul_f64 v[15:16], v[13:14], v[21:22]
	v_mul_f64 v[17:18], v[11:12], v[21:22]
	v_fma_f64 v[11:12], v[19:20], v[11:12], -v[15:16]
	v_fma_f64 v[13:14], v[19:20], v[13:14], v[17:18]
	ds_write_b128 v25, v[11:14] offset:512
	ds_write_b128 v25, v[11:14] offset:16
.LBB186_490:
	s_or_b64 exec, exec, s[2:3]
.LBB186_491:
	s_lshl_b64 s[2:3], s[26:27], 4
	s_add_u32 s26, s36, s2
	v_cmp_le_i32_e32 vcc, s93, v0
	s_addc_u32 s27, s37, s3
	s_and_b64 s[16:17], vcc, s[30:31]
	v_cmp_eq_u32_e64 s[2:3], 0, v2
	s_xor_b64 s[8:9], s[16:17], -1
	v_mov_b32_e32 v13, 0
	v_mov_b32_e32 v11, 0
	s_and_b64 s[10:11], s[2:3], s[8:9]
	v_mov_b32_e32 v14, 0
	v_mov_b32_e32 v12, 0
	v_add_u32_e32 v15, s33, v0
	s_waitcnt lgkmcnt(0)
	s_barrier
	s_and_saveexec_b64 s[8:9], s[10:11]
	s_cbranch_execz .LBB186_493
; %bb.492:
	v_ashrrev_i32_e32 v13, 31, v15
	v_mul_lo_u32 v14, s25, v15
	v_mad_u64_u32 v[11:12], s[10:11], s24, v15, 0
	v_mul_lo_u32 v13, s24, v13
	v_add3_u32 v12, v12, v13, v14
	v_lshlrev_b64 v[11:12], 4, v[11:12]
	v_mov_b32_e32 v13, s27
	v_add_co_u32_e32 v11, vcc, s26, v11
	v_addc_co_u32_e32 v12, vcc, v13, v12, vcc
	flat_load_dwordx4 v[11:14], v[11:12]
	s_waitcnt vmcnt(0) lgkmcnt(0)
	v_mul_f64 v[16:17], s[20:21], v[11:12]
	v_mul_f64 v[18:19], s[20:21], v[13:14]
	v_fma_f64 v[13:14], s[22:23], v[13:14], -v[16:17]
	v_fma_f64 v[11:12], v[11:12], -s[22:23], -v[18:19]
.LBB186_493:
	s_or_b64 exec, exec, s[8:9]
	s_load_dwordx2 s[14:15], s[4:5], 0x58
	s_and_b32 s4, 0xffff, s46
	v_mad_u32_u24 v23, v2, s4, v0
	v_mov_b32_e32 v16, 0
	s_cmp_lt_i32 s6, 1
	v_cmp_eq_u32_e64 s[4:5], 0, v23
	s_cbranch_scc1 .LBB186_516
; %bb.494:
	v_mad_u64_u32 v[17:18], s[8:9], s34, v15, 0
	s_mov_b32 s22, 0
	v_cmp_gt_u32_e64 s[12:13], 32, v23
	v_mad_u64_u32 v[18:19], s[8:9], s35, v15, v[18:19]
	s_lshl_b64 s[8:9], s[28:29], 2
	s_waitcnt lgkmcnt(0)
	s_add_u32 s18, s14, s8
	v_lshlrev_b64 v[17:18], 4, v[17:18]
	s_addc_u32 s19, s15, s9
	v_mov_b32_e32 v19, 0x6000
	v_cmp_gt_i32_e64 s[8:9], s7, v15
	v_mov_b32_e32 v15, s95
	v_add_co_u32_e32 v26, vcc, s94, v17
	v_lshl_add_u32 v24, v23, 4, v19
	v_lshl_or_b32 v25, v2, 4, v19
	s_add_i32 s23, s6, -1
	v_addc_co_u32_e32 v27, vcc, v15, v18, vcc
	v_mov_b32_e32 v28, -1
	s_branch .LBB186_497
.LBB186_495:                            ;   in Loop: Header=BB186_497 Depth=1
	ds_read_b128 v[29:32], v25 offset:256
	s_waitcnt vmcnt(0) lgkmcnt(0)
	v_mul_f64 v[17:18], v[21:22], v[31:32]
	v_mul_f64 v[21:22], v[21:22], v[29:30]
	v_fma_f64 v[17:18], v[19:20], v[29:30], v[17:18]
	v_fma_f64 v[19:20], v[19:20], v[31:32], -v[21:22]
	v_add_f64 v[13:14], v[13:14], v[17:18]
	v_add_f64 v[11:12], v[11:12], v[19:20]
.LBB186_496:                            ;   in Loop: Header=BB186_497 Depth=1
	s_or_b64 exec, exec, s[20:21]
	s_add_i32 s22, s22, 1
	s_cmp_eq_u32 s22, s6
	s_cbranch_scc1 .LBB186_516
.LBB186_497:                            ; =>This Loop Header: Depth=1
                                        ;     Child Loop BB186_499 Depth 2
	v_cmp_gt_i32_e32 vcc, s22, v28
	s_and_b64 s[20:21], s[4:5], vcc
	s_and_saveexec_b64 s[10:11], s[20:21]
	s_cbranch_execz .LBB186_500
; %bb.498:                              ;   in Loop: Header=BB186_497 Depth=1
	global_load_dword v28, v16, s[18:19]
	s_waitcnt vmcnt(0)
	v_cmp_le_i32_e32 vcc, s22, v28
	s_cbranch_vccnz .LBB186_500
.LBB186_499:                            ;   Parent Loop BB186_497 Depth=1
                                        ; =>  This Inner Loop Header: Depth=2
	buffer_wbinvl1_vol
	global_load_dword v28, v16, s[18:19]
	s_waitcnt vmcnt(0)
	v_cmp_gt_i32_e32 vcc, s22, v28
	s_cbranch_vccnz .LBB186_499
.LBB186_500:                            ;   in Loop: Header=BB186_497 Depth=1
	s_or_b64 exec, exec, s[10:11]
	s_lshl_b32 s34, s22, 5
	buffer_wbinvl1_vol
	s_barrier
	s_and_saveexec_b64 s[10:11], s[12:13]
	s_cbranch_execz .LBB186_505
; %bb.501:                              ;   in Loop: Header=BB186_497 Depth=1
	v_or_b32_e32 v15, s34, v23
	v_cmp_le_i32_e32 vcc, s7, v15
	s_and_saveexec_b64 s[20:21], vcc
	s_xor_b64 s[20:21], exec, s[20:21]
; %bb.502:                              ;   in Loop: Header=BB186_497 Depth=1
	v_mov_b32_e32 v15, v16
	v_mov_b32_e32 v17, v16
	;; [unrolled: 1-line block ×3, first 2 shown]
	ds_write_b128 v24, v[15:18]
                                        ; implicit-def: $vgpr15
; %bb.503:                              ;   in Loop: Header=BB186_497 Depth=1
	s_andn2_saveexec_b64 s[20:21], s[20:21]
	s_cbranch_execz .LBB186_505
; %bb.504:                              ;   in Loop: Header=BB186_497 Depth=1
	v_mad_u64_u32 v[17:18], s[20:21], s24, v15, 0
	v_mad_u64_u32 v[18:19], s[20:21], s25, v15, v[18:19]
	v_mov_b32_e32 v15, s27
	v_lshlrev_b64 v[17:18], 4, v[17:18]
	v_add_co_u32_e32 v17, vcc, s26, v17
	v_addc_co_u32_e32 v18, vcc, v15, v18, vcc
	flat_load_dwordx4 v[17:20], v[17:18]
	s_waitcnt vmcnt(0) lgkmcnt(0)
	ds_write2_b64 v24, v[17:18], v[19:20] offset1:1
.LBB186_505:                            ;   in Loop: Header=BB186_497 Depth=1
	s_or_b64 exec, exec, s[10:11]
	v_add_u32_e32 v15, s34, v2
	v_lshlrev_b64 v[17:18], 4, v[15:16]
	s_cmp_lg_u32 s22, s23
	v_add_co_u32_e32 v17, vcc, v26, v17
	s_cselect_b64 s[10:11], -1, 0
	v_addc_co_u32_e32 v18, vcc, v27, v18, vcc
	v_cmp_gt_i32_e32 vcc, s7, v15
	v_cndmask_b32_e64 v19, 0, 1, s[10:11]
	s_and_b64 s[34:35], vcc, s[8:9]
	v_cmp_ne_u32_e64 s[10:11], 1, v19
	s_waitcnt lgkmcnt(0)
	s_barrier
	s_and_saveexec_b64 s[20:21], s[34:35]
	s_cbranch_execz .LBB186_511
; %bb.506:                              ;   in Loop: Header=BB186_497 Depth=1
	v_mov_b32_e32 v20, v8
	s_and_b64 vcc, exec, s[10:11]
	v_mov_b32_e32 v19, v7
	s_cbranch_vccnz .LBB186_508
; %bb.507:                              ;   in Loop: Header=BB186_497 Depth=1
	flat_load_dwordx2 v[19:20], v[17:18]
.LBB186_508:                            ;   in Loop: Header=BB186_497 Depth=1
	v_mov_b32_e32 v22, v10
	s_and_b64 vcc, exec, s[10:11]
	v_mov_b32_e32 v21, v9
	s_cbranch_vccnz .LBB186_510
; %bb.509:                              ;   in Loop: Header=BB186_497 Depth=1
	flat_load_dwordx2 v[21:22], v[17:18] offset:8
.LBB186_510:                            ;   in Loop: Header=BB186_497 Depth=1
	ds_read_b128 v[29:32], v25
	s_waitcnt vmcnt(0) lgkmcnt(0)
	v_mul_f64 v[33:34], v[21:22], v[31:32]
	v_mul_f64 v[21:22], v[21:22], v[29:30]
	v_fma_f64 v[29:30], v[19:20], v[29:30], v[33:34]
	v_fma_f64 v[19:20], v[19:20], v[31:32], -v[21:22]
	v_add_f64 v[13:14], v[13:14], v[29:30]
	v_add_f64 v[11:12], v[11:12], v[19:20]
.LBB186_511:                            ;   in Loop: Header=BB186_497 Depth=1
	s_or_b64 exec, exec, s[20:21]
	v_add_u32_e32 v15, 16, v15
	v_cmp_gt_i32_e32 vcc, s7, v15
	s_and_b64 s[34:35], vcc, s[8:9]
	s_and_saveexec_b64 s[20:21], s[34:35]
	s_cbranch_execz .LBB186_496
; %bb.512:                              ;   in Loop: Header=BB186_497 Depth=1
	v_mov_b32_e32 v20, v4
	s_and_b64 vcc, exec, s[10:11]
	v_mov_b32_e32 v19, v3
	s_cbranch_vccnz .LBB186_514
; %bb.513:                              ;   in Loop: Header=BB186_497 Depth=1
	flat_load_dwordx2 v[19:20], v[17:18] offset:256
.LBB186_514:                            ;   in Loop: Header=BB186_497 Depth=1
	v_mov_b32_e32 v22, v6
	s_and_b64 vcc, exec, s[10:11]
	v_mov_b32_e32 v21, v5
	s_cbranch_vccnz .LBB186_495
; %bb.515:                              ;   in Loop: Header=BB186_497 Depth=1
	flat_load_dwordx2 v[21:22], v[17:18] offset:264
	s_branch .LBB186_495
.LBB186_516:
	s_xor_b64 s[4:5], s[30:31], -1
	v_lshlrev_b32_e32 v1, 4, v1
	v_mov_b32_e32 v15, v11
	v_mov_b32_e32 v16, v12
	ds_write_b128 v1, v[13:16] offset:16384
	s_waitcnt lgkmcnt(0)
	s_barrier
	s_and_saveexec_b64 s[6:7], s[2:3]
	s_cbranch_execz .LBB186_518
; %bb.517:
	v_lshlrev_b32_e32 v15, 4, v0
	ds_read_b128 v[3:6], v15 offset:16896
	ds_read_b128 v[7:10], v15 offset:17408
	s_waitcnt lgkmcnt(1)
	v_add_f64 v[3:4], v[13:14], v[3:4]
	v_add_f64 v[5:6], v[11:12], v[5:6]
	s_waitcnt lgkmcnt(0)
	v_add_f64 v[11:12], v[3:4], v[7:8]
	v_add_f64 v[13:14], v[5:6], v[9:10]
	ds_read_b128 v[3:6], v15 offset:17920
	ds_read_b128 v[7:10], v15 offset:18432
	s_waitcnt lgkmcnt(1)
	v_add_f64 v[3:4], v[11:12], v[3:4]
	v_add_f64 v[5:6], v[13:14], v[5:6]
	s_waitcnt lgkmcnt(0)
	v_add_f64 v[11:12], v[3:4], v[7:8]
	v_add_f64 v[13:14], v[5:6], v[9:10]
	;; [unrolled: 8-line block ×7, first 2 shown]
	ds_read_b128 v[3:6], v15 offset:24064
	s_waitcnt lgkmcnt(0)
	v_add_f64 v[3:4], v[7:8], v[3:4]
	v_add_f64 v[5:6], v[9:10], v[5:6]
	v_xor_b32_e32 v4, 0x80000000, v4
	v_xor_b32_e32 v6, 0x80000000, v6
	v_cndmask_b32_e64 v13, v3, 0, s[16:17]
	v_cndmask_b32_e64 v14, v4, 0, s[16:17]
	;; [unrolled: 1-line block ×4, first 2 shown]
.LBB186_518:
	s_or_b64 exec, exec, s[6:7]
	s_and_b64 vcc, exec, s[0:1]
	s_cbranch_vccnz .LBB186_527
; %bb.519:
	v_mov_b32_e32 v3, 0x6000
	v_lshl_or_b32 v7, v2, 4, v3
	s_and_saveexec_b64 s[0:1], s[2:3]
; %bb.520:
	v_lshl_add_u32 v3, v0, 4, v7
	v_mov_b32_e32 v15, v11
	v_mov_b32_e32 v16, v12
	ds_write_b128 v3, v[13:16]
; %bb.521:
	s_or_b64 exec, exec, s[0:1]
	v_mov_b32_e32 v3, 0
	v_mov_b32_e32 v5, 0
	;; [unrolled: 1-line block ×4, first 2 shown]
	v_cmp_le_u32_e32 vcc, v2, v0
	s_waitcnt lgkmcnt(0)
	s_barrier
	s_and_saveexec_b64 s[0:1], vcc
	s_cbranch_execz .LBB186_523
; %bb.522:
	ds_read_b128 v[3:6], v7
	ds_read_b128 v[15:18], v1
	s_waitcnt lgkmcnt(0)
	v_mul_f64 v[8:9], v[5:6], v[17:18]
	v_mul_f64 v[17:18], v[3:4], v[17:18]
	v_fma_f64 v[3:4], v[3:4], v[15:16], -v[8:9]
	v_fma_f64 v[5:6], v[5:6], v[15:16], v[17:18]
	v_add_f64 v[3:4], v[3:4], 0
	v_add_f64 v[5:6], v[5:6], 0
.LBB186_523:
	s_or_b64 exec, exec, s[0:1]
	v_add_u32_e32 v2, 16, v2
	v_add_u32_e32 v8, 0x4000, v1
	v_cmp_ge_u32_e32 vcc, v0, v2
	s_and_saveexec_b64 s[0:1], vcc
	s_cbranch_execz .LBB186_525
; %bb.524:
	ds_read_b128 v[15:18], v7 offset:256
	ds_read_b128 v[19:22], v1 offset:8192
	s_waitcnt lgkmcnt(0)
	v_mul_f64 v[1:2], v[17:18], v[21:22]
	v_mul_f64 v[9:10], v[15:16], v[21:22]
	v_fma_f64 v[1:2], v[15:16], v[19:20], -v[1:2]
	v_fma_f64 v[9:10], v[17:18], v[19:20], v[9:10]
	v_add_f64 v[3:4], v[3:4], v[1:2]
	v_add_f64 v[5:6], v[5:6], v[9:10]
.LBB186_525:
	s_or_b64 exec, exec, s[0:1]
	s_mov_b64 s[6:7], 0
	s_mov_b64 s[0:1], 0
	ds_write_b128 v8, v[3:6]
	s_waitcnt lgkmcnt(0)
	s_barrier
                                        ; implicit-def: $vgpr7_vgpr8
                                        ; implicit-def: $vgpr9_vgpr10
                                        ; implicit-def: $vgpr1_vgpr2
	s_and_saveexec_b64 s[8:9], s[2:3]
	s_cbranch_execz .LBB186_540
; %bb.526:
	v_lshlrev_b32_e32 v19, 4, v0
	ds_read_b128 v[7:10], v19 offset:16896
	ds_read_b128 v[15:18], v19 offset:17408
	s_mov_b64 s[0:1], exec
	s_waitcnt lgkmcnt(1)
	v_add_f64 v[1:2], v[3:4], v[7:8]
	v_add_f64 v[3:4], v[5:6], v[9:10]
	s_waitcnt lgkmcnt(0)
	v_add_f64 v[9:10], v[1:2], v[15:16]
	v_add_f64 v[15:16], v[3:4], v[17:18]
	ds_read_b128 v[1:4], v19 offset:17920
	ds_read_b128 v[5:8], v19 offset:18432
	s_waitcnt lgkmcnt(1)
	v_add_f64 v[1:2], v[9:10], v[1:2]
	v_add_f64 v[3:4], v[15:16], v[3:4]
	s_waitcnt lgkmcnt(0)
	v_add_f64 v[9:10], v[1:2], v[5:6]
	v_add_f64 v[15:16], v[3:4], v[7:8]
	ds_read_b128 v[1:4], v19 offset:18944
	ds_read_b128 v[5:8], v19 offset:19456
	;; [unrolled: 8-line block ×6, first 2 shown]
	s_waitcnt lgkmcnt(1)
	v_add_f64 v[1:2], v[9:10], v[1:2]
	v_add_f64 v[3:4], v[15:16], v[3:4]
	v_add_u32_e32 v15, s33, v23
	s_waitcnt lgkmcnt(0)
	v_add_f64 v[9:10], v[1:2], v[5:6]
	v_add_f64 v[7:8], v[3:4], v[7:8]
	ds_read_b128 v[3:6], v19 offset:24064
	v_mad_u64_u32 v[1:2], s[10:11], s24, v15, 0
	s_waitcnt lgkmcnt(0)
	v_add_f64 v[9:10], v[9:10], v[3:4]
	v_add_f64 v[7:8], v[7:8], v[5:6]
	v_mad_u64_u32 v[2:3], s[10:11], s25, v15, v[2:3]
	s_or_b64 exec, exec, s[8:9]
	s_and_b64 vcc, exec, s[6:7]
	s_cbranch_vccnz .LBB186_528
	s_branch .LBB186_541
.LBB186_527:
	s_mov_b64 s[0:1], 0
                                        ; implicit-def: $vgpr7_vgpr8
                                        ; implicit-def: $vgpr9_vgpr10
                                        ; implicit-def: $vgpr1_vgpr2
	s_cbranch_execz .LBB186_541
.LBB186_528:
	v_mul_u32_u24_e32 v1, 0x210, v0
	v_lshlrev_b32_e32 v2, 9, v0
	v_sub_u32_e32 v2, v1, v2
	s_mov_b32 s8, 0
	v_mov_b32_e32 v3, 0
	v_mov_b32_e32 v4, v0
	s_branch .LBB186_530
.LBB186_529:                            ;   in Loop: Header=BB186_530 Depth=1
	s_or_b64 exec, exec, s[6:7]
	s_add_i32 s8, s8, 2
	v_add_u32_e32 v2, 0x400, v2
	s_cmp_lg_u32 s8, 32
	v_add_u32_e32 v4, -2, v4
	s_barrier
	s_cbranch_scc0 .LBB186_538
.LBB186_530:                            ; =>This Inner Loop Header: Depth=1
	v_cmp_eq_u32_e32 vcc, 0, v4
	s_and_b64 s[10:11], s[2:3], vcc
	s_and_saveexec_b64 s[6:7], s[10:11]
	s_cbranch_execz .LBB186_532
; %bb.531:                              ;   in Loop: Header=BB186_530 Depth=1
	ds_read_b128 v[5:8], v1
	s_waitcnt lgkmcnt(0)
	v_mul_f64 v[9:10], v[11:12], v[7:8]
	v_mul_f64 v[7:8], v[13:14], v[7:8]
	v_fma_f64 v[9:10], v[13:14], v[5:6], -v[9:10]
	v_fma_f64 v[11:12], v[11:12], v[5:6], v[7:8]
	v_mov_b32_e32 v14, v10
	v_mov_b32_e32 v13, v9
	ds_write_b128 v3, v[9:12] offset:25088
.LBB186_532:                            ;   in Loop: Header=BB186_530 Depth=1
	s_or_b64 exec, exec, s[6:7]
	v_cmp_lt_u32_e32 vcc, s8, v0
	s_and_b64 s[10:11], s[2:3], vcc
	s_waitcnt lgkmcnt(0)
	s_barrier
	s_and_saveexec_b64 s[6:7], s[10:11]
	s_cbranch_execz .LBB186_534
; %bb.533:                              ;   in Loop: Header=BB186_530 Depth=1
	ds_read_b128 v[5:8], v3 offset:25088
	ds_read_b128 v[15:18], v2
	s_waitcnt lgkmcnt(0)
	v_mul_f64 v[9:10], v[7:8], v[17:18]
	v_mul_f64 v[17:18], v[5:6], v[17:18]
	v_fma_f64 v[5:6], v[5:6], v[15:16], -v[9:10]
	v_fma_f64 v[7:8], v[7:8], v[15:16], v[17:18]
	v_add_f64 v[13:14], v[13:14], v[5:6]
	v_add_f64 v[11:12], v[11:12], v[7:8]
.LBB186_534:                            ;   in Loop: Header=BB186_530 Depth=1
	s_or_b64 exec, exec, s[6:7]
	s_or_b32 s9, s8, 1
	v_cmp_eq_u32_e32 vcc, s9, v0
	s_and_b64 s[10:11], s[2:3], vcc
	s_barrier
	s_and_saveexec_b64 s[6:7], s[10:11]
	s_cbranch_execz .LBB186_536
; %bb.535:                              ;   in Loop: Header=BB186_530 Depth=1
	ds_read_b128 v[5:8], v1
	s_waitcnt lgkmcnt(0)
	v_mul_f64 v[9:10], v[11:12], v[7:8]
	v_mul_f64 v[7:8], v[13:14], v[7:8]
	v_fma_f64 v[9:10], v[13:14], v[5:6], -v[9:10]
	v_fma_f64 v[11:12], v[11:12], v[5:6], v[7:8]
	v_mov_b32_e32 v14, v10
	v_mov_b32_e32 v13, v9
	ds_write_b128 v3, v[9:12] offset:25088
.LBB186_536:                            ;   in Loop: Header=BB186_530 Depth=1
	s_or_b64 exec, exec, s[6:7]
	v_cmp_lt_u32_e32 vcc, s9, v0
	s_and_b64 s[10:11], s[2:3], vcc
	s_waitcnt lgkmcnt(0)
	s_barrier
	s_and_saveexec_b64 s[6:7], s[10:11]
	s_cbranch_execz .LBB186_529
; %bb.537:                              ;   in Loop: Header=BB186_530 Depth=1
	ds_read_b128 v[5:8], v3 offset:25088
	ds_read_b128 v[15:18], v2 offset:512
	s_waitcnt lgkmcnt(0)
	v_mul_f64 v[9:10], v[7:8], v[17:18]
	v_mul_f64 v[17:18], v[5:6], v[17:18]
	v_fma_f64 v[5:6], v[5:6], v[15:16], -v[9:10]
	v_fma_f64 v[7:8], v[7:8], v[15:16], v[17:18]
	v_add_f64 v[13:14], v[13:14], v[5:6]
	v_add_f64 v[11:12], v[11:12], v[7:8]
	s_branch .LBB186_529
.LBB186_538:
	s_and_b64 vcc, exec, s[4:5]
	s_cbranch_vccz .LBB186_542
; %bb.539:
	s_and_b64 s[4:5], s[2:3], exec
	s_cbranch_execz .LBB186_543
	s_branch .LBB186_544
.LBB186_540:
	s_or_b64 exec, exec, s[8:9]
	s_and_b64 vcc, exec, s[6:7]
	s_cbranch_vccnz .LBB186_528
.LBB186_541:
	v_mov_b32_e32 v12, v8
	v_mov_b32_e32 v14, v10
	v_mov_b32_e32 v11, v7
	v_mov_b32_e32 v13, v9
	s_and_saveexec_b64 s[2:3], s[0:1]
	s_cbranch_execnz .LBB186_547
	s_branch .LBB186_548
.LBB186_542:
	s_mov_b64 s[4:5], 0
.LBB186_543:
	v_cmp_gt_i32_e32 vcc, s93, v0
	s_and_b64 s[2:3], s[2:3], vcc
	s_andn2_b64 s[4:5], s[4:5], exec
	s_and_b64 s[2:3], s[2:3], exec
	s_or_b64 s[4:5], s[4:5], s[2:3]
.LBB186_544:
                                        ; implicit-def: $vgpr1_vgpr2
	s_and_saveexec_b64 s[2:3], s[4:5]
	s_cbranch_execz .LBB186_546
; %bb.545:
	v_mov_b32_e32 v0, s92
	v_add_co_u32_e32 v1, vcc, s33, v23
	v_addc_co_u32_e32 v0, vcc, 0, v0, vcc
	v_mul_lo_u32 v0, v0, s24
	v_mul_lo_u32 v3, v1, s25
	v_mad_u64_u32 v[1:2], s[4:5], v1, s24, 0
	s_or_b64 s[0:1], s[0:1], exec
	v_add3_u32 v2, v2, v3, v0
.LBB186_546:
	s_or_b64 exec, exec, s[2:3]
	s_and_saveexec_b64 s[2:3], s[0:1]
	s_cbranch_execz .LBB186_548
.LBB186_547:
	v_lshlrev_b64 v[0:1], 4, v[1:2]
	v_mov_b32_e32 v2, s27
	v_add_co_u32_e32 v0, vcc, s26, v0
	v_addc_co_u32_e32 v1, vcc, v2, v1, vcc
	v_mov_b32_e32 v15, v11
	v_mov_b32_e32 v16, v12
	flat_store_dwordx4 v[0:1], v[13:16]
.LBB186_548:
	s_or_b64 exec, exec, s[2:3]
	v_cmp_eq_u32_e32 vcc, 0, v23
	s_waitcnt vmcnt(0) lgkmcnt(0)
	buffer_wbinvl1_vol
	s_barrier
	s_and_saveexec_b64 s[0:1], vcc
	s_cbranch_execz .LBB186_550
; %bb.549:
	s_lshl_b64 s[2:3], s[28:29], 2
	s_add_u32 s2, s14, s2
	s_addc_u32 s3, s15, s3
	v_mov_b32_e32 v0, 0
	global_load_dword v1, v0, s[2:3]
	s_waitcnt vmcnt(0)
	v_add_u32_e32 v1, 1, v1
	global_store_dword v0, v1, s[2:3]
.LBB186_550:
	s_or_b64 exec, exec, s[0:1]
	s_waitcnt vmcnt(0)
	buffer_wbinvl1_vol
	s_endpgm
.LBB186_551:
	ds_read_b128 v[24:27], v23 offset:14800
	ds_read_b128 v[28:31], v22 offset:15232
	s_waitcnt lgkmcnt(0)
	v_mul_f64 v[32:33], v[26:27], v[30:31]
	v_mul_f64 v[30:31], v[24:25], v[30:31]
	v_fma_f64 v[24:25], v[24:25], v[28:29], -v[32:33]
	v_fma_f64 v[26:27], v[26:27], v[28:29], v[30:31]
	v_add_f64 v[11:12], v[11:12], v[24:25]
	v_add_f64 v[13:14], v[13:14], v[26:27]
	s_or_b64 exec, exec, s[18:19]
	v_cmp_gt_u32_e64 s[12:13], 8, v18
	s_and_saveexec_b64 s[18:19], s[12:13]
	s_cbranch_execz .LBB186_89
.LBB186_552:
	ds_read_b128 v[23:26], v23 offset:14816
	ds_read_b128 v[27:30], v22 offset:15744
	s_waitcnt lgkmcnt(0)
	v_mul_f64 v[31:32], v[25:26], v[29:30]
	v_mul_f64 v[29:30], v[23:24], v[29:30]
	v_fma_f64 v[22:23], v[23:24], v[27:28], -v[31:32]
	v_fma_f64 v[24:25], v[25:26], v[27:28], v[29:30]
	v_add_f64 v[11:12], v[11:12], v[22:23]
	v_add_f64 v[13:14], v[13:14], v[24:25]
	s_or_b64 exec, exec, s[18:19]
	v_cmp_gt_u32_e64 s[12:13], 4, v18
	s_and_saveexec_b64 s[18:19], s[12:13]
	s_cbranch_execnz .LBB186_90
	s_branch .LBB186_91
.LBB186_553:
	ds_read_b128 v[27:30], v26 offset:12688
	ds_read_b128 v[31:34], v25 offset:13056
	s_waitcnt lgkmcnt(0)
	v_mul_f64 v[35:36], v[29:30], v[33:34]
	v_mul_f64 v[33:34], v[27:28], v[33:34]
	v_fma_f64 v[27:28], v[27:28], v[31:32], -v[35:36]
	v_fma_f64 v[29:30], v[29:30], v[31:32], v[33:34]
	v_add_f64 v[11:12], v[11:12], v[27:28]
	v_add_f64 v[13:14], v[13:14], v[29:30]
	s_or_b64 exec, exec, s[58:59]
	v_cmp_gt_u32_e64 s[14:15], 48, v18
	s_and_saveexec_b64 s[58:59], s[14:15]
	s_cbranch_execz .LBB186_131
.LBB186_554:
	ds_read_b128 v[27:30], v26 offset:12704
	ds_read_b128 v[31:34], v25 offset:13568
	s_waitcnt lgkmcnt(0)
	v_mul_f64 v[35:36], v[29:30], v[33:34]
	v_mul_f64 v[33:34], v[27:28], v[33:34]
	v_fma_f64 v[27:28], v[27:28], v[31:32], -v[35:36]
	v_fma_f64 v[29:30], v[29:30], v[31:32], v[33:34]
	v_add_f64 v[11:12], v[11:12], v[27:28]
	v_add_f64 v[13:14], v[13:14], v[29:30]
	s_or_b64 exec, exec, s[58:59]
	v_cmp_gt_u32_e64 s[14:15], 40, v18
	s_and_saveexec_b64 s[58:59], s[14:15]
	s_cbranch_execz .LBB186_132
.LBB186_555:
	ds_read_b128 v[27:30], v26 offset:12720
	ds_read_b128 v[31:34], v25 offset:14080
	s_waitcnt lgkmcnt(0)
	v_mul_f64 v[35:36], v[29:30], v[33:34]
	v_mul_f64 v[33:34], v[27:28], v[33:34]
	v_fma_f64 v[27:28], v[27:28], v[31:32], -v[35:36]
	v_fma_f64 v[29:30], v[29:30], v[31:32], v[33:34]
	v_add_f64 v[11:12], v[11:12], v[27:28]
	v_add_f64 v[13:14], v[13:14], v[29:30]
	s_or_b64 exec, exec, s[58:59]
	v_cmp_gt_u32_e64 s[14:15], 32, v18
	s_and_saveexec_b64 s[58:59], s[14:15]
	s_cbranch_execz .LBB186_133
.LBB186_556:
	ds_read_b128 v[27:30], v26 offset:12736
	ds_read_b128 v[31:34], v25 offset:14592
	s_waitcnt lgkmcnt(0)
	v_mul_f64 v[35:36], v[29:30], v[33:34]
	v_mul_f64 v[33:34], v[27:28], v[33:34]
	v_fma_f64 v[27:28], v[27:28], v[31:32], -v[35:36]
	v_fma_f64 v[29:30], v[29:30], v[31:32], v[33:34]
	v_add_f64 v[11:12], v[11:12], v[27:28]
	v_add_f64 v[13:14], v[13:14], v[29:30]
	s_or_b64 exec, exec, s[58:59]
	v_cmp_gt_u32_e64 s[14:15], 24, v18
	s_and_saveexec_b64 s[58:59], s[14:15]
	s_cbranch_execz .LBB186_134
.LBB186_557:
	ds_read_b128 v[27:30], v26 offset:12752
	ds_read_b128 v[31:34], v25 offset:15104
	s_waitcnt lgkmcnt(0)
	v_mul_f64 v[35:36], v[29:30], v[33:34]
	v_mul_f64 v[33:34], v[27:28], v[33:34]
	v_fma_f64 v[27:28], v[27:28], v[31:32], -v[35:36]
	v_fma_f64 v[29:30], v[29:30], v[31:32], v[33:34]
	v_add_f64 v[11:12], v[11:12], v[27:28]
	v_add_f64 v[13:14], v[13:14], v[29:30]
	s_or_b64 exec, exec, s[58:59]
	s_and_saveexec_b64 s[14:15], s[16:17]
	s_cbranch_execz .LBB186_135
.LBB186_558:
	ds_read_b128 v[26:29], v26 offset:12768
	ds_read_b128 v[30:33], v25 offset:15616
	s_waitcnt lgkmcnt(0)
	v_mul_f64 v[34:35], v[28:29], v[32:33]
	v_mul_f64 v[32:33], v[26:27], v[32:33]
	v_fma_f64 v[25:26], v[26:27], v[30:31], -v[34:35]
	v_fma_f64 v[27:28], v[28:29], v[30:31], v[32:33]
	v_add_f64 v[11:12], v[11:12], v[25:26]
	v_add_f64 v[13:14], v[13:14], v[27:28]
	s_or_b64 exec, exec, s[14:15]
	v_cmp_gt_u32_e64 s[14:15], 8, v18
	s_and_saveexec_b64 s[58:59], s[14:15]
	s_cbranch_execnz .LBB186_136
	s_branch .LBB186_137
.LBB186_559:
	ds_read_b128 v[27:30], v26 offset:10576
	ds_read_b128 v[31:34], v25 offset:11008
	s_waitcnt lgkmcnt(0)
	v_mul_f64 v[35:36], v[29:30], v[33:34]
	v_mul_f64 v[33:34], v[27:28], v[33:34]
	v_fma_f64 v[27:28], v[27:28], v[31:32], -v[35:36]
	v_fma_f64 v[29:30], v[29:30], v[31:32], v[33:34]
	v_add_f64 v[11:12], v[11:12], v[27:28]
	v_add_f64 v[13:14], v[13:14], v[29:30]
	s_or_b64 exec, exec, s[18:19]
	v_cmp_gt_u32_e64 s[12:13], 8, v18
	s_and_saveexec_b64 s[18:19], s[12:13]
	s_cbranch_execz .LBB186_193
.LBB186_560:
	ds_read_b128 v[26:29], v26 offset:10592
	ds_read_b128 v[30:33], v25 offset:11520
	s_waitcnt lgkmcnt(0)
	v_mul_f64 v[34:35], v[28:29], v[32:33]
	v_mul_f64 v[32:33], v[26:27], v[32:33]
	v_fma_f64 v[25:26], v[26:27], v[30:31], -v[34:35]
	v_fma_f64 v[27:28], v[28:29], v[30:31], v[32:33]
	v_add_f64 v[11:12], v[11:12], v[25:26]
	v_add_f64 v[13:14], v[13:14], v[27:28]
	s_or_b64 exec, exec, s[18:19]
	v_cmp_gt_u32_e64 s[12:13], 4, v18
	s_and_saveexec_b64 s[18:19], s[12:13]
	s_cbranch_execnz .LBB186_194
	s_branch .LBB186_195
.LBB186_561:
	ds_read_b128 v[30:33], v29 offset:8624
	ds_read_b128 v[34:37], v28 offset:13824
	s_waitcnt lgkmcnt(0)
	v_mul_f64 v[38:39], v[32:33], v[36:37]
	v_mul_f64 v[36:37], v[30:31], v[36:37]
	v_fma_f64 v[30:31], v[30:31], v[34:35], -v[38:39]
	v_fma_f64 v[32:33], v[32:33], v[34:35], v[36:37]
	v_add_f64 v[11:12], v[11:12], v[30:31]
	v_add_f64 v[13:14], v[13:14], v[32:33]
	s_or_b64 exec, exec, s[90:91]
	s_and_saveexec_b64 s[18:19], s[8:9]
	s_cbranch_execz .LBB186_255
.LBB186_562:
	ds_read_b128 v[30:33], v29 offset:8640
	ds_read_b128 v[34:37], v28 offset:14336
	s_waitcnt lgkmcnt(0)
	v_mul_f64 v[38:39], v[32:33], v[36:37]
	v_mul_f64 v[36:37], v[30:31], v[36:37]
	v_fma_f64 v[30:31], v[30:31], v[34:35], -v[38:39]
	v_fma_f64 v[32:33], v[32:33], v[34:35], v[36:37]
	v_add_f64 v[11:12], v[11:12], v[30:31]
	v_add_f64 v[13:14], v[13:14], v[32:33]
	s_or_b64 exec, exec, s[18:19]
	v_cmp_gt_u32_e64 s[18:19], 48, v18
	s_and_saveexec_b64 s[90:91], s[18:19]
	s_cbranch_execz .LBB186_256
.LBB186_563:
	ds_read_b128 v[30:33], v29 offset:8656
	ds_read_b128 v[34:37], v28 offset:14848
	s_waitcnt lgkmcnt(0)
	v_mul_f64 v[38:39], v[32:33], v[36:37]
	v_mul_f64 v[36:37], v[30:31], v[36:37]
	v_fma_f64 v[30:31], v[30:31], v[34:35], -v[38:39]
	v_fma_f64 v[32:33], v[32:33], v[34:35], v[36:37]
	v_add_f64 v[11:12], v[11:12], v[30:31]
	v_add_f64 v[13:14], v[13:14], v[32:33]
	s_or_b64 exec, exec, s[90:91]
	v_cmp_gt_u32_e64 s[18:19], 32, v18
	s_and_saveexec_b64 s[90:91], s[18:19]
	s_cbranch_execz .LBB186_257
.LBB186_564:
	ds_read_b128 v[29:32], v29 offset:8672
	ds_read_b128 v[33:36], v28 offset:15360
	s_waitcnt lgkmcnt(0)
	v_mul_f64 v[37:38], v[31:32], v[35:36]
	v_mul_f64 v[35:36], v[29:30], v[35:36]
	v_fma_f64 v[28:29], v[29:30], v[33:34], -v[37:38]
	v_fma_f64 v[30:31], v[31:32], v[33:34], v[35:36]
	v_add_f64 v[11:12], v[11:12], v[28:29]
	v_add_f64 v[13:14], v[13:14], v[30:31]
	s_or_b64 exec, exec, s[90:91]
	v_cmp_gt_u32_e64 s[18:19], 16, v18
	s_and_saveexec_b64 s[90:91], s[18:19]
	s_cbranch_execnz .LBB186_258
	s_branch .LBB186_259
.LBB186_565:
	ds_read_b128 v[27:30], v26 offset:6352
	ds_read_b128 v[31:34], v25 offset:6784
	s_waitcnt lgkmcnt(0)
	v_mul_f64 v[35:36], v[29:30], v[33:34]
	v_mul_f64 v[33:34], v[27:28], v[33:34]
	v_fma_f64 v[27:28], v[27:28], v[31:32], -v[35:36]
	v_fma_f64 v[29:30], v[29:30], v[31:32], v[33:34]
	v_add_f64 v[11:12], v[11:12], v[27:28]
	v_add_f64 v[13:14], v[13:14], v[29:30]
	s_or_b64 exec, exec, s[14:15]
	v_cmp_gt_u32_e64 s[10:11], 8, v18
	s_and_saveexec_b64 s[14:15], s[10:11]
	s_cbranch_execz .LBB186_347
.LBB186_566:
	ds_read_b128 v[26:29], v26 offset:6368
	ds_read_b128 v[30:33], v25 offset:7296
	s_waitcnt lgkmcnt(0)
	v_mul_f64 v[34:35], v[28:29], v[32:33]
	v_mul_f64 v[32:33], v[26:27], v[32:33]
	v_fma_f64 v[25:26], v[26:27], v[30:31], -v[34:35]
	v_fma_f64 v[27:28], v[28:29], v[30:31], v[32:33]
	v_add_f64 v[11:12], v[11:12], v[25:26]
	v_add_f64 v[13:14], v[13:14], v[27:28]
	s_or_b64 exec, exec, s[14:15]
	v_cmp_gt_u32_e64 s[10:11], 4, v18
	s_and_saveexec_b64 s[14:15], s[10:11]
	s_cbranch_execnz .LBB186_348
	s_branch .LBB186_349
.LBB186_567:
	ds_read_b128 v[27:30], v26 offset:4240
	ds_read_b128 v[31:34], v25 offset:4608
	s_waitcnt lgkmcnt(0)
	v_mul_f64 v[35:36], v[29:30], v[33:34]
	v_mul_f64 v[33:34], v[27:28], v[33:34]
	v_fma_f64 v[27:28], v[27:28], v[31:32], -v[35:36]
	v_fma_f64 v[29:30], v[29:30], v[31:32], v[33:34]
	v_add_f64 v[11:12], v[11:12], v[27:28]
	v_add_f64 v[13:14], v[13:14], v[29:30]
	s_or_b64 exec, exec, s[14:15]
	v_cmp_gt_u32_e64 s[10:11], 48, v18
	s_and_saveexec_b64 s[14:15], s[10:11]
	s_cbranch_execz .LBB186_389
.LBB186_568:
	ds_read_b128 v[27:30], v26 offset:4256
	ds_read_b128 v[31:34], v25 offset:5120
	s_waitcnt lgkmcnt(0)
	v_mul_f64 v[35:36], v[29:30], v[33:34]
	v_mul_f64 v[33:34], v[27:28], v[33:34]
	v_fma_f64 v[27:28], v[27:28], v[31:32], -v[35:36]
	v_fma_f64 v[29:30], v[29:30], v[31:32], v[33:34]
	v_add_f64 v[11:12], v[11:12], v[27:28]
	v_add_f64 v[13:14], v[13:14], v[29:30]
	s_or_b64 exec, exec, s[14:15]
	v_cmp_gt_u32_e64 s[10:11], 40, v18
	s_and_saveexec_b64 s[14:15], s[10:11]
	s_cbranch_execz .LBB186_390
.LBB186_569:
	ds_read_b128 v[27:30], v26 offset:4272
	ds_read_b128 v[31:34], v25 offset:5632
	s_waitcnt lgkmcnt(0)
	v_mul_f64 v[35:36], v[29:30], v[33:34]
	v_mul_f64 v[33:34], v[27:28], v[33:34]
	v_fma_f64 v[27:28], v[27:28], v[31:32], -v[35:36]
	v_fma_f64 v[29:30], v[29:30], v[31:32], v[33:34]
	v_add_f64 v[11:12], v[11:12], v[27:28]
	v_add_f64 v[13:14], v[13:14], v[29:30]
	s_or_b64 exec, exec, s[14:15]
	v_cmp_gt_u32_e64 s[10:11], 32, v18
	s_and_saveexec_b64 s[14:15], s[10:11]
	s_cbranch_execz .LBB186_391
.LBB186_570:
	ds_read_b128 v[27:30], v26 offset:4288
	ds_read_b128 v[31:34], v25 offset:6144
	s_waitcnt lgkmcnt(0)
	v_mul_f64 v[35:36], v[29:30], v[33:34]
	v_mul_f64 v[33:34], v[27:28], v[33:34]
	v_fma_f64 v[27:28], v[27:28], v[31:32], -v[35:36]
	v_fma_f64 v[29:30], v[29:30], v[31:32], v[33:34]
	v_add_f64 v[11:12], v[11:12], v[27:28]
	v_add_f64 v[13:14], v[13:14], v[29:30]
	s_or_b64 exec, exec, s[14:15]
	v_cmp_gt_u32_e64 s[10:11], 24, v18
	s_and_saveexec_b64 s[14:15], s[10:11]
	s_cbranch_execz .LBB186_392
.LBB186_571:
	ds_read_b128 v[27:30], v26 offset:4304
	ds_read_b128 v[31:34], v25 offset:6656
	s_waitcnt lgkmcnt(0)
	v_mul_f64 v[35:36], v[29:30], v[33:34]
	v_mul_f64 v[33:34], v[27:28], v[33:34]
	v_fma_f64 v[27:28], v[27:28], v[31:32], -v[35:36]
	v_fma_f64 v[29:30], v[29:30], v[31:32], v[33:34]
	v_add_f64 v[11:12], v[11:12], v[27:28]
	v_add_f64 v[13:14], v[13:14], v[29:30]
	s_or_b64 exec, exec, s[14:15]
	s_and_saveexec_b64 s[10:11], s[16:17]
	s_cbranch_execz .LBB186_393
.LBB186_572:
	ds_read_b128 v[26:29], v26 offset:4320
	ds_read_b128 v[30:33], v25 offset:7168
	s_waitcnt lgkmcnt(0)
	v_mul_f64 v[34:35], v[28:29], v[32:33]
	v_mul_f64 v[32:33], v[26:27], v[32:33]
	v_fma_f64 v[25:26], v[26:27], v[30:31], -v[34:35]
	v_fma_f64 v[27:28], v[28:29], v[30:31], v[32:33]
	v_add_f64 v[11:12], v[11:12], v[25:26]
	v_add_f64 v[13:14], v[13:14], v[27:28]
	s_or_b64 exec, exec, s[10:11]
	v_cmp_gt_u32_e64 s[10:11], 8, v18
	s_and_saveexec_b64 s[14:15], s[10:11]
	s_cbranch_execnz .LBB186_394
	s_branch .LBB186_395
.LBB186_573:
	ds_read_b128 v[24:27], v23 offset:2128
	ds_read_b128 v[28:31], v22 offset:2560
	s_waitcnt lgkmcnt(0)
	v_mul_f64 v[32:33], v[26:27], v[30:31]
	v_mul_f64 v[30:31], v[24:25], v[30:31]
	v_fma_f64 v[24:25], v[24:25], v[28:29], -v[32:33]
	v_fma_f64 v[26:27], v[26:27], v[28:29], v[30:31]
	v_add_f64 v[11:12], v[11:12], v[24:25]
	v_add_f64 v[13:14], v[13:14], v[26:27]
	s_or_b64 exec, exec, s[12:13]
	v_cmp_gt_u32_e64 s[8:9], 8, v18
	s_and_saveexec_b64 s[12:13], s[8:9]
	s_cbranch_execz .LBB186_451
.LBB186_574:
	ds_read_b128 v[23:26], v23 offset:2144
	ds_read_b128 v[27:30], v22 offset:3072
	s_waitcnt lgkmcnt(0)
	v_mul_f64 v[31:32], v[25:26], v[29:30]
	v_mul_f64 v[29:30], v[23:24], v[29:30]
	v_fma_f64 v[22:23], v[23:24], v[27:28], -v[31:32]
	v_fma_f64 v[24:25], v[25:26], v[27:28], v[29:30]
	v_add_f64 v[11:12], v[11:12], v[22:23]
	v_add_f64 v[13:14], v[13:14], v[24:25]
	s_or_b64 exec, exec, s[12:13]
	v_cmp_gt_u32_e64 s[8:9], 4, v18
	s_and_saveexec_b64 s[12:13], s[8:9]
	s_cbranch_execnz .LBB186_452
	s_branch .LBB186_453
	.section	.rodata,"a",@progbits
	.p2align	6, 0x0
	.amdhsa_kernel _ZL19rocblas_trsv_deviceILi32ELi16ELb0ELb1ELb1ELb0E19rocblas_complex_numIdES1_PKPKS1_PKPS1_EviT7_lllT6_T8_lllPii
		.amdhsa_group_segment_fixed_size 25104
		.amdhsa_private_segment_fixed_size 0
		.amdhsa_kernarg_size 360
		.amdhsa_user_sgpr_count 6
		.amdhsa_user_sgpr_private_segment_buffer 1
		.amdhsa_user_sgpr_dispatch_ptr 0
		.amdhsa_user_sgpr_queue_ptr 0
		.amdhsa_user_sgpr_kernarg_segment_ptr 1
		.amdhsa_user_sgpr_dispatch_id 0
		.amdhsa_user_sgpr_flat_scratch_init 0
		.amdhsa_user_sgpr_private_segment_size 0
		.amdhsa_uses_dynamic_stack 0
		.amdhsa_system_sgpr_private_segment_wavefront_offset 0
		.amdhsa_system_sgpr_workgroup_id_x 1
		.amdhsa_system_sgpr_workgroup_id_y 0
		.amdhsa_system_sgpr_workgroup_id_z 1
		.amdhsa_system_sgpr_workgroup_info 0
		.amdhsa_system_vgpr_workitem_id 1
		.amdhsa_next_free_vgpr 49
		.amdhsa_next_free_sgpr 98
		.amdhsa_reserve_vcc 1
		.amdhsa_reserve_flat_scratch 0
		.amdhsa_float_round_mode_32 0
		.amdhsa_float_round_mode_16_64 0
		.amdhsa_float_denorm_mode_32 3
		.amdhsa_float_denorm_mode_16_64 3
		.amdhsa_dx10_clamp 1
		.amdhsa_ieee_mode 1
		.amdhsa_fp16_overflow 0
		.amdhsa_exception_fp_ieee_invalid_op 0
		.amdhsa_exception_fp_denorm_src 0
		.amdhsa_exception_fp_ieee_div_zero 0
		.amdhsa_exception_fp_ieee_overflow 0
		.amdhsa_exception_fp_ieee_underflow 0
		.amdhsa_exception_fp_ieee_inexact 0
		.amdhsa_exception_int_div_zero 0
	.end_amdhsa_kernel
	.section	.text._ZL19rocblas_trsv_deviceILi32ELi16ELb0ELb1ELb1ELb0E19rocblas_complex_numIdES1_PKPKS1_PKPS1_EviT7_lllT6_T8_lllPii,"axG",@progbits,_ZL19rocblas_trsv_deviceILi32ELi16ELb0ELb1ELb1ELb0E19rocblas_complex_numIdES1_PKPKS1_PKPS1_EviT7_lllT6_T8_lllPii,comdat
.Lfunc_end186:
	.size	_ZL19rocblas_trsv_deviceILi32ELi16ELb0ELb1ELb1ELb0E19rocblas_complex_numIdES1_PKPKS1_PKPS1_EviT7_lllT6_T8_lllPii, .Lfunc_end186-_ZL19rocblas_trsv_deviceILi32ELi16ELb0ELb1ELb1ELb0E19rocblas_complex_numIdES1_PKPKS1_PKPS1_EviT7_lllT6_T8_lllPii
                                        ; -- End function
	.set _ZL19rocblas_trsv_deviceILi32ELi16ELb0ELb1ELb1ELb0E19rocblas_complex_numIdES1_PKPKS1_PKPS1_EviT7_lllT6_T8_lllPii.num_vgpr, 40
	.set _ZL19rocblas_trsv_deviceILi32ELi16ELb0ELb1ELb1ELb0E19rocblas_complex_numIdES1_PKPKS1_PKPS1_EviT7_lllT6_T8_lllPii.num_agpr, 0
	.set _ZL19rocblas_trsv_deviceILi32ELi16ELb0ELb1ELb1ELb0E19rocblas_complex_numIdES1_PKPKS1_PKPS1_EviT7_lllT6_T8_lllPii.numbered_sgpr, 96
	.set _ZL19rocblas_trsv_deviceILi32ELi16ELb0ELb1ELb1ELb0E19rocblas_complex_numIdES1_PKPKS1_PKPS1_EviT7_lllT6_T8_lllPii.num_named_barrier, 0
	.set _ZL19rocblas_trsv_deviceILi32ELi16ELb0ELb1ELb1ELb0E19rocblas_complex_numIdES1_PKPKS1_PKPS1_EviT7_lllT6_T8_lllPii.private_seg_size, 0
	.set _ZL19rocblas_trsv_deviceILi32ELi16ELb0ELb1ELb1ELb0E19rocblas_complex_numIdES1_PKPKS1_PKPS1_EviT7_lllT6_T8_lllPii.uses_vcc, 1
	.set _ZL19rocblas_trsv_deviceILi32ELi16ELb0ELb1ELb1ELb0E19rocblas_complex_numIdES1_PKPKS1_PKPS1_EviT7_lllT6_T8_lllPii.uses_flat_scratch, 0
	.set _ZL19rocblas_trsv_deviceILi32ELi16ELb0ELb1ELb1ELb0E19rocblas_complex_numIdES1_PKPKS1_PKPS1_EviT7_lllT6_T8_lllPii.has_dyn_sized_stack, 0
	.set _ZL19rocblas_trsv_deviceILi32ELi16ELb0ELb1ELb1ELb0E19rocblas_complex_numIdES1_PKPKS1_PKPS1_EviT7_lllT6_T8_lllPii.has_recursion, 0
	.set _ZL19rocblas_trsv_deviceILi32ELi16ELb0ELb1ELb1ELb0E19rocblas_complex_numIdES1_PKPKS1_PKPS1_EviT7_lllT6_T8_lllPii.has_indirect_call, 0
	.section	.AMDGPU.csdata,"",@progbits
; Kernel info:
; codeLenInByte = 28900
; TotalNumSgprs: 100
; NumVgprs: 40
; ScratchSize: 0
; MemoryBound: 1
; FloatMode: 240
; IeeeMode: 1
; LDSByteSize: 25104 bytes/workgroup (compile time only)
; SGPRBlocks: 12
; VGPRBlocks: 12
; NumSGPRsForWavesPerEU: 102
; NumVGPRsForWavesPerEU: 49
; Occupancy: 4
; WaveLimiterHint : 1
; COMPUTE_PGM_RSRC2:SCRATCH_EN: 0
; COMPUTE_PGM_RSRC2:USER_SGPR: 6
; COMPUTE_PGM_RSRC2:TRAP_HANDLER: 0
; COMPUTE_PGM_RSRC2:TGID_X_EN: 1
; COMPUTE_PGM_RSRC2:TGID_Y_EN: 0
; COMPUTE_PGM_RSRC2:TGID_Z_EN: 1
; COMPUTE_PGM_RSRC2:TIDIG_COMP_CNT: 1
	.section	.text._ZL19rocblas_trsv_deviceILi32ELi16ELb1ELb0ELb0ELb1E19rocblas_complex_numIdES1_PKPKS1_PKPS1_EviT7_lllT6_T8_lllPii,"axG",@progbits,_ZL19rocblas_trsv_deviceILi32ELi16ELb1ELb0ELb0ELb1E19rocblas_complex_numIdES1_PKPKS1_PKPS1_EviT7_lllT6_T8_lllPii,comdat
	.globl	_ZL19rocblas_trsv_deviceILi32ELi16ELb1ELb0ELb0ELb1E19rocblas_complex_numIdES1_PKPKS1_PKPS1_EviT7_lllT6_T8_lllPii ; -- Begin function _ZL19rocblas_trsv_deviceILi32ELi16ELb1ELb0ELb0ELb1E19rocblas_complex_numIdES1_PKPKS1_PKPS1_EviT7_lllT6_T8_lllPii
	.p2align	8
	.type	_ZL19rocblas_trsv_deviceILi32ELi16ELb1ELb0ELb0ELb1E19rocblas_complex_numIdES1_PKPKS1_PKPS1_EviT7_lllT6_T8_lllPii,@function
_ZL19rocblas_trsv_deviceILi32ELi16ELb1ELb0ELb0ELb1E19rocblas_complex_numIdES1_PKPKS1_PKPS1_EviT7_lllT6_T8_lllPii: ; @_ZL19rocblas_trsv_deviceILi32ELi16ELb1ELb0ELb0ELb1E19rocblas_complex_numIdES1_PKPKS1_PKPS1_EviT7_lllT6_T8_lllPii
; %bb.0:
	s_load_dwordx4 s[0:3], s[4:5], 0x8
	s_mov_b32 s24, s7
	s_mov_b32 s25, 0
	s_lshl_b64 s[8:9], s[24:25], 3
	s_waitcnt lgkmcnt(0)
	s_add_u32 s0, s0, s8
	s_addc_u32 s1, s1, s9
	s_load_dwordx2 s[10:11], s[0:1], 0x0
	s_load_dword s33, s[4:5], 0x0
	s_load_dwordx8 s[16:23], s[4:5], 0x28
	s_load_dwordx2 s[26:27], s[4:5], 0x18
	s_lshl_b64 s[0:1], s[2:3], 4
	s_waitcnt lgkmcnt(0)
	s_add_u32 s84, s10, s0
	s_addc_u32 s85, s11, s1
	s_add_u32 s0, s20, s8
	s_addc_u32 s1, s21, s9
	s_load_dwordx2 s[30:31], s[0:1], 0x0
	s_load_dwordx2 s[20:21], s[4:5], 0x48
	s_load_dword s86, s[4:5], 0x74
	s_cmp_eq_u32 s6, 0
	s_cbranch_scc1 .LBB187_6
; %bb.1:
	s_lshl_b32 s2, s6, 5
	v_add_u32_e32 v2, s2, v1
	v_subrev_u32_e32 v6, 32, v2
	v_ashrrev_i32_e32 v2, 31, v6
	v_mul_lo_u32 v7, s26, v2
	v_mul_lo_u32 v8, s27, v6
	v_mad_u64_u32 v[2:3], s[0:1], s26, v6, 0
	v_add_u32_e32 v4, s2, v0
	v_ashrrev_i32_e32 v5, 31, v4
	v_add3_u32 v3, v3, v7, v8
	v_lshlrev_b64 v[2:3], 4, v[2:3]
	v_mov_b32_e32 v7, s85
	v_add_co_u32_e64 v8, s[0:1], s84, v2
	v_addc_co_u32_e64 v7, s[0:1], v7, v3, s[0:1]
	v_lshlrev_b64 v[2:3], 4, v[4:5]
	v_cmp_gt_i32_e32 vcc, s33, v4
	v_add_co_u32_e64 v10, s[0:1], v8, v2
	v_addc_co_u32_e64 v11, s[0:1], v7, v3, s[0:1]
	v_cmp_gt_i32_e64 s[0:1], s33, v6
	v_mov_b32_e32 v8, 0
	v_mov_b32_e32 v2, 0
	v_mov_b32_e32 v4, 0
	v_mov_b32_e32 v9, 0
	v_mov_b32_e32 v3, 0
	v_mov_b32_e32 v5, 0
	s_and_b64 s[2:3], vcc, s[0:1]
	s_waitcnt lgkmcnt(0)
	s_barrier
	s_and_saveexec_b64 s[0:1], s[2:3]
	s_cbranch_execz .LBB187_3
; %bb.2:
	flat_load_dwordx4 v[2:5], v[10:11]
.LBB187_3:
	s_or_b64 exec, exec, s[0:1]
	v_add_u32_e32 v6, 16, v6
	v_cmp_gt_i32_e64 s[0:1], s33, v6
	v_mov_b32_e32 v6, 0
	v_mov_b32_e32 v7, 0
	s_and_b64 s[2:3], vcc, s[0:1]
	s_waitcnt vmcnt(0) lgkmcnt(0)
	s_barrier
	s_and_saveexec_b64 s[0:1], s[2:3]
	s_cbranch_execz .LBB187_5
; %bb.4:
	s_lshl_b64 s[2:3], s[26:27], 8
	v_mov_b32_e32 v7, s3
	v_add_co_u32_e32 v6, vcc, s2, v10
	v_addc_co_u32_e32 v7, vcc, v11, v7, vcc
	flat_load_dwordx4 v[6:9], v[6:7]
.LBB187_5:
	s_or_b64 exec, exec, s[0:1]
	s_branch .LBB187_7
.LBB187_6:
                                        ; implicit-def: $vgpr8_vgpr9
                                        ; implicit-def: $vgpr4_vgpr5
.LBB187_7:
	s_ashr_i32 s0, s33, 31
	s_lshr_b32 s0, s0, 27
	s_add_i32 s0, s33, s0
	s_andn2_b32 s0, s0, 31
	s_sub_i32 s7, s33, s0
	s_add_i32 s0, s33, -1
	s_ashr_i32 s1, s0, 31
	s_lshr_b32 s1, s1, 27
	s_add_i32 s0, s0, s1
	s_ashr_i32 s0, s0, 5
	s_cmp_eq_u32 s0, s6
	s_cselect_b64 s[0:1], -1, 0
	s_cmp_lg_u32 s7, 0
	s_cselect_b64 s[2:3], -1, 0
	s_and_b64 s[28:29], s[2:3], s[0:1]
	s_mov_b64 s[2:3], -1
	s_and_b64 vcc, exec, s[28:29]
	v_cmp_le_u32_e64 s[0:1], v0, v1
	v_lshlrev_b32_e32 v21, 4, v0
	v_lshl_add_u32 v22, v1, 5, v0
	s_cbranch_vccnz .LBB187_21
; %bb.8:
	s_add_u32 s2, s26, 1
	s_addc_u32 s3, s27, 0
	s_lshl_b32 s8, s6, 5
	s_ashr_i32 s9, s8, 31
	s_mul_hi_u32 s10, s2, s8
	s_mul_i32 s9, s2, s9
	s_add_i32 s9, s10, s9
	s_mul_i32 s3, s3, s8
	s_add_i32 s3, s9, s3
	s_mul_i32 s2, s2, s8
	s_lshl_b64 s[2:3], s[2:3], 4
	s_add_u32 s2, s84, s2
	s_addc_u32 s3, s85, s3
	v_lshlrev_b32_e32 v10, 4, v0
	v_mov_b32_e32 v11, s3
	v_add_co_u32_e32 v10, vcc, s2, v10
	v_addc_co_u32_e32 v11, vcc, 0, v11, vcc
	s_and_saveexec_b64 s[2:3], s[0:1]
	s_xor_b64 s[0:1], exec, s[2:3]
	s_cbranch_execz .LBB187_12
; %bb.9:
	v_or_b32_e32 v12, v1, v0
	v_cmp_gt_u32_e32 vcc, 32, v12
	s_and_saveexec_b64 s[2:3], vcc
	s_cbranch_execz .LBB187_11
; %bb.10:
	v_mov_b32_e32 v12, 0
	v_lshlrev_b32_e32 v16, 4, v22
	v_mov_b32_e32 v13, v12
	v_mov_b32_e32 v14, v12
	;; [unrolled: 1-line block ×3, first 2 shown]
	ds_write_b128 v16, v[12:15]
.LBB187_11:
	s_or_b64 exec, exec, s[2:3]
.LBB187_12:
	s_andn2_saveexec_b64 s[0:1], s[0:1]
	s_cbranch_execz .LBB187_14
; %bb.13:
	v_mad_u64_u32 v[12:13], s[2:3], s26, v1, 0
	v_lshlrev_b32_e32 v16, 4, v22
	v_mad_u64_u32 v[13:14], s[2:3], s27, v1, v[13:14]
	v_lshlrev_b64 v[12:13], 4, v[12:13]
	v_add_co_u32_e32 v12, vcc, v10, v12
	v_addc_co_u32_e32 v13, vcc, v11, v13, vcc
	flat_load_dwordx4 v[12:15], v[12:13]
	s_waitcnt vmcnt(0) lgkmcnt(0)
	v_xor_b32_e32 v13, 0x80000000, v13
	v_xor_b32_e32 v15, 0x80000000, v15
	ds_write_b128 v16, v[12:15]
.LBB187_14:
	s_or_b64 exec, exec, s[0:1]
	v_add_u32_e32 v13, 16, v1
	v_lshl_add_u32 v12, v13, 5, v0
	v_cmp_le_u32_e32 vcc, v0, v13
	s_and_saveexec_b64 s[0:1], vcc
	s_xor_b64 s[0:1], exec, s[0:1]
	s_cbranch_execz .LBB187_18
; %bb.15:
	v_or_b32_e32 v10, v13, v0
	v_cmp_gt_u32_e32 vcc, 32, v10
	s_and_saveexec_b64 s[2:3], vcc
	s_cbranch_execz .LBB187_17
; %bb.16:
	v_mov_b32_e32 v10, 0
	v_lshlrev_b32_e32 v14, 4, v12
	v_mov_b32_e32 v11, v10
	v_mov_b32_e32 v12, v10
	;; [unrolled: 1-line block ×3, first 2 shown]
	ds_write_b128 v14, v[10:13]
.LBB187_17:
	s_or_b64 exec, exec, s[2:3]
                                        ; implicit-def: $vgpr13
                                        ; implicit-def: $vgpr10
                                        ; implicit-def: $vgpr11
                                        ; implicit-def: $vgpr12
.LBB187_18:
	s_andn2_saveexec_b64 s[0:1], s[0:1]
	s_cbranch_execz .LBB187_20
; %bb.19:
	v_mad_u64_u32 v[14:15], s[2:3], s26, v13, 0
	v_mad_u64_u32 v[15:16], s[2:3], s27, v13, v[15:16]
	v_lshlrev_b64 v[13:14], 4, v[14:15]
	v_add_co_u32_e32 v10, vcc, v10, v13
	v_addc_co_u32_e32 v11, vcc, v11, v14, vcc
	flat_load_dwordx4 v[13:16], v[10:11]
	v_lshlrev_b32_e32 v10, 4, v12
	s_waitcnt vmcnt(0) lgkmcnt(0)
	v_xor_b32_e32 v14, 0x80000000, v14
	v_xor_b32_e32 v16, 0x80000000, v16
	ds_write_b128 v10, v[13:16]
.LBB187_20:
	s_or_b64 exec, exec, s[0:1]
	s_mov_b64 s[2:3], 0
.LBB187_21:
	s_and_b64 vcc, exec, s[2:3]
	s_cbranch_vccz .LBB187_35
; %bb.22:
	s_add_u32 s0, s26, 1
	s_addc_u32 s1, s27, 0
	s_lshl_b32 s2, s6, 5
	s_ashr_i32 s3, s2, 31
	s_mul_hi_u32 s8, s0, s2
	s_mul_i32 s3, s0, s3
	s_add_i32 s3, s8, s3
	s_mul_i32 s1, s1, s2
	s_add_i32 s1, s3, s1
	s_mul_i32 s0, s0, s2
	s_lshl_b64 s[0:1], s[0:1], 4
	s_add_u32 s0, s84, s0
	s_addc_u32 s1, s85, s1
	v_lshlrev_b32_e32 v10, 4, v0
	v_mov_b32_e32 v11, s1
	v_add_co_u32_e64 v10, s[0:1], s0, v10
	v_addc_co_u32_e64 v11, s[0:1], 0, v11, s[0:1]
	v_max_i32_e32 v12, v1, v0
	v_cmp_le_u32_e64 s[0:1], v0, v1
	v_cmp_le_i32_e64 s[2:3], s7, v12
	v_cmp_gt_i32_e32 vcc, s7, v0
	s_or_b64 s[0:1], s[2:3], s[0:1]
	s_and_saveexec_b64 s[2:3], s[0:1]
	s_xor_b64 s[2:3], exec, s[2:3]
	s_cbranch_execz .LBB187_26
; %bb.23:
	v_or_b32_e32 v12, v1, v0
	v_cmp_gt_u32_e64 s[0:1], 32, v12
	s_and_saveexec_b64 s[8:9], s[0:1]
	s_cbranch_execz .LBB187_25
; %bb.24:
	v_mov_b32_e32 v12, 0
	v_lshlrev_b32_e32 v16, 4, v22
	v_mov_b32_e32 v13, v12
	v_mov_b32_e32 v14, v12
	;; [unrolled: 1-line block ×3, first 2 shown]
	ds_write_b128 v16, v[12:15]
.LBB187_25:
	s_or_b64 exec, exec, s[8:9]
.LBB187_26:
	s_andn2_saveexec_b64 s[2:3], s[2:3]
	s_cbranch_execz .LBB187_28
; %bb.27:
	v_mad_u64_u32 v[12:13], s[0:1], s26, v1, 0
	v_lshlrev_b32_e32 v16, 4, v22
	v_mad_u64_u32 v[13:14], s[0:1], s27, v1, v[13:14]
	v_lshlrev_b64 v[12:13], 4, v[12:13]
	v_add_co_u32_e64 v12, s[0:1], v10, v12
	v_addc_co_u32_e64 v13, s[0:1], v11, v13, s[0:1]
	flat_load_dwordx4 v[12:15], v[12:13]
	s_waitcnt vmcnt(0) lgkmcnt(0)
	v_xor_b32_e32 v13, 0x80000000, v13
	v_xor_b32_e32 v15, 0x80000000, v15
	ds_write_b128 v16, v[12:15]
.LBB187_28:
	s_or_b64 exec, exec, s[2:3]
	v_add_u32_e32 v13, 16, v1
	v_cmp_gt_u32_e64 s[0:1], v0, v13
	v_cmp_gt_i32_e64 s[2:3], s7, v13
	s_and_b64 s[0:1], s[0:1], s[2:3]
	s_and_b64 s[0:1], s[0:1], vcc
	v_lshl_add_u32 v12, v13, 5, v0
	s_xor_b64 s[0:1], s[0:1], -1
	s_and_saveexec_b64 s[2:3], s[0:1]
	s_xor_b64 s[0:1], exec, s[2:3]
	s_cbranch_execz .LBB187_32
; %bb.29:
	v_or_b32_e32 v10, v13, v0
	v_cmp_gt_u32_e32 vcc, 32, v10
	s_and_saveexec_b64 s[2:3], vcc
	s_cbranch_execz .LBB187_31
; %bb.30:
	v_mov_b32_e32 v10, 0
	v_lshlrev_b32_e32 v14, 4, v12
	v_mov_b32_e32 v11, v10
	v_mov_b32_e32 v12, v10
	;; [unrolled: 1-line block ×3, first 2 shown]
	ds_write_b128 v14, v[10:13]
.LBB187_31:
	s_or_b64 exec, exec, s[2:3]
                                        ; implicit-def: $vgpr13
                                        ; implicit-def: $vgpr10
                                        ; implicit-def: $vgpr11
                                        ; implicit-def: $vgpr12
.LBB187_32:
	s_andn2_saveexec_b64 s[0:1], s[0:1]
	s_cbranch_execz .LBB187_34
; %bb.33:
	v_mad_u64_u32 v[14:15], s[2:3], s26, v13, 0
	v_mad_u64_u32 v[15:16], s[2:3], s27, v13, v[15:16]
	v_lshlrev_b64 v[13:14], 4, v[14:15]
	v_add_co_u32_e32 v10, vcc, v10, v13
	v_addc_co_u32_e32 v11, vcc, v11, v14, vcc
	flat_load_dwordx4 v[13:16], v[10:11]
	v_lshlrev_b32_e32 v10, 4, v12
	s_waitcnt vmcnt(0) lgkmcnt(0)
	v_xor_b32_e32 v14, 0x80000000, v14
	v_xor_b32_e32 v16, 0x80000000, v16
	ds_write_b128 v10, v[13:16]
.LBB187_34:
	s_or_b64 exec, exec, s[0:1]
.LBB187_35:
	s_cmp_lt_i32 s6, 5
	s_cselect_b64 s[0:1], -1, 0
	s_or_b64 s[34:35], s[0:1], s[28:29]
	s_and_b64 vcc, exec, s[34:35]
	s_waitcnt vmcnt(0) lgkmcnt(0)
	s_barrier
	s_cbranch_vccnz .LBB187_429
; %bb.36:
	v_or_b32_e32 v10, v0, v1
	s_mov_b32 s0, 0
	v_cmp_eq_u32_e32 vcc, 0, v10
	s_and_saveexec_b64 s[8:9], vcc
	s_cbranch_execz .LBB187_38
; %bb.37:
	s_mov_b32 s3, s0
	s_mov_b32 s1, 0x3ff00000
	;; [unrolled: 1-line block ×3, first 2 shown]
	v_mov_b32_e32 v13, s3
	v_mov_b32_e32 v14, 0
	;; [unrolled: 1-line block ×5, first 2 shown]
	ds_write_b128 v14, v[10:13]
	ds_write_b128 v14, v[10:13] offset:528
.LBB187_38:
	s_or_b64 exec, exec, s[8:9]
	v_and_b32_e32 v17, 1, v0
	v_lshrrev_b32_e32 v16, 1, v22
	v_lshlrev_b32_e32 v14, 4, v17
	v_mov_b32_e32 v12, 0
	v_mov_b32_e32 v10, 0
	v_cmp_lt_u32_e64 s[2:3], 3, v22
	v_cmp_gt_u32_e64 s[0:1], 4, v22
	v_mov_b32_e32 v13, 0
	v_mov_b32_e32 v11, 0
	v_lshl_or_b32 v14, v16, 9, v14
	s_waitcnt lgkmcnt(0)
	s_barrier
	s_and_saveexec_b64 s[10:11], s[0:1]
	s_cbranch_execz .LBB187_42
; %bb.39:
	v_mul_u32_u24_e32 v10, 0x210, v16
	ds_read_b128 v[10:13], v10
	ds_read_b128 v[23:26], v14 offset:32
	v_cmp_gt_u32_e64 s[8:9], 2, v22
	s_waitcnt lgkmcnt(0)
	v_mul_f64 v[18:19], v[12:13], v[25:26]
	v_mul_f64 v[25:26], v[10:11], v[25:26]
	v_fma_f64 v[10:11], v[10:11], v[23:24], -v[18:19]
	v_fma_f64 v[12:13], v[12:13], v[23:24], v[25:26]
	v_add_f64 v[10:11], v[10:11], 0
	v_add_f64 v[12:13], v[12:13], 0
	s_and_saveexec_b64 s[12:13], s[8:9]
	s_cbranch_execz .LBB187_41
; %bb.40:
	v_mov_b32_e32 v18, 0
	v_lshlrev_b32_e32 v15, 4, v0
	ds_read_b128 v[23:26], v18 offset:16
	ds_read_b128 v[27:30], v15 offset:544
	s_waitcnt lgkmcnt(0)
	v_mul_f64 v[18:19], v[25:26], v[29:30]
	v_mul_f64 v[29:30], v[23:24], v[29:30]
	v_fma_f64 v[18:19], v[23:24], v[27:28], -v[18:19]
	v_fma_f64 v[23:24], v[25:26], v[27:28], v[29:30]
	v_add_f64 v[10:11], v[10:11], v[18:19]
	v_add_f64 v[12:13], v[12:13], v[23:24]
.LBB187_41:
	s_or_b64 exec, exec, s[12:13]
	v_xor_b32_e32 v11, 0x80000000, v11
	v_xor_b32_e32 v13, 0x80000000, v13
.LBB187_42:
	s_or_b64 exec, exec, s[10:11]
	v_mov_b32_e32 v15, 0x4000
	v_cmp_eq_u32_e64 s[8:9], 0, v17
	s_xor_b64 s[10:11], s[2:3], -1
	v_lshl_add_u32 v15, v16, 4, v15
	s_and_b64 s[38:39], s[8:9], s[10:11]
	s_and_saveexec_b64 s[2:3], s[38:39]
; %bb.43:
	ds_write_b128 v15, v[10:13]
; %bb.44:
	s_or_b64 exec, exec, s[2:3]
	v_cmp_ne_u32_e64 s[2:3], 0, v17
	s_and_b64 s[36:37], s[2:3], s[10:11]
	s_waitcnt lgkmcnt(0)
	s_barrier
	s_and_saveexec_b64 s[2:3], s[36:37]
	s_cbranch_execz .LBB187_46
; %bb.45:
	v_mov_b32_e32 v23, 0
	ds_read_b128 v[17:20], v15
	ds_read_b128 v[23:26], v23 offset:1072
	s_waitcnt lgkmcnt(0)
	v_mul_f64 v[27:28], v[19:20], v[25:26]
	v_mul_f64 v[25:26], v[17:18], v[25:26]
	v_fma_f64 v[17:18], v[17:18], v[23:24], -v[27:28]
	v_fma_f64 v[19:20], v[19:20], v[23:24], v[25:26]
	v_add_f64 v[10:11], v[10:11], v[17:18]
	v_add_f64 v[12:13], v[12:13], v[19:20]
.LBB187_46:
	s_or_b64 exec, exec, s[2:3]
	s_barrier
	s_and_saveexec_b64 s[2:3], s[36:37]
; %bb.47:
	ds_write_b128 v15, v[10:13]
; %bb.48:
	s_or_b64 exec, exec, s[2:3]
	s_waitcnt lgkmcnt(0)
	s_barrier
	s_barrier
	s_and_saveexec_b64 s[2:3], s[0:1]
; %bb.49:
	v_xor_b32_e32 v11, 0x80000000, v11
	v_xor_b32_e32 v13, 0x80000000, v13
	ds_write_b128 v14, v[10:13] offset:32
; %bb.50:
	s_or_b64 exec, exec, s[2:3]
	s_waitcnt lgkmcnt(0)
	s_barrier
	s_barrier
	s_and_saveexec_b64 s[2:3], vcc
	s_cbranch_execz .LBB187_52
; %bb.51:
	s_mov_b32 s8, 0
	s_mov_b32 s11, s8
	;; [unrolled: 1-line block ×4, first 2 shown]
	v_mov_b32_e32 v13, s11
	v_mov_b32_e32 v17, 0
	;; [unrolled: 1-line block ×5, first 2 shown]
	ds_write_b128 v17, v[10:13] offset:1056
	ds_write_b128 v17, v[10:13] offset:1584
.LBB187_52:
	s_or_b64 exec, exec, s[2:3]
	v_and_b32_e32 v20, 3, v0
	v_lshrrev_b32_e32 v23, 2, v22
	v_lshlrev_b32_e32 v18, 4, v20
	v_mov_b32_e32 v12, 0
	v_mov_b32_e32 v10, 0
	v_cmp_lt_u32_e64 s[8:9], 15, v22
	v_cmp_gt_u32_e64 s[2:3], 16, v22
	v_mov_b32_e32 v13, 0
	v_mov_b32_e32 v11, 0
	v_lshl_or_b32 v17, v23, 9, v18
	s_waitcnt lgkmcnt(0)
	s_barrier
	s_and_saveexec_b64 s[12:13], s[2:3]
	s_cbranch_execz .LBB187_58
; %bb.53:
	v_mul_u32_u24_e32 v19, 0x210, v23
	ds_read_b128 v[10:13], v19
	ds_read_b128 v[24:27], v17 offset:64
	v_cmp_gt_u32_e64 s[10:11], 12, v22
	s_waitcnt lgkmcnt(0)
	v_mul_f64 v[28:29], v[12:13], v[26:27]
	v_mul_f64 v[26:27], v[10:11], v[26:27]
	v_fma_f64 v[10:11], v[10:11], v[24:25], -v[28:29]
	v_fma_f64 v[12:13], v[12:13], v[24:25], v[26:27]
	v_add_f64 v[10:11], v[10:11], 0
	v_add_f64 v[12:13], v[12:13], 0
	s_and_saveexec_b64 s[14:15], s[10:11]
	s_cbranch_execnz .LBB187_489
; %bb.54:
	s_or_b64 exec, exec, s[14:15]
	v_cmp_gt_u32_e64 s[10:11], 8, v22
	s_and_saveexec_b64 s[14:15], s[10:11]
	s_cbranch_execnz .LBB187_490
.LBB187_55:
	s_or_b64 exec, exec, s[14:15]
	v_cmp_gt_u32_e64 s[10:11], 4, v22
	s_and_saveexec_b64 s[14:15], s[10:11]
	s_cbranch_execz .LBB187_57
.LBB187_56:
	v_mov_b32_e32 v24, 0
	v_lshlrev_b32_e32 v19, 4, v0
	ds_read_b128 v[24:27], v24 offset:48
	ds_read_b128 v[28:31], v19 offset:1600
	s_waitcnt lgkmcnt(0)
	v_mul_f64 v[32:33], v[26:27], v[30:31]
	v_mul_f64 v[30:31], v[24:25], v[30:31]
	v_fma_f64 v[24:25], v[24:25], v[28:29], -v[32:33]
	v_fma_f64 v[26:27], v[26:27], v[28:29], v[30:31]
	v_add_f64 v[10:11], v[10:11], v[24:25]
	v_add_f64 v[12:13], v[12:13], v[26:27]
.LBB187_57:
	s_or_b64 exec, exec, s[14:15]
	v_xor_b32_e32 v11, 0x80000000, v11
	v_xor_b32_e32 v13, 0x80000000, v13
.LBB187_58:
	s_or_b64 exec, exec, s[12:13]
	v_mov_b32_e32 v19, 0x4000
	v_cmp_eq_u32_e64 s[10:11], 0, v20
	s_xor_b64 s[12:13], s[8:9], -1
	v_lshl_add_u32 v19, v23, 4, v19
	s_and_b64 s[42:43], s[10:11], s[12:13]
	s_and_saveexec_b64 s[8:9], s[42:43]
; %bb.59:
	ds_write_b128 v19, v[10:13]
; %bb.60:
	s_or_b64 exec, exec, s[8:9]
	v_cmp_ne_u32_e64 s[8:9], 0, v20
	s_and_b64 s[44:45], s[8:9], s[12:13]
	s_waitcnt lgkmcnt(0)
	s_barrier
	s_and_saveexec_b64 s[8:9], s[44:45]
	s_cbranch_execz .LBB187_62
; %bb.61:
	ds_read_b128 v[24:27], v19
	ds_read_b128 v[28:31], v18 offset:2112
	s_waitcnt lgkmcnt(0)
	v_mul_f64 v[32:33], v[26:27], v[30:31]
	v_mul_f64 v[30:31], v[24:25], v[30:31]
	v_fma_f64 v[24:25], v[24:25], v[28:29], -v[32:33]
	v_fma_f64 v[26:27], v[26:27], v[28:29], v[30:31]
	v_add_f64 v[10:11], v[10:11], v[24:25]
	v_add_f64 v[12:13], v[12:13], v[26:27]
.LBB187_62:
	s_or_b64 exec, exec, s[8:9]
	v_cmp_eq_u32_e64 s[8:9], 1, v20
	s_and_b64 s[46:47], s[8:9], s[12:13]
	s_barrier
	s_and_saveexec_b64 s[8:9], s[46:47]
; %bb.63:
	ds_write_b128 v19, v[10:13]
; %bb.64:
	s_or_b64 exec, exec, s[8:9]
	v_cmp_lt_u32_e64 s[8:9], 1, v20
	s_and_b64 s[48:49], s[8:9], s[12:13]
	s_waitcnt lgkmcnt(0)
	s_barrier
	s_and_saveexec_b64 s[8:9], s[48:49]
	s_cbranch_execz .LBB187_66
; %bb.65:
	ds_read_b128 v[24:27], v19
	ds_read_b128 v[28:31], v18 offset:2624
	s_waitcnt lgkmcnt(0)
	v_mul_f64 v[32:33], v[26:27], v[30:31]
	v_mul_f64 v[30:31], v[24:25], v[30:31]
	v_fma_f64 v[24:25], v[24:25], v[28:29], -v[32:33]
	v_fma_f64 v[26:27], v[26:27], v[28:29], v[30:31]
	v_add_f64 v[10:11], v[10:11], v[24:25]
	v_add_f64 v[12:13], v[12:13], v[26:27]
.LBB187_66:
	s_or_b64 exec, exec, s[8:9]
	v_cmp_eq_u32_e64 s[8:9], 2, v20
	s_and_b64 s[50:51], s[8:9], s[12:13]
	s_barrier
	s_and_saveexec_b64 s[8:9], s[50:51]
; %bb.67:
	ds_write_b128 v19, v[10:13]
; %bb.68:
	s_or_b64 exec, exec, s[8:9]
	v_cmp_eq_u32_e64 s[8:9], 3, v20
	s_and_b64 s[40:41], s[8:9], s[12:13]
	s_waitcnt lgkmcnt(0)
	s_barrier
	s_and_saveexec_b64 s[8:9], s[40:41]
	s_cbranch_execz .LBB187_70
; %bb.69:
	v_mov_b32_e32 v28, 0
	ds_read_b128 v[24:27], v19
	ds_read_b128 v[28:31], v28 offset:3184
	s_waitcnt lgkmcnt(0)
	v_mul_f64 v[32:33], v[26:27], v[30:31]
	v_mul_f64 v[30:31], v[24:25], v[30:31]
	v_fma_f64 v[24:25], v[24:25], v[28:29], -v[32:33]
	v_fma_f64 v[26:27], v[26:27], v[28:29], v[30:31]
	v_add_f64 v[10:11], v[10:11], v[24:25]
	v_add_f64 v[12:13], v[12:13], v[26:27]
.LBB187_70:
	s_or_b64 exec, exec, s[8:9]
	s_barrier
	s_and_saveexec_b64 s[8:9], s[40:41]
; %bb.71:
	ds_write_b128 v19, v[10:13]
; %bb.72:
	s_or_b64 exec, exec, s[8:9]
	s_waitcnt lgkmcnt(0)
	s_barrier
	s_barrier
	s_and_saveexec_b64 s[8:9], s[2:3]
; %bb.73:
	v_xor_b32_e32 v13, 0x80000000, v13
	v_xor_b32_e32 v11, 0x80000000, v11
	ds_write_b128 v17, v[10:13] offset:64
; %bb.74:
	s_or_b64 exec, exec, s[8:9]
	s_waitcnt lgkmcnt(0)
	s_barrier
	s_barrier
	s_and_saveexec_b64 s[8:9], vcc
	s_cbranch_execz .LBB187_76
; %bb.75:
	s_mov_b32 s12, 0
	s_mov_b32 s13, 0x3ff00000
	;; [unrolled: 1-line block ×4, first 2 shown]
	v_mov_b32_e32 v10, s12
	v_mov_b32_e32 v24, 0
	;; [unrolled: 1-line block ×5, first 2 shown]
	ds_write_b128 v24, v[10:13] offset:2112
	ds_write_b128 v24, v[10:13] offset:2640
.LBB187_76:
	s_or_b64 exec, exec, s[8:9]
	v_mov_b32_e32 v12, 0
	v_mov_b32_e32 v10, 0
	;; [unrolled: 1-line block ×4, first 2 shown]
	s_waitcnt lgkmcnt(0)
	s_barrier
	s_and_saveexec_b64 s[10:11], s[0:1]
	s_cbranch_execz .LBB187_80
; %bb.77:
	v_mul_u32_u24_e32 v10, 0x210, v16
	ds_read_b128 v[10:13], v10 offset:2112
	ds_read_b128 v[24:27], v14 offset:2144
	v_cmp_gt_u32_e64 s[8:9], 2, v22
	s_waitcnt lgkmcnt(0)
	v_mul_f64 v[28:29], v[12:13], v[26:27]
	v_mul_f64 v[26:27], v[10:11], v[26:27]
	v_fma_f64 v[10:11], v[10:11], v[24:25], -v[28:29]
	v_fma_f64 v[12:13], v[12:13], v[24:25], v[26:27]
	v_add_f64 v[10:11], v[10:11], 0
	v_add_f64 v[12:13], v[12:13], 0
	s_and_saveexec_b64 s[12:13], s[8:9]
	s_cbranch_execz .LBB187_79
; %bb.78:
	v_lshlrev_b32_e32 v28, 4, v0
	v_mov_b32_e32 v24, 0
	ds_read_b128 v[24:27], v24 offset:2128
	ds_read_b128 v[28:31], v28 offset:2656
	s_waitcnt lgkmcnt(0)
	v_mul_f64 v[32:33], v[26:27], v[30:31]
	v_mul_f64 v[30:31], v[24:25], v[30:31]
	v_fma_f64 v[24:25], v[24:25], v[28:29], -v[32:33]
	v_fma_f64 v[26:27], v[26:27], v[28:29], v[30:31]
	v_add_f64 v[10:11], v[10:11], v[24:25]
	v_add_f64 v[12:13], v[12:13], v[26:27]
.LBB187_79:
	s_or_b64 exec, exec, s[12:13]
	v_xor_b32_e32 v11, 0x80000000, v11
	v_xor_b32_e32 v13, 0x80000000, v13
.LBB187_80:
	s_or_b64 exec, exec, s[10:11]
	s_and_saveexec_b64 s[8:9], s[38:39]
; %bb.81:
	ds_write_b128 v15, v[10:13]
; %bb.82:
	s_or_b64 exec, exec, s[8:9]
	s_waitcnt lgkmcnt(0)
	s_barrier
	s_and_saveexec_b64 s[8:9], s[36:37]
	s_cbranch_execz .LBB187_84
; %bb.83:
	v_mov_b32_e32 v28, 0
	ds_read_b128 v[24:27], v15
	ds_read_b128 v[28:31], v28 offset:3184
	s_waitcnt lgkmcnt(0)
	v_mul_f64 v[32:33], v[26:27], v[30:31]
	v_mul_f64 v[30:31], v[24:25], v[30:31]
	v_fma_f64 v[24:25], v[24:25], v[28:29], -v[32:33]
	v_fma_f64 v[26:27], v[26:27], v[28:29], v[30:31]
	v_add_f64 v[10:11], v[10:11], v[24:25]
	v_add_f64 v[12:13], v[12:13], v[26:27]
.LBB187_84:
	s_or_b64 exec, exec, s[8:9]
	s_barrier
	s_and_saveexec_b64 s[8:9], s[36:37]
; %bb.85:
	ds_write_b128 v15, v[10:13]
; %bb.86:
	s_or_b64 exec, exec, s[8:9]
	s_waitcnt lgkmcnt(0)
	s_barrier
	s_barrier
	s_and_saveexec_b64 s[8:9], s[0:1]
; %bb.87:
	v_xor_b32_e32 v11, 0x80000000, v11
	v_xor_b32_e32 v13, 0x80000000, v13
	ds_write_b128 v14, v[10:13] offset:2144
; %bb.88:
	s_or_b64 exec, exec, s[8:9]
	s_waitcnt lgkmcnt(0)
	s_barrier
	s_barrier
	s_and_saveexec_b64 s[8:9], vcc
	s_cbranch_execz .LBB187_90
; %bb.89:
	s_mov_b32 s12, 0
	s_mov_b32 s13, 0x3ff00000
	;; [unrolled: 1-line block ×4, first 2 shown]
	v_mov_b32_e32 v10, s12
	v_mov_b32_e32 v24, 0
	;; [unrolled: 1-line block ×5, first 2 shown]
	ds_write_b128 v24, v[10:13] offset:3168
	ds_write_b128 v24, v[10:13] offset:3696
.LBB187_90:
	s_or_b64 exec, exec, s[8:9]
	v_and_b32_e32 v27, 7, v0
	v_lshrrev_b32_e32 v28, 3, v22
	v_lshlrev_b32_e32 v25, 4, v27
	v_mov_b32_e32 v12, 0
	v_mov_b32_e32 v10, 0
	v_cmp_lt_u32_e64 s[8:9], 63, v22
	v_cmp_gt_u32_e64 s[12:13], 64, v22
	v_mov_b32_e32 v13, 0
	v_mov_b32_e32 v11, 0
	v_lshl_or_b32 v24, v28, 9, v25
	s_waitcnt lgkmcnt(0)
	s_barrier
	s_and_saveexec_b64 s[14:15], s[12:13]
	s_cbranch_execz .LBB187_100
; %bb.91:
	v_mul_u32_u24_e32 v26, 0x210, v28
	ds_read_b128 v[10:13], v26
	ds_read_b128 v[29:32], v24 offset:128
	v_cmp_gt_u32_e64 s[10:11], 56, v22
	s_waitcnt lgkmcnt(0)
	v_mul_f64 v[33:34], v[12:13], v[31:32]
	v_mul_f64 v[31:32], v[10:11], v[31:32]
	v_fma_f64 v[10:11], v[10:11], v[29:30], -v[33:34]
	v_fma_f64 v[12:13], v[12:13], v[29:30], v[31:32]
	v_add_f64 v[10:11], v[10:11], 0
	v_add_f64 v[12:13], v[12:13], 0
	s_and_saveexec_b64 s[52:53], s[10:11]
	s_cbranch_execnz .LBB187_491
; %bb.92:
	s_or_b64 exec, exec, s[52:53]
	v_cmp_gt_u32_e64 s[10:11], 48, v22
	s_and_saveexec_b64 s[52:53], s[10:11]
	s_cbranch_execnz .LBB187_492
.LBB187_93:
	s_or_b64 exec, exec, s[52:53]
	v_cmp_gt_u32_e64 s[10:11], 40, v22
	s_and_saveexec_b64 s[52:53], s[10:11]
	s_cbranch_execnz .LBB187_493
.LBB187_94:
	s_or_b64 exec, exec, s[52:53]
	v_cmp_gt_u32_e64 s[10:11], 32, v22
	s_and_saveexec_b64 s[52:53], s[10:11]
	s_cbranch_execnz .LBB187_494
.LBB187_95:
	s_or_b64 exec, exec, s[52:53]
	v_cmp_gt_u32_e64 s[10:11], 24, v22
	s_and_saveexec_b64 s[52:53], s[10:11]
	s_cbranch_execnz .LBB187_495
.LBB187_96:
	s_or_b64 exec, exec, s[52:53]
	v_cmp_gt_u32_e64 s[10:11], 16, v22
	s_and_saveexec_b64 s[52:53], s[10:11]
	s_cbranch_execnz .LBB187_496
.LBB187_97:
	s_or_b64 exec, exec, s[52:53]
	v_cmp_gt_u32_e64 s[10:11], 8, v22
	s_and_saveexec_b64 s[52:53], s[10:11]
	s_cbranch_execz .LBB187_99
.LBB187_98:
	v_mov_b32_e32 v29, 0
	v_lshlrev_b32_e32 v26, 4, v0
	ds_read_b128 v[29:32], v29 offset:112
	ds_read_b128 v[33:36], v26 offset:3712
	s_waitcnt lgkmcnt(0)
	v_mul_f64 v[37:38], v[31:32], v[35:36]
	v_mul_f64 v[35:36], v[29:30], v[35:36]
	v_fma_f64 v[29:30], v[29:30], v[33:34], -v[37:38]
	v_fma_f64 v[31:32], v[31:32], v[33:34], v[35:36]
	v_add_f64 v[10:11], v[10:11], v[29:30]
	v_add_f64 v[12:13], v[12:13], v[31:32]
.LBB187_99:
	s_or_b64 exec, exec, s[52:53]
	v_xor_b32_e32 v11, 0x80000000, v11
	v_xor_b32_e32 v13, 0x80000000, v13
.LBB187_100:
	s_or_b64 exec, exec, s[14:15]
	v_mov_b32_e32 v26, 0x4000
	v_cmp_eq_u32_e64 s[10:11], 0, v27
	s_xor_b64 s[14:15], s[8:9], -1
	v_lshl_add_u32 v26, v28, 4, v26
	s_and_b64 s[54:55], s[10:11], s[14:15]
	s_and_saveexec_b64 s[8:9], s[54:55]
; %bb.101:
	ds_write_b128 v26, v[10:13]
; %bb.102:
	s_or_b64 exec, exec, s[8:9]
	v_cmp_ne_u32_e64 s[8:9], 0, v27
	s_and_b64 s[56:57], s[8:9], s[14:15]
	s_waitcnt lgkmcnt(0)
	s_barrier
	s_and_saveexec_b64 s[8:9], s[56:57]
	s_cbranch_execz .LBB187_104
; %bb.103:
	ds_read_b128 v[29:32], v26
	ds_read_b128 v[33:36], v25 offset:4224
	s_waitcnt lgkmcnt(0)
	v_mul_f64 v[37:38], v[31:32], v[35:36]
	v_mul_f64 v[35:36], v[29:30], v[35:36]
	v_fma_f64 v[29:30], v[29:30], v[33:34], -v[37:38]
	v_fma_f64 v[31:32], v[31:32], v[33:34], v[35:36]
	v_add_f64 v[10:11], v[10:11], v[29:30]
	v_add_f64 v[12:13], v[12:13], v[31:32]
.LBB187_104:
	s_or_b64 exec, exec, s[8:9]
	v_cmp_eq_u32_e64 s[8:9], 1, v27
	s_and_b64 s[58:59], s[8:9], s[14:15]
	s_barrier
	s_and_saveexec_b64 s[8:9], s[58:59]
; %bb.105:
	ds_write_b128 v26, v[10:13]
; %bb.106:
	s_or_b64 exec, exec, s[8:9]
	v_cmp_lt_u32_e64 s[8:9], 1, v27
	s_and_b64 s[60:61], s[8:9], s[14:15]
	s_waitcnt lgkmcnt(0)
	s_barrier
	s_and_saveexec_b64 s[8:9], s[60:61]
	s_cbranch_execz .LBB187_108
; %bb.107:
	ds_read_b128 v[29:32], v26
	ds_read_b128 v[33:36], v25 offset:4736
	s_waitcnt lgkmcnt(0)
	v_mul_f64 v[37:38], v[31:32], v[35:36]
	v_mul_f64 v[35:36], v[29:30], v[35:36]
	v_fma_f64 v[29:30], v[29:30], v[33:34], -v[37:38]
	v_fma_f64 v[31:32], v[31:32], v[33:34], v[35:36]
	v_add_f64 v[10:11], v[10:11], v[29:30]
	v_add_f64 v[12:13], v[12:13], v[31:32]
.LBB187_108:
	s_or_b64 exec, exec, s[8:9]
	v_cmp_eq_u32_e64 s[8:9], 2, v27
	s_and_b64 s[62:63], s[8:9], s[14:15]
	s_barrier
	s_and_saveexec_b64 s[8:9], s[62:63]
; %bb.109:
	ds_write_b128 v26, v[10:13]
; %bb.110:
	s_or_b64 exec, exec, s[8:9]
	v_cmp_lt_u32_e64 s[8:9], 2, v27
	s_and_b64 s[64:65], s[8:9], s[14:15]
	s_waitcnt lgkmcnt(0)
	s_barrier
	s_and_saveexec_b64 s[8:9], s[64:65]
	s_cbranch_execz .LBB187_112
; %bb.111:
	ds_read_b128 v[29:32], v26
	ds_read_b128 v[33:36], v25 offset:5248
	s_waitcnt lgkmcnt(0)
	v_mul_f64 v[37:38], v[31:32], v[35:36]
	v_mul_f64 v[35:36], v[29:30], v[35:36]
	v_fma_f64 v[29:30], v[29:30], v[33:34], -v[37:38]
	v_fma_f64 v[31:32], v[31:32], v[33:34], v[35:36]
	v_add_f64 v[10:11], v[10:11], v[29:30]
	v_add_f64 v[12:13], v[12:13], v[31:32]
.LBB187_112:
	s_or_b64 exec, exec, s[8:9]
	v_cmp_eq_u32_e64 s[8:9], 3, v27
	s_and_b64 s[66:67], s[8:9], s[14:15]
	s_barrier
	s_and_saveexec_b64 s[8:9], s[66:67]
; %bb.113:
	ds_write_b128 v26, v[10:13]
; %bb.114:
	s_or_b64 exec, exec, s[8:9]
	v_cmp_lt_u32_e64 s[8:9], 3, v27
	s_and_b64 s[68:69], s[8:9], s[14:15]
	s_waitcnt lgkmcnt(0)
	s_barrier
	s_and_saveexec_b64 s[8:9], s[68:69]
	s_cbranch_execz .LBB187_116
; %bb.115:
	ds_read_b128 v[29:32], v26
	ds_read_b128 v[33:36], v25 offset:5760
	s_waitcnt lgkmcnt(0)
	v_mul_f64 v[37:38], v[31:32], v[35:36]
	v_mul_f64 v[35:36], v[29:30], v[35:36]
	v_fma_f64 v[29:30], v[29:30], v[33:34], -v[37:38]
	v_fma_f64 v[31:32], v[31:32], v[33:34], v[35:36]
	v_add_f64 v[10:11], v[10:11], v[29:30]
	v_add_f64 v[12:13], v[12:13], v[31:32]
.LBB187_116:
	s_or_b64 exec, exec, s[8:9]
	v_cmp_eq_u32_e64 s[8:9], 4, v27
	s_and_b64 s[70:71], s[8:9], s[14:15]
	s_barrier
	s_and_saveexec_b64 s[8:9], s[70:71]
; %bb.117:
	ds_write_b128 v26, v[10:13]
; %bb.118:
	s_or_b64 exec, exec, s[8:9]
	v_cmp_lt_u32_e64 s[8:9], 4, v27
	s_and_b64 s[72:73], s[8:9], s[14:15]
	s_waitcnt lgkmcnt(0)
	s_barrier
	s_and_saveexec_b64 s[8:9], s[72:73]
	s_cbranch_execz .LBB187_120
; %bb.119:
	ds_read_b128 v[29:32], v26
	ds_read_b128 v[33:36], v25 offset:6272
	s_waitcnt lgkmcnt(0)
	v_mul_f64 v[37:38], v[31:32], v[35:36]
	v_mul_f64 v[35:36], v[29:30], v[35:36]
	v_fma_f64 v[29:30], v[29:30], v[33:34], -v[37:38]
	v_fma_f64 v[31:32], v[31:32], v[33:34], v[35:36]
	v_add_f64 v[10:11], v[10:11], v[29:30]
	v_add_f64 v[12:13], v[12:13], v[31:32]
.LBB187_120:
	s_or_b64 exec, exec, s[8:9]
	v_cmp_eq_u32_e64 s[8:9], 5, v27
	s_and_b64 s[74:75], s[8:9], s[14:15]
	s_barrier
	s_and_saveexec_b64 s[8:9], s[74:75]
; %bb.121:
	ds_write_b128 v26, v[10:13]
; %bb.122:
	s_or_b64 exec, exec, s[8:9]
	v_cmp_lt_u32_e64 s[8:9], 5, v27
	s_and_b64 s[76:77], s[8:9], s[14:15]
	s_waitcnt lgkmcnt(0)
	s_barrier
	s_and_saveexec_b64 s[8:9], s[76:77]
	s_cbranch_execz .LBB187_124
; %bb.123:
	ds_read_b128 v[29:32], v26
	ds_read_b128 v[33:36], v25 offset:6784
	s_waitcnt lgkmcnt(0)
	v_mul_f64 v[37:38], v[31:32], v[35:36]
	v_mul_f64 v[35:36], v[29:30], v[35:36]
	v_fma_f64 v[29:30], v[29:30], v[33:34], -v[37:38]
	v_fma_f64 v[31:32], v[31:32], v[33:34], v[35:36]
	v_add_f64 v[10:11], v[10:11], v[29:30]
	v_add_f64 v[12:13], v[12:13], v[31:32]
.LBB187_124:
	s_or_b64 exec, exec, s[8:9]
	v_cmp_eq_u32_e64 s[8:9], 6, v27
	s_and_b64 s[78:79], s[8:9], s[14:15]
	s_barrier
	s_and_saveexec_b64 s[8:9], s[78:79]
; %bb.125:
	ds_write_b128 v26, v[10:13]
; %bb.126:
	s_or_b64 exec, exec, s[8:9]
	v_cmp_eq_u32_e64 s[8:9], 7, v27
	s_and_b64 s[52:53], s[8:9], s[14:15]
	s_waitcnt lgkmcnt(0)
	s_barrier
	s_and_saveexec_b64 s[8:9], s[52:53]
	s_cbranch_execz .LBB187_128
; %bb.127:
	v_mov_b32_e32 v33, 0
	ds_read_b128 v[29:32], v26
	ds_read_b128 v[33:36], v33 offset:7408
	s_waitcnt lgkmcnt(0)
	v_mul_f64 v[37:38], v[31:32], v[35:36]
	v_mul_f64 v[35:36], v[29:30], v[35:36]
	v_fma_f64 v[29:30], v[29:30], v[33:34], -v[37:38]
	v_fma_f64 v[31:32], v[31:32], v[33:34], v[35:36]
	v_add_f64 v[10:11], v[10:11], v[29:30]
	v_add_f64 v[12:13], v[12:13], v[31:32]
.LBB187_128:
	s_or_b64 exec, exec, s[8:9]
	s_barrier
	s_and_saveexec_b64 s[8:9], s[52:53]
; %bb.129:
	ds_write_b128 v26, v[10:13]
; %bb.130:
	s_or_b64 exec, exec, s[8:9]
	s_waitcnt lgkmcnt(0)
	s_barrier
	s_barrier
	s_and_saveexec_b64 s[8:9], s[12:13]
; %bb.131:
	v_xor_b32_e32 v11, 0x80000000, v11
	v_xor_b32_e32 v13, 0x80000000, v13
	ds_write_b128 v24, v[10:13] offset:128
; %bb.132:
	s_or_b64 exec, exec, s[8:9]
	s_waitcnt lgkmcnt(0)
	s_barrier
	s_barrier
	s_and_saveexec_b64 s[8:9], vcc
	s_cbranch_execz .LBB187_134
; %bb.133:
	s_mov_b32 s80, 0
	s_mov_b32 s81, 0x3ff00000
	;; [unrolled: 1-line block ×4, first 2 shown]
	v_mov_b32_e32 v10, s80
	v_mov_b32_e32 v29, 0
	;; [unrolled: 1-line block ×5, first 2 shown]
	ds_write_b128 v29, v[10:13] offset:4224
	ds_write_b128 v29, v[10:13] offset:4752
.LBB187_134:
	s_or_b64 exec, exec, s[8:9]
	v_mov_b32_e32 v12, 0
	v_mov_b32_e32 v10, 0
	;; [unrolled: 1-line block ×4, first 2 shown]
	s_waitcnt lgkmcnt(0)
	s_barrier
	s_and_saveexec_b64 s[10:11], s[0:1]
	s_cbranch_execz .LBB187_138
; %bb.135:
	v_mul_u32_u24_e32 v10, 0x210, v16
	ds_read_b128 v[10:13], v10 offset:4224
	ds_read_b128 v[29:32], v14 offset:4256
	v_cmp_gt_u32_e64 s[8:9], 2, v22
	s_waitcnt lgkmcnt(0)
	v_mul_f64 v[33:34], v[12:13], v[31:32]
	v_mul_f64 v[31:32], v[10:11], v[31:32]
	v_fma_f64 v[10:11], v[10:11], v[29:30], -v[33:34]
	v_fma_f64 v[12:13], v[12:13], v[29:30], v[31:32]
	v_add_f64 v[10:11], v[10:11], 0
	v_add_f64 v[12:13], v[12:13], 0
	s_and_saveexec_b64 s[14:15], s[8:9]
	s_cbranch_execz .LBB187_137
; %bb.136:
	v_lshlrev_b32_e32 v33, 4, v0
	v_mov_b32_e32 v29, 0
	ds_read_b128 v[29:32], v29 offset:4240
	ds_read_b128 v[33:36], v33 offset:4768
	s_waitcnt lgkmcnt(0)
	v_mul_f64 v[37:38], v[31:32], v[35:36]
	v_mul_f64 v[35:36], v[29:30], v[35:36]
	v_fma_f64 v[29:30], v[29:30], v[33:34], -v[37:38]
	v_fma_f64 v[31:32], v[31:32], v[33:34], v[35:36]
	v_add_f64 v[10:11], v[10:11], v[29:30]
	v_add_f64 v[12:13], v[12:13], v[31:32]
.LBB187_137:
	s_or_b64 exec, exec, s[14:15]
	v_xor_b32_e32 v11, 0x80000000, v11
	v_xor_b32_e32 v13, 0x80000000, v13
.LBB187_138:
	s_or_b64 exec, exec, s[10:11]
	s_and_saveexec_b64 s[8:9], s[38:39]
; %bb.139:
	ds_write_b128 v15, v[10:13]
; %bb.140:
	s_or_b64 exec, exec, s[8:9]
	s_waitcnt lgkmcnt(0)
	s_barrier
	s_and_saveexec_b64 s[8:9], s[36:37]
	s_cbranch_execz .LBB187_142
; %bb.141:
	v_mov_b32_e32 v33, 0
	ds_read_b128 v[29:32], v15
	ds_read_b128 v[33:36], v33 offset:5296
	s_waitcnt lgkmcnt(0)
	v_mul_f64 v[37:38], v[31:32], v[35:36]
	v_mul_f64 v[35:36], v[29:30], v[35:36]
	v_fma_f64 v[29:30], v[29:30], v[33:34], -v[37:38]
	v_fma_f64 v[31:32], v[31:32], v[33:34], v[35:36]
	v_add_f64 v[10:11], v[10:11], v[29:30]
	v_add_f64 v[12:13], v[12:13], v[31:32]
.LBB187_142:
	s_or_b64 exec, exec, s[8:9]
	s_barrier
	s_and_saveexec_b64 s[8:9], s[36:37]
; %bb.143:
	ds_write_b128 v15, v[10:13]
; %bb.144:
	s_or_b64 exec, exec, s[8:9]
	s_waitcnt lgkmcnt(0)
	s_barrier
	s_barrier
	s_and_saveexec_b64 s[8:9], s[0:1]
; %bb.145:
	v_xor_b32_e32 v11, 0x80000000, v11
	v_xor_b32_e32 v13, 0x80000000, v13
	ds_write_b128 v14, v[10:13] offset:4256
; %bb.146:
	s_or_b64 exec, exec, s[8:9]
	s_waitcnt lgkmcnt(0)
	s_barrier
	s_barrier
	s_and_saveexec_b64 s[8:9], vcc
	s_cbranch_execz .LBB187_148
; %bb.147:
	s_mov_b32 s80, 0
	s_mov_b32 s81, 0x3ff00000
	;; [unrolled: 1-line block ×4, first 2 shown]
	v_mov_b32_e32 v10, s80
	v_mov_b32_e32 v29, 0
	;; [unrolled: 1-line block ×5, first 2 shown]
	ds_write_b128 v29, v[10:13] offset:5280
	ds_write_b128 v29, v[10:13] offset:5808
.LBB187_148:
	s_or_b64 exec, exec, s[8:9]
	v_mov_b32_e32 v12, 0
	v_mov_b32_e32 v10, 0
	;; [unrolled: 1-line block ×4, first 2 shown]
	s_waitcnt lgkmcnt(0)
	s_barrier
	s_and_saveexec_b64 s[10:11], s[2:3]
	s_cbranch_execz .LBB187_154
; %bb.149:
	v_mul_u32_u24_e32 v29, 0x210, v23
	ds_read_b128 v[10:13], v29 offset:4224
	ds_read_b128 v[30:33], v17 offset:4288
	v_cmp_gt_u32_e64 s[8:9], 12, v22
	s_waitcnt lgkmcnt(0)
	v_mul_f64 v[34:35], v[12:13], v[32:33]
	v_mul_f64 v[32:33], v[10:11], v[32:33]
	v_fma_f64 v[10:11], v[10:11], v[30:31], -v[34:35]
	v_fma_f64 v[12:13], v[12:13], v[30:31], v[32:33]
	v_add_f64 v[10:11], v[10:11], 0
	v_add_f64 v[12:13], v[12:13], 0
	s_and_saveexec_b64 s[14:15], s[8:9]
	s_cbranch_execnz .LBB187_497
; %bb.150:
	s_or_b64 exec, exec, s[14:15]
	v_cmp_gt_u32_e64 s[8:9], 8, v22
	s_and_saveexec_b64 s[14:15], s[8:9]
	s_cbranch_execnz .LBB187_498
.LBB187_151:
	s_or_b64 exec, exec, s[14:15]
	v_cmp_gt_u32_e64 s[8:9], 4, v22
	s_and_saveexec_b64 s[14:15], s[8:9]
	s_cbranch_execz .LBB187_153
.LBB187_152:
	v_lshlrev_b32_e32 v33, 4, v0
	v_mov_b32_e32 v29, 0
	ds_read_b128 v[29:32], v29 offset:4272
	ds_read_b128 v[33:36], v33 offset:5824
	s_waitcnt lgkmcnt(0)
	v_mul_f64 v[37:38], v[31:32], v[35:36]
	v_mul_f64 v[35:36], v[29:30], v[35:36]
	v_fma_f64 v[29:30], v[29:30], v[33:34], -v[37:38]
	v_fma_f64 v[31:32], v[31:32], v[33:34], v[35:36]
	v_add_f64 v[10:11], v[10:11], v[29:30]
	v_add_f64 v[12:13], v[12:13], v[31:32]
.LBB187_153:
	s_or_b64 exec, exec, s[14:15]
	v_xor_b32_e32 v11, 0x80000000, v11
	v_xor_b32_e32 v13, 0x80000000, v13
.LBB187_154:
	s_or_b64 exec, exec, s[10:11]
	s_and_saveexec_b64 s[8:9], s[42:43]
; %bb.155:
	ds_write_b128 v19, v[10:13]
; %bb.156:
	s_or_b64 exec, exec, s[8:9]
	s_waitcnt lgkmcnt(0)
	s_barrier
	s_and_saveexec_b64 s[8:9], s[44:45]
	s_cbranch_execz .LBB187_158
; %bb.157:
	ds_read_b128 v[29:32], v19
	ds_read_b128 v[33:36], v18 offset:6336
	s_waitcnt lgkmcnt(0)
	v_mul_f64 v[37:38], v[31:32], v[35:36]
	v_mul_f64 v[35:36], v[29:30], v[35:36]
	v_fma_f64 v[29:30], v[29:30], v[33:34], -v[37:38]
	v_fma_f64 v[31:32], v[31:32], v[33:34], v[35:36]
	v_add_f64 v[10:11], v[10:11], v[29:30]
	v_add_f64 v[12:13], v[12:13], v[31:32]
.LBB187_158:
	s_or_b64 exec, exec, s[8:9]
	s_barrier
	s_and_saveexec_b64 s[8:9], s[46:47]
; %bb.159:
	ds_write_b128 v19, v[10:13]
; %bb.160:
	s_or_b64 exec, exec, s[8:9]
	s_waitcnt lgkmcnt(0)
	s_barrier
	s_and_saveexec_b64 s[8:9], s[48:49]
	s_cbranch_execz .LBB187_162
; %bb.161:
	ds_read_b128 v[29:32], v19
	ds_read_b128 v[33:36], v18 offset:6848
	s_waitcnt lgkmcnt(0)
	v_mul_f64 v[37:38], v[31:32], v[35:36]
	v_mul_f64 v[35:36], v[29:30], v[35:36]
	v_fma_f64 v[29:30], v[29:30], v[33:34], -v[37:38]
	v_fma_f64 v[31:32], v[31:32], v[33:34], v[35:36]
	v_add_f64 v[10:11], v[10:11], v[29:30]
	v_add_f64 v[12:13], v[12:13], v[31:32]
.LBB187_162:
	s_or_b64 exec, exec, s[8:9]
	s_barrier
	s_and_saveexec_b64 s[8:9], s[50:51]
; %bb.163:
	ds_write_b128 v19, v[10:13]
; %bb.164:
	s_or_b64 exec, exec, s[8:9]
	s_waitcnt lgkmcnt(0)
	s_barrier
	s_and_saveexec_b64 s[8:9], s[40:41]
	s_cbranch_execz .LBB187_166
; %bb.165:
	v_mov_b32_e32 v33, 0
	ds_read_b128 v[29:32], v19
	ds_read_b128 v[33:36], v33 offset:7408
	s_waitcnt lgkmcnt(0)
	v_mul_f64 v[37:38], v[31:32], v[35:36]
	v_mul_f64 v[35:36], v[29:30], v[35:36]
	v_fma_f64 v[29:30], v[29:30], v[33:34], -v[37:38]
	v_fma_f64 v[31:32], v[31:32], v[33:34], v[35:36]
	v_add_f64 v[10:11], v[10:11], v[29:30]
	v_add_f64 v[12:13], v[12:13], v[31:32]
.LBB187_166:
	s_or_b64 exec, exec, s[8:9]
	s_barrier
	s_and_saveexec_b64 s[8:9], s[40:41]
; %bb.167:
	ds_write_b128 v19, v[10:13]
; %bb.168:
	s_or_b64 exec, exec, s[8:9]
	s_waitcnt lgkmcnt(0)
	s_barrier
	s_barrier
	s_and_saveexec_b64 s[8:9], s[2:3]
; %bb.169:
	v_xor_b32_e32 v13, 0x80000000, v13
	v_xor_b32_e32 v11, 0x80000000, v11
	ds_write_b128 v17, v[10:13] offset:4288
; %bb.170:
	s_or_b64 exec, exec, s[8:9]
	s_waitcnt lgkmcnt(0)
	s_barrier
	s_barrier
	s_and_saveexec_b64 s[8:9], vcc
	s_cbranch_execz .LBB187_172
; %bb.171:
	s_mov_b32 s80, 0
	s_mov_b32 s81, 0x3ff00000
	;; [unrolled: 1-line block ×4, first 2 shown]
	v_mov_b32_e32 v10, s80
	v_mov_b32_e32 v29, 0
	;; [unrolled: 1-line block ×5, first 2 shown]
	ds_write_b128 v29, v[10:13] offset:6336
	ds_write_b128 v29, v[10:13] offset:6864
.LBB187_172:
	s_or_b64 exec, exec, s[8:9]
	v_mov_b32_e32 v12, 0
	v_mov_b32_e32 v10, 0
	v_mov_b32_e32 v13, 0
	v_mov_b32_e32 v11, 0
	s_waitcnt lgkmcnt(0)
	s_barrier
	s_and_saveexec_b64 s[10:11], s[0:1]
	s_cbranch_execz .LBB187_176
; %bb.173:
	v_mul_u32_u24_e32 v10, 0x210, v16
	ds_read_b128 v[10:13], v10 offset:6336
	ds_read_b128 v[29:32], v14 offset:6368
	v_cmp_gt_u32_e64 s[8:9], 2, v22
	s_waitcnt lgkmcnt(0)
	v_mul_f64 v[33:34], v[12:13], v[31:32]
	v_mul_f64 v[31:32], v[10:11], v[31:32]
	v_fma_f64 v[10:11], v[10:11], v[29:30], -v[33:34]
	v_fma_f64 v[12:13], v[12:13], v[29:30], v[31:32]
	v_add_f64 v[10:11], v[10:11], 0
	v_add_f64 v[12:13], v[12:13], 0
	s_and_saveexec_b64 s[14:15], s[8:9]
	s_cbranch_execz .LBB187_175
; %bb.174:
	v_lshlrev_b32_e32 v33, 4, v0
	v_mov_b32_e32 v29, 0
	ds_read_b128 v[29:32], v29 offset:6352
	ds_read_b128 v[33:36], v33 offset:6880
	s_waitcnt lgkmcnt(0)
	v_mul_f64 v[37:38], v[31:32], v[35:36]
	v_mul_f64 v[35:36], v[29:30], v[35:36]
	v_fma_f64 v[29:30], v[29:30], v[33:34], -v[37:38]
	v_fma_f64 v[31:32], v[31:32], v[33:34], v[35:36]
	v_add_f64 v[10:11], v[10:11], v[29:30]
	v_add_f64 v[12:13], v[12:13], v[31:32]
.LBB187_175:
	s_or_b64 exec, exec, s[14:15]
	v_xor_b32_e32 v11, 0x80000000, v11
	v_xor_b32_e32 v13, 0x80000000, v13
.LBB187_176:
	s_or_b64 exec, exec, s[10:11]
	s_and_saveexec_b64 s[8:9], s[38:39]
; %bb.177:
	ds_write_b128 v15, v[10:13]
; %bb.178:
	s_or_b64 exec, exec, s[8:9]
	s_waitcnt lgkmcnt(0)
	s_barrier
	s_and_saveexec_b64 s[8:9], s[36:37]
	s_cbranch_execz .LBB187_180
; %bb.179:
	v_mov_b32_e32 v33, 0
	ds_read_b128 v[29:32], v15
	ds_read_b128 v[33:36], v33 offset:7408
	s_waitcnt lgkmcnt(0)
	v_mul_f64 v[37:38], v[31:32], v[35:36]
	v_mul_f64 v[35:36], v[29:30], v[35:36]
	v_fma_f64 v[29:30], v[29:30], v[33:34], -v[37:38]
	v_fma_f64 v[31:32], v[31:32], v[33:34], v[35:36]
	v_add_f64 v[10:11], v[10:11], v[29:30]
	v_add_f64 v[12:13], v[12:13], v[31:32]
.LBB187_180:
	s_or_b64 exec, exec, s[8:9]
	s_barrier
	s_and_saveexec_b64 s[8:9], s[36:37]
; %bb.181:
	ds_write_b128 v15, v[10:13]
; %bb.182:
	s_or_b64 exec, exec, s[8:9]
	s_waitcnt lgkmcnt(0)
	s_barrier
	s_barrier
	s_and_saveexec_b64 s[8:9], s[0:1]
; %bb.183:
	v_xor_b32_e32 v11, 0x80000000, v11
	v_xor_b32_e32 v13, 0x80000000, v13
	ds_write_b128 v14, v[10:13] offset:6368
; %bb.184:
	s_or_b64 exec, exec, s[8:9]
	s_waitcnt lgkmcnt(0)
	s_barrier
	s_barrier
	s_and_saveexec_b64 s[8:9], vcc
	s_cbranch_execz .LBB187_186
; %bb.185:
	s_mov_b32 s80, 0
	s_mov_b32 s81, 0x3ff00000
	;; [unrolled: 1-line block ×4, first 2 shown]
	v_mov_b32_e32 v10, s80
	v_mov_b32_e32 v29, 0
	;; [unrolled: 1-line block ×5, first 2 shown]
	ds_write_b128 v29, v[10:13] offset:7392
	ds_write_b128 v29, v[10:13] offset:7920
.LBB187_186:
	s_or_b64 exec, exec, s[8:9]
	v_and_b32_e32 v30, 15, v0
	s_movk_i32 s8, 0xff
	v_lshrrev_b32_e32 v32, 4, v22
	v_cmp_lt_u32_e64 s[10:11], s8, v22
	s_movk_i32 s8, 0x100
	v_lshlrev_b32_e32 v31, 4, v30
	v_mov_b32_e32 v12, 0
	v_mov_b32_e32 v10, 0
	v_cmp_gt_u32_e64 s[8:9], s8, v22
	v_mov_b32_e32 v13, 0
	v_mov_b32_e32 v11, 0
	v_lshl_or_b32 v29, v32, 9, v31
	s_waitcnt lgkmcnt(0)
	s_barrier
	s_and_saveexec_b64 s[80:81], s[8:9]
	s_cbranch_execz .LBB187_214
; %bb.187:
	v_mul_u32_u24_e32 v33, 0x210, v32
	ds_read_b128 v[10:13], v33
	ds_read_b128 v[34:37], v29 offset:256
	s_movk_i32 s14, 0xf0
	v_cmp_gt_u32_e64 s[14:15], s14, v22
	s_waitcnt lgkmcnt(0)
	v_mul_f64 v[38:39], v[12:13], v[36:37]
	v_mul_f64 v[36:37], v[10:11], v[36:37]
	v_fma_f64 v[10:11], v[10:11], v[34:35], -v[38:39]
	v_fma_f64 v[12:13], v[12:13], v[34:35], v[36:37]
	v_add_f64 v[10:11], v[10:11], 0
	v_add_f64 v[12:13], v[12:13], 0
	s_and_saveexec_b64 s[82:83], s[14:15]
	s_cbranch_execz .LBB187_189
; %bb.188:
	ds_read_b128 v[34:37], v33 offset:16
	ds_read_b128 v[38:41], v29 offset:768
	s_waitcnt lgkmcnt(0)
	v_mul_f64 v[42:43], v[36:37], v[40:41]
	v_mul_f64 v[40:41], v[34:35], v[40:41]
	v_fma_f64 v[34:35], v[34:35], v[38:39], -v[42:43]
	v_fma_f64 v[36:37], v[36:37], v[38:39], v[40:41]
	v_add_f64 v[10:11], v[10:11], v[34:35]
	v_add_f64 v[12:13], v[12:13], v[36:37]
.LBB187_189:
	s_or_b64 exec, exec, s[82:83]
	s_movk_i32 s14, 0xe0
	v_cmp_gt_u32_e64 s[14:15], s14, v22
	s_and_saveexec_b64 s[82:83], s[14:15]
	s_cbranch_execz .LBB187_191
; %bb.190:
	ds_read_b128 v[34:37], v33 offset:32
	ds_read_b128 v[38:41], v29 offset:1280
	s_waitcnt lgkmcnt(0)
	v_mul_f64 v[42:43], v[36:37], v[40:41]
	v_mul_f64 v[40:41], v[34:35], v[40:41]
	v_fma_f64 v[34:35], v[34:35], v[38:39], -v[42:43]
	v_fma_f64 v[36:37], v[36:37], v[38:39], v[40:41]
	v_add_f64 v[10:11], v[10:11], v[34:35]
	v_add_f64 v[12:13], v[12:13], v[36:37]
.LBB187_191:
	s_or_b64 exec, exec, s[82:83]
	s_movk_i32 s14, 0xd0
	v_cmp_gt_u32_e64 s[14:15], s14, v22
	;; [unrolled: 16-line block ×10, first 2 shown]
	s_and_saveexec_b64 s[82:83], s[14:15]
	s_cbranch_execnz .LBB187_499
; %bb.208:
	s_or_b64 exec, exec, s[82:83]
	v_cmp_gt_u32_e64 s[14:15], 64, v22
	s_and_saveexec_b64 s[82:83], s[14:15]
	s_cbranch_execnz .LBB187_500
.LBB187_209:
	s_or_b64 exec, exec, s[82:83]
	v_cmp_gt_u32_e64 s[14:15], 48, v22
	s_and_saveexec_b64 s[82:83], s[14:15]
	s_cbranch_execnz .LBB187_501
.LBB187_210:
	s_or_b64 exec, exec, s[82:83]
	v_cmp_gt_u32_e64 s[14:15], 32, v22
	s_and_saveexec_b64 s[82:83], s[14:15]
	s_cbranch_execnz .LBB187_502
.LBB187_211:
	s_or_b64 exec, exec, s[82:83]
	v_cmp_gt_u32_e64 s[14:15], 16, v22
	s_and_saveexec_b64 s[82:83], s[14:15]
	s_cbranch_execz .LBB187_213
.LBB187_212:
	v_lshlrev_b32_e32 v37, 4, v0
	v_mov_b32_e32 v33, 0
	ds_read_b128 v[33:36], v33 offset:240
	ds_read_b128 v[37:40], v37 offset:7936
	s_waitcnt lgkmcnt(0)
	v_mul_f64 v[41:42], v[35:36], v[39:40]
	v_mul_f64 v[39:40], v[33:34], v[39:40]
	v_fma_f64 v[33:34], v[33:34], v[37:38], -v[41:42]
	v_fma_f64 v[35:36], v[35:36], v[37:38], v[39:40]
	v_add_f64 v[10:11], v[10:11], v[33:34]
	v_add_f64 v[12:13], v[12:13], v[35:36]
.LBB187_213:
	s_or_b64 exec, exec, s[82:83]
	v_xor_b32_e32 v11, 0x80000000, v11
	v_xor_b32_e32 v13, 0x80000000, v13
.LBB187_214:
	s_or_b64 exec, exec, s[80:81]
	v_mov_b32_e32 v33, 0x4000
	v_cmp_eq_u32_e64 s[14:15], 0, v30
	s_xor_b64 s[80:81], s[10:11], -1
	v_lshl_add_u32 v32, v32, 4, v33
	s_and_b64 s[14:15], s[14:15], s[80:81]
	s_and_saveexec_b64 s[10:11], s[14:15]
; %bb.215:
	ds_write_b128 v32, v[10:13]
; %bb.216:
	s_or_b64 exec, exec, s[10:11]
	v_cmp_ne_u32_e64 s[10:11], 0, v30
	s_and_b64 s[14:15], s[10:11], s[80:81]
	s_waitcnt lgkmcnt(0)
	s_barrier
	s_and_saveexec_b64 s[10:11], s[14:15]
	s_cbranch_execz .LBB187_218
; %bb.217:
	ds_read_b128 v[33:36], v32
	ds_read_b128 v[37:40], v31 offset:8448
	s_waitcnt lgkmcnt(0)
	v_mul_f64 v[41:42], v[35:36], v[39:40]
	v_mul_f64 v[39:40], v[33:34], v[39:40]
	v_fma_f64 v[33:34], v[33:34], v[37:38], -v[41:42]
	v_fma_f64 v[35:36], v[35:36], v[37:38], v[39:40]
	v_add_f64 v[10:11], v[10:11], v[33:34]
	v_add_f64 v[12:13], v[12:13], v[35:36]
.LBB187_218:
	s_or_b64 exec, exec, s[10:11]
	v_cmp_eq_u32_e64 s[10:11], 1, v30
	s_and_b64 s[14:15], s[10:11], s[80:81]
	s_barrier
	s_and_saveexec_b64 s[10:11], s[14:15]
; %bb.219:
	ds_write_b128 v32, v[10:13]
; %bb.220:
	s_or_b64 exec, exec, s[10:11]
	v_cmp_lt_u32_e64 s[10:11], 1, v30
	s_and_b64 s[14:15], s[10:11], s[80:81]
	s_waitcnt lgkmcnt(0)
	s_barrier
	s_and_saveexec_b64 s[10:11], s[14:15]
	s_cbranch_execz .LBB187_222
; %bb.221:
	ds_read_b128 v[33:36], v32
	ds_read_b128 v[37:40], v31 offset:8960
	s_waitcnt lgkmcnt(0)
	v_mul_f64 v[41:42], v[35:36], v[39:40]
	v_mul_f64 v[39:40], v[33:34], v[39:40]
	v_fma_f64 v[33:34], v[33:34], v[37:38], -v[41:42]
	v_fma_f64 v[35:36], v[35:36], v[37:38], v[39:40]
	v_add_f64 v[10:11], v[10:11], v[33:34]
	v_add_f64 v[12:13], v[12:13], v[35:36]
.LBB187_222:
	s_or_b64 exec, exec, s[10:11]
	v_cmp_eq_u32_e64 s[10:11], 2, v30
	s_and_b64 s[14:15], s[10:11], s[80:81]
	s_barrier
	s_and_saveexec_b64 s[10:11], s[14:15]
; %bb.223:
	ds_write_b128 v32, v[10:13]
; %bb.224:
	s_or_b64 exec, exec, s[10:11]
	v_cmp_lt_u32_e64 s[10:11], 2, v30
	;; [unrolled: 26-line block ×13, first 2 shown]
	s_and_b64 s[14:15], s[10:11], s[80:81]
	s_waitcnt lgkmcnt(0)
	s_barrier
	s_and_saveexec_b64 s[10:11], s[14:15]
	s_cbranch_execz .LBB187_270
; %bb.269:
	ds_read_b128 v[33:36], v32
	ds_read_b128 v[37:40], v31 offset:15104
	s_waitcnt lgkmcnt(0)
	v_mul_f64 v[41:42], v[35:36], v[39:40]
	v_mul_f64 v[39:40], v[33:34], v[39:40]
	v_fma_f64 v[33:34], v[33:34], v[37:38], -v[41:42]
	v_fma_f64 v[35:36], v[35:36], v[37:38], v[39:40]
	v_add_f64 v[10:11], v[10:11], v[33:34]
	v_add_f64 v[12:13], v[12:13], v[35:36]
.LBB187_270:
	s_or_b64 exec, exec, s[10:11]
	v_cmp_eq_u32_e64 s[10:11], 14, v30
	s_and_b64 s[14:15], s[10:11], s[80:81]
	s_barrier
	s_and_saveexec_b64 s[10:11], s[14:15]
; %bb.271:
	ds_write_b128 v32, v[10:13]
; %bb.272:
	s_or_b64 exec, exec, s[10:11]
	v_cmp_eq_u32_e64 s[10:11], 15, v30
	s_and_b64 s[10:11], s[10:11], s[80:81]
	s_waitcnt lgkmcnt(0)
	s_barrier
	s_and_saveexec_b64 s[14:15], s[10:11]
	s_cbranch_execz .LBB187_274
; %bb.273:
	v_mov_b32_e32 v30, 0
	ds_read_b128 v[33:36], v32
	ds_read_b128 v[37:40], v30 offset:15856
	s_waitcnt lgkmcnt(0)
	v_mul_f64 v[30:31], v[35:36], v[39:40]
	v_mul_f64 v[39:40], v[33:34], v[39:40]
	v_fma_f64 v[30:31], v[33:34], v[37:38], -v[30:31]
	v_fma_f64 v[33:34], v[35:36], v[37:38], v[39:40]
	v_add_f64 v[10:11], v[10:11], v[30:31]
	v_add_f64 v[12:13], v[12:13], v[33:34]
.LBB187_274:
	s_or_b64 exec, exec, s[14:15]
	s_barrier
	s_and_saveexec_b64 s[14:15], s[10:11]
; %bb.275:
	ds_write_b128 v32, v[10:13]
; %bb.276:
	s_or_b64 exec, exec, s[14:15]
	s_waitcnt lgkmcnt(0)
	s_barrier
	s_barrier
	s_and_saveexec_b64 s[10:11], s[8:9]
; %bb.277:
	v_xor_b32_e32 v13, 0x80000000, v13
	v_xor_b32_e32 v11, 0x80000000, v11
	ds_write_b128 v29, v[10:13] offset:256
; %bb.278:
	s_or_b64 exec, exec, s[10:11]
	s_waitcnt lgkmcnt(0)
	s_barrier
	s_barrier
	s_and_saveexec_b64 s[8:9], vcc
	s_cbranch_execz .LBB187_280
; %bb.279:
	s_mov_b32 s80, 0
	s_mov_b32 s81, 0x3ff00000
	;; [unrolled: 1-line block ×4, first 2 shown]
	v_mov_b32_e32 v10, s80
	v_mov_b32_e32 v29, 0
	;; [unrolled: 1-line block ×5, first 2 shown]
	ds_write_b128 v29, v[10:13] offset:8448
	ds_write_b128 v29, v[10:13] offset:8976
.LBB187_280:
	s_or_b64 exec, exec, s[8:9]
	v_mov_b32_e32 v12, 0
	v_mov_b32_e32 v10, 0
	v_mov_b32_e32 v13, 0
	v_mov_b32_e32 v11, 0
	s_waitcnt lgkmcnt(0)
	s_barrier
	s_and_saveexec_b64 s[10:11], s[0:1]
	s_cbranch_execz .LBB187_284
; %bb.281:
	v_mul_u32_u24_e32 v10, 0x210, v16
	ds_read_b128 v[10:13], v10 offset:8448
	ds_read_b128 v[29:32], v14 offset:8480
	v_cmp_gt_u32_e64 s[8:9], 2, v22
	s_waitcnt lgkmcnt(0)
	v_mul_f64 v[33:34], v[12:13], v[31:32]
	v_mul_f64 v[31:32], v[10:11], v[31:32]
	v_fma_f64 v[10:11], v[10:11], v[29:30], -v[33:34]
	v_fma_f64 v[12:13], v[12:13], v[29:30], v[31:32]
	v_add_f64 v[10:11], v[10:11], 0
	v_add_f64 v[12:13], v[12:13], 0
	s_and_saveexec_b64 s[14:15], s[8:9]
	s_cbranch_execz .LBB187_283
; %bb.282:
	v_lshlrev_b32_e32 v33, 4, v0
	v_mov_b32_e32 v29, 0
	ds_read_b128 v[29:32], v29 offset:8464
	ds_read_b128 v[33:36], v33 offset:8992
	s_waitcnt lgkmcnt(0)
	v_mul_f64 v[37:38], v[31:32], v[35:36]
	v_mul_f64 v[35:36], v[29:30], v[35:36]
	v_fma_f64 v[29:30], v[29:30], v[33:34], -v[37:38]
	v_fma_f64 v[31:32], v[31:32], v[33:34], v[35:36]
	v_add_f64 v[10:11], v[10:11], v[29:30]
	v_add_f64 v[12:13], v[12:13], v[31:32]
.LBB187_283:
	s_or_b64 exec, exec, s[14:15]
	v_xor_b32_e32 v11, 0x80000000, v11
	v_xor_b32_e32 v13, 0x80000000, v13
.LBB187_284:
	s_or_b64 exec, exec, s[10:11]
	s_and_saveexec_b64 s[8:9], s[38:39]
; %bb.285:
	ds_write_b128 v15, v[10:13]
; %bb.286:
	s_or_b64 exec, exec, s[8:9]
	s_waitcnt lgkmcnt(0)
	s_barrier
	s_and_saveexec_b64 s[8:9], s[36:37]
	s_cbranch_execz .LBB187_288
; %bb.287:
	v_mov_b32_e32 v33, 0
	ds_read_b128 v[29:32], v15
	ds_read_b128 v[33:36], v33 offset:9520
	s_waitcnt lgkmcnt(0)
	v_mul_f64 v[37:38], v[31:32], v[35:36]
	v_mul_f64 v[35:36], v[29:30], v[35:36]
	v_fma_f64 v[29:30], v[29:30], v[33:34], -v[37:38]
	v_fma_f64 v[31:32], v[31:32], v[33:34], v[35:36]
	v_add_f64 v[10:11], v[10:11], v[29:30]
	v_add_f64 v[12:13], v[12:13], v[31:32]
.LBB187_288:
	s_or_b64 exec, exec, s[8:9]
	s_barrier
	s_and_saveexec_b64 s[8:9], s[36:37]
; %bb.289:
	ds_write_b128 v15, v[10:13]
; %bb.290:
	s_or_b64 exec, exec, s[8:9]
	s_waitcnt lgkmcnt(0)
	s_barrier
	s_barrier
	s_and_saveexec_b64 s[8:9], s[0:1]
; %bb.291:
	v_xor_b32_e32 v11, 0x80000000, v11
	v_xor_b32_e32 v13, 0x80000000, v13
	ds_write_b128 v14, v[10:13] offset:8480
; %bb.292:
	s_or_b64 exec, exec, s[8:9]
	s_waitcnt lgkmcnt(0)
	s_barrier
	s_barrier
	s_and_saveexec_b64 s[8:9], vcc
	s_cbranch_execz .LBB187_294
; %bb.293:
	s_mov_b32 s80, 0
	s_mov_b32 s81, 0x3ff00000
	;; [unrolled: 1-line block ×4, first 2 shown]
	v_mov_b32_e32 v10, s80
	v_mov_b32_e32 v29, 0
	;; [unrolled: 1-line block ×5, first 2 shown]
	ds_write_b128 v29, v[10:13] offset:9504
	ds_write_b128 v29, v[10:13] offset:10032
.LBB187_294:
	s_or_b64 exec, exec, s[8:9]
	v_mov_b32_e32 v12, 0
	v_mov_b32_e32 v10, 0
	;; [unrolled: 1-line block ×4, first 2 shown]
	s_waitcnt lgkmcnt(0)
	s_barrier
	s_and_saveexec_b64 s[10:11], s[2:3]
	s_cbranch_execz .LBB187_300
; %bb.295:
	v_mul_u32_u24_e32 v29, 0x210, v23
	ds_read_b128 v[10:13], v29 offset:8448
	ds_read_b128 v[30:33], v17 offset:8512
	v_cmp_gt_u32_e64 s[8:9], 12, v22
	s_waitcnt lgkmcnt(0)
	v_mul_f64 v[34:35], v[12:13], v[32:33]
	v_mul_f64 v[32:33], v[10:11], v[32:33]
	v_fma_f64 v[10:11], v[10:11], v[30:31], -v[34:35]
	v_fma_f64 v[12:13], v[12:13], v[30:31], v[32:33]
	v_add_f64 v[10:11], v[10:11], 0
	v_add_f64 v[12:13], v[12:13], 0
	s_and_saveexec_b64 s[14:15], s[8:9]
	s_cbranch_execnz .LBB187_503
; %bb.296:
	s_or_b64 exec, exec, s[14:15]
	v_cmp_gt_u32_e64 s[8:9], 8, v22
	s_and_saveexec_b64 s[14:15], s[8:9]
	s_cbranch_execnz .LBB187_504
.LBB187_297:
	s_or_b64 exec, exec, s[14:15]
	v_cmp_gt_u32_e64 s[8:9], 4, v22
	s_and_saveexec_b64 s[14:15], s[8:9]
	s_cbranch_execz .LBB187_299
.LBB187_298:
	v_lshlrev_b32_e32 v33, 4, v0
	v_mov_b32_e32 v29, 0
	ds_read_b128 v[29:32], v29 offset:8496
	ds_read_b128 v[33:36], v33 offset:10048
	s_waitcnt lgkmcnt(0)
	v_mul_f64 v[37:38], v[31:32], v[35:36]
	v_mul_f64 v[35:36], v[29:30], v[35:36]
	v_fma_f64 v[29:30], v[29:30], v[33:34], -v[37:38]
	v_fma_f64 v[31:32], v[31:32], v[33:34], v[35:36]
	v_add_f64 v[10:11], v[10:11], v[29:30]
	v_add_f64 v[12:13], v[12:13], v[31:32]
.LBB187_299:
	s_or_b64 exec, exec, s[14:15]
	v_xor_b32_e32 v11, 0x80000000, v11
	v_xor_b32_e32 v13, 0x80000000, v13
.LBB187_300:
	s_or_b64 exec, exec, s[10:11]
	s_and_saveexec_b64 s[8:9], s[42:43]
; %bb.301:
	ds_write_b128 v19, v[10:13]
; %bb.302:
	s_or_b64 exec, exec, s[8:9]
	s_waitcnt lgkmcnt(0)
	s_barrier
	s_and_saveexec_b64 s[8:9], s[44:45]
	s_cbranch_execz .LBB187_304
; %bb.303:
	ds_read_b128 v[29:32], v19
	ds_read_b128 v[33:36], v18 offset:10560
	s_waitcnt lgkmcnt(0)
	v_mul_f64 v[37:38], v[31:32], v[35:36]
	v_mul_f64 v[35:36], v[29:30], v[35:36]
	v_fma_f64 v[29:30], v[29:30], v[33:34], -v[37:38]
	v_fma_f64 v[31:32], v[31:32], v[33:34], v[35:36]
	v_add_f64 v[10:11], v[10:11], v[29:30]
	v_add_f64 v[12:13], v[12:13], v[31:32]
.LBB187_304:
	s_or_b64 exec, exec, s[8:9]
	s_barrier
	s_and_saveexec_b64 s[8:9], s[46:47]
; %bb.305:
	ds_write_b128 v19, v[10:13]
; %bb.306:
	s_or_b64 exec, exec, s[8:9]
	s_waitcnt lgkmcnt(0)
	s_barrier
	s_and_saveexec_b64 s[8:9], s[48:49]
	s_cbranch_execz .LBB187_308
; %bb.307:
	ds_read_b128 v[29:32], v19
	ds_read_b128 v[33:36], v18 offset:11072
	s_waitcnt lgkmcnt(0)
	v_mul_f64 v[37:38], v[31:32], v[35:36]
	v_mul_f64 v[35:36], v[29:30], v[35:36]
	v_fma_f64 v[29:30], v[29:30], v[33:34], -v[37:38]
	v_fma_f64 v[31:32], v[31:32], v[33:34], v[35:36]
	v_add_f64 v[10:11], v[10:11], v[29:30]
	v_add_f64 v[12:13], v[12:13], v[31:32]
.LBB187_308:
	s_or_b64 exec, exec, s[8:9]
	s_barrier
	s_and_saveexec_b64 s[8:9], s[50:51]
; %bb.309:
	ds_write_b128 v19, v[10:13]
; %bb.310:
	s_or_b64 exec, exec, s[8:9]
	s_waitcnt lgkmcnt(0)
	s_barrier
	s_and_saveexec_b64 s[8:9], s[40:41]
	s_cbranch_execz .LBB187_312
; %bb.311:
	v_mov_b32_e32 v33, 0
	ds_read_b128 v[29:32], v19
	ds_read_b128 v[33:36], v33 offset:11632
	s_waitcnt lgkmcnt(0)
	v_mul_f64 v[37:38], v[31:32], v[35:36]
	v_mul_f64 v[35:36], v[29:30], v[35:36]
	v_fma_f64 v[29:30], v[29:30], v[33:34], -v[37:38]
	v_fma_f64 v[31:32], v[31:32], v[33:34], v[35:36]
	v_add_f64 v[10:11], v[10:11], v[29:30]
	v_add_f64 v[12:13], v[12:13], v[31:32]
.LBB187_312:
	s_or_b64 exec, exec, s[8:9]
	s_barrier
	s_and_saveexec_b64 s[8:9], s[40:41]
; %bb.313:
	ds_write_b128 v19, v[10:13]
; %bb.314:
	s_or_b64 exec, exec, s[8:9]
	s_waitcnt lgkmcnt(0)
	s_barrier
	s_barrier
	s_and_saveexec_b64 s[8:9], s[2:3]
; %bb.315:
	v_xor_b32_e32 v13, 0x80000000, v13
	v_xor_b32_e32 v11, 0x80000000, v11
	ds_write_b128 v17, v[10:13] offset:8512
; %bb.316:
	s_or_b64 exec, exec, s[8:9]
	s_waitcnt lgkmcnt(0)
	s_barrier
	s_barrier
	s_and_saveexec_b64 s[8:9], vcc
	s_cbranch_execz .LBB187_318
; %bb.317:
	s_mov_b32 s80, 0
	s_mov_b32 s81, 0x3ff00000
	;; [unrolled: 1-line block ×4, first 2 shown]
	v_mov_b32_e32 v10, s80
	v_mov_b32_e32 v29, 0
	;; [unrolled: 1-line block ×5, first 2 shown]
	ds_write_b128 v29, v[10:13] offset:10560
	ds_write_b128 v29, v[10:13] offset:11088
.LBB187_318:
	s_or_b64 exec, exec, s[8:9]
	v_mov_b32_e32 v12, 0
	v_mov_b32_e32 v10, 0
	;; [unrolled: 1-line block ×4, first 2 shown]
	s_waitcnt lgkmcnt(0)
	s_barrier
	s_and_saveexec_b64 s[10:11], s[0:1]
	s_cbranch_execz .LBB187_322
; %bb.319:
	v_mul_u32_u24_e32 v10, 0x210, v16
	ds_read_b128 v[10:13], v10 offset:10560
	ds_read_b128 v[29:32], v14 offset:10592
	v_cmp_gt_u32_e64 s[8:9], 2, v22
	s_waitcnt lgkmcnt(0)
	v_mul_f64 v[33:34], v[12:13], v[31:32]
	v_mul_f64 v[31:32], v[10:11], v[31:32]
	v_fma_f64 v[10:11], v[10:11], v[29:30], -v[33:34]
	v_fma_f64 v[12:13], v[12:13], v[29:30], v[31:32]
	v_add_f64 v[10:11], v[10:11], 0
	v_add_f64 v[12:13], v[12:13], 0
	s_and_saveexec_b64 s[14:15], s[8:9]
	s_cbranch_execz .LBB187_321
; %bb.320:
	v_lshlrev_b32_e32 v33, 4, v0
	v_mov_b32_e32 v29, 0
	ds_read_b128 v[29:32], v29 offset:10576
	ds_read_b128 v[33:36], v33 offset:11104
	s_waitcnt lgkmcnt(0)
	v_mul_f64 v[37:38], v[31:32], v[35:36]
	v_mul_f64 v[35:36], v[29:30], v[35:36]
	v_fma_f64 v[29:30], v[29:30], v[33:34], -v[37:38]
	v_fma_f64 v[31:32], v[31:32], v[33:34], v[35:36]
	v_add_f64 v[10:11], v[10:11], v[29:30]
	v_add_f64 v[12:13], v[12:13], v[31:32]
.LBB187_321:
	s_or_b64 exec, exec, s[14:15]
	v_xor_b32_e32 v11, 0x80000000, v11
	v_xor_b32_e32 v13, 0x80000000, v13
.LBB187_322:
	s_or_b64 exec, exec, s[10:11]
	s_and_saveexec_b64 s[8:9], s[38:39]
; %bb.323:
	ds_write_b128 v15, v[10:13]
; %bb.324:
	s_or_b64 exec, exec, s[8:9]
	s_waitcnt lgkmcnt(0)
	s_barrier
	s_and_saveexec_b64 s[8:9], s[36:37]
	s_cbranch_execz .LBB187_326
; %bb.325:
	v_mov_b32_e32 v33, 0
	ds_read_b128 v[29:32], v15
	ds_read_b128 v[33:36], v33 offset:11632
	s_waitcnt lgkmcnt(0)
	v_mul_f64 v[37:38], v[31:32], v[35:36]
	v_mul_f64 v[35:36], v[29:30], v[35:36]
	v_fma_f64 v[29:30], v[29:30], v[33:34], -v[37:38]
	v_fma_f64 v[31:32], v[31:32], v[33:34], v[35:36]
	v_add_f64 v[10:11], v[10:11], v[29:30]
	v_add_f64 v[12:13], v[12:13], v[31:32]
.LBB187_326:
	s_or_b64 exec, exec, s[8:9]
	s_barrier
	s_and_saveexec_b64 s[8:9], s[36:37]
; %bb.327:
	ds_write_b128 v15, v[10:13]
; %bb.328:
	s_or_b64 exec, exec, s[8:9]
	s_waitcnt lgkmcnt(0)
	s_barrier
	s_barrier
	s_and_saveexec_b64 s[8:9], s[0:1]
; %bb.329:
	v_xor_b32_e32 v11, 0x80000000, v11
	v_xor_b32_e32 v13, 0x80000000, v13
	ds_write_b128 v14, v[10:13] offset:10592
; %bb.330:
	s_or_b64 exec, exec, s[8:9]
	s_waitcnt lgkmcnt(0)
	s_barrier
	s_barrier
	s_and_saveexec_b64 s[8:9], vcc
	s_cbranch_execz .LBB187_332
; %bb.331:
	s_mov_b32 s80, 0
	s_mov_b32 s81, 0x3ff00000
	;; [unrolled: 1-line block ×4, first 2 shown]
	v_mov_b32_e32 v10, s80
	v_mov_b32_e32 v29, 0
	;; [unrolled: 1-line block ×5, first 2 shown]
	ds_write_b128 v29, v[10:13] offset:11616
	ds_write_b128 v29, v[10:13] offset:12144
.LBB187_332:
	s_or_b64 exec, exec, s[8:9]
	v_mov_b32_e32 v12, 0
	v_mov_b32_e32 v10, 0
	v_mov_b32_e32 v13, 0
	v_mov_b32_e32 v11, 0
	s_waitcnt lgkmcnt(0)
	s_barrier
	s_and_saveexec_b64 s[10:11], s[12:13]
	s_cbranch_execz .LBB187_342
; %bb.333:
	v_mul_u32_u24_e32 v29, 0x210, v28
	ds_read_b128 v[10:13], v29 offset:8448
	ds_read_b128 v[30:33], v24 offset:8576
	v_cmp_gt_u32_e64 s[8:9], 56, v22
	s_waitcnt lgkmcnt(0)
	v_mul_f64 v[34:35], v[12:13], v[32:33]
	v_mul_f64 v[32:33], v[10:11], v[32:33]
	v_fma_f64 v[10:11], v[10:11], v[30:31], -v[34:35]
	v_fma_f64 v[12:13], v[12:13], v[30:31], v[32:33]
	v_add_f64 v[10:11], v[10:11], 0
	v_add_f64 v[12:13], v[12:13], 0
	s_and_saveexec_b64 s[14:15], s[8:9]
	s_cbranch_execnz .LBB187_505
; %bb.334:
	s_or_b64 exec, exec, s[14:15]
	v_cmp_gt_u32_e64 s[8:9], 48, v22
	s_and_saveexec_b64 s[14:15], s[8:9]
	s_cbranch_execnz .LBB187_506
.LBB187_335:
	s_or_b64 exec, exec, s[14:15]
	v_cmp_gt_u32_e64 s[8:9], 40, v22
	s_and_saveexec_b64 s[14:15], s[8:9]
	s_cbranch_execnz .LBB187_507
.LBB187_336:
	s_or_b64 exec, exec, s[14:15]
	v_cmp_gt_u32_e64 s[8:9], 32, v22
	s_and_saveexec_b64 s[14:15], s[8:9]
	s_cbranch_execnz .LBB187_508
.LBB187_337:
	s_or_b64 exec, exec, s[14:15]
	v_cmp_gt_u32_e64 s[8:9], 24, v22
	s_and_saveexec_b64 s[14:15], s[8:9]
	s_cbranch_execnz .LBB187_509
.LBB187_338:
	s_or_b64 exec, exec, s[14:15]
	v_cmp_gt_u32_e64 s[8:9], 16, v22
	s_and_saveexec_b64 s[14:15], s[8:9]
	s_cbranch_execnz .LBB187_510
.LBB187_339:
	s_or_b64 exec, exec, s[14:15]
	v_cmp_gt_u32_e64 s[8:9], 8, v22
	s_and_saveexec_b64 s[14:15], s[8:9]
	s_cbranch_execz .LBB187_341
.LBB187_340:
	v_lshlrev_b32_e32 v31, 4, v0
	v_mov_b32_e32 v27, 0
	ds_read_b128 v[27:30], v27 offset:8560
	ds_read_b128 v[31:34], v31 offset:12160
	s_waitcnt lgkmcnt(0)
	v_mul_f64 v[35:36], v[29:30], v[33:34]
	v_mul_f64 v[33:34], v[27:28], v[33:34]
	v_fma_f64 v[27:28], v[27:28], v[31:32], -v[35:36]
	v_fma_f64 v[29:30], v[29:30], v[31:32], v[33:34]
	v_add_f64 v[10:11], v[10:11], v[27:28]
	v_add_f64 v[12:13], v[12:13], v[29:30]
.LBB187_341:
	s_or_b64 exec, exec, s[14:15]
	v_xor_b32_e32 v11, 0x80000000, v11
	v_xor_b32_e32 v13, 0x80000000, v13
.LBB187_342:
	s_or_b64 exec, exec, s[10:11]
	s_and_saveexec_b64 s[8:9], s[54:55]
; %bb.343:
	ds_write_b128 v26, v[10:13]
; %bb.344:
	s_or_b64 exec, exec, s[8:9]
	s_waitcnt lgkmcnt(0)
	s_barrier
	s_and_saveexec_b64 s[8:9], s[56:57]
	s_cbranch_execz .LBB187_346
; %bb.345:
	ds_read_b128 v[27:30], v26
	ds_read_b128 v[31:34], v25 offset:12672
	s_waitcnt lgkmcnt(0)
	v_mul_f64 v[35:36], v[29:30], v[33:34]
	v_mul_f64 v[33:34], v[27:28], v[33:34]
	v_fma_f64 v[27:28], v[27:28], v[31:32], -v[35:36]
	v_fma_f64 v[29:30], v[29:30], v[31:32], v[33:34]
	v_add_f64 v[10:11], v[10:11], v[27:28]
	v_add_f64 v[12:13], v[12:13], v[29:30]
.LBB187_346:
	s_or_b64 exec, exec, s[8:9]
	s_barrier
	s_and_saveexec_b64 s[8:9], s[58:59]
; %bb.347:
	ds_write_b128 v26, v[10:13]
; %bb.348:
	s_or_b64 exec, exec, s[8:9]
	s_waitcnt lgkmcnt(0)
	s_barrier
	s_and_saveexec_b64 s[8:9], s[60:61]
	s_cbranch_execz .LBB187_350
; %bb.349:
	ds_read_b128 v[27:30], v26
	ds_read_b128 v[31:34], v25 offset:13184
	s_waitcnt lgkmcnt(0)
	v_mul_f64 v[35:36], v[29:30], v[33:34]
	v_mul_f64 v[33:34], v[27:28], v[33:34]
	v_fma_f64 v[27:28], v[27:28], v[31:32], -v[35:36]
	v_fma_f64 v[29:30], v[29:30], v[31:32], v[33:34]
	v_add_f64 v[10:11], v[10:11], v[27:28]
	v_add_f64 v[12:13], v[12:13], v[29:30]
.LBB187_350:
	s_or_b64 exec, exec, s[8:9]
	s_barrier
	;; [unrolled: 22-line block ×6, first 2 shown]
	s_and_saveexec_b64 s[8:9], s[78:79]
; %bb.367:
	ds_write_b128 v26, v[10:13]
; %bb.368:
	s_or_b64 exec, exec, s[8:9]
	s_waitcnt lgkmcnt(0)
	s_barrier
	s_and_saveexec_b64 s[8:9], s[52:53]
	s_cbranch_execz .LBB187_370
; %bb.369:
	v_mov_b32_e32 v25, 0
	ds_read_b128 v[27:30], v26
	ds_read_b128 v[31:34], v25 offset:15856
	s_waitcnt lgkmcnt(0)
	v_mul_f64 v[35:36], v[29:30], v[33:34]
	v_mul_f64 v[33:34], v[27:28], v[33:34]
	v_fma_f64 v[27:28], v[27:28], v[31:32], -v[35:36]
	v_fma_f64 v[29:30], v[29:30], v[31:32], v[33:34]
	v_add_f64 v[10:11], v[10:11], v[27:28]
	v_add_f64 v[12:13], v[12:13], v[29:30]
.LBB187_370:
	s_or_b64 exec, exec, s[8:9]
	s_barrier
	s_and_saveexec_b64 s[8:9], s[52:53]
; %bb.371:
	ds_write_b128 v26, v[10:13]
; %bb.372:
	s_or_b64 exec, exec, s[8:9]
	s_waitcnt lgkmcnt(0)
	s_barrier
	s_barrier
	s_and_saveexec_b64 s[8:9], s[12:13]
; %bb.373:
	v_xor_b32_e32 v11, 0x80000000, v11
	v_xor_b32_e32 v13, 0x80000000, v13
	ds_write_b128 v24, v[10:13] offset:8576
; %bb.374:
	s_or_b64 exec, exec, s[8:9]
	s_waitcnt lgkmcnt(0)
	s_barrier
	s_barrier
	s_and_saveexec_b64 s[8:9], vcc
	s_cbranch_execz .LBB187_376
; %bb.375:
	s_mov_b32 s12, 0
	s_mov_b32 s13, 0x3ff00000
	;; [unrolled: 1-line block ×4, first 2 shown]
	v_mov_b32_e32 v10, s12
	v_mov_b32_e32 v24, 0
	;; [unrolled: 1-line block ×5, first 2 shown]
	ds_write_b128 v24, v[10:13] offset:12672
	ds_write_b128 v24, v[10:13] offset:13200
.LBB187_376:
	s_or_b64 exec, exec, s[8:9]
	v_mov_b32_e32 v12, 0
	v_mov_b32_e32 v10, 0
	;; [unrolled: 1-line block ×4, first 2 shown]
	s_waitcnt lgkmcnt(0)
	s_barrier
	s_and_saveexec_b64 s[10:11], s[0:1]
	s_cbranch_execz .LBB187_380
; %bb.377:
	v_mul_u32_u24_e32 v10, 0x210, v16
	ds_read_b128 v[10:13], v10 offset:12672
	ds_read_b128 v[24:27], v14 offset:12704
	v_cmp_gt_u32_e64 s[8:9], 2, v22
	s_waitcnt lgkmcnt(0)
	v_mul_f64 v[28:29], v[12:13], v[26:27]
	v_mul_f64 v[26:27], v[10:11], v[26:27]
	v_fma_f64 v[10:11], v[10:11], v[24:25], -v[28:29]
	v_fma_f64 v[12:13], v[12:13], v[24:25], v[26:27]
	v_add_f64 v[10:11], v[10:11], 0
	v_add_f64 v[12:13], v[12:13], 0
	s_and_saveexec_b64 s[12:13], s[8:9]
	s_cbranch_execz .LBB187_379
; %bb.378:
	v_lshlrev_b32_e32 v28, 4, v0
	v_mov_b32_e32 v24, 0
	ds_read_b128 v[24:27], v24 offset:12688
	ds_read_b128 v[28:31], v28 offset:13216
	s_waitcnt lgkmcnt(0)
	v_mul_f64 v[32:33], v[26:27], v[30:31]
	v_mul_f64 v[30:31], v[24:25], v[30:31]
	v_fma_f64 v[24:25], v[24:25], v[28:29], -v[32:33]
	v_fma_f64 v[26:27], v[26:27], v[28:29], v[30:31]
	v_add_f64 v[10:11], v[10:11], v[24:25]
	v_add_f64 v[12:13], v[12:13], v[26:27]
.LBB187_379:
	s_or_b64 exec, exec, s[12:13]
	v_xor_b32_e32 v11, 0x80000000, v11
	v_xor_b32_e32 v13, 0x80000000, v13
.LBB187_380:
	s_or_b64 exec, exec, s[10:11]
	s_and_saveexec_b64 s[8:9], s[38:39]
; %bb.381:
	ds_write_b128 v15, v[10:13]
; %bb.382:
	s_or_b64 exec, exec, s[8:9]
	s_waitcnt lgkmcnt(0)
	s_barrier
	s_and_saveexec_b64 s[8:9], s[36:37]
	s_cbranch_execz .LBB187_384
; %bb.383:
	v_mov_b32_e32 v28, 0
	ds_read_b128 v[24:27], v15
	ds_read_b128 v[28:31], v28 offset:13744
	s_waitcnt lgkmcnt(0)
	v_mul_f64 v[32:33], v[26:27], v[30:31]
	v_mul_f64 v[30:31], v[24:25], v[30:31]
	v_fma_f64 v[24:25], v[24:25], v[28:29], -v[32:33]
	v_fma_f64 v[26:27], v[26:27], v[28:29], v[30:31]
	v_add_f64 v[10:11], v[10:11], v[24:25]
	v_add_f64 v[12:13], v[12:13], v[26:27]
.LBB187_384:
	s_or_b64 exec, exec, s[8:9]
	s_barrier
	s_and_saveexec_b64 s[8:9], s[36:37]
; %bb.385:
	ds_write_b128 v15, v[10:13]
; %bb.386:
	s_or_b64 exec, exec, s[8:9]
	s_waitcnt lgkmcnt(0)
	s_barrier
	s_barrier
	s_and_saveexec_b64 s[8:9], s[0:1]
; %bb.387:
	v_xor_b32_e32 v11, 0x80000000, v11
	v_xor_b32_e32 v13, 0x80000000, v13
	ds_write_b128 v14, v[10:13] offset:12704
; %bb.388:
	s_or_b64 exec, exec, s[8:9]
	s_waitcnt lgkmcnt(0)
	s_barrier
	s_barrier
	s_and_saveexec_b64 s[8:9], vcc
	s_cbranch_execz .LBB187_390
; %bb.389:
	s_mov_b32 s12, 0
	s_mov_b32 s13, 0x3ff00000
	s_mov_b32 s14, s12
	s_mov_b32 s15, s12
	v_mov_b32_e32 v10, s12
	v_mov_b32_e32 v24, 0
	;; [unrolled: 1-line block ×5, first 2 shown]
	ds_write_b128 v24, v[10:13] offset:13728
	ds_write_b128 v24, v[10:13] offset:14256
.LBB187_390:
	s_or_b64 exec, exec, s[8:9]
	v_mov_b32_e32 v12, 0
	v_mov_b32_e32 v10, 0
	;; [unrolled: 1-line block ×4, first 2 shown]
	s_waitcnt lgkmcnt(0)
	s_barrier
	s_and_saveexec_b64 s[10:11], s[2:3]
	s_cbranch_execz .LBB187_396
; %bb.391:
	v_mul_u32_u24_e32 v24, 0x210, v23
	ds_read_b128 v[10:13], v24 offset:12672
	ds_read_b128 v[25:28], v17 offset:12736
	v_cmp_gt_u32_e64 s[8:9], 12, v22
	s_waitcnt lgkmcnt(0)
	v_mul_f64 v[29:30], v[12:13], v[27:28]
	v_mul_f64 v[27:28], v[10:11], v[27:28]
	v_fma_f64 v[10:11], v[10:11], v[25:26], -v[29:30]
	v_fma_f64 v[12:13], v[12:13], v[25:26], v[27:28]
	v_add_f64 v[10:11], v[10:11], 0
	v_add_f64 v[12:13], v[12:13], 0
	s_and_saveexec_b64 s[12:13], s[8:9]
	s_cbranch_execnz .LBB187_511
; %bb.392:
	s_or_b64 exec, exec, s[12:13]
	v_cmp_gt_u32_e64 s[8:9], 8, v22
	s_and_saveexec_b64 s[12:13], s[8:9]
	s_cbranch_execnz .LBB187_512
.LBB187_393:
	s_or_b64 exec, exec, s[12:13]
	v_cmp_gt_u32_e64 s[8:9], 4, v22
	s_and_saveexec_b64 s[12:13], s[8:9]
	s_cbranch_execz .LBB187_395
.LBB187_394:
	v_mov_b32_e32 v23, 0
	v_lshlrev_b32_e32 v20, 4, v0
	ds_read_b128 v[23:26], v23 offset:12720
	ds_read_b128 v[27:30], v20 offset:14272
	s_waitcnt lgkmcnt(0)
	v_mul_f64 v[31:32], v[25:26], v[29:30]
	v_mul_f64 v[29:30], v[23:24], v[29:30]
	v_fma_f64 v[23:24], v[23:24], v[27:28], -v[31:32]
	v_fma_f64 v[25:26], v[25:26], v[27:28], v[29:30]
	v_add_f64 v[10:11], v[10:11], v[23:24]
	v_add_f64 v[12:13], v[12:13], v[25:26]
.LBB187_395:
	s_or_b64 exec, exec, s[12:13]
	v_xor_b32_e32 v11, 0x80000000, v11
	v_xor_b32_e32 v13, 0x80000000, v13
.LBB187_396:
	s_or_b64 exec, exec, s[10:11]
	s_and_saveexec_b64 s[8:9], s[42:43]
; %bb.397:
	ds_write_b128 v19, v[10:13]
; %bb.398:
	s_or_b64 exec, exec, s[8:9]
	s_waitcnt lgkmcnt(0)
	s_barrier
	s_and_saveexec_b64 s[8:9], s[44:45]
	s_cbranch_execz .LBB187_400
; %bb.399:
	ds_read_b128 v[23:26], v19
	ds_read_b128 v[27:30], v18 offset:14784
	s_waitcnt lgkmcnt(0)
	v_mul_f64 v[31:32], v[25:26], v[29:30]
	v_mul_f64 v[29:30], v[23:24], v[29:30]
	v_fma_f64 v[23:24], v[23:24], v[27:28], -v[31:32]
	v_fma_f64 v[25:26], v[25:26], v[27:28], v[29:30]
	v_add_f64 v[10:11], v[10:11], v[23:24]
	v_add_f64 v[12:13], v[12:13], v[25:26]
.LBB187_400:
	s_or_b64 exec, exec, s[8:9]
	s_barrier
	s_and_saveexec_b64 s[8:9], s[46:47]
; %bb.401:
	ds_write_b128 v19, v[10:13]
; %bb.402:
	s_or_b64 exec, exec, s[8:9]
	s_waitcnt lgkmcnt(0)
	s_barrier
	s_and_saveexec_b64 s[8:9], s[48:49]
	s_cbranch_execz .LBB187_404
; %bb.403:
	ds_read_b128 v[23:26], v19
	ds_read_b128 v[27:30], v18 offset:15296
	s_waitcnt lgkmcnt(0)
	v_mul_f64 v[31:32], v[25:26], v[29:30]
	v_mul_f64 v[29:30], v[23:24], v[29:30]
	v_fma_f64 v[23:24], v[23:24], v[27:28], -v[31:32]
	v_fma_f64 v[25:26], v[25:26], v[27:28], v[29:30]
	v_add_f64 v[10:11], v[10:11], v[23:24]
	v_add_f64 v[12:13], v[12:13], v[25:26]
.LBB187_404:
	s_or_b64 exec, exec, s[8:9]
	s_barrier
	s_and_saveexec_b64 s[8:9], s[50:51]
; %bb.405:
	ds_write_b128 v19, v[10:13]
; %bb.406:
	s_or_b64 exec, exec, s[8:9]
	s_waitcnt lgkmcnt(0)
	s_barrier
	s_and_saveexec_b64 s[8:9], s[40:41]
	s_cbranch_execz .LBB187_408
; %bb.407:
	v_mov_b32_e32 v18, 0
	ds_read_b128 v[23:26], v19
	ds_read_b128 v[27:30], v18 offset:15856
	s_waitcnt lgkmcnt(0)
	v_mul_f64 v[31:32], v[25:26], v[29:30]
	v_mul_f64 v[29:30], v[23:24], v[29:30]
	v_fma_f64 v[23:24], v[23:24], v[27:28], -v[31:32]
	v_fma_f64 v[25:26], v[25:26], v[27:28], v[29:30]
	v_add_f64 v[10:11], v[10:11], v[23:24]
	v_add_f64 v[12:13], v[12:13], v[25:26]
.LBB187_408:
	s_or_b64 exec, exec, s[8:9]
	s_barrier
	s_and_saveexec_b64 s[8:9], s[40:41]
; %bb.409:
	ds_write_b128 v19, v[10:13]
; %bb.410:
	s_or_b64 exec, exec, s[8:9]
	s_waitcnt lgkmcnt(0)
	s_barrier
	s_barrier
	s_and_saveexec_b64 s[8:9], s[2:3]
; %bb.411:
	v_xor_b32_e32 v13, 0x80000000, v13
	v_xor_b32_e32 v11, 0x80000000, v11
	ds_write_b128 v17, v[10:13] offset:12736
; %bb.412:
	s_or_b64 exec, exec, s[8:9]
	s_waitcnt lgkmcnt(0)
	s_barrier
	s_barrier
	s_and_saveexec_b64 s[2:3], vcc
	s_cbranch_execz .LBB187_414
; %bb.413:
	s_mov_b32 s8, 0
	s_mov_b32 s11, s8
	;; [unrolled: 1-line block ×4, first 2 shown]
	v_mov_b32_e32 v13, s11
	v_mov_b32_e32 v17, 0
	;; [unrolled: 1-line block ×5, first 2 shown]
	ds_write_b128 v17, v[10:13] offset:14784
	ds_write_b128 v17, v[10:13] offset:15312
.LBB187_414:
	s_or_b64 exec, exec, s[2:3]
	v_mov_b32_e32 v12, 0
	v_mov_b32_e32 v10, 0
	;; [unrolled: 1-line block ×4, first 2 shown]
	s_waitcnt lgkmcnt(0)
	s_barrier
	s_and_saveexec_b64 s[8:9], s[0:1]
	s_cbranch_execz .LBB187_418
; %bb.415:
	v_mul_u32_u24_e32 v10, 0x210, v16
	ds_read_b128 v[10:13], v10 offset:14784
	ds_read_b128 v[16:19], v14 offset:14816
	v_cmp_gt_u32_e64 s[2:3], 2, v22
	s_waitcnt lgkmcnt(0)
	v_mul_f64 v[23:24], v[12:13], v[18:19]
	v_mul_f64 v[18:19], v[10:11], v[18:19]
	v_fma_f64 v[10:11], v[10:11], v[16:17], -v[23:24]
	v_fma_f64 v[12:13], v[12:13], v[16:17], v[18:19]
	v_add_f64 v[10:11], v[10:11], 0
	v_add_f64 v[12:13], v[12:13], 0
	s_and_saveexec_b64 s[10:11], s[2:3]
	s_cbranch_execz .LBB187_417
; %bb.416:
	v_mov_b32_e32 v16, 0
	v_lshlrev_b32_e32 v20, 4, v0
	ds_read_b128 v[16:19], v16 offset:14800
	ds_read_b128 v[23:26], v20 offset:15328
	s_waitcnt lgkmcnt(0)
	v_mul_f64 v[27:28], v[18:19], v[25:26]
	v_mul_f64 v[25:26], v[16:17], v[25:26]
	v_fma_f64 v[16:17], v[16:17], v[23:24], -v[27:28]
	v_fma_f64 v[18:19], v[18:19], v[23:24], v[25:26]
	v_add_f64 v[10:11], v[10:11], v[16:17]
	v_add_f64 v[12:13], v[12:13], v[18:19]
.LBB187_417:
	s_or_b64 exec, exec, s[10:11]
	v_xor_b32_e32 v11, 0x80000000, v11
	v_xor_b32_e32 v13, 0x80000000, v13
.LBB187_418:
	s_or_b64 exec, exec, s[8:9]
	s_and_saveexec_b64 s[2:3], s[38:39]
; %bb.419:
	ds_write_b128 v15, v[10:13]
; %bb.420:
	s_or_b64 exec, exec, s[2:3]
	s_waitcnt lgkmcnt(0)
	s_barrier
	s_and_saveexec_b64 s[2:3], s[36:37]
	s_cbranch_execz .LBB187_422
; %bb.421:
	v_mov_b32_e32 v20, 0
	ds_read_b128 v[16:19], v15
	ds_read_b128 v[23:26], v20 offset:15856
	s_waitcnt lgkmcnt(0)
	v_mul_f64 v[27:28], v[18:19], v[25:26]
	v_mul_f64 v[25:26], v[16:17], v[25:26]
	v_fma_f64 v[16:17], v[16:17], v[23:24], -v[27:28]
	v_fma_f64 v[18:19], v[18:19], v[23:24], v[25:26]
	v_add_f64 v[10:11], v[10:11], v[16:17]
	v_add_f64 v[12:13], v[12:13], v[18:19]
.LBB187_422:
	s_or_b64 exec, exec, s[2:3]
	s_barrier
	s_and_saveexec_b64 s[2:3], s[36:37]
; %bb.423:
	ds_write_b128 v15, v[10:13]
; %bb.424:
	s_or_b64 exec, exec, s[2:3]
	s_waitcnt lgkmcnt(0)
	s_barrier
	s_barrier
	s_and_saveexec_b64 s[2:3], s[0:1]
; %bb.425:
	v_xor_b32_e32 v11, 0x80000000, v11
	v_xor_b32_e32 v13, 0x80000000, v13
	ds_write_b128 v14, v[10:13] offset:14816
; %bb.426:
	s_or_b64 exec, exec, s[2:3]
	s_waitcnt lgkmcnt(0)
	s_barrier
	s_barrier
	s_and_saveexec_b64 s[0:1], vcc
	s_cbranch_execz .LBB187_428
; %bb.427:
	s_mov_b32 s8, 0
	s_mov_b32 s11, s8
	;; [unrolled: 1-line block ×4, first 2 shown]
	v_mov_b32_e32 v13, s11
	v_mov_b32_e32 v14, 0
	;; [unrolled: 1-line block ×5, first 2 shown]
	ds_write_b128 v14, v[10:13] offset:15840
	ds_write_b128 v14, v[10:13] offset:16368
.LBB187_428:
	s_or_b64 exec, exec, s[0:1]
.LBB187_429:
	s_lshl_b64 s[0:1], s[22:23], 4
	s_add_u32 s30, s30, s0
	v_cmp_le_i32_e32 vcc, s7, v0
	v_mov_b32_e32 v10, 0
	s_addc_u32 s31, s31, s1
	s_and_b64 s[14:15], vcc, s[28:29]
	v_mov_b32_e32 v11, 0
	v_cmp_eq_u32_e64 s[0:1], 0, v1
	s_xor_b64 s[2:3], s[14:15], -1
	v_mov_b32_e32 v13, v11
	s_and_b64 s[8:9], s[0:1], s[2:3]
	v_lshl_add_u32 v15, s6, 5, v0
	v_mov_b32_e32 v12, v10
	s_waitcnt lgkmcnt(0)
	s_barrier
	s_and_saveexec_b64 s[2:3], s[8:9]
	s_cbranch_execz .LBB187_431
; %bb.430:
	v_ashrrev_i32_e32 v12, 31, v15
	v_mul_lo_u32 v13, s21, v15
	v_mad_u64_u32 v[10:11], s[8:9], s20, v15, 0
	v_mul_lo_u32 v12, s20, v12
	v_add3_u32 v11, v11, v12, v13
	v_lshlrev_b64 v[10:11], 4, v[10:11]
	v_mov_b32_e32 v12, s31
	v_add_co_u32_e32 v10, vcc, s30, v10
	v_addc_co_u32_e32 v11, vcc, v12, v11, vcc
	flat_load_dwordx4 v[16:19], v[10:11]
	s_waitcnt vmcnt(0) lgkmcnt(0)
	v_mul_f64 v[10:11], s[16:17], v[16:17]
	v_mul_f64 v[12:13], s[16:17], v[18:19]
	v_fma_f64 v[10:11], s[18:19], v[18:19], -v[10:11]
	v_fma_f64 v[12:13], v[16:17], -s[18:19], -v[12:13]
.LBB187_431:
	s_or_b64 exec, exec, s[2:3]
	s_load_dwordx2 s[12:13], s[4:5], 0x58
	s_and_b32 s2, 0xffff, s86
	v_mad_u32_u24 v23, v1, s2, v0
	v_mov_b32_e32 v14, 0
	s_cmp_lt_i32 s6, 1
	v_cmp_eq_u32_e64 s[2:3], 0, v23
	s_cbranch_scc1 .LBB187_454
; %bb.432:
	v_mov_b32_e32 v16, v14
	v_cmp_gt_i32_e64 s[10:11], s33, v15
	v_lshlrev_b64 v[15:16], 4, v[15:16]
	s_lshl_b64 s[4:5], s[24:25], 2
	v_mov_b32_e32 v17, 0x6000
	s_waitcnt lgkmcnt(0)
	s_add_u32 s16, s12, s4
	v_lshl_add_u32 v24, v23, 4, v17
	v_lshl_or_b32 v25, v1, 4, v17
	v_mov_b32_e32 v17, s85
	v_add_co_u32_e32 v26, vcc, s84, v15
	s_mov_b32 s36, 0
	s_addc_u32 s17, s13, s5
	v_cmp_gt_u32_e64 s[4:5], 32, v23
	s_add_i32 s37, s6, -1
	v_addc_co_u32_e32 v27, vcc, v17, v16, vcc
	s_lshl_b64 s[18:19], s[26:27], 8
	v_mov_b32_e32 v28, -1
	s_branch .LBB187_435
.LBB187_433:                            ;   in Loop: Header=BB187_435 Depth=1
	ds_read_b128 v[29:32], v25 offset:256
	s_waitcnt vmcnt(0) lgkmcnt(0)
	v_mul_f64 v[17:18], v[19:20], v[31:32]
	v_mul_f64 v[31:32], v[15:16], v[31:32]
	v_fma_f64 v[15:16], v[15:16], v[29:30], -v[17:18]
	v_fma_f64 v[17:18], v[19:20], v[29:30], v[31:32]
	v_add_f64 v[10:11], v[10:11], v[15:16]
	v_add_f64 v[12:13], v[12:13], v[17:18]
.LBB187_434:                            ;   in Loop: Header=BB187_435 Depth=1
	s_or_b64 exec, exec, s[22:23]
	s_add_i32 s36, s36, 1
	s_cmp_eq_u32 s36, s6
	s_cbranch_scc1 .LBB187_454
.LBB187_435:                            ; =>This Loop Header: Depth=1
                                        ;     Child Loop BB187_437 Depth 2
	v_cmp_gt_i32_e32 vcc, s36, v28
	s_and_b64 s[22:23], s[2:3], vcc
	s_and_saveexec_b64 s[8:9], s[22:23]
	s_cbranch_execz .LBB187_438
; %bb.436:                              ;   in Loop: Header=BB187_435 Depth=1
	global_load_dword v28, v14, s[16:17]
	s_waitcnt vmcnt(0)
	v_cmp_le_i32_e32 vcc, s36, v28
	s_cbranch_vccnz .LBB187_438
.LBB187_437:                            ;   Parent Loop BB187_435 Depth=1
                                        ; =>  This Inner Loop Header: Depth=2
	buffer_wbinvl1_vol
	global_load_dword v28, v14, s[16:17]
	s_waitcnt vmcnt(0)
	v_cmp_gt_i32_e32 vcc, s36, v28
	s_cbranch_vccnz .LBB187_437
.LBB187_438:                            ;   in Loop: Header=BB187_435 Depth=1
	s_or_b64 exec, exec, s[8:9]
	s_lshl_b32 s38, s36, 5
	buffer_wbinvl1_vol
	s_barrier
	s_and_saveexec_b64 s[8:9], s[4:5]
	s_cbranch_execz .LBB187_443
; %bb.439:                              ;   in Loop: Header=BB187_435 Depth=1
	v_or_b32_e32 v15, s38, v23
	v_cmp_le_i32_e32 vcc, s33, v15
	s_and_saveexec_b64 s[22:23], vcc
	s_xor_b64 s[22:23], exec, s[22:23]
; %bb.440:                              ;   in Loop: Header=BB187_435 Depth=1
	v_mov_b32_e32 v15, v14
	v_mov_b32_e32 v16, v14
	;; [unrolled: 1-line block ×3, first 2 shown]
	ds_write_b128 v24, v[14:17]
                                        ; implicit-def: $vgpr15
; %bb.441:                              ;   in Loop: Header=BB187_435 Depth=1
	s_andn2_saveexec_b64 s[22:23], s[22:23]
	s_cbranch_execz .LBB187_443
; %bb.442:                              ;   in Loop: Header=BB187_435 Depth=1
	v_mad_u64_u32 v[16:17], s[22:23], s20, v15, 0
	v_mad_u64_u32 v[17:18], s[22:23], s21, v15, v[17:18]
	v_mov_b32_e32 v18, s31
	v_lshlrev_b64 v[15:16], 4, v[16:17]
	v_add_co_u32_e32 v15, vcc, s30, v15
	v_addc_co_u32_e32 v16, vcc, v18, v16, vcc
	flat_load_dwordx4 v[15:18], v[15:16]
	s_waitcnt vmcnt(0) lgkmcnt(0)
	ds_write2_b64 v24, v[15:16], v[17:18] offset1:1
.LBB187_443:                            ;   in Loop: Header=BB187_435 Depth=1
	s_or_b64 exec, exec, s[8:9]
	v_add_u32_e32 v29, s38, v1
	v_mad_u64_u32 v[15:16], s[8:9], s26, v29, 0
	s_cmp_lg_u32 s36, s37
	s_waitcnt lgkmcnt(0)
	v_mad_u64_u32 v[16:17], s[8:9], s27, v29, v[16:17]
	s_cselect_b64 s[8:9], -1, 0
	v_cndmask_b32_e64 v17, 0, 1, s[8:9]
	v_lshlrev_b64 v[15:16], 4, v[15:16]
	v_cmp_ne_u32_e64 s[8:9], 1, v17
	v_add_co_u32_e32 v15, vcc, v26, v15
	v_addc_co_u32_e32 v16, vcc, v27, v16, vcc
	v_cmp_gt_i32_e32 vcc, s33, v29
	s_and_b64 s[38:39], s[10:11], vcc
	s_barrier
	s_and_saveexec_b64 s[22:23], s[38:39]
	s_cbranch_execz .LBB187_449
; %bb.444:                              ;   in Loop: Header=BB187_435 Depth=1
	v_mov_b32_e32 v18, v3
	s_and_b64 vcc, exec, s[8:9]
	v_mov_b32_e32 v17, v2
	s_cbranch_vccnz .LBB187_446
; %bb.445:                              ;   in Loop: Header=BB187_435 Depth=1
	flat_load_dwordx2 v[17:18], v[15:16]
.LBB187_446:                            ;   in Loop: Header=BB187_435 Depth=1
	v_mov_b32_e32 v20, v5
	s_and_b64 vcc, exec, s[8:9]
	v_mov_b32_e32 v19, v4
	s_cbranch_vccnz .LBB187_448
; %bb.447:                              ;   in Loop: Header=BB187_435 Depth=1
	flat_load_dwordx2 v[19:20], v[15:16] offset:8
.LBB187_448:                            ;   in Loop: Header=BB187_435 Depth=1
	ds_read_b128 v[30:33], v25
	s_waitcnt vmcnt(0) lgkmcnt(0)
	v_mul_f64 v[34:35], v[19:20], v[32:33]
	v_mul_f64 v[32:33], v[17:18], v[32:33]
	v_fma_f64 v[17:18], v[17:18], v[30:31], -v[34:35]
	v_fma_f64 v[19:20], v[19:20], v[30:31], v[32:33]
	v_add_f64 v[10:11], v[10:11], v[17:18]
	v_add_f64 v[12:13], v[12:13], v[19:20]
.LBB187_449:                            ;   in Loop: Header=BB187_435 Depth=1
	s_or_b64 exec, exec, s[22:23]
	v_add_u32_e32 v17, 16, v29
	v_cmp_gt_i32_e32 vcc, s33, v17
	s_and_b64 s[38:39], s[10:11], vcc
	s_and_saveexec_b64 s[22:23], s[38:39]
	s_cbranch_execz .LBB187_434
; %bb.450:                              ;   in Loop: Header=BB187_435 Depth=1
	v_mov_b32_e32 v18, s19
	v_add_co_u32_e32 v17, vcc, s18, v15
	v_addc_co_u32_e32 v18, vcc, v16, v18, vcc
	v_mov_b32_e32 v16, v7
	s_and_b64 vcc, exec, s[8:9]
	v_mov_b32_e32 v15, v6
	s_cbranch_vccnz .LBB187_452
; %bb.451:                              ;   in Loop: Header=BB187_435 Depth=1
	flat_load_dwordx2 v[15:16], v[17:18]
.LBB187_452:                            ;   in Loop: Header=BB187_435 Depth=1
	v_mov_b32_e32 v20, v9
	s_and_b64 vcc, exec, s[8:9]
	v_mov_b32_e32 v19, v8
	s_cbranch_vccnz .LBB187_433
; %bb.453:                              ;   in Loop: Header=BB187_435 Depth=1
	flat_load_dwordx2 v[19:20], v[17:18] offset:8
	s_branch .LBB187_433
.LBB187_454:
	s_xor_b64 s[2:3], s[28:29], -1
	s_xor_b64 s[4:5], s[34:35], -1
	v_lshlrev_b32_e32 v6, 4, v22
	ds_write_b128 v6, v[10:13] offset:16384
	s_waitcnt lgkmcnt(0)
	s_barrier
	s_and_saveexec_b64 s[8:9], s[0:1]
	s_cbranch_execz .LBB187_456
; %bb.455:
	v_lshlrev_b32_e32 v18, 4, v0
	ds_read_b128 v[2:5], v18 offset:16896
	ds_read_b128 v[14:17], v18 offset:17408
	s_waitcnt lgkmcnt(1)
	v_add_f64 v[2:3], v[10:11], v[2:3]
	v_add_f64 v[4:5], v[12:13], v[4:5]
	s_waitcnt lgkmcnt(0)
	v_add_f64 v[11:12], v[2:3], v[14:15]
	v_add_f64 v[13:14], v[4:5], v[16:17]
	ds_read_b128 v[2:5], v18 offset:17920
	ds_read_b128 v[7:10], v18 offset:18432
	s_waitcnt lgkmcnt(1)
	v_add_f64 v[2:3], v[11:12], v[2:3]
	v_add_f64 v[4:5], v[13:14], v[4:5]
	s_waitcnt lgkmcnt(0)
	v_add_f64 v[11:12], v[2:3], v[7:8]
	v_add_f64 v[13:14], v[4:5], v[9:10]
	;; [unrolled: 8-line block ×7, first 2 shown]
	ds_read_b128 v[2:5], v18 offset:24064
	s_waitcnt lgkmcnt(0)
	v_add_f64 v[2:3], v[7:8], v[2:3]
	v_add_f64 v[4:5], v[9:10], v[4:5]
	v_xor_b32_e32 v3, 0x80000000, v3
	v_xor_b32_e32 v5, 0x80000000, v5
	v_cndmask_b32_e64 v10, v2, 0, s[14:15]
	v_cndmask_b32_e64 v11, v3, 0, s[14:15]
	;; [unrolled: 1-line block ×4, first 2 shown]
.LBB187_456:
	s_or_b64 exec, exec, s[8:9]
	s_andn2_b64 vcc, exec, s[4:5]
	s_cbranch_vccnz .LBB187_465
; %bb.457:
	v_mov_b32_e32 v2, 0x6000
	v_lshl_or_b32 v7, v1, 4, v2
	s_and_saveexec_b64 s[4:5], s[0:1]
; %bb.458:
	v_lshl_add_u32 v2, v0, 4, v7
	ds_write_b128 v2, v[10:13]
; %bb.459:
	s_or_b64 exec, exec, s[4:5]
	v_mov_b32_e32 v2, 0
	v_mov_b32_e32 v4, 0
	;; [unrolled: 1-line block ×4, first 2 shown]
	v_cmp_ge_u32_e32 vcc, v0, v1
	s_waitcnt lgkmcnt(0)
	s_barrier
	s_and_saveexec_b64 s[4:5], vcc
	s_cbranch_execz .LBB187_461
; %bb.460:
	ds_read_b128 v[2:5], v7
	ds_read_b128 v[14:17], v6
	s_waitcnt lgkmcnt(0)
	v_mul_f64 v[8:9], v[4:5], v[16:17]
	v_mul_f64 v[16:17], v[2:3], v[16:17]
	v_fma_f64 v[2:3], v[2:3], v[14:15], -v[8:9]
	v_fma_f64 v[4:5], v[4:5], v[14:15], v[16:17]
	v_add_f64 v[2:3], v[2:3], 0
	v_add_f64 v[4:5], v[4:5], 0
.LBB187_461:
	s_or_b64 exec, exec, s[4:5]
	v_add_u32_e32 v1, 16, v1
	v_add_u32_e32 v8, 0x4000, v6
	v_cmp_ge_u32_e32 vcc, v0, v1
	s_and_saveexec_b64 s[4:5], vcc
	s_cbranch_execz .LBB187_463
; %bb.462:
	ds_read_b128 v[14:17], v7 offset:256
	ds_read_b128 v[24:27], v6 offset:8192
	s_waitcnt lgkmcnt(0)
	v_mul_f64 v[6:7], v[16:17], v[26:27]
	v_mul_f64 v[18:19], v[14:15], v[26:27]
	v_fma_f64 v[6:7], v[14:15], v[24:25], -v[6:7]
	v_fma_f64 v[14:15], v[16:17], v[24:25], v[18:19]
	v_add_f64 v[2:3], v[2:3], v[6:7]
	v_add_f64 v[4:5], v[4:5], v[14:15]
.LBB187_463:
	s_or_b64 exec, exec, s[4:5]
	s_mov_b64 s[8:9], 0
	s_mov_b64 s[4:5], 0
	ds_write_b128 v8, v[2:5]
	s_waitcnt lgkmcnt(0)
	s_barrier
                                        ; implicit-def: $vgpr8_vgpr9
                                        ; implicit-def: $vgpr14_vgpr15
                                        ; implicit-def: $vgpr6_vgpr7
	s_and_saveexec_b64 s[10:11], s[0:1]
	s_cbranch_execz .LBB187_478
; %bb.464:
	v_lshlrev_b32_e32 v18, 4, v0
	ds_read_b128 v[6:9], v18 offset:16896
	ds_read_b128 v[14:17], v18 offset:17408
	s_mov_b64 s[4:5], exec
	s_waitcnt lgkmcnt(1)
	v_add_f64 v[1:2], v[2:3], v[6:7]
	v_add_f64 v[3:4], v[4:5], v[8:9]
	s_waitcnt lgkmcnt(0)
	v_add_f64 v[14:15], v[1:2], v[14:15]
	v_add_f64 v[16:17], v[3:4], v[16:17]
	ds_read_b128 v[1:4], v18 offset:17920
	ds_read_b128 v[5:8], v18 offset:18432
	s_waitcnt lgkmcnt(1)
	v_add_f64 v[1:2], v[14:15], v[1:2]
	v_add_f64 v[3:4], v[16:17], v[3:4]
	s_waitcnt lgkmcnt(0)
	v_add_f64 v[14:15], v[1:2], v[5:6]
	v_add_f64 v[16:17], v[3:4], v[7:8]
	ds_read_b128 v[1:4], v18 offset:18944
	ds_read_b128 v[5:8], v18 offset:19456
	;; [unrolled: 8-line block ×6, first 2 shown]
	s_waitcnt lgkmcnt(1)
	v_add_f64 v[1:2], v[14:15], v[1:2]
	v_add_f64 v[3:4], v[16:17], v[3:4]
	s_waitcnt lgkmcnt(0)
	v_add_f64 v[14:15], v[1:2], v[5:6]
	v_add_f64 v[8:9], v[3:4], v[7:8]
	ds_read_b128 v[1:4], v18 offset:24064
	v_lshl_add_u32 v5, s6, 5, v23
	v_mad_u64_u32 v[6:7], s[14:15], s20, v5, 0
	s_waitcnt lgkmcnt(0)
	v_add_f64 v[14:15], v[14:15], v[1:2]
	v_add_f64 v[8:9], v[8:9], v[3:4]
	v_mov_b32_e32 v1, v7
	v_mad_u64_u32 v[1:2], s[14:15], s21, v5, v[1:2]
	v_mov_b32_e32 v7, v1
	s_or_b64 exec, exec, s[10:11]
	s_and_b64 vcc, exec, s[8:9]
	s_cbranch_vccnz .LBB187_466
	s_branch .LBB187_479
.LBB187_465:
	s_mov_b64 s[4:5], 0
                                        ; implicit-def: $vgpr8_vgpr9
                                        ; implicit-def: $vgpr14_vgpr15
                                        ; implicit-def: $vgpr6_vgpr7
	s_cbranch_execz .LBB187_479
.LBB187_466:
	s_mov_b32 s10, 0
	v_mov_b32_e32 v1, 0
	v_mov_b32_e32 v2, v0
	s_branch .LBB187_468
.LBB187_467:                            ;   in Loop: Header=BB187_468 Depth=1
	s_or_b64 exec, exec, s[8:9]
	s_add_i32 s10, s10, 2
	v_add_u32_e32 v21, 0x400, v21
	s_cmp_lg_u32 s10, 32
	v_add_u32_e32 v2, -2, v2
	s_barrier
	s_cbranch_scc0 .LBB187_476
.LBB187_468:                            ; =>This Inner Loop Header: Depth=1
	v_cmp_eq_u32_e32 vcc, 0, v2
	s_and_b64 s[14:15], s[0:1], vcc
	s_and_saveexec_b64 s[8:9], s[14:15]
; %bb.469:                              ;   in Loop: Header=BB187_468 Depth=1
	ds_write_b128 v1, v[10:13] offset:25088
; %bb.470:                              ;   in Loop: Header=BB187_468 Depth=1
	s_or_b64 exec, exec, s[8:9]
	v_cmp_lt_u32_e32 vcc, s10, v0
	s_and_b64 s[14:15], s[0:1], vcc
	s_waitcnt lgkmcnt(0)
	s_barrier
	s_and_saveexec_b64 s[8:9], s[14:15]
	s_cbranch_execz .LBB187_472
; %bb.471:                              ;   in Loop: Header=BB187_468 Depth=1
	ds_read_b128 v[3:6], v1 offset:25088
	ds_read_b128 v[14:17], v21
	s_waitcnt lgkmcnt(0)
	v_mul_f64 v[7:8], v[5:6], v[16:17]
	v_mul_f64 v[16:17], v[3:4], v[16:17]
	v_fma_f64 v[3:4], v[3:4], v[14:15], -v[7:8]
	v_fma_f64 v[5:6], v[5:6], v[14:15], v[16:17]
	v_add_f64 v[10:11], v[10:11], v[3:4]
	v_add_f64 v[12:13], v[12:13], v[5:6]
.LBB187_472:                            ;   in Loop: Header=BB187_468 Depth=1
	s_or_b64 exec, exec, s[8:9]
	s_or_b32 s11, s10, 1
	v_cmp_eq_u32_e32 vcc, s11, v0
	s_and_b64 s[14:15], s[0:1], vcc
	s_barrier
	s_and_saveexec_b64 s[8:9], s[14:15]
; %bb.473:                              ;   in Loop: Header=BB187_468 Depth=1
	ds_write_b128 v1, v[10:13] offset:25088
; %bb.474:                              ;   in Loop: Header=BB187_468 Depth=1
	s_or_b64 exec, exec, s[8:9]
	v_cmp_lt_u32_e32 vcc, s11, v0
	s_and_b64 s[14:15], s[0:1], vcc
	s_waitcnt lgkmcnt(0)
	s_barrier
	s_and_saveexec_b64 s[8:9], s[14:15]
	s_cbranch_execz .LBB187_467
; %bb.475:                              ;   in Loop: Header=BB187_468 Depth=1
	ds_read_b128 v[3:6], v1 offset:25088
	ds_read_b128 v[14:17], v21 offset:512
	s_waitcnt lgkmcnt(0)
	v_mul_f64 v[7:8], v[5:6], v[16:17]
	v_mul_f64 v[16:17], v[3:4], v[16:17]
	v_fma_f64 v[3:4], v[3:4], v[14:15], -v[7:8]
	v_fma_f64 v[5:6], v[5:6], v[14:15], v[16:17]
	v_add_f64 v[10:11], v[10:11], v[3:4]
	v_add_f64 v[12:13], v[12:13], v[5:6]
	s_branch .LBB187_467
.LBB187_476:
	s_and_b64 vcc, exec, s[2:3]
	s_cbranch_vccz .LBB187_480
; %bb.477:
	s_and_b64 s[2:3], s[0:1], exec
	s_cbranch_execz .LBB187_481
	s_branch .LBB187_482
.LBB187_478:
	s_or_b64 exec, exec, s[10:11]
	s_and_b64 vcc, exec, s[8:9]
	s_cbranch_vccnz .LBB187_466
.LBB187_479:
	v_mov_b32_e32 v13, v9
	v_mov_b32_e32 v10, v14
	;; [unrolled: 1-line block ×4, first 2 shown]
	s_and_saveexec_b64 s[0:1], s[4:5]
	s_cbranch_execnz .LBB187_485
	s_branch .LBB187_486
.LBB187_480:
	s_mov_b64 s[2:3], 0
.LBB187_481:
	v_cmp_gt_i32_e32 vcc, s7, v0
	s_and_b64 s[0:1], s[0:1], vcc
	s_andn2_b64 s[2:3], s[2:3], exec
	s_and_b64 s[0:1], s[0:1], exec
	s_or_b64 s[2:3], s[2:3], s[0:1]
.LBB187_482:
                                        ; implicit-def: $vgpr6_vgpr7
	s_and_saveexec_b64 s[0:1], s[2:3]
	s_cbranch_execz .LBB187_484
; %bb.483:
	s_lshl_b32 s2, s6, 5
	s_ashr_i32 s3, s2, 31
	v_mov_b32_e32 v0, s3
	v_add_co_u32_e32 v1, vcc, s2, v23
	v_addc_co_u32_e32 v0, vcc, 0, v0, vcc
	v_mul_lo_u32 v0, v0, s20
	v_mul_lo_u32 v2, v1, s21
	v_mad_u64_u32 v[6:7], s[2:3], v1, s20, 0
	s_or_b64 s[4:5], s[4:5], exec
	v_add3_u32 v7, v7, v2, v0
.LBB187_484:
	s_or_b64 exec, exec, s[0:1]
	s_and_saveexec_b64 s[0:1], s[4:5]
	s_cbranch_execz .LBB187_486
.LBB187_485:
	v_lshlrev_b64 v[0:1], 4, v[6:7]
	v_mov_b32_e32 v2, s31
	v_add_co_u32_e32 v0, vcc, s30, v0
	v_addc_co_u32_e32 v1, vcc, v2, v1, vcc
	flat_store_dwordx4 v[0:1], v[10:13]
.LBB187_486:
	s_or_b64 exec, exec, s[0:1]
	v_cmp_eq_u32_e32 vcc, 0, v23
	s_waitcnt vmcnt(0) lgkmcnt(0)
	buffer_wbinvl1_vol
	s_barrier
	s_and_saveexec_b64 s[0:1], vcc
	s_cbranch_execz .LBB187_488
; %bb.487:
	s_lshl_b64 s[2:3], s[24:25], 2
	s_add_u32 s2, s12, s2
	s_addc_u32 s3, s13, s3
	v_mov_b32_e32 v0, 0
	global_load_dword v1, v0, s[2:3]
	s_waitcnt vmcnt(0)
	v_add_u32_e32 v1, 1, v1
	global_store_dword v0, v1, s[2:3]
.LBB187_488:
	s_or_b64 exec, exec, s[0:1]
	s_waitcnt vmcnt(0)
	buffer_wbinvl1_vol
	s_endpgm
.LBB187_489:
	v_lshlrev_b32_e32 v24, 4, v23
	v_sub_u32_e32 v24, v19, v24
	v_lshl_add_u32 v28, v20, 4, v24
	ds_read_b128 v[24:27], v19 offset:16
	ds_read_b128 v[28:31], v28 offset:576
	s_waitcnt lgkmcnt(0)
	v_mul_f64 v[32:33], v[26:27], v[30:31]
	v_mul_f64 v[30:31], v[24:25], v[30:31]
	v_fma_f64 v[24:25], v[24:25], v[28:29], -v[32:33]
	v_fma_f64 v[26:27], v[26:27], v[28:29], v[30:31]
	v_add_f64 v[10:11], v[10:11], v[24:25]
	v_add_f64 v[12:13], v[12:13], v[26:27]
	s_or_b64 exec, exec, s[14:15]
	v_cmp_gt_u32_e64 s[10:11], 8, v22
	s_and_saveexec_b64 s[14:15], s[10:11]
	s_cbranch_execz .LBB187_55
.LBB187_490:
	ds_read_b128 v[24:27], v19 offset:32
	ds_read_b128 v[28:31], v17 offset:1088
	s_waitcnt lgkmcnt(0)
	v_mul_f64 v[32:33], v[26:27], v[30:31]
	v_mul_f64 v[30:31], v[24:25], v[30:31]
	v_fma_f64 v[24:25], v[24:25], v[28:29], -v[32:33]
	v_fma_f64 v[26:27], v[26:27], v[28:29], v[30:31]
	v_add_f64 v[10:11], v[10:11], v[24:25]
	v_add_f64 v[12:13], v[12:13], v[26:27]
	s_or_b64 exec, exec, s[14:15]
	v_cmp_gt_u32_e64 s[10:11], 4, v22
	s_and_saveexec_b64 s[14:15], s[10:11]
	s_cbranch_execnz .LBB187_56
	s_branch .LBB187_57
.LBB187_491:
	v_lshlrev_b32_e32 v29, 4, v28
	v_sub_u32_e32 v29, v26, v29
	v_lshl_add_u32 v33, v27, 4, v29
	ds_read_b128 v[29:32], v26 offset:16
	ds_read_b128 v[33:36], v33 offset:640
	s_waitcnt lgkmcnt(0)
	v_mul_f64 v[37:38], v[31:32], v[35:36]
	v_mul_f64 v[35:36], v[29:30], v[35:36]
	v_fma_f64 v[29:30], v[29:30], v[33:34], -v[37:38]
	v_fma_f64 v[31:32], v[31:32], v[33:34], v[35:36]
	v_add_f64 v[10:11], v[10:11], v[29:30]
	v_add_f64 v[12:13], v[12:13], v[31:32]
	s_or_b64 exec, exec, s[52:53]
	v_cmp_gt_u32_e64 s[10:11], 48, v22
	s_and_saveexec_b64 s[52:53], s[10:11]
	s_cbranch_execz .LBB187_93
.LBB187_492:
	v_lshlrev_b32_e32 v29, 4, v28
	v_sub_u32_e32 v29, v26, v29
	v_lshl_add_u32 v33, v27, 4, v29
	ds_read_b128 v[29:32], v26 offset:32
	ds_read_b128 v[33:36], v33 offset:1152
	s_waitcnt lgkmcnt(0)
	v_mul_f64 v[37:38], v[31:32], v[35:36]
	v_mul_f64 v[35:36], v[29:30], v[35:36]
	v_fma_f64 v[29:30], v[29:30], v[33:34], -v[37:38]
	v_fma_f64 v[31:32], v[31:32], v[33:34], v[35:36]
	v_add_f64 v[10:11], v[10:11], v[29:30]
	v_add_f64 v[12:13], v[12:13], v[31:32]
	s_or_b64 exec, exec, s[52:53]
	v_cmp_gt_u32_e64 s[10:11], 40, v22
	s_and_saveexec_b64 s[52:53], s[10:11]
	s_cbranch_execz .LBB187_94
.LBB187_493:
	v_lshlrev_b32_e32 v29, 4, v28
	v_sub_u32_e32 v29, v26, v29
	v_lshl_add_u32 v33, v27, 4, v29
	ds_read_b128 v[29:32], v26 offset:48
	ds_read_b128 v[33:36], v33 offset:1664
	s_waitcnt lgkmcnt(0)
	v_mul_f64 v[37:38], v[31:32], v[35:36]
	v_mul_f64 v[35:36], v[29:30], v[35:36]
	v_fma_f64 v[29:30], v[29:30], v[33:34], -v[37:38]
	v_fma_f64 v[31:32], v[31:32], v[33:34], v[35:36]
	v_add_f64 v[10:11], v[10:11], v[29:30]
	v_add_f64 v[12:13], v[12:13], v[31:32]
	s_or_b64 exec, exec, s[52:53]
	v_cmp_gt_u32_e64 s[10:11], 32, v22
	s_and_saveexec_b64 s[52:53], s[10:11]
	s_cbranch_execz .LBB187_95
.LBB187_494:
	ds_read_b128 v[29:32], v26 offset:64
	ds_read_b128 v[33:36], v24 offset:2176
	s_waitcnt lgkmcnt(0)
	v_mul_f64 v[37:38], v[31:32], v[35:36]
	v_mul_f64 v[35:36], v[29:30], v[35:36]
	v_fma_f64 v[29:30], v[29:30], v[33:34], -v[37:38]
	v_fma_f64 v[31:32], v[31:32], v[33:34], v[35:36]
	v_add_f64 v[10:11], v[10:11], v[29:30]
	v_add_f64 v[12:13], v[12:13], v[31:32]
	s_or_b64 exec, exec, s[52:53]
	v_cmp_gt_u32_e64 s[10:11], 24, v22
	s_and_saveexec_b64 s[52:53], s[10:11]
	s_cbranch_execz .LBB187_96
.LBB187_495:
	v_lshlrev_b32_e32 v29, 4, v28
	v_sub_u32_e32 v29, v26, v29
	v_lshl_add_u32 v33, v27, 4, v29
	ds_read_b128 v[29:32], v26 offset:80
	ds_read_b128 v[33:36], v33 offset:2688
	s_waitcnt lgkmcnt(0)
	v_mul_f64 v[37:38], v[31:32], v[35:36]
	v_mul_f64 v[35:36], v[29:30], v[35:36]
	v_fma_f64 v[29:30], v[29:30], v[33:34], -v[37:38]
	v_fma_f64 v[31:32], v[31:32], v[33:34], v[35:36]
	v_add_f64 v[10:11], v[10:11], v[29:30]
	v_add_f64 v[12:13], v[12:13], v[31:32]
	s_or_b64 exec, exec, s[52:53]
	v_cmp_gt_u32_e64 s[10:11], 16, v22
	s_and_saveexec_b64 s[52:53], s[10:11]
	s_cbranch_execz .LBB187_97
.LBB187_496:
	ds_read_b128 v[29:32], v26 offset:96
	ds_read_b128 v[33:36], v24 offset:3200
	s_waitcnt lgkmcnt(0)
	v_mul_f64 v[37:38], v[31:32], v[35:36]
	v_mul_f64 v[35:36], v[29:30], v[35:36]
	v_fma_f64 v[29:30], v[29:30], v[33:34], -v[37:38]
	v_fma_f64 v[31:32], v[31:32], v[33:34], v[35:36]
	v_add_f64 v[10:11], v[10:11], v[29:30]
	v_add_f64 v[12:13], v[12:13], v[31:32]
	s_or_b64 exec, exec, s[52:53]
	v_cmp_gt_u32_e64 s[10:11], 8, v22
	s_and_saveexec_b64 s[52:53], s[10:11]
	s_cbranch_execnz .LBB187_98
	s_branch .LBB187_99
.LBB187_497:
	v_lshlrev_b32_e32 v30, 4, v23
	v_sub_u32_e32 v30, v29, v30
	v_lshl_add_u32 v34, v20, 4, v30
	ds_read_b128 v[30:33], v29 offset:4240
	ds_read_b128 v[34:37], v34 offset:4800
	s_waitcnt lgkmcnt(0)
	v_mul_f64 v[38:39], v[32:33], v[36:37]
	v_mul_f64 v[36:37], v[30:31], v[36:37]
	v_fma_f64 v[30:31], v[30:31], v[34:35], -v[38:39]
	v_fma_f64 v[32:33], v[32:33], v[34:35], v[36:37]
	v_add_f64 v[10:11], v[10:11], v[30:31]
	v_add_f64 v[12:13], v[12:13], v[32:33]
	s_or_b64 exec, exec, s[14:15]
	v_cmp_gt_u32_e64 s[8:9], 8, v22
	s_and_saveexec_b64 s[14:15], s[8:9]
	s_cbranch_execz .LBB187_151
.LBB187_498:
	ds_read_b128 v[29:32], v29 offset:4256
	ds_read_b128 v[33:36], v17 offset:5312
	s_waitcnt lgkmcnt(0)
	v_mul_f64 v[37:38], v[31:32], v[35:36]
	v_mul_f64 v[35:36], v[29:30], v[35:36]
	v_fma_f64 v[29:30], v[29:30], v[33:34], -v[37:38]
	v_fma_f64 v[31:32], v[31:32], v[33:34], v[35:36]
	v_add_f64 v[10:11], v[10:11], v[29:30]
	v_add_f64 v[12:13], v[12:13], v[31:32]
	s_or_b64 exec, exec, s[14:15]
	v_cmp_gt_u32_e64 s[8:9], 4, v22
	s_and_saveexec_b64 s[14:15], s[8:9]
	s_cbranch_execnz .LBB187_152
	s_branch .LBB187_153
.LBB187_499:
	ds_read_b128 v[34:37], v33 offset:176
	ds_read_b128 v[38:41], v29 offset:5888
	s_waitcnt lgkmcnt(0)
	v_mul_f64 v[42:43], v[36:37], v[40:41]
	v_mul_f64 v[40:41], v[34:35], v[40:41]
	v_fma_f64 v[34:35], v[34:35], v[38:39], -v[42:43]
	v_fma_f64 v[36:37], v[36:37], v[38:39], v[40:41]
	v_add_f64 v[10:11], v[10:11], v[34:35]
	v_add_f64 v[12:13], v[12:13], v[36:37]
	s_or_b64 exec, exec, s[82:83]
	v_cmp_gt_u32_e64 s[14:15], 64, v22
	s_and_saveexec_b64 s[82:83], s[14:15]
	s_cbranch_execz .LBB187_209
.LBB187_500:
	ds_read_b128 v[34:37], v33 offset:192
	ds_read_b128 v[38:41], v29 offset:6400
	s_waitcnt lgkmcnt(0)
	v_mul_f64 v[42:43], v[36:37], v[40:41]
	v_mul_f64 v[40:41], v[34:35], v[40:41]
	v_fma_f64 v[34:35], v[34:35], v[38:39], -v[42:43]
	v_fma_f64 v[36:37], v[36:37], v[38:39], v[40:41]
	v_add_f64 v[10:11], v[10:11], v[34:35]
	v_add_f64 v[12:13], v[12:13], v[36:37]
	s_or_b64 exec, exec, s[82:83]
	v_cmp_gt_u32_e64 s[14:15], 48, v22
	s_and_saveexec_b64 s[82:83], s[14:15]
	s_cbranch_execz .LBB187_210
.LBB187_501:
	ds_read_b128 v[34:37], v33 offset:208
	ds_read_b128 v[38:41], v29 offset:6912
	s_waitcnt lgkmcnt(0)
	v_mul_f64 v[42:43], v[36:37], v[40:41]
	v_mul_f64 v[40:41], v[34:35], v[40:41]
	v_fma_f64 v[34:35], v[34:35], v[38:39], -v[42:43]
	v_fma_f64 v[36:37], v[36:37], v[38:39], v[40:41]
	v_add_f64 v[10:11], v[10:11], v[34:35]
	v_add_f64 v[12:13], v[12:13], v[36:37]
	s_or_b64 exec, exec, s[82:83]
	v_cmp_gt_u32_e64 s[14:15], 32, v22
	s_and_saveexec_b64 s[82:83], s[14:15]
	s_cbranch_execz .LBB187_211
.LBB187_502:
	ds_read_b128 v[33:36], v33 offset:224
	ds_read_b128 v[37:40], v29 offset:7424
	s_waitcnt lgkmcnt(0)
	v_mul_f64 v[41:42], v[35:36], v[39:40]
	v_mul_f64 v[39:40], v[33:34], v[39:40]
	v_fma_f64 v[33:34], v[33:34], v[37:38], -v[41:42]
	v_fma_f64 v[35:36], v[35:36], v[37:38], v[39:40]
	v_add_f64 v[10:11], v[10:11], v[33:34]
	v_add_f64 v[12:13], v[12:13], v[35:36]
	s_or_b64 exec, exec, s[82:83]
	v_cmp_gt_u32_e64 s[14:15], 16, v22
	s_and_saveexec_b64 s[82:83], s[14:15]
	s_cbranch_execnz .LBB187_212
	s_branch .LBB187_213
.LBB187_503:
	v_lshlrev_b32_e32 v30, 4, v23
	v_sub_u32_e32 v30, v29, v30
	v_lshl_add_u32 v34, v20, 4, v30
	ds_read_b128 v[30:33], v29 offset:8464
	ds_read_b128 v[34:37], v34 offset:9024
	s_waitcnt lgkmcnt(0)
	v_mul_f64 v[38:39], v[32:33], v[36:37]
	v_mul_f64 v[36:37], v[30:31], v[36:37]
	v_fma_f64 v[30:31], v[30:31], v[34:35], -v[38:39]
	v_fma_f64 v[32:33], v[32:33], v[34:35], v[36:37]
	v_add_f64 v[10:11], v[10:11], v[30:31]
	v_add_f64 v[12:13], v[12:13], v[32:33]
	s_or_b64 exec, exec, s[14:15]
	v_cmp_gt_u32_e64 s[8:9], 8, v22
	s_and_saveexec_b64 s[14:15], s[8:9]
	s_cbranch_execz .LBB187_297
.LBB187_504:
	ds_read_b128 v[29:32], v29 offset:8480
	ds_read_b128 v[33:36], v17 offset:9536
	s_waitcnt lgkmcnt(0)
	v_mul_f64 v[37:38], v[31:32], v[35:36]
	v_mul_f64 v[35:36], v[29:30], v[35:36]
	v_fma_f64 v[29:30], v[29:30], v[33:34], -v[37:38]
	v_fma_f64 v[31:32], v[31:32], v[33:34], v[35:36]
	v_add_f64 v[10:11], v[10:11], v[29:30]
	v_add_f64 v[12:13], v[12:13], v[31:32]
	s_or_b64 exec, exec, s[14:15]
	v_cmp_gt_u32_e64 s[8:9], 4, v22
	s_and_saveexec_b64 s[14:15], s[8:9]
	s_cbranch_execnz .LBB187_298
	s_branch .LBB187_299
.LBB187_505:
	v_lshlrev_b32_e32 v30, 4, v28
	v_sub_u32_e32 v30, v29, v30
	v_lshl_add_u32 v34, v27, 4, v30
	ds_read_b128 v[30:33], v29 offset:8464
	ds_read_b128 v[34:37], v34 offset:9088
	s_waitcnt lgkmcnt(0)
	v_mul_f64 v[38:39], v[32:33], v[36:37]
	v_mul_f64 v[36:37], v[30:31], v[36:37]
	v_fma_f64 v[30:31], v[30:31], v[34:35], -v[38:39]
	v_fma_f64 v[32:33], v[32:33], v[34:35], v[36:37]
	v_add_f64 v[10:11], v[10:11], v[30:31]
	v_add_f64 v[12:13], v[12:13], v[32:33]
	s_or_b64 exec, exec, s[14:15]
	v_cmp_gt_u32_e64 s[8:9], 48, v22
	s_and_saveexec_b64 s[14:15], s[8:9]
	s_cbranch_execz .LBB187_335
.LBB187_506:
	v_lshlrev_b32_e32 v30, 4, v28
	v_sub_u32_e32 v30, v29, v30
	v_lshl_add_u32 v34, v27, 4, v30
	ds_read_b128 v[30:33], v29 offset:8480
	ds_read_b128 v[34:37], v34 offset:9600
	s_waitcnt lgkmcnt(0)
	v_mul_f64 v[38:39], v[32:33], v[36:37]
	v_mul_f64 v[36:37], v[30:31], v[36:37]
	v_fma_f64 v[30:31], v[30:31], v[34:35], -v[38:39]
	v_fma_f64 v[32:33], v[32:33], v[34:35], v[36:37]
	v_add_f64 v[10:11], v[10:11], v[30:31]
	v_add_f64 v[12:13], v[12:13], v[32:33]
	s_or_b64 exec, exec, s[14:15]
	v_cmp_gt_u32_e64 s[8:9], 40, v22
	s_and_saveexec_b64 s[14:15], s[8:9]
	s_cbranch_execz .LBB187_336
.LBB187_507:
	v_lshlrev_b32_e32 v30, 4, v28
	v_sub_u32_e32 v30, v29, v30
	v_lshl_add_u32 v34, v27, 4, v30
	ds_read_b128 v[30:33], v29 offset:8496
	ds_read_b128 v[34:37], v34 offset:10112
	s_waitcnt lgkmcnt(0)
	v_mul_f64 v[38:39], v[32:33], v[36:37]
	v_mul_f64 v[36:37], v[30:31], v[36:37]
	v_fma_f64 v[30:31], v[30:31], v[34:35], -v[38:39]
	v_fma_f64 v[32:33], v[32:33], v[34:35], v[36:37]
	v_add_f64 v[10:11], v[10:11], v[30:31]
	v_add_f64 v[12:13], v[12:13], v[32:33]
	s_or_b64 exec, exec, s[14:15]
	v_cmp_gt_u32_e64 s[8:9], 32, v22
	s_and_saveexec_b64 s[14:15], s[8:9]
	s_cbranch_execz .LBB187_337
.LBB187_508:
	ds_read_b128 v[30:33], v29 offset:8512
	ds_read_b128 v[34:37], v24 offset:10624
	s_waitcnt lgkmcnt(0)
	v_mul_f64 v[38:39], v[32:33], v[36:37]
	v_mul_f64 v[36:37], v[30:31], v[36:37]
	v_fma_f64 v[30:31], v[30:31], v[34:35], -v[38:39]
	v_fma_f64 v[32:33], v[32:33], v[34:35], v[36:37]
	v_add_f64 v[10:11], v[10:11], v[30:31]
	v_add_f64 v[12:13], v[12:13], v[32:33]
	s_or_b64 exec, exec, s[14:15]
	v_cmp_gt_u32_e64 s[8:9], 24, v22
	s_and_saveexec_b64 s[14:15], s[8:9]
	s_cbranch_execz .LBB187_338
.LBB187_509:
	v_lshlrev_b32_e32 v28, 4, v28
	v_sub_u32_e32 v28, v29, v28
	v_lshl_add_u32 v27, v27, 4, v28
	ds_read_b128 v[30:33], v29 offset:8528
	ds_read_b128 v[34:37], v27 offset:11136
	s_waitcnt lgkmcnt(0)
	v_mul_f64 v[27:28], v[32:33], v[36:37]
	v_mul_f64 v[36:37], v[30:31], v[36:37]
	v_fma_f64 v[27:28], v[30:31], v[34:35], -v[27:28]
	v_fma_f64 v[30:31], v[32:33], v[34:35], v[36:37]
	v_add_f64 v[10:11], v[10:11], v[27:28]
	v_add_f64 v[12:13], v[12:13], v[30:31]
	s_or_b64 exec, exec, s[14:15]
	v_cmp_gt_u32_e64 s[8:9], 16, v22
	s_and_saveexec_b64 s[14:15], s[8:9]
	s_cbranch_execz .LBB187_339
.LBB187_510:
	ds_read_b128 v[27:30], v29 offset:8544
	ds_read_b128 v[31:34], v24 offset:11648
	s_waitcnt lgkmcnt(0)
	v_mul_f64 v[35:36], v[29:30], v[33:34]
	v_mul_f64 v[33:34], v[27:28], v[33:34]
	v_fma_f64 v[27:28], v[27:28], v[31:32], -v[35:36]
	v_fma_f64 v[29:30], v[29:30], v[31:32], v[33:34]
	v_add_f64 v[10:11], v[10:11], v[27:28]
	v_add_f64 v[12:13], v[12:13], v[29:30]
	s_or_b64 exec, exec, s[14:15]
	v_cmp_gt_u32_e64 s[8:9], 8, v22
	s_and_saveexec_b64 s[14:15], s[8:9]
	s_cbranch_execnz .LBB187_340
	s_branch .LBB187_341
.LBB187_511:
	v_lshlrev_b32_e32 v23, 4, v23
	v_sub_u32_e32 v23, v24, v23
	v_lshl_add_u32 v20, v20, 4, v23
	ds_read_b128 v[25:28], v24 offset:12688
	ds_read_b128 v[29:32], v20 offset:13248
	s_waitcnt lgkmcnt(0)
	v_mul_f64 v[33:34], v[27:28], v[31:32]
	v_mul_f64 v[31:32], v[25:26], v[31:32]
	v_fma_f64 v[25:26], v[25:26], v[29:30], -v[33:34]
	v_fma_f64 v[27:28], v[27:28], v[29:30], v[31:32]
	v_add_f64 v[10:11], v[10:11], v[25:26]
	v_add_f64 v[12:13], v[12:13], v[27:28]
	s_or_b64 exec, exec, s[12:13]
	v_cmp_gt_u32_e64 s[8:9], 8, v22
	s_and_saveexec_b64 s[12:13], s[8:9]
	s_cbranch_execz .LBB187_393
.LBB187_512:
	ds_read_b128 v[23:26], v24 offset:12704
	ds_read_b128 v[27:30], v17 offset:13760
	s_waitcnt lgkmcnt(0)
	v_mul_f64 v[31:32], v[25:26], v[29:30]
	v_mul_f64 v[29:30], v[23:24], v[29:30]
	v_fma_f64 v[23:24], v[23:24], v[27:28], -v[31:32]
	v_fma_f64 v[25:26], v[25:26], v[27:28], v[29:30]
	v_add_f64 v[10:11], v[10:11], v[23:24]
	v_add_f64 v[12:13], v[12:13], v[25:26]
	s_or_b64 exec, exec, s[12:13]
	v_cmp_gt_u32_e64 s[8:9], 4, v22
	s_and_saveexec_b64 s[12:13], s[8:9]
	s_cbranch_execnz .LBB187_394
	s_branch .LBB187_395
	.section	.rodata,"a",@progbits
	.p2align	6, 0x0
	.amdhsa_kernel _ZL19rocblas_trsv_deviceILi32ELi16ELb1ELb0ELb0ELb1E19rocblas_complex_numIdES1_PKPKS1_PKPS1_EviT7_lllT6_T8_lllPii
		.amdhsa_group_segment_fixed_size 25104
		.amdhsa_private_segment_fixed_size 0
		.amdhsa_kernarg_size 360
		.amdhsa_user_sgpr_count 6
		.amdhsa_user_sgpr_private_segment_buffer 1
		.amdhsa_user_sgpr_dispatch_ptr 0
		.amdhsa_user_sgpr_queue_ptr 0
		.amdhsa_user_sgpr_kernarg_segment_ptr 1
		.amdhsa_user_sgpr_dispatch_id 0
		.amdhsa_user_sgpr_flat_scratch_init 0
		.amdhsa_user_sgpr_private_segment_size 0
		.amdhsa_uses_dynamic_stack 0
		.amdhsa_system_sgpr_private_segment_wavefront_offset 0
		.amdhsa_system_sgpr_workgroup_id_x 1
		.amdhsa_system_sgpr_workgroup_id_y 0
		.amdhsa_system_sgpr_workgroup_id_z 1
		.amdhsa_system_sgpr_workgroup_info 0
		.amdhsa_system_vgpr_workitem_id 1
		.amdhsa_next_free_vgpr 49
		.amdhsa_next_free_sgpr 98
		.amdhsa_reserve_vcc 1
		.amdhsa_reserve_flat_scratch 0
		.amdhsa_float_round_mode_32 0
		.amdhsa_float_round_mode_16_64 0
		.amdhsa_float_denorm_mode_32 3
		.amdhsa_float_denorm_mode_16_64 3
		.amdhsa_dx10_clamp 1
		.amdhsa_ieee_mode 1
		.amdhsa_fp16_overflow 0
		.amdhsa_exception_fp_ieee_invalid_op 0
		.amdhsa_exception_fp_denorm_src 0
		.amdhsa_exception_fp_ieee_div_zero 0
		.amdhsa_exception_fp_ieee_overflow 0
		.amdhsa_exception_fp_ieee_underflow 0
		.amdhsa_exception_fp_ieee_inexact 0
		.amdhsa_exception_int_div_zero 0
	.end_amdhsa_kernel
	.section	.text._ZL19rocblas_trsv_deviceILi32ELi16ELb1ELb0ELb0ELb1E19rocblas_complex_numIdES1_PKPKS1_PKPS1_EviT7_lllT6_T8_lllPii,"axG",@progbits,_ZL19rocblas_trsv_deviceILi32ELi16ELb1ELb0ELb0ELb1E19rocblas_complex_numIdES1_PKPKS1_PKPS1_EviT7_lllT6_T8_lllPii,comdat
.Lfunc_end187:
	.size	_ZL19rocblas_trsv_deviceILi32ELi16ELb1ELb0ELb0ELb1E19rocblas_complex_numIdES1_PKPKS1_PKPS1_EviT7_lllT6_T8_lllPii, .Lfunc_end187-_ZL19rocblas_trsv_deviceILi32ELi16ELb1ELb0ELb0ELb1E19rocblas_complex_numIdES1_PKPKS1_PKPS1_EviT7_lllT6_T8_lllPii
                                        ; -- End function
	.set _ZL19rocblas_trsv_deviceILi32ELi16ELb1ELb0ELb0ELb1E19rocblas_complex_numIdES1_PKPKS1_PKPS1_EviT7_lllT6_T8_lllPii.num_vgpr, 44
	.set _ZL19rocblas_trsv_deviceILi32ELi16ELb1ELb0ELb0ELb1E19rocblas_complex_numIdES1_PKPKS1_PKPS1_EviT7_lllT6_T8_lllPii.num_agpr, 0
	.set _ZL19rocblas_trsv_deviceILi32ELi16ELb1ELb0ELb0ELb1E19rocblas_complex_numIdES1_PKPKS1_PKPS1_EviT7_lllT6_T8_lllPii.numbered_sgpr, 87
	.set _ZL19rocblas_trsv_deviceILi32ELi16ELb1ELb0ELb0ELb1E19rocblas_complex_numIdES1_PKPKS1_PKPS1_EviT7_lllT6_T8_lllPii.num_named_barrier, 0
	.set _ZL19rocblas_trsv_deviceILi32ELi16ELb1ELb0ELb0ELb1E19rocblas_complex_numIdES1_PKPKS1_PKPS1_EviT7_lllT6_T8_lllPii.private_seg_size, 0
	.set _ZL19rocblas_trsv_deviceILi32ELi16ELb1ELb0ELb0ELb1E19rocblas_complex_numIdES1_PKPKS1_PKPS1_EviT7_lllT6_T8_lllPii.uses_vcc, 1
	.set _ZL19rocblas_trsv_deviceILi32ELi16ELb1ELb0ELb0ELb1E19rocblas_complex_numIdES1_PKPKS1_PKPS1_EviT7_lllT6_T8_lllPii.uses_flat_scratch, 0
	.set _ZL19rocblas_trsv_deviceILi32ELi16ELb1ELb0ELb0ELb1E19rocblas_complex_numIdES1_PKPKS1_PKPS1_EviT7_lllT6_T8_lllPii.has_dyn_sized_stack, 0
	.set _ZL19rocblas_trsv_deviceILi32ELi16ELb1ELb0ELb0ELb1E19rocblas_complex_numIdES1_PKPKS1_PKPS1_EviT7_lllT6_T8_lllPii.has_recursion, 0
	.set _ZL19rocblas_trsv_deviceILi32ELi16ELb1ELb0ELb0ELb1E19rocblas_complex_numIdES1_PKPKS1_PKPS1_EviT7_lllT6_T8_lllPii.has_indirect_call, 0
	.section	.AMDGPU.csdata,"",@progbits
; Kernel info:
; codeLenInByte = 19528
; TotalNumSgprs: 91
; NumVgprs: 44
; ScratchSize: 0
; MemoryBound: 1
; FloatMode: 240
; IeeeMode: 1
; LDSByteSize: 25104 bytes/workgroup (compile time only)
; SGPRBlocks: 12
; VGPRBlocks: 12
; NumSGPRsForWavesPerEU: 102
; NumVGPRsForWavesPerEU: 49
; Occupancy: 4
; WaveLimiterHint : 1
; COMPUTE_PGM_RSRC2:SCRATCH_EN: 0
; COMPUTE_PGM_RSRC2:USER_SGPR: 6
; COMPUTE_PGM_RSRC2:TRAP_HANDLER: 0
; COMPUTE_PGM_RSRC2:TGID_X_EN: 1
; COMPUTE_PGM_RSRC2:TGID_Y_EN: 0
; COMPUTE_PGM_RSRC2:TGID_Z_EN: 1
; COMPUTE_PGM_RSRC2:TIDIG_COMP_CNT: 1
	.section	.text._ZL19rocblas_trsv_deviceILi32ELi16ELb1ELb1ELb0ELb1E19rocblas_complex_numIdES1_PKPKS1_PKPS1_EviT7_lllT6_T8_lllPii,"axG",@progbits,_ZL19rocblas_trsv_deviceILi32ELi16ELb1ELb1ELb0ELb1E19rocblas_complex_numIdES1_PKPKS1_PKPS1_EviT7_lllT6_T8_lllPii,comdat
	.globl	_ZL19rocblas_trsv_deviceILi32ELi16ELb1ELb1ELb0ELb1E19rocblas_complex_numIdES1_PKPKS1_PKPS1_EviT7_lllT6_T8_lllPii ; -- Begin function _ZL19rocblas_trsv_deviceILi32ELi16ELb1ELb1ELb0ELb1E19rocblas_complex_numIdES1_PKPKS1_PKPS1_EviT7_lllT6_T8_lllPii
	.p2align	8
	.type	_ZL19rocblas_trsv_deviceILi32ELi16ELb1ELb1ELb0ELb1E19rocblas_complex_numIdES1_PKPKS1_PKPS1_EviT7_lllT6_T8_lllPii,@function
_ZL19rocblas_trsv_deviceILi32ELi16ELb1ELb1ELb0ELb1E19rocblas_complex_numIdES1_PKPKS1_PKPS1_EviT7_lllT6_T8_lllPii: ; @_ZL19rocblas_trsv_deviceILi32ELi16ELb1ELb1ELb0ELb1E19rocblas_complex_numIdES1_PKPKS1_PKPS1_EviT7_lllT6_T8_lllPii
; %bb.0:
	s_load_dwordx4 s[0:3], s[4:5], 0x8
	s_mov_b32 s28, s7
	s_mov_b32 s29, 0
	s_lshl_b64 s[8:9], s[28:29], 3
	s_waitcnt lgkmcnt(0)
	s_add_u32 s0, s0, s8
	s_addc_u32 s1, s1, s9
	s_load_dwordx2 s[10:11], s[0:1], 0x0
	s_load_dword s30, s[4:5], 0x0
	s_load_dwordx8 s[20:27], s[4:5], 0x28
	s_load_dwordx2 s[36:37], s[4:5], 0x18
	s_lshl_b64 s[0:1], s[2:3], 4
	s_waitcnt lgkmcnt(0)
	s_add_u32 s95, s10, s0
	s_addc_u32 s62, s11, s1
	s_add_u32 s0, s24, s8
	s_load_dword s7, s[4:5], 0x68
	s_addc_u32 s1, s25, s9
	s_load_dwordx2 s[38:39], s[0:1], 0x0
	s_load_dwordx2 s[24:25], s[4:5], 0x48
	s_load_dword s63, s[4:5], 0x74
	s_waitcnt lgkmcnt(0)
	s_add_i32 s7, s7, -1
	s_sub_i32 s33, s7, s6
	s_cmp_eq_u32 s6, 0
	s_cbranch_scc1 .LBB188_6
; %bb.1:
	s_lshl_b32 s2, s33, 5
	v_add_u32_e32 v6, s2, v0
	v_ashrrev_i32_e32 v2, 31, v6
	v_mul_lo_u32 v7, s36, v2
	v_mul_lo_u32 v8, s37, v6
	v_mad_u64_u32 v[4:5], s[0:1], s36, v6, 0
	v_add3_u32 v2, v1, s2, 32
	v_ashrrev_i32_e32 v3, 31, v2
	v_add3_u32 v5, v5, v7, v8
	v_lshlrev_b64 v[4:5], 4, v[4:5]
	v_cmp_gt_i32_e32 vcc, s30, v6
	v_mov_b32_e32 v6, s62
	v_add_co_u32_e64 v7, s[0:1], s95, v4
	v_lshlrev_b64 v[3:4], 4, v[2:3]
	v_addc_co_u32_e64 v5, s[0:1], v6, v5, s[0:1]
	v_add_co_u32_e64 v10, s[0:1], v7, v3
	v_addc_co_u32_e64 v11, s[0:1], v5, v4, s[0:1]
	v_cmp_gt_i32_e64 s[0:1], s30, v2
	v_mov_b32_e32 v4, 0
	v_mov_b32_e32 v6, 0
	;; [unrolled: 1-line block ×6, first 2 shown]
	s_and_b64 s[2:3], s[0:1], vcc
	s_barrier
	s_and_saveexec_b64 s[0:1], s[2:3]
	s_cbranch_execz .LBB188_3
; %bb.2:
	flat_load_dwordx4 v[6:9], v[10:11]
.LBB188_3:
	s_or_b64 exec, exec, s[0:1]
	v_add_u32_e32 v2, 16, v2
	v_cmp_gt_i32_e64 s[0:1], s30, v2
	v_mov_b32_e32 v2, 0
	v_mov_b32_e32 v3, 0
	s_and_b64 s[2:3], s[0:1], vcc
	s_waitcnt vmcnt(0) lgkmcnt(0)
	s_barrier
	s_and_saveexec_b64 s[0:1], s[2:3]
	s_cbranch_execz .LBB188_5
; %bb.4:
	flat_load_dwordx4 v[2:5], v[10:11] offset:256
.LBB188_5:
	s_or_b64 exec, exec, s[0:1]
	s_branch .LBB188_7
.LBB188_6:
                                        ; implicit-def: $vgpr4_vgpr5
                                        ; implicit-def: $vgpr8_vgpr9
.LBB188_7:
	s_ashr_i32 s31, s30, 31
	s_lshr_b32 s0, s31, 27
	s_add_i32 s0, s30, s0
	s_andn2_b32 s0, s0, 31
	s_sub_i32 s94, s30, s0
	s_add_i32 s0, s30, -1
	s_ashr_i32 s1, s0, 31
	s_lshr_b32 s1, s1, 27
	s_add_i32 s0, s0, s1
	s_ashr_i32 s0, s0, 5
	s_cmp_eq_u32 s0, s33
	s_cselect_b64 s[0:1], -1, 0
	s_cmp_lg_u32 s94, 0
	s_cselect_b64 s[2:3], -1, 0
	s_and_b64 s[34:35], s[2:3], s[0:1]
	s_cmp_lt_i32 s6, 5
	s_cselect_b64 s[2:3], -1, 0
	v_lshlrev_b32_e32 v10, 5, v0
	s_mov_b64 s[12:13], -1
	s_or_b64 s[0:1], s[2:3], s[34:35]
	s_and_b64 vcc, exec, s[34:35]
	v_add_u32_e32 v11, v1, v10
	v_cmp_le_u32_e64 s[8:9], v0, v1
	v_lshl_add_u32 v22, v1, 5, v0
	s_cbranch_vccnz .LBB188_21
; %bb.8:
	s_add_u32 s10, s36, 1
	s_addc_u32 s11, s37, 0
	s_lshl_b32 s12, s33, 5
	s_ashr_i32 s13, s12, 31
	s_mul_hi_u32 s14, s10, s12
	s_mul_i32 s13, s10, s13
	s_add_i32 s13, s14, s13
	s_mul_i32 s11, s11, s12
	s_add_i32 s11, s13, s11
	s_mul_i32 s10, s10, s12
	s_lshl_b64 s[10:11], s[10:11], 4
	s_add_u32 s10, s95, s10
	s_addc_u32 s11, s62, s11
	v_lshlrev_b32_e32 v12, 4, v0
	v_mov_b32_e32 v13, s11
	v_add_co_u32_e32 v12, vcc, s10, v12
	v_addc_co_u32_e32 v13, vcc, 0, v13, vcc
	v_cndmask_b32_e64 v14, v22, v11, s[2:3]
	s_and_saveexec_b64 s[2:3], s[8:9]
	s_xor_b64 s[2:3], exec, s[2:3]
	s_cbranch_execz .LBB188_12
; %bb.9:
	v_or_b32_e32 v15, v1, v0
	v_cmp_gt_u32_e32 vcc, 32, v15
	s_and_saveexec_b64 s[8:9], vcc
	s_cbranch_execz .LBB188_11
; %bb.10:
	v_lshlrev_b32_e32 v18, 4, v14
	v_mov_b32_e32 v14, 0
	v_mov_b32_e32 v15, v14
	;; [unrolled: 1-line block ×4, first 2 shown]
	ds_write_b128 v18, v[14:17]
.LBB188_11:
	s_or_b64 exec, exec, s[8:9]
                                        ; implicit-def: $vgpr14
.LBB188_12:
	s_andn2_saveexec_b64 s[2:3], s[2:3]
	s_cbranch_execz .LBB188_14
; %bb.13:
	v_mad_u64_u32 v[15:16], s[8:9], s36, v1, 0
	v_lshlrev_b32_e32 v14, 4, v14
	v_mad_u64_u32 v[16:17], s[8:9], s37, v1, v[16:17]
	v_lshlrev_b64 v[15:16], 4, v[15:16]
	v_add_co_u32_e32 v15, vcc, v12, v15
	v_addc_co_u32_e32 v16, vcc, v13, v16, vcc
	flat_load_dwordx4 v[15:18], v[15:16]
	s_waitcnt vmcnt(0) lgkmcnt(0)
	v_xor_b32_e32 v16, 0x80000000, v16
	v_xor_b32_e32 v18, 0x80000000, v18
	ds_write_b128 v14, v[15:18]
.LBB188_14:
	s_or_b64 exec, exec, s[2:3]
	v_add_u32_e32 v15, 16, v1
	v_add_u32_e32 v14, v15, v10
	v_lshl_add_u32 v16, v15, 5, v0
	v_cndmask_b32_e64 v14, v16, v14, s[0:1]
	v_cmp_le_u32_e32 vcc, v0, v15
	s_and_saveexec_b64 s[2:3], vcc
	s_xor_b64 s[2:3], exec, s[2:3]
	s_cbranch_execz .LBB188_18
; %bb.15:
	v_or_b32_e32 v12, v15, v0
	v_cmp_gt_u32_e32 vcc, 32, v12
	s_and_saveexec_b64 s[8:9], vcc
	s_cbranch_execz .LBB188_17
; %bb.16:
	v_mov_b32_e32 v12, 0
	v_lshlrev_b32_e32 v16, 4, v14
	v_mov_b32_e32 v13, v12
	v_mov_b32_e32 v14, v12
	;; [unrolled: 1-line block ×3, first 2 shown]
	ds_write_b128 v16, v[12:15]
.LBB188_17:
	s_or_b64 exec, exec, s[8:9]
                                        ; implicit-def: $vgpr15
                                        ; implicit-def: $vgpr12
                                        ; implicit-def: $vgpr13
                                        ; implicit-def: $vgpr14
.LBB188_18:
	s_andn2_saveexec_b64 s[2:3], s[2:3]
	s_cbranch_execz .LBB188_20
; %bb.19:
	v_mad_u64_u32 v[16:17], s[8:9], s36, v15, 0
	v_mad_u64_u32 v[17:18], s[8:9], s37, v15, v[17:18]
	v_lshlrev_b64 v[15:16], 4, v[16:17]
	v_add_co_u32_e32 v12, vcc, v12, v15
	v_addc_co_u32_e32 v13, vcc, v13, v16, vcc
	flat_load_dwordx4 v[15:18], v[12:13]
	v_lshlrev_b32_e32 v12, 4, v14
	s_waitcnt vmcnt(0) lgkmcnt(0)
	v_xor_b32_e32 v16, 0x80000000, v16
	v_xor_b32_e32 v18, 0x80000000, v18
	ds_write_b128 v12, v[15:18]
.LBB188_20:
	s_or_b64 exec, exec, s[2:3]
	s_mov_b64 s[12:13], 0
.LBB188_21:
	s_xor_b64 s[10:11], s[0:1], -1
	s_and_b64 vcc, exec, s[12:13]
	s_cbranch_vccz .LBB188_35
; %bb.22:
	s_add_u32 s2, s36, 1
	s_addc_u32 s3, s37, 0
	s_lshl_b32 s8, s33, 5
	s_ashr_i32 s9, s8, 31
	s_mul_hi_u32 s12, s2, s8
	s_mul_i32 s9, s2, s9
	s_add_i32 s9, s12, s9
	s_mul_i32 s3, s3, s8
	s_add_i32 s3, s9, s3
	s_mul_i32 s2, s2, s8
	s_lshl_b64 s[2:3], s[2:3], 4
	s_add_u32 s2, s95, s2
	s_addc_u32 s3, s62, s3
	v_lshlrev_b32_e32 v12, 4, v0
	v_mov_b32_e32 v13, s3
	v_add_co_u32_e64 v12, s[2:3], s2, v12
	v_addc_co_u32_e64 v13, s[2:3], 0, v13, s[2:3]
	v_max_i32_e32 v14, v1, v0
	v_cmp_le_u32_e64 s[2:3], v0, v1
	v_cmp_le_i32_e64 s[8:9], s94, v14
	v_cmp_gt_i32_e32 vcc, s94, v0
	s_or_b64 s[2:3], s[8:9], s[2:3]
	s_and_saveexec_b64 s[8:9], s[2:3]
	s_xor_b64 s[8:9], exec, s[8:9]
	s_cbranch_execz .LBB188_26
; %bb.23:
	v_or_b32_e32 v14, v1, v0
	v_cmp_gt_u32_e64 s[2:3], 32, v14
	s_and_saveexec_b64 s[12:13], s[2:3]
	s_cbranch_execz .LBB188_25
; %bb.24:
	v_mov_b32_e32 v14, 0
	v_lshlrev_b32_e32 v11, 4, v11
	v_mov_b32_e32 v15, v14
	v_mov_b32_e32 v16, v14
	;; [unrolled: 1-line block ×3, first 2 shown]
	ds_write_b128 v11, v[14:17]
.LBB188_25:
	s_or_b64 exec, exec, s[12:13]
                                        ; implicit-def: $vgpr11
.LBB188_26:
	s_andn2_saveexec_b64 s[8:9], s[8:9]
	s_cbranch_execz .LBB188_28
; %bb.27:
	v_mad_u64_u32 v[14:15], s[2:3], s36, v1, 0
	v_lshlrev_b32_e32 v11, 4, v11
	v_mad_u64_u32 v[15:16], s[2:3], s37, v1, v[15:16]
	v_lshlrev_b64 v[14:15], 4, v[14:15]
	v_add_co_u32_e64 v14, s[2:3], v12, v14
	v_addc_co_u32_e64 v15, s[2:3], v13, v15, s[2:3]
	flat_load_dwordx4 v[14:17], v[14:15]
	s_waitcnt vmcnt(0) lgkmcnt(0)
	v_xor_b32_e32 v15, 0x80000000, v15
	v_xor_b32_e32 v17, 0x80000000, v17
	ds_write_b128 v11, v[14:17]
.LBB188_28:
	s_or_b64 exec, exec, s[8:9]
	v_add_u32_e32 v11, 16, v1
	v_add_u32_e32 v10, v11, v10
	v_lshl_add_u32 v14, v11, 5, v0
	v_cndmask_b32_e64 v10, v14, v10, s[0:1]
	v_cmp_gt_u32_e64 s[0:1], v0, v11
	v_cmp_gt_i32_e64 s[2:3], s94, v11
	s_and_b64 s[0:1], s[0:1], s[2:3]
	s_and_b64 s[0:1], s[0:1], vcc
	s_xor_b64 s[0:1], s[0:1], -1
	s_and_saveexec_b64 s[2:3], s[0:1]
	s_xor_b64 s[0:1], exec, s[2:3]
	s_cbranch_execz .LBB188_32
; %bb.29:
	v_or_b32_e32 v11, v11, v0
	v_cmp_gt_u32_e32 vcc, 32, v11
	s_and_saveexec_b64 s[2:3], vcc
	s_cbranch_execz .LBB188_31
; %bb.30:
	v_lshlrev_b32_e32 v14, 4, v10
	v_mov_b32_e32 v10, 0
	v_mov_b32_e32 v11, v10
	;; [unrolled: 1-line block ×4, first 2 shown]
	ds_write_b128 v14, v[10:13]
.LBB188_31:
	s_or_b64 exec, exec, s[2:3]
                                        ; implicit-def: $vgpr11
                                        ; implicit-def: $vgpr12
                                        ; implicit-def: $vgpr13
                                        ; implicit-def: $vgpr10
.LBB188_32:
	s_andn2_saveexec_b64 s[0:1], s[0:1]
	s_cbranch_execz .LBB188_34
; %bb.33:
	v_mad_u64_u32 v[14:15], s[2:3], s36, v11, 0
	v_lshlrev_b32_e32 v10, 4, v10
	v_mad_u64_u32 v[15:16], s[2:3], s37, v11, v[15:16]
	v_lshlrev_b64 v[14:15], 4, v[14:15]
	v_add_co_u32_e32 v11, vcc, v12, v14
	v_addc_co_u32_e32 v12, vcc, v13, v15, vcc
	flat_load_dwordx4 v[11:14], v[11:12]
	s_waitcnt vmcnt(0) lgkmcnt(0)
	v_xor_b32_e32 v12, 0x80000000, v12
	v_xor_b32_e32 v14, 0x80000000, v14
	ds_write_b128 v10, v[11:14]
.LBB188_34:
	s_or_b64 exec, exec, s[0:1]
.LBB188_35:
	v_cndmask_b32_e64 v10, 0, 1, s[10:11]
	v_cmp_ne_u32_e64 s[42:43], 1, v10
	s_andn2_b64 vcc, exec, s[10:11]
	s_waitcnt vmcnt(0) lgkmcnt(0)
	s_barrier
	s_cbranch_vccnz .LBB188_459
; %bb.36:
	v_or_b32_e32 v10, v0, v1
	s_mov_b32 s8, 0
	v_cmp_eq_u32_e32 vcc, 0, v10
	s_and_saveexec_b64 s[2:3], vcc
	s_cbranch_execz .LBB188_38
; %bb.37:
	v_mov_b32_e32 v18, 0
	ds_read_b128 v[10:13], v18 offset:16
	s_mov_b32 s11, s8
	s_mov_b32 s9, 0x3ff00000
	;; [unrolled: 1-line block ×3, first 2 shown]
	v_mov_b32_e32 v17, s11
	v_mov_b32_e32 v16, s10
	;; [unrolled: 1-line block ×4, first 2 shown]
	ds_write_b128 v18, v[14:17]
	ds_write_b128 v18, v[14:17] offset:528
	s_waitcnt lgkmcnt(2)
	ds_write_b128 v18, v[10:13] offset:512
.LBB188_38:
	s_or_b64 exec, exec, s[2:3]
	v_and_b32_e32 v17, 1, v0
	v_lshrrev_b32_e32 v16, 1, v22
	v_lshlrev_b32_e32 v14, 4, v17
	v_mov_b32_e32 v12, 0
	v_mov_b32_e32 v10, 0
	v_cmp_lt_u32_e64 s[8:9], 3, v22
	v_cmp_gt_u32_e64 s[2:3], 4, v22
	v_mov_b32_e32 v13, 0
	v_mov_b32_e32 v11, 0
	v_lshl_or_b32 v14, v16, 9, v14
	s_waitcnt lgkmcnt(0)
	s_barrier
	s_and_saveexec_b64 s[12:13], s[2:3]
	s_cbranch_execz .LBB188_42
; %bb.39:
	v_mul_u32_u24_e32 v10, 0x210, v16
	ds_read_b128 v[10:13], v10
	ds_read_b128 v[18:21], v14 offset:32
	v_cmp_gt_u32_e64 s[10:11], 2, v22
	s_waitcnt lgkmcnt(0)
	v_mul_f64 v[23:24], v[12:13], v[20:21]
	v_mul_f64 v[20:21], v[10:11], v[20:21]
	v_fma_f64 v[10:11], v[10:11], v[18:19], -v[23:24]
	v_fma_f64 v[12:13], v[12:13], v[18:19], v[20:21]
	v_add_f64 v[10:11], v[10:11], 0
	v_add_f64 v[12:13], v[12:13], 0
	s_and_saveexec_b64 s[14:15], s[10:11]
	s_cbranch_execz .LBB188_41
; %bb.40:
	v_mov_b32_e32 v18, 0
	v_lshlrev_b32_e32 v15, 4, v0
	ds_read_b128 v[18:21], v18 offset:16
	ds_read_b128 v[23:26], v15 offset:544
	s_waitcnt lgkmcnt(0)
	v_mul_f64 v[27:28], v[20:21], v[25:26]
	v_mul_f64 v[25:26], v[18:19], v[25:26]
	v_fma_f64 v[18:19], v[18:19], v[23:24], -v[27:28]
	v_fma_f64 v[20:21], v[20:21], v[23:24], v[25:26]
	v_add_f64 v[10:11], v[10:11], v[18:19]
	v_add_f64 v[12:13], v[12:13], v[20:21]
.LBB188_41:
	s_or_b64 exec, exec, s[14:15]
	v_xor_b32_e32 v11, 0x80000000, v11
	v_xor_b32_e32 v13, 0x80000000, v13
.LBB188_42:
                                        ; implicit-def: $vgpr43 : SGPR spill to VGPR lane
	v_writelane_b32 v43, s42, 0
	v_writelane_b32 v43, s43, 1
	s_or_b64 exec, exec, s[12:13]
	v_mov_b32_e32 v15, 0x4000
	v_cmp_eq_u32_e64 s[10:11], 0, v17
	s_xor_b64 s[12:13], s[8:9], -1
	v_lshl_add_u32 v15, v16, 4, v15
	s_and_b64 s[42:43], s[10:11], s[12:13]
	s_and_saveexec_b64 s[8:9], s[42:43]
; %bb.43:
	ds_write_b128 v15, v[10:13]
; %bb.44:
	s_or_b64 exec, exec, s[8:9]
	v_cmp_ne_u32_e64 s[8:9], 0, v17
	s_and_b64 s[40:41], s[8:9], s[12:13]
	s_waitcnt lgkmcnt(0)
	s_barrier
	s_and_saveexec_b64 s[8:9], s[40:41]
	s_cbranch_execz .LBB188_46
; %bb.45:
	v_mov_b32_e32 v21, 0
	ds_read_b128 v[17:20], v15
	ds_read_b128 v[23:26], v21 offset:1072
	s_waitcnt lgkmcnt(0)
	v_mul_f64 v[27:28], v[19:20], v[25:26]
	v_mul_f64 v[25:26], v[17:18], v[25:26]
	v_fma_f64 v[17:18], v[17:18], v[23:24], -v[27:28]
	v_fma_f64 v[19:20], v[19:20], v[23:24], v[25:26]
	v_add_f64 v[10:11], v[10:11], v[17:18]
	v_add_f64 v[12:13], v[12:13], v[19:20]
.LBB188_46:
	s_or_b64 exec, exec, s[8:9]
	s_barrier
	s_and_saveexec_b64 s[8:9], s[40:41]
; %bb.47:
	ds_write_b128 v15, v[10:13]
; %bb.48:
	s_or_b64 exec, exec, s[8:9]
	s_waitcnt lgkmcnt(0)
	s_barrier
	s_barrier
	s_and_saveexec_b64 s[8:9], s[2:3]
; %bb.49:
	v_xor_b32_e32 v11, 0x80000000, v11
	v_xor_b32_e32 v13, 0x80000000, v13
	ds_write_b128 v14, v[10:13] offset:32
; %bb.50:
	s_or_b64 exec, exec, s[8:9]
	v_cmp_eq_u32_e64 s[10:11], 0, v1
	v_cmp_gt_u32_e64 s[8:9], 2, v0
	s_and_b64 s[44:45], s[10:11], s[8:9]
	s_waitcnt lgkmcnt(0)
	s_barrier
	s_barrier
	s_and_saveexec_b64 s[8:9], s[44:45]
	s_cbranch_execz .LBB188_52
; %bb.51:
	v_lshlrev_b32_e32 v17, 9, v0
	ds_read_b128 v[10:13], v17 offset:32
	s_movk_i32 s0, 0xfe10
	v_mad_i32_i24 v18, v0, s0, v17
	s_waitcnt lgkmcnt(0)
	ds_write_b128 v18, v[10:13] offset:1024
	ds_read_b128 v[10:13], v17 offset:48
	s_waitcnt lgkmcnt(0)
	ds_write_b128 v18, v[10:13] offset:1536
.LBB188_52:
	s_or_b64 exec, exec, s[8:9]
	s_waitcnt lgkmcnt(0)
	s_barrier
	s_and_saveexec_b64 s[8:9], vcc
	s_cbranch_execz .LBB188_54
; %bb.53:
	s_mov_b32 s12, 0
	v_mov_b32_e32 v21, 0
	ds_read_b128 v[10:13], v21 offset:1072
	s_mov_b32 s15, s12
	s_mov_b32 s13, 0x3ff00000
	;; [unrolled: 1-line block ×3, first 2 shown]
	v_mov_b32_e32 v20, s15
	v_mov_b32_e32 v19, s14
	;; [unrolled: 1-line block ×4, first 2 shown]
	ds_write_b128 v21, v[17:20] offset:1056
	ds_write_b128 v21, v[17:20] offset:1584
	s_waitcnt lgkmcnt(2)
	ds_write_b128 v21, v[10:13] offset:1568
.LBB188_54:
	s_or_b64 exec, exec, s[8:9]
	v_and_b32_e32 v20, 3, v0
	v_lshrrev_b32_e32 v21, 2, v22
	v_lshlrev_b32_e32 v18, 4, v20
	v_mov_b32_e32 v12, 0
	v_mov_b32_e32 v10, 0
	v_cmp_lt_u32_e64 s[8:9], 15, v22
	v_cmp_gt_u32_e64 s[16:17], 16, v22
	v_mov_b32_e32 v13, 0
	v_mov_b32_e32 v11, 0
	v_lshl_or_b32 v17, v21, 9, v18
	s_waitcnt lgkmcnt(0)
	s_barrier
	s_and_saveexec_b64 s[14:15], s[16:17]
	s_cbranch_execz .LBB188_60
; %bb.55:
	v_mul_u32_u24_e32 v19, 0x210, v21
	ds_read_b128 v[10:13], v19
	ds_read_b128 v[23:26], v17 offset:64
	v_cmp_gt_u32_e64 s[12:13], 12, v22
	s_waitcnt lgkmcnt(0)
	v_mul_f64 v[27:28], v[12:13], v[25:26]
	v_mul_f64 v[25:26], v[10:11], v[25:26]
	v_fma_f64 v[10:11], v[10:11], v[23:24], -v[27:28]
	v_fma_f64 v[12:13], v[12:13], v[23:24], v[25:26]
	v_add_f64 v[10:11], v[10:11], 0
	v_add_f64 v[12:13], v[12:13], 0
	s_and_saveexec_b64 s[18:19], s[12:13]
	s_cbranch_execnz .LBB188_517
; %bb.56:
	s_or_b64 exec, exec, s[18:19]
	v_cmp_gt_u32_e64 s[12:13], 8, v22
	s_and_saveexec_b64 s[18:19], s[12:13]
	s_cbranch_execnz .LBB188_518
.LBB188_57:
	s_or_b64 exec, exec, s[18:19]
	v_cmp_gt_u32_e64 s[12:13], 4, v22
	s_and_saveexec_b64 s[18:19], s[12:13]
	s_cbranch_execz .LBB188_59
.LBB188_58:
	v_mov_b32_e32 v23, 0
	v_lshlrev_b32_e32 v19, 4, v0
	ds_read_b128 v[23:26], v23 offset:48
	ds_read_b128 v[27:30], v19 offset:1600
	s_waitcnt lgkmcnt(0)
	v_mul_f64 v[31:32], v[25:26], v[29:30]
	v_mul_f64 v[29:30], v[23:24], v[29:30]
	v_fma_f64 v[23:24], v[23:24], v[27:28], -v[31:32]
	v_fma_f64 v[25:26], v[25:26], v[27:28], v[29:30]
	v_add_f64 v[10:11], v[10:11], v[23:24]
	v_add_f64 v[12:13], v[12:13], v[25:26]
.LBB188_59:
	s_or_b64 exec, exec, s[18:19]
	v_xor_b32_e32 v11, 0x80000000, v11
	v_xor_b32_e32 v13, 0x80000000, v13
.LBB188_60:
	s_or_b64 exec, exec, s[14:15]
	v_mov_b32_e32 v19, 0x4000
	v_cmp_eq_u32_e64 s[12:13], 0, v20
	s_xor_b64 s[14:15], s[8:9], -1
	v_lshl_add_u32 v19, v21, 4, v19
	s_and_b64 s[48:49], s[12:13], s[14:15]
	s_and_saveexec_b64 s[8:9], s[48:49]
; %bb.61:
	ds_write_b128 v19, v[10:13]
; %bb.62:
	s_or_b64 exec, exec, s[8:9]
	v_cmp_ne_u32_e64 s[8:9], 0, v20
	s_and_b64 s[50:51], s[8:9], s[14:15]
	s_waitcnt lgkmcnt(0)
	s_barrier
	s_and_saveexec_b64 s[8:9], s[50:51]
	s_cbranch_execz .LBB188_64
; %bb.63:
	ds_read_b128 v[23:26], v19
	ds_read_b128 v[27:30], v18 offset:2112
	s_waitcnt lgkmcnt(0)
	v_mul_f64 v[31:32], v[25:26], v[29:30]
	v_mul_f64 v[29:30], v[23:24], v[29:30]
	v_fma_f64 v[23:24], v[23:24], v[27:28], -v[31:32]
	v_fma_f64 v[25:26], v[25:26], v[27:28], v[29:30]
	v_add_f64 v[10:11], v[10:11], v[23:24]
	v_add_f64 v[12:13], v[12:13], v[25:26]
.LBB188_64:
	s_or_b64 exec, exec, s[8:9]
	v_cmp_eq_u32_e64 s[8:9], 1, v20
	s_and_b64 s[52:53], s[8:9], s[14:15]
	s_barrier
	s_and_saveexec_b64 s[8:9], s[52:53]
; %bb.65:
	ds_write_b128 v19, v[10:13]
; %bb.66:
	s_or_b64 exec, exec, s[8:9]
	v_cmp_lt_u32_e64 s[8:9], 1, v20
	s_and_b64 s[54:55], s[8:9], s[14:15]
	s_waitcnt lgkmcnt(0)
	s_barrier
	s_and_saveexec_b64 s[8:9], s[54:55]
	s_cbranch_execz .LBB188_68
; %bb.67:
	ds_read_b128 v[23:26], v19
	ds_read_b128 v[27:30], v18 offset:2624
	s_waitcnt lgkmcnt(0)
	v_mul_f64 v[31:32], v[25:26], v[29:30]
	v_mul_f64 v[29:30], v[23:24], v[29:30]
	v_fma_f64 v[23:24], v[23:24], v[27:28], -v[31:32]
	v_fma_f64 v[25:26], v[25:26], v[27:28], v[29:30]
	v_add_f64 v[10:11], v[10:11], v[23:24]
	v_add_f64 v[12:13], v[12:13], v[25:26]
.LBB188_68:
	s_or_b64 exec, exec, s[8:9]
	v_cmp_eq_u32_e64 s[8:9], 2, v20
	s_and_b64 s[56:57], s[8:9], s[14:15]
	s_barrier
	s_and_saveexec_b64 s[8:9], s[56:57]
; %bb.69:
	ds_write_b128 v19, v[10:13]
; %bb.70:
	s_or_b64 exec, exec, s[8:9]
	v_cmp_eq_u32_e64 s[8:9], 3, v20
	s_and_b64 s[46:47], s[8:9], s[14:15]
	s_waitcnt lgkmcnt(0)
	s_barrier
	s_and_saveexec_b64 s[8:9], s[46:47]
	s_cbranch_execz .LBB188_72
; %bb.71:
	v_mov_b32_e32 v27, 0
	ds_read_b128 v[23:26], v19
	ds_read_b128 v[27:30], v27 offset:3184
	s_waitcnt lgkmcnt(0)
	v_mul_f64 v[31:32], v[25:26], v[29:30]
	v_mul_f64 v[29:30], v[23:24], v[29:30]
	v_fma_f64 v[23:24], v[23:24], v[27:28], -v[31:32]
	v_fma_f64 v[25:26], v[25:26], v[27:28], v[29:30]
	v_add_f64 v[10:11], v[10:11], v[23:24]
	v_add_f64 v[12:13], v[12:13], v[25:26]
.LBB188_72:
	s_or_b64 exec, exec, s[8:9]
	s_barrier
	s_and_saveexec_b64 s[8:9], s[46:47]
; %bb.73:
	ds_write_b128 v19, v[10:13]
; %bb.74:
	s_or_b64 exec, exec, s[8:9]
	s_waitcnt lgkmcnt(0)
	s_barrier
	s_barrier
	s_and_saveexec_b64 s[8:9], s[16:17]
; %bb.75:
	v_xor_b32_e32 v13, 0x80000000, v13
	v_xor_b32_e32 v11, 0x80000000, v11
	ds_write_b128 v17, v[10:13] offset:64
; %bb.76:
	s_or_b64 exec, exec, s[8:9]
	v_cmp_gt_u32_e64 s[8:9], 4, v0
	s_and_b64 s[58:59], s[10:11], s[8:9]
	s_waitcnt lgkmcnt(0)
	s_barrier
	s_barrier
	s_and_saveexec_b64 s[8:9], s[58:59]
	s_cbranch_execz .LBB188_78
; %bb.77:
	v_lshlrev_b32_e32 v23, 4, v0
	s_movk_i32 s0, 0x1f0
	v_mad_u32_u24 v24, v0, s0, v23
	ds_read_b128 v[10:13], v24 offset:64
	s_waitcnt lgkmcnt(0)
	ds_write_b128 v23, v[10:13] offset:2048
	ds_read_b128 v[10:13], v24 offset:80
	s_waitcnt lgkmcnt(0)
	ds_write_b128 v23, v[10:13] offset:2560
	;; [unrolled: 3-line block ×4, first 2 shown]
.LBB188_78:
	s_or_b64 exec, exec, s[8:9]
	s_waitcnt lgkmcnt(0)
	s_barrier
	s_and_saveexec_b64 s[8:9], vcc
	s_cbranch_execz .LBB188_80
; %bb.79:
	s_mov_b32 s12, 0
	v_mov_b32_e32 v27, 0
	ds_read_b128 v[10:13], v27 offset:2128
	s_mov_b32 s15, s12
	s_mov_b32 s13, 0x3ff00000
	;; [unrolled: 1-line block ×3, first 2 shown]
	v_mov_b32_e32 v26, s15
	v_mov_b32_e32 v25, s14
	;; [unrolled: 1-line block ×4, first 2 shown]
	ds_write_b128 v27, v[23:26] offset:2112
	ds_write_b128 v27, v[23:26] offset:2640
	s_waitcnt lgkmcnt(2)
	ds_write_b128 v27, v[10:13] offset:2624
.LBB188_80:
	s_or_b64 exec, exec, s[8:9]
	v_mov_b32_e32 v12, 0
	v_mov_b32_e32 v10, 0
	;; [unrolled: 1-line block ×4, first 2 shown]
	s_waitcnt lgkmcnt(0)
	s_barrier
	s_and_saveexec_b64 s[12:13], s[2:3]
	s_cbranch_execz .LBB188_84
; %bb.81:
	v_mul_u32_u24_e32 v10, 0x210, v16
	ds_read_b128 v[10:13], v10 offset:2112
	ds_read_b128 v[23:26], v14 offset:2144
	v_cmp_gt_u32_e64 s[8:9], 2, v22
	s_waitcnt lgkmcnt(0)
	v_mul_f64 v[27:28], v[12:13], v[25:26]
	v_mul_f64 v[25:26], v[10:11], v[25:26]
	v_fma_f64 v[10:11], v[10:11], v[23:24], -v[27:28]
	v_fma_f64 v[12:13], v[12:13], v[23:24], v[25:26]
	v_add_f64 v[10:11], v[10:11], 0
	v_add_f64 v[12:13], v[12:13], 0
	s_and_saveexec_b64 s[14:15], s[8:9]
	s_cbranch_execz .LBB188_83
; %bb.82:
	v_lshlrev_b32_e32 v27, 4, v0
	v_mov_b32_e32 v23, 0
	ds_read_b128 v[23:26], v23 offset:2128
	ds_read_b128 v[27:30], v27 offset:2656
	s_waitcnt lgkmcnt(0)
	v_mul_f64 v[31:32], v[25:26], v[29:30]
	v_mul_f64 v[29:30], v[23:24], v[29:30]
	v_fma_f64 v[23:24], v[23:24], v[27:28], -v[31:32]
	v_fma_f64 v[25:26], v[25:26], v[27:28], v[29:30]
	v_add_f64 v[10:11], v[10:11], v[23:24]
	v_add_f64 v[12:13], v[12:13], v[25:26]
.LBB188_83:
	s_or_b64 exec, exec, s[14:15]
	v_xor_b32_e32 v11, 0x80000000, v11
	v_xor_b32_e32 v13, 0x80000000, v13
.LBB188_84:
	s_or_b64 exec, exec, s[12:13]
	s_and_saveexec_b64 s[8:9], s[42:43]
; %bb.85:
	ds_write_b128 v15, v[10:13]
; %bb.86:
	s_or_b64 exec, exec, s[8:9]
	s_waitcnt lgkmcnt(0)
	s_barrier
	s_and_saveexec_b64 s[8:9], s[40:41]
	s_cbranch_execz .LBB188_88
; %bb.87:
	v_mov_b32_e32 v27, 0
	ds_read_b128 v[23:26], v15
	ds_read_b128 v[27:30], v27 offset:3184
	s_waitcnt lgkmcnt(0)
	v_mul_f64 v[31:32], v[25:26], v[29:30]
	v_mul_f64 v[29:30], v[23:24], v[29:30]
	v_fma_f64 v[23:24], v[23:24], v[27:28], -v[31:32]
	v_fma_f64 v[25:26], v[25:26], v[27:28], v[29:30]
	v_add_f64 v[10:11], v[10:11], v[23:24]
	v_add_f64 v[12:13], v[12:13], v[25:26]
.LBB188_88:
	s_or_b64 exec, exec, s[8:9]
	s_barrier
	s_and_saveexec_b64 s[8:9], s[40:41]
; %bb.89:
	ds_write_b128 v15, v[10:13]
; %bb.90:
	s_or_b64 exec, exec, s[8:9]
	s_waitcnt lgkmcnt(0)
	s_barrier
	s_barrier
	s_and_saveexec_b64 s[8:9], s[2:3]
; %bb.91:
	v_xor_b32_e32 v11, 0x80000000, v11
	v_xor_b32_e32 v13, 0x80000000, v13
	ds_write_b128 v14, v[10:13] offset:2144
; %bb.92:
	s_or_b64 exec, exec, s[8:9]
	s_waitcnt lgkmcnt(0)
	s_barrier
	s_barrier
	s_and_saveexec_b64 s[8:9], s[44:45]
	s_cbranch_execz .LBB188_94
; %bb.93:
	v_lshlrev_b32_e32 v23, 9, v0
	ds_read_b128 v[10:13], v23 offset:2144
	s_movk_i32 s0, 0xfe10
	v_mad_i32_i24 v24, v0, s0, v23
	s_waitcnt lgkmcnt(0)
	ds_write_b128 v24, v[10:13] offset:3136
	ds_read_b128 v[10:13], v23 offset:2160
	s_waitcnt lgkmcnt(0)
	ds_write_b128 v24, v[10:13] offset:3648
.LBB188_94:
	s_or_b64 exec, exec, s[8:9]
	s_waitcnt lgkmcnt(0)
	s_barrier
	s_and_saveexec_b64 s[8:9], vcc
	s_cbranch_execz .LBB188_96
; %bb.95:
	s_mov_b32 s12, 0
	v_mov_b32_e32 v27, 0
	ds_read_b128 v[10:13], v27 offset:3184
	s_mov_b32 s15, s12
	s_mov_b32 s13, 0x3ff00000
	s_mov_b32 s14, s12
	v_mov_b32_e32 v26, s15
	v_mov_b32_e32 v25, s14
	;; [unrolled: 1-line block ×4, first 2 shown]
	ds_write_b128 v27, v[23:26] offset:3168
	ds_write_b128 v27, v[23:26] offset:3696
	s_waitcnt lgkmcnt(2)
	ds_write_b128 v27, v[10:13] offset:3680
.LBB188_96:
	s_or_b64 exec, exec, s[8:9]
	v_and_b32_e32 v26, 7, v0
	v_lshrrev_b32_e32 v27, 3, v22
	v_lshlrev_b32_e32 v24, 4, v26
	v_mov_b32_e32 v12, 0
	v_mov_b32_e32 v10, 0
	v_cmp_lt_u32_e64 s[12:13], 63, v22
	v_cmp_gt_u32_e64 s[8:9], 64, v22
	v_mov_b32_e32 v13, 0
	v_mov_b32_e32 v11, 0
	v_lshl_or_b32 v23, v27, 9, v24
	s_waitcnt lgkmcnt(0)
	s_barrier
	s_and_saveexec_b64 s[18:19], s[8:9]
	s_cbranch_execz .LBB188_106
; %bb.97:
	v_mul_u32_u24_e32 v25, 0x210, v27
	ds_read_b128 v[10:13], v25
	ds_read_b128 v[28:31], v23 offset:128
	v_cmp_gt_u32_e64 s[14:15], 56, v22
	s_waitcnt lgkmcnt(0)
	v_mul_f64 v[32:33], v[12:13], v[30:31]
	v_mul_f64 v[30:31], v[10:11], v[30:31]
	v_fma_f64 v[10:11], v[10:11], v[28:29], -v[32:33]
	v_fma_f64 v[12:13], v[12:13], v[28:29], v[30:31]
	v_add_f64 v[10:11], v[10:11], 0
	v_add_f64 v[12:13], v[12:13], 0
	s_and_saveexec_b64 s[60:61], s[14:15]
	s_cbranch_execnz .LBB188_519
; %bb.98:
	s_or_b64 exec, exec, s[60:61]
	v_cmp_gt_u32_e64 s[14:15], 48, v22
	s_and_saveexec_b64 s[60:61], s[14:15]
	s_cbranch_execnz .LBB188_520
.LBB188_99:
	s_or_b64 exec, exec, s[60:61]
	v_cmp_gt_u32_e64 s[14:15], 40, v22
	s_and_saveexec_b64 s[60:61], s[14:15]
	s_cbranch_execnz .LBB188_521
.LBB188_100:
	s_or_b64 exec, exec, s[60:61]
	v_cmp_gt_u32_e64 s[14:15], 32, v22
	s_and_saveexec_b64 s[60:61], s[14:15]
	s_cbranch_execnz .LBB188_522
.LBB188_101:
	s_or_b64 exec, exec, s[60:61]
	v_cmp_gt_u32_e64 s[14:15], 24, v22
	s_and_saveexec_b64 s[60:61], s[14:15]
	s_cbranch_execnz .LBB188_523
.LBB188_102:
	s_or_b64 exec, exec, s[60:61]
	v_cmp_gt_u32_e64 s[14:15], 16, v22
	s_and_saveexec_b64 s[60:61], s[14:15]
	s_cbranch_execnz .LBB188_524
.LBB188_103:
	s_or_b64 exec, exec, s[60:61]
	v_cmp_gt_u32_e64 s[14:15], 8, v22
	s_and_saveexec_b64 s[60:61], s[14:15]
	s_cbranch_execz .LBB188_105
.LBB188_104:
	v_mov_b32_e32 v28, 0
	v_lshlrev_b32_e32 v25, 4, v0
	ds_read_b128 v[28:31], v28 offset:112
	ds_read_b128 v[32:35], v25 offset:3712
	s_waitcnt lgkmcnt(0)
	v_mul_f64 v[36:37], v[30:31], v[34:35]
	v_mul_f64 v[34:35], v[28:29], v[34:35]
	v_fma_f64 v[28:29], v[28:29], v[32:33], -v[36:37]
	v_fma_f64 v[30:31], v[30:31], v[32:33], v[34:35]
	v_add_f64 v[10:11], v[10:11], v[28:29]
	v_add_f64 v[12:13], v[12:13], v[30:31]
.LBB188_105:
	s_or_b64 exec, exec, s[60:61]
	v_xor_b32_e32 v11, 0x80000000, v11
	v_xor_b32_e32 v13, 0x80000000, v13
.LBB188_106:
	s_or_b64 exec, exec, s[18:19]
	v_mov_b32_e32 v25, 0x4000
	v_lshl_add_u32 v25, v27, 4, v25
	v_cmp_eq_u32_e64 s[14:15], 0, v26
	s_xor_b64 s[18:19], s[12:13], -1
	s_and_b64 s[0:1], s[14:15], s[18:19]
	s_mov_b64 s[12:13], exec
	v_writelane_b32 v43, s0, 2
	v_writelane_b32 v43, s1, 3
	s_and_b64 s[0:1], s[12:13], s[0:1]
	s_mov_b64 exec, s[0:1]
; %bb.107:
	ds_write_b128 v25, v[10:13]
; %bb.108:
	s_or_b64 exec, exec, s[12:13]
	v_cmp_ne_u32_e64 s[12:13], 0, v26
	s_waitcnt lgkmcnt(0)
	s_barrier
	s_and_b64 s[0:1], s[12:13], s[18:19]
	s_mov_b64 s[12:13], exec
	v_writelane_b32 v43, s0, 4
	v_writelane_b32 v43, s1, 5
	s_and_b64 s[0:1], s[12:13], s[0:1]
	s_mov_b64 exec, s[0:1]
	s_cbranch_execz .LBB188_110
; %bb.109:
	ds_read_b128 v[28:31], v25
	ds_read_b128 v[32:35], v24 offset:4224
	s_waitcnt lgkmcnt(0)
	v_mul_f64 v[36:37], v[30:31], v[34:35]
	v_mul_f64 v[34:35], v[28:29], v[34:35]
	v_fma_f64 v[28:29], v[28:29], v[32:33], -v[36:37]
	v_fma_f64 v[30:31], v[30:31], v[32:33], v[34:35]
	v_add_f64 v[10:11], v[10:11], v[28:29]
	v_add_f64 v[12:13], v[12:13], v[30:31]
.LBB188_110:
	s_or_b64 exec, exec, s[12:13]
	v_cmp_eq_u32_e64 s[12:13], 1, v26
	s_and_b64 s[0:1], s[12:13], s[18:19]
	s_barrier
	s_and_saveexec_b64 s[12:13], s[0:1]
; %bb.111:
	ds_write_b128 v25, v[10:13]
; %bb.112:
	s_or_b64 exec, exec, s[12:13]
	v_cmp_lt_u32_e64 s[12:13], 1, v26
	s_and_b64 s[68:69], s[12:13], s[18:19]
	s_waitcnt lgkmcnt(0)
	s_barrier
	s_and_saveexec_b64 s[12:13], s[68:69]
	s_cbranch_execz .LBB188_114
; %bb.113:
	ds_read_b128 v[28:31], v25
	ds_read_b128 v[32:35], v24 offset:4736
	s_waitcnt lgkmcnt(0)
	v_mul_f64 v[36:37], v[30:31], v[34:35]
	v_mul_f64 v[34:35], v[28:29], v[34:35]
	v_fma_f64 v[28:29], v[28:29], v[32:33], -v[36:37]
	v_fma_f64 v[30:31], v[30:31], v[32:33], v[34:35]
	v_add_f64 v[10:11], v[10:11], v[28:29]
	v_add_f64 v[12:13], v[12:13], v[30:31]
.LBB188_114:
	s_or_b64 exec, exec, s[12:13]
	v_cmp_eq_u32_e64 s[12:13], 2, v26
	s_and_b64 s[70:71], s[12:13], s[18:19]
	s_barrier
	s_and_saveexec_b64 s[12:13], s[70:71]
; %bb.115:
	ds_write_b128 v25, v[10:13]
; %bb.116:
	s_or_b64 exec, exec, s[12:13]
	v_cmp_lt_u32_e64 s[12:13], 2, v26
	s_and_b64 s[72:73], s[12:13], s[18:19]
	s_waitcnt lgkmcnt(0)
	s_barrier
	s_and_saveexec_b64 s[12:13], s[72:73]
	s_cbranch_execz .LBB188_118
; %bb.117:
	ds_read_b128 v[28:31], v25
	ds_read_b128 v[32:35], v24 offset:5248
	s_waitcnt lgkmcnt(0)
	v_mul_f64 v[36:37], v[30:31], v[34:35]
	v_mul_f64 v[34:35], v[28:29], v[34:35]
	v_fma_f64 v[28:29], v[28:29], v[32:33], -v[36:37]
	v_fma_f64 v[30:31], v[30:31], v[32:33], v[34:35]
	v_add_f64 v[10:11], v[10:11], v[28:29]
	v_add_f64 v[12:13], v[12:13], v[30:31]
.LBB188_118:
	s_or_b64 exec, exec, s[12:13]
	v_cmp_eq_u32_e64 s[12:13], 3, v26
	s_and_b64 s[74:75], s[12:13], s[18:19]
	s_barrier
	s_and_saveexec_b64 s[12:13], s[74:75]
; %bb.119:
	ds_write_b128 v25, v[10:13]
; %bb.120:
	s_or_b64 exec, exec, s[12:13]
	v_cmp_lt_u32_e64 s[12:13], 3, v26
	s_and_b64 s[76:77], s[12:13], s[18:19]
	s_waitcnt lgkmcnt(0)
	s_barrier
	s_and_saveexec_b64 s[12:13], s[76:77]
	s_cbranch_execz .LBB188_122
; %bb.121:
	ds_read_b128 v[28:31], v25
	ds_read_b128 v[32:35], v24 offset:5760
	s_waitcnt lgkmcnt(0)
	v_mul_f64 v[36:37], v[30:31], v[34:35]
	v_mul_f64 v[34:35], v[28:29], v[34:35]
	v_fma_f64 v[28:29], v[28:29], v[32:33], -v[36:37]
	v_fma_f64 v[30:31], v[30:31], v[32:33], v[34:35]
	v_add_f64 v[10:11], v[10:11], v[28:29]
	v_add_f64 v[12:13], v[12:13], v[30:31]
.LBB188_122:
	s_or_b64 exec, exec, s[12:13]
	v_cmp_eq_u32_e64 s[12:13], 4, v26
	s_and_b64 s[78:79], s[12:13], s[18:19]
	s_barrier
	s_and_saveexec_b64 s[12:13], s[78:79]
; %bb.123:
	ds_write_b128 v25, v[10:13]
; %bb.124:
	s_or_b64 exec, exec, s[12:13]
	v_cmp_lt_u32_e64 s[12:13], 4, v26
	s_and_b64 s[80:81], s[12:13], s[18:19]
	s_waitcnt lgkmcnt(0)
	s_barrier
	s_and_saveexec_b64 s[12:13], s[80:81]
	s_cbranch_execz .LBB188_126
; %bb.125:
	ds_read_b128 v[28:31], v25
	ds_read_b128 v[32:35], v24 offset:6272
	s_waitcnt lgkmcnt(0)
	v_mul_f64 v[36:37], v[30:31], v[34:35]
	v_mul_f64 v[34:35], v[28:29], v[34:35]
	v_fma_f64 v[28:29], v[28:29], v[32:33], -v[36:37]
	v_fma_f64 v[30:31], v[30:31], v[32:33], v[34:35]
	v_add_f64 v[10:11], v[10:11], v[28:29]
	v_add_f64 v[12:13], v[12:13], v[30:31]
.LBB188_126:
	s_or_b64 exec, exec, s[12:13]
	v_cmp_eq_u32_e64 s[12:13], 5, v26
	s_and_b64 s[82:83], s[12:13], s[18:19]
	s_barrier
	s_and_saveexec_b64 s[12:13], s[82:83]
; %bb.127:
	ds_write_b128 v25, v[10:13]
; %bb.128:
	s_or_b64 exec, exec, s[12:13]
	v_cmp_lt_u32_e64 s[12:13], 5, v26
	s_and_b64 s[84:85], s[12:13], s[18:19]
	s_waitcnt lgkmcnt(0)
	s_barrier
	s_and_saveexec_b64 s[12:13], s[84:85]
	s_cbranch_execz .LBB188_130
; %bb.129:
	ds_read_b128 v[28:31], v25
	ds_read_b128 v[32:35], v24 offset:6784
	s_waitcnt lgkmcnt(0)
	v_mul_f64 v[36:37], v[30:31], v[34:35]
	v_mul_f64 v[34:35], v[28:29], v[34:35]
	v_fma_f64 v[28:29], v[28:29], v[32:33], -v[36:37]
	v_fma_f64 v[30:31], v[30:31], v[32:33], v[34:35]
	v_add_f64 v[10:11], v[10:11], v[28:29]
	v_add_f64 v[12:13], v[12:13], v[30:31]
.LBB188_130:
	s_or_b64 exec, exec, s[12:13]
	v_cmp_eq_u32_e64 s[12:13], 6, v26
	s_and_b64 s[86:87], s[12:13], s[18:19]
	s_barrier
	s_and_saveexec_b64 s[12:13], s[86:87]
; %bb.131:
	ds_write_b128 v25, v[10:13]
; %bb.132:
	s_or_b64 exec, exec, s[12:13]
	v_cmp_eq_u32_e64 s[12:13], 7, v26
	s_and_b64 s[60:61], s[12:13], s[18:19]
	s_waitcnt lgkmcnt(0)
	s_barrier
	s_and_saveexec_b64 s[12:13], s[60:61]
	s_cbranch_execz .LBB188_134
; %bb.133:
	v_mov_b32_e32 v32, 0
	ds_read_b128 v[28:31], v25
	ds_read_b128 v[32:35], v32 offset:7408
	s_waitcnt lgkmcnt(0)
	v_mul_f64 v[36:37], v[30:31], v[34:35]
	v_mul_f64 v[34:35], v[28:29], v[34:35]
	v_fma_f64 v[28:29], v[28:29], v[32:33], -v[36:37]
	v_fma_f64 v[30:31], v[30:31], v[32:33], v[34:35]
	v_add_f64 v[10:11], v[10:11], v[28:29]
	v_add_f64 v[12:13], v[12:13], v[30:31]
.LBB188_134:
	s_or_b64 exec, exec, s[12:13]
	s_barrier
	s_and_saveexec_b64 s[12:13], s[60:61]
; %bb.135:
	ds_write_b128 v25, v[10:13]
; %bb.136:
	s_or_b64 exec, exec, s[12:13]
	s_waitcnt lgkmcnt(0)
	s_barrier
	s_barrier
	s_and_saveexec_b64 s[12:13], s[8:9]
; %bb.137:
	v_xor_b32_e32 v11, 0x80000000, v11
	v_xor_b32_e32 v13, 0x80000000, v13
	ds_write_b128 v23, v[10:13] offset:128
; %bb.138:
	s_or_b64 exec, exec, s[12:13]
	v_cmp_gt_u32_e64 s[12:13], 8, v0
	s_and_b64 s[88:89], s[10:11], s[12:13]
	s_waitcnt lgkmcnt(0)
	s_barrier
	s_barrier
	s_and_saveexec_b64 s[12:13], s[88:89]
	s_cbranch_execz .LBB188_140
; %bb.139:
	v_lshlrev_b32_e32 v28, 9, v0
	ds_read_b128 v[10:13], v28 offset:128
	s_movk_i32 s14, 0xfe10
	v_mad_i32_i24 v29, v0, s14, v28
	s_waitcnt lgkmcnt(0)
	ds_write_b128 v29, v[10:13] offset:4096
	ds_read_b128 v[10:13], v28 offset:144
	s_waitcnt lgkmcnt(0)
	ds_write_b128 v29, v[10:13] offset:4608
	ds_read_b128 v[10:13], v28 offset:160
	;; [unrolled: 3-line block ×7, first 2 shown]
	s_waitcnt lgkmcnt(0)
	ds_write_b128 v29, v[10:13] offset:7680
.LBB188_140:
	s_or_b64 exec, exec, s[12:13]
	s_waitcnt lgkmcnt(0)
	s_barrier
	s_and_saveexec_b64 s[12:13], vcc
	s_cbranch_execz .LBB188_142
; %bb.141:
	v_mov_b32_e32 v32, 0
	s_mov_b32 s64, 0
	ds_read_b128 v[10:13], v32 offset:4240
	s_mov_b32 s65, 0x3ff00000
	s_mov_b32 s66, s64
	;; [unrolled: 1-line block ×3, first 2 shown]
	v_mov_b32_e32 v28, s64
	v_mov_b32_e32 v29, s65
	;; [unrolled: 1-line block ×4, first 2 shown]
	ds_write_b128 v32, v[28:31] offset:4224
	ds_write_b128 v32, v[28:31] offset:4752
	s_waitcnt lgkmcnt(2)
	ds_write_b128 v32, v[10:13] offset:4736
.LBB188_142:
	s_or_b64 exec, exec, s[12:13]
	v_mov_b32_e32 v12, 0
	v_mov_b32_e32 v10, 0
	;; [unrolled: 1-line block ×4, first 2 shown]
	s_waitcnt lgkmcnt(0)
	s_barrier
	s_and_saveexec_b64 s[14:15], s[2:3]
	s_cbranch_execz .LBB188_146
; %bb.143:
	v_mul_u32_u24_e32 v10, 0x210, v16
	ds_read_b128 v[10:13], v10 offset:4224
	ds_read_b128 v[28:31], v14 offset:4256
	v_cmp_gt_u32_e64 s[12:13], 2, v22
	s_waitcnt lgkmcnt(0)
	v_mul_f64 v[32:33], v[12:13], v[30:31]
	v_mul_f64 v[30:31], v[10:11], v[30:31]
	v_fma_f64 v[10:11], v[10:11], v[28:29], -v[32:33]
	v_fma_f64 v[12:13], v[12:13], v[28:29], v[30:31]
	v_add_f64 v[10:11], v[10:11], 0
	v_add_f64 v[12:13], v[12:13], 0
	s_and_saveexec_b64 s[18:19], s[12:13]
	s_cbranch_execz .LBB188_145
; %bb.144:
	v_lshlrev_b32_e32 v32, 4, v0
	v_mov_b32_e32 v28, 0
	ds_read_b128 v[28:31], v28 offset:4240
	ds_read_b128 v[32:35], v32 offset:4768
	s_waitcnt lgkmcnt(0)
	v_mul_f64 v[36:37], v[30:31], v[34:35]
	v_mul_f64 v[34:35], v[28:29], v[34:35]
	v_fma_f64 v[28:29], v[28:29], v[32:33], -v[36:37]
	v_fma_f64 v[30:31], v[30:31], v[32:33], v[34:35]
	v_add_f64 v[10:11], v[10:11], v[28:29]
	v_add_f64 v[12:13], v[12:13], v[30:31]
.LBB188_145:
	s_or_b64 exec, exec, s[18:19]
	v_xor_b32_e32 v11, 0x80000000, v11
	v_xor_b32_e32 v13, 0x80000000, v13
.LBB188_146:
	s_or_b64 exec, exec, s[14:15]
	s_and_saveexec_b64 s[12:13], s[42:43]
; %bb.147:
	ds_write_b128 v15, v[10:13]
; %bb.148:
	s_or_b64 exec, exec, s[12:13]
	s_waitcnt lgkmcnt(0)
	s_barrier
	s_and_saveexec_b64 s[12:13], s[40:41]
	s_cbranch_execz .LBB188_150
; %bb.149:
	v_mov_b32_e32 v32, 0
	ds_read_b128 v[28:31], v15
	ds_read_b128 v[32:35], v32 offset:5296
	s_waitcnt lgkmcnt(0)
	v_mul_f64 v[36:37], v[30:31], v[34:35]
	v_mul_f64 v[34:35], v[28:29], v[34:35]
	v_fma_f64 v[28:29], v[28:29], v[32:33], -v[36:37]
	v_fma_f64 v[30:31], v[30:31], v[32:33], v[34:35]
	v_add_f64 v[10:11], v[10:11], v[28:29]
	v_add_f64 v[12:13], v[12:13], v[30:31]
.LBB188_150:
	s_or_b64 exec, exec, s[12:13]
	s_barrier
	s_and_saveexec_b64 s[12:13], s[40:41]
; %bb.151:
	ds_write_b128 v15, v[10:13]
; %bb.152:
	s_or_b64 exec, exec, s[12:13]
	s_waitcnt lgkmcnt(0)
	s_barrier
	s_barrier
	s_and_saveexec_b64 s[12:13], s[2:3]
; %bb.153:
	v_xor_b32_e32 v11, 0x80000000, v11
	v_xor_b32_e32 v13, 0x80000000, v13
	ds_write_b128 v14, v[10:13] offset:4256
; %bb.154:
	s_or_b64 exec, exec, s[12:13]
	s_waitcnt lgkmcnt(0)
	s_barrier
	s_barrier
	s_and_saveexec_b64 s[12:13], s[44:45]
	s_cbranch_execz .LBB188_156
; %bb.155:
	v_lshlrev_b32_e32 v28, 9, v0
	ds_read_b128 v[10:13], v28 offset:4256
	s_movk_i32 s14, 0xfe10
	v_mad_i32_i24 v29, v0, s14, v28
	s_waitcnt lgkmcnt(0)
	ds_write_b128 v29, v[10:13] offset:5248
	ds_read_b128 v[10:13], v28 offset:4272
	s_waitcnt lgkmcnt(0)
	ds_write_b128 v29, v[10:13] offset:5760
.LBB188_156:
	s_or_b64 exec, exec, s[12:13]
	s_waitcnt lgkmcnt(0)
	s_barrier
	s_and_saveexec_b64 s[12:13], vcc
	s_cbranch_execz .LBB188_158
; %bb.157:
	v_mov_b32_e32 v32, 0
	s_mov_b32 s64, 0
	ds_read_b128 v[10:13], v32 offset:5296
	s_mov_b32 s65, 0x3ff00000
	s_mov_b32 s66, s64
	;; [unrolled: 1-line block ×3, first 2 shown]
	v_mov_b32_e32 v28, s64
	v_mov_b32_e32 v29, s65
	;; [unrolled: 1-line block ×4, first 2 shown]
	ds_write_b128 v32, v[28:31] offset:5280
	ds_write_b128 v32, v[28:31] offset:5808
	s_waitcnt lgkmcnt(2)
	ds_write_b128 v32, v[10:13] offset:5792
.LBB188_158:
	s_or_b64 exec, exec, s[12:13]
	v_mov_b32_e32 v12, 0
	v_mov_b32_e32 v10, 0
	v_mov_b32_e32 v13, 0
	v_mov_b32_e32 v11, 0
	s_waitcnt lgkmcnt(0)
	s_barrier
	s_and_saveexec_b64 s[14:15], s[16:17]
	s_cbranch_execz .LBB188_164
; %bb.159:
	v_mul_u32_u24_e32 v28, 0x210, v21
	ds_read_b128 v[10:13], v28 offset:4224
	ds_read_b128 v[29:32], v17 offset:4288
	v_cmp_gt_u32_e64 s[12:13], 12, v22
	s_waitcnt lgkmcnt(0)
	v_mul_f64 v[33:34], v[12:13], v[31:32]
	v_mul_f64 v[31:32], v[10:11], v[31:32]
	v_fma_f64 v[10:11], v[10:11], v[29:30], -v[33:34]
	v_fma_f64 v[12:13], v[12:13], v[29:30], v[31:32]
	v_add_f64 v[10:11], v[10:11], 0
	v_add_f64 v[12:13], v[12:13], 0
	s_and_saveexec_b64 s[18:19], s[12:13]
	s_cbranch_execnz .LBB188_525
; %bb.160:
	s_or_b64 exec, exec, s[18:19]
	v_cmp_gt_u32_e64 s[12:13], 8, v22
	s_and_saveexec_b64 s[18:19], s[12:13]
	s_cbranch_execnz .LBB188_526
.LBB188_161:
	s_or_b64 exec, exec, s[18:19]
	v_cmp_gt_u32_e64 s[12:13], 4, v22
	s_and_saveexec_b64 s[18:19], s[12:13]
	s_cbranch_execz .LBB188_163
.LBB188_162:
	v_lshlrev_b32_e32 v32, 4, v0
	v_mov_b32_e32 v28, 0
	ds_read_b128 v[28:31], v28 offset:4272
	ds_read_b128 v[32:35], v32 offset:5824
	s_waitcnt lgkmcnt(0)
	v_mul_f64 v[36:37], v[30:31], v[34:35]
	v_mul_f64 v[34:35], v[28:29], v[34:35]
	v_fma_f64 v[28:29], v[28:29], v[32:33], -v[36:37]
	v_fma_f64 v[30:31], v[30:31], v[32:33], v[34:35]
	v_add_f64 v[10:11], v[10:11], v[28:29]
	v_add_f64 v[12:13], v[12:13], v[30:31]
.LBB188_163:
	s_or_b64 exec, exec, s[18:19]
	v_xor_b32_e32 v11, 0x80000000, v11
	v_xor_b32_e32 v13, 0x80000000, v13
.LBB188_164:
	s_or_b64 exec, exec, s[14:15]
	s_and_saveexec_b64 s[12:13], s[48:49]
; %bb.165:
	ds_write_b128 v19, v[10:13]
; %bb.166:
	s_or_b64 exec, exec, s[12:13]
	s_waitcnt lgkmcnt(0)
	s_barrier
	s_and_saveexec_b64 s[12:13], s[50:51]
	s_cbranch_execz .LBB188_168
; %bb.167:
	ds_read_b128 v[28:31], v19
	ds_read_b128 v[32:35], v18 offset:6336
	s_waitcnt lgkmcnt(0)
	v_mul_f64 v[36:37], v[30:31], v[34:35]
	v_mul_f64 v[34:35], v[28:29], v[34:35]
	v_fma_f64 v[28:29], v[28:29], v[32:33], -v[36:37]
	v_fma_f64 v[30:31], v[30:31], v[32:33], v[34:35]
	v_add_f64 v[10:11], v[10:11], v[28:29]
	v_add_f64 v[12:13], v[12:13], v[30:31]
.LBB188_168:
	s_or_b64 exec, exec, s[12:13]
	s_barrier
	s_and_saveexec_b64 s[12:13], s[52:53]
; %bb.169:
	ds_write_b128 v19, v[10:13]
; %bb.170:
	s_or_b64 exec, exec, s[12:13]
	s_waitcnt lgkmcnt(0)
	s_barrier
	s_and_saveexec_b64 s[12:13], s[54:55]
	s_cbranch_execz .LBB188_172
; %bb.171:
	ds_read_b128 v[28:31], v19
	ds_read_b128 v[32:35], v18 offset:6848
	s_waitcnt lgkmcnt(0)
	v_mul_f64 v[36:37], v[30:31], v[34:35]
	v_mul_f64 v[34:35], v[28:29], v[34:35]
	v_fma_f64 v[28:29], v[28:29], v[32:33], -v[36:37]
	v_fma_f64 v[30:31], v[30:31], v[32:33], v[34:35]
	v_add_f64 v[10:11], v[10:11], v[28:29]
	v_add_f64 v[12:13], v[12:13], v[30:31]
.LBB188_172:
	s_or_b64 exec, exec, s[12:13]
	s_barrier
	s_and_saveexec_b64 s[12:13], s[56:57]
; %bb.173:
	ds_write_b128 v19, v[10:13]
; %bb.174:
	s_or_b64 exec, exec, s[12:13]
	s_waitcnt lgkmcnt(0)
	s_barrier
	s_and_saveexec_b64 s[12:13], s[46:47]
	s_cbranch_execz .LBB188_176
; %bb.175:
	v_mov_b32_e32 v32, 0
	ds_read_b128 v[28:31], v19
	ds_read_b128 v[32:35], v32 offset:7408
	s_waitcnt lgkmcnt(0)
	v_mul_f64 v[36:37], v[30:31], v[34:35]
	v_mul_f64 v[34:35], v[28:29], v[34:35]
	v_fma_f64 v[28:29], v[28:29], v[32:33], -v[36:37]
	v_fma_f64 v[30:31], v[30:31], v[32:33], v[34:35]
	v_add_f64 v[10:11], v[10:11], v[28:29]
	v_add_f64 v[12:13], v[12:13], v[30:31]
.LBB188_176:
	s_or_b64 exec, exec, s[12:13]
	s_barrier
	s_and_saveexec_b64 s[12:13], s[46:47]
; %bb.177:
	ds_write_b128 v19, v[10:13]
; %bb.178:
	s_or_b64 exec, exec, s[12:13]
	s_waitcnt lgkmcnt(0)
	s_barrier
	s_barrier
	s_and_saveexec_b64 s[12:13], s[16:17]
; %bb.179:
	v_xor_b32_e32 v13, 0x80000000, v13
	v_xor_b32_e32 v11, 0x80000000, v11
	ds_write_b128 v17, v[10:13] offset:4288
; %bb.180:
	s_or_b64 exec, exec, s[12:13]
	s_waitcnt lgkmcnt(0)
	s_barrier
	s_barrier
	s_and_saveexec_b64 s[12:13], s[58:59]
	s_cbranch_execz .LBB188_182
; %bb.181:
	v_lshlrev_b32_e32 v28, 4, v0
	s_movk_i32 s14, 0x1f0
	v_mad_u32_u24 v29, v0, s14, v28
	ds_read_b128 v[10:13], v29 offset:4288
	s_waitcnt lgkmcnt(0)
	ds_write_b128 v28, v[10:13] offset:6272
	ds_read_b128 v[10:13], v29 offset:4304
	s_waitcnt lgkmcnt(0)
	ds_write_b128 v28, v[10:13] offset:6784
	;; [unrolled: 3-line block ×4, first 2 shown]
.LBB188_182:
	s_or_b64 exec, exec, s[12:13]
	s_waitcnt lgkmcnt(0)
	s_barrier
	s_and_saveexec_b64 s[12:13], vcc
	s_cbranch_execz .LBB188_184
; %bb.183:
	v_mov_b32_e32 v32, 0
	s_mov_b32 s64, 0
	ds_read_b128 v[10:13], v32 offset:6352
	s_mov_b32 s65, 0x3ff00000
	s_mov_b32 s66, s64
	;; [unrolled: 1-line block ×3, first 2 shown]
	v_mov_b32_e32 v28, s64
	v_mov_b32_e32 v29, s65
	;; [unrolled: 1-line block ×4, first 2 shown]
	ds_write_b128 v32, v[28:31] offset:6336
	ds_write_b128 v32, v[28:31] offset:6864
	s_waitcnt lgkmcnt(2)
	ds_write_b128 v32, v[10:13] offset:6848
.LBB188_184:
	s_or_b64 exec, exec, s[12:13]
	v_mov_b32_e32 v12, 0
	v_mov_b32_e32 v10, 0
	;; [unrolled: 1-line block ×4, first 2 shown]
	s_waitcnt lgkmcnt(0)
	s_barrier
	s_and_saveexec_b64 s[14:15], s[2:3]
	s_cbranch_execz .LBB188_188
; %bb.185:
	v_mul_u32_u24_e32 v10, 0x210, v16
	ds_read_b128 v[10:13], v10 offset:6336
	ds_read_b128 v[28:31], v14 offset:6368
	v_cmp_gt_u32_e64 s[12:13], 2, v22
	s_waitcnt lgkmcnt(0)
	v_mul_f64 v[32:33], v[12:13], v[30:31]
	v_mul_f64 v[30:31], v[10:11], v[30:31]
	v_fma_f64 v[10:11], v[10:11], v[28:29], -v[32:33]
	v_fma_f64 v[12:13], v[12:13], v[28:29], v[30:31]
	v_add_f64 v[10:11], v[10:11], 0
	v_add_f64 v[12:13], v[12:13], 0
	s_and_saveexec_b64 s[18:19], s[12:13]
	s_cbranch_execz .LBB188_187
; %bb.186:
	v_lshlrev_b32_e32 v32, 4, v0
	v_mov_b32_e32 v28, 0
	ds_read_b128 v[28:31], v28 offset:6352
	ds_read_b128 v[32:35], v32 offset:6880
	s_waitcnt lgkmcnt(0)
	v_mul_f64 v[36:37], v[30:31], v[34:35]
	v_mul_f64 v[34:35], v[28:29], v[34:35]
	v_fma_f64 v[28:29], v[28:29], v[32:33], -v[36:37]
	v_fma_f64 v[30:31], v[30:31], v[32:33], v[34:35]
	v_add_f64 v[10:11], v[10:11], v[28:29]
	v_add_f64 v[12:13], v[12:13], v[30:31]
.LBB188_187:
	s_or_b64 exec, exec, s[18:19]
	v_xor_b32_e32 v11, 0x80000000, v11
	v_xor_b32_e32 v13, 0x80000000, v13
.LBB188_188:
	s_or_b64 exec, exec, s[14:15]
	s_and_saveexec_b64 s[12:13], s[42:43]
; %bb.189:
	ds_write_b128 v15, v[10:13]
; %bb.190:
	s_or_b64 exec, exec, s[12:13]
	s_waitcnt lgkmcnt(0)
	s_barrier
	s_and_saveexec_b64 s[12:13], s[40:41]
	s_cbranch_execz .LBB188_192
; %bb.191:
	v_mov_b32_e32 v32, 0
	ds_read_b128 v[28:31], v15
	ds_read_b128 v[32:35], v32 offset:7408
	s_waitcnt lgkmcnt(0)
	v_mul_f64 v[36:37], v[30:31], v[34:35]
	v_mul_f64 v[34:35], v[28:29], v[34:35]
	v_fma_f64 v[28:29], v[28:29], v[32:33], -v[36:37]
	v_fma_f64 v[30:31], v[30:31], v[32:33], v[34:35]
	v_add_f64 v[10:11], v[10:11], v[28:29]
	v_add_f64 v[12:13], v[12:13], v[30:31]
.LBB188_192:
	s_or_b64 exec, exec, s[12:13]
	s_barrier
	s_and_saveexec_b64 s[12:13], s[40:41]
; %bb.193:
	ds_write_b128 v15, v[10:13]
; %bb.194:
	s_or_b64 exec, exec, s[12:13]
	s_waitcnt lgkmcnt(0)
	s_barrier
	s_barrier
	s_and_saveexec_b64 s[12:13], s[2:3]
; %bb.195:
	v_xor_b32_e32 v11, 0x80000000, v11
	v_xor_b32_e32 v13, 0x80000000, v13
	ds_write_b128 v14, v[10:13] offset:6368
; %bb.196:
	s_or_b64 exec, exec, s[12:13]
	s_waitcnt lgkmcnt(0)
	s_barrier
	s_barrier
	s_and_saveexec_b64 s[12:13], s[44:45]
	s_cbranch_execz .LBB188_198
; %bb.197:
	v_lshlrev_b32_e32 v28, 9, v0
	ds_read_b128 v[10:13], v28 offset:6368
	s_movk_i32 s14, 0xfe10
	v_mad_i32_i24 v29, v0, s14, v28
	s_waitcnt lgkmcnt(0)
	ds_write_b128 v29, v[10:13] offset:7360
	ds_read_b128 v[10:13], v28 offset:6384
	s_waitcnt lgkmcnt(0)
	ds_write_b128 v29, v[10:13] offset:7872
.LBB188_198:
	s_or_b64 exec, exec, s[12:13]
	s_waitcnt lgkmcnt(0)
	s_barrier
	s_and_saveexec_b64 s[12:13], vcc
	s_cbranch_execz .LBB188_200
; %bb.199:
	v_mov_b32_e32 v32, 0
	s_mov_b32 s64, 0
	ds_read_b128 v[10:13], v32 offset:7408
	s_mov_b32 s65, 0x3ff00000
	s_mov_b32 s66, s64
	s_mov_b32 s67, s64
	v_mov_b32_e32 v28, s64
	v_mov_b32_e32 v29, s65
	;; [unrolled: 1-line block ×4, first 2 shown]
	ds_write_b128 v32, v[28:31] offset:7392
	ds_write_b128 v32, v[28:31] offset:7920
	s_waitcnt lgkmcnt(2)
	ds_write_b128 v32, v[10:13] offset:7904
.LBB188_200:
	s_or_b64 exec, exec, s[12:13]
	v_and_b32_e32 v29, 15, v0
	s_movk_i32 s12, 0xff
	v_lshrrev_b32_e32 v31, 4, v22
	v_cmp_lt_u32_e64 s[14:15], s12, v22
	s_movk_i32 s12, 0x100
	v_lshlrev_b32_e32 v30, 4, v29
	v_mov_b32_e32 v12, 0
	v_mov_b32_e32 v10, 0
	v_cmp_gt_u32_e64 s[12:13], s12, v22
	v_mov_b32_e32 v13, 0
	v_mov_b32_e32 v11, 0
	v_lshl_or_b32 v28, v31, 9, v30
	s_waitcnt lgkmcnt(0)
	s_barrier
	s_and_saveexec_b64 s[90:91], s[12:13]
	s_cbranch_execz .LBB188_228
; %bb.201:
	v_mul_u32_u24_e32 v32, 0x210, v31
	ds_read_b128 v[10:13], v32
	ds_read_b128 v[33:36], v28 offset:256
	s_movk_i32 s18, 0xf0
	v_cmp_gt_u32_e64 s[18:19], s18, v22
	s_waitcnt lgkmcnt(0)
	v_mul_f64 v[37:38], v[12:13], v[35:36]
	v_mul_f64 v[35:36], v[10:11], v[35:36]
	v_fma_f64 v[10:11], v[10:11], v[33:34], -v[37:38]
	v_fma_f64 v[12:13], v[12:13], v[33:34], v[35:36]
	v_add_f64 v[10:11], v[10:11], 0
	v_add_f64 v[12:13], v[12:13], 0
	s_and_saveexec_b64 s[92:93], s[18:19]
	s_cbranch_execz .LBB188_203
; %bb.202:
	ds_read_b128 v[33:36], v32 offset:16
	ds_read_b128 v[37:40], v28 offset:768
	s_waitcnt lgkmcnt(0)
	v_mul_f64 v[41:42], v[35:36], v[39:40]
	v_mul_f64 v[39:40], v[33:34], v[39:40]
	v_fma_f64 v[33:34], v[33:34], v[37:38], -v[41:42]
	v_fma_f64 v[35:36], v[35:36], v[37:38], v[39:40]
	v_add_f64 v[10:11], v[10:11], v[33:34]
	v_add_f64 v[12:13], v[12:13], v[35:36]
.LBB188_203:
	s_or_b64 exec, exec, s[92:93]
	s_movk_i32 s18, 0xe0
	v_cmp_gt_u32_e64 s[18:19], s18, v22
	s_and_saveexec_b64 s[92:93], s[18:19]
	s_cbranch_execz .LBB188_205
; %bb.204:
	ds_read_b128 v[33:36], v32 offset:32
	ds_read_b128 v[37:40], v28 offset:1280
	s_waitcnt lgkmcnt(0)
	v_mul_f64 v[41:42], v[35:36], v[39:40]
	v_mul_f64 v[39:40], v[33:34], v[39:40]
	v_fma_f64 v[33:34], v[33:34], v[37:38], -v[41:42]
	v_fma_f64 v[35:36], v[35:36], v[37:38], v[39:40]
	v_add_f64 v[10:11], v[10:11], v[33:34]
	v_add_f64 v[12:13], v[12:13], v[35:36]
.LBB188_205:
	s_or_b64 exec, exec, s[92:93]
	s_movk_i32 s18, 0xd0
	v_cmp_gt_u32_e64 s[18:19], s18, v22
	;; [unrolled: 16-line block ×10, first 2 shown]
	s_and_saveexec_b64 s[92:93], s[18:19]
	s_cbranch_execnz .LBB188_527
; %bb.222:
	s_or_b64 exec, exec, s[92:93]
	v_cmp_gt_u32_e64 s[18:19], 64, v22
	s_and_saveexec_b64 s[92:93], s[18:19]
	s_cbranch_execnz .LBB188_528
.LBB188_223:
	s_or_b64 exec, exec, s[92:93]
	v_cmp_gt_u32_e64 s[18:19], 48, v22
	s_and_saveexec_b64 s[92:93], s[18:19]
	s_cbranch_execnz .LBB188_529
.LBB188_224:
	s_or_b64 exec, exec, s[92:93]
	v_cmp_gt_u32_e64 s[18:19], 32, v22
	s_and_saveexec_b64 s[92:93], s[18:19]
	s_cbranch_execnz .LBB188_530
.LBB188_225:
	s_or_b64 exec, exec, s[92:93]
	v_cmp_gt_u32_e64 s[18:19], 16, v22
	s_and_saveexec_b64 s[92:93], s[18:19]
	s_cbranch_execz .LBB188_227
.LBB188_226:
	v_lshlrev_b32_e32 v36, 4, v0
	v_mov_b32_e32 v32, 0
	ds_read_b128 v[32:35], v32 offset:240
	ds_read_b128 v[36:39], v36 offset:7936
	s_waitcnt lgkmcnt(0)
	v_mul_f64 v[40:41], v[34:35], v[38:39]
	v_mul_f64 v[38:39], v[32:33], v[38:39]
	v_fma_f64 v[32:33], v[32:33], v[36:37], -v[40:41]
	v_fma_f64 v[34:35], v[34:35], v[36:37], v[38:39]
	v_add_f64 v[10:11], v[10:11], v[32:33]
	v_add_f64 v[12:13], v[12:13], v[34:35]
.LBB188_227:
	s_or_b64 exec, exec, s[92:93]
	v_xor_b32_e32 v11, 0x80000000, v11
	v_xor_b32_e32 v13, 0x80000000, v13
.LBB188_228:
	s_or_b64 exec, exec, s[90:91]
	v_mov_b32_e32 v32, 0x4000
	v_cmp_eq_u32_e64 s[18:19], 0, v29
	s_xor_b64 s[90:91], s[14:15], -1
	v_lshl_add_u32 v31, v31, 4, v32
	s_and_b64 s[18:19], s[18:19], s[90:91]
	s_and_saveexec_b64 s[14:15], s[18:19]
; %bb.229:
	ds_write_b128 v31, v[10:13]
; %bb.230:
	s_or_b64 exec, exec, s[14:15]
	v_cmp_ne_u32_e64 s[14:15], 0, v29
	s_and_b64 s[18:19], s[14:15], s[90:91]
	s_waitcnt lgkmcnt(0)
	s_barrier
	s_and_saveexec_b64 s[14:15], s[18:19]
	s_cbranch_execz .LBB188_232
; %bb.231:
	ds_read_b128 v[32:35], v31
	ds_read_b128 v[36:39], v30 offset:8448
	s_waitcnt lgkmcnt(0)
	v_mul_f64 v[40:41], v[34:35], v[38:39]
	v_mul_f64 v[38:39], v[32:33], v[38:39]
	v_fma_f64 v[32:33], v[32:33], v[36:37], -v[40:41]
	v_fma_f64 v[34:35], v[34:35], v[36:37], v[38:39]
	v_add_f64 v[10:11], v[10:11], v[32:33]
	v_add_f64 v[12:13], v[12:13], v[34:35]
.LBB188_232:
	s_or_b64 exec, exec, s[14:15]
	v_cmp_eq_u32_e64 s[14:15], 1, v29
	s_and_b64 s[18:19], s[14:15], s[90:91]
	s_barrier
	s_and_saveexec_b64 s[14:15], s[18:19]
; %bb.233:
	ds_write_b128 v31, v[10:13]
; %bb.234:
	s_or_b64 exec, exec, s[14:15]
	v_cmp_lt_u32_e64 s[14:15], 1, v29
	s_and_b64 s[18:19], s[14:15], s[90:91]
	s_waitcnt lgkmcnt(0)
	s_barrier
	s_and_saveexec_b64 s[14:15], s[18:19]
	s_cbranch_execz .LBB188_236
; %bb.235:
	ds_read_b128 v[32:35], v31
	ds_read_b128 v[36:39], v30 offset:8960
	s_waitcnt lgkmcnt(0)
	v_mul_f64 v[40:41], v[34:35], v[38:39]
	v_mul_f64 v[38:39], v[32:33], v[38:39]
	v_fma_f64 v[32:33], v[32:33], v[36:37], -v[40:41]
	v_fma_f64 v[34:35], v[34:35], v[36:37], v[38:39]
	v_add_f64 v[10:11], v[10:11], v[32:33]
	v_add_f64 v[12:13], v[12:13], v[34:35]
.LBB188_236:
	s_or_b64 exec, exec, s[14:15]
	v_cmp_eq_u32_e64 s[14:15], 2, v29
	s_and_b64 s[18:19], s[14:15], s[90:91]
	s_barrier
	s_and_saveexec_b64 s[14:15], s[18:19]
; %bb.237:
	ds_write_b128 v31, v[10:13]
; %bb.238:
	s_or_b64 exec, exec, s[14:15]
	v_cmp_lt_u32_e64 s[14:15], 2, v29
	;; [unrolled: 26-line block ×13, first 2 shown]
	s_and_b64 s[18:19], s[14:15], s[90:91]
	s_waitcnt lgkmcnt(0)
	s_barrier
	s_and_saveexec_b64 s[14:15], s[18:19]
	s_cbranch_execz .LBB188_284
; %bb.283:
	ds_read_b128 v[32:35], v31
	ds_read_b128 v[36:39], v30 offset:15104
	s_waitcnt lgkmcnt(0)
	v_mul_f64 v[40:41], v[34:35], v[38:39]
	v_mul_f64 v[38:39], v[32:33], v[38:39]
	v_fma_f64 v[32:33], v[32:33], v[36:37], -v[40:41]
	v_fma_f64 v[34:35], v[34:35], v[36:37], v[38:39]
	v_add_f64 v[10:11], v[10:11], v[32:33]
	v_add_f64 v[12:13], v[12:13], v[34:35]
.LBB188_284:
	s_or_b64 exec, exec, s[14:15]
	v_cmp_eq_u32_e64 s[14:15], 14, v29
	s_and_b64 s[18:19], s[14:15], s[90:91]
	s_barrier
	s_and_saveexec_b64 s[14:15], s[18:19]
; %bb.285:
	ds_write_b128 v31, v[10:13]
; %bb.286:
	s_or_b64 exec, exec, s[14:15]
	v_cmp_eq_u32_e64 s[14:15], 15, v29
	s_and_b64 s[14:15], s[14:15], s[90:91]
	s_waitcnt lgkmcnt(0)
	s_barrier
	s_and_saveexec_b64 s[18:19], s[14:15]
	s_cbranch_execz .LBB188_288
; %bb.287:
	v_mov_b32_e32 v29, 0
	ds_read_b128 v[32:35], v31
	ds_read_b128 v[36:39], v29 offset:15856
	s_waitcnt lgkmcnt(0)
	v_mul_f64 v[29:30], v[34:35], v[38:39]
	v_mul_f64 v[38:39], v[32:33], v[38:39]
	v_fma_f64 v[29:30], v[32:33], v[36:37], -v[29:30]
	v_fma_f64 v[32:33], v[34:35], v[36:37], v[38:39]
	v_add_f64 v[10:11], v[10:11], v[29:30]
	v_add_f64 v[12:13], v[12:13], v[32:33]
.LBB188_288:
	s_or_b64 exec, exec, s[18:19]
	s_barrier
	s_and_saveexec_b64 s[18:19], s[14:15]
; %bb.289:
	ds_write_b128 v31, v[10:13]
; %bb.290:
	s_or_b64 exec, exec, s[18:19]
	s_waitcnt lgkmcnt(0)
	s_barrier
	s_barrier
	s_and_saveexec_b64 s[14:15], s[12:13]
; %bb.291:
	v_xor_b32_e32 v13, 0x80000000, v13
	v_xor_b32_e32 v11, 0x80000000, v11
	ds_write_b128 v28, v[10:13] offset:256
; %bb.292:
	s_or_b64 exec, exec, s[14:15]
	v_cmp_gt_u32_e64 s[12:13], 16, v0
	s_and_b64 s[12:13], s[10:11], s[12:13]
	s_waitcnt lgkmcnt(0)
	s_barrier
	s_barrier
	s_and_saveexec_b64 s[10:11], s[12:13]
	s_cbranch_execz .LBB188_294
; %bb.293:
	v_lshlrev_b32_e32 v28, 9, v0
	ds_read_b128 v[10:13], v28 offset:256
	s_movk_i32 s12, 0xfe10
	v_mad_i32_i24 v29, v0, s12, v28
	s_waitcnt lgkmcnt(0)
	ds_write_b128 v29, v[10:13] offset:8192
	ds_read_b128 v[10:13], v28 offset:272
	s_waitcnt lgkmcnt(0)
	ds_write_b128 v29, v[10:13] offset:8704
	ds_read_b128 v[10:13], v28 offset:288
	;; [unrolled: 3-line block ×15, first 2 shown]
	s_waitcnt lgkmcnt(0)
	ds_write_b128 v29, v[10:13] offset:15872
.LBB188_294:
	s_or_b64 exec, exec, s[10:11]
	s_waitcnt lgkmcnt(0)
	s_barrier
	s_and_saveexec_b64 s[10:11], vcc
	s_cbranch_execz .LBB188_296
; %bb.295:
	s_mov_b32 s12, 0
	v_mov_b32_e32 v32, 0
	ds_read_b128 v[10:13], v32 offset:8464
	s_mov_b32 s15, s12
	s_mov_b32 s13, 0x3ff00000
	s_mov_b32 s14, s12
	v_mov_b32_e32 v31, s15
	v_mov_b32_e32 v30, s14
	;; [unrolled: 1-line block ×4, first 2 shown]
	ds_write_b128 v32, v[28:31] offset:8448
	ds_write_b128 v32, v[28:31] offset:8976
	s_waitcnt lgkmcnt(2)
	ds_write_b128 v32, v[10:13] offset:8960
.LBB188_296:
	s_or_b64 exec, exec, s[10:11]
	v_mov_b32_e32 v12, 0
	v_mov_b32_e32 v10, 0
	;; [unrolled: 1-line block ×4, first 2 shown]
	s_waitcnt lgkmcnt(0)
	s_barrier
	s_and_saveexec_b64 s[12:13], s[2:3]
	s_cbranch_execz .LBB188_300
; %bb.297:
	v_mul_u32_u24_e32 v10, 0x210, v16
	ds_read_b128 v[10:13], v10 offset:8448
	ds_read_b128 v[28:31], v14 offset:8480
	v_cmp_gt_u32_e64 s[10:11], 2, v22
	s_waitcnt lgkmcnt(0)
	v_mul_f64 v[32:33], v[12:13], v[30:31]
	v_mul_f64 v[30:31], v[10:11], v[30:31]
	v_fma_f64 v[10:11], v[10:11], v[28:29], -v[32:33]
	v_fma_f64 v[12:13], v[12:13], v[28:29], v[30:31]
	v_add_f64 v[10:11], v[10:11], 0
	v_add_f64 v[12:13], v[12:13], 0
	s_and_saveexec_b64 s[14:15], s[10:11]
	s_cbranch_execz .LBB188_299
; %bb.298:
	v_lshlrev_b32_e32 v32, 4, v0
	v_mov_b32_e32 v28, 0
	ds_read_b128 v[28:31], v28 offset:8464
	ds_read_b128 v[32:35], v32 offset:8992
	s_waitcnt lgkmcnt(0)
	v_mul_f64 v[36:37], v[30:31], v[34:35]
	v_mul_f64 v[34:35], v[28:29], v[34:35]
	v_fma_f64 v[28:29], v[28:29], v[32:33], -v[36:37]
	v_fma_f64 v[30:31], v[30:31], v[32:33], v[34:35]
	v_add_f64 v[10:11], v[10:11], v[28:29]
	v_add_f64 v[12:13], v[12:13], v[30:31]
.LBB188_299:
	s_or_b64 exec, exec, s[14:15]
	v_xor_b32_e32 v11, 0x80000000, v11
	v_xor_b32_e32 v13, 0x80000000, v13
.LBB188_300:
	s_or_b64 exec, exec, s[12:13]
	s_and_saveexec_b64 s[10:11], s[42:43]
; %bb.301:
	ds_write_b128 v15, v[10:13]
; %bb.302:
	s_or_b64 exec, exec, s[10:11]
	s_waitcnt lgkmcnt(0)
	s_barrier
	s_and_saveexec_b64 s[10:11], s[40:41]
	s_cbranch_execz .LBB188_304
; %bb.303:
	v_mov_b32_e32 v32, 0
	ds_read_b128 v[28:31], v15
	ds_read_b128 v[32:35], v32 offset:9520
	s_waitcnt lgkmcnt(0)
	v_mul_f64 v[36:37], v[30:31], v[34:35]
	v_mul_f64 v[34:35], v[28:29], v[34:35]
	v_fma_f64 v[28:29], v[28:29], v[32:33], -v[36:37]
	v_fma_f64 v[30:31], v[30:31], v[32:33], v[34:35]
	v_add_f64 v[10:11], v[10:11], v[28:29]
	v_add_f64 v[12:13], v[12:13], v[30:31]
.LBB188_304:
	s_or_b64 exec, exec, s[10:11]
	s_barrier
	s_and_saveexec_b64 s[10:11], s[40:41]
; %bb.305:
	ds_write_b128 v15, v[10:13]
; %bb.306:
	s_or_b64 exec, exec, s[10:11]
	s_waitcnt lgkmcnt(0)
	s_barrier
	s_barrier
	s_and_saveexec_b64 s[10:11], s[2:3]
; %bb.307:
	v_xor_b32_e32 v11, 0x80000000, v11
	v_xor_b32_e32 v13, 0x80000000, v13
	ds_write_b128 v14, v[10:13] offset:8480
; %bb.308:
	s_or_b64 exec, exec, s[10:11]
	s_waitcnt lgkmcnt(0)
	s_barrier
	s_barrier
	s_and_saveexec_b64 s[10:11], s[44:45]
	s_cbranch_execz .LBB188_310
; %bb.309:
	v_lshlrev_b32_e32 v28, 9, v0
	ds_read_b128 v[10:13], v28 offset:8480
	s_movk_i32 s12, 0xfe10
	v_mad_i32_i24 v29, v0, s12, v28
	s_waitcnt lgkmcnt(0)
	ds_write_b128 v29, v[10:13] offset:9472
	ds_read_b128 v[10:13], v28 offset:8496
	s_waitcnt lgkmcnt(0)
	ds_write_b128 v29, v[10:13] offset:9984
.LBB188_310:
	s_or_b64 exec, exec, s[10:11]
	s_waitcnt lgkmcnt(0)
	s_barrier
	s_and_saveexec_b64 s[10:11], vcc
	s_cbranch_execz .LBB188_312
; %bb.311:
	s_mov_b32 s12, 0
	v_mov_b32_e32 v32, 0
	ds_read_b128 v[10:13], v32 offset:9520
	s_mov_b32 s15, s12
	s_mov_b32 s13, 0x3ff00000
	;; [unrolled: 1-line block ×3, first 2 shown]
	v_mov_b32_e32 v31, s15
	v_mov_b32_e32 v30, s14
	;; [unrolled: 1-line block ×4, first 2 shown]
	ds_write_b128 v32, v[28:31] offset:9504
	ds_write_b128 v32, v[28:31] offset:10032
	s_waitcnt lgkmcnt(2)
	ds_write_b128 v32, v[10:13] offset:10016
.LBB188_312:
	s_or_b64 exec, exec, s[10:11]
	v_mov_b32_e32 v12, 0
	v_mov_b32_e32 v10, 0
	;; [unrolled: 1-line block ×4, first 2 shown]
	s_waitcnt lgkmcnt(0)
	s_barrier
	s_and_saveexec_b64 s[12:13], s[16:17]
	s_cbranch_execz .LBB188_318
; %bb.313:
	v_mul_u32_u24_e32 v28, 0x210, v21
	ds_read_b128 v[10:13], v28 offset:8448
	ds_read_b128 v[29:32], v17 offset:8512
	v_cmp_gt_u32_e64 s[10:11], 12, v22
	s_waitcnt lgkmcnt(0)
	v_mul_f64 v[33:34], v[12:13], v[31:32]
	v_mul_f64 v[31:32], v[10:11], v[31:32]
	v_fma_f64 v[10:11], v[10:11], v[29:30], -v[33:34]
	v_fma_f64 v[12:13], v[12:13], v[29:30], v[31:32]
	v_add_f64 v[10:11], v[10:11], 0
	v_add_f64 v[12:13], v[12:13], 0
	s_and_saveexec_b64 s[14:15], s[10:11]
	s_cbranch_execnz .LBB188_531
; %bb.314:
	s_or_b64 exec, exec, s[14:15]
	v_cmp_gt_u32_e64 s[10:11], 8, v22
	s_and_saveexec_b64 s[14:15], s[10:11]
	s_cbranch_execnz .LBB188_532
.LBB188_315:
	s_or_b64 exec, exec, s[14:15]
	v_cmp_gt_u32_e64 s[10:11], 4, v22
	s_and_saveexec_b64 s[14:15], s[10:11]
	s_cbranch_execz .LBB188_317
.LBB188_316:
	v_lshlrev_b32_e32 v32, 4, v0
	v_mov_b32_e32 v28, 0
	ds_read_b128 v[28:31], v28 offset:8496
	ds_read_b128 v[32:35], v32 offset:10048
	s_waitcnt lgkmcnt(0)
	v_mul_f64 v[36:37], v[30:31], v[34:35]
	v_mul_f64 v[34:35], v[28:29], v[34:35]
	v_fma_f64 v[28:29], v[28:29], v[32:33], -v[36:37]
	v_fma_f64 v[30:31], v[30:31], v[32:33], v[34:35]
	v_add_f64 v[10:11], v[10:11], v[28:29]
	v_add_f64 v[12:13], v[12:13], v[30:31]
.LBB188_317:
	s_or_b64 exec, exec, s[14:15]
	v_xor_b32_e32 v11, 0x80000000, v11
	v_xor_b32_e32 v13, 0x80000000, v13
.LBB188_318:
	s_or_b64 exec, exec, s[12:13]
	s_and_saveexec_b64 s[10:11], s[48:49]
; %bb.319:
	ds_write_b128 v19, v[10:13]
; %bb.320:
	s_or_b64 exec, exec, s[10:11]
	s_waitcnt lgkmcnt(0)
	s_barrier
	s_and_saveexec_b64 s[10:11], s[50:51]
	s_cbranch_execz .LBB188_322
; %bb.321:
	ds_read_b128 v[28:31], v19
	ds_read_b128 v[32:35], v18 offset:10560
	s_waitcnt lgkmcnt(0)
	v_mul_f64 v[36:37], v[30:31], v[34:35]
	v_mul_f64 v[34:35], v[28:29], v[34:35]
	v_fma_f64 v[28:29], v[28:29], v[32:33], -v[36:37]
	v_fma_f64 v[30:31], v[30:31], v[32:33], v[34:35]
	v_add_f64 v[10:11], v[10:11], v[28:29]
	v_add_f64 v[12:13], v[12:13], v[30:31]
.LBB188_322:
	s_or_b64 exec, exec, s[10:11]
	s_barrier
	s_and_saveexec_b64 s[10:11], s[52:53]
; %bb.323:
	ds_write_b128 v19, v[10:13]
; %bb.324:
	s_or_b64 exec, exec, s[10:11]
	s_waitcnt lgkmcnt(0)
	s_barrier
	s_and_saveexec_b64 s[10:11], s[54:55]
	s_cbranch_execz .LBB188_326
; %bb.325:
	ds_read_b128 v[28:31], v19
	ds_read_b128 v[32:35], v18 offset:11072
	s_waitcnt lgkmcnt(0)
	v_mul_f64 v[36:37], v[30:31], v[34:35]
	v_mul_f64 v[34:35], v[28:29], v[34:35]
	v_fma_f64 v[28:29], v[28:29], v[32:33], -v[36:37]
	v_fma_f64 v[30:31], v[30:31], v[32:33], v[34:35]
	v_add_f64 v[10:11], v[10:11], v[28:29]
	v_add_f64 v[12:13], v[12:13], v[30:31]
.LBB188_326:
	s_or_b64 exec, exec, s[10:11]
	s_barrier
	s_and_saveexec_b64 s[10:11], s[56:57]
; %bb.327:
	ds_write_b128 v19, v[10:13]
; %bb.328:
	s_or_b64 exec, exec, s[10:11]
	s_waitcnt lgkmcnt(0)
	s_barrier
	s_and_saveexec_b64 s[10:11], s[46:47]
	s_cbranch_execz .LBB188_330
; %bb.329:
	v_mov_b32_e32 v32, 0
	ds_read_b128 v[28:31], v19
	ds_read_b128 v[32:35], v32 offset:11632
	s_waitcnt lgkmcnt(0)
	v_mul_f64 v[36:37], v[30:31], v[34:35]
	v_mul_f64 v[34:35], v[28:29], v[34:35]
	v_fma_f64 v[28:29], v[28:29], v[32:33], -v[36:37]
	v_fma_f64 v[30:31], v[30:31], v[32:33], v[34:35]
	v_add_f64 v[10:11], v[10:11], v[28:29]
	v_add_f64 v[12:13], v[12:13], v[30:31]
.LBB188_330:
	s_or_b64 exec, exec, s[10:11]
	s_barrier
	s_and_saveexec_b64 s[10:11], s[46:47]
; %bb.331:
	ds_write_b128 v19, v[10:13]
; %bb.332:
	s_or_b64 exec, exec, s[10:11]
	s_waitcnt lgkmcnt(0)
	s_barrier
	s_barrier
	s_and_saveexec_b64 s[10:11], s[16:17]
; %bb.333:
	v_xor_b32_e32 v13, 0x80000000, v13
	v_xor_b32_e32 v11, 0x80000000, v11
	ds_write_b128 v17, v[10:13] offset:8512
; %bb.334:
	s_or_b64 exec, exec, s[10:11]
	s_waitcnt lgkmcnt(0)
	s_barrier
	s_barrier
	s_and_saveexec_b64 s[10:11], s[58:59]
	s_cbranch_execz .LBB188_336
; %bb.335:
	v_lshlrev_b32_e32 v28, 4, v0
	s_movk_i32 s12, 0x1f0
	v_mad_u32_u24 v29, v0, s12, v28
	ds_read_b128 v[10:13], v29 offset:8512
	s_waitcnt lgkmcnt(0)
	ds_write_b128 v28, v[10:13] offset:10496
	ds_read_b128 v[10:13], v29 offset:8528
	s_waitcnt lgkmcnt(0)
	ds_write_b128 v28, v[10:13] offset:11008
	;; [unrolled: 3-line block ×4, first 2 shown]
.LBB188_336:
	s_or_b64 exec, exec, s[10:11]
	s_waitcnt lgkmcnt(0)
	s_barrier
	s_and_saveexec_b64 s[10:11], vcc
	s_cbranch_execz .LBB188_338
; %bb.337:
	s_mov_b32 s12, 0
	v_mov_b32_e32 v32, 0
	ds_read_b128 v[10:13], v32 offset:10576
	s_mov_b32 s15, s12
	s_mov_b32 s13, 0x3ff00000
	s_mov_b32 s14, s12
	v_mov_b32_e32 v31, s15
	v_mov_b32_e32 v30, s14
	;; [unrolled: 1-line block ×4, first 2 shown]
	ds_write_b128 v32, v[28:31] offset:10560
	ds_write_b128 v32, v[28:31] offset:11088
	s_waitcnt lgkmcnt(2)
	ds_write_b128 v32, v[10:13] offset:11072
.LBB188_338:
	s_or_b64 exec, exec, s[10:11]
	v_mov_b32_e32 v12, 0
	v_mov_b32_e32 v10, 0
	;; [unrolled: 1-line block ×4, first 2 shown]
	s_waitcnt lgkmcnt(0)
	s_barrier
	s_and_saveexec_b64 s[12:13], s[2:3]
	s_cbranch_execz .LBB188_342
; %bb.339:
	v_mul_u32_u24_e32 v10, 0x210, v16
	ds_read_b128 v[10:13], v10 offset:10560
	ds_read_b128 v[28:31], v14 offset:10592
	v_cmp_gt_u32_e64 s[10:11], 2, v22
	s_waitcnt lgkmcnt(0)
	v_mul_f64 v[32:33], v[12:13], v[30:31]
	v_mul_f64 v[30:31], v[10:11], v[30:31]
	v_fma_f64 v[10:11], v[10:11], v[28:29], -v[32:33]
	v_fma_f64 v[12:13], v[12:13], v[28:29], v[30:31]
	v_add_f64 v[10:11], v[10:11], 0
	v_add_f64 v[12:13], v[12:13], 0
	s_and_saveexec_b64 s[14:15], s[10:11]
	s_cbranch_execz .LBB188_341
; %bb.340:
	v_lshlrev_b32_e32 v32, 4, v0
	v_mov_b32_e32 v28, 0
	ds_read_b128 v[28:31], v28 offset:10576
	ds_read_b128 v[32:35], v32 offset:11104
	s_waitcnt lgkmcnt(0)
	v_mul_f64 v[36:37], v[30:31], v[34:35]
	v_mul_f64 v[34:35], v[28:29], v[34:35]
	v_fma_f64 v[28:29], v[28:29], v[32:33], -v[36:37]
	v_fma_f64 v[30:31], v[30:31], v[32:33], v[34:35]
	v_add_f64 v[10:11], v[10:11], v[28:29]
	v_add_f64 v[12:13], v[12:13], v[30:31]
.LBB188_341:
	s_or_b64 exec, exec, s[14:15]
	v_xor_b32_e32 v11, 0x80000000, v11
	v_xor_b32_e32 v13, 0x80000000, v13
.LBB188_342:
	s_or_b64 exec, exec, s[12:13]
	s_and_saveexec_b64 s[10:11], s[42:43]
; %bb.343:
	ds_write_b128 v15, v[10:13]
; %bb.344:
	s_or_b64 exec, exec, s[10:11]
	s_waitcnt lgkmcnt(0)
	s_barrier
	s_and_saveexec_b64 s[10:11], s[40:41]
	s_cbranch_execz .LBB188_346
; %bb.345:
	v_mov_b32_e32 v32, 0
	ds_read_b128 v[28:31], v15
	ds_read_b128 v[32:35], v32 offset:11632
	s_waitcnt lgkmcnt(0)
	v_mul_f64 v[36:37], v[30:31], v[34:35]
	v_mul_f64 v[34:35], v[28:29], v[34:35]
	v_fma_f64 v[28:29], v[28:29], v[32:33], -v[36:37]
	v_fma_f64 v[30:31], v[30:31], v[32:33], v[34:35]
	v_add_f64 v[10:11], v[10:11], v[28:29]
	v_add_f64 v[12:13], v[12:13], v[30:31]
.LBB188_346:
	s_or_b64 exec, exec, s[10:11]
	s_barrier
	s_and_saveexec_b64 s[10:11], s[40:41]
; %bb.347:
	ds_write_b128 v15, v[10:13]
; %bb.348:
	s_or_b64 exec, exec, s[10:11]
	s_waitcnt lgkmcnt(0)
	s_barrier
	s_barrier
	s_and_saveexec_b64 s[10:11], s[2:3]
; %bb.349:
	v_xor_b32_e32 v11, 0x80000000, v11
	v_xor_b32_e32 v13, 0x80000000, v13
	ds_write_b128 v14, v[10:13] offset:10592
; %bb.350:
	s_or_b64 exec, exec, s[10:11]
	s_waitcnt lgkmcnt(0)
	s_barrier
	s_barrier
	s_and_saveexec_b64 s[10:11], s[44:45]
	s_cbranch_execz .LBB188_352
; %bb.351:
	v_lshlrev_b32_e32 v28, 9, v0
	ds_read_b128 v[10:13], v28 offset:10592
	s_movk_i32 s12, 0xfe10
	v_mad_i32_i24 v29, v0, s12, v28
	s_waitcnt lgkmcnt(0)
	ds_write_b128 v29, v[10:13] offset:11584
	ds_read_b128 v[10:13], v28 offset:10608
	s_waitcnt lgkmcnt(0)
	ds_write_b128 v29, v[10:13] offset:12096
.LBB188_352:
	s_or_b64 exec, exec, s[10:11]
	s_waitcnt lgkmcnt(0)
	s_barrier
	s_and_saveexec_b64 s[10:11], vcc
	s_cbranch_execz .LBB188_354
; %bb.353:
	s_mov_b32 s12, 0
	v_mov_b32_e32 v32, 0
	ds_read_b128 v[10:13], v32 offset:11632
	s_mov_b32 s15, s12
	s_mov_b32 s13, 0x3ff00000
	;; [unrolled: 1-line block ×3, first 2 shown]
	v_mov_b32_e32 v31, s15
	v_mov_b32_e32 v30, s14
	;; [unrolled: 1-line block ×4, first 2 shown]
	ds_write_b128 v32, v[28:31] offset:11616
	ds_write_b128 v32, v[28:31] offset:12144
	s_waitcnt lgkmcnt(2)
	ds_write_b128 v32, v[10:13] offset:12128
.LBB188_354:
	s_or_b64 exec, exec, s[10:11]
	v_mov_b32_e32 v12, 0
	v_mov_b32_e32 v10, 0
	;; [unrolled: 1-line block ×4, first 2 shown]
	s_waitcnt lgkmcnt(0)
	s_barrier
	s_and_saveexec_b64 s[12:13], s[8:9]
	s_cbranch_execz .LBB188_364
; %bb.355:
	v_mul_u32_u24_e32 v28, 0x210, v27
	ds_read_b128 v[10:13], v28 offset:8448
	ds_read_b128 v[29:32], v23 offset:8576
	v_cmp_gt_u32_e64 s[10:11], 56, v22
	s_waitcnt lgkmcnt(0)
	v_mul_f64 v[33:34], v[12:13], v[31:32]
	v_mul_f64 v[31:32], v[10:11], v[31:32]
	v_fma_f64 v[10:11], v[10:11], v[29:30], -v[33:34]
	v_fma_f64 v[12:13], v[12:13], v[29:30], v[31:32]
	v_add_f64 v[10:11], v[10:11], 0
	v_add_f64 v[12:13], v[12:13], 0
	s_and_saveexec_b64 s[14:15], s[10:11]
	s_cbranch_execnz .LBB188_533
; %bb.356:
	s_or_b64 exec, exec, s[14:15]
	v_cmp_gt_u32_e64 s[10:11], 48, v22
	s_and_saveexec_b64 s[14:15], s[10:11]
	s_cbranch_execnz .LBB188_534
.LBB188_357:
	s_or_b64 exec, exec, s[14:15]
	v_cmp_gt_u32_e64 s[10:11], 40, v22
	s_and_saveexec_b64 s[14:15], s[10:11]
	s_cbranch_execnz .LBB188_535
.LBB188_358:
	s_or_b64 exec, exec, s[14:15]
	v_cmp_gt_u32_e64 s[10:11], 32, v22
	s_and_saveexec_b64 s[14:15], s[10:11]
	s_cbranch_execnz .LBB188_536
.LBB188_359:
	s_or_b64 exec, exec, s[14:15]
	v_cmp_gt_u32_e64 s[10:11], 24, v22
	s_and_saveexec_b64 s[14:15], s[10:11]
	s_cbranch_execnz .LBB188_537
.LBB188_360:
	s_or_b64 exec, exec, s[14:15]
	v_cmp_gt_u32_e64 s[10:11], 16, v22
	s_and_saveexec_b64 s[14:15], s[10:11]
	s_cbranch_execnz .LBB188_538
.LBB188_361:
	s_or_b64 exec, exec, s[14:15]
	v_cmp_gt_u32_e64 s[10:11], 8, v22
	s_and_saveexec_b64 s[14:15], s[10:11]
	s_cbranch_execz .LBB188_363
.LBB188_362:
	v_lshlrev_b32_e32 v30, 4, v0
	v_mov_b32_e32 v26, 0
	ds_read_b128 v[26:29], v26 offset:8560
	ds_read_b128 v[30:33], v30 offset:12160
	s_waitcnt lgkmcnt(0)
	v_mul_f64 v[34:35], v[28:29], v[32:33]
	v_mul_f64 v[32:33], v[26:27], v[32:33]
	v_fma_f64 v[26:27], v[26:27], v[30:31], -v[34:35]
	v_fma_f64 v[28:29], v[28:29], v[30:31], v[32:33]
	v_add_f64 v[10:11], v[10:11], v[26:27]
	v_add_f64 v[12:13], v[12:13], v[28:29]
.LBB188_363:
	s_or_b64 exec, exec, s[14:15]
	v_xor_b32_e32 v11, 0x80000000, v11
	v_xor_b32_e32 v13, 0x80000000, v13
.LBB188_364:
	s_or_b64 exec, exec, s[12:13]
	s_mov_b64 s[10:11], exec
	v_readlane_b32 s12, v43, 2
	v_readlane_b32 s13, v43, 3
	s_and_b64 s[12:13], s[10:11], s[12:13]
	s_mov_b64 exec, s[12:13]
; %bb.365:
	ds_write_b128 v25, v[10:13]
; %bb.366:
	s_or_b64 exec, exec, s[10:11]
	s_waitcnt lgkmcnt(0)
	s_barrier
	s_mov_b64 s[10:11], exec
	v_readlane_b32 s12, v43, 4
	v_readlane_b32 s13, v43, 5
	s_and_b64 s[12:13], s[10:11], s[12:13]
	s_mov_b64 exec, s[12:13]
	s_cbranch_execz .LBB188_368
; %bb.367:
	ds_read_b128 v[26:29], v25
	ds_read_b128 v[30:33], v24 offset:12672
	s_waitcnt lgkmcnt(0)
	v_mul_f64 v[34:35], v[28:29], v[32:33]
	v_mul_f64 v[32:33], v[26:27], v[32:33]
	v_fma_f64 v[26:27], v[26:27], v[30:31], -v[34:35]
	v_fma_f64 v[28:29], v[28:29], v[30:31], v[32:33]
	v_add_f64 v[10:11], v[10:11], v[26:27]
	v_add_f64 v[12:13], v[12:13], v[28:29]
.LBB188_368:
	s_or_b64 exec, exec, s[10:11]
	s_barrier
	s_and_saveexec_b64 s[10:11], s[0:1]
; %bb.369:
	ds_write_b128 v25, v[10:13]
; %bb.370:
	s_or_b64 exec, exec, s[10:11]
	s_waitcnt lgkmcnt(0)
	s_barrier
	s_and_saveexec_b64 s[10:11], s[68:69]
	s_cbranch_execz .LBB188_372
; %bb.371:
	ds_read_b128 v[26:29], v25
	ds_read_b128 v[30:33], v24 offset:13184
	s_waitcnt lgkmcnt(0)
	v_mul_f64 v[34:35], v[28:29], v[32:33]
	v_mul_f64 v[32:33], v[26:27], v[32:33]
	v_fma_f64 v[26:27], v[26:27], v[30:31], -v[34:35]
	v_fma_f64 v[28:29], v[28:29], v[30:31], v[32:33]
	v_add_f64 v[10:11], v[10:11], v[26:27]
	v_add_f64 v[12:13], v[12:13], v[28:29]
.LBB188_372:
	s_or_b64 exec, exec, s[10:11]
	s_barrier
	s_and_saveexec_b64 s[10:11], s[70:71]
; %bb.373:
	ds_write_b128 v25, v[10:13]
; %bb.374:
	s_or_b64 exec, exec, s[10:11]
	s_waitcnt lgkmcnt(0)
	s_barrier
	s_and_saveexec_b64 s[10:11], s[72:73]
	;; [unrolled: 22-line block ×6, first 2 shown]
	s_cbranch_execz .LBB188_392
; %bb.391:
	v_mov_b32_e32 v24, 0
	ds_read_b128 v[26:29], v25
	ds_read_b128 v[30:33], v24 offset:15856
	s_waitcnt lgkmcnt(0)
	v_mul_f64 v[34:35], v[28:29], v[32:33]
	v_mul_f64 v[32:33], v[26:27], v[32:33]
	v_fma_f64 v[26:27], v[26:27], v[30:31], -v[34:35]
	v_fma_f64 v[28:29], v[28:29], v[30:31], v[32:33]
	v_add_f64 v[10:11], v[10:11], v[26:27]
	v_add_f64 v[12:13], v[12:13], v[28:29]
.LBB188_392:
	s_or_b64 exec, exec, s[10:11]
	s_barrier
	s_and_saveexec_b64 s[10:11], s[60:61]
; %bb.393:
	ds_write_b128 v25, v[10:13]
; %bb.394:
	s_or_b64 exec, exec, s[10:11]
	s_waitcnt lgkmcnt(0)
	s_barrier
	s_barrier
	s_and_saveexec_b64 s[10:11], s[8:9]
; %bb.395:
	v_xor_b32_e32 v11, 0x80000000, v11
	v_xor_b32_e32 v13, 0x80000000, v13
	ds_write_b128 v23, v[10:13] offset:8576
; %bb.396:
	s_or_b64 exec, exec, s[10:11]
	s_waitcnt lgkmcnt(0)
	s_barrier
	s_barrier
	s_and_saveexec_b64 s[8:9], s[88:89]
	s_cbranch_execz .LBB188_398
; %bb.397:
	v_lshlrev_b32_e32 v23, 9, v0
	ds_read_b128 v[10:13], v23 offset:8576
	s_movk_i32 s0, 0xfe10
	v_mad_i32_i24 v24, v0, s0, v23
	s_waitcnt lgkmcnt(0)
	ds_write_b128 v24, v[10:13] offset:12544
	ds_read_b128 v[10:13], v23 offset:8592
	s_waitcnt lgkmcnt(0)
	ds_write_b128 v24, v[10:13] offset:13056
	ds_read_b128 v[10:13], v23 offset:8608
	;; [unrolled: 3-line block ×7, first 2 shown]
	s_waitcnt lgkmcnt(0)
	ds_write_b128 v24, v[10:13] offset:16128
.LBB188_398:
	s_or_b64 exec, exec, s[8:9]
	s_waitcnt lgkmcnt(0)
	s_barrier
	s_and_saveexec_b64 s[8:9], vcc
	s_cbranch_execz .LBB188_400
; %bb.399:
	s_mov_b32 s12, 0
	v_mov_b32_e32 v27, 0
	ds_read_b128 v[10:13], v27 offset:12688
	s_mov_b32 s15, s12
	s_mov_b32 s13, 0x3ff00000
	;; [unrolled: 1-line block ×3, first 2 shown]
	v_mov_b32_e32 v26, s15
	v_mov_b32_e32 v25, s14
	;; [unrolled: 1-line block ×4, first 2 shown]
	ds_write_b128 v27, v[23:26] offset:12672
	ds_write_b128 v27, v[23:26] offset:13200
	s_waitcnt lgkmcnt(2)
	ds_write_b128 v27, v[10:13] offset:13184
.LBB188_400:
	s_or_b64 exec, exec, s[8:9]
	v_mov_b32_e32 v12, 0
	v_mov_b32_e32 v10, 0
	v_mov_b32_e32 v13, 0
	v_mov_b32_e32 v11, 0
	s_waitcnt lgkmcnt(0)
	s_barrier
	s_and_saveexec_b64 s[10:11], s[2:3]
	s_cbranch_execz .LBB188_404
; %bb.401:
	v_mul_u32_u24_e32 v10, 0x210, v16
	ds_read_b128 v[10:13], v10 offset:12672
	ds_read_b128 v[23:26], v14 offset:12704
	v_cmp_gt_u32_e64 s[8:9], 2, v22
	s_waitcnt lgkmcnt(0)
	v_mul_f64 v[27:28], v[12:13], v[25:26]
	v_mul_f64 v[25:26], v[10:11], v[25:26]
	v_fma_f64 v[10:11], v[10:11], v[23:24], -v[27:28]
	v_fma_f64 v[12:13], v[12:13], v[23:24], v[25:26]
	v_add_f64 v[10:11], v[10:11], 0
	v_add_f64 v[12:13], v[12:13], 0
	s_and_saveexec_b64 s[12:13], s[8:9]
	s_cbranch_execz .LBB188_403
; %bb.402:
	v_lshlrev_b32_e32 v27, 4, v0
	v_mov_b32_e32 v23, 0
	ds_read_b128 v[23:26], v23 offset:12688
	ds_read_b128 v[27:30], v27 offset:13216
	s_waitcnt lgkmcnt(0)
	v_mul_f64 v[31:32], v[25:26], v[29:30]
	v_mul_f64 v[29:30], v[23:24], v[29:30]
	v_fma_f64 v[23:24], v[23:24], v[27:28], -v[31:32]
	v_fma_f64 v[25:26], v[25:26], v[27:28], v[29:30]
	v_add_f64 v[10:11], v[10:11], v[23:24]
	v_add_f64 v[12:13], v[12:13], v[25:26]
.LBB188_403:
	s_or_b64 exec, exec, s[12:13]
	v_xor_b32_e32 v11, 0x80000000, v11
	v_xor_b32_e32 v13, 0x80000000, v13
.LBB188_404:
	s_or_b64 exec, exec, s[10:11]
	s_and_saveexec_b64 s[8:9], s[42:43]
; %bb.405:
	ds_write_b128 v15, v[10:13]
; %bb.406:
	s_or_b64 exec, exec, s[8:9]
	s_waitcnt lgkmcnt(0)
	s_barrier
	s_and_saveexec_b64 s[8:9], s[40:41]
	s_cbranch_execz .LBB188_408
; %bb.407:
	v_mov_b32_e32 v27, 0
	ds_read_b128 v[23:26], v15
	ds_read_b128 v[27:30], v27 offset:13744
	s_waitcnt lgkmcnt(0)
	v_mul_f64 v[31:32], v[25:26], v[29:30]
	v_mul_f64 v[29:30], v[23:24], v[29:30]
	v_fma_f64 v[23:24], v[23:24], v[27:28], -v[31:32]
	v_fma_f64 v[25:26], v[25:26], v[27:28], v[29:30]
	v_add_f64 v[10:11], v[10:11], v[23:24]
	v_add_f64 v[12:13], v[12:13], v[25:26]
.LBB188_408:
	s_or_b64 exec, exec, s[8:9]
	s_barrier
	s_and_saveexec_b64 s[8:9], s[40:41]
; %bb.409:
	ds_write_b128 v15, v[10:13]
; %bb.410:
	s_or_b64 exec, exec, s[8:9]
	s_waitcnt lgkmcnt(0)
	s_barrier
	s_barrier
	s_and_saveexec_b64 s[8:9], s[2:3]
; %bb.411:
	v_xor_b32_e32 v11, 0x80000000, v11
	v_xor_b32_e32 v13, 0x80000000, v13
	ds_write_b128 v14, v[10:13] offset:12704
; %bb.412:
	s_or_b64 exec, exec, s[8:9]
	s_waitcnt lgkmcnt(0)
	s_barrier
	s_barrier
	s_and_saveexec_b64 s[8:9], s[44:45]
	s_cbranch_execz .LBB188_414
; %bb.413:
	v_lshlrev_b32_e32 v23, 9, v0
	ds_read_b128 v[10:13], v23 offset:12704
	s_movk_i32 s0, 0xfe10
	v_mad_i32_i24 v24, v0, s0, v23
	s_waitcnt lgkmcnt(0)
	ds_write_b128 v24, v[10:13] offset:13696
	ds_read_b128 v[10:13], v23 offset:12720
	s_waitcnt lgkmcnt(0)
	ds_write_b128 v24, v[10:13] offset:14208
.LBB188_414:
	s_or_b64 exec, exec, s[8:9]
	s_waitcnt lgkmcnt(0)
	s_barrier
	s_and_saveexec_b64 s[8:9], vcc
	s_cbranch_execz .LBB188_416
; %bb.415:
	s_mov_b32 s12, 0
	v_mov_b32_e32 v27, 0
	ds_read_b128 v[10:13], v27 offset:13744
	s_mov_b32 s15, s12
	s_mov_b32 s13, 0x3ff00000
	;; [unrolled: 1-line block ×3, first 2 shown]
	v_mov_b32_e32 v26, s15
	v_mov_b32_e32 v25, s14
	;; [unrolled: 1-line block ×4, first 2 shown]
	ds_write_b128 v27, v[23:26] offset:13728
	ds_write_b128 v27, v[23:26] offset:14256
	s_waitcnt lgkmcnt(2)
	ds_write_b128 v27, v[10:13] offset:14240
.LBB188_416:
	s_or_b64 exec, exec, s[8:9]
	v_mov_b32_e32 v12, 0
	v_mov_b32_e32 v10, 0
	;; [unrolled: 1-line block ×4, first 2 shown]
	s_waitcnt lgkmcnt(0)
	s_barrier
	s_and_saveexec_b64 s[10:11], s[16:17]
	s_cbranch_execz .LBB188_422
; %bb.417:
	v_mul_u32_u24_e32 v23, 0x210, v21
	ds_read_b128 v[10:13], v23 offset:12672
	ds_read_b128 v[24:27], v17 offset:12736
	v_cmp_gt_u32_e64 s[8:9], 12, v22
	s_waitcnt lgkmcnt(0)
	v_mul_f64 v[28:29], v[12:13], v[26:27]
	v_mul_f64 v[26:27], v[10:11], v[26:27]
	v_fma_f64 v[10:11], v[10:11], v[24:25], -v[28:29]
	v_fma_f64 v[12:13], v[12:13], v[24:25], v[26:27]
	v_add_f64 v[10:11], v[10:11], 0
	v_add_f64 v[12:13], v[12:13], 0
	s_and_saveexec_b64 s[12:13], s[8:9]
	s_cbranch_execnz .LBB188_539
; %bb.418:
	s_or_b64 exec, exec, s[12:13]
	v_cmp_gt_u32_e64 s[8:9], 8, v22
	s_and_saveexec_b64 s[12:13], s[8:9]
	s_cbranch_execnz .LBB188_540
.LBB188_419:
	s_or_b64 exec, exec, s[12:13]
	v_cmp_gt_u32_e64 s[8:9], 4, v22
	s_and_saveexec_b64 s[12:13], s[8:9]
	s_cbranch_execz .LBB188_421
.LBB188_420:
	v_mov_b32_e32 v21, 0
	v_lshlrev_b32_e32 v20, 4, v0
	ds_read_b128 v[23:26], v21 offset:12720
	ds_read_b128 v[27:30], v20 offset:14272
	s_waitcnt lgkmcnt(0)
	v_mul_f64 v[20:21], v[25:26], v[29:30]
	v_mul_f64 v[29:30], v[23:24], v[29:30]
	v_fma_f64 v[20:21], v[23:24], v[27:28], -v[20:21]
	v_fma_f64 v[23:24], v[25:26], v[27:28], v[29:30]
	v_add_f64 v[10:11], v[10:11], v[20:21]
	v_add_f64 v[12:13], v[12:13], v[23:24]
.LBB188_421:
	s_or_b64 exec, exec, s[12:13]
	v_xor_b32_e32 v11, 0x80000000, v11
	v_xor_b32_e32 v13, 0x80000000, v13
.LBB188_422:
	s_or_b64 exec, exec, s[10:11]
	s_and_saveexec_b64 s[8:9], s[48:49]
; %bb.423:
	ds_write_b128 v19, v[10:13]
; %bb.424:
	s_or_b64 exec, exec, s[8:9]
	s_waitcnt lgkmcnt(0)
	s_barrier
	s_and_saveexec_b64 s[8:9], s[50:51]
	s_cbranch_execz .LBB188_426
; %bb.425:
	ds_read_b128 v[23:26], v19
	ds_read_b128 v[27:30], v18 offset:14784
	s_waitcnt lgkmcnt(0)
	v_mul_f64 v[20:21], v[25:26], v[29:30]
	v_mul_f64 v[29:30], v[23:24], v[29:30]
	v_fma_f64 v[20:21], v[23:24], v[27:28], -v[20:21]
	v_fma_f64 v[23:24], v[25:26], v[27:28], v[29:30]
	v_add_f64 v[10:11], v[10:11], v[20:21]
	v_add_f64 v[12:13], v[12:13], v[23:24]
.LBB188_426:
	s_or_b64 exec, exec, s[8:9]
	s_barrier
	s_and_saveexec_b64 s[8:9], s[52:53]
; %bb.427:
	ds_write_b128 v19, v[10:13]
; %bb.428:
	s_or_b64 exec, exec, s[8:9]
	s_waitcnt lgkmcnt(0)
	s_barrier
	s_and_saveexec_b64 s[8:9], s[54:55]
	s_cbranch_execz .LBB188_430
; %bb.429:
	ds_read_b128 v[23:26], v19
	ds_read_b128 v[27:30], v18 offset:15296
	s_waitcnt lgkmcnt(0)
	v_mul_f64 v[20:21], v[25:26], v[29:30]
	v_mul_f64 v[29:30], v[23:24], v[29:30]
	v_fma_f64 v[20:21], v[23:24], v[27:28], -v[20:21]
	v_fma_f64 v[23:24], v[25:26], v[27:28], v[29:30]
	v_add_f64 v[10:11], v[10:11], v[20:21]
	v_add_f64 v[12:13], v[12:13], v[23:24]
.LBB188_430:
	s_or_b64 exec, exec, s[8:9]
	s_barrier
	s_and_saveexec_b64 s[8:9], s[56:57]
; %bb.431:
	ds_write_b128 v19, v[10:13]
; %bb.432:
	s_or_b64 exec, exec, s[8:9]
	s_waitcnt lgkmcnt(0)
	s_barrier
	s_and_saveexec_b64 s[8:9], s[46:47]
	s_cbranch_execz .LBB188_434
; %bb.433:
	v_mov_b32_e32 v18, 0
	ds_read_b128 v[23:26], v19
	ds_read_b128 v[27:30], v18 offset:15856
	s_waitcnt lgkmcnt(0)
	v_mul_f64 v[20:21], v[25:26], v[29:30]
	v_mul_f64 v[29:30], v[23:24], v[29:30]
	v_fma_f64 v[20:21], v[23:24], v[27:28], -v[20:21]
	v_fma_f64 v[23:24], v[25:26], v[27:28], v[29:30]
	v_add_f64 v[10:11], v[10:11], v[20:21]
	v_add_f64 v[12:13], v[12:13], v[23:24]
.LBB188_434:
	s_or_b64 exec, exec, s[8:9]
	s_barrier
	s_and_saveexec_b64 s[8:9], s[46:47]
; %bb.435:
	ds_write_b128 v19, v[10:13]
; %bb.436:
	s_or_b64 exec, exec, s[8:9]
	s_waitcnt lgkmcnt(0)
	s_barrier
	s_barrier
	s_and_saveexec_b64 s[8:9], s[16:17]
; %bb.437:
	v_xor_b32_e32 v13, 0x80000000, v13
	v_xor_b32_e32 v11, 0x80000000, v11
	ds_write_b128 v17, v[10:13] offset:12736
; %bb.438:
	s_or_b64 exec, exec, s[8:9]
	s_waitcnt lgkmcnt(0)
	s_barrier
	s_barrier
	s_and_saveexec_b64 s[8:9], s[58:59]
	s_cbranch_execz .LBB188_440
; %bb.439:
	v_lshlrev_b32_e32 v17, 4, v0
	s_movk_i32 s0, 0x1f0
	v_mad_u32_u24 v18, v0, s0, v17
	ds_read_b128 v[10:13], v18 offset:12736
	s_waitcnt lgkmcnt(0)
	ds_write_b128 v17, v[10:13] offset:14720
	ds_read_b128 v[10:13], v18 offset:12752
	s_waitcnt lgkmcnt(0)
	ds_write_b128 v17, v[10:13] offset:15232
	;; [unrolled: 3-line block ×4, first 2 shown]
.LBB188_440:
	s_or_b64 exec, exec, s[8:9]
	s_waitcnt lgkmcnt(0)
	s_barrier
	s_and_saveexec_b64 s[8:9], vcc
	s_cbranch_execz .LBB188_442
; %bb.441:
	s_mov_b32 s12, 0
	v_mov_b32_e32 v21, 0
	ds_read_b128 v[10:13], v21 offset:14800
	s_mov_b32 s15, s12
	s_mov_b32 s13, 0x3ff00000
	;; [unrolled: 1-line block ×3, first 2 shown]
	v_mov_b32_e32 v20, s15
	v_mov_b32_e32 v19, s14
	v_mov_b32_e32 v18, s13
	v_mov_b32_e32 v17, s12
	ds_write_b128 v21, v[17:20] offset:14784
	ds_write_b128 v21, v[17:20] offset:15312
	s_waitcnt lgkmcnt(2)
	ds_write_b128 v21, v[10:13] offset:15296
.LBB188_442:
	s_or_b64 exec, exec, s[8:9]
	v_mov_b32_e32 v12, 0
	v_mov_b32_e32 v10, 0
	;; [unrolled: 1-line block ×4, first 2 shown]
	s_waitcnt lgkmcnt(0)
	s_barrier
	s_and_saveexec_b64 s[10:11], s[2:3]
	s_cbranch_execz .LBB188_446
; %bb.443:
	v_mul_u32_u24_e32 v10, 0x210, v16
	ds_read_b128 v[10:13], v10 offset:14784
	ds_read_b128 v[16:19], v14 offset:14816
	v_cmp_gt_u32_e64 s[8:9], 2, v22
	s_waitcnt lgkmcnt(0)
	v_mul_f64 v[20:21], v[12:13], v[18:19]
	v_mul_f64 v[18:19], v[10:11], v[18:19]
	v_fma_f64 v[10:11], v[10:11], v[16:17], -v[20:21]
	v_fma_f64 v[12:13], v[12:13], v[16:17], v[18:19]
	v_add_f64 v[10:11], v[10:11], 0
	v_add_f64 v[12:13], v[12:13], 0
	s_and_saveexec_b64 s[12:13], s[8:9]
	s_cbranch_execz .LBB188_445
; %bb.444:
	v_mov_b32_e32 v16, 0
	v_lshlrev_b32_e32 v20, 4, v0
	ds_read_b128 v[16:19], v16 offset:14800
	ds_read_b128 v[23:26], v20 offset:15328
	s_waitcnt lgkmcnt(0)
	v_mul_f64 v[20:21], v[18:19], v[25:26]
	v_mul_f64 v[25:26], v[16:17], v[25:26]
	v_fma_f64 v[16:17], v[16:17], v[23:24], -v[20:21]
	v_fma_f64 v[18:19], v[18:19], v[23:24], v[25:26]
	v_add_f64 v[10:11], v[10:11], v[16:17]
	v_add_f64 v[12:13], v[12:13], v[18:19]
.LBB188_445:
	s_or_b64 exec, exec, s[12:13]
	v_xor_b32_e32 v11, 0x80000000, v11
	v_xor_b32_e32 v13, 0x80000000, v13
.LBB188_446:
	s_or_b64 exec, exec, s[10:11]
	s_and_saveexec_b64 s[8:9], s[42:43]
; %bb.447:
	ds_write_b128 v15, v[10:13]
; %bb.448:
	s_or_b64 exec, exec, s[8:9]
	s_waitcnt lgkmcnt(0)
	s_barrier
	s_and_saveexec_b64 s[8:9], s[40:41]
	v_readlane_b32 s42, v43, 0
	v_readlane_b32 s43, v43, 1
	s_cbranch_execz .LBB188_450
; %bb.449:
	v_mov_b32_e32 v20, 0
	ds_read_b128 v[16:19], v15
	ds_read_b128 v[23:26], v20 offset:15856
	s_waitcnt lgkmcnt(0)
	v_mul_f64 v[20:21], v[18:19], v[25:26]
	v_mul_f64 v[25:26], v[16:17], v[25:26]
	v_fma_f64 v[16:17], v[16:17], v[23:24], -v[20:21]
	v_fma_f64 v[18:19], v[18:19], v[23:24], v[25:26]
	v_add_f64 v[10:11], v[10:11], v[16:17]
	v_add_f64 v[12:13], v[12:13], v[18:19]
.LBB188_450:
	s_or_b64 exec, exec, s[8:9]
	s_barrier
	s_and_saveexec_b64 s[8:9], s[40:41]
; %bb.451:
	ds_write_b128 v15, v[10:13]
; %bb.452:
	s_or_b64 exec, exec, s[8:9]
	s_waitcnt lgkmcnt(0)
	s_barrier
	s_barrier
	s_and_saveexec_b64 s[8:9], s[2:3]
; %bb.453:
	v_xor_b32_e32 v11, 0x80000000, v11
	v_xor_b32_e32 v13, 0x80000000, v13
	ds_write_b128 v14, v[10:13] offset:14816
; %bb.454:
	s_or_b64 exec, exec, s[8:9]
	s_waitcnt lgkmcnt(0)
	s_barrier
	s_barrier
	s_and_saveexec_b64 s[2:3], s[44:45]
	s_cbranch_execz .LBB188_456
; %bb.455:
	v_lshlrev_b32_e32 v14, 9, v0
	ds_read_b128 v[10:13], v14 offset:14816
	s_movk_i32 s0, 0xfe10
	v_mad_i32_i24 v15, v0, s0, v14
	s_waitcnt lgkmcnt(0)
	ds_write_b128 v15, v[10:13] offset:15808
	ds_read_b128 v[10:13], v14 offset:14832
	s_waitcnt lgkmcnt(0)
	ds_write_b128 v15, v[10:13] offset:16320
.LBB188_456:
	s_or_b64 exec, exec, s[2:3]
	s_waitcnt lgkmcnt(0)
	s_barrier
	s_and_saveexec_b64 s[2:3], vcc
	s_cbranch_execz .LBB188_458
; %bb.457:
	s_mov_b32 s8, 0
	v_mov_b32_e32 v18, 0
	ds_read_b128 v[10:13], v18 offset:15856
	s_mov_b32 s11, s8
	s_mov_b32 s9, 0x3ff00000
	;; [unrolled: 1-line block ×3, first 2 shown]
	v_mov_b32_e32 v17, s11
	v_mov_b32_e32 v16, s10
	;; [unrolled: 1-line block ×4, first 2 shown]
	ds_write_b128 v18, v[14:17] offset:15840
	ds_write_b128 v18, v[14:17] offset:16368
	s_waitcnt lgkmcnt(2)
	ds_write_b128 v18, v[10:13] offset:16352
.LBB188_458:
	s_or_b64 exec, exec, s[2:3]
.LBB188_459:
	s_lshl_b64 s[0:1], s[26:27], 4
	s_add_u32 s26, s38, s0
	v_cmp_le_i32_e32 vcc, s94, v0
	v_mov_b32_e32 v10, 0
	s_addc_u32 s27, s39, s1
	s_and_b64 s[16:17], vcc, s[34:35]
	v_mov_b32_e32 v11, 0
	v_cmp_eq_u32_e64 s[2:3], 0, v1
	s_xor_b64 s[0:1], s[16:17], -1
	v_mov_b32_e32 v13, v11
	s_and_b64 s[0:1], s[2:3], s[0:1]
	v_lshl_add_u32 v15, s33, 5, v0
	v_mov_b32_e32 v12, v10
	s_waitcnt lgkmcnt(0)
	s_barrier
	s_and_saveexec_b64 s[8:9], s[0:1]
	s_cbranch_execz .LBB188_461
; %bb.460:
	v_ashrrev_i32_e32 v12, 31, v15
	v_mul_lo_u32 v13, s25, v15
	v_mad_u64_u32 v[10:11], s[0:1], s24, v15, 0
	v_mul_lo_u32 v12, s24, v12
	v_add3_u32 v11, v11, v12, v13
	v_lshlrev_b64 v[10:11], 4, v[10:11]
	v_mov_b32_e32 v12, s27
	v_add_co_u32_e32 v10, vcc, s26, v10
	v_addc_co_u32_e32 v11, vcc, v12, v11, vcc
	flat_load_dwordx4 v[16:19], v[10:11]
	s_waitcnt vmcnt(0) lgkmcnt(0)
	v_mul_f64 v[10:11], s[20:21], v[16:17]
	v_mul_f64 v[12:13], s[20:21], v[18:19]
	v_fma_f64 v[10:11], s[22:23], v[18:19], -v[10:11]
	v_fma_f64 v[12:13], v[16:17], -s[22:23], -v[12:13]
.LBB188_461:
	s_or_b64 exec, exec, s[8:9]
	s_load_dwordx2 s[14:15], s[4:5], 0x58
	s_and_b32 s0, 0xffff, s63
	v_mad_u32_u24 v23, v1, s0, v0
	v_mov_b32_e32 v14, 0
	s_cmp_lt_i32 s6, 1
	v_cmp_eq_u32_e64 s[4:5], 0, v23
	s_cbranch_scc1 .LBB188_484
; %bb.462:
	v_ashrrev_i32_e32 v18, 31, v15
	v_mul_lo_u32 v19, s37, v15
	v_mad_u64_u32 v[16:17], s[0:1], s36, v15, 0
	v_mul_lo_u32 v18, s36, v18
	s_lshl_b64 s[8:9], s[28:29], 2
	s_waitcnt lgkmcnt(0)
	s_add_u32 s18, s14, s8
	s_addc_u32 s19, s15, s9
	v_add3_u32 v17, v17, v18, v19
	v_cmp_gt_i32_e64 s[8:9], s30, v15
	v_lshlrev_b64 v[15:16], 4, v[16:17]
	v_mov_b32_e32 v18, 0x6000
	v_mov_b32_e32 v17, s62
	v_add_co_u32_e32 v26, vcc, s95, v15
	s_mov_b32 s0, 0
	v_cmp_gt_u32_e64 s[12:13], 32, v23
	v_lshl_add_u32 v24, v23, 4, v18
	v_lshl_or_b32 v25, v1, 4, v18
	s_add_i32 s1, s33, 1
	v_addc_co_u32_e32 v27, vcc, v17, v16, vcc
	v_mov_b32_e32 v28, -1
	s_branch .LBB188_465
.LBB188_463:                            ;   in Loop: Header=BB188_465 Depth=1
	ds_read_b128 v[29:32], v25 offset:256
	s_waitcnt vmcnt(0) lgkmcnt(0)
	v_mul_f64 v[15:16], v[19:20], v[31:32]
	v_mul_f64 v[31:32], v[17:18], v[31:32]
	v_fma_f64 v[15:16], v[17:18], v[29:30], -v[15:16]
	v_fma_f64 v[17:18], v[19:20], v[29:30], v[31:32]
	v_add_f64 v[10:11], v[10:11], v[15:16]
	v_add_f64 v[12:13], v[12:13], v[17:18]
.LBB188_464:                            ;   in Loop: Header=BB188_465 Depth=1
	s_or_b64 exec, exec, s[20:21]
	s_add_i32 s0, s0, 1
	s_cmp_eq_u32 s0, s6
	s_cbranch_scc1 .LBB188_484
.LBB188_465:                            ; =>This Loop Header: Depth=1
                                        ;     Child Loop BB188_467 Depth 2
	v_cmp_gt_i32_e32 vcc, s0, v28
	s_and_b64 s[20:21], s[4:5], vcc
	s_and_saveexec_b64 s[10:11], s[20:21]
	s_cbranch_execz .LBB188_468
; %bb.466:                              ;   in Loop: Header=BB188_465 Depth=1
	global_load_dword v28, v14, s[18:19]
	s_waitcnt vmcnt(0)
	v_cmp_le_i32_e32 vcc, s0, v28
	s_cbranch_vccnz .LBB188_468
.LBB188_467:                            ;   Parent Loop BB188_465 Depth=1
                                        ; =>  This Inner Loop Header: Depth=2
	buffer_wbinvl1_vol
	global_load_dword v28, v14, s[18:19]
	s_waitcnt vmcnt(0)
	v_cmp_gt_i32_e32 vcc, s0, v28
	s_cbranch_vccnz .LBB188_467
.LBB188_468:                            ;   in Loop: Header=BB188_465 Depth=1
	s_or_b64 exec, exec, s[10:11]
	s_sub_i32 s22, s7, s0
	s_lshl_b32 s23, s22, 5
	buffer_wbinvl1_vol
	s_barrier
	s_and_saveexec_b64 s[10:11], s[12:13]
	s_cbranch_execz .LBB188_473
; %bb.469:                              ;   in Loop: Header=BB188_465 Depth=1
	s_ashr_i32 s20, s23, 31
	v_mov_b32_e32 v16, s20
	v_or_b32_e32 v15, s23, v23
	v_cmp_le_i64_e32 vcc, s[30:31], v[15:16]
	s_and_saveexec_b64 s[20:21], vcc
	s_xor_b64 s[20:21], exec, s[20:21]
; %bb.470:                              ;   in Loop: Header=BB188_465 Depth=1
	v_mov_b32_e32 v15, v14
	v_mov_b32_e32 v16, v14
	v_mov_b32_e32 v17, v14
	ds_write_b128 v24, v[14:17]
                                        ; implicit-def: $vgpr15_vgpr16
; %bb.471:                              ;   in Loop: Header=BB188_465 Depth=1
	s_andn2_saveexec_b64 s[20:21], s[20:21]
	s_cbranch_execz .LBB188_473
; %bb.472:                              ;   in Loop: Header=BB188_465 Depth=1
	v_mul_lo_u32 v17, v16, s24
	v_mul_lo_u32 v18, v15, s25
	v_mad_u64_u32 v[15:16], s[20:21], v15, s24, 0
	v_add3_u32 v16, v16, v18, v17
	v_lshlrev_b64 v[15:16], 4, v[15:16]
	v_mov_b32_e32 v17, s27
	v_add_co_u32_e32 v15, vcc, s26, v15
	v_addc_co_u32_e32 v16, vcc, v17, v16, vcc
	flat_load_dwordx4 v[15:18], v[15:16]
	s_waitcnt vmcnt(0) lgkmcnt(0)
	ds_write2_b64 v24, v[15:16], v[17:18] offset1:1
.LBB188_473:                            ;   in Loop: Header=BB188_465 Depth=1
	s_or_b64 exec, exec, s[10:11]
	v_add_u32_e32 v17, s23, v1
	v_ashrrev_i32_e32 v18, 31, v17
	v_lshlrev_b64 v[15:16], 4, v[17:18]
	s_cmp_lg_u32 s22, s1
	v_add_co_u32_e32 v15, vcc, v26, v15
	s_cselect_b64 s[10:11], -1, 0
	v_addc_co_u32_e32 v16, vcc, v27, v16, vcc
	v_cmp_gt_i32_e32 vcc, s30, v17
	v_cndmask_b32_e64 v18, 0, 1, s[10:11]
	s_and_b64 s[22:23], vcc, s[8:9]
	v_cmp_ne_u32_e64 s[10:11], 1, v18
	s_waitcnt lgkmcnt(0)
	s_barrier
	s_and_saveexec_b64 s[20:21], s[22:23]
	s_cbranch_execz .LBB188_479
; %bb.474:                              ;   in Loop: Header=BB188_465 Depth=1
	v_mov_b32_e32 v19, v7
	s_and_b64 vcc, exec, s[10:11]
	v_mov_b32_e32 v18, v6
	s_cbranch_vccnz .LBB188_476
; %bb.475:                              ;   in Loop: Header=BB188_465 Depth=1
	flat_load_dwordx2 v[18:19], v[15:16]
.LBB188_476:                            ;   in Loop: Header=BB188_465 Depth=1
	v_mov_b32_e32 v21, v9
	s_and_b64 vcc, exec, s[10:11]
	v_mov_b32_e32 v20, v8
	s_cbranch_vccnz .LBB188_478
; %bb.477:                              ;   in Loop: Header=BB188_465 Depth=1
	flat_load_dwordx2 v[20:21], v[15:16] offset:8
.LBB188_478:                            ;   in Loop: Header=BB188_465 Depth=1
	ds_read_b128 v[29:32], v25
	s_waitcnt vmcnt(0) lgkmcnt(0)
	v_mul_f64 v[33:34], v[20:21], v[31:32]
	v_mul_f64 v[31:32], v[18:19], v[31:32]
	v_fma_f64 v[18:19], v[18:19], v[29:30], -v[33:34]
	v_fma_f64 v[20:21], v[20:21], v[29:30], v[31:32]
	v_add_f64 v[10:11], v[10:11], v[18:19]
	v_add_f64 v[12:13], v[12:13], v[20:21]
.LBB188_479:                            ;   in Loop: Header=BB188_465 Depth=1
	s_or_b64 exec, exec, s[20:21]
	v_add_u32_e32 v17, 16, v17
	v_cmp_gt_i32_e32 vcc, s30, v17
	s_and_b64 s[22:23], vcc, s[8:9]
	s_and_saveexec_b64 s[20:21], s[22:23]
	s_cbranch_execz .LBB188_464
; %bb.480:                              ;   in Loop: Header=BB188_465 Depth=1
	v_mov_b32_e32 v18, v3
	s_and_b64 vcc, exec, s[10:11]
	v_mov_b32_e32 v17, v2
	s_cbranch_vccnz .LBB188_482
; %bb.481:                              ;   in Loop: Header=BB188_465 Depth=1
	flat_load_dwordx2 v[17:18], v[15:16] offset:256
.LBB188_482:                            ;   in Loop: Header=BB188_465 Depth=1
	v_mov_b32_e32 v20, v5
	s_and_b64 vcc, exec, s[10:11]
	v_mov_b32_e32 v19, v4
	s_cbranch_vccnz .LBB188_463
; %bb.483:                              ;   in Loop: Header=BB188_465 Depth=1
	flat_load_dwordx2 v[19:20], v[15:16] offset:264
	s_branch .LBB188_463
.LBB188_484:
	s_xor_b64 s[4:5], s[34:35], -1
	v_lshlrev_b32_e32 v6, 4, v22
	ds_write_b128 v6, v[10:13] offset:16384
	s_waitcnt lgkmcnt(0)
	s_barrier
	s_and_saveexec_b64 s[6:7], s[2:3]
	s_cbranch_execz .LBB188_486
; %bb.485:
	v_lshlrev_b32_e32 v18, 4, v0
	ds_read_b128 v[2:5], v18 offset:16896
	ds_read_b128 v[14:17], v18 offset:17408
	s_waitcnt lgkmcnt(1)
	v_add_f64 v[2:3], v[10:11], v[2:3]
	v_add_f64 v[4:5], v[12:13], v[4:5]
	s_waitcnt lgkmcnt(0)
	v_add_f64 v[11:12], v[2:3], v[14:15]
	v_add_f64 v[13:14], v[4:5], v[16:17]
	ds_read_b128 v[2:5], v18 offset:17920
	ds_read_b128 v[7:10], v18 offset:18432
	s_waitcnt lgkmcnt(1)
	v_add_f64 v[2:3], v[11:12], v[2:3]
	v_add_f64 v[4:5], v[13:14], v[4:5]
	s_waitcnt lgkmcnt(0)
	v_add_f64 v[11:12], v[2:3], v[7:8]
	v_add_f64 v[13:14], v[4:5], v[9:10]
	;; [unrolled: 8-line block ×7, first 2 shown]
	ds_read_b128 v[2:5], v18 offset:24064
	s_waitcnt lgkmcnt(0)
	v_add_f64 v[2:3], v[7:8], v[2:3]
	v_add_f64 v[4:5], v[9:10], v[4:5]
	v_xor_b32_e32 v3, 0x80000000, v3
	v_xor_b32_e32 v5, 0x80000000, v5
	v_cndmask_b32_e64 v10, v2, 0, s[16:17]
	v_cndmask_b32_e64 v11, v3, 0, s[16:17]
	;; [unrolled: 1-line block ×4, first 2 shown]
.LBB188_486:
	s_or_b64 exec, exec, s[6:7]
	s_and_b64 vcc, exec, s[42:43]
	s_cbranch_vccnz .LBB188_495
; %bb.487:
	v_mov_b32_e32 v2, 0x6000
	v_lshl_or_b32 v7, v1, 4, v2
	s_and_saveexec_b64 s[0:1], s[2:3]
; %bb.488:
	v_lshl_add_u32 v2, v0, 4, v7
	ds_write_b128 v2, v[10:13]
; %bb.489:
	s_or_b64 exec, exec, s[0:1]
	v_mov_b32_e32 v2, 0
	v_mov_b32_e32 v4, 0
	;; [unrolled: 1-line block ×4, first 2 shown]
	v_cmp_le_u32_e32 vcc, v0, v1
	s_waitcnt lgkmcnt(0)
	s_barrier
	s_and_saveexec_b64 s[0:1], vcc
	s_cbranch_execz .LBB188_491
; %bb.490:
	ds_read_b128 v[2:5], v7
	ds_read_b128 v[14:17], v6
	s_waitcnt lgkmcnt(0)
	v_mul_f64 v[8:9], v[4:5], v[16:17]
	v_mul_f64 v[16:17], v[2:3], v[16:17]
	v_fma_f64 v[2:3], v[2:3], v[14:15], -v[8:9]
	v_fma_f64 v[4:5], v[4:5], v[14:15], v[16:17]
	v_add_f64 v[2:3], v[2:3], 0
	v_add_f64 v[4:5], v[4:5], 0
.LBB188_491:
	s_or_b64 exec, exec, s[0:1]
	v_add_u32_e32 v1, 16, v1
	v_add_u32_e32 v8, 0x4000, v6
	v_cmp_le_u32_e32 vcc, v0, v1
	s_and_saveexec_b64 s[0:1], vcc
	s_cbranch_execz .LBB188_493
; %bb.492:
	ds_read_b128 v[14:17], v7 offset:256
	ds_read_b128 v[18:21], v6 offset:8192
	s_waitcnt lgkmcnt(0)
	v_mul_f64 v[6:7], v[16:17], v[20:21]
	v_mul_f64 v[20:21], v[14:15], v[20:21]
	v_fma_f64 v[6:7], v[14:15], v[18:19], -v[6:7]
	v_fma_f64 v[14:15], v[16:17], v[18:19], v[20:21]
	v_add_f64 v[2:3], v[2:3], v[6:7]
	v_add_f64 v[4:5], v[4:5], v[14:15]
.LBB188_493:
	s_or_b64 exec, exec, s[0:1]
	s_mov_b64 s[6:7], 0
	s_mov_b64 s[0:1], 0
	ds_write_b128 v8, v[2:5]
	s_waitcnt lgkmcnt(0)
	s_barrier
                                        ; implicit-def: $vgpr6_vgpr7
                                        ; implicit-def: $vgpr8_vgpr9
	s_and_saveexec_b64 s[8:9], s[2:3]
	s_cbranch_execz .LBB188_513
; %bb.494:
	v_lshlrev_b32_e32 v18, 4, v0
	ds_read_b128 v[6:9], v18 offset:16896
	ds_read_b128 v[14:17], v18 offset:17408
	s_mov_b64 s[0:1], exec
	s_waitcnt lgkmcnt(1)
	v_add_f64 v[1:2], v[2:3], v[6:7]
	v_add_f64 v[3:4], v[4:5], v[8:9]
	s_waitcnt lgkmcnt(0)
	v_add_f64 v[14:15], v[1:2], v[14:15]
	v_add_f64 v[16:17], v[3:4], v[16:17]
	ds_read_b128 v[1:4], v18 offset:17920
	ds_read_b128 v[5:8], v18 offset:18432
	s_waitcnt lgkmcnt(1)
	v_add_f64 v[1:2], v[14:15], v[1:2]
	v_add_f64 v[3:4], v[16:17], v[3:4]
	s_waitcnt lgkmcnt(0)
	v_add_f64 v[14:15], v[1:2], v[5:6]
	v_add_f64 v[16:17], v[3:4], v[7:8]
	ds_read_b128 v[1:4], v18 offset:18944
	ds_read_b128 v[5:8], v18 offset:19456
	;; [unrolled: 8-line block ×6, first 2 shown]
	s_waitcnt lgkmcnt(1)
	v_add_f64 v[1:2], v[14:15], v[1:2]
	v_add_f64 v[3:4], v[16:17], v[3:4]
	s_waitcnt lgkmcnt(0)
	v_add_f64 v[5:6], v[1:2], v[5:6]
	v_add_f64 v[14:15], v[3:4], v[7:8]
	ds_read_b128 v[1:4], v18 offset:24064
	s_waitcnt lgkmcnt(0)
	v_add_f64 v[8:9], v[5:6], v[1:2]
	v_add_f64 v[6:7], v[14:15], v[3:4]
	s_or_b64 exec, exec, s[8:9]
	s_and_b64 vcc, exec, s[6:7]
	s_cbranch_vccnz .LBB188_496
	s_branch .LBB188_514
.LBB188_495:
	s_mov_b64 s[0:1], 0
                                        ; implicit-def: $vgpr6_vgpr7
                                        ; implicit-def: $vgpr8_vgpr9
	s_cbranch_execz .LBB188_514
.LBB188_496:
	v_mov_b32_e32 v1, 0x3c00
	v_lshl_add_u32 v1, v0, 4, v1
	v_mov_b32_e32 v3, 31
	v_mov_b32_e32 v2, 0
	s_branch .LBB188_498
.LBB188_497:                            ;   in Loop: Header=BB188_498 Depth=1
	s_or_b64 exec, exec, s[6:7]
	v_subrev_co_u32_e32 v3, vcc, 1, v3
	s_andn2_b64 vcc, exec, vcc
	v_add_u32_e32 v1, 0xfffffc00, v1
	s_barrier
	s_cbranch_vccz .LBB188_506
.LBB188_498:                            ; =>This Inner Loop Header: Depth=1
	v_cmp_eq_u32_e32 vcc, v0, v3
	s_and_b64 s[8:9], s[2:3], vcc
	s_and_saveexec_b64 s[6:7], s[8:9]
; %bb.499:                              ;   in Loop: Header=BB188_498 Depth=1
	ds_write_b128 v2, v[10:13] offset:25088
; %bb.500:                              ;   in Loop: Header=BB188_498 Depth=1
	s_or_b64 exec, exec, s[6:7]
	v_cmp_lt_u32_e32 vcc, v0, v3
	s_and_b64 s[8:9], s[2:3], vcc
	s_waitcnt lgkmcnt(0)
	s_barrier
	s_and_saveexec_b64 s[6:7], s[8:9]
	s_cbranch_execz .LBB188_502
; %bb.501:                              ;   in Loop: Header=BB188_498 Depth=1
	ds_read_b128 v[4:7], v2 offset:25088
	ds_read_b128 v[14:17], v1 offset:512
	s_waitcnt lgkmcnt(0)
	v_mul_f64 v[8:9], v[6:7], v[16:17]
	v_mul_f64 v[16:17], v[4:5], v[16:17]
	v_fma_f64 v[4:5], v[4:5], v[14:15], -v[8:9]
	v_fma_f64 v[6:7], v[6:7], v[14:15], v[16:17]
	v_add_f64 v[10:11], v[10:11], v[4:5]
	v_add_f64 v[12:13], v[12:13], v[6:7]
.LBB188_502:                            ;   in Loop: Header=BB188_498 Depth=1
	s_or_b64 exec, exec, s[6:7]
	v_add_u32_e32 v3, -1, v3
	v_cmp_eq_u32_e32 vcc, v0, v3
	s_and_b64 s[8:9], s[2:3], vcc
	s_barrier
	s_and_saveexec_b64 s[6:7], s[8:9]
; %bb.503:                              ;   in Loop: Header=BB188_498 Depth=1
	ds_write_b128 v2, v[10:13] offset:25088
; %bb.504:                              ;   in Loop: Header=BB188_498 Depth=1
	s_or_b64 exec, exec, s[6:7]
	v_cmp_lt_u32_e32 vcc, v0, v3
	s_and_b64 s[8:9], s[2:3], vcc
	s_waitcnt lgkmcnt(0)
	s_barrier
	s_and_saveexec_b64 s[6:7], s[8:9]
	s_cbranch_execz .LBB188_497
; %bb.505:                              ;   in Loop: Header=BB188_498 Depth=1
	ds_read_b128 v[4:7], v2 offset:25088
	ds_read_b128 v[14:17], v1
	s_waitcnt lgkmcnt(0)
	v_mul_f64 v[8:9], v[6:7], v[16:17]
	v_mul_f64 v[16:17], v[4:5], v[16:17]
	v_fma_f64 v[4:5], v[4:5], v[14:15], -v[8:9]
	v_fma_f64 v[6:7], v[6:7], v[14:15], v[16:17]
	v_add_f64 v[10:11], v[10:11], v[4:5]
	v_add_f64 v[12:13], v[12:13], v[6:7]
	s_branch .LBB188_497
.LBB188_506:
	s_mov_b64 s[6:7], -1
	s_and_b64 vcc, exec, s[4:5]
	s_cbranch_vccnz .LBB188_515
; %bb.507:
	s_andn2_b64 vcc, exec, s[6:7]
	s_cbranch_vccz .LBB188_516
.LBB188_508:
	s_and_saveexec_b64 s[2:3], s[0:1]
	s_cbranch_execz .LBB188_510
.LBB188_509:
	s_lshl_b32 s0, s33, 5
	s_ashr_i32 s1, s0, 31
	v_mov_b32_e32 v0, s1
	v_add_co_u32_e32 v1, vcc, s0, v23
	v_addc_co_u32_e32 v0, vcc, 0, v0, vcc
	v_mul_lo_u32 v2, v0, s24
	v_mul_lo_u32 v3, v1, s25
	v_mad_u64_u32 v[0:1], s[0:1], v1, s24, 0
	v_add3_u32 v1, v1, v3, v2
	v_lshlrev_b64 v[0:1], 4, v[0:1]
	v_mov_b32_e32 v2, s27
	v_add_co_u32_e32 v0, vcc, s26, v0
	v_addc_co_u32_e32 v1, vcc, v2, v1, vcc
	flat_store_dwordx4 v[0:1], v[10:13]
.LBB188_510:
	s_or_b64 exec, exec, s[2:3]
	v_cmp_eq_u32_e32 vcc, 0, v23
	s_waitcnt vmcnt(0) lgkmcnt(0)
	buffer_wbinvl1_vol
	s_barrier
	s_and_saveexec_b64 s[0:1], vcc
	s_cbranch_execz .LBB188_512
; %bb.511:
	s_lshl_b64 s[2:3], s[28:29], 2
	s_add_u32 s2, s14, s2
	s_addc_u32 s3, s15, s3
	v_mov_b32_e32 v0, 0
	global_load_dword v1, v0, s[2:3]
	s_waitcnt vmcnt(0)
	v_add_u32_e32 v1, 1, v1
	global_store_dword v0, v1, s[2:3]
.LBB188_512:
	s_or_b64 exec, exec, s[0:1]
	s_waitcnt vmcnt(0)
	buffer_wbinvl1_vol
	s_endpgm
.LBB188_513:
	s_or_b64 exec, exec, s[8:9]
	s_and_b64 vcc, exec, s[6:7]
	s_cbranch_vccnz .LBB188_496
.LBB188_514:
	v_mov_b32_e32 v13, v7
	v_mov_b32_e32 v11, v9
	;; [unrolled: 1-line block ×4, first 2 shown]
	s_and_saveexec_b64 s[2:3], s[0:1]
	s_cbranch_execnz .LBB188_509
	s_branch .LBB188_510
.LBB188_515:
	s_andn2_b64 s[0:1], s[0:1], exec
	s_and_b64 s[4:5], s[2:3], exec
	s_or_b64 s[0:1], s[0:1], s[4:5]
	s_cbranch_execnz .LBB188_508
.LBB188_516:
	v_cmp_gt_i32_e32 vcc, s94, v0
	s_and_b64 s[2:3], s[2:3], vcc
	s_andn2_b64 s[0:1], s[0:1], exec
	s_and_b64 s[2:3], s[2:3], exec
	s_or_b64 s[0:1], s[0:1], s[2:3]
	s_and_saveexec_b64 s[2:3], s[0:1]
	s_cbranch_execnz .LBB188_509
	s_branch .LBB188_510
.LBB188_517:
	v_lshlrev_b32_e32 v23, 4, v21
	v_sub_u32_e32 v23, v19, v23
	v_lshl_add_u32 v27, v20, 4, v23
	ds_read_b128 v[23:26], v19 offset:16
	ds_read_b128 v[27:30], v27 offset:576
	s_waitcnt lgkmcnt(0)
	v_mul_f64 v[31:32], v[25:26], v[29:30]
	v_mul_f64 v[29:30], v[23:24], v[29:30]
	v_fma_f64 v[23:24], v[23:24], v[27:28], -v[31:32]
	v_fma_f64 v[25:26], v[25:26], v[27:28], v[29:30]
	v_add_f64 v[10:11], v[10:11], v[23:24]
	v_add_f64 v[12:13], v[12:13], v[25:26]
	s_or_b64 exec, exec, s[18:19]
	v_cmp_gt_u32_e64 s[12:13], 8, v22
	s_and_saveexec_b64 s[18:19], s[12:13]
	s_cbranch_execz .LBB188_57
.LBB188_518:
	ds_read_b128 v[23:26], v19 offset:32
	ds_read_b128 v[27:30], v17 offset:1088
	s_waitcnt lgkmcnt(0)
	v_mul_f64 v[31:32], v[25:26], v[29:30]
	v_mul_f64 v[29:30], v[23:24], v[29:30]
	v_fma_f64 v[23:24], v[23:24], v[27:28], -v[31:32]
	v_fma_f64 v[25:26], v[25:26], v[27:28], v[29:30]
	v_add_f64 v[10:11], v[10:11], v[23:24]
	v_add_f64 v[12:13], v[12:13], v[25:26]
	s_or_b64 exec, exec, s[18:19]
	v_cmp_gt_u32_e64 s[12:13], 4, v22
	s_and_saveexec_b64 s[18:19], s[12:13]
	s_cbranch_execnz .LBB188_58
	s_branch .LBB188_59
.LBB188_519:
	v_lshlrev_b32_e32 v28, 4, v27
	v_sub_u32_e32 v28, v25, v28
	v_lshl_add_u32 v32, v26, 4, v28
	ds_read_b128 v[28:31], v25 offset:16
	ds_read_b128 v[32:35], v32 offset:640
	s_waitcnt lgkmcnt(0)
	v_mul_f64 v[36:37], v[30:31], v[34:35]
	v_mul_f64 v[34:35], v[28:29], v[34:35]
	v_fma_f64 v[28:29], v[28:29], v[32:33], -v[36:37]
	v_fma_f64 v[30:31], v[30:31], v[32:33], v[34:35]
	v_add_f64 v[10:11], v[10:11], v[28:29]
	v_add_f64 v[12:13], v[12:13], v[30:31]
	s_or_b64 exec, exec, s[60:61]
	v_cmp_gt_u32_e64 s[14:15], 48, v22
	s_and_saveexec_b64 s[60:61], s[14:15]
	s_cbranch_execz .LBB188_99
.LBB188_520:
	v_lshlrev_b32_e32 v28, 4, v27
	v_sub_u32_e32 v28, v25, v28
	v_lshl_add_u32 v32, v26, 4, v28
	ds_read_b128 v[28:31], v25 offset:32
	ds_read_b128 v[32:35], v32 offset:1152
	s_waitcnt lgkmcnt(0)
	v_mul_f64 v[36:37], v[30:31], v[34:35]
	v_mul_f64 v[34:35], v[28:29], v[34:35]
	v_fma_f64 v[28:29], v[28:29], v[32:33], -v[36:37]
	v_fma_f64 v[30:31], v[30:31], v[32:33], v[34:35]
	v_add_f64 v[10:11], v[10:11], v[28:29]
	v_add_f64 v[12:13], v[12:13], v[30:31]
	s_or_b64 exec, exec, s[60:61]
	v_cmp_gt_u32_e64 s[14:15], 40, v22
	s_and_saveexec_b64 s[60:61], s[14:15]
	s_cbranch_execz .LBB188_100
.LBB188_521:
	v_lshlrev_b32_e32 v28, 4, v27
	v_sub_u32_e32 v28, v25, v28
	v_lshl_add_u32 v32, v26, 4, v28
	ds_read_b128 v[28:31], v25 offset:48
	ds_read_b128 v[32:35], v32 offset:1664
	s_waitcnt lgkmcnt(0)
	v_mul_f64 v[36:37], v[30:31], v[34:35]
	v_mul_f64 v[34:35], v[28:29], v[34:35]
	v_fma_f64 v[28:29], v[28:29], v[32:33], -v[36:37]
	v_fma_f64 v[30:31], v[30:31], v[32:33], v[34:35]
	v_add_f64 v[10:11], v[10:11], v[28:29]
	v_add_f64 v[12:13], v[12:13], v[30:31]
	s_or_b64 exec, exec, s[60:61]
	v_cmp_gt_u32_e64 s[14:15], 32, v22
	s_and_saveexec_b64 s[60:61], s[14:15]
	s_cbranch_execz .LBB188_101
.LBB188_522:
	ds_read_b128 v[28:31], v25 offset:64
	ds_read_b128 v[32:35], v23 offset:2176
	s_waitcnt lgkmcnt(0)
	v_mul_f64 v[36:37], v[30:31], v[34:35]
	v_mul_f64 v[34:35], v[28:29], v[34:35]
	v_fma_f64 v[28:29], v[28:29], v[32:33], -v[36:37]
	v_fma_f64 v[30:31], v[30:31], v[32:33], v[34:35]
	v_add_f64 v[10:11], v[10:11], v[28:29]
	v_add_f64 v[12:13], v[12:13], v[30:31]
	s_or_b64 exec, exec, s[60:61]
	v_cmp_gt_u32_e64 s[14:15], 24, v22
	s_and_saveexec_b64 s[60:61], s[14:15]
	s_cbranch_execz .LBB188_102
.LBB188_523:
	v_lshlrev_b32_e32 v28, 4, v27
	v_sub_u32_e32 v28, v25, v28
	v_lshl_add_u32 v32, v26, 4, v28
	ds_read_b128 v[28:31], v25 offset:80
	ds_read_b128 v[32:35], v32 offset:2688
	s_waitcnt lgkmcnt(0)
	v_mul_f64 v[36:37], v[30:31], v[34:35]
	v_mul_f64 v[34:35], v[28:29], v[34:35]
	v_fma_f64 v[28:29], v[28:29], v[32:33], -v[36:37]
	v_fma_f64 v[30:31], v[30:31], v[32:33], v[34:35]
	v_add_f64 v[10:11], v[10:11], v[28:29]
	v_add_f64 v[12:13], v[12:13], v[30:31]
	s_or_b64 exec, exec, s[60:61]
	v_cmp_gt_u32_e64 s[14:15], 16, v22
	s_and_saveexec_b64 s[60:61], s[14:15]
	s_cbranch_execz .LBB188_103
.LBB188_524:
	ds_read_b128 v[28:31], v25 offset:96
	ds_read_b128 v[32:35], v23 offset:3200
	s_waitcnt lgkmcnt(0)
	v_mul_f64 v[36:37], v[30:31], v[34:35]
	v_mul_f64 v[34:35], v[28:29], v[34:35]
	v_fma_f64 v[28:29], v[28:29], v[32:33], -v[36:37]
	v_fma_f64 v[30:31], v[30:31], v[32:33], v[34:35]
	v_add_f64 v[10:11], v[10:11], v[28:29]
	v_add_f64 v[12:13], v[12:13], v[30:31]
	s_or_b64 exec, exec, s[60:61]
	v_cmp_gt_u32_e64 s[14:15], 8, v22
	s_and_saveexec_b64 s[60:61], s[14:15]
	s_cbranch_execnz .LBB188_104
	s_branch .LBB188_105
.LBB188_525:
	v_lshlrev_b32_e32 v29, 4, v21
	v_sub_u32_e32 v29, v28, v29
	v_lshl_add_u32 v33, v20, 4, v29
	ds_read_b128 v[29:32], v28 offset:4240
	ds_read_b128 v[33:36], v33 offset:4800
	s_waitcnt lgkmcnt(0)
	v_mul_f64 v[37:38], v[31:32], v[35:36]
	v_mul_f64 v[35:36], v[29:30], v[35:36]
	v_fma_f64 v[29:30], v[29:30], v[33:34], -v[37:38]
	v_fma_f64 v[31:32], v[31:32], v[33:34], v[35:36]
	v_add_f64 v[10:11], v[10:11], v[29:30]
	v_add_f64 v[12:13], v[12:13], v[31:32]
	s_or_b64 exec, exec, s[18:19]
	v_cmp_gt_u32_e64 s[12:13], 8, v22
	s_and_saveexec_b64 s[18:19], s[12:13]
	s_cbranch_execz .LBB188_161
.LBB188_526:
	ds_read_b128 v[28:31], v28 offset:4256
	ds_read_b128 v[32:35], v17 offset:5312
	s_waitcnt lgkmcnt(0)
	v_mul_f64 v[36:37], v[30:31], v[34:35]
	v_mul_f64 v[34:35], v[28:29], v[34:35]
	v_fma_f64 v[28:29], v[28:29], v[32:33], -v[36:37]
	v_fma_f64 v[30:31], v[30:31], v[32:33], v[34:35]
	v_add_f64 v[10:11], v[10:11], v[28:29]
	v_add_f64 v[12:13], v[12:13], v[30:31]
	s_or_b64 exec, exec, s[18:19]
	v_cmp_gt_u32_e64 s[12:13], 4, v22
	s_and_saveexec_b64 s[18:19], s[12:13]
	s_cbranch_execnz .LBB188_162
	s_branch .LBB188_163
.LBB188_527:
	ds_read_b128 v[33:36], v32 offset:176
	ds_read_b128 v[37:40], v28 offset:5888
	s_waitcnt lgkmcnt(0)
	v_mul_f64 v[41:42], v[35:36], v[39:40]
	v_mul_f64 v[39:40], v[33:34], v[39:40]
	v_fma_f64 v[33:34], v[33:34], v[37:38], -v[41:42]
	v_fma_f64 v[35:36], v[35:36], v[37:38], v[39:40]
	v_add_f64 v[10:11], v[10:11], v[33:34]
	v_add_f64 v[12:13], v[12:13], v[35:36]
	s_or_b64 exec, exec, s[92:93]
	v_cmp_gt_u32_e64 s[18:19], 64, v22
	s_and_saveexec_b64 s[92:93], s[18:19]
	s_cbranch_execz .LBB188_223
.LBB188_528:
	ds_read_b128 v[33:36], v32 offset:192
	ds_read_b128 v[37:40], v28 offset:6400
	s_waitcnt lgkmcnt(0)
	v_mul_f64 v[41:42], v[35:36], v[39:40]
	v_mul_f64 v[39:40], v[33:34], v[39:40]
	v_fma_f64 v[33:34], v[33:34], v[37:38], -v[41:42]
	v_fma_f64 v[35:36], v[35:36], v[37:38], v[39:40]
	v_add_f64 v[10:11], v[10:11], v[33:34]
	v_add_f64 v[12:13], v[12:13], v[35:36]
	s_or_b64 exec, exec, s[92:93]
	v_cmp_gt_u32_e64 s[18:19], 48, v22
	s_and_saveexec_b64 s[92:93], s[18:19]
	s_cbranch_execz .LBB188_224
.LBB188_529:
	ds_read_b128 v[33:36], v32 offset:208
	ds_read_b128 v[37:40], v28 offset:6912
	s_waitcnt lgkmcnt(0)
	v_mul_f64 v[41:42], v[35:36], v[39:40]
	v_mul_f64 v[39:40], v[33:34], v[39:40]
	v_fma_f64 v[33:34], v[33:34], v[37:38], -v[41:42]
	v_fma_f64 v[35:36], v[35:36], v[37:38], v[39:40]
	v_add_f64 v[10:11], v[10:11], v[33:34]
	v_add_f64 v[12:13], v[12:13], v[35:36]
	s_or_b64 exec, exec, s[92:93]
	v_cmp_gt_u32_e64 s[18:19], 32, v22
	s_and_saveexec_b64 s[92:93], s[18:19]
	s_cbranch_execz .LBB188_225
.LBB188_530:
	ds_read_b128 v[32:35], v32 offset:224
	ds_read_b128 v[36:39], v28 offset:7424
	s_waitcnt lgkmcnt(0)
	v_mul_f64 v[40:41], v[34:35], v[38:39]
	v_mul_f64 v[38:39], v[32:33], v[38:39]
	v_fma_f64 v[32:33], v[32:33], v[36:37], -v[40:41]
	v_fma_f64 v[34:35], v[34:35], v[36:37], v[38:39]
	v_add_f64 v[10:11], v[10:11], v[32:33]
	v_add_f64 v[12:13], v[12:13], v[34:35]
	s_or_b64 exec, exec, s[92:93]
	v_cmp_gt_u32_e64 s[18:19], 16, v22
	s_and_saveexec_b64 s[92:93], s[18:19]
	s_cbranch_execnz .LBB188_226
	s_branch .LBB188_227
.LBB188_531:
	v_lshlrev_b32_e32 v29, 4, v21
	v_sub_u32_e32 v29, v28, v29
	v_lshl_add_u32 v33, v20, 4, v29
	ds_read_b128 v[29:32], v28 offset:8464
	ds_read_b128 v[33:36], v33 offset:9024
	s_waitcnt lgkmcnt(0)
	v_mul_f64 v[37:38], v[31:32], v[35:36]
	v_mul_f64 v[35:36], v[29:30], v[35:36]
	v_fma_f64 v[29:30], v[29:30], v[33:34], -v[37:38]
	v_fma_f64 v[31:32], v[31:32], v[33:34], v[35:36]
	v_add_f64 v[10:11], v[10:11], v[29:30]
	v_add_f64 v[12:13], v[12:13], v[31:32]
	s_or_b64 exec, exec, s[14:15]
	v_cmp_gt_u32_e64 s[10:11], 8, v22
	s_and_saveexec_b64 s[14:15], s[10:11]
	s_cbranch_execz .LBB188_315
.LBB188_532:
	ds_read_b128 v[28:31], v28 offset:8480
	ds_read_b128 v[32:35], v17 offset:9536
	s_waitcnt lgkmcnt(0)
	v_mul_f64 v[36:37], v[30:31], v[34:35]
	v_mul_f64 v[34:35], v[28:29], v[34:35]
	v_fma_f64 v[28:29], v[28:29], v[32:33], -v[36:37]
	v_fma_f64 v[30:31], v[30:31], v[32:33], v[34:35]
	v_add_f64 v[10:11], v[10:11], v[28:29]
	v_add_f64 v[12:13], v[12:13], v[30:31]
	s_or_b64 exec, exec, s[14:15]
	v_cmp_gt_u32_e64 s[10:11], 4, v22
	s_and_saveexec_b64 s[14:15], s[10:11]
	s_cbranch_execnz .LBB188_316
	s_branch .LBB188_317
.LBB188_533:
	v_lshlrev_b32_e32 v29, 4, v27
	v_sub_u32_e32 v29, v28, v29
	v_lshl_add_u32 v33, v26, 4, v29
	ds_read_b128 v[29:32], v28 offset:8464
	ds_read_b128 v[33:36], v33 offset:9088
	s_waitcnt lgkmcnt(0)
	v_mul_f64 v[37:38], v[31:32], v[35:36]
	v_mul_f64 v[35:36], v[29:30], v[35:36]
	v_fma_f64 v[29:30], v[29:30], v[33:34], -v[37:38]
	v_fma_f64 v[31:32], v[31:32], v[33:34], v[35:36]
	v_add_f64 v[10:11], v[10:11], v[29:30]
	v_add_f64 v[12:13], v[12:13], v[31:32]
	s_or_b64 exec, exec, s[14:15]
	v_cmp_gt_u32_e64 s[10:11], 48, v22
	s_and_saveexec_b64 s[14:15], s[10:11]
	s_cbranch_execz .LBB188_357
.LBB188_534:
	v_lshlrev_b32_e32 v29, 4, v27
	v_sub_u32_e32 v29, v28, v29
	v_lshl_add_u32 v33, v26, 4, v29
	ds_read_b128 v[29:32], v28 offset:8480
	ds_read_b128 v[33:36], v33 offset:9600
	s_waitcnt lgkmcnt(0)
	v_mul_f64 v[37:38], v[31:32], v[35:36]
	v_mul_f64 v[35:36], v[29:30], v[35:36]
	v_fma_f64 v[29:30], v[29:30], v[33:34], -v[37:38]
	v_fma_f64 v[31:32], v[31:32], v[33:34], v[35:36]
	v_add_f64 v[10:11], v[10:11], v[29:30]
	v_add_f64 v[12:13], v[12:13], v[31:32]
	s_or_b64 exec, exec, s[14:15]
	v_cmp_gt_u32_e64 s[10:11], 40, v22
	s_and_saveexec_b64 s[14:15], s[10:11]
	s_cbranch_execz .LBB188_358
.LBB188_535:
	v_lshlrev_b32_e32 v29, 4, v27
	v_sub_u32_e32 v29, v28, v29
	v_lshl_add_u32 v33, v26, 4, v29
	ds_read_b128 v[29:32], v28 offset:8496
	ds_read_b128 v[33:36], v33 offset:10112
	s_waitcnt lgkmcnt(0)
	v_mul_f64 v[37:38], v[31:32], v[35:36]
	v_mul_f64 v[35:36], v[29:30], v[35:36]
	v_fma_f64 v[29:30], v[29:30], v[33:34], -v[37:38]
	v_fma_f64 v[31:32], v[31:32], v[33:34], v[35:36]
	v_add_f64 v[10:11], v[10:11], v[29:30]
	v_add_f64 v[12:13], v[12:13], v[31:32]
	s_or_b64 exec, exec, s[14:15]
	v_cmp_gt_u32_e64 s[10:11], 32, v22
	s_and_saveexec_b64 s[14:15], s[10:11]
	s_cbranch_execz .LBB188_359
.LBB188_536:
	ds_read_b128 v[29:32], v28 offset:8512
	ds_read_b128 v[33:36], v23 offset:10624
	s_waitcnt lgkmcnt(0)
	v_mul_f64 v[37:38], v[31:32], v[35:36]
	v_mul_f64 v[35:36], v[29:30], v[35:36]
	v_fma_f64 v[29:30], v[29:30], v[33:34], -v[37:38]
	v_fma_f64 v[31:32], v[31:32], v[33:34], v[35:36]
	v_add_f64 v[10:11], v[10:11], v[29:30]
	v_add_f64 v[12:13], v[12:13], v[31:32]
	s_or_b64 exec, exec, s[14:15]
	v_cmp_gt_u32_e64 s[10:11], 24, v22
	s_and_saveexec_b64 s[14:15], s[10:11]
	s_cbranch_execz .LBB188_360
.LBB188_537:
	v_lshlrev_b32_e32 v27, 4, v27
	v_sub_u32_e32 v27, v28, v27
	v_lshl_add_u32 v26, v26, 4, v27
	ds_read_b128 v[29:32], v28 offset:8528
	ds_read_b128 v[33:36], v26 offset:11136
	s_waitcnt lgkmcnt(0)
	v_mul_f64 v[26:27], v[31:32], v[35:36]
	v_mul_f64 v[35:36], v[29:30], v[35:36]
	v_fma_f64 v[26:27], v[29:30], v[33:34], -v[26:27]
	v_fma_f64 v[29:30], v[31:32], v[33:34], v[35:36]
	v_add_f64 v[10:11], v[10:11], v[26:27]
	v_add_f64 v[12:13], v[12:13], v[29:30]
	s_or_b64 exec, exec, s[14:15]
	v_cmp_gt_u32_e64 s[10:11], 16, v22
	s_and_saveexec_b64 s[14:15], s[10:11]
	s_cbranch_execz .LBB188_361
.LBB188_538:
	ds_read_b128 v[26:29], v28 offset:8544
	ds_read_b128 v[30:33], v23 offset:11648
	s_waitcnt lgkmcnt(0)
	v_mul_f64 v[34:35], v[28:29], v[32:33]
	v_mul_f64 v[32:33], v[26:27], v[32:33]
	v_fma_f64 v[26:27], v[26:27], v[30:31], -v[34:35]
	v_fma_f64 v[28:29], v[28:29], v[30:31], v[32:33]
	v_add_f64 v[10:11], v[10:11], v[26:27]
	v_add_f64 v[12:13], v[12:13], v[28:29]
	s_or_b64 exec, exec, s[14:15]
	v_cmp_gt_u32_e64 s[10:11], 8, v22
	s_and_saveexec_b64 s[14:15], s[10:11]
	s_cbranch_execnz .LBB188_362
	s_branch .LBB188_363
.LBB188_539:
	v_lshlrev_b32_e32 v21, 4, v21
	v_sub_u32_e32 v21, v23, v21
	v_lshl_add_u32 v20, v20, 4, v21
	ds_read_b128 v[24:27], v23 offset:12688
	ds_read_b128 v[28:31], v20 offset:13248
	s_waitcnt lgkmcnt(0)
	v_mul_f64 v[20:21], v[26:27], v[30:31]
	v_mul_f64 v[30:31], v[24:25], v[30:31]
	v_fma_f64 v[20:21], v[24:25], v[28:29], -v[20:21]
	v_fma_f64 v[24:25], v[26:27], v[28:29], v[30:31]
	v_add_f64 v[10:11], v[10:11], v[20:21]
	v_add_f64 v[12:13], v[12:13], v[24:25]
	s_or_b64 exec, exec, s[12:13]
	v_cmp_gt_u32_e64 s[8:9], 8, v22
	s_and_saveexec_b64 s[12:13], s[8:9]
	s_cbranch_execz .LBB188_419
.LBB188_540:
	ds_read_b128 v[23:26], v23 offset:12704
	ds_read_b128 v[27:30], v17 offset:13760
	s_waitcnt lgkmcnt(0)
	v_mul_f64 v[20:21], v[25:26], v[29:30]
	v_mul_f64 v[29:30], v[23:24], v[29:30]
	v_fma_f64 v[20:21], v[23:24], v[27:28], -v[20:21]
	v_fma_f64 v[23:24], v[25:26], v[27:28], v[29:30]
	v_add_f64 v[10:11], v[10:11], v[20:21]
	v_add_f64 v[12:13], v[12:13], v[23:24]
	s_or_b64 exec, exec, s[12:13]
	v_cmp_gt_u32_e64 s[8:9], 4, v22
	s_and_saveexec_b64 s[12:13], s[8:9]
	s_cbranch_execnz .LBB188_420
	s_branch .LBB188_421
	.section	.rodata,"a",@progbits
	.p2align	6, 0x0
	.amdhsa_kernel _ZL19rocblas_trsv_deviceILi32ELi16ELb1ELb1ELb0ELb1E19rocblas_complex_numIdES1_PKPKS1_PKPS1_EviT7_lllT6_T8_lllPii
		.amdhsa_group_segment_fixed_size 25104
		.amdhsa_private_segment_fixed_size 0
		.amdhsa_kernarg_size 360
		.amdhsa_user_sgpr_count 6
		.amdhsa_user_sgpr_private_segment_buffer 1
		.amdhsa_user_sgpr_dispatch_ptr 0
		.amdhsa_user_sgpr_queue_ptr 0
		.amdhsa_user_sgpr_kernarg_segment_ptr 1
		.amdhsa_user_sgpr_dispatch_id 0
		.amdhsa_user_sgpr_flat_scratch_init 0
		.amdhsa_user_sgpr_private_segment_size 0
		.amdhsa_uses_dynamic_stack 0
		.amdhsa_system_sgpr_private_segment_wavefront_offset 0
		.amdhsa_system_sgpr_workgroup_id_x 1
		.amdhsa_system_sgpr_workgroup_id_y 0
		.amdhsa_system_sgpr_workgroup_id_z 1
		.amdhsa_system_sgpr_workgroup_info 0
		.amdhsa_system_vgpr_workitem_id 1
		.amdhsa_next_free_vgpr 49
		.amdhsa_next_free_sgpr 98
		.amdhsa_reserve_vcc 1
		.amdhsa_reserve_flat_scratch 0
		.amdhsa_float_round_mode_32 0
		.amdhsa_float_round_mode_16_64 0
		.amdhsa_float_denorm_mode_32 3
		.amdhsa_float_denorm_mode_16_64 3
		.amdhsa_dx10_clamp 1
		.amdhsa_ieee_mode 1
		.amdhsa_fp16_overflow 0
		.amdhsa_exception_fp_ieee_invalid_op 0
		.amdhsa_exception_fp_denorm_src 0
		.amdhsa_exception_fp_ieee_div_zero 0
		.amdhsa_exception_fp_ieee_overflow 0
		.amdhsa_exception_fp_ieee_underflow 0
		.amdhsa_exception_fp_ieee_inexact 0
		.amdhsa_exception_int_div_zero 0
	.end_amdhsa_kernel
	.section	.text._ZL19rocblas_trsv_deviceILi32ELi16ELb1ELb1ELb0ELb1E19rocblas_complex_numIdES1_PKPKS1_PKPS1_EviT7_lllT6_T8_lllPii,"axG",@progbits,_ZL19rocblas_trsv_deviceILi32ELi16ELb1ELb1ELb0ELb1E19rocblas_complex_numIdES1_PKPKS1_PKPS1_EviT7_lllT6_T8_lllPii,comdat
.Lfunc_end188:
	.size	_ZL19rocblas_trsv_deviceILi32ELi16ELb1ELb1ELb0ELb1E19rocblas_complex_numIdES1_PKPKS1_PKPS1_EviT7_lllT6_T8_lllPii, .Lfunc_end188-_ZL19rocblas_trsv_deviceILi32ELi16ELb1ELb1ELb0ELb1E19rocblas_complex_numIdES1_PKPKS1_PKPS1_EviT7_lllT6_T8_lllPii
                                        ; -- End function
	.set _ZL19rocblas_trsv_deviceILi32ELi16ELb1ELb1ELb0ELb1E19rocblas_complex_numIdES1_PKPKS1_PKPS1_EviT7_lllT6_T8_lllPii.num_vgpr, 44
	.set _ZL19rocblas_trsv_deviceILi32ELi16ELb1ELb1ELb0ELb1E19rocblas_complex_numIdES1_PKPKS1_PKPS1_EviT7_lllT6_T8_lllPii.num_agpr, 0
	.set _ZL19rocblas_trsv_deviceILi32ELi16ELb1ELb1ELb0ELb1E19rocblas_complex_numIdES1_PKPKS1_PKPS1_EviT7_lllT6_T8_lllPii.numbered_sgpr, 96
	.set _ZL19rocblas_trsv_deviceILi32ELi16ELb1ELb1ELb0ELb1E19rocblas_complex_numIdES1_PKPKS1_PKPS1_EviT7_lllT6_T8_lllPii.num_named_barrier, 0
	.set _ZL19rocblas_trsv_deviceILi32ELi16ELb1ELb1ELb0ELb1E19rocblas_complex_numIdES1_PKPKS1_PKPS1_EviT7_lllT6_T8_lllPii.private_seg_size, 0
	.set _ZL19rocblas_trsv_deviceILi32ELi16ELb1ELb1ELb0ELb1E19rocblas_complex_numIdES1_PKPKS1_PKPS1_EviT7_lllT6_T8_lllPii.uses_vcc, 1
	.set _ZL19rocblas_trsv_deviceILi32ELi16ELb1ELb1ELb0ELb1E19rocblas_complex_numIdES1_PKPKS1_PKPS1_EviT7_lllT6_T8_lllPii.uses_flat_scratch, 0
	.set _ZL19rocblas_trsv_deviceILi32ELi16ELb1ELb1ELb0ELb1E19rocblas_complex_numIdES1_PKPKS1_PKPS1_EviT7_lllT6_T8_lllPii.has_dyn_sized_stack, 0
	.set _ZL19rocblas_trsv_deviceILi32ELi16ELb1ELb1ELb0ELb1E19rocblas_complex_numIdES1_PKPKS1_PKPS1_EviT7_lllT6_T8_lllPii.has_recursion, 0
	.set _ZL19rocblas_trsv_deviceILi32ELi16ELb1ELb1ELb0ELb1E19rocblas_complex_numIdES1_PKPKS1_PKPS1_EviT7_lllT6_T8_lllPii.has_indirect_call, 0
	.section	.AMDGPU.csdata,"",@progbits
; Kernel info:
; codeLenInByte = 21920
; TotalNumSgprs: 100
; NumVgprs: 44
; ScratchSize: 0
; MemoryBound: 1
; FloatMode: 240
; IeeeMode: 1
; LDSByteSize: 25104 bytes/workgroup (compile time only)
; SGPRBlocks: 12
; VGPRBlocks: 12
; NumSGPRsForWavesPerEU: 102
; NumVGPRsForWavesPerEU: 49
; Occupancy: 4
; WaveLimiterHint : 1
; COMPUTE_PGM_RSRC2:SCRATCH_EN: 0
; COMPUTE_PGM_RSRC2:USER_SGPR: 6
; COMPUTE_PGM_RSRC2:TRAP_HANDLER: 0
; COMPUTE_PGM_RSRC2:TGID_X_EN: 1
; COMPUTE_PGM_RSRC2:TGID_Y_EN: 0
; COMPUTE_PGM_RSRC2:TGID_Z_EN: 1
; COMPUTE_PGM_RSRC2:TIDIG_COMP_CNT: 1
	.section	.text._ZL19rocblas_trsv_deviceILi32ELi16ELb1ELb1ELb1ELb1E19rocblas_complex_numIdES1_PKPKS1_PKPS1_EviT7_lllT6_T8_lllPii,"axG",@progbits,_ZL19rocblas_trsv_deviceILi32ELi16ELb1ELb1ELb1ELb1E19rocblas_complex_numIdES1_PKPKS1_PKPS1_EviT7_lllT6_T8_lllPii,comdat
	.globl	_ZL19rocblas_trsv_deviceILi32ELi16ELb1ELb1ELb1ELb1E19rocblas_complex_numIdES1_PKPKS1_PKPS1_EviT7_lllT6_T8_lllPii ; -- Begin function _ZL19rocblas_trsv_deviceILi32ELi16ELb1ELb1ELb1ELb1E19rocblas_complex_numIdES1_PKPKS1_PKPS1_EviT7_lllT6_T8_lllPii
	.p2align	8
	.type	_ZL19rocblas_trsv_deviceILi32ELi16ELb1ELb1ELb1ELb1E19rocblas_complex_numIdES1_PKPKS1_PKPS1_EviT7_lllT6_T8_lllPii,@function
_ZL19rocblas_trsv_deviceILi32ELi16ELb1ELb1ELb1ELb1E19rocblas_complex_numIdES1_PKPKS1_PKPS1_EviT7_lllT6_T8_lllPii: ; @_ZL19rocblas_trsv_deviceILi32ELi16ELb1ELb1ELb1ELb1E19rocblas_complex_numIdES1_PKPKS1_PKPS1_EviT7_lllT6_T8_lllPii
; %bb.0:
	s_load_dwordx4 s[0:3], s[4:5], 0x8
	s_mov_b32 s28, s7
	s_mov_b32 s29, 0
	s_lshl_b64 s[8:9], s[28:29], 3
	s_waitcnt lgkmcnt(0)
	s_add_u32 s0, s0, s8
	s_addc_u32 s1, s1, s9
	s_load_dwordx2 s[10:11], s[0:1], 0x0
	s_load_dword s30, s[4:5], 0x0
	s_load_dwordx8 s[20:27], s[4:5], 0x28
	s_load_dwordx2 s[36:37], s[4:5], 0x18
	s_lshl_b64 s[0:1], s[2:3], 4
	s_waitcnt lgkmcnt(0)
	s_add_u32 s95, s10, s0
	s_addc_u32 s62, s11, s1
	s_add_u32 s0, s24, s8
	s_load_dword s7, s[4:5], 0x68
	s_addc_u32 s1, s25, s9
	s_load_dwordx2 s[38:39], s[0:1], 0x0
	s_load_dwordx2 s[24:25], s[4:5], 0x48
	s_load_dword s63, s[4:5], 0x74
	s_waitcnt lgkmcnt(0)
	s_add_i32 s7, s7, -1
	s_sub_i32 s33, s7, s6
	s_cmp_eq_u32 s6, 0
	s_cbranch_scc1 .LBB189_6
; %bb.1:
	s_lshl_b32 s2, s33, 5
	v_add_u32_e32 v6, s2, v0
	v_ashrrev_i32_e32 v2, 31, v6
	v_mul_lo_u32 v7, s36, v2
	v_mul_lo_u32 v8, s37, v6
	v_mad_u64_u32 v[4:5], s[0:1], s36, v6, 0
	v_add3_u32 v2, v1, s2, 32
	v_ashrrev_i32_e32 v3, 31, v2
	v_add3_u32 v5, v5, v7, v8
	v_lshlrev_b64 v[4:5], 4, v[4:5]
	v_cmp_gt_i32_e32 vcc, s30, v6
	v_mov_b32_e32 v6, s62
	v_add_co_u32_e64 v7, s[0:1], s95, v4
	v_lshlrev_b64 v[3:4], 4, v[2:3]
	v_addc_co_u32_e64 v5, s[0:1], v6, v5, s[0:1]
	v_add_co_u32_e64 v10, s[0:1], v7, v3
	v_addc_co_u32_e64 v11, s[0:1], v5, v4, s[0:1]
	v_cmp_gt_i32_e64 s[0:1], s30, v2
	v_mov_b32_e32 v4, 0
	v_mov_b32_e32 v6, 0
	v_mov_b32_e32 v8, 0
	v_mov_b32_e32 v5, 0
	v_mov_b32_e32 v7, 0
	v_mov_b32_e32 v9, 0
	s_and_b64 s[2:3], s[0:1], vcc
	s_barrier
	s_and_saveexec_b64 s[0:1], s[2:3]
	s_cbranch_execz .LBB189_3
; %bb.2:
	flat_load_dwordx4 v[6:9], v[10:11]
.LBB189_3:
	s_or_b64 exec, exec, s[0:1]
	v_add_u32_e32 v2, 16, v2
	v_cmp_gt_i32_e64 s[0:1], s30, v2
	v_mov_b32_e32 v2, 0
	v_mov_b32_e32 v3, 0
	s_and_b64 s[2:3], s[0:1], vcc
	s_waitcnt vmcnt(0) lgkmcnt(0)
	s_barrier
	s_and_saveexec_b64 s[0:1], s[2:3]
	s_cbranch_execz .LBB189_5
; %bb.4:
	flat_load_dwordx4 v[2:5], v[10:11] offset:256
.LBB189_5:
	s_or_b64 exec, exec, s[0:1]
	s_branch .LBB189_7
.LBB189_6:
                                        ; implicit-def: $vgpr4_vgpr5
                                        ; implicit-def: $vgpr8_vgpr9
.LBB189_7:
	s_ashr_i32 s31, s30, 31
	s_lshr_b32 s0, s31, 27
	s_add_i32 s0, s30, s0
	s_andn2_b32 s0, s0, 31
	s_sub_i32 s94, s30, s0
	s_add_i32 s0, s30, -1
	s_ashr_i32 s1, s0, 31
	s_lshr_b32 s1, s1, 27
	s_add_i32 s0, s0, s1
	s_ashr_i32 s0, s0, 5
	s_cmp_eq_u32 s0, s33
	s_cselect_b64 s[0:1], -1, 0
	s_cmp_lg_u32 s94, 0
	s_cselect_b64 s[2:3], -1, 0
	s_and_b64 s[34:35], s[2:3], s[0:1]
	s_cmp_lt_i32 s6, 5
	s_cselect_b64 s[2:3], -1, 0
	v_lshlrev_b32_e32 v10, 5, v0
	s_mov_b64 s[12:13], -1
	s_or_b64 s[0:1], s[2:3], s[34:35]
	s_and_b64 vcc, exec, s[34:35]
	v_add_u32_e32 v11, v1, v10
	v_cmp_le_u32_e64 s[8:9], v0, v1
	v_lshl_add_u32 v22, v1, 5, v0
	s_cbranch_vccnz .LBB189_21
; %bb.8:
	s_add_u32 s10, s36, 1
	s_addc_u32 s11, s37, 0
	s_lshl_b32 s12, s33, 5
	s_ashr_i32 s13, s12, 31
	s_mul_hi_u32 s14, s10, s12
	s_mul_i32 s13, s10, s13
	s_add_i32 s13, s14, s13
	s_mul_i32 s11, s11, s12
	s_add_i32 s11, s13, s11
	s_mul_i32 s10, s10, s12
	s_lshl_b64 s[10:11], s[10:11], 4
	s_add_u32 s10, s95, s10
	s_addc_u32 s11, s62, s11
	v_lshlrev_b32_e32 v12, 4, v0
	v_mov_b32_e32 v13, s11
	v_add_co_u32_e32 v12, vcc, s10, v12
	v_addc_co_u32_e32 v13, vcc, 0, v13, vcc
	v_cndmask_b32_e64 v14, v22, v11, s[2:3]
	s_and_saveexec_b64 s[2:3], s[8:9]
	s_xor_b64 s[2:3], exec, s[2:3]
	s_cbranch_execz .LBB189_12
; %bb.9:
	v_or_b32_e32 v15, v1, v0
	v_cmp_gt_u32_e32 vcc, 32, v15
	s_and_saveexec_b64 s[8:9], vcc
	s_cbranch_execz .LBB189_11
; %bb.10:
	v_lshlrev_b32_e32 v18, 4, v14
	v_mov_b32_e32 v14, 0
	v_mov_b32_e32 v15, v14
	;; [unrolled: 1-line block ×4, first 2 shown]
	ds_write_b128 v18, v[14:17]
.LBB189_11:
	s_or_b64 exec, exec, s[8:9]
                                        ; implicit-def: $vgpr14
.LBB189_12:
	s_andn2_saveexec_b64 s[2:3], s[2:3]
	s_cbranch_execz .LBB189_14
; %bb.13:
	v_mad_u64_u32 v[15:16], s[8:9], s36, v1, 0
	v_lshlrev_b32_e32 v14, 4, v14
	v_mad_u64_u32 v[16:17], s[8:9], s37, v1, v[16:17]
	v_lshlrev_b64 v[15:16], 4, v[15:16]
	v_add_co_u32_e32 v15, vcc, v12, v15
	v_addc_co_u32_e32 v16, vcc, v13, v16, vcc
	flat_load_dwordx4 v[15:18], v[15:16]
	s_waitcnt vmcnt(0) lgkmcnt(0)
	v_xor_b32_e32 v16, 0x80000000, v16
	ds_write_b128 v14, v[15:18]
.LBB189_14:
	s_or_b64 exec, exec, s[2:3]
	v_add_u32_e32 v15, 16, v1
	v_add_u32_e32 v14, v15, v10
	v_lshl_add_u32 v16, v15, 5, v0
	v_cndmask_b32_e64 v14, v16, v14, s[0:1]
	v_cmp_le_u32_e32 vcc, v0, v15
	s_and_saveexec_b64 s[2:3], vcc
	s_xor_b64 s[2:3], exec, s[2:3]
	s_cbranch_execz .LBB189_18
; %bb.15:
	v_or_b32_e32 v12, v15, v0
	v_cmp_gt_u32_e32 vcc, 32, v12
	s_and_saveexec_b64 s[8:9], vcc
	s_cbranch_execz .LBB189_17
; %bb.16:
	v_mov_b32_e32 v12, 0
	v_lshlrev_b32_e32 v16, 4, v14
	v_mov_b32_e32 v13, v12
	v_mov_b32_e32 v14, v12
	;; [unrolled: 1-line block ×3, first 2 shown]
	ds_write_b128 v16, v[12:15]
.LBB189_17:
	s_or_b64 exec, exec, s[8:9]
                                        ; implicit-def: $vgpr15
                                        ; implicit-def: $vgpr12
                                        ; implicit-def: $vgpr13
                                        ; implicit-def: $vgpr14
.LBB189_18:
	s_andn2_saveexec_b64 s[2:3], s[2:3]
	s_cbranch_execz .LBB189_20
; %bb.19:
	v_mad_u64_u32 v[16:17], s[8:9], s36, v15, 0
	v_mad_u64_u32 v[17:18], s[8:9], s37, v15, v[17:18]
	v_lshlrev_b64 v[15:16], 4, v[16:17]
	v_add_co_u32_e32 v12, vcc, v12, v15
	v_addc_co_u32_e32 v13, vcc, v13, v16, vcc
	flat_load_dwordx4 v[15:18], v[12:13]
	v_lshlrev_b32_e32 v12, 4, v14
	s_waitcnt vmcnt(0) lgkmcnt(0)
	v_xor_b32_e32 v16, 0x80000000, v16
	ds_write_b128 v12, v[15:18]
.LBB189_20:
	s_or_b64 exec, exec, s[2:3]
	s_mov_b64 s[12:13], 0
.LBB189_21:
	s_xor_b64 s[10:11], s[0:1], -1
	s_and_b64 vcc, exec, s[12:13]
	s_cbranch_vccz .LBB189_35
; %bb.22:
	s_add_u32 s2, s36, 1
	s_addc_u32 s3, s37, 0
	s_lshl_b32 s8, s33, 5
	s_ashr_i32 s9, s8, 31
	s_mul_hi_u32 s12, s2, s8
	s_mul_i32 s9, s2, s9
	s_add_i32 s9, s12, s9
	s_mul_i32 s3, s3, s8
	s_add_i32 s3, s9, s3
	s_mul_i32 s2, s2, s8
	s_lshl_b64 s[2:3], s[2:3], 4
	s_add_u32 s2, s95, s2
	s_addc_u32 s3, s62, s3
	v_lshlrev_b32_e32 v12, 4, v0
	v_mov_b32_e32 v13, s3
	v_add_co_u32_e64 v12, s[2:3], s2, v12
	v_addc_co_u32_e64 v13, s[2:3], 0, v13, s[2:3]
	v_max_i32_e32 v14, v1, v0
	v_cmp_le_u32_e64 s[2:3], v0, v1
	v_cmp_le_i32_e64 s[8:9], s94, v14
	v_cmp_gt_i32_e32 vcc, s94, v0
	s_or_b64 s[2:3], s[8:9], s[2:3]
	s_and_saveexec_b64 s[8:9], s[2:3]
	s_xor_b64 s[8:9], exec, s[8:9]
	s_cbranch_execz .LBB189_26
; %bb.23:
	v_or_b32_e32 v14, v1, v0
	v_cmp_gt_u32_e64 s[2:3], 32, v14
	s_and_saveexec_b64 s[12:13], s[2:3]
	s_cbranch_execz .LBB189_25
; %bb.24:
	v_mov_b32_e32 v14, 0
	v_lshlrev_b32_e32 v11, 4, v11
	v_mov_b32_e32 v15, v14
	v_mov_b32_e32 v16, v14
	v_mov_b32_e32 v17, v14
	ds_write_b128 v11, v[14:17]
.LBB189_25:
	s_or_b64 exec, exec, s[12:13]
                                        ; implicit-def: $vgpr11
.LBB189_26:
	s_andn2_saveexec_b64 s[8:9], s[8:9]
	s_cbranch_execz .LBB189_28
; %bb.27:
	v_mad_u64_u32 v[14:15], s[2:3], s36, v1, 0
	v_lshlrev_b32_e32 v11, 4, v11
	v_mad_u64_u32 v[15:16], s[2:3], s37, v1, v[15:16]
	v_lshlrev_b64 v[14:15], 4, v[14:15]
	v_add_co_u32_e64 v14, s[2:3], v12, v14
	v_addc_co_u32_e64 v15, s[2:3], v13, v15, s[2:3]
	flat_load_dwordx4 v[14:17], v[14:15]
	s_waitcnt vmcnt(0) lgkmcnt(0)
	v_xor_b32_e32 v15, 0x80000000, v15
	ds_write_b128 v11, v[14:17]
.LBB189_28:
	s_or_b64 exec, exec, s[8:9]
	v_add_u32_e32 v11, 16, v1
	v_add_u32_e32 v10, v11, v10
	v_lshl_add_u32 v14, v11, 5, v0
	v_cndmask_b32_e64 v10, v14, v10, s[0:1]
	v_cmp_gt_u32_e64 s[0:1], v0, v11
	v_cmp_gt_i32_e64 s[2:3], s94, v11
	s_and_b64 s[0:1], s[0:1], s[2:3]
	s_and_b64 s[0:1], s[0:1], vcc
	s_xor_b64 s[0:1], s[0:1], -1
	s_and_saveexec_b64 s[2:3], s[0:1]
	s_xor_b64 s[0:1], exec, s[2:3]
	s_cbranch_execz .LBB189_32
; %bb.29:
	v_or_b32_e32 v11, v11, v0
	v_cmp_gt_u32_e32 vcc, 32, v11
	s_and_saveexec_b64 s[2:3], vcc
	s_cbranch_execz .LBB189_31
; %bb.30:
	v_lshlrev_b32_e32 v14, 4, v10
	v_mov_b32_e32 v10, 0
	v_mov_b32_e32 v11, v10
	;; [unrolled: 1-line block ×4, first 2 shown]
	ds_write_b128 v14, v[10:13]
.LBB189_31:
	s_or_b64 exec, exec, s[2:3]
                                        ; implicit-def: $vgpr11
                                        ; implicit-def: $vgpr12
                                        ; implicit-def: $vgpr13
                                        ; implicit-def: $vgpr10
.LBB189_32:
	s_andn2_saveexec_b64 s[0:1], s[0:1]
	s_cbranch_execz .LBB189_34
; %bb.33:
	v_mad_u64_u32 v[14:15], s[2:3], s36, v11, 0
	v_lshlrev_b32_e32 v10, 4, v10
	v_mad_u64_u32 v[15:16], s[2:3], s37, v11, v[15:16]
	v_lshlrev_b64 v[14:15], 4, v[14:15]
	v_add_co_u32_e32 v11, vcc, v12, v14
	v_addc_co_u32_e32 v12, vcc, v13, v15, vcc
	flat_load_dwordx4 v[11:14], v[11:12]
	s_waitcnt vmcnt(0) lgkmcnt(0)
	v_xor_b32_e32 v12, 0x80000000, v12
	ds_write_b128 v10, v[11:14]
.LBB189_34:
	s_or_b64 exec, exec, s[0:1]
.LBB189_35:
	v_cndmask_b32_e64 v10, 0, 1, s[10:11]
	v_cmp_ne_u32_e64 s[42:43], 1, v10
	s_andn2_b64 vcc, exec, s[10:11]
	s_waitcnt vmcnt(0) lgkmcnt(0)
	s_barrier
	s_cbranch_vccnz .LBB189_459
; %bb.36:
	v_or_b32_e32 v10, v0, v1
	s_mov_b32 s8, 0
	v_cmp_eq_u32_e32 vcc, 0, v10
	s_and_saveexec_b64 s[2:3], vcc
	s_cbranch_execz .LBB189_38
; %bb.37:
	v_mov_b32_e32 v18, 0
	ds_read_b128 v[10:13], v18 offset:16
	s_mov_b32 s11, s8
	s_mov_b32 s9, 0x3ff00000
	s_mov_b32 s10, s8
	v_mov_b32_e32 v17, s11
	v_mov_b32_e32 v16, s10
	;; [unrolled: 1-line block ×4, first 2 shown]
	ds_write_b128 v18, v[14:17]
	ds_write_b128 v18, v[14:17] offset:528
	s_waitcnt lgkmcnt(2)
	ds_write_b128 v18, v[10:13] offset:512
.LBB189_38:
	s_or_b64 exec, exec, s[2:3]
	v_and_b32_e32 v17, 1, v0
	v_lshrrev_b32_e32 v16, 1, v22
	v_lshlrev_b32_e32 v14, 4, v17
	v_mov_b32_e32 v12, 0
	v_mov_b32_e32 v10, 0
	v_cmp_lt_u32_e64 s[8:9], 3, v22
	v_cmp_gt_u32_e64 s[2:3], 4, v22
	v_mov_b32_e32 v13, 0
	v_mov_b32_e32 v11, 0
	v_lshl_or_b32 v14, v16, 9, v14
	s_waitcnt lgkmcnt(0)
	s_barrier
	s_and_saveexec_b64 s[12:13], s[2:3]
	s_cbranch_execz .LBB189_42
; %bb.39:
	v_mul_u32_u24_e32 v10, 0x210, v16
	ds_read_b128 v[10:13], v10
	ds_read_b128 v[18:21], v14 offset:32
	v_cmp_gt_u32_e64 s[10:11], 2, v22
	s_waitcnt lgkmcnt(0)
	v_mul_f64 v[23:24], v[12:13], v[20:21]
	v_mul_f64 v[20:21], v[10:11], v[20:21]
	v_fma_f64 v[10:11], v[10:11], v[18:19], -v[23:24]
	v_fma_f64 v[12:13], v[12:13], v[18:19], v[20:21]
	v_add_f64 v[10:11], v[10:11], 0
	v_add_f64 v[12:13], v[12:13], 0
	s_and_saveexec_b64 s[14:15], s[10:11]
	s_cbranch_execz .LBB189_41
; %bb.40:
	v_mov_b32_e32 v18, 0
	v_lshlrev_b32_e32 v15, 4, v0
	ds_read_b128 v[18:21], v18 offset:16
	ds_read_b128 v[23:26], v15 offset:544
	s_waitcnt lgkmcnt(0)
	v_mul_f64 v[27:28], v[20:21], v[25:26]
	v_mul_f64 v[25:26], v[18:19], v[25:26]
	v_fma_f64 v[18:19], v[18:19], v[23:24], -v[27:28]
	v_fma_f64 v[20:21], v[20:21], v[23:24], v[25:26]
	v_add_f64 v[10:11], v[10:11], v[18:19]
	v_add_f64 v[12:13], v[12:13], v[20:21]
.LBB189_41:
	s_or_b64 exec, exec, s[14:15]
	v_xor_b32_e32 v11, 0x80000000, v11
	v_xor_b32_e32 v13, 0x80000000, v13
.LBB189_42:
                                        ; implicit-def: $vgpr43 : SGPR spill to VGPR lane
	v_writelane_b32 v43, s42, 0
	v_writelane_b32 v43, s43, 1
	s_or_b64 exec, exec, s[12:13]
	v_mov_b32_e32 v15, 0x4000
	v_cmp_eq_u32_e64 s[10:11], 0, v17
	s_xor_b64 s[12:13], s[8:9], -1
	v_lshl_add_u32 v15, v16, 4, v15
	s_and_b64 s[42:43], s[10:11], s[12:13]
	s_and_saveexec_b64 s[8:9], s[42:43]
; %bb.43:
	ds_write_b128 v15, v[10:13]
; %bb.44:
	s_or_b64 exec, exec, s[8:9]
	v_cmp_ne_u32_e64 s[8:9], 0, v17
	s_and_b64 s[40:41], s[8:9], s[12:13]
	s_waitcnt lgkmcnt(0)
	s_barrier
	s_and_saveexec_b64 s[8:9], s[40:41]
	s_cbranch_execz .LBB189_46
; %bb.45:
	v_mov_b32_e32 v21, 0
	ds_read_b128 v[17:20], v15
	ds_read_b128 v[23:26], v21 offset:1072
	s_waitcnt lgkmcnt(0)
	v_mul_f64 v[27:28], v[19:20], v[25:26]
	v_mul_f64 v[25:26], v[17:18], v[25:26]
	v_fma_f64 v[17:18], v[17:18], v[23:24], -v[27:28]
	v_fma_f64 v[19:20], v[19:20], v[23:24], v[25:26]
	v_add_f64 v[10:11], v[10:11], v[17:18]
	v_add_f64 v[12:13], v[12:13], v[19:20]
.LBB189_46:
	s_or_b64 exec, exec, s[8:9]
	s_barrier
	s_and_saveexec_b64 s[8:9], s[40:41]
; %bb.47:
	ds_write_b128 v15, v[10:13]
; %bb.48:
	s_or_b64 exec, exec, s[8:9]
	s_waitcnt lgkmcnt(0)
	s_barrier
	s_barrier
	s_and_saveexec_b64 s[8:9], s[2:3]
; %bb.49:
	v_xor_b32_e32 v11, 0x80000000, v11
	v_xor_b32_e32 v13, 0x80000000, v13
	ds_write_b128 v14, v[10:13] offset:32
; %bb.50:
	s_or_b64 exec, exec, s[8:9]
	v_cmp_eq_u32_e64 s[10:11], 0, v1
	v_cmp_gt_u32_e64 s[8:9], 2, v0
	s_and_b64 s[44:45], s[10:11], s[8:9]
	s_waitcnt lgkmcnt(0)
	s_barrier
	s_barrier
	s_and_saveexec_b64 s[8:9], s[44:45]
	s_cbranch_execz .LBB189_52
; %bb.51:
	v_lshlrev_b32_e32 v17, 9, v0
	ds_read_b128 v[10:13], v17 offset:32
	s_movk_i32 s0, 0xfe10
	v_mad_i32_i24 v18, v0, s0, v17
	s_waitcnt lgkmcnt(0)
	ds_write_b128 v18, v[10:13] offset:1024
	ds_read_b128 v[10:13], v17 offset:48
	s_waitcnt lgkmcnt(0)
	ds_write_b128 v18, v[10:13] offset:1536
.LBB189_52:
	s_or_b64 exec, exec, s[8:9]
	s_waitcnt lgkmcnt(0)
	s_barrier
	s_and_saveexec_b64 s[8:9], vcc
	s_cbranch_execz .LBB189_54
; %bb.53:
	s_mov_b32 s12, 0
	v_mov_b32_e32 v21, 0
	ds_read_b128 v[10:13], v21 offset:1072
	s_mov_b32 s15, s12
	s_mov_b32 s13, 0x3ff00000
	;; [unrolled: 1-line block ×3, first 2 shown]
	v_mov_b32_e32 v20, s15
	v_mov_b32_e32 v19, s14
	;; [unrolled: 1-line block ×4, first 2 shown]
	ds_write_b128 v21, v[17:20] offset:1056
	ds_write_b128 v21, v[17:20] offset:1584
	s_waitcnt lgkmcnt(2)
	ds_write_b128 v21, v[10:13] offset:1568
.LBB189_54:
	s_or_b64 exec, exec, s[8:9]
	v_and_b32_e32 v20, 3, v0
	v_lshrrev_b32_e32 v21, 2, v22
	v_lshlrev_b32_e32 v18, 4, v20
	v_mov_b32_e32 v12, 0
	v_mov_b32_e32 v10, 0
	v_cmp_lt_u32_e64 s[8:9], 15, v22
	v_cmp_gt_u32_e64 s[16:17], 16, v22
	v_mov_b32_e32 v13, 0
	v_mov_b32_e32 v11, 0
	v_lshl_or_b32 v17, v21, 9, v18
	s_waitcnt lgkmcnt(0)
	s_barrier
	s_and_saveexec_b64 s[14:15], s[16:17]
	s_cbranch_execz .LBB189_60
; %bb.55:
	v_mul_u32_u24_e32 v19, 0x210, v21
	ds_read_b128 v[10:13], v19
	ds_read_b128 v[23:26], v17 offset:64
	v_cmp_gt_u32_e64 s[12:13], 12, v22
	s_waitcnt lgkmcnt(0)
	v_mul_f64 v[27:28], v[12:13], v[25:26]
	v_mul_f64 v[25:26], v[10:11], v[25:26]
	v_fma_f64 v[10:11], v[10:11], v[23:24], -v[27:28]
	v_fma_f64 v[12:13], v[12:13], v[23:24], v[25:26]
	v_add_f64 v[10:11], v[10:11], 0
	v_add_f64 v[12:13], v[12:13], 0
	s_and_saveexec_b64 s[18:19], s[12:13]
	s_cbranch_execnz .LBB189_517
; %bb.56:
	s_or_b64 exec, exec, s[18:19]
	v_cmp_gt_u32_e64 s[12:13], 8, v22
	s_and_saveexec_b64 s[18:19], s[12:13]
	s_cbranch_execnz .LBB189_518
.LBB189_57:
	s_or_b64 exec, exec, s[18:19]
	v_cmp_gt_u32_e64 s[12:13], 4, v22
	s_and_saveexec_b64 s[18:19], s[12:13]
	s_cbranch_execz .LBB189_59
.LBB189_58:
	v_mov_b32_e32 v23, 0
	v_lshlrev_b32_e32 v19, 4, v0
	ds_read_b128 v[23:26], v23 offset:48
	ds_read_b128 v[27:30], v19 offset:1600
	s_waitcnt lgkmcnt(0)
	v_mul_f64 v[31:32], v[25:26], v[29:30]
	v_mul_f64 v[29:30], v[23:24], v[29:30]
	v_fma_f64 v[23:24], v[23:24], v[27:28], -v[31:32]
	v_fma_f64 v[25:26], v[25:26], v[27:28], v[29:30]
	v_add_f64 v[10:11], v[10:11], v[23:24]
	v_add_f64 v[12:13], v[12:13], v[25:26]
.LBB189_59:
	s_or_b64 exec, exec, s[18:19]
	v_xor_b32_e32 v11, 0x80000000, v11
	v_xor_b32_e32 v13, 0x80000000, v13
.LBB189_60:
	s_or_b64 exec, exec, s[14:15]
	v_mov_b32_e32 v19, 0x4000
	v_cmp_eq_u32_e64 s[12:13], 0, v20
	s_xor_b64 s[14:15], s[8:9], -1
	v_lshl_add_u32 v19, v21, 4, v19
	s_and_b64 s[48:49], s[12:13], s[14:15]
	s_and_saveexec_b64 s[8:9], s[48:49]
; %bb.61:
	ds_write_b128 v19, v[10:13]
; %bb.62:
	s_or_b64 exec, exec, s[8:9]
	v_cmp_ne_u32_e64 s[8:9], 0, v20
	s_and_b64 s[50:51], s[8:9], s[14:15]
	s_waitcnt lgkmcnt(0)
	s_barrier
	s_and_saveexec_b64 s[8:9], s[50:51]
	s_cbranch_execz .LBB189_64
; %bb.63:
	ds_read_b128 v[23:26], v19
	ds_read_b128 v[27:30], v18 offset:2112
	s_waitcnt lgkmcnt(0)
	v_mul_f64 v[31:32], v[25:26], v[29:30]
	v_mul_f64 v[29:30], v[23:24], v[29:30]
	v_fma_f64 v[23:24], v[23:24], v[27:28], -v[31:32]
	v_fma_f64 v[25:26], v[25:26], v[27:28], v[29:30]
	v_add_f64 v[10:11], v[10:11], v[23:24]
	v_add_f64 v[12:13], v[12:13], v[25:26]
.LBB189_64:
	s_or_b64 exec, exec, s[8:9]
	v_cmp_eq_u32_e64 s[8:9], 1, v20
	s_and_b64 s[52:53], s[8:9], s[14:15]
	s_barrier
	s_and_saveexec_b64 s[8:9], s[52:53]
; %bb.65:
	ds_write_b128 v19, v[10:13]
; %bb.66:
	s_or_b64 exec, exec, s[8:9]
	v_cmp_lt_u32_e64 s[8:9], 1, v20
	s_and_b64 s[54:55], s[8:9], s[14:15]
	s_waitcnt lgkmcnt(0)
	s_barrier
	s_and_saveexec_b64 s[8:9], s[54:55]
	s_cbranch_execz .LBB189_68
; %bb.67:
	ds_read_b128 v[23:26], v19
	ds_read_b128 v[27:30], v18 offset:2624
	s_waitcnt lgkmcnt(0)
	v_mul_f64 v[31:32], v[25:26], v[29:30]
	v_mul_f64 v[29:30], v[23:24], v[29:30]
	v_fma_f64 v[23:24], v[23:24], v[27:28], -v[31:32]
	v_fma_f64 v[25:26], v[25:26], v[27:28], v[29:30]
	v_add_f64 v[10:11], v[10:11], v[23:24]
	v_add_f64 v[12:13], v[12:13], v[25:26]
.LBB189_68:
	s_or_b64 exec, exec, s[8:9]
	v_cmp_eq_u32_e64 s[8:9], 2, v20
	s_and_b64 s[56:57], s[8:9], s[14:15]
	s_barrier
	s_and_saveexec_b64 s[8:9], s[56:57]
; %bb.69:
	ds_write_b128 v19, v[10:13]
; %bb.70:
	s_or_b64 exec, exec, s[8:9]
	v_cmp_eq_u32_e64 s[8:9], 3, v20
	s_and_b64 s[46:47], s[8:9], s[14:15]
	s_waitcnt lgkmcnt(0)
	s_barrier
	s_and_saveexec_b64 s[8:9], s[46:47]
	s_cbranch_execz .LBB189_72
; %bb.71:
	v_mov_b32_e32 v27, 0
	ds_read_b128 v[23:26], v19
	ds_read_b128 v[27:30], v27 offset:3184
	s_waitcnt lgkmcnt(0)
	v_mul_f64 v[31:32], v[25:26], v[29:30]
	v_mul_f64 v[29:30], v[23:24], v[29:30]
	v_fma_f64 v[23:24], v[23:24], v[27:28], -v[31:32]
	v_fma_f64 v[25:26], v[25:26], v[27:28], v[29:30]
	v_add_f64 v[10:11], v[10:11], v[23:24]
	v_add_f64 v[12:13], v[12:13], v[25:26]
.LBB189_72:
	s_or_b64 exec, exec, s[8:9]
	s_barrier
	s_and_saveexec_b64 s[8:9], s[46:47]
; %bb.73:
	ds_write_b128 v19, v[10:13]
; %bb.74:
	s_or_b64 exec, exec, s[8:9]
	s_waitcnt lgkmcnt(0)
	s_barrier
	s_barrier
	s_and_saveexec_b64 s[8:9], s[16:17]
; %bb.75:
	v_xor_b32_e32 v13, 0x80000000, v13
	v_xor_b32_e32 v11, 0x80000000, v11
	ds_write_b128 v17, v[10:13] offset:64
; %bb.76:
	s_or_b64 exec, exec, s[8:9]
	v_cmp_gt_u32_e64 s[8:9], 4, v0
	s_and_b64 s[58:59], s[10:11], s[8:9]
	s_waitcnt lgkmcnt(0)
	s_barrier
	s_barrier
	s_and_saveexec_b64 s[8:9], s[58:59]
	s_cbranch_execz .LBB189_78
; %bb.77:
	v_lshlrev_b32_e32 v23, 4, v0
	s_movk_i32 s0, 0x1f0
	v_mad_u32_u24 v24, v0, s0, v23
	ds_read_b128 v[10:13], v24 offset:64
	s_waitcnt lgkmcnt(0)
	ds_write_b128 v23, v[10:13] offset:2048
	ds_read_b128 v[10:13], v24 offset:80
	s_waitcnt lgkmcnt(0)
	ds_write_b128 v23, v[10:13] offset:2560
	;; [unrolled: 3-line block ×4, first 2 shown]
.LBB189_78:
	s_or_b64 exec, exec, s[8:9]
	s_waitcnt lgkmcnt(0)
	s_barrier
	s_and_saveexec_b64 s[8:9], vcc
	s_cbranch_execz .LBB189_80
; %bb.79:
	s_mov_b32 s12, 0
	v_mov_b32_e32 v27, 0
	ds_read_b128 v[10:13], v27 offset:2128
	s_mov_b32 s15, s12
	s_mov_b32 s13, 0x3ff00000
	;; [unrolled: 1-line block ×3, first 2 shown]
	v_mov_b32_e32 v26, s15
	v_mov_b32_e32 v25, s14
	;; [unrolled: 1-line block ×4, first 2 shown]
	ds_write_b128 v27, v[23:26] offset:2112
	ds_write_b128 v27, v[23:26] offset:2640
	s_waitcnt lgkmcnt(2)
	ds_write_b128 v27, v[10:13] offset:2624
.LBB189_80:
	s_or_b64 exec, exec, s[8:9]
	v_mov_b32_e32 v12, 0
	v_mov_b32_e32 v10, 0
	;; [unrolled: 1-line block ×4, first 2 shown]
	s_waitcnt lgkmcnt(0)
	s_barrier
	s_and_saveexec_b64 s[12:13], s[2:3]
	s_cbranch_execz .LBB189_84
; %bb.81:
	v_mul_u32_u24_e32 v10, 0x210, v16
	ds_read_b128 v[10:13], v10 offset:2112
	ds_read_b128 v[23:26], v14 offset:2144
	v_cmp_gt_u32_e64 s[8:9], 2, v22
	s_waitcnt lgkmcnt(0)
	v_mul_f64 v[27:28], v[12:13], v[25:26]
	v_mul_f64 v[25:26], v[10:11], v[25:26]
	v_fma_f64 v[10:11], v[10:11], v[23:24], -v[27:28]
	v_fma_f64 v[12:13], v[12:13], v[23:24], v[25:26]
	v_add_f64 v[10:11], v[10:11], 0
	v_add_f64 v[12:13], v[12:13], 0
	s_and_saveexec_b64 s[14:15], s[8:9]
	s_cbranch_execz .LBB189_83
; %bb.82:
	v_lshlrev_b32_e32 v27, 4, v0
	v_mov_b32_e32 v23, 0
	ds_read_b128 v[23:26], v23 offset:2128
	ds_read_b128 v[27:30], v27 offset:2656
	s_waitcnt lgkmcnt(0)
	v_mul_f64 v[31:32], v[25:26], v[29:30]
	v_mul_f64 v[29:30], v[23:24], v[29:30]
	v_fma_f64 v[23:24], v[23:24], v[27:28], -v[31:32]
	v_fma_f64 v[25:26], v[25:26], v[27:28], v[29:30]
	v_add_f64 v[10:11], v[10:11], v[23:24]
	v_add_f64 v[12:13], v[12:13], v[25:26]
.LBB189_83:
	s_or_b64 exec, exec, s[14:15]
	v_xor_b32_e32 v11, 0x80000000, v11
	v_xor_b32_e32 v13, 0x80000000, v13
.LBB189_84:
	s_or_b64 exec, exec, s[12:13]
	s_and_saveexec_b64 s[8:9], s[42:43]
; %bb.85:
	ds_write_b128 v15, v[10:13]
; %bb.86:
	s_or_b64 exec, exec, s[8:9]
	s_waitcnt lgkmcnt(0)
	s_barrier
	s_and_saveexec_b64 s[8:9], s[40:41]
	s_cbranch_execz .LBB189_88
; %bb.87:
	v_mov_b32_e32 v27, 0
	ds_read_b128 v[23:26], v15
	ds_read_b128 v[27:30], v27 offset:3184
	s_waitcnt lgkmcnt(0)
	v_mul_f64 v[31:32], v[25:26], v[29:30]
	v_mul_f64 v[29:30], v[23:24], v[29:30]
	v_fma_f64 v[23:24], v[23:24], v[27:28], -v[31:32]
	v_fma_f64 v[25:26], v[25:26], v[27:28], v[29:30]
	v_add_f64 v[10:11], v[10:11], v[23:24]
	v_add_f64 v[12:13], v[12:13], v[25:26]
.LBB189_88:
	s_or_b64 exec, exec, s[8:9]
	s_barrier
	s_and_saveexec_b64 s[8:9], s[40:41]
; %bb.89:
	ds_write_b128 v15, v[10:13]
; %bb.90:
	s_or_b64 exec, exec, s[8:9]
	s_waitcnt lgkmcnt(0)
	s_barrier
	s_barrier
	s_and_saveexec_b64 s[8:9], s[2:3]
; %bb.91:
	v_xor_b32_e32 v11, 0x80000000, v11
	v_xor_b32_e32 v13, 0x80000000, v13
	ds_write_b128 v14, v[10:13] offset:2144
; %bb.92:
	s_or_b64 exec, exec, s[8:9]
	s_waitcnt lgkmcnt(0)
	s_barrier
	s_barrier
	s_and_saveexec_b64 s[8:9], s[44:45]
	s_cbranch_execz .LBB189_94
; %bb.93:
	v_lshlrev_b32_e32 v23, 9, v0
	ds_read_b128 v[10:13], v23 offset:2144
	s_movk_i32 s0, 0xfe10
	v_mad_i32_i24 v24, v0, s0, v23
	s_waitcnt lgkmcnt(0)
	ds_write_b128 v24, v[10:13] offset:3136
	ds_read_b128 v[10:13], v23 offset:2160
	s_waitcnt lgkmcnt(0)
	ds_write_b128 v24, v[10:13] offset:3648
.LBB189_94:
	s_or_b64 exec, exec, s[8:9]
	s_waitcnt lgkmcnt(0)
	s_barrier
	s_and_saveexec_b64 s[8:9], vcc
	s_cbranch_execz .LBB189_96
; %bb.95:
	s_mov_b32 s12, 0
	v_mov_b32_e32 v27, 0
	ds_read_b128 v[10:13], v27 offset:3184
	s_mov_b32 s15, s12
	s_mov_b32 s13, 0x3ff00000
	;; [unrolled: 1-line block ×3, first 2 shown]
	v_mov_b32_e32 v26, s15
	v_mov_b32_e32 v25, s14
	;; [unrolled: 1-line block ×4, first 2 shown]
	ds_write_b128 v27, v[23:26] offset:3168
	ds_write_b128 v27, v[23:26] offset:3696
	s_waitcnt lgkmcnt(2)
	ds_write_b128 v27, v[10:13] offset:3680
.LBB189_96:
	s_or_b64 exec, exec, s[8:9]
	v_and_b32_e32 v26, 7, v0
	v_lshrrev_b32_e32 v27, 3, v22
	v_lshlrev_b32_e32 v24, 4, v26
	v_mov_b32_e32 v12, 0
	v_mov_b32_e32 v10, 0
	v_cmp_lt_u32_e64 s[12:13], 63, v22
	v_cmp_gt_u32_e64 s[8:9], 64, v22
	v_mov_b32_e32 v13, 0
	v_mov_b32_e32 v11, 0
	v_lshl_or_b32 v23, v27, 9, v24
	s_waitcnt lgkmcnt(0)
	s_barrier
	s_and_saveexec_b64 s[18:19], s[8:9]
	s_cbranch_execz .LBB189_106
; %bb.97:
	v_mul_u32_u24_e32 v25, 0x210, v27
	ds_read_b128 v[10:13], v25
	ds_read_b128 v[28:31], v23 offset:128
	v_cmp_gt_u32_e64 s[14:15], 56, v22
	s_waitcnt lgkmcnt(0)
	v_mul_f64 v[32:33], v[12:13], v[30:31]
	v_mul_f64 v[30:31], v[10:11], v[30:31]
	v_fma_f64 v[10:11], v[10:11], v[28:29], -v[32:33]
	v_fma_f64 v[12:13], v[12:13], v[28:29], v[30:31]
	v_add_f64 v[10:11], v[10:11], 0
	v_add_f64 v[12:13], v[12:13], 0
	s_and_saveexec_b64 s[60:61], s[14:15]
	s_cbranch_execnz .LBB189_519
; %bb.98:
	s_or_b64 exec, exec, s[60:61]
	v_cmp_gt_u32_e64 s[14:15], 48, v22
	s_and_saveexec_b64 s[60:61], s[14:15]
	s_cbranch_execnz .LBB189_520
.LBB189_99:
	s_or_b64 exec, exec, s[60:61]
	v_cmp_gt_u32_e64 s[14:15], 40, v22
	s_and_saveexec_b64 s[60:61], s[14:15]
	s_cbranch_execnz .LBB189_521
.LBB189_100:
	s_or_b64 exec, exec, s[60:61]
	v_cmp_gt_u32_e64 s[14:15], 32, v22
	s_and_saveexec_b64 s[60:61], s[14:15]
	s_cbranch_execnz .LBB189_522
.LBB189_101:
	s_or_b64 exec, exec, s[60:61]
	v_cmp_gt_u32_e64 s[14:15], 24, v22
	s_and_saveexec_b64 s[60:61], s[14:15]
	s_cbranch_execnz .LBB189_523
.LBB189_102:
	s_or_b64 exec, exec, s[60:61]
	v_cmp_gt_u32_e64 s[14:15], 16, v22
	s_and_saveexec_b64 s[60:61], s[14:15]
	s_cbranch_execnz .LBB189_524
.LBB189_103:
	s_or_b64 exec, exec, s[60:61]
	v_cmp_gt_u32_e64 s[14:15], 8, v22
	s_and_saveexec_b64 s[60:61], s[14:15]
	s_cbranch_execz .LBB189_105
.LBB189_104:
	v_mov_b32_e32 v28, 0
	v_lshlrev_b32_e32 v25, 4, v0
	ds_read_b128 v[28:31], v28 offset:112
	ds_read_b128 v[32:35], v25 offset:3712
	s_waitcnt lgkmcnt(0)
	v_mul_f64 v[36:37], v[30:31], v[34:35]
	v_mul_f64 v[34:35], v[28:29], v[34:35]
	v_fma_f64 v[28:29], v[28:29], v[32:33], -v[36:37]
	v_fma_f64 v[30:31], v[30:31], v[32:33], v[34:35]
	v_add_f64 v[10:11], v[10:11], v[28:29]
	v_add_f64 v[12:13], v[12:13], v[30:31]
.LBB189_105:
	s_or_b64 exec, exec, s[60:61]
	v_xor_b32_e32 v11, 0x80000000, v11
	v_xor_b32_e32 v13, 0x80000000, v13
.LBB189_106:
	s_or_b64 exec, exec, s[18:19]
	v_mov_b32_e32 v25, 0x4000
	v_lshl_add_u32 v25, v27, 4, v25
	v_cmp_eq_u32_e64 s[14:15], 0, v26
	s_xor_b64 s[18:19], s[12:13], -1
	s_and_b64 s[0:1], s[14:15], s[18:19]
	s_mov_b64 s[12:13], exec
	v_writelane_b32 v43, s0, 2
	v_writelane_b32 v43, s1, 3
	s_and_b64 s[0:1], s[12:13], s[0:1]
	s_mov_b64 exec, s[0:1]
; %bb.107:
	ds_write_b128 v25, v[10:13]
; %bb.108:
	s_or_b64 exec, exec, s[12:13]
	v_cmp_ne_u32_e64 s[12:13], 0, v26
	s_waitcnt lgkmcnt(0)
	s_barrier
	s_and_b64 s[0:1], s[12:13], s[18:19]
	s_mov_b64 s[12:13], exec
	v_writelane_b32 v43, s0, 4
	v_writelane_b32 v43, s1, 5
	s_and_b64 s[0:1], s[12:13], s[0:1]
	s_mov_b64 exec, s[0:1]
	s_cbranch_execz .LBB189_110
; %bb.109:
	ds_read_b128 v[28:31], v25
	ds_read_b128 v[32:35], v24 offset:4224
	s_waitcnt lgkmcnt(0)
	v_mul_f64 v[36:37], v[30:31], v[34:35]
	v_mul_f64 v[34:35], v[28:29], v[34:35]
	v_fma_f64 v[28:29], v[28:29], v[32:33], -v[36:37]
	v_fma_f64 v[30:31], v[30:31], v[32:33], v[34:35]
	v_add_f64 v[10:11], v[10:11], v[28:29]
	v_add_f64 v[12:13], v[12:13], v[30:31]
.LBB189_110:
	s_or_b64 exec, exec, s[12:13]
	v_cmp_eq_u32_e64 s[12:13], 1, v26
	s_and_b64 s[0:1], s[12:13], s[18:19]
	s_barrier
	s_and_saveexec_b64 s[12:13], s[0:1]
; %bb.111:
	ds_write_b128 v25, v[10:13]
; %bb.112:
	s_or_b64 exec, exec, s[12:13]
	v_cmp_lt_u32_e64 s[12:13], 1, v26
	s_and_b64 s[68:69], s[12:13], s[18:19]
	s_waitcnt lgkmcnt(0)
	s_barrier
	s_and_saveexec_b64 s[12:13], s[68:69]
	s_cbranch_execz .LBB189_114
; %bb.113:
	ds_read_b128 v[28:31], v25
	ds_read_b128 v[32:35], v24 offset:4736
	s_waitcnt lgkmcnt(0)
	v_mul_f64 v[36:37], v[30:31], v[34:35]
	v_mul_f64 v[34:35], v[28:29], v[34:35]
	v_fma_f64 v[28:29], v[28:29], v[32:33], -v[36:37]
	v_fma_f64 v[30:31], v[30:31], v[32:33], v[34:35]
	v_add_f64 v[10:11], v[10:11], v[28:29]
	v_add_f64 v[12:13], v[12:13], v[30:31]
.LBB189_114:
	s_or_b64 exec, exec, s[12:13]
	v_cmp_eq_u32_e64 s[12:13], 2, v26
	s_and_b64 s[70:71], s[12:13], s[18:19]
	s_barrier
	s_and_saveexec_b64 s[12:13], s[70:71]
; %bb.115:
	ds_write_b128 v25, v[10:13]
; %bb.116:
	s_or_b64 exec, exec, s[12:13]
	v_cmp_lt_u32_e64 s[12:13], 2, v26
	s_and_b64 s[72:73], s[12:13], s[18:19]
	s_waitcnt lgkmcnt(0)
	s_barrier
	s_and_saveexec_b64 s[12:13], s[72:73]
	;; [unrolled: 26-line block ×5, first 2 shown]
	s_cbranch_execz .LBB189_130
; %bb.129:
	ds_read_b128 v[28:31], v25
	ds_read_b128 v[32:35], v24 offset:6784
	s_waitcnt lgkmcnt(0)
	v_mul_f64 v[36:37], v[30:31], v[34:35]
	v_mul_f64 v[34:35], v[28:29], v[34:35]
	v_fma_f64 v[28:29], v[28:29], v[32:33], -v[36:37]
	v_fma_f64 v[30:31], v[30:31], v[32:33], v[34:35]
	v_add_f64 v[10:11], v[10:11], v[28:29]
	v_add_f64 v[12:13], v[12:13], v[30:31]
.LBB189_130:
	s_or_b64 exec, exec, s[12:13]
	v_cmp_eq_u32_e64 s[12:13], 6, v26
	s_and_b64 s[86:87], s[12:13], s[18:19]
	s_barrier
	s_and_saveexec_b64 s[12:13], s[86:87]
; %bb.131:
	ds_write_b128 v25, v[10:13]
; %bb.132:
	s_or_b64 exec, exec, s[12:13]
	v_cmp_eq_u32_e64 s[12:13], 7, v26
	s_and_b64 s[60:61], s[12:13], s[18:19]
	s_waitcnt lgkmcnt(0)
	s_barrier
	s_and_saveexec_b64 s[12:13], s[60:61]
	s_cbranch_execz .LBB189_134
; %bb.133:
	v_mov_b32_e32 v32, 0
	ds_read_b128 v[28:31], v25
	ds_read_b128 v[32:35], v32 offset:7408
	s_waitcnt lgkmcnt(0)
	v_mul_f64 v[36:37], v[30:31], v[34:35]
	v_mul_f64 v[34:35], v[28:29], v[34:35]
	v_fma_f64 v[28:29], v[28:29], v[32:33], -v[36:37]
	v_fma_f64 v[30:31], v[30:31], v[32:33], v[34:35]
	v_add_f64 v[10:11], v[10:11], v[28:29]
	v_add_f64 v[12:13], v[12:13], v[30:31]
.LBB189_134:
	s_or_b64 exec, exec, s[12:13]
	s_barrier
	s_and_saveexec_b64 s[12:13], s[60:61]
; %bb.135:
	ds_write_b128 v25, v[10:13]
; %bb.136:
	s_or_b64 exec, exec, s[12:13]
	s_waitcnt lgkmcnt(0)
	s_barrier
	s_barrier
	s_and_saveexec_b64 s[12:13], s[8:9]
; %bb.137:
	v_xor_b32_e32 v11, 0x80000000, v11
	v_xor_b32_e32 v13, 0x80000000, v13
	ds_write_b128 v23, v[10:13] offset:128
; %bb.138:
	s_or_b64 exec, exec, s[12:13]
	v_cmp_gt_u32_e64 s[12:13], 8, v0
	s_and_b64 s[88:89], s[10:11], s[12:13]
	s_waitcnt lgkmcnt(0)
	s_barrier
	s_barrier
	s_and_saveexec_b64 s[12:13], s[88:89]
	s_cbranch_execz .LBB189_140
; %bb.139:
	v_lshlrev_b32_e32 v28, 9, v0
	ds_read_b128 v[10:13], v28 offset:128
	s_movk_i32 s14, 0xfe10
	v_mad_i32_i24 v29, v0, s14, v28
	s_waitcnt lgkmcnt(0)
	ds_write_b128 v29, v[10:13] offset:4096
	ds_read_b128 v[10:13], v28 offset:144
	s_waitcnt lgkmcnt(0)
	ds_write_b128 v29, v[10:13] offset:4608
	ds_read_b128 v[10:13], v28 offset:160
	;; [unrolled: 3-line block ×7, first 2 shown]
	s_waitcnt lgkmcnt(0)
	ds_write_b128 v29, v[10:13] offset:7680
.LBB189_140:
	s_or_b64 exec, exec, s[12:13]
	s_waitcnt lgkmcnt(0)
	s_barrier
	s_and_saveexec_b64 s[12:13], vcc
	s_cbranch_execz .LBB189_142
; %bb.141:
	v_mov_b32_e32 v32, 0
	s_mov_b32 s64, 0
	ds_read_b128 v[10:13], v32 offset:4240
	s_mov_b32 s65, 0x3ff00000
	s_mov_b32 s66, s64
	;; [unrolled: 1-line block ×3, first 2 shown]
	v_mov_b32_e32 v28, s64
	v_mov_b32_e32 v29, s65
	;; [unrolled: 1-line block ×4, first 2 shown]
	ds_write_b128 v32, v[28:31] offset:4224
	ds_write_b128 v32, v[28:31] offset:4752
	s_waitcnt lgkmcnt(2)
	ds_write_b128 v32, v[10:13] offset:4736
.LBB189_142:
	s_or_b64 exec, exec, s[12:13]
	v_mov_b32_e32 v12, 0
	v_mov_b32_e32 v10, 0
	;; [unrolled: 1-line block ×4, first 2 shown]
	s_waitcnt lgkmcnt(0)
	s_barrier
	s_and_saveexec_b64 s[14:15], s[2:3]
	s_cbranch_execz .LBB189_146
; %bb.143:
	v_mul_u32_u24_e32 v10, 0x210, v16
	ds_read_b128 v[10:13], v10 offset:4224
	ds_read_b128 v[28:31], v14 offset:4256
	v_cmp_gt_u32_e64 s[12:13], 2, v22
	s_waitcnt lgkmcnt(0)
	v_mul_f64 v[32:33], v[12:13], v[30:31]
	v_mul_f64 v[30:31], v[10:11], v[30:31]
	v_fma_f64 v[10:11], v[10:11], v[28:29], -v[32:33]
	v_fma_f64 v[12:13], v[12:13], v[28:29], v[30:31]
	v_add_f64 v[10:11], v[10:11], 0
	v_add_f64 v[12:13], v[12:13], 0
	s_and_saveexec_b64 s[18:19], s[12:13]
	s_cbranch_execz .LBB189_145
; %bb.144:
	v_lshlrev_b32_e32 v32, 4, v0
	v_mov_b32_e32 v28, 0
	ds_read_b128 v[28:31], v28 offset:4240
	ds_read_b128 v[32:35], v32 offset:4768
	s_waitcnt lgkmcnt(0)
	v_mul_f64 v[36:37], v[30:31], v[34:35]
	v_mul_f64 v[34:35], v[28:29], v[34:35]
	v_fma_f64 v[28:29], v[28:29], v[32:33], -v[36:37]
	v_fma_f64 v[30:31], v[30:31], v[32:33], v[34:35]
	v_add_f64 v[10:11], v[10:11], v[28:29]
	v_add_f64 v[12:13], v[12:13], v[30:31]
.LBB189_145:
	s_or_b64 exec, exec, s[18:19]
	v_xor_b32_e32 v11, 0x80000000, v11
	v_xor_b32_e32 v13, 0x80000000, v13
.LBB189_146:
	s_or_b64 exec, exec, s[14:15]
	s_and_saveexec_b64 s[12:13], s[42:43]
; %bb.147:
	ds_write_b128 v15, v[10:13]
; %bb.148:
	s_or_b64 exec, exec, s[12:13]
	s_waitcnt lgkmcnt(0)
	s_barrier
	s_and_saveexec_b64 s[12:13], s[40:41]
	s_cbranch_execz .LBB189_150
; %bb.149:
	v_mov_b32_e32 v32, 0
	ds_read_b128 v[28:31], v15
	ds_read_b128 v[32:35], v32 offset:5296
	s_waitcnt lgkmcnt(0)
	v_mul_f64 v[36:37], v[30:31], v[34:35]
	v_mul_f64 v[34:35], v[28:29], v[34:35]
	v_fma_f64 v[28:29], v[28:29], v[32:33], -v[36:37]
	v_fma_f64 v[30:31], v[30:31], v[32:33], v[34:35]
	v_add_f64 v[10:11], v[10:11], v[28:29]
	v_add_f64 v[12:13], v[12:13], v[30:31]
.LBB189_150:
	s_or_b64 exec, exec, s[12:13]
	s_barrier
	s_and_saveexec_b64 s[12:13], s[40:41]
; %bb.151:
	ds_write_b128 v15, v[10:13]
; %bb.152:
	s_or_b64 exec, exec, s[12:13]
	s_waitcnt lgkmcnt(0)
	s_barrier
	s_barrier
	s_and_saveexec_b64 s[12:13], s[2:3]
; %bb.153:
	v_xor_b32_e32 v11, 0x80000000, v11
	v_xor_b32_e32 v13, 0x80000000, v13
	ds_write_b128 v14, v[10:13] offset:4256
; %bb.154:
	s_or_b64 exec, exec, s[12:13]
	s_waitcnt lgkmcnt(0)
	s_barrier
	s_barrier
	s_and_saveexec_b64 s[12:13], s[44:45]
	s_cbranch_execz .LBB189_156
; %bb.155:
	v_lshlrev_b32_e32 v28, 9, v0
	ds_read_b128 v[10:13], v28 offset:4256
	s_movk_i32 s14, 0xfe10
	v_mad_i32_i24 v29, v0, s14, v28
	s_waitcnt lgkmcnt(0)
	ds_write_b128 v29, v[10:13] offset:5248
	ds_read_b128 v[10:13], v28 offset:4272
	s_waitcnt lgkmcnt(0)
	ds_write_b128 v29, v[10:13] offset:5760
.LBB189_156:
	s_or_b64 exec, exec, s[12:13]
	s_waitcnt lgkmcnt(0)
	s_barrier
	s_and_saveexec_b64 s[12:13], vcc
	s_cbranch_execz .LBB189_158
; %bb.157:
	v_mov_b32_e32 v32, 0
	s_mov_b32 s64, 0
	ds_read_b128 v[10:13], v32 offset:5296
	s_mov_b32 s65, 0x3ff00000
	s_mov_b32 s66, s64
	;; [unrolled: 1-line block ×3, first 2 shown]
	v_mov_b32_e32 v28, s64
	v_mov_b32_e32 v29, s65
	;; [unrolled: 1-line block ×4, first 2 shown]
	ds_write_b128 v32, v[28:31] offset:5280
	ds_write_b128 v32, v[28:31] offset:5808
	s_waitcnt lgkmcnt(2)
	ds_write_b128 v32, v[10:13] offset:5792
.LBB189_158:
	s_or_b64 exec, exec, s[12:13]
	v_mov_b32_e32 v12, 0
	v_mov_b32_e32 v10, 0
	;; [unrolled: 1-line block ×4, first 2 shown]
	s_waitcnt lgkmcnt(0)
	s_barrier
	s_and_saveexec_b64 s[14:15], s[16:17]
	s_cbranch_execz .LBB189_164
; %bb.159:
	v_mul_u32_u24_e32 v28, 0x210, v21
	ds_read_b128 v[10:13], v28 offset:4224
	ds_read_b128 v[29:32], v17 offset:4288
	v_cmp_gt_u32_e64 s[12:13], 12, v22
	s_waitcnt lgkmcnt(0)
	v_mul_f64 v[33:34], v[12:13], v[31:32]
	v_mul_f64 v[31:32], v[10:11], v[31:32]
	v_fma_f64 v[10:11], v[10:11], v[29:30], -v[33:34]
	v_fma_f64 v[12:13], v[12:13], v[29:30], v[31:32]
	v_add_f64 v[10:11], v[10:11], 0
	v_add_f64 v[12:13], v[12:13], 0
	s_and_saveexec_b64 s[18:19], s[12:13]
	s_cbranch_execnz .LBB189_525
; %bb.160:
	s_or_b64 exec, exec, s[18:19]
	v_cmp_gt_u32_e64 s[12:13], 8, v22
	s_and_saveexec_b64 s[18:19], s[12:13]
	s_cbranch_execnz .LBB189_526
.LBB189_161:
	s_or_b64 exec, exec, s[18:19]
	v_cmp_gt_u32_e64 s[12:13], 4, v22
	s_and_saveexec_b64 s[18:19], s[12:13]
	s_cbranch_execz .LBB189_163
.LBB189_162:
	v_lshlrev_b32_e32 v32, 4, v0
	v_mov_b32_e32 v28, 0
	ds_read_b128 v[28:31], v28 offset:4272
	ds_read_b128 v[32:35], v32 offset:5824
	s_waitcnt lgkmcnt(0)
	v_mul_f64 v[36:37], v[30:31], v[34:35]
	v_mul_f64 v[34:35], v[28:29], v[34:35]
	v_fma_f64 v[28:29], v[28:29], v[32:33], -v[36:37]
	v_fma_f64 v[30:31], v[30:31], v[32:33], v[34:35]
	v_add_f64 v[10:11], v[10:11], v[28:29]
	v_add_f64 v[12:13], v[12:13], v[30:31]
.LBB189_163:
	s_or_b64 exec, exec, s[18:19]
	v_xor_b32_e32 v11, 0x80000000, v11
	v_xor_b32_e32 v13, 0x80000000, v13
.LBB189_164:
	s_or_b64 exec, exec, s[14:15]
	s_and_saveexec_b64 s[12:13], s[48:49]
; %bb.165:
	ds_write_b128 v19, v[10:13]
; %bb.166:
	s_or_b64 exec, exec, s[12:13]
	s_waitcnt lgkmcnt(0)
	s_barrier
	s_and_saveexec_b64 s[12:13], s[50:51]
	s_cbranch_execz .LBB189_168
; %bb.167:
	ds_read_b128 v[28:31], v19
	ds_read_b128 v[32:35], v18 offset:6336
	s_waitcnt lgkmcnt(0)
	v_mul_f64 v[36:37], v[30:31], v[34:35]
	v_mul_f64 v[34:35], v[28:29], v[34:35]
	v_fma_f64 v[28:29], v[28:29], v[32:33], -v[36:37]
	v_fma_f64 v[30:31], v[30:31], v[32:33], v[34:35]
	v_add_f64 v[10:11], v[10:11], v[28:29]
	v_add_f64 v[12:13], v[12:13], v[30:31]
.LBB189_168:
	s_or_b64 exec, exec, s[12:13]
	s_barrier
	s_and_saveexec_b64 s[12:13], s[52:53]
; %bb.169:
	ds_write_b128 v19, v[10:13]
; %bb.170:
	s_or_b64 exec, exec, s[12:13]
	s_waitcnt lgkmcnt(0)
	s_barrier
	s_and_saveexec_b64 s[12:13], s[54:55]
	s_cbranch_execz .LBB189_172
; %bb.171:
	ds_read_b128 v[28:31], v19
	ds_read_b128 v[32:35], v18 offset:6848
	s_waitcnt lgkmcnt(0)
	v_mul_f64 v[36:37], v[30:31], v[34:35]
	v_mul_f64 v[34:35], v[28:29], v[34:35]
	v_fma_f64 v[28:29], v[28:29], v[32:33], -v[36:37]
	v_fma_f64 v[30:31], v[30:31], v[32:33], v[34:35]
	v_add_f64 v[10:11], v[10:11], v[28:29]
	v_add_f64 v[12:13], v[12:13], v[30:31]
.LBB189_172:
	s_or_b64 exec, exec, s[12:13]
	s_barrier
	s_and_saveexec_b64 s[12:13], s[56:57]
; %bb.173:
	ds_write_b128 v19, v[10:13]
; %bb.174:
	s_or_b64 exec, exec, s[12:13]
	s_waitcnt lgkmcnt(0)
	s_barrier
	s_and_saveexec_b64 s[12:13], s[46:47]
	s_cbranch_execz .LBB189_176
; %bb.175:
	v_mov_b32_e32 v32, 0
	ds_read_b128 v[28:31], v19
	ds_read_b128 v[32:35], v32 offset:7408
	s_waitcnt lgkmcnt(0)
	v_mul_f64 v[36:37], v[30:31], v[34:35]
	v_mul_f64 v[34:35], v[28:29], v[34:35]
	v_fma_f64 v[28:29], v[28:29], v[32:33], -v[36:37]
	v_fma_f64 v[30:31], v[30:31], v[32:33], v[34:35]
	v_add_f64 v[10:11], v[10:11], v[28:29]
	v_add_f64 v[12:13], v[12:13], v[30:31]
.LBB189_176:
	s_or_b64 exec, exec, s[12:13]
	s_barrier
	s_and_saveexec_b64 s[12:13], s[46:47]
; %bb.177:
	ds_write_b128 v19, v[10:13]
; %bb.178:
	s_or_b64 exec, exec, s[12:13]
	s_waitcnt lgkmcnt(0)
	s_barrier
	s_barrier
	s_and_saveexec_b64 s[12:13], s[16:17]
; %bb.179:
	v_xor_b32_e32 v13, 0x80000000, v13
	v_xor_b32_e32 v11, 0x80000000, v11
	ds_write_b128 v17, v[10:13] offset:4288
; %bb.180:
	s_or_b64 exec, exec, s[12:13]
	s_waitcnt lgkmcnt(0)
	s_barrier
	s_barrier
	s_and_saveexec_b64 s[12:13], s[58:59]
	s_cbranch_execz .LBB189_182
; %bb.181:
	v_lshlrev_b32_e32 v28, 4, v0
	s_movk_i32 s14, 0x1f0
	v_mad_u32_u24 v29, v0, s14, v28
	ds_read_b128 v[10:13], v29 offset:4288
	s_waitcnt lgkmcnt(0)
	ds_write_b128 v28, v[10:13] offset:6272
	ds_read_b128 v[10:13], v29 offset:4304
	s_waitcnt lgkmcnt(0)
	ds_write_b128 v28, v[10:13] offset:6784
	;; [unrolled: 3-line block ×4, first 2 shown]
.LBB189_182:
	s_or_b64 exec, exec, s[12:13]
	s_waitcnt lgkmcnt(0)
	s_barrier
	s_and_saveexec_b64 s[12:13], vcc
	s_cbranch_execz .LBB189_184
; %bb.183:
	v_mov_b32_e32 v32, 0
	s_mov_b32 s64, 0
	ds_read_b128 v[10:13], v32 offset:6352
	s_mov_b32 s65, 0x3ff00000
	s_mov_b32 s66, s64
	;; [unrolled: 1-line block ×3, first 2 shown]
	v_mov_b32_e32 v28, s64
	v_mov_b32_e32 v29, s65
	;; [unrolled: 1-line block ×4, first 2 shown]
	ds_write_b128 v32, v[28:31] offset:6336
	ds_write_b128 v32, v[28:31] offset:6864
	s_waitcnt lgkmcnt(2)
	ds_write_b128 v32, v[10:13] offset:6848
.LBB189_184:
	s_or_b64 exec, exec, s[12:13]
	v_mov_b32_e32 v12, 0
	v_mov_b32_e32 v10, 0
	v_mov_b32_e32 v13, 0
	v_mov_b32_e32 v11, 0
	s_waitcnt lgkmcnt(0)
	s_barrier
	s_and_saveexec_b64 s[14:15], s[2:3]
	s_cbranch_execz .LBB189_188
; %bb.185:
	v_mul_u32_u24_e32 v10, 0x210, v16
	ds_read_b128 v[10:13], v10 offset:6336
	ds_read_b128 v[28:31], v14 offset:6368
	v_cmp_gt_u32_e64 s[12:13], 2, v22
	s_waitcnt lgkmcnt(0)
	v_mul_f64 v[32:33], v[12:13], v[30:31]
	v_mul_f64 v[30:31], v[10:11], v[30:31]
	v_fma_f64 v[10:11], v[10:11], v[28:29], -v[32:33]
	v_fma_f64 v[12:13], v[12:13], v[28:29], v[30:31]
	v_add_f64 v[10:11], v[10:11], 0
	v_add_f64 v[12:13], v[12:13], 0
	s_and_saveexec_b64 s[18:19], s[12:13]
	s_cbranch_execz .LBB189_187
; %bb.186:
	v_lshlrev_b32_e32 v32, 4, v0
	v_mov_b32_e32 v28, 0
	ds_read_b128 v[28:31], v28 offset:6352
	ds_read_b128 v[32:35], v32 offset:6880
	s_waitcnt lgkmcnt(0)
	v_mul_f64 v[36:37], v[30:31], v[34:35]
	v_mul_f64 v[34:35], v[28:29], v[34:35]
	v_fma_f64 v[28:29], v[28:29], v[32:33], -v[36:37]
	v_fma_f64 v[30:31], v[30:31], v[32:33], v[34:35]
	v_add_f64 v[10:11], v[10:11], v[28:29]
	v_add_f64 v[12:13], v[12:13], v[30:31]
.LBB189_187:
	s_or_b64 exec, exec, s[18:19]
	v_xor_b32_e32 v11, 0x80000000, v11
	v_xor_b32_e32 v13, 0x80000000, v13
.LBB189_188:
	s_or_b64 exec, exec, s[14:15]
	s_and_saveexec_b64 s[12:13], s[42:43]
; %bb.189:
	ds_write_b128 v15, v[10:13]
; %bb.190:
	s_or_b64 exec, exec, s[12:13]
	s_waitcnt lgkmcnt(0)
	s_barrier
	s_and_saveexec_b64 s[12:13], s[40:41]
	s_cbranch_execz .LBB189_192
; %bb.191:
	v_mov_b32_e32 v32, 0
	ds_read_b128 v[28:31], v15
	ds_read_b128 v[32:35], v32 offset:7408
	s_waitcnt lgkmcnt(0)
	v_mul_f64 v[36:37], v[30:31], v[34:35]
	v_mul_f64 v[34:35], v[28:29], v[34:35]
	v_fma_f64 v[28:29], v[28:29], v[32:33], -v[36:37]
	v_fma_f64 v[30:31], v[30:31], v[32:33], v[34:35]
	v_add_f64 v[10:11], v[10:11], v[28:29]
	v_add_f64 v[12:13], v[12:13], v[30:31]
.LBB189_192:
	s_or_b64 exec, exec, s[12:13]
	s_barrier
	s_and_saveexec_b64 s[12:13], s[40:41]
; %bb.193:
	ds_write_b128 v15, v[10:13]
; %bb.194:
	s_or_b64 exec, exec, s[12:13]
	s_waitcnt lgkmcnt(0)
	s_barrier
	s_barrier
	s_and_saveexec_b64 s[12:13], s[2:3]
; %bb.195:
	v_xor_b32_e32 v11, 0x80000000, v11
	v_xor_b32_e32 v13, 0x80000000, v13
	ds_write_b128 v14, v[10:13] offset:6368
; %bb.196:
	s_or_b64 exec, exec, s[12:13]
	s_waitcnt lgkmcnt(0)
	s_barrier
	s_barrier
	s_and_saveexec_b64 s[12:13], s[44:45]
	s_cbranch_execz .LBB189_198
; %bb.197:
	v_lshlrev_b32_e32 v28, 9, v0
	ds_read_b128 v[10:13], v28 offset:6368
	s_movk_i32 s14, 0xfe10
	v_mad_i32_i24 v29, v0, s14, v28
	s_waitcnt lgkmcnt(0)
	ds_write_b128 v29, v[10:13] offset:7360
	ds_read_b128 v[10:13], v28 offset:6384
	s_waitcnt lgkmcnt(0)
	ds_write_b128 v29, v[10:13] offset:7872
.LBB189_198:
	s_or_b64 exec, exec, s[12:13]
	s_waitcnt lgkmcnt(0)
	s_barrier
	s_and_saveexec_b64 s[12:13], vcc
	s_cbranch_execz .LBB189_200
; %bb.199:
	v_mov_b32_e32 v32, 0
	s_mov_b32 s64, 0
	ds_read_b128 v[10:13], v32 offset:7408
	s_mov_b32 s65, 0x3ff00000
	s_mov_b32 s66, s64
	;; [unrolled: 1-line block ×3, first 2 shown]
	v_mov_b32_e32 v28, s64
	v_mov_b32_e32 v29, s65
	;; [unrolled: 1-line block ×4, first 2 shown]
	ds_write_b128 v32, v[28:31] offset:7392
	ds_write_b128 v32, v[28:31] offset:7920
	s_waitcnt lgkmcnt(2)
	ds_write_b128 v32, v[10:13] offset:7904
.LBB189_200:
	s_or_b64 exec, exec, s[12:13]
	v_and_b32_e32 v29, 15, v0
	s_movk_i32 s12, 0xff
	v_lshrrev_b32_e32 v31, 4, v22
	v_cmp_lt_u32_e64 s[14:15], s12, v22
	s_movk_i32 s12, 0x100
	v_lshlrev_b32_e32 v30, 4, v29
	v_mov_b32_e32 v12, 0
	v_mov_b32_e32 v10, 0
	v_cmp_gt_u32_e64 s[12:13], s12, v22
	v_mov_b32_e32 v13, 0
	v_mov_b32_e32 v11, 0
	v_lshl_or_b32 v28, v31, 9, v30
	s_waitcnt lgkmcnt(0)
	s_barrier
	s_and_saveexec_b64 s[90:91], s[12:13]
	s_cbranch_execz .LBB189_228
; %bb.201:
	v_mul_u32_u24_e32 v32, 0x210, v31
	ds_read_b128 v[10:13], v32
	ds_read_b128 v[33:36], v28 offset:256
	s_movk_i32 s18, 0xf0
	v_cmp_gt_u32_e64 s[18:19], s18, v22
	s_waitcnt lgkmcnt(0)
	v_mul_f64 v[37:38], v[12:13], v[35:36]
	v_mul_f64 v[35:36], v[10:11], v[35:36]
	v_fma_f64 v[10:11], v[10:11], v[33:34], -v[37:38]
	v_fma_f64 v[12:13], v[12:13], v[33:34], v[35:36]
	v_add_f64 v[10:11], v[10:11], 0
	v_add_f64 v[12:13], v[12:13], 0
	s_and_saveexec_b64 s[92:93], s[18:19]
	s_cbranch_execz .LBB189_203
; %bb.202:
	ds_read_b128 v[33:36], v32 offset:16
	ds_read_b128 v[37:40], v28 offset:768
	s_waitcnt lgkmcnt(0)
	v_mul_f64 v[41:42], v[35:36], v[39:40]
	v_mul_f64 v[39:40], v[33:34], v[39:40]
	v_fma_f64 v[33:34], v[33:34], v[37:38], -v[41:42]
	v_fma_f64 v[35:36], v[35:36], v[37:38], v[39:40]
	v_add_f64 v[10:11], v[10:11], v[33:34]
	v_add_f64 v[12:13], v[12:13], v[35:36]
.LBB189_203:
	s_or_b64 exec, exec, s[92:93]
	s_movk_i32 s18, 0xe0
	v_cmp_gt_u32_e64 s[18:19], s18, v22
	s_and_saveexec_b64 s[92:93], s[18:19]
	s_cbranch_execz .LBB189_205
; %bb.204:
	ds_read_b128 v[33:36], v32 offset:32
	ds_read_b128 v[37:40], v28 offset:1280
	s_waitcnt lgkmcnt(0)
	v_mul_f64 v[41:42], v[35:36], v[39:40]
	v_mul_f64 v[39:40], v[33:34], v[39:40]
	v_fma_f64 v[33:34], v[33:34], v[37:38], -v[41:42]
	v_fma_f64 v[35:36], v[35:36], v[37:38], v[39:40]
	v_add_f64 v[10:11], v[10:11], v[33:34]
	v_add_f64 v[12:13], v[12:13], v[35:36]
.LBB189_205:
	s_or_b64 exec, exec, s[92:93]
	s_movk_i32 s18, 0xd0
	v_cmp_gt_u32_e64 s[18:19], s18, v22
	;; [unrolled: 16-line block ×10, first 2 shown]
	s_and_saveexec_b64 s[92:93], s[18:19]
	s_cbranch_execnz .LBB189_527
; %bb.222:
	s_or_b64 exec, exec, s[92:93]
	v_cmp_gt_u32_e64 s[18:19], 64, v22
	s_and_saveexec_b64 s[92:93], s[18:19]
	s_cbranch_execnz .LBB189_528
.LBB189_223:
	s_or_b64 exec, exec, s[92:93]
	v_cmp_gt_u32_e64 s[18:19], 48, v22
	s_and_saveexec_b64 s[92:93], s[18:19]
	s_cbranch_execnz .LBB189_529
.LBB189_224:
	s_or_b64 exec, exec, s[92:93]
	v_cmp_gt_u32_e64 s[18:19], 32, v22
	s_and_saveexec_b64 s[92:93], s[18:19]
	s_cbranch_execnz .LBB189_530
.LBB189_225:
	s_or_b64 exec, exec, s[92:93]
	v_cmp_gt_u32_e64 s[18:19], 16, v22
	s_and_saveexec_b64 s[92:93], s[18:19]
	s_cbranch_execz .LBB189_227
.LBB189_226:
	v_lshlrev_b32_e32 v36, 4, v0
	v_mov_b32_e32 v32, 0
	ds_read_b128 v[32:35], v32 offset:240
	ds_read_b128 v[36:39], v36 offset:7936
	s_waitcnt lgkmcnt(0)
	v_mul_f64 v[40:41], v[34:35], v[38:39]
	v_mul_f64 v[38:39], v[32:33], v[38:39]
	v_fma_f64 v[32:33], v[32:33], v[36:37], -v[40:41]
	v_fma_f64 v[34:35], v[34:35], v[36:37], v[38:39]
	v_add_f64 v[10:11], v[10:11], v[32:33]
	v_add_f64 v[12:13], v[12:13], v[34:35]
.LBB189_227:
	s_or_b64 exec, exec, s[92:93]
	v_xor_b32_e32 v11, 0x80000000, v11
	v_xor_b32_e32 v13, 0x80000000, v13
.LBB189_228:
	s_or_b64 exec, exec, s[90:91]
	v_mov_b32_e32 v32, 0x4000
	v_cmp_eq_u32_e64 s[18:19], 0, v29
	s_xor_b64 s[90:91], s[14:15], -1
	v_lshl_add_u32 v31, v31, 4, v32
	s_and_b64 s[18:19], s[18:19], s[90:91]
	s_and_saveexec_b64 s[14:15], s[18:19]
; %bb.229:
	ds_write_b128 v31, v[10:13]
; %bb.230:
	s_or_b64 exec, exec, s[14:15]
	v_cmp_ne_u32_e64 s[14:15], 0, v29
	s_and_b64 s[18:19], s[14:15], s[90:91]
	s_waitcnt lgkmcnt(0)
	s_barrier
	s_and_saveexec_b64 s[14:15], s[18:19]
	s_cbranch_execz .LBB189_232
; %bb.231:
	ds_read_b128 v[32:35], v31
	ds_read_b128 v[36:39], v30 offset:8448
	s_waitcnt lgkmcnt(0)
	v_mul_f64 v[40:41], v[34:35], v[38:39]
	v_mul_f64 v[38:39], v[32:33], v[38:39]
	v_fma_f64 v[32:33], v[32:33], v[36:37], -v[40:41]
	v_fma_f64 v[34:35], v[34:35], v[36:37], v[38:39]
	v_add_f64 v[10:11], v[10:11], v[32:33]
	v_add_f64 v[12:13], v[12:13], v[34:35]
.LBB189_232:
	s_or_b64 exec, exec, s[14:15]
	v_cmp_eq_u32_e64 s[14:15], 1, v29
	s_and_b64 s[18:19], s[14:15], s[90:91]
	s_barrier
	s_and_saveexec_b64 s[14:15], s[18:19]
; %bb.233:
	ds_write_b128 v31, v[10:13]
; %bb.234:
	s_or_b64 exec, exec, s[14:15]
	v_cmp_lt_u32_e64 s[14:15], 1, v29
	s_and_b64 s[18:19], s[14:15], s[90:91]
	s_waitcnt lgkmcnt(0)
	s_barrier
	s_and_saveexec_b64 s[14:15], s[18:19]
	s_cbranch_execz .LBB189_236
; %bb.235:
	ds_read_b128 v[32:35], v31
	ds_read_b128 v[36:39], v30 offset:8960
	s_waitcnt lgkmcnt(0)
	v_mul_f64 v[40:41], v[34:35], v[38:39]
	v_mul_f64 v[38:39], v[32:33], v[38:39]
	v_fma_f64 v[32:33], v[32:33], v[36:37], -v[40:41]
	v_fma_f64 v[34:35], v[34:35], v[36:37], v[38:39]
	v_add_f64 v[10:11], v[10:11], v[32:33]
	v_add_f64 v[12:13], v[12:13], v[34:35]
.LBB189_236:
	s_or_b64 exec, exec, s[14:15]
	v_cmp_eq_u32_e64 s[14:15], 2, v29
	s_and_b64 s[18:19], s[14:15], s[90:91]
	s_barrier
	s_and_saveexec_b64 s[14:15], s[18:19]
; %bb.237:
	ds_write_b128 v31, v[10:13]
; %bb.238:
	s_or_b64 exec, exec, s[14:15]
	v_cmp_lt_u32_e64 s[14:15], 2, v29
	;; [unrolled: 26-line block ×13, first 2 shown]
	s_and_b64 s[18:19], s[14:15], s[90:91]
	s_waitcnt lgkmcnt(0)
	s_barrier
	s_and_saveexec_b64 s[14:15], s[18:19]
	s_cbranch_execz .LBB189_284
; %bb.283:
	ds_read_b128 v[32:35], v31
	ds_read_b128 v[36:39], v30 offset:15104
	s_waitcnt lgkmcnt(0)
	v_mul_f64 v[40:41], v[34:35], v[38:39]
	v_mul_f64 v[38:39], v[32:33], v[38:39]
	v_fma_f64 v[32:33], v[32:33], v[36:37], -v[40:41]
	v_fma_f64 v[34:35], v[34:35], v[36:37], v[38:39]
	v_add_f64 v[10:11], v[10:11], v[32:33]
	v_add_f64 v[12:13], v[12:13], v[34:35]
.LBB189_284:
	s_or_b64 exec, exec, s[14:15]
	v_cmp_eq_u32_e64 s[14:15], 14, v29
	s_and_b64 s[18:19], s[14:15], s[90:91]
	s_barrier
	s_and_saveexec_b64 s[14:15], s[18:19]
; %bb.285:
	ds_write_b128 v31, v[10:13]
; %bb.286:
	s_or_b64 exec, exec, s[14:15]
	v_cmp_eq_u32_e64 s[14:15], 15, v29
	s_and_b64 s[14:15], s[14:15], s[90:91]
	s_waitcnt lgkmcnt(0)
	s_barrier
	s_and_saveexec_b64 s[18:19], s[14:15]
	s_cbranch_execz .LBB189_288
; %bb.287:
	v_mov_b32_e32 v29, 0
	ds_read_b128 v[32:35], v31
	ds_read_b128 v[36:39], v29 offset:15856
	s_waitcnt lgkmcnt(0)
	v_mul_f64 v[29:30], v[34:35], v[38:39]
	v_mul_f64 v[38:39], v[32:33], v[38:39]
	v_fma_f64 v[29:30], v[32:33], v[36:37], -v[29:30]
	v_fma_f64 v[32:33], v[34:35], v[36:37], v[38:39]
	v_add_f64 v[10:11], v[10:11], v[29:30]
	v_add_f64 v[12:13], v[12:13], v[32:33]
.LBB189_288:
	s_or_b64 exec, exec, s[18:19]
	s_barrier
	s_and_saveexec_b64 s[18:19], s[14:15]
; %bb.289:
	ds_write_b128 v31, v[10:13]
; %bb.290:
	s_or_b64 exec, exec, s[18:19]
	s_waitcnt lgkmcnt(0)
	s_barrier
	s_barrier
	s_and_saveexec_b64 s[14:15], s[12:13]
; %bb.291:
	v_xor_b32_e32 v13, 0x80000000, v13
	v_xor_b32_e32 v11, 0x80000000, v11
	ds_write_b128 v28, v[10:13] offset:256
; %bb.292:
	s_or_b64 exec, exec, s[14:15]
	v_cmp_gt_u32_e64 s[12:13], 16, v0
	s_and_b64 s[12:13], s[10:11], s[12:13]
	s_waitcnt lgkmcnt(0)
	s_barrier
	s_barrier
	s_and_saveexec_b64 s[10:11], s[12:13]
	s_cbranch_execz .LBB189_294
; %bb.293:
	v_lshlrev_b32_e32 v28, 9, v0
	ds_read_b128 v[10:13], v28 offset:256
	s_movk_i32 s12, 0xfe10
	v_mad_i32_i24 v29, v0, s12, v28
	s_waitcnt lgkmcnt(0)
	ds_write_b128 v29, v[10:13] offset:8192
	ds_read_b128 v[10:13], v28 offset:272
	s_waitcnt lgkmcnt(0)
	ds_write_b128 v29, v[10:13] offset:8704
	ds_read_b128 v[10:13], v28 offset:288
	;; [unrolled: 3-line block ×15, first 2 shown]
	s_waitcnt lgkmcnt(0)
	ds_write_b128 v29, v[10:13] offset:15872
.LBB189_294:
	s_or_b64 exec, exec, s[10:11]
	s_waitcnt lgkmcnt(0)
	s_barrier
	s_and_saveexec_b64 s[10:11], vcc
	s_cbranch_execz .LBB189_296
; %bb.295:
	s_mov_b32 s12, 0
	v_mov_b32_e32 v32, 0
	ds_read_b128 v[10:13], v32 offset:8464
	s_mov_b32 s15, s12
	s_mov_b32 s13, 0x3ff00000
	;; [unrolled: 1-line block ×3, first 2 shown]
	v_mov_b32_e32 v31, s15
	v_mov_b32_e32 v30, s14
	;; [unrolled: 1-line block ×4, first 2 shown]
	ds_write_b128 v32, v[28:31] offset:8448
	ds_write_b128 v32, v[28:31] offset:8976
	s_waitcnt lgkmcnt(2)
	ds_write_b128 v32, v[10:13] offset:8960
.LBB189_296:
	s_or_b64 exec, exec, s[10:11]
	v_mov_b32_e32 v12, 0
	v_mov_b32_e32 v10, 0
	;; [unrolled: 1-line block ×4, first 2 shown]
	s_waitcnt lgkmcnt(0)
	s_barrier
	s_and_saveexec_b64 s[12:13], s[2:3]
	s_cbranch_execz .LBB189_300
; %bb.297:
	v_mul_u32_u24_e32 v10, 0x210, v16
	ds_read_b128 v[10:13], v10 offset:8448
	ds_read_b128 v[28:31], v14 offset:8480
	v_cmp_gt_u32_e64 s[10:11], 2, v22
	s_waitcnt lgkmcnt(0)
	v_mul_f64 v[32:33], v[12:13], v[30:31]
	v_mul_f64 v[30:31], v[10:11], v[30:31]
	v_fma_f64 v[10:11], v[10:11], v[28:29], -v[32:33]
	v_fma_f64 v[12:13], v[12:13], v[28:29], v[30:31]
	v_add_f64 v[10:11], v[10:11], 0
	v_add_f64 v[12:13], v[12:13], 0
	s_and_saveexec_b64 s[14:15], s[10:11]
	s_cbranch_execz .LBB189_299
; %bb.298:
	v_lshlrev_b32_e32 v32, 4, v0
	v_mov_b32_e32 v28, 0
	ds_read_b128 v[28:31], v28 offset:8464
	ds_read_b128 v[32:35], v32 offset:8992
	s_waitcnt lgkmcnt(0)
	v_mul_f64 v[36:37], v[30:31], v[34:35]
	v_mul_f64 v[34:35], v[28:29], v[34:35]
	v_fma_f64 v[28:29], v[28:29], v[32:33], -v[36:37]
	v_fma_f64 v[30:31], v[30:31], v[32:33], v[34:35]
	v_add_f64 v[10:11], v[10:11], v[28:29]
	v_add_f64 v[12:13], v[12:13], v[30:31]
.LBB189_299:
	s_or_b64 exec, exec, s[14:15]
	v_xor_b32_e32 v11, 0x80000000, v11
	v_xor_b32_e32 v13, 0x80000000, v13
.LBB189_300:
	s_or_b64 exec, exec, s[12:13]
	s_and_saveexec_b64 s[10:11], s[42:43]
; %bb.301:
	ds_write_b128 v15, v[10:13]
; %bb.302:
	s_or_b64 exec, exec, s[10:11]
	s_waitcnt lgkmcnt(0)
	s_barrier
	s_and_saveexec_b64 s[10:11], s[40:41]
	s_cbranch_execz .LBB189_304
; %bb.303:
	v_mov_b32_e32 v32, 0
	ds_read_b128 v[28:31], v15
	ds_read_b128 v[32:35], v32 offset:9520
	s_waitcnt lgkmcnt(0)
	v_mul_f64 v[36:37], v[30:31], v[34:35]
	v_mul_f64 v[34:35], v[28:29], v[34:35]
	v_fma_f64 v[28:29], v[28:29], v[32:33], -v[36:37]
	v_fma_f64 v[30:31], v[30:31], v[32:33], v[34:35]
	v_add_f64 v[10:11], v[10:11], v[28:29]
	v_add_f64 v[12:13], v[12:13], v[30:31]
.LBB189_304:
	s_or_b64 exec, exec, s[10:11]
	s_barrier
	s_and_saveexec_b64 s[10:11], s[40:41]
; %bb.305:
	ds_write_b128 v15, v[10:13]
; %bb.306:
	s_or_b64 exec, exec, s[10:11]
	s_waitcnt lgkmcnt(0)
	s_barrier
	s_barrier
	s_and_saveexec_b64 s[10:11], s[2:3]
; %bb.307:
	v_xor_b32_e32 v11, 0x80000000, v11
	v_xor_b32_e32 v13, 0x80000000, v13
	ds_write_b128 v14, v[10:13] offset:8480
; %bb.308:
	s_or_b64 exec, exec, s[10:11]
	s_waitcnt lgkmcnt(0)
	s_barrier
	s_barrier
	s_and_saveexec_b64 s[10:11], s[44:45]
	s_cbranch_execz .LBB189_310
; %bb.309:
	v_lshlrev_b32_e32 v28, 9, v0
	ds_read_b128 v[10:13], v28 offset:8480
	s_movk_i32 s12, 0xfe10
	v_mad_i32_i24 v29, v0, s12, v28
	s_waitcnt lgkmcnt(0)
	ds_write_b128 v29, v[10:13] offset:9472
	ds_read_b128 v[10:13], v28 offset:8496
	s_waitcnt lgkmcnt(0)
	ds_write_b128 v29, v[10:13] offset:9984
.LBB189_310:
	s_or_b64 exec, exec, s[10:11]
	s_waitcnt lgkmcnt(0)
	s_barrier
	s_and_saveexec_b64 s[10:11], vcc
	s_cbranch_execz .LBB189_312
; %bb.311:
	s_mov_b32 s12, 0
	v_mov_b32_e32 v32, 0
	ds_read_b128 v[10:13], v32 offset:9520
	s_mov_b32 s15, s12
	s_mov_b32 s13, 0x3ff00000
	;; [unrolled: 1-line block ×3, first 2 shown]
	v_mov_b32_e32 v31, s15
	v_mov_b32_e32 v30, s14
	;; [unrolled: 1-line block ×4, first 2 shown]
	ds_write_b128 v32, v[28:31] offset:9504
	ds_write_b128 v32, v[28:31] offset:10032
	s_waitcnt lgkmcnt(2)
	ds_write_b128 v32, v[10:13] offset:10016
.LBB189_312:
	s_or_b64 exec, exec, s[10:11]
	v_mov_b32_e32 v12, 0
	v_mov_b32_e32 v10, 0
	;; [unrolled: 1-line block ×4, first 2 shown]
	s_waitcnt lgkmcnt(0)
	s_barrier
	s_and_saveexec_b64 s[12:13], s[16:17]
	s_cbranch_execz .LBB189_318
; %bb.313:
	v_mul_u32_u24_e32 v28, 0x210, v21
	ds_read_b128 v[10:13], v28 offset:8448
	ds_read_b128 v[29:32], v17 offset:8512
	v_cmp_gt_u32_e64 s[10:11], 12, v22
	s_waitcnt lgkmcnt(0)
	v_mul_f64 v[33:34], v[12:13], v[31:32]
	v_mul_f64 v[31:32], v[10:11], v[31:32]
	v_fma_f64 v[10:11], v[10:11], v[29:30], -v[33:34]
	v_fma_f64 v[12:13], v[12:13], v[29:30], v[31:32]
	v_add_f64 v[10:11], v[10:11], 0
	v_add_f64 v[12:13], v[12:13], 0
	s_and_saveexec_b64 s[14:15], s[10:11]
	s_cbranch_execnz .LBB189_531
; %bb.314:
	s_or_b64 exec, exec, s[14:15]
	v_cmp_gt_u32_e64 s[10:11], 8, v22
	s_and_saveexec_b64 s[14:15], s[10:11]
	s_cbranch_execnz .LBB189_532
.LBB189_315:
	s_or_b64 exec, exec, s[14:15]
	v_cmp_gt_u32_e64 s[10:11], 4, v22
	s_and_saveexec_b64 s[14:15], s[10:11]
	s_cbranch_execz .LBB189_317
.LBB189_316:
	v_lshlrev_b32_e32 v32, 4, v0
	v_mov_b32_e32 v28, 0
	ds_read_b128 v[28:31], v28 offset:8496
	ds_read_b128 v[32:35], v32 offset:10048
	s_waitcnt lgkmcnt(0)
	v_mul_f64 v[36:37], v[30:31], v[34:35]
	v_mul_f64 v[34:35], v[28:29], v[34:35]
	v_fma_f64 v[28:29], v[28:29], v[32:33], -v[36:37]
	v_fma_f64 v[30:31], v[30:31], v[32:33], v[34:35]
	v_add_f64 v[10:11], v[10:11], v[28:29]
	v_add_f64 v[12:13], v[12:13], v[30:31]
.LBB189_317:
	s_or_b64 exec, exec, s[14:15]
	v_xor_b32_e32 v11, 0x80000000, v11
	v_xor_b32_e32 v13, 0x80000000, v13
.LBB189_318:
	s_or_b64 exec, exec, s[12:13]
	s_and_saveexec_b64 s[10:11], s[48:49]
; %bb.319:
	ds_write_b128 v19, v[10:13]
; %bb.320:
	s_or_b64 exec, exec, s[10:11]
	s_waitcnt lgkmcnt(0)
	s_barrier
	s_and_saveexec_b64 s[10:11], s[50:51]
	s_cbranch_execz .LBB189_322
; %bb.321:
	ds_read_b128 v[28:31], v19
	ds_read_b128 v[32:35], v18 offset:10560
	s_waitcnt lgkmcnt(0)
	v_mul_f64 v[36:37], v[30:31], v[34:35]
	v_mul_f64 v[34:35], v[28:29], v[34:35]
	v_fma_f64 v[28:29], v[28:29], v[32:33], -v[36:37]
	v_fma_f64 v[30:31], v[30:31], v[32:33], v[34:35]
	v_add_f64 v[10:11], v[10:11], v[28:29]
	v_add_f64 v[12:13], v[12:13], v[30:31]
.LBB189_322:
	s_or_b64 exec, exec, s[10:11]
	s_barrier
	s_and_saveexec_b64 s[10:11], s[52:53]
; %bb.323:
	ds_write_b128 v19, v[10:13]
; %bb.324:
	s_or_b64 exec, exec, s[10:11]
	s_waitcnt lgkmcnt(0)
	s_barrier
	s_and_saveexec_b64 s[10:11], s[54:55]
	s_cbranch_execz .LBB189_326
; %bb.325:
	ds_read_b128 v[28:31], v19
	ds_read_b128 v[32:35], v18 offset:11072
	s_waitcnt lgkmcnt(0)
	v_mul_f64 v[36:37], v[30:31], v[34:35]
	v_mul_f64 v[34:35], v[28:29], v[34:35]
	v_fma_f64 v[28:29], v[28:29], v[32:33], -v[36:37]
	v_fma_f64 v[30:31], v[30:31], v[32:33], v[34:35]
	v_add_f64 v[10:11], v[10:11], v[28:29]
	v_add_f64 v[12:13], v[12:13], v[30:31]
.LBB189_326:
	s_or_b64 exec, exec, s[10:11]
	s_barrier
	s_and_saveexec_b64 s[10:11], s[56:57]
; %bb.327:
	ds_write_b128 v19, v[10:13]
; %bb.328:
	s_or_b64 exec, exec, s[10:11]
	s_waitcnt lgkmcnt(0)
	s_barrier
	s_and_saveexec_b64 s[10:11], s[46:47]
	s_cbranch_execz .LBB189_330
; %bb.329:
	v_mov_b32_e32 v32, 0
	ds_read_b128 v[28:31], v19
	ds_read_b128 v[32:35], v32 offset:11632
	s_waitcnt lgkmcnt(0)
	v_mul_f64 v[36:37], v[30:31], v[34:35]
	v_mul_f64 v[34:35], v[28:29], v[34:35]
	v_fma_f64 v[28:29], v[28:29], v[32:33], -v[36:37]
	v_fma_f64 v[30:31], v[30:31], v[32:33], v[34:35]
	v_add_f64 v[10:11], v[10:11], v[28:29]
	v_add_f64 v[12:13], v[12:13], v[30:31]
.LBB189_330:
	s_or_b64 exec, exec, s[10:11]
	s_barrier
	s_and_saveexec_b64 s[10:11], s[46:47]
; %bb.331:
	ds_write_b128 v19, v[10:13]
; %bb.332:
	s_or_b64 exec, exec, s[10:11]
	s_waitcnt lgkmcnt(0)
	s_barrier
	s_barrier
	s_and_saveexec_b64 s[10:11], s[16:17]
; %bb.333:
	v_xor_b32_e32 v13, 0x80000000, v13
	v_xor_b32_e32 v11, 0x80000000, v11
	ds_write_b128 v17, v[10:13] offset:8512
; %bb.334:
	s_or_b64 exec, exec, s[10:11]
	s_waitcnt lgkmcnt(0)
	s_barrier
	s_barrier
	s_and_saveexec_b64 s[10:11], s[58:59]
	s_cbranch_execz .LBB189_336
; %bb.335:
	v_lshlrev_b32_e32 v28, 4, v0
	s_movk_i32 s12, 0x1f0
	v_mad_u32_u24 v29, v0, s12, v28
	ds_read_b128 v[10:13], v29 offset:8512
	s_waitcnt lgkmcnt(0)
	ds_write_b128 v28, v[10:13] offset:10496
	ds_read_b128 v[10:13], v29 offset:8528
	s_waitcnt lgkmcnt(0)
	ds_write_b128 v28, v[10:13] offset:11008
	;; [unrolled: 3-line block ×4, first 2 shown]
.LBB189_336:
	s_or_b64 exec, exec, s[10:11]
	s_waitcnt lgkmcnt(0)
	s_barrier
	s_and_saveexec_b64 s[10:11], vcc
	s_cbranch_execz .LBB189_338
; %bb.337:
	s_mov_b32 s12, 0
	v_mov_b32_e32 v32, 0
	ds_read_b128 v[10:13], v32 offset:10576
	s_mov_b32 s15, s12
	s_mov_b32 s13, 0x3ff00000
	;; [unrolled: 1-line block ×3, first 2 shown]
	v_mov_b32_e32 v31, s15
	v_mov_b32_e32 v30, s14
	v_mov_b32_e32 v29, s13
	v_mov_b32_e32 v28, s12
	ds_write_b128 v32, v[28:31] offset:10560
	ds_write_b128 v32, v[28:31] offset:11088
	s_waitcnt lgkmcnt(2)
	ds_write_b128 v32, v[10:13] offset:11072
.LBB189_338:
	s_or_b64 exec, exec, s[10:11]
	v_mov_b32_e32 v12, 0
	v_mov_b32_e32 v10, 0
	v_mov_b32_e32 v13, 0
	v_mov_b32_e32 v11, 0
	s_waitcnt lgkmcnt(0)
	s_barrier
	s_and_saveexec_b64 s[12:13], s[2:3]
	s_cbranch_execz .LBB189_342
; %bb.339:
	v_mul_u32_u24_e32 v10, 0x210, v16
	ds_read_b128 v[10:13], v10 offset:10560
	ds_read_b128 v[28:31], v14 offset:10592
	v_cmp_gt_u32_e64 s[10:11], 2, v22
	s_waitcnt lgkmcnt(0)
	v_mul_f64 v[32:33], v[12:13], v[30:31]
	v_mul_f64 v[30:31], v[10:11], v[30:31]
	v_fma_f64 v[10:11], v[10:11], v[28:29], -v[32:33]
	v_fma_f64 v[12:13], v[12:13], v[28:29], v[30:31]
	v_add_f64 v[10:11], v[10:11], 0
	v_add_f64 v[12:13], v[12:13], 0
	s_and_saveexec_b64 s[14:15], s[10:11]
	s_cbranch_execz .LBB189_341
; %bb.340:
	v_lshlrev_b32_e32 v32, 4, v0
	v_mov_b32_e32 v28, 0
	ds_read_b128 v[28:31], v28 offset:10576
	ds_read_b128 v[32:35], v32 offset:11104
	s_waitcnt lgkmcnt(0)
	v_mul_f64 v[36:37], v[30:31], v[34:35]
	v_mul_f64 v[34:35], v[28:29], v[34:35]
	v_fma_f64 v[28:29], v[28:29], v[32:33], -v[36:37]
	v_fma_f64 v[30:31], v[30:31], v[32:33], v[34:35]
	v_add_f64 v[10:11], v[10:11], v[28:29]
	v_add_f64 v[12:13], v[12:13], v[30:31]
.LBB189_341:
	s_or_b64 exec, exec, s[14:15]
	v_xor_b32_e32 v11, 0x80000000, v11
	v_xor_b32_e32 v13, 0x80000000, v13
.LBB189_342:
	s_or_b64 exec, exec, s[12:13]
	s_and_saveexec_b64 s[10:11], s[42:43]
; %bb.343:
	ds_write_b128 v15, v[10:13]
; %bb.344:
	s_or_b64 exec, exec, s[10:11]
	s_waitcnt lgkmcnt(0)
	s_barrier
	s_and_saveexec_b64 s[10:11], s[40:41]
	s_cbranch_execz .LBB189_346
; %bb.345:
	v_mov_b32_e32 v32, 0
	ds_read_b128 v[28:31], v15
	ds_read_b128 v[32:35], v32 offset:11632
	s_waitcnt lgkmcnt(0)
	v_mul_f64 v[36:37], v[30:31], v[34:35]
	v_mul_f64 v[34:35], v[28:29], v[34:35]
	v_fma_f64 v[28:29], v[28:29], v[32:33], -v[36:37]
	v_fma_f64 v[30:31], v[30:31], v[32:33], v[34:35]
	v_add_f64 v[10:11], v[10:11], v[28:29]
	v_add_f64 v[12:13], v[12:13], v[30:31]
.LBB189_346:
	s_or_b64 exec, exec, s[10:11]
	s_barrier
	s_and_saveexec_b64 s[10:11], s[40:41]
; %bb.347:
	ds_write_b128 v15, v[10:13]
; %bb.348:
	s_or_b64 exec, exec, s[10:11]
	s_waitcnt lgkmcnt(0)
	s_barrier
	s_barrier
	s_and_saveexec_b64 s[10:11], s[2:3]
; %bb.349:
	v_xor_b32_e32 v11, 0x80000000, v11
	v_xor_b32_e32 v13, 0x80000000, v13
	ds_write_b128 v14, v[10:13] offset:10592
; %bb.350:
	s_or_b64 exec, exec, s[10:11]
	s_waitcnt lgkmcnt(0)
	s_barrier
	s_barrier
	s_and_saveexec_b64 s[10:11], s[44:45]
	s_cbranch_execz .LBB189_352
; %bb.351:
	v_lshlrev_b32_e32 v28, 9, v0
	ds_read_b128 v[10:13], v28 offset:10592
	s_movk_i32 s12, 0xfe10
	v_mad_i32_i24 v29, v0, s12, v28
	s_waitcnt lgkmcnt(0)
	ds_write_b128 v29, v[10:13] offset:11584
	ds_read_b128 v[10:13], v28 offset:10608
	s_waitcnt lgkmcnt(0)
	ds_write_b128 v29, v[10:13] offset:12096
.LBB189_352:
	s_or_b64 exec, exec, s[10:11]
	s_waitcnt lgkmcnt(0)
	s_barrier
	s_and_saveexec_b64 s[10:11], vcc
	s_cbranch_execz .LBB189_354
; %bb.353:
	s_mov_b32 s12, 0
	v_mov_b32_e32 v32, 0
	ds_read_b128 v[10:13], v32 offset:11632
	s_mov_b32 s15, s12
	s_mov_b32 s13, 0x3ff00000
	;; [unrolled: 1-line block ×3, first 2 shown]
	v_mov_b32_e32 v31, s15
	v_mov_b32_e32 v30, s14
	;; [unrolled: 1-line block ×4, first 2 shown]
	ds_write_b128 v32, v[28:31] offset:11616
	ds_write_b128 v32, v[28:31] offset:12144
	s_waitcnt lgkmcnt(2)
	ds_write_b128 v32, v[10:13] offset:12128
.LBB189_354:
	s_or_b64 exec, exec, s[10:11]
	v_mov_b32_e32 v12, 0
	v_mov_b32_e32 v10, 0
	;; [unrolled: 1-line block ×4, first 2 shown]
	s_waitcnt lgkmcnt(0)
	s_barrier
	s_and_saveexec_b64 s[12:13], s[8:9]
	s_cbranch_execz .LBB189_364
; %bb.355:
	v_mul_u32_u24_e32 v28, 0x210, v27
	ds_read_b128 v[10:13], v28 offset:8448
	ds_read_b128 v[29:32], v23 offset:8576
	v_cmp_gt_u32_e64 s[10:11], 56, v22
	s_waitcnt lgkmcnt(0)
	v_mul_f64 v[33:34], v[12:13], v[31:32]
	v_mul_f64 v[31:32], v[10:11], v[31:32]
	v_fma_f64 v[10:11], v[10:11], v[29:30], -v[33:34]
	v_fma_f64 v[12:13], v[12:13], v[29:30], v[31:32]
	v_add_f64 v[10:11], v[10:11], 0
	v_add_f64 v[12:13], v[12:13], 0
	s_and_saveexec_b64 s[14:15], s[10:11]
	s_cbranch_execnz .LBB189_533
; %bb.356:
	s_or_b64 exec, exec, s[14:15]
	v_cmp_gt_u32_e64 s[10:11], 48, v22
	s_and_saveexec_b64 s[14:15], s[10:11]
	s_cbranch_execnz .LBB189_534
.LBB189_357:
	s_or_b64 exec, exec, s[14:15]
	v_cmp_gt_u32_e64 s[10:11], 40, v22
	s_and_saveexec_b64 s[14:15], s[10:11]
	s_cbranch_execnz .LBB189_535
.LBB189_358:
	s_or_b64 exec, exec, s[14:15]
	v_cmp_gt_u32_e64 s[10:11], 32, v22
	s_and_saveexec_b64 s[14:15], s[10:11]
	s_cbranch_execnz .LBB189_536
.LBB189_359:
	s_or_b64 exec, exec, s[14:15]
	v_cmp_gt_u32_e64 s[10:11], 24, v22
	s_and_saveexec_b64 s[14:15], s[10:11]
	s_cbranch_execnz .LBB189_537
.LBB189_360:
	s_or_b64 exec, exec, s[14:15]
	v_cmp_gt_u32_e64 s[10:11], 16, v22
	s_and_saveexec_b64 s[14:15], s[10:11]
	s_cbranch_execnz .LBB189_538
.LBB189_361:
	s_or_b64 exec, exec, s[14:15]
	v_cmp_gt_u32_e64 s[10:11], 8, v22
	s_and_saveexec_b64 s[14:15], s[10:11]
	s_cbranch_execz .LBB189_363
.LBB189_362:
	v_lshlrev_b32_e32 v30, 4, v0
	v_mov_b32_e32 v26, 0
	ds_read_b128 v[26:29], v26 offset:8560
	ds_read_b128 v[30:33], v30 offset:12160
	s_waitcnt lgkmcnt(0)
	v_mul_f64 v[34:35], v[28:29], v[32:33]
	v_mul_f64 v[32:33], v[26:27], v[32:33]
	v_fma_f64 v[26:27], v[26:27], v[30:31], -v[34:35]
	v_fma_f64 v[28:29], v[28:29], v[30:31], v[32:33]
	v_add_f64 v[10:11], v[10:11], v[26:27]
	v_add_f64 v[12:13], v[12:13], v[28:29]
.LBB189_363:
	s_or_b64 exec, exec, s[14:15]
	v_xor_b32_e32 v11, 0x80000000, v11
	v_xor_b32_e32 v13, 0x80000000, v13
.LBB189_364:
	s_or_b64 exec, exec, s[12:13]
	s_mov_b64 s[10:11], exec
	v_readlane_b32 s12, v43, 2
	v_readlane_b32 s13, v43, 3
	s_and_b64 s[12:13], s[10:11], s[12:13]
	s_mov_b64 exec, s[12:13]
; %bb.365:
	ds_write_b128 v25, v[10:13]
; %bb.366:
	s_or_b64 exec, exec, s[10:11]
	s_waitcnt lgkmcnt(0)
	s_barrier
	s_mov_b64 s[10:11], exec
	v_readlane_b32 s12, v43, 4
	v_readlane_b32 s13, v43, 5
	s_and_b64 s[12:13], s[10:11], s[12:13]
	s_mov_b64 exec, s[12:13]
	s_cbranch_execz .LBB189_368
; %bb.367:
	ds_read_b128 v[26:29], v25
	ds_read_b128 v[30:33], v24 offset:12672
	s_waitcnt lgkmcnt(0)
	v_mul_f64 v[34:35], v[28:29], v[32:33]
	v_mul_f64 v[32:33], v[26:27], v[32:33]
	v_fma_f64 v[26:27], v[26:27], v[30:31], -v[34:35]
	v_fma_f64 v[28:29], v[28:29], v[30:31], v[32:33]
	v_add_f64 v[10:11], v[10:11], v[26:27]
	v_add_f64 v[12:13], v[12:13], v[28:29]
.LBB189_368:
	s_or_b64 exec, exec, s[10:11]
	s_barrier
	s_and_saveexec_b64 s[10:11], s[0:1]
; %bb.369:
	ds_write_b128 v25, v[10:13]
; %bb.370:
	s_or_b64 exec, exec, s[10:11]
	s_waitcnt lgkmcnt(0)
	s_barrier
	s_and_saveexec_b64 s[10:11], s[68:69]
	s_cbranch_execz .LBB189_372
; %bb.371:
	ds_read_b128 v[26:29], v25
	ds_read_b128 v[30:33], v24 offset:13184
	s_waitcnt lgkmcnt(0)
	v_mul_f64 v[34:35], v[28:29], v[32:33]
	v_mul_f64 v[32:33], v[26:27], v[32:33]
	v_fma_f64 v[26:27], v[26:27], v[30:31], -v[34:35]
	v_fma_f64 v[28:29], v[28:29], v[30:31], v[32:33]
	v_add_f64 v[10:11], v[10:11], v[26:27]
	v_add_f64 v[12:13], v[12:13], v[28:29]
.LBB189_372:
	s_or_b64 exec, exec, s[10:11]
	s_barrier
	s_and_saveexec_b64 s[10:11], s[70:71]
; %bb.373:
	ds_write_b128 v25, v[10:13]
; %bb.374:
	s_or_b64 exec, exec, s[10:11]
	s_waitcnt lgkmcnt(0)
	s_barrier
	s_and_saveexec_b64 s[10:11], s[72:73]
	;; [unrolled: 22-line block ×6, first 2 shown]
	s_cbranch_execz .LBB189_392
; %bb.391:
	v_mov_b32_e32 v24, 0
	ds_read_b128 v[26:29], v25
	ds_read_b128 v[30:33], v24 offset:15856
	s_waitcnt lgkmcnt(0)
	v_mul_f64 v[34:35], v[28:29], v[32:33]
	v_mul_f64 v[32:33], v[26:27], v[32:33]
	v_fma_f64 v[26:27], v[26:27], v[30:31], -v[34:35]
	v_fma_f64 v[28:29], v[28:29], v[30:31], v[32:33]
	v_add_f64 v[10:11], v[10:11], v[26:27]
	v_add_f64 v[12:13], v[12:13], v[28:29]
.LBB189_392:
	s_or_b64 exec, exec, s[10:11]
	s_barrier
	s_and_saveexec_b64 s[10:11], s[60:61]
; %bb.393:
	ds_write_b128 v25, v[10:13]
; %bb.394:
	s_or_b64 exec, exec, s[10:11]
	s_waitcnt lgkmcnt(0)
	s_barrier
	s_barrier
	s_and_saveexec_b64 s[10:11], s[8:9]
; %bb.395:
	v_xor_b32_e32 v11, 0x80000000, v11
	v_xor_b32_e32 v13, 0x80000000, v13
	ds_write_b128 v23, v[10:13] offset:8576
; %bb.396:
	s_or_b64 exec, exec, s[10:11]
	s_waitcnt lgkmcnt(0)
	s_barrier
	s_barrier
	s_and_saveexec_b64 s[8:9], s[88:89]
	s_cbranch_execz .LBB189_398
; %bb.397:
	v_lshlrev_b32_e32 v23, 9, v0
	ds_read_b128 v[10:13], v23 offset:8576
	s_movk_i32 s0, 0xfe10
	v_mad_i32_i24 v24, v0, s0, v23
	s_waitcnt lgkmcnt(0)
	ds_write_b128 v24, v[10:13] offset:12544
	ds_read_b128 v[10:13], v23 offset:8592
	s_waitcnt lgkmcnt(0)
	ds_write_b128 v24, v[10:13] offset:13056
	ds_read_b128 v[10:13], v23 offset:8608
	;; [unrolled: 3-line block ×7, first 2 shown]
	s_waitcnt lgkmcnt(0)
	ds_write_b128 v24, v[10:13] offset:16128
.LBB189_398:
	s_or_b64 exec, exec, s[8:9]
	s_waitcnt lgkmcnt(0)
	s_barrier
	s_and_saveexec_b64 s[8:9], vcc
	s_cbranch_execz .LBB189_400
; %bb.399:
	s_mov_b32 s12, 0
	v_mov_b32_e32 v27, 0
	ds_read_b128 v[10:13], v27 offset:12688
	s_mov_b32 s15, s12
	s_mov_b32 s13, 0x3ff00000
	;; [unrolled: 1-line block ×3, first 2 shown]
	v_mov_b32_e32 v26, s15
	v_mov_b32_e32 v25, s14
	;; [unrolled: 1-line block ×4, first 2 shown]
	ds_write_b128 v27, v[23:26] offset:12672
	ds_write_b128 v27, v[23:26] offset:13200
	s_waitcnt lgkmcnt(2)
	ds_write_b128 v27, v[10:13] offset:13184
.LBB189_400:
	s_or_b64 exec, exec, s[8:9]
	v_mov_b32_e32 v12, 0
	v_mov_b32_e32 v10, 0
	;; [unrolled: 1-line block ×4, first 2 shown]
	s_waitcnt lgkmcnt(0)
	s_barrier
	s_and_saveexec_b64 s[10:11], s[2:3]
	s_cbranch_execz .LBB189_404
; %bb.401:
	v_mul_u32_u24_e32 v10, 0x210, v16
	ds_read_b128 v[10:13], v10 offset:12672
	ds_read_b128 v[23:26], v14 offset:12704
	v_cmp_gt_u32_e64 s[8:9], 2, v22
	s_waitcnt lgkmcnt(0)
	v_mul_f64 v[27:28], v[12:13], v[25:26]
	v_mul_f64 v[25:26], v[10:11], v[25:26]
	v_fma_f64 v[10:11], v[10:11], v[23:24], -v[27:28]
	v_fma_f64 v[12:13], v[12:13], v[23:24], v[25:26]
	v_add_f64 v[10:11], v[10:11], 0
	v_add_f64 v[12:13], v[12:13], 0
	s_and_saveexec_b64 s[12:13], s[8:9]
	s_cbranch_execz .LBB189_403
; %bb.402:
	v_lshlrev_b32_e32 v27, 4, v0
	v_mov_b32_e32 v23, 0
	ds_read_b128 v[23:26], v23 offset:12688
	ds_read_b128 v[27:30], v27 offset:13216
	s_waitcnt lgkmcnt(0)
	v_mul_f64 v[31:32], v[25:26], v[29:30]
	v_mul_f64 v[29:30], v[23:24], v[29:30]
	v_fma_f64 v[23:24], v[23:24], v[27:28], -v[31:32]
	v_fma_f64 v[25:26], v[25:26], v[27:28], v[29:30]
	v_add_f64 v[10:11], v[10:11], v[23:24]
	v_add_f64 v[12:13], v[12:13], v[25:26]
.LBB189_403:
	s_or_b64 exec, exec, s[12:13]
	v_xor_b32_e32 v11, 0x80000000, v11
	v_xor_b32_e32 v13, 0x80000000, v13
.LBB189_404:
	s_or_b64 exec, exec, s[10:11]
	s_and_saveexec_b64 s[8:9], s[42:43]
; %bb.405:
	ds_write_b128 v15, v[10:13]
; %bb.406:
	s_or_b64 exec, exec, s[8:9]
	s_waitcnt lgkmcnt(0)
	s_barrier
	s_and_saveexec_b64 s[8:9], s[40:41]
	s_cbranch_execz .LBB189_408
; %bb.407:
	v_mov_b32_e32 v27, 0
	ds_read_b128 v[23:26], v15
	ds_read_b128 v[27:30], v27 offset:13744
	s_waitcnt lgkmcnt(0)
	v_mul_f64 v[31:32], v[25:26], v[29:30]
	v_mul_f64 v[29:30], v[23:24], v[29:30]
	v_fma_f64 v[23:24], v[23:24], v[27:28], -v[31:32]
	v_fma_f64 v[25:26], v[25:26], v[27:28], v[29:30]
	v_add_f64 v[10:11], v[10:11], v[23:24]
	v_add_f64 v[12:13], v[12:13], v[25:26]
.LBB189_408:
	s_or_b64 exec, exec, s[8:9]
	s_barrier
	s_and_saveexec_b64 s[8:9], s[40:41]
; %bb.409:
	ds_write_b128 v15, v[10:13]
; %bb.410:
	s_or_b64 exec, exec, s[8:9]
	s_waitcnt lgkmcnt(0)
	s_barrier
	s_barrier
	s_and_saveexec_b64 s[8:9], s[2:3]
; %bb.411:
	v_xor_b32_e32 v11, 0x80000000, v11
	v_xor_b32_e32 v13, 0x80000000, v13
	ds_write_b128 v14, v[10:13] offset:12704
; %bb.412:
	s_or_b64 exec, exec, s[8:9]
	s_waitcnt lgkmcnt(0)
	s_barrier
	s_barrier
	s_and_saveexec_b64 s[8:9], s[44:45]
	s_cbranch_execz .LBB189_414
; %bb.413:
	v_lshlrev_b32_e32 v23, 9, v0
	ds_read_b128 v[10:13], v23 offset:12704
	s_movk_i32 s0, 0xfe10
	v_mad_i32_i24 v24, v0, s0, v23
	s_waitcnt lgkmcnt(0)
	ds_write_b128 v24, v[10:13] offset:13696
	ds_read_b128 v[10:13], v23 offset:12720
	s_waitcnt lgkmcnt(0)
	ds_write_b128 v24, v[10:13] offset:14208
.LBB189_414:
	s_or_b64 exec, exec, s[8:9]
	s_waitcnt lgkmcnt(0)
	s_barrier
	s_and_saveexec_b64 s[8:9], vcc
	s_cbranch_execz .LBB189_416
; %bb.415:
	s_mov_b32 s12, 0
	v_mov_b32_e32 v27, 0
	ds_read_b128 v[10:13], v27 offset:13744
	s_mov_b32 s15, s12
	s_mov_b32 s13, 0x3ff00000
	;; [unrolled: 1-line block ×3, first 2 shown]
	v_mov_b32_e32 v26, s15
	v_mov_b32_e32 v25, s14
	;; [unrolled: 1-line block ×4, first 2 shown]
	ds_write_b128 v27, v[23:26] offset:13728
	ds_write_b128 v27, v[23:26] offset:14256
	s_waitcnt lgkmcnt(2)
	ds_write_b128 v27, v[10:13] offset:14240
.LBB189_416:
	s_or_b64 exec, exec, s[8:9]
	v_mov_b32_e32 v12, 0
	v_mov_b32_e32 v10, 0
	;; [unrolled: 1-line block ×4, first 2 shown]
	s_waitcnt lgkmcnt(0)
	s_barrier
	s_and_saveexec_b64 s[10:11], s[16:17]
	s_cbranch_execz .LBB189_422
; %bb.417:
	v_mul_u32_u24_e32 v23, 0x210, v21
	ds_read_b128 v[10:13], v23 offset:12672
	ds_read_b128 v[24:27], v17 offset:12736
	v_cmp_gt_u32_e64 s[8:9], 12, v22
	s_waitcnt lgkmcnt(0)
	v_mul_f64 v[28:29], v[12:13], v[26:27]
	v_mul_f64 v[26:27], v[10:11], v[26:27]
	v_fma_f64 v[10:11], v[10:11], v[24:25], -v[28:29]
	v_fma_f64 v[12:13], v[12:13], v[24:25], v[26:27]
	v_add_f64 v[10:11], v[10:11], 0
	v_add_f64 v[12:13], v[12:13], 0
	s_and_saveexec_b64 s[12:13], s[8:9]
	s_cbranch_execnz .LBB189_539
; %bb.418:
	s_or_b64 exec, exec, s[12:13]
	v_cmp_gt_u32_e64 s[8:9], 8, v22
	s_and_saveexec_b64 s[12:13], s[8:9]
	s_cbranch_execnz .LBB189_540
.LBB189_419:
	s_or_b64 exec, exec, s[12:13]
	v_cmp_gt_u32_e64 s[8:9], 4, v22
	s_and_saveexec_b64 s[12:13], s[8:9]
	s_cbranch_execz .LBB189_421
.LBB189_420:
	v_mov_b32_e32 v21, 0
	v_lshlrev_b32_e32 v20, 4, v0
	ds_read_b128 v[23:26], v21 offset:12720
	ds_read_b128 v[27:30], v20 offset:14272
	s_waitcnt lgkmcnt(0)
	v_mul_f64 v[20:21], v[25:26], v[29:30]
	v_mul_f64 v[29:30], v[23:24], v[29:30]
	v_fma_f64 v[20:21], v[23:24], v[27:28], -v[20:21]
	v_fma_f64 v[23:24], v[25:26], v[27:28], v[29:30]
	v_add_f64 v[10:11], v[10:11], v[20:21]
	v_add_f64 v[12:13], v[12:13], v[23:24]
.LBB189_421:
	s_or_b64 exec, exec, s[12:13]
	v_xor_b32_e32 v11, 0x80000000, v11
	v_xor_b32_e32 v13, 0x80000000, v13
.LBB189_422:
	s_or_b64 exec, exec, s[10:11]
	s_and_saveexec_b64 s[8:9], s[48:49]
; %bb.423:
	ds_write_b128 v19, v[10:13]
; %bb.424:
	s_or_b64 exec, exec, s[8:9]
	s_waitcnt lgkmcnt(0)
	s_barrier
	s_and_saveexec_b64 s[8:9], s[50:51]
	s_cbranch_execz .LBB189_426
; %bb.425:
	ds_read_b128 v[23:26], v19
	ds_read_b128 v[27:30], v18 offset:14784
	s_waitcnt lgkmcnt(0)
	v_mul_f64 v[20:21], v[25:26], v[29:30]
	v_mul_f64 v[29:30], v[23:24], v[29:30]
	v_fma_f64 v[20:21], v[23:24], v[27:28], -v[20:21]
	v_fma_f64 v[23:24], v[25:26], v[27:28], v[29:30]
	v_add_f64 v[10:11], v[10:11], v[20:21]
	v_add_f64 v[12:13], v[12:13], v[23:24]
.LBB189_426:
	s_or_b64 exec, exec, s[8:9]
	s_barrier
	s_and_saveexec_b64 s[8:9], s[52:53]
; %bb.427:
	ds_write_b128 v19, v[10:13]
; %bb.428:
	s_or_b64 exec, exec, s[8:9]
	s_waitcnt lgkmcnt(0)
	s_barrier
	s_and_saveexec_b64 s[8:9], s[54:55]
	s_cbranch_execz .LBB189_430
; %bb.429:
	ds_read_b128 v[23:26], v19
	ds_read_b128 v[27:30], v18 offset:15296
	s_waitcnt lgkmcnt(0)
	v_mul_f64 v[20:21], v[25:26], v[29:30]
	v_mul_f64 v[29:30], v[23:24], v[29:30]
	v_fma_f64 v[20:21], v[23:24], v[27:28], -v[20:21]
	v_fma_f64 v[23:24], v[25:26], v[27:28], v[29:30]
	v_add_f64 v[10:11], v[10:11], v[20:21]
	v_add_f64 v[12:13], v[12:13], v[23:24]
.LBB189_430:
	s_or_b64 exec, exec, s[8:9]
	s_barrier
	s_and_saveexec_b64 s[8:9], s[56:57]
; %bb.431:
	ds_write_b128 v19, v[10:13]
; %bb.432:
	s_or_b64 exec, exec, s[8:9]
	s_waitcnt lgkmcnt(0)
	s_barrier
	s_and_saveexec_b64 s[8:9], s[46:47]
	s_cbranch_execz .LBB189_434
; %bb.433:
	v_mov_b32_e32 v18, 0
	ds_read_b128 v[23:26], v19
	ds_read_b128 v[27:30], v18 offset:15856
	s_waitcnt lgkmcnt(0)
	v_mul_f64 v[20:21], v[25:26], v[29:30]
	v_mul_f64 v[29:30], v[23:24], v[29:30]
	v_fma_f64 v[20:21], v[23:24], v[27:28], -v[20:21]
	v_fma_f64 v[23:24], v[25:26], v[27:28], v[29:30]
	v_add_f64 v[10:11], v[10:11], v[20:21]
	v_add_f64 v[12:13], v[12:13], v[23:24]
.LBB189_434:
	s_or_b64 exec, exec, s[8:9]
	s_barrier
	s_and_saveexec_b64 s[8:9], s[46:47]
; %bb.435:
	ds_write_b128 v19, v[10:13]
; %bb.436:
	s_or_b64 exec, exec, s[8:9]
	s_waitcnt lgkmcnt(0)
	s_barrier
	s_barrier
	s_and_saveexec_b64 s[8:9], s[16:17]
; %bb.437:
	v_xor_b32_e32 v13, 0x80000000, v13
	v_xor_b32_e32 v11, 0x80000000, v11
	ds_write_b128 v17, v[10:13] offset:12736
; %bb.438:
	s_or_b64 exec, exec, s[8:9]
	s_waitcnt lgkmcnt(0)
	s_barrier
	s_barrier
	s_and_saveexec_b64 s[8:9], s[58:59]
	s_cbranch_execz .LBB189_440
; %bb.439:
	v_lshlrev_b32_e32 v17, 4, v0
	s_movk_i32 s0, 0x1f0
	v_mad_u32_u24 v18, v0, s0, v17
	ds_read_b128 v[10:13], v18 offset:12736
	s_waitcnt lgkmcnt(0)
	ds_write_b128 v17, v[10:13] offset:14720
	ds_read_b128 v[10:13], v18 offset:12752
	s_waitcnt lgkmcnt(0)
	ds_write_b128 v17, v[10:13] offset:15232
	;; [unrolled: 3-line block ×4, first 2 shown]
.LBB189_440:
	s_or_b64 exec, exec, s[8:9]
	s_waitcnt lgkmcnt(0)
	s_barrier
	s_and_saveexec_b64 s[8:9], vcc
	s_cbranch_execz .LBB189_442
; %bb.441:
	s_mov_b32 s12, 0
	v_mov_b32_e32 v21, 0
	ds_read_b128 v[10:13], v21 offset:14800
	s_mov_b32 s15, s12
	s_mov_b32 s13, 0x3ff00000
	;; [unrolled: 1-line block ×3, first 2 shown]
	v_mov_b32_e32 v20, s15
	v_mov_b32_e32 v19, s14
	;; [unrolled: 1-line block ×4, first 2 shown]
	ds_write_b128 v21, v[17:20] offset:14784
	ds_write_b128 v21, v[17:20] offset:15312
	s_waitcnt lgkmcnt(2)
	ds_write_b128 v21, v[10:13] offset:15296
.LBB189_442:
	s_or_b64 exec, exec, s[8:9]
	v_mov_b32_e32 v12, 0
	v_mov_b32_e32 v10, 0
	;; [unrolled: 1-line block ×4, first 2 shown]
	s_waitcnt lgkmcnt(0)
	s_barrier
	s_and_saveexec_b64 s[10:11], s[2:3]
	s_cbranch_execz .LBB189_446
; %bb.443:
	v_mul_u32_u24_e32 v10, 0x210, v16
	ds_read_b128 v[10:13], v10 offset:14784
	ds_read_b128 v[16:19], v14 offset:14816
	v_cmp_gt_u32_e64 s[8:9], 2, v22
	s_waitcnt lgkmcnt(0)
	v_mul_f64 v[20:21], v[12:13], v[18:19]
	v_mul_f64 v[18:19], v[10:11], v[18:19]
	v_fma_f64 v[10:11], v[10:11], v[16:17], -v[20:21]
	v_fma_f64 v[12:13], v[12:13], v[16:17], v[18:19]
	v_add_f64 v[10:11], v[10:11], 0
	v_add_f64 v[12:13], v[12:13], 0
	s_and_saveexec_b64 s[12:13], s[8:9]
	s_cbranch_execz .LBB189_445
; %bb.444:
	v_mov_b32_e32 v16, 0
	v_lshlrev_b32_e32 v20, 4, v0
	ds_read_b128 v[16:19], v16 offset:14800
	ds_read_b128 v[23:26], v20 offset:15328
	s_waitcnt lgkmcnt(0)
	v_mul_f64 v[20:21], v[18:19], v[25:26]
	v_mul_f64 v[25:26], v[16:17], v[25:26]
	v_fma_f64 v[16:17], v[16:17], v[23:24], -v[20:21]
	v_fma_f64 v[18:19], v[18:19], v[23:24], v[25:26]
	v_add_f64 v[10:11], v[10:11], v[16:17]
	v_add_f64 v[12:13], v[12:13], v[18:19]
.LBB189_445:
	s_or_b64 exec, exec, s[12:13]
	v_xor_b32_e32 v11, 0x80000000, v11
	v_xor_b32_e32 v13, 0x80000000, v13
.LBB189_446:
	s_or_b64 exec, exec, s[10:11]
	s_and_saveexec_b64 s[8:9], s[42:43]
; %bb.447:
	ds_write_b128 v15, v[10:13]
; %bb.448:
	s_or_b64 exec, exec, s[8:9]
	s_waitcnt lgkmcnt(0)
	s_barrier
	s_and_saveexec_b64 s[8:9], s[40:41]
	v_readlane_b32 s42, v43, 0
	v_readlane_b32 s43, v43, 1
	s_cbranch_execz .LBB189_450
; %bb.449:
	v_mov_b32_e32 v20, 0
	ds_read_b128 v[16:19], v15
	ds_read_b128 v[23:26], v20 offset:15856
	s_waitcnt lgkmcnt(0)
	v_mul_f64 v[20:21], v[18:19], v[25:26]
	v_mul_f64 v[25:26], v[16:17], v[25:26]
	v_fma_f64 v[16:17], v[16:17], v[23:24], -v[20:21]
	v_fma_f64 v[18:19], v[18:19], v[23:24], v[25:26]
	v_add_f64 v[10:11], v[10:11], v[16:17]
	v_add_f64 v[12:13], v[12:13], v[18:19]
.LBB189_450:
	s_or_b64 exec, exec, s[8:9]
	s_barrier
	s_and_saveexec_b64 s[8:9], s[40:41]
; %bb.451:
	ds_write_b128 v15, v[10:13]
; %bb.452:
	s_or_b64 exec, exec, s[8:9]
	s_waitcnt lgkmcnt(0)
	s_barrier
	s_barrier
	s_and_saveexec_b64 s[8:9], s[2:3]
; %bb.453:
	v_xor_b32_e32 v11, 0x80000000, v11
	v_xor_b32_e32 v13, 0x80000000, v13
	ds_write_b128 v14, v[10:13] offset:14816
; %bb.454:
	s_or_b64 exec, exec, s[8:9]
	s_waitcnt lgkmcnt(0)
	s_barrier
	s_barrier
	s_and_saveexec_b64 s[2:3], s[44:45]
	s_cbranch_execz .LBB189_456
; %bb.455:
	v_lshlrev_b32_e32 v14, 9, v0
	ds_read_b128 v[10:13], v14 offset:14816
	s_movk_i32 s0, 0xfe10
	v_mad_i32_i24 v15, v0, s0, v14
	s_waitcnt lgkmcnt(0)
	ds_write_b128 v15, v[10:13] offset:15808
	ds_read_b128 v[10:13], v14 offset:14832
	s_waitcnt lgkmcnt(0)
	ds_write_b128 v15, v[10:13] offset:16320
.LBB189_456:
	s_or_b64 exec, exec, s[2:3]
	s_waitcnt lgkmcnt(0)
	s_barrier
	s_and_saveexec_b64 s[2:3], vcc
	s_cbranch_execz .LBB189_458
; %bb.457:
	s_mov_b32 s8, 0
	v_mov_b32_e32 v18, 0
	ds_read_b128 v[10:13], v18 offset:15856
	s_mov_b32 s11, s8
	s_mov_b32 s9, 0x3ff00000
	;; [unrolled: 1-line block ×3, first 2 shown]
	v_mov_b32_e32 v17, s11
	v_mov_b32_e32 v16, s10
	;; [unrolled: 1-line block ×4, first 2 shown]
	ds_write_b128 v18, v[14:17] offset:15840
	ds_write_b128 v18, v[14:17] offset:16368
	s_waitcnt lgkmcnt(2)
	ds_write_b128 v18, v[10:13] offset:16352
.LBB189_458:
	s_or_b64 exec, exec, s[2:3]
.LBB189_459:
	s_lshl_b64 s[0:1], s[26:27], 4
	s_add_u32 s26, s38, s0
	v_cmp_le_i32_e32 vcc, s94, v0
	v_mov_b32_e32 v10, 0
	s_addc_u32 s27, s39, s1
	s_and_b64 s[16:17], vcc, s[34:35]
	v_mov_b32_e32 v11, 0
	v_cmp_eq_u32_e64 s[2:3], 0, v1
	s_xor_b64 s[0:1], s[16:17], -1
	v_mov_b32_e32 v13, v11
	s_and_b64 s[0:1], s[2:3], s[0:1]
	v_lshl_add_u32 v15, s33, 5, v0
	v_mov_b32_e32 v12, v10
	s_waitcnt lgkmcnt(0)
	s_barrier
	s_and_saveexec_b64 s[8:9], s[0:1]
	s_cbranch_execz .LBB189_461
; %bb.460:
	v_ashrrev_i32_e32 v12, 31, v15
	v_mul_lo_u32 v13, s25, v15
	v_mad_u64_u32 v[10:11], s[0:1], s24, v15, 0
	v_mul_lo_u32 v12, s24, v12
	v_add3_u32 v11, v11, v12, v13
	v_lshlrev_b64 v[10:11], 4, v[10:11]
	v_mov_b32_e32 v12, s27
	v_add_co_u32_e32 v10, vcc, s26, v10
	v_addc_co_u32_e32 v11, vcc, v12, v11, vcc
	flat_load_dwordx4 v[16:19], v[10:11]
	s_waitcnt vmcnt(0) lgkmcnt(0)
	v_mul_f64 v[10:11], s[20:21], v[16:17]
	v_mul_f64 v[12:13], s[20:21], v[18:19]
	v_fma_f64 v[10:11], s[22:23], v[18:19], -v[10:11]
	v_fma_f64 v[12:13], v[16:17], -s[22:23], -v[12:13]
.LBB189_461:
	s_or_b64 exec, exec, s[8:9]
	s_load_dwordx2 s[14:15], s[4:5], 0x58
	s_and_b32 s0, 0xffff, s63
	v_mad_u32_u24 v23, v1, s0, v0
	v_mov_b32_e32 v14, 0
	s_cmp_lt_i32 s6, 1
	v_cmp_eq_u32_e64 s[4:5], 0, v23
	s_cbranch_scc1 .LBB189_484
; %bb.462:
	v_ashrrev_i32_e32 v18, 31, v15
	v_mul_lo_u32 v19, s37, v15
	v_mad_u64_u32 v[16:17], s[0:1], s36, v15, 0
	v_mul_lo_u32 v18, s36, v18
	s_lshl_b64 s[8:9], s[28:29], 2
	s_waitcnt lgkmcnt(0)
	s_add_u32 s18, s14, s8
	s_addc_u32 s19, s15, s9
	v_add3_u32 v17, v17, v18, v19
	v_cmp_gt_i32_e64 s[8:9], s30, v15
	v_lshlrev_b64 v[15:16], 4, v[16:17]
	v_mov_b32_e32 v18, 0x6000
	v_mov_b32_e32 v17, s62
	v_add_co_u32_e32 v26, vcc, s95, v15
	s_mov_b32 s0, 0
	v_cmp_gt_u32_e64 s[12:13], 32, v23
	v_lshl_add_u32 v24, v23, 4, v18
	v_lshl_or_b32 v25, v1, 4, v18
	s_add_i32 s1, s33, 1
	v_addc_co_u32_e32 v27, vcc, v17, v16, vcc
	v_mov_b32_e32 v28, -1
	s_branch .LBB189_465
.LBB189_463:                            ;   in Loop: Header=BB189_465 Depth=1
	ds_read_b128 v[29:32], v25 offset:256
	s_waitcnt vmcnt(0) lgkmcnt(0)
	v_mul_f64 v[15:16], v[19:20], v[31:32]
	v_mul_f64 v[19:20], v[19:20], v[29:30]
	v_fma_f64 v[15:16], v[17:18], v[29:30], v[15:16]
	v_fma_f64 v[17:18], v[17:18], v[31:32], -v[19:20]
	v_add_f64 v[10:11], v[10:11], v[15:16]
	v_add_f64 v[12:13], v[12:13], v[17:18]
.LBB189_464:                            ;   in Loop: Header=BB189_465 Depth=1
	s_or_b64 exec, exec, s[20:21]
	s_add_i32 s0, s0, 1
	s_cmp_eq_u32 s0, s6
	s_cbranch_scc1 .LBB189_484
.LBB189_465:                            ; =>This Loop Header: Depth=1
                                        ;     Child Loop BB189_467 Depth 2
	v_cmp_gt_i32_e32 vcc, s0, v28
	s_and_b64 s[20:21], s[4:5], vcc
	s_and_saveexec_b64 s[10:11], s[20:21]
	s_cbranch_execz .LBB189_468
; %bb.466:                              ;   in Loop: Header=BB189_465 Depth=1
	global_load_dword v28, v14, s[18:19]
	s_waitcnt vmcnt(0)
	v_cmp_le_i32_e32 vcc, s0, v28
	s_cbranch_vccnz .LBB189_468
.LBB189_467:                            ;   Parent Loop BB189_465 Depth=1
                                        ; =>  This Inner Loop Header: Depth=2
	buffer_wbinvl1_vol
	global_load_dword v28, v14, s[18:19]
	s_waitcnt vmcnt(0)
	v_cmp_gt_i32_e32 vcc, s0, v28
	s_cbranch_vccnz .LBB189_467
.LBB189_468:                            ;   in Loop: Header=BB189_465 Depth=1
	s_or_b64 exec, exec, s[10:11]
	s_sub_i32 s22, s7, s0
	s_lshl_b32 s23, s22, 5
	buffer_wbinvl1_vol
	s_barrier
	s_and_saveexec_b64 s[10:11], s[12:13]
	s_cbranch_execz .LBB189_473
; %bb.469:                              ;   in Loop: Header=BB189_465 Depth=1
	s_ashr_i32 s20, s23, 31
	v_mov_b32_e32 v16, s20
	v_or_b32_e32 v15, s23, v23
	v_cmp_le_i64_e32 vcc, s[30:31], v[15:16]
	s_and_saveexec_b64 s[20:21], vcc
	s_xor_b64 s[20:21], exec, s[20:21]
; %bb.470:                              ;   in Loop: Header=BB189_465 Depth=1
	v_mov_b32_e32 v15, v14
	v_mov_b32_e32 v16, v14
	;; [unrolled: 1-line block ×3, first 2 shown]
	ds_write_b128 v24, v[14:17]
                                        ; implicit-def: $vgpr15_vgpr16
; %bb.471:                              ;   in Loop: Header=BB189_465 Depth=1
	s_andn2_saveexec_b64 s[20:21], s[20:21]
	s_cbranch_execz .LBB189_473
; %bb.472:                              ;   in Loop: Header=BB189_465 Depth=1
	v_mul_lo_u32 v17, v16, s24
	v_mul_lo_u32 v18, v15, s25
	v_mad_u64_u32 v[15:16], s[20:21], v15, s24, 0
	v_add3_u32 v16, v16, v18, v17
	v_lshlrev_b64 v[15:16], 4, v[15:16]
	v_mov_b32_e32 v17, s27
	v_add_co_u32_e32 v15, vcc, s26, v15
	v_addc_co_u32_e32 v16, vcc, v17, v16, vcc
	flat_load_dwordx4 v[15:18], v[15:16]
	s_waitcnt vmcnt(0) lgkmcnt(0)
	ds_write2_b64 v24, v[15:16], v[17:18] offset1:1
.LBB189_473:                            ;   in Loop: Header=BB189_465 Depth=1
	s_or_b64 exec, exec, s[10:11]
	v_add_u32_e32 v17, s23, v1
	v_ashrrev_i32_e32 v18, 31, v17
	v_lshlrev_b64 v[15:16], 4, v[17:18]
	s_cmp_lg_u32 s22, s1
	v_add_co_u32_e32 v15, vcc, v26, v15
	s_cselect_b64 s[10:11], -1, 0
	v_addc_co_u32_e32 v16, vcc, v27, v16, vcc
	v_cmp_gt_i32_e32 vcc, s30, v17
	v_cndmask_b32_e64 v18, 0, 1, s[10:11]
	s_and_b64 s[22:23], vcc, s[8:9]
	v_cmp_ne_u32_e64 s[10:11], 1, v18
	s_waitcnt lgkmcnt(0)
	s_barrier
	s_and_saveexec_b64 s[20:21], s[22:23]
	s_cbranch_execz .LBB189_479
; %bb.474:                              ;   in Loop: Header=BB189_465 Depth=1
	v_mov_b32_e32 v19, v7
	s_and_b64 vcc, exec, s[10:11]
	v_mov_b32_e32 v18, v6
	s_cbranch_vccnz .LBB189_476
; %bb.475:                              ;   in Loop: Header=BB189_465 Depth=1
	flat_load_dwordx2 v[18:19], v[15:16]
.LBB189_476:                            ;   in Loop: Header=BB189_465 Depth=1
	v_mov_b32_e32 v21, v9
	s_and_b64 vcc, exec, s[10:11]
	v_mov_b32_e32 v20, v8
	s_cbranch_vccnz .LBB189_478
; %bb.477:                              ;   in Loop: Header=BB189_465 Depth=1
	flat_load_dwordx2 v[20:21], v[15:16] offset:8
.LBB189_478:                            ;   in Loop: Header=BB189_465 Depth=1
	ds_read_b128 v[29:32], v25
	s_waitcnt vmcnt(0) lgkmcnt(0)
	v_mul_f64 v[33:34], v[20:21], v[31:32]
	v_mul_f64 v[20:21], v[20:21], v[29:30]
	v_fma_f64 v[29:30], v[18:19], v[29:30], v[33:34]
	v_fma_f64 v[18:19], v[18:19], v[31:32], -v[20:21]
	v_add_f64 v[10:11], v[10:11], v[29:30]
	v_add_f64 v[12:13], v[12:13], v[18:19]
.LBB189_479:                            ;   in Loop: Header=BB189_465 Depth=1
	s_or_b64 exec, exec, s[20:21]
	v_add_u32_e32 v17, 16, v17
	v_cmp_gt_i32_e32 vcc, s30, v17
	s_and_b64 s[22:23], vcc, s[8:9]
	s_and_saveexec_b64 s[20:21], s[22:23]
	s_cbranch_execz .LBB189_464
; %bb.480:                              ;   in Loop: Header=BB189_465 Depth=1
	v_mov_b32_e32 v18, v3
	s_and_b64 vcc, exec, s[10:11]
	v_mov_b32_e32 v17, v2
	s_cbranch_vccnz .LBB189_482
; %bb.481:                              ;   in Loop: Header=BB189_465 Depth=1
	flat_load_dwordx2 v[17:18], v[15:16] offset:256
.LBB189_482:                            ;   in Loop: Header=BB189_465 Depth=1
	v_mov_b32_e32 v20, v5
	s_and_b64 vcc, exec, s[10:11]
	v_mov_b32_e32 v19, v4
	s_cbranch_vccnz .LBB189_463
; %bb.483:                              ;   in Loop: Header=BB189_465 Depth=1
	flat_load_dwordx2 v[19:20], v[15:16] offset:264
	s_branch .LBB189_463
.LBB189_484:
	s_xor_b64 s[4:5], s[34:35], -1
	v_lshlrev_b32_e32 v6, 4, v22
	ds_write_b128 v6, v[10:13] offset:16384
	s_waitcnt lgkmcnt(0)
	s_barrier
	s_and_saveexec_b64 s[6:7], s[2:3]
	s_cbranch_execz .LBB189_486
; %bb.485:
	v_lshlrev_b32_e32 v18, 4, v0
	ds_read_b128 v[2:5], v18 offset:16896
	ds_read_b128 v[14:17], v18 offset:17408
	s_waitcnt lgkmcnt(1)
	v_add_f64 v[2:3], v[10:11], v[2:3]
	v_add_f64 v[4:5], v[12:13], v[4:5]
	s_waitcnt lgkmcnt(0)
	v_add_f64 v[11:12], v[2:3], v[14:15]
	v_add_f64 v[13:14], v[4:5], v[16:17]
	ds_read_b128 v[2:5], v18 offset:17920
	ds_read_b128 v[7:10], v18 offset:18432
	s_waitcnt lgkmcnt(1)
	v_add_f64 v[2:3], v[11:12], v[2:3]
	v_add_f64 v[4:5], v[13:14], v[4:5]
	s_waitcnt lgkmcnt(0)
	v_add_f64 v[11:12], v[2:3], v[7:8]
	v_add_f64 v[13:14], v[4:5], v[9:10]
	;; [unrolled: 8-line block ×7, first 2 shown]
	ds_read_b128 v[2:5], v18 offset:24064
	s_waitcnt lgkmcnt(0)
	v_add_f64 v[2:3], v[7:8], v[2:3]
	v_add_f64 v[4:5], v[9:10], v[4:5]
	v_xor_b32_e32 v3, 0x80000000, v3
	v_xor_b32_e32 v5, 0x80000000, v5
	v_cndmask_b32_e64 v10, v2, 0, s[16:17]
	v_cndmask_b32_e64 v11, v3, 0, s[16:17]
	;; [unrolled: 1-line block ×4, first 2 shown]
.LBB189_486:
	s_or_b64 exec, exec, s[6:7]
	s_and_b64 vcc, exec, s[42:43]
	s_cbranch_vccnz .LBB189_495
; %bb.487:
	v_mov_b32_e32 v2, 0x6000
	v_lshl_or_b32 v7, v1, 4, v2
	s_and_saveexec_b64 s[0:1], s[2:3]
; %bb.488:
	v_lshl_add_u32 v2, v0, 4, v7
	ds_write_b128 v2, v[10:13]
; %bb.489:
	s_or_b64 exec, exec, s[0:1]
	v_mov_b32_e32 v2, 0
	v_mov_b32_e32 v4, 0
	;; [unrolled: 1-line block ×4, first 2 shown]
	v_cmp_le_u32_e32 vcc, v0, v1
	s_waitcnt lgkmcnt(0)
	s_barrier
	s_and_saveexec_b64 s[0:1], vcc
	s_cbranch_execz .LBB189_491
; %bb.490:
	ds_read_b128 v[2:5], v7
	ds_read_b128 v[14:17], v6
	s_waitcnt lgkmcnt(0)
	v_mul_f64 v[8:9], v[4:5], v[16:17]
	v_mul_f64 v[16:17], v[2:3], v[16:17]
	v_fma_f64 v[2:3], v[2:3], v[14:15], -v[8:9]
	v_fma_f64 v[4:5], v[4:5], v[14:15], v[16:17]
	v_add_f64 v[2:3], v[2:3], 0
	v_add_f64 v[4:5], v[4:5], 0
.LBB189_491:
	s_or_b64 exec, exec, s[0:1]
	v_add_u32_e32 v1, 16, v1
	v_add_u32_e32 v8, 0x4000, v6
	v_cmp_le_u32_e32 vcc, v0, v1
	s_and_saveexec_b64 s[0:1], vcc
	s_cbranch_execz .LBB189_493
; %bb.492:
	ds_read_b128 v[14:17], v7 offset:256
	ds_read_b128 v[18:21], v6 offset:8192
	s_waitcnt lgkmcnt(0)
	v_mul_f64 v[6:7], v[16:17], v[20:21]
	v_mul_f64 v[20:21], v[14:15], v[20:21]
	v_fma_f64 v[6:7], v[14:15], v[18:19], -v[6:7]
	v_fma_f64 v[14:15], v[16:17], v[18:19], v[20:21]
	v_add_f64 v[2:3], v[2:3], v[6:7]
	v_add_f64 v[4:5], v[4:5], v[14:15]
.LBB189_493:
	s_or_b64 exec, exec, s[0:1]
	s_mov_b64 s[6:7], 0
	s_mov_b64 s[0:1], 0
	ds_write_b128 v8, v[2:5]
	s_waitcnt lgkmcnt(0)
	s_barrier
                                        ; implicit-def: $vgpr6_vgpr7
                                        ; implicit-def: $vgpr8_vgpr9
	s_and_saveexec_b64 s[8:9], s[2:3]
	s_cbranch_execz .LBB189_513
; %bb.494:
	v_lshlrev_b32_e32 v18, 4, v0
	ds_read_b128 v[6:9], v18 offset:16896
	ds_read_b128 v[14:17], v18 offset:17408
	s_mov_b64 s[0:1], exec
	s_waitcnt lgkmcnt(1)
	v_add_f64 v[1:2], v[2:3], v[6:7]
	v_add_f64 v[3:4], v[4:5], v[8:9]
	s_waitcnt lgkmcnt(0)
	v_add_f64 v[14:15], v[1:2], v[14:15]
	v_add_f64 v[16:17], v[3:4], v[16:17]
	ds_read_b128 v[1:4], v18 offset:17920
	ds_read_b128 v[5:8], v18 offset:18432
	s_waitcnt lgkmcnt(1)
	v_add_f64 v[1:2], v[14:15], v[1:2]
	v_add_f64 v[3:4], v[16:17], v[3:4]
	s_waitcnt lgkmcnt(0)
	v_add_f64 v[14:15], v[1:2], v[5:6]
	v_add_f64 v[16:17], v[3:4], v[7:8]
	ds_read_b128 v[1:4], v18 offset:18944
	ds_read_b128 v[5:8], v18 offset:19456
	;; [unrolled: 8-line block ×6, first 2 shown]
	s_waitcnt lgkmcnt(1)
	v_add_f64 v[1:2], v[14:15], v[1:2]
	v_add_f64 v[3:4], v[16:17], v[3:4]
	s_waitcnt lgkmcnt(0)
	v_add_f64 v[5:6], v[1:2], v[5:6]
	v_add_f64 v[14:15], v[3:4], v[7:8]
	ds_read_b128 v[1:4], v18 offset:24064
	s_waitcnt lgkmcnt(0)
	v_add_f64 v[8:9], v[5:6], v[1:2]
	v_add_f64 v[6:7], v[14:15], v[3:4]
	s_or_b64 exec, exec, s[8:9]
	s_and_b64 vcc, exec, s[6:7]
	s_cbranch_vccnz .LBB189_496
	s_branch .LBB189_514
.LBB189_495:
	s_mov_b64 s[0:1], 0
                                        ; implicit-def: $vgpr6_vgpr7
                                        ; implicit-def: $vgpr8_vgpr9
	s_cbranch_execz .LBB189_514
.LBB189_496:
	v_mov_b32_e32 v1, 0x3c00
	v_lshl_add_u32 v1, v0, 4, v1
	v_mov_b32_e32 v3, 31
	v_mov_b32_e32 v2, 0
	s_branch .LBB189_498
.LBB189_497:                            ;   in Loop: Header=BB189_498 Depth=1
	s_or_b64 exec, exec, s[6:7]
	v_subrev_co_u32_e32 v3, vcc, 1, v3
	s_andn2_b64 vcc, exec, vcc
	v_add_u32_e32 v1, 0xfffffc00, v1
	s_barrier
	s_cbranch_vccz .LBB189_506
.LBB189_498:                            ; =>This Inner Loop Header: Depth=1
	v_cmp_eq_u32_e32 vcc, v0, v3
	s_and_b64 s[8:9], s[2:3], vcc
	s_and_saveexec_b64 s[6:7], s[8:9]
; %bb.499:                              ;   in Loop: Header=BB189_498 Depth=1
	ds_write_b128 v2, v[10:13] offset:25088
; %bb.500:                              ;   in Loop: Header=BB189_498 Depth=1
	s_or_b64 exec, exec, s[6:7]
	v_cmp_lt_u32_e32 vcc, v0, v3
	s_and_b64 s[8:9], s[2:3], vcc
	s_waitcnt lgkmcnt(0)
	s_barrier
	s_and_saveexec_b64 s[6:7], s[8:9]
	s_cbranch_execz .LBB189_502
; %bb.501:                              ;   in Loop: Header=BB189_498 Depth=1
	ds_read_b128 v[4:7], v2 offset:25088
	ds_read_b128 v[14:17], v1 offset:512
	s_waitcnt lgkmcnt(0)
	v_mul_f64 v[8:9], v[6:7], v[16:17]
	v_mul_f64 v[16:17], v[4:5], v[16:17]
	v_fma_f64 v[4:5], v[4:5], v[14:15], -v[8:9]
	v_fma_f64 v[6:7], v[6:7], v[14:15], v[16:17]
	v_add_f64 v[10:11], v[10:11], v[4:5]
	v_add_f64 v[12:13], v[12:13], v[6:7]
.LBB189_502:                            ;   in Loop: Header=BB189_498 Depth=1
	s_or_b64 exec, exec, s[6:7]
	v_add_u32_e32 v3, -1, v3
	v_cmp_eq_u32_e32 vcc, v0, v3
	s_and_b64 s[8:9], s[2:3], vcc
	s_barrier
	s_and_saveexec_b64 s[6:7], s[8:9]
; %bb.503:                              ;   in Loop: Header=BB189_498 Depth=1
	ds_write_b128 v2, v[10:13] offset:25088
; %bb.504:                              ;   in Loop: Header=BB189_498 Depth=1
	s_or_b64 exec, exec, s[6:7]
	v_cmp_lt_u32_e32 vcc, v0, v3
	s_and_b64 s[8:9], s[2:3], vcc
	s_waitcnt lgkmcnt(0)
	s_barrier
	s_and_saveexec_b64 s[6:7], s[8:9]
	s_cbranch_execz .LBB189_497
; %bb.505:                              ;   in Loop: Header=BB189_498 Depth=1
	ds_read_b128 v[4:7], v2 offset:25088
	ds_read_b128 v[14:17], v1
	s_waitcnt lgkmcnt(0)
	v_mul_f64 v[8:9], v[6:7], v[16:17]
	v_mul_f64 v[16:17], v[4:5], v[16:17]
	v_fma_f64 v[4:5], v[4:5], v[14:15], -v[8:9]
	v_fma_f64 v[6:7], v[6:7], v[14:15], v[16:17]
	v_add_f64 v[10:11], v[10:11], v[4:5]
	v_add_f64 v[12:13], v[12:13], v[6:7]
	s_branch .LBB189_497
.LBB189_506:
	s_mov_b64 s[6:7], -1
	s_and_b64 vcc, exec, s[4:5]
	s_cbranch_vccnz .LBB189_515
; %bb.507:
	s_andn2_b64 vcc, exec, s[6:7]
	s_cbranch_vccz .LBB189_516
.LBB189_508:
	s_and_saveexec_b64 s[2:3], s[0:1]
	s_cbranch_execz .LBB189_510
.LBB189_509:
	s_lshl_b32 s0, s33, 5
	s_ashr_i32 s1, s0, 31
	v_mov_b32_e32 v0, s1
	v_add_co_u32_e32 v1, vcc, s0, v23
	v_addc_co_u32_e32 v0, vcc, 0, v0, vcc
	v_mul_lo_u32 v2, v0, s24
	v_mul_lo_u32 v3, v1, s25
	v_mad_u64_u32 v[0:1], s[0:1], v1, s24, 0
	v_add3_u32 v1, v1, v3, v2
	v_lshlrev_b64 v[0:1], 4, v[0:1]
	v_mov_b32_e32 v2, s27
	v_add_co_u32_e32 v0, vcc, s26, v0
	v_addc_co_u32_e32 v1, vcc, v2, v1, vcc
	flat_store_dwordx4 v[0:1], v[10:13]
.LBB189_510:
	s_or_b64 exec, exec, s[2:3]
	v_cmp_eq_u32_e32 vcc, 0, v23
	s_waitcnt vmcnt(0) lgkmcnt(0)
	buffer_wbinvl1_vol
	s_barrier
	s_and_saveexec_b64 s[0:1], vcc
	s_cbranch_execz .LBB189_512
; %bb.511:
	s_lshl_b64 s[2:3], s[28:29], 2
	s_add_u32 s2, s14, s2
	s_addc_u32 s3, s15, s3
	v_mov_b32_e32 v0, 0
	global_load_dword v1, v0, s[2:3]
	s_waitcnt vmcnt(0)
	v_add_u32_e32 v1, 1, v1
	global_store_dword v0, v1, s[2:3]
.LBB189_512:
	s_or_b64 exec, exec, s[0:1]
	s_waitcnt vmcnt(0)
	buffer_wbinvl1_vol
	s_endpgm
.LBB189_513:
	s_or_b64 exec, exec, s[8:9]
	s_and_b64 vcc, exec, s[6:7]
	s_cbranch_vccnz .LBB189_496
.LBB189_514:
	v_mov_b32_e32 v13, v7
	v_mov_b32_e32 v11, v9
	;; [unrolled: 1-line block ×4, first 2 shown]
	s_and_saveexec_b64 s[2:3], s[0:1]
	s_cbranch_execnz .LBB189_509
	s_branch .LBB189_510
.LBB189_515:
	s_andn2_b64 s[0:1], s[0:1], exec
	s_and_b64 s[4:5], s[2:3], exec
	s_or_b64 s[0:1], s[0:1], s[4:5]
	s_cbranch_execnz .LBB189_508
.LBB189_516:
	v_cmp_gt_i32_e32 vcc, s94, v0
	s_and_b64 s[2:3], s[2:3], vcc
	s_andn2_b64 s[0:1], s[0:1], exec
	s_and_b64 s[2:3], s[2:3], exec
	s_or_b64 s[0:1], s[0:1], s[2:3]
	s_and_saveexec_b64 s[2:3], s[0:1]
	s_cbranch_execnz .LBB189_509
	s_branch .LBB189_510
.LBB189_517:
	v_lshlrev_b32_e32 v23, 4, v21
	v_sub_u32_e32 v23, v19, v23
	v_lshl_add_u32 v27, v20, 4, v23
	ds_read_b128 v[23:26], v19 offset:16
	ds_read_b128 v[27:30], v27 offset:576
	s_waitcnt lgkmcnt(0)
	v_mul_f64 v[31:32], v[25:26], v[29:30]
	v_mul_f64 v[29:30], v[23:24], v[29:30]
	v_fma_f64 v[23:24], v[23:24], v[27:28], -v[31:32]
	v_fma_f64 v[25:26], v[25:26], v[27:28], v[29:30]
	v_add_f64 v[10:11], v[10:11], v[23:24]
	v_add_f64 v[12:13], v[12:13], v[25:26]
	s_or_b64 exec, exec, s[18:19]
	v_cmp_gt_u32_e64 s[12:13], 8, v22
	s_and_saveexec_b64 s[18:19], s[12:13]
	s_cbranch_execz .LBB189_57
.LBB189_518:
	ds_read_b128 v[23:26], v19 offset:32
	ds_read_b128 v[27:30], v17 offset:1088
	s_waitcnt lgkmcnt(0)
	v_mul_f64 v[31:32], v[25:26], v[29:30]
	v_mul_f64 v[29:30], v[23:24], v[29:30]
	v_fma_f64 v[23:24], v[23:24], v[27:28], -v[31:32]
	v_fma_f64 v[25:26], v[25:26], v[27:28], v[29:30]
	v_add_f64 v[10:11], v[10:11], v[23:24]
	v_add_f64 v[12:13], v[12:13], v[25:26]
	s_or_b64 exec, exec, s[18:19]
	v_cmp_gt_u32_e64 s[12:13], 4, v22
	s_and_saveexec_b64 s[18:19], s[12:13]
	s_cbranch_execnz .LBB189_58
	s_branch .LBB189_59
.LBB189_519:
	v_lshlrev_b32_e32 v28, 4, v27
	v_sub_u32_e32 v28, v25, v28
	v_lshl_add_u32 v32, v26, 4, v28
	ds_read_b128 v[28:31], v25 offset:16
	ds_read_b128 v[32:35], v32 offset:640
	s_waitcnt lgkmcnt(0)
	v_mul_f64 v[36:37], v[30:31], v[34:35]
	v_mul_f64 v[34:35], v[28:29], v[34:35]
	v_fma_f64 v[28:29], v[28:29], v[32:33], -v[36:37]
	v_fma_f64 v[30:31], v[30:31], v[32:33], v[34:35]
	v_add_f64 v[10:11], v[10:11], v[28:29]
	v_add_f64 v[12:13], v[12:13], v[30:31]
	s_or_b64 exec, exec, s[60:61]
	v_cmp_gt_u32_e64 s[14:15], 48, v22
	s_and_saveexec_b64 s[60:61], s[14:15]
	s_cbranch_execz .LBB189_99
.LBB189_520:
	v_lshlrev_b32_e32 v28, 4, v27
	v_sub_u32_e32 v28, v25, v28
	v_lshl_add_u32 v32, v26, 4, v28
	ds_read_b128 v[28:31], v25 offset:32
	ds_read_b128 v[32:35], v32 offset:1152
	s_waitcnt lgkmcnt(0)
	v_mul_f64 v[36:37], v[30:31], v[34:35]
	v_mul_f64 v[34:35], v[28:29], v[34:35]
	v_fma_f64 v[28:29], v[28:29], v[32:33], -v[36:37]
	v_fma_f64 v[30:31], v[30:31], v[32:33], v[34:35]
	v_add_f64 v[10:11], v[10:11], v[28:29]
	v_add_f64 v[12:13], v[12:13], v[30:31]
	s_or_b64 exec, exec, s[60:61]
	v_cmp_gt_u32_e64 s[14:15], 40, v22
	s_and_saveexec_b64 s[60:61], s[14:15]
	s_cbranch_execz .LBB189_100
.LBB189_521:
	v_lshlrev_b32_e32 v28, 4, v27
	v_sub_u32_e32 v28, v25, v28
	v_lshl_add_u32 v32, v26, 4, v28
	ds_read_b128 v[28:31], v25 offset:48
	ds_read_b128 v[32:35], v32 offset:1664
	s_waitcnt lgkmcnt(0)
	v_mul_f64 v[36:37], v[30:31], v[34:35]
	v_mul_f64 v[34:35], v[28:29], v[34:35]
	v_fma_f64 v[28:29], v[28:29], v[32:33], -v[36:37]
	v_fma_f64 v[30:31], v[30:31], v[32:33], v[34:35]
	v_add_f64 v[10:11], v[10:11], v[28:29]
	v_add_f64 v[12:13], v[12:13], v[30:31]
	s_or_b64 exec, exec, s[60:61]
	v_cmp_gt_u32_e64 s[14:15], 32, v22
	s_and_saveexec_b64 s[60:61], s[14:15]
	s_cbranch_execz .LBB189_101
.LBB189_522:
	ds_read_b128 v[28:31], v25 offset:64
	ds_read_b128 v[32:35], v23 offset:2176
	s_waitcnt lgkmcnt(0)
	v_mul_f64 v[36:37], v[30:31], v[34:35]
	v_mul_f64 v[34:35], v[28:29], v[34:35]
	v_fma_f64 v[28:29], v[28:29], v[32:33], -v[36:37]
	v_fma_f64 v[30:31], v[30:31], v[32:33], v[34:35]
	v_add_f64 v[10:11], v[10:11], v[28:29]
	v_add_f64 v[12:13], v[12:13], v[30:31]
	s_or_b64 exec, exec, s[60:61]
	v_cmp_gt_u32_e64 s[14:15], 24, v22
	s_and_saveexec_b64 s[60:61], s[14:15]
	s_cbranch_execz .LBB189_102
.LBB189_523:
	v_lshlrev_b32_e32 v28, 4, v27
	v_sub_u32_e32 v28, v25, v28
	v_lshl_add_u32 v32, v26, 4, v28
	ds_read_b128 v[28:31], v25 offset:80
	ds_read_b128 v[32:35], v32 offset:2688
	s_waitcnt lgkmcnt(0)
	v_mul_f64 v[36:37], v[30:31], v[34:35]
	v_mul_f64 v[34:35], v[28:29], v[34:35]
	v_fma_f64 v[28:29], v[28:29], v[32:33], -v[36:37]
	v_fma_f64 v[30:31], v[30:31], v[32:33], v[34:35]
	v_add_f64 v[10:11], v[10:11], v[28:29]
	v_add_f64 v[12:13], v[12:13], v[30:31]
	s_or_b64 exec, exec, s[60:61]
	v_cmp_gt_u32_e64 s[14:15], 16, v22
	s_and_saveexec_b64 s[60:61], s[14:15]
	s_cbranch_execz .LBB189_103
.LBB189_524:
	ds_read_b128 v[28:31], v25 offset:96
	ds_read_b128 v[32:35], v23 offset:3200
	s_waitcnt lgkmcnt(0)
	v_mul_f64 v[36:37], v[30:31], v[34:35]
	v_mul_f64 v[34:35], v[28:29], v[34:35]
	v_fma_f64 v[28:29], v[28:29], v[32:33], -v[36:37]
	v_fma_f64 v[30:31], v[30:31], v[32:33], v[34:35]
	v_add_f64 v[10:11], v[10:11], v[28:29]
	v_add_f64 v[12:13], v[12:13], v[30:31]
	s_or_b64 exec, exec, s[60:61]
	v_cmp_gt_u32_e64 s[14:15], 8, v22
	s_and_saveexec_b64 s[60:61], s[14:15]
	s_cbranch_execnz .LBB189_104
	s_branch .LBB189_105
.LBB189_525:
	v_lshlrev_b32_e32 v29, 4, v21
	v_sub_u32_e32 v29, v28, v29
	v_lshl_add_u32 v33, v20, 4, v29
	ds_read_b128 v[29:32], v28 offset:4240
	ds_read_b128 v[33:36], v33 offset:4800
	s_waitcnt lgkmcnt(0)
	v_mul_f64 v[37:38], v[31:32], v[35:36]
	v_mul_f64 v[35:36], v[29:30], v[35:36]
	v_fma_f64 v[29:30], v[29:30], v[33:34], -v[37:38]
	v_fma_f64 v[31:32], v[31:32], v[33:34], v[35:36]
	v_add_f64 v[10:11], v[10:11], v[29:30]
	v_add_f64 v[12:13], v[12:13], v[31:32]
	s_or_b64 exec, exec, s[18:19]
	v_cmp_gt_u32_e64 s[12:13], 8, v22
	s_and_saveexec_b64 s[18:19], s[12:13]
	s_cbranch_execz .LBB189_161
.LBB189_526:
	ds_read_b128 v[28:31], v28 offset:4256
	ds_read_b128 v[32:35], v17 offset:5312
	s_waitcnt lgkmcnt(0)
	v_mul_f64 v[36:37], v[30:31], v[34:35]
	v_mul_f64 v[34:35], v[28:29], v[34:35]
	v_fma_f64 v[28:29], v[28:29], v[32:33], -v[36:37]
	v_fma_f64 v[30:31], v[30:31], v[32:33], v[34:35]
	v_add_f64 v[10:11], v[10:11], v[28:29]
	v_add_f64 v[12:13], v[12:13], v[30:31]
	s_or_b64 exec, exec, s[18:19]
	v_cmp_gt_u32_e64 s[12:13], 4, v22
	s_and_saveexec_b64 s[18:19], s[12:13]
	s_cbranch_execnz .LBB189_162
	s_branch .LBB189_163
.LBB189_527:
	ds_read_b128 v[33:36], v32 offset:176
	ds_read_b128 v[37:40], v28 offset:5888
	s_waitcnt lgkmcnt(0)
	v_mul_f64 v[41:42], v[35:36], v[39:40]
	v_mul_f64 v[39:40], v[33:34], v[39:40]
	v_fma_f64 v[33:34], v[33:34], v[37:38], -v[41:42]
	v_fma_f64 v[35:36], v[35:36], v[37:38], v[39:40]
	v_add_f64 v[10:11], v[10:11], v[33:34]
	v_add_f64 v[12:13], v[12:13], v[35:36]
	s_or_b64 exec, exec, s[92:93]
	v_cmp_gt_u32_e64 s[18:19], 64, v22
	s_and_saveexec_b64 s[92:93], s[18:19]
	s_cbranch_execz .LBB189_223
.LBB189_528:
	ds_read_b128 v[33:36], v32 offset:192
	ds_read_b128 v[37:40], v28 offset:6400
	s_waitcnt lgkmcnt(0)
	v_mul_f64 v[41:42], v[35:36], v[39:40]
	v_mul_f64 v[39:40], v[33:34], v[39:40]
	v_fma_f64 v[33:34], v[33:34], v[37:38], -v[41:42]
	v_fma_f64 v[35:36], v[35:36], v[37:38], v[39:40]
	v_add_f64 v[10:11], v[10:11], v[33:34]
	v_add_f64 v[12:13], v[12:13], v[35:36]
	s_or_b64 exec, exec, s[92:93]
	v_cmp_gt_u32_e64 s[18:19], 48, v22
	s_and_saveexec_b64 s[92:93], s[18:19]
	s_cbranch_execz .LBB189_224
.LBB189_529:
	ds_read_b128 v[33:36], v32 offset:208
	ds_read_b128 v[37:40], v28 offset:6912
	s_waitcnt lgkmcnt(0)
	v_mul_f64 v[41:42], v[35:36], v[39:40]
	v_mul_f64 v[39:40], v[33:34], v[39:40]
	v_fma_f64 v[33:34], v[33:34], v[37:38], -v[41:42]
	v_fma_f64 v[35:36], v[35:36], v[37:38], v[39:40]
	v_add_f64 v[10:11], v[10:11], v[33:34]
	v_add_f64 v[12:13], v[12:13], v[35:36]
	s_or_b64 exec, exec, s[92:93]
	v_cmp_gt_u32_e64 s[18:19], 32, v22
	s_and_saveexec_b64 s[92:93], s[18:19]
	s_cbranch_execz .LBB189_225
.LBB189_530:
	ds_read_b128 v[32:35], v32 offset:224
	ds_read_b128 v[36:39], v28 offset:7424
	s_waitcnt lgkmcnt(0)
	v_mul_f64 v[40:41], v[34:35], v[38:39]
	v_mul_f64 v[38:39], v[32:33], v[38:39]
	v_fma_f64 v[32:33], v[32:33], v[36:37], -v[40:41]
	v_fma_f64 v[34:35], v[34:35], v[36:37], v[38:39]
	v_add_f64 v[10:11], v[10:11], v[32:33]
	v_add_f64 v[12:13], v[12:13], v[34:35]
	s_or_b64 exec, exec, s[92:93]
	v_cmp_gt_u32_e64 s[18:19], 16, v22
	s_and_saveexec_b64 s[92:93], s[18:19]
	s_cbranch_execnz .LBB189_226
	s_branch .LBB189_227
.LBB189_531:
	v_lshlrev_b32_e32 v29, 4, v21
	v_sub_u32_e32 v29, v28, v29
	v_lshl_add_u32 v33, v20, 4, v29
	ds_read_b128 v[29:32], v28 offset:8464
	ds_read_b128 v[33:36], v33 offset:9024
	s_waitcnt lgkmcnt(0)
	v_mul_f64 v[37:38], v[31:32], v[35:36]
	v_mul_f64 v[35:36], v[29:30], v[35:36]
	v_fma_f64 v[29:30], v[29:30], v[33:34], -v[37:38]
	v_fma_f64 v[31:32], v[31:32], v[33:34], v[35:36]
	v_add_f64 v[10:11], v[10:11], v[29:30]
	v_add_f64 v[12:13], v[12:13], v[31:32]
	s_or_b64 exec, exec, s[14:15]
	v_cmp_gt_u32_e64 s[10:11], 8, v22
	s_and_saveexec_b64 s[14:15], s[10:11]
	s_cbranch_execz .LBB189_315
.LBB189_532:
	ds_read_b128 v[28:31], v28 offset:8480
	ds_read_b128 v[32:35], v17 offset:9536
	s_waitcnt lgkmcnt(0)
	v_mul_f64 v[36:37], v[30:31], v[34:35]
	v_mul_f64 v[34:35], v[28:29], v[34:35]
	v_fma_f64 v[28:29], v[28:29], v[32:33], -v[36:37]
	v_fma_f64 v[30:31], v[30:31], v[32:33], v[34:35]
	v_add_f64 v[10:11], v[10:11], v[28:29]
	v_add_f64 v[12:13], v[12:13], v[30:31]
	s_or_b64 exec, exec, s[14:15]
	v_cmp_gt_u32_e64 s[10:11], 4, v22
	s_and_saveexec_b64 s[14:15], s[10:11]
	s_cbranch_execnz .LBB189_316
	s_branch .LBB189_317
.LBB189_533:
	v_lshlrev_b32_e32 v29, 4, v27
	v_sub_u32_e32 v29, v28, v29
	v_lshl_add_u32 v33, v26, 4, v29
	ds_read_b128 v[29:32], v28 offset:8464
	ds_read_b128 v[33:36], v33 offset:9088
	s_waitcnt lgkmcnt(0)
	v_mul_f64 v[37:38], v[31:32], v[35:36]
	v_mul_f64 v[35:36], v[29:30], v[35:36]
	v_fma_f64 v[29:30], v[29:30], v[33:34], -v[37:38]
	v_fma_f64 v[31:32], v[31:32], v[33:34], v[35:36]
	v_add_f64 v[10:11], v[10:11], v[29:30]
	v_add_f64 v[12:13], v[12:13], v[31:32]
	s_or_b64 exec, exec, s[14:15]
	v_cmp_gt_u32_e64 s[10:11], 48, v22
	s_and_saveexec_b64 s[14:15], s[10:11]
	s_cbranch_execz .LBB189_357
.LBB189_534:
	v_lshlrev_b32_e32 v29, 4, v27
	v_sub_u32_e32 v29, v28, v29
	v_lshl_add_u32 v33, v26, 4, v29
	ds_read_b128 v[29:32], v28 offset:8480
	ds_read_b128 v[33:36], v33 offset:9600
	s_waitcnt lgkmcnt(0)
	v_mul_f64 v[37:38], v[31:32], v[35:36]
	v_mul_f64 v[35:36], v[29:30], v[35:36]
	v_fma_f64 v[29:30], v[29:30], v[33:34], -v[37:38]
	v_fma_f64 v[31:32], v[31:32], v[33:34], v[35:36]
	v_add_f64 v[10:11], v[10:11], v[29:30]
	v_add_f64 v[12:13], v[12:13], v[31:32]
	s_or_b64 exec, exec, s[14:15]
	v_cmp_gt_u32_e64 s[10:11], 40, v22
	s_and_saveexec_b64 s[14:15], s[10:11]
	s_cbranch_execz .LBB189_358
.LBB189_535:
	v_lshlrev_b32_e32 v29, 4, v27
	v_sub_u32_e32 v29, v28, v29
	v_lshl_add_u32 v33, v26, 4, v29
	ds_read_b128 v[29:32], v28 offset:8496
	ds_read_b128 v[33:36], v33 offset:10112
	s_waitcnt lgkmcnt(0)
	v_mul_f64 v[37:38], v[31:32], v[35:36]
	v_mul_f64 v[35:36], v[29:30], v[35:36]
	v_fma_f64 v[29:30], v[29:30], v[33:34], -v[37:38]
	v_fma_f64 v[31:32], v[31:32], v[33:34], v[35:36]
	v_add_f64 v[10:11], v[10:11], v[29:30]
	v_add_f64 v[12:13], v[12:13], v[31:32]
	s_or_b64 exec, exec, s[14:15]
	v_cmp_gt_u32_e64 s[10:11], 32, v22
	s_and_saveexec_b64 s[14:15], s[10:11]
	s_cbranch_execz .LBB189_359
.LBB189_536:
	ds_read_b128 v[29:32], v28 offset:8512
	ds_read_b128 v[33:36], v23 offset:10624
	s_waitcnt lgkmcnt(0)
	v_mul_f64 v[37:38], v[31:32], v[35:36]
	v_mul_f64 v[35:36], v[29:30], v[35:36]
	v_fma_f64 v[29:30], v[29:30], v[33:34], -v[37:38]
	v_fma_f64 v[31:32], v[31:32], v[33:34], v[35:36]
	v_add_f64 v[10:11], v[10:11], v[29:30]
	v_add_f64 v[12:13], v[12:13], v[31:32]
	s_or_b64 exec, exec, s[14:15]
	v_cmp_gt_u32_e64 s[10:11], 24, v22
	s_and_saveexec_b64 s[14:15], s[10:11]
	s_cbranch_execz .LBB189_360
.LBB189_537:
	v_lshlrev_b32_e32 v27, 4, v27
	v_sub_u32_e32 v27, v28, v27
	v_lshl_add_u32 v26, v26, 4, v27
	ds_read_b128 v[29:32], v28 offset:8528
	ds_read_b128 v[33:36], v26 offset:11136
	s_waitcnt lgkmcnt(0)
	v_mul_f64 v[26:27], v[31:32], v[35:36]
	v_mul_f64 v[35:36], v[29:30], v[35:36]
	v_fma_f64 v[26:27], v[29:30], v[33:34], -v[26:27]
	v_fma_f64 v[29:30], v[31:32], v[33:34], v[35:36]
	v_add_f64 v[10:11], v[10:11], v[26:27]
	v_add_f64 v[12:13], v[12:13], v[29:30]
	s_or_b64 exec, exec, s[14:15]
	v_cmp_gt_u32_e64 s[10:11], 16, v22
	s_and_saveexec_b64 s[14:15], s[10:11]
	s_cbranch_execz .LBB189_361
.LBB189_538:
	ds_read_b128 v[26:29], v28 offset:8544
	ds_read_b128 v[30:33], v23 offset:11648
	s_waitcnt lgkmcnt(0)
	v_mul_f64 v[34:35], v[28:29], v[32:33]
	v_mul_f64 v[32:33], v[26:27], v[32:33]
	v_fma_f64 v[26:27], v[26:27], v[30:31], -v[34:35]
	v_fma_f64 v[28:29], v[28:29], v[30:31], v[32:33]
	v_add_f64 v[10:11], v[10:11], v[26:27]
	v_add_f64 v[12:13], v[12:13], v[28:29]
	s_or_b64 exec, exec, s[14:15]
	v_cmp_gt_u32_e64 s[10:11], 8, v22
	s_and_saveexec_b64 s[14:15], s[10:11]
	s_cbranch_execnz .LBB189_362
	s_branch .LBB189_363
.LBB189_539:
	v_lshlrev_b32_e32 v21, 4, v21
	v_sub_u32_e32 v21, v23, v21
	v_lshl_add_u32 v20, v20, 4, v21
	ds_read_b128 v[24:27], v23 offset:12688
	ds_read_b128 v[28:31], v20 offset:13248
	s_waitcnt lgkmcnt(0)
	v_mul_f64 v[20:21], v[26:27], v[30:31]
	v_mul_f64 v[30:31], v[24:25], v[30:31]
	v_fma_f64 v[20:21], v[24:25], v[28:29], -v[20:21]
	v_fma_f64 v[24:25], v[26:27], v[28:29], v[30:31]
	v_add_f64 v[10:11], v[10:11], v[20:21]
	v_add_f64 v[12:13], v[12:13], v[24:25]
	s_or_b64 exec, exec, s[12:13]
	v_cmp_gt_u32_e64 s[8:9], 8, v22
	s_and_saveexec_b64 s[12:13], s[8:9]
	s_cbranch_execz .LBB189_419
.LBB189_540:
	ds_read_b128 v[23:26], v23 offset:12704
	ds_read_b128 v[27:30], v17 offset:13760
	s_waitcnt lgkmcnt(0)
	v_mul_f64 v[20:21], v[25:26], v[29:30]
	v_mul_f64 v[29:30], v[23:24], v[29:30]
	v_fma_f64 v[20:21], v[23:24], v[27:28], -v[20:21]
	v_fma_f64 v[23:24], v[25:26], v[27:28], v[29:30]
	v_add_f64 v[10:11], v[10:11], v[20:21]
	v_add_f64 v[12:13], v[12:13], v[23:24]
	s_or_b64 exec, exec, s[12:13]
	v_cmp_gt_u32_e64 s[8:9], 4, v22
	s_and_saveexec_b64 s[12:13], s[8:9]
	s_cbranch_execnz .LBB189_420
	s_branch .LBB189_421
	.section	.rodata,"a",@progbits
	.p2align	6, 0x0
	.amdhsa_kernel _ZL19rocblas_trsv_deviceILi32ELi16ELb1ELb1ELb1ELb1E19rocblas_complex_numIdES1_PKPKS1_PKPS1_EviT7_lllT6_T8_lllPii
		.amdhsa_group_segment_fixed_size 25104
		.amdhsa_private_segment_fixed_size 0
		.amdhsa_kernarg_size 360
		.amdhsa_user_sgpr_count 6
		.amdhsa_user_sgpr_private_segment_buffer 1
		.amdhsa_user_sgpr_dispatch_ptr 0
		.amdhsa_user_sgpr_queue_ptr 0
		.amdhsa_user_sgpr_kernarg_segment_ptr 1
		.amdhsa_user_sgpr_dispatch_id 0
		.amdhsa_user_sgpr_flat_scratch_init 0
		.amdhsa_user_sgpr_private_segment_size 0
		.amdhsa_uses_dynamic_stack 0
		.amdhsa_system_sgpr_private_segment_wavefront_offset 0
		.amdhsa_system_sgpr_workgroup_id_x 1
		.amdhsa_system_sgpr_workgroup_id_y 0
		.amdhsa_system_sgpr_workgroup_id_z 1
		.amdhsa_system_sgpr_workgroup_info 0
		.amdhsa_system_vgpr_workitem_id 1
		.amdhsa_next_free_vgpr 49
		.amdhsa_next_free_sgpr 98
		.amdhsa_reserve_vcc 1
		.amdhsa_reserve_flat_scratch 0
		.amdhsa_float_round_mode_32 0
		.amdhsa_float_round_mode_16_64 0
		.amdhsa_float_denorm_mode_32 3
		.amdhsa_float_denorm_mode_16_64 3
		.amdhsa_dx10_clamp 1
		.amdhsa_ieee_mode 1
		.amdhsa_fp16_overflow 0
		.amdhsa_exception_fp_ieee_invalid_op 0
		.amdhsa_exception_fp_denorm_src 0
		.amdhsa_exception_fp_ieee_div_zero 0
		.amdhsa_exception_fp_ieee_overflow 0
		.amdhsa_exception_fp_ieee_underflow 0
		.amdhsa_exception_fp_ieee_inexact 0
		.amdhsa_exception_int_div_zero 0
	.end_amdhsa_kernel
	.section	.text._ZL19rocblas_trsv_deviceILi32ELi16ELb1ELb1ELb1ELb1E19rocblas_complex_numIdES1_PKPKS1_PKPS1_EviT7_lllT6_T8_lllPii,"axG",@progbits,_ZL19rocblas_trsv_deviceILi32ELi16ELb1ELb1ELb1ELb1E19rocblas_complex_numIdES1_PKPKS1_PKPS1_EviT7_lllT6_T8_lllPii,comdat
.Lfunc_end189:
	.size	_ZL19rocblas_trsv_deviceILi32ELi16ELb1ELb1ELb1ELb1E19rocblas_complex_numIdES1_PKPKS1_PKPS1_EviT7_lllT6_T8_lllPii, .Lfunc_end189-_ZL19rocblas_trsv_deviceILi32ELi16ELb1ELb1ELb1ELb1E19rocblas_complex_numIdES1_PKPKS1_PKPS1_EviT7_lllT6_T8_lllPii
                                        ; -- End function
	.set _ZL19rocblas_trsv_deviceILi32ELi16ELb1ELb1ELb1ELb1E19rocblas_complex_numIdES1_PKPKS1_PKPS1_EviT7_lllT6_T8_lllPii.num_vgpr, 44
	.set _ZL19rocblas_trsv_deviceILi32ELi16ELb1ELb1ELb1ELb1E19rocblas_complex_numIdES1_PKPKS1_PKPS1_EviT7_lllT6_T8_lllPii.num_agpr, 0
	.set _ZL19rocblas_trsv_deviceILi32ELi16ELb1ELb1ELb1ELb1E19rocblas_complex_numIdES1_PKPKS1_PKPS1_EviT7_lllT6_T8_lllPii.numbered_sgpr, 96
	.set _ZL19rocblas_trsv_deviceILi32ELi16ELb1ELb1ELb1ELb1E19rocblas_complex_numIdES1_PKPKS1_PKPS1_EviT7_lllT6_T8_lllPii.num_named_barrier, 0
	.set _ZL19rocblas_trsv_deviceILi32ELi16ELb1ELb1ELb1ELb1E19rocblas_complex_numIdES1_PKPKS1_PKPS1_EviT7_lllT6_T8_lllPii.private_seg_size, 0
	.set _ZL19rocblas_trsv_deviceILi32ELi16ELb1ELb1ELb1ELb1E19rocblas_complex_numIdES1_PKPKS1_PKPS1_EviT7_lllT6_T8_lllPii.uses_vcc, 1
	.set _ZL19rocblas_trsv_deviceILi32ELi16ELb1ELb1ELb1ELb1E19rocblas_complex_numIdES1_PKPKS1_PKPS1_EviT7_lllT6_T8_lllPii.uses_flat_scratch, 0
	.set _ZL19rocblas_trsv_deviceILi32ELi16ELb1ELb1ELb1ELb1E19rocblas_complex_numIdES1_PKPKS1_PKPS1_EviT7_lllT6_T8_lllPii.has_dyn_sized_stack, 0
	.set _ZL19rocblas_trsv_deviceILi32ELi16ELb1ELb1ELb1ELb1E19rocblas_complex_numIdES1_PKPKS1_PKPS1_EviT7_lllT6_T8_lllPii.has_recursion, 0
	.set _ZL19rocblas_trsv_deviceILi32ELi16ELb1ELb1ELb1ELb1E19rocblas_complex_numIdES1_PKPKS1_PKPS1_EviT7_lllT6_T8_lllPii.has_indirect_call, 0
	.section	.AMDGPU.csdata,"",@progbits
; Kernel info:
; codeLenInByte = 21888
; TotalNumSgprs: 100
; NumVgprs: 44
; ScratchSize: 0
; MemoryBound: 1
; FloatMode: 240
; IeeeMode: 1
; LDSByteSize: 25104 bytes/workgroup (compile time only)
; SGPRBlocks: 12
; VGPRBlocks: 12
; NumSGPRsForWavesPerEU: 102
; NumVGPRsForWavesPerEU: 49
; Occupancy: 4
; WaveLimiterHint : 1
; COMPUTE_PGM_RSRC2:SCRATCH_EN: 0
; COMPUTE_PGM_RSRC2:USER_SGPR: 6
; COMPUTE_PGM_RSRC2:TRAP_HANDLER: 0
; COMPUTE_PGM_RSRC2:TGID_X_EN: 1
; COMPUTE_PGM_RSRC2:TGID_Y_EN: 0
; COMPUTE_PGM_RSRC2:TGID_Z_EN: 1
; COMPUTE_PGM_RSRC2:TIDIG_COMP_CNT: 1
	.section	.text._ZL19rocblas_trsv_deviceILi32ELi16ELb1ELb0ELb0ELb0E19rocblas_complex_numIdES1_PKPKS1_PKPS1_EviT7_lllT6_T8_lllPii,"axG",@progbits,_ZL19rocblas_trsv_deviceILi32ELi16ELb1ELb0ELb0ELb0E19rocblas_complex_numIdES1_PKPKS1_PKPS1_EviT7_lllT6_T8_lllPii,comdat
	.globl	_ZL19rocblas_trsv_deviceILi32ELi16ELb1ELb0ELb0ELb0E19rocblas_complex_numIdES1_PKPKS1_PKPS1_EviT7_lllT6_T8_lllPii ; -- Begin function _ZL19rocblas_trsv_deviceILi32ELi16ELb1ELb0ELb0ELb0E19rocblas_complex_numIdES1_PKPKS1_PKPS1_EviT7_lllT6_T8_lllPii
	.p2align	8
	.type	_ZL19rocblas_trsv_deviceILi32ELi16ELb1ELb0ELb0ELb0E19rocblas_complex_numIdES1_PKPKS1_PKPS1_EviT7_lllT6_T8_lllPii,@function
_ZL19rocblas_trsv_deviceILi32ELi16ELb1ELb0ELb0ELb0E19rocblas_complex_numIdES1_PKPKS1_PKPS1_EviT7_lllT6_T8_lllPii: ; @_ZL19rocblas_trsv_deviceILi32ELi16ELb1ELb0ELb0ELb0E19rocblas_complex_numIdES1_PKPKS1_PKPS1_EviT7_lllT6_T8_lllPii
; %bb.0:
	s_load_dwordx4 s[0:3], s[4:5], 0x8
	s_mov_b32 s24, s7
	s_mov_b32 s25, 0
	s_lshl_b64 s[8:9], s[24:25], 3
	v_mov_b32_e32 v2, v1
	s_waitcnt lgkmcnt(0)
	s_add_u32 s0, s0, s8
	s_addc_u32 s1, s1, s9
	s_load_dwordx2 s[10:11], s[0:1], 0x0
	s_load_dword s7, s[4:5], 0x0
	s_load_dwordx8 s[16:23], s[4:5], 0x28
	s_load_dwordx2 s[26:27], s[4:5], 0x18
	s_lshl_b64 s[0:1], s[2:3], 4
	s_waitcnt lgkmcnt(0)
	s_add_u32 s86, s10, s0
	s_addc_u32 s87, s11, s1
	s_add_u32 s0, s20, s8
	s_addc_u32 s1, s21, s9
	s_load_dwordx2 s[30:31], s[0:1], 0x0
	s_load_dwordx2 s[20:21], s[4:5], 0x48
	s_load_dword s88, s[4:5], 0x74
	s_cmp_eq_u32 s6, 0
	s_cbranch_scc1 .LBB190_6
; %bb.1:
	s_lshl_b32 s33, s6, 5
	v_add_u32_e32 v1, s33, v2
	v_subrev_u32_e32 v1, 32, v1
	v_ashrrev_i32_e32 v3, 31, v1
	v_mul_lo_u32 v7, s26, v3
	v_mul_lo_u32 v8, s27, v1
	v_mad_u64_u32 v[3:4], s[0:1], s26, v1, 0
	v_add_u32_e32 v5, s33, v0
	v_ashrrev_i32_e32 v6, 31, v5
	v_add3_u32 v4, v4, v7, v8
	v_lshlrev_b64 v[3:4], 4, v[3:4]
	v_mov_b32_e32 v7, s87
	v_add_co_u32_e64 v8, s[0:1], s86, v3
	v_addc_co_u32_e64 v7, s[0:1], v7, v4, s[0:1]
	v_lshlrev_b64 v[3:4], 4, v[5:6]
	v_cmp_gt_i32_e32 vcc, s7, v5
	v_add_co_u32_e64 v11, s[0:1], v8, v3
	v_addc_co_u32_e64 v12, s[0:1], v7, v4, s[0:1]
	v_cmp_gt_i32_e64 s[0:1], s7, v1
	v_mov_b32_e32 v9, 0
	v_mov_b32_e32 v3, 0
	v_mov_b32_e32 v5, 0
	v_mov_b32_e32 v10, 0
	v_mov_b32_e32 v4, 0
	v_mov_b32_e32 v6, 0
	s_and_b64 s[2:3], vcc, s[0:1]
	s_waitcnt lgkmcnt(0)
	s_barrier
	s_and_saveexec_b64 s[0:1], s[2:3]
	s_cbranch_execz .LBB190_3
; %bb.2:
	flat_load_dwordx4 v[3:6], v[11:12]
.LBB190_3:
	s_or_b64 exec, exec, s[0:1]
	v_add_u32_e32 v1, 16, v1
	v_cmp_gt_i32_e64 s[0:1], s7, v1
	v_mov_b32_e32 v7, 0
	v_mov_b32_e32 v8, 0
	s_and_b64 s[2:3], vcc, s[0:1]
	s_waitcnt vmcnt(0) lgkmcnt(0)
	s_barrier
	s_and_saveexec_b64 s[0:1], s[2:3]
	s_cbranch_execz .LBB190_5
; %bb.4:
	s_lshl_b64 s[2:3], s[26:27], 8
	v_mov_b32_e32 v1, s3
	v_add_co_u32_e32 v7, vcc, s2, v11
	v_addc_co_u32_e32 v8, vcc, v12, v1, vcc
	flat_load_dwordx4 v[7:10], v[7:8]
.LBB190_5:
	s_or_b64 exec, exec, s[0:1]
	s_branch .LBB190_7
.LBB190_6:
                                        ; implicit-def: $vgpr9_vgpr10
                                        ; implicit-def: $vgpr5_vgpr6
	s_mov_b32 s33, s25
.LBB190_7:
	s_ashr_i32 s0, s7, 31
	s_lshr_b32 s0, s0, 27
	s_add_i32 s0, s7, s0
	s_andn2_b32 s0, s0, 31
	s_sub_i32 s85, s7, s0
	s_add_i32 s0, s7, -1
	s_ashr_i32 s1, s0, 31
	s_lshr_b32 s1, s1, 27
	s_add_i32 s0, s0, s1
	s_ashr_i32 s0, s0, 5
	s_cmp_eq_u32 s0, s6
	s_cselect_b64 s[0:1], -1, 0
	s_cmp_lg_u32 s85, 0
	s_cselect_b64 s[2:3], -1, 0
	s_and_b64 s[28:29], s[2:3], s[0:1]
	s_ashr_i32 s84, s33, 31
	s_add_u32 s8, s26, 1
	v_mov_b32_e32 v1, 0
	v_mov_b32_e32 v11, s33
	v_mad_u64_u32 v[19:20], s[0:1], s8, v11, v[0:1]
	s_addc_u32 s9, s27, 0
	s_mul_i32 s0, s8, s84
	s_mul_i32 s9, s9, s33
	s_add_i32 s0, s0, s9
	s_mov_b64 s[2:3], -1
	v_add_u32_e32 v20, s0, v20
	s_and_b64 vcc, exec, s[28:29]
	v_cmp_le_u32_e64 s[0:1], v0, v2
	v_lshl_add_u32 v1, v2, 5, v0
	s_cbranch_vccnz .LBB190_37
; %bb.8:
	v_mad_u64_u32 v[11:12], s[2:3], s26, v2, v[19:20]
	v_mad_u64_u32 v[12:13], s[2:3], s27, v2, v[12:13]
	s_and_saveexec_b64 s[2:3], s[0:1]
	s_xor_b64 s[0:1], exec, s[2:3]
	s_cbranch_execz .LBB190_20
; %bb.9:
	v_cmp_ne_u32_e32 vcc, v0, v2
	s_and_saveexec_b64 s[2:3], vcc
	s_xor_b64 s[2:3], exec, s[2:3]
	s_cbranch_execz .LBB190_13
; %bb.10:
	v_or_b32_e32 v11, v2, v0
	v_cmp_gt_u32_e32 vcc, 32, v11
	s_and_saveexec_b64 s[8:9], vcc
	s_cbranch_execz .LBB190_12
; %bb.11:
	v_mov_b32_e32 v11, 0
	v_lshlrev_b32_e32 v15, 4, v1
	v_mov_b32_e32 v12, v11
	v_mov_b32_e32 v13, v11
	v_mov_b32_e32 v14, v11
	ds_write_b128 v15, v[11:14]
.LBB190_12:
	s_or_b64 exec, exec, s[8:9]
                                        ; implicit-def: $vgpr11_vgpr12
.LBB190_13:
	s_andn2_saveexec_b64 s[2:3], s[2:3]
	s_cbranch_execz .LBB190_19
; %bb.14:
	v_lshlrev_b64 v[11:12], 4, v[11:12]
	v_mov_b32_e32 v13, s87
	v_add_co_u32_e32 v11, vcc, s86, v11
	v_addc_co_u32_e32 v12, vcc, v13, v12, vcc
	flat_load_dwordx4 v[11:14], v[11:12]
                                        ; implicit-def: $vgpr15_vgpr16
	s_waitcnt vmcnt(0) lgkmcnt(0)
	v_cmp_ngt_f64_e64 s[8:9], |v[11:12]|, |v[13:14]|
	s_and_saveexec_b64 s[10:11], s[8:9]
	s_xor_b64 s[8:9], exec, s[10:11]
	s_cbranch_execz .LBB190_16
; %bb.15:
	v_div_scale_f64 v[15:16], s[10:11], v[13:14], v[13:14], v[11:12]
	v_rcp_f64_e32 v[17:18], v[15:16]
	v_fma_f64 v[21:22], -v[15:16], v[17:18], 1.0
	v_fma_f64 v[17:18], v[17:18], v[21:22], v[17:18]
	v_div_scale_f64 v[21:22], vcc, v[11:12], v[13:14], v[11:12]
	v_fma_f64 v[23:24], -v[15:16], v[17:18], 1.0
	v_fma_f64 v[17:18], v[17:18], v[23:24], v[17:18]
	v_mul_f64 v[23:24], v[21:22], v[17:18]
	v_fma_f64 v[15:16], -v[15:16], v[23:24], v[21:22]
	v_div_fmas_f64 v[15:16], v[15:16], v[17:18], v[23:24]
	v_div_fixup_f64 v[15:16], v[15:16], v[13:14], v[11:12]
	v_fma_f64 v[11:12], v[11:12], v[15:16], v[13:14]
	v_div_scale_f64 v[13:14], s[10:11], v[11:12], v[11:12], 1.0
	v_div_scale_f64 v[23:24], vcc, 1.0, v[11:12], 1.0
	v_rcp_f64_e32 v[17:18], v[13:14]
	v_fma_f64 v[21:22], -v[13:14], v[17:18], 1.0
	v_fma_f64 v[17:18], v[17:18], v[21:22], v[17:18]
	v_fma_f64 v[21:22], -v[13:14], v[17:18], 1.0
	v_fma_f64 v[17:18], v[17:18], v[21:22], v[17:18]
	v_mul_f64 v[21:22], v[23:24], v[17:18]
	v_fma_f64 v[13:14], -v[13:14], v[21:22], v[23:24]
	v_div_fmas_f64 v[13:14], v[13:14], v[17:18], v[21:22]
	v_div_fixup_f64 v[17:18], v[13:14], v[11:12], 1.0
                                        ; implicit-def: $vgpr11_vgpr12
	v_mul_f64 v[15:16], v[15:16], v[17:18]
	v_xor_b32_e32 v18, 0x80000000, v18
.LBB190_16:
	s_andn2_saveexec_b64 s[8:9], s[8:9]
	s_cbranch_execz .LBB190_18
; %bb.17:
	v_div_scale_f64 v[15:16], s[10:11], v[11:12], v[11:12], v[13:14]
	v_rcp_f64_e32 v[17:18], v[15:16]
	v_fma_f64 v[21:22], -v[15:16], v[17:18], 1.0
	v_fma_f64 v[17:18], v[17:18], v[21:22], v[17:18]
	v_div_scale_f64 v[21:22], vcc, v[13:14], v[11:12], v[13:14]
	v_fma_f64 v[23:24], -v[15:16], v[17:18], 1.0
	v_fma_f64 v[17:18], v[17:18], v[23:24], v[17:18]
	v_mul_f64 v[23:24], v[21:22], v[17:18]
	v_fma_f64 v[15:16], -v[15:16], v[23:24], v[21:22]
	v_div_fmas_f64 v[15:16], v[15:16], v[17:18], v[23:24]
	v_div_fixup_f64 v[17:18], v[15:16], v[11:12], v[13:14]
	v_fma_f64 v[11:12], v[13:14], v[17:18], v[11:12]
	v_div_scale_f64 v[13:14], s[10:11], v[11:12], v[11:12], 1.0
	v_div_scale_f64 v[23:24], vcc, 1.0, v[11:12], 1.0
	v_rcp_f64_e32 v[15:16], v[13:14]
	v_fma_f64 v[21:22], -v[13:14], v[15:16], 1.0
	v_fma_f64 v[15:16], v[15:16], v[21:22], v[15:16]
	v_fma_f64 v[21:22], -v[13:14], v[15:16], 1.0
	v_fma_f64 v[15:16], v[15:16], v[21:22], v[15:16]
	v_mul_f64 v[21:22], v[23:24], v[15:16]
	v_fma_f64 v[13:14], -v[13:14], v[21:22], v[23:24]
	v_div_fmas_f64 v[13:14], v[13:14], v[15:16], v[21:22]
	v_div_fixup_f64 v[15:16], v[13:14], v[11:12], 1.0
	v_mul_f64 v[17:18], v[17:18], -v[15:16]
.LBB190_18:
	s_or_b64 exec, exec, s[8:9]
	v_lshlrev_b32_e32 v11, 4, v1
	ds_write_b128 v11, v[15:18]
.LBB190_19:
	s_or_b64 exec, exec, s[2:3]
                                        ; implicit-def: $vgpr11_vgpr12
.LBB190_20:
	s_andn2_saveexec_b64 s[0:1], s[0:1]
	s_cbranch_execz .LBB190_22
; %bb.21:
	v_lshlrev_b64 v[11:12], 4, v[11:12]
	v_mov_b32_e32 v13, s87
	v_add_co_u32_e32 v11, vcc, s86, v11
	v_addc_co_u32_e32 v12, vcc, v13, v12, vcc
	flat_load_dwordx4 v[11:14], v[11:12]
	v_lshlrev_b32_e32 v15, 4, v1
	s_waitcnt vmcnt(0) lgkmcnt(0)
	v_xor_b32_e32 v12, 0x80000000, v12
	v_xor_b32_e32 v14, 0x80000000, v14
	ds_write_b128 v15, v[11:14]
.LBB190_22:
	s_or_b64 exec, exec, s[0:1]
	v_add_u32_e32 v13, 16, v2
	v_mad_u64_u32 v[11:12], s[0:1], s26, v13, v[19:20]
	v_lshl_add_u32 v21, v13, 5, v0
	v_cmp_le_u32_e32 vcc, v0, v13
	v_mad_u64_u32 v[14:15], s[0:1], s27, v13, v[12:13]
	v_mov_b32_e32 v12, v14
	s_and_saveexec_b64 s[0:1], vcc
	s_xor_b64 s[0:1], exec, s[0:1]
	s_cbranch_execz .LBB190_34
; %bb.23:
	v_cmp_ne_u32_e32 vcc, v0, v13
	s_and_saveexec_b64 s[2:3], vcc
	s_xor_b64 s[2:3], exec, s[2:3]
	s_cbranch_execz .LBB190_27
; %bb.24:
	v_or_b32_e32 v11, v13, v0
	v_cmp_gt_u32_e32 vcc, 32, v11
	s_and_saveexec_b64 s[8:9], vcc
	s_cbranch_execz .LBB190_26
; %bb.25:
	v_mov_b32_e32 v11, 0
	v_lshlrev_b32_e32 v15, 4, v21
	v_mov_b32_e32 v12, v11
	v_mov_b32_e32 v13, v11
	;; [unrolled: 1-line block ×3, first 2 shown]
	ds_write_b128 v15, v[11:14]
.LBB190_26:
	s_or_b64 exec, exec, s[8:9]
                                        ; implicit-def: $vgpr21
                                        ; implicit-def: $vgpr11_vgpr12
.LBB190_27:
	s_andn2_saveexec_b64 s[2:3], s[2:3]
	s_cbranch_execz .LBB190_33
; %bb.28:
	v_lshlrev_b64 v[11:12], 4, v[11:12]
	v_mov_b32_e32 v13, s87
	v_add_co_u32_e32 v11, vcc, s86, v11
	v_addc_co_u32_e32 v12, vcc, v13, v12, vcc
	flat_load_dwordx4 v[11:14], v[11:12]
                                        ; implicit-def: $vgpr15_vgpr16
	s_waitcnt vmcnt(0) lgkmcnt(0)
	v_cmp_ngt_f64_e64 s[8:9], |v[11:12]|, |v[13:14]|
	s_and_saveexec_b64 s[10:11], s[8:9]
	s_xor_b64 s[8:9], exec, s[10:11]
	s_cbranch_execz .LBB190_30
; %bb.29:
	v_div_scale_f64 v[15:16], s[10:11], v[13:14], v[13:14], v[11:12]
	v_rcp_f64_e32 v[17:18], v[15:16]
	v_fma_f64 v[22:23], -v[15:16], v[17:18], 1.0
	v_fma_f64 v[17:18], v[17:18], v[22:23], v[17:18]
	v_div_scale_f64 v[22:23], vcc, v[11:12], v[13:14], v[11:12]
	v_fma_f64 v[24:25], -v[15:16], v[17:18], 1.0
	v_fma_f64 v[17:18], v[17:18], v[24:25], v[17:18]
	v_mul_f64 v[24:25], v[22:23], v[17:18]
	v_fma_f64 v[15:16], -v[15:16], v[24:25], v[22:23]
	v_div_fmas_f64 v[15:16], v[15:16], v[17:18], v[24:25]
	v_div_fixup_f64 v[15:16], v[15:16], v[13:14], v[11:12]
	v_fma_f64 v[11:12], v[11:12], v[15:16], v[13:14]
	v_div_scale_f64 v[13:14], s[10:11], v[11:12], v[11:12], 1.0
	v_div_scale_f64 v[24:25], vcc, 1.0, v[11:12], 1.0
	v_rcp_f64_e32 v[17:18], v[13:14]
	v_fma_f64 v[22:23], -v[13:14], v[17:18], 1.0
	v_fma_f64 v[17:18], v[17:18], v[22:23], v[17:18]
	v_fma_f64 v[22:23], -v[13:14], v[17:18], 1.0
	v_fma_f64 v[17:18], v[17:18], v[22:23], v[17:18]
	v_mul_f64 v[22:23], v[24:25], v[17:18]
	v_fma_f64 v[13:14], -v[13:14], v[22:23], v[24:25]
	v_div_fmas_f64 v[13:14], v[13:14], v[17:18], v[22:23]
	v_div_fixup_f64 v[17:18], v[13:14], v[11:12], 1.0
                                        ; implicit-def: $vgpr11_vgpr12
	v_mul_f64 v[15:16], v[15:16], v[17:18]
	v_xor_b32_e32 v18, 0x80000000, v18
.LBB190_30:
	s_andn2_saveexec_b64 s[8:9], s[8:9]
	s_cbranch_execz .LBB190_32
; %bb.31:
	v_div_scale_f64 v[15:16], s[10:11], v[11:12], v[11:12], v[13:14]
	v_rcp_f64_e32 v[17:18], v[15:16]
	v_fma_f64 v[22:23], -v[15:16], v[17:18], 1.0
	v_fma_f64 v[17:18], v[17:18], v[22:23], v[17:18]
	v_div_scale_f64 v[22:23], vcc, v[13:14], v[11:12], v[13:14]
	v_fma_f64 v[24:25], -v[15:16], v[17:18], 1.0
	v_fma_f64 v[17:18], v[17:18], v[24:25], v[17:18]
	v_mul_f64 v[24:25], v[22:23], v[17:18]
	v_fma_f64 v[15:16], -v[15:16], v[24:25], v[22:23]
	v_div_fmas_f64 v[15:16], v[15:16], v[17:18], v[24:25]
	v_div_fixup_f64 v[17:18], v[15:16], v[11:12], v[13:14]
	v_fma_f64 v[11:12], v[13:14], v[17:18], v[11:12]
	v_div_scale_f64 v[13:14], s[10:11], v[11:12], v[11:12], 1.0
	v_div_scale_f64 v[24:25], vcc, 1.0, v[11:12], 1.0
	v_rcp_f64_e32 v[15:16], v[13:14]
	v_fma_f64 v[22:23], -v[13:14], v[15:16], 1.0
	v_fma_f64 v[15:16], v[15:16], v[22:23], v[15:16]
	v_fma_f64 v[22:23], -v[13:14], v[15:16], 1.0
	v_fma_f64 v[15:16], v[15:16], v[22:23], v[15:16]
	v_mul_f64 v[22:23], v[24:25], v[15:16]
	v_fma_f64 v[13:14], -v[13:14], v[22:23], v[24:25]
	v_div_fmas_f64 v[13:14], v[13:14], v[15:16], v[22:23]
	v_div_fixup_f64 v[15:16], v[13:14], v[11:12], 1.0
	v_mul_f64 v[17:18], v[17:18], -v[15:16]
.LBB190_32:
	s_or_b64 exec, exec, s[8:9]
	v_lshlrev_b32_e32 v11, 4, v21
	ds_write_b128 v11, v[15:18]
.LBB190_33:
	s_or_b64 exec, exec, s[2:3]
                                        ; implicit-def: $vgpr11_vgpr12
                                        ; implicit-def: $vgpr21
.LBB190_34:
	s_andn2_saveexec_b64 s[0:1], s[0:1]
	s_cbranch_execz .LBB190_36
; %bb.35:
	v_lshlrev_b64 v[11:12], 4, v[11:12]
	v_mov_b32_e32 v13, s87
	v_add_co_u32_e32 v11, vcc, s86, v11
	v_addc_co_u32_e32 v12, vcc, v13, v12, vcc
	flat_load_dwordx4 v[11:14], v[11:12]
	v_lshlrev_b32_e32 v15, 4, v21
	s_waitcnt vmcnt(0) lgkmcnt(0)
	v_xor_b32_e32 v12, 0x80000000, v12
	v_xor_b32_e32 v14, 0x80000000, v14
	ds_write_b128 v15, v[11:14]
.LBB190_36:
	s_or_b64 exec, exec, s[0:1]
	s_mov_b64 s[2:3], 0
.LBB190_37:
	s_and_b64 vcc, exec, s[2:3]
	s_cbranch_vccz .LBB190_67
; %bb.38:
	v_mad_u64_u32 v[11:12], s[0:1], s26, v2, v[19:20]
	v_cmp_le_u32_e32 vcc, v0, v2
	v_cmp_gt_i32_e64 s[0:1], s85, v0
	v_mad_u64_u32 v[12:13], s[2:3], s27, v2, v[12:13]
	v_max_i32_e32 v13, v2, v0
	v_cmp_le_i32_e64 s[2:3], s85, v13
	s_or_b64 s[2:3], s[2:3], vcc
	s_and_saveexec_b64 s[8:9], s[2:3]
	s_xor_b64 s[2:3], exec, s[8:9]
	s_cbranch_execz .LBB190_50
; %bb.39:
	v_cmp_ne_u32_e32 vcc, v0, v2
	s_xor_b64 s[8:9], s[0:1], -1
	s_or_b64 s[8:9], s[8:9], vcc
	s_and_saveexec_b64 s[10:11], s[8:9]
	s_xor_b64 s[8:9], exec, s[10:11]
	s_cbranch_execz .LBB190_43
; %bb.40:
	v_or_b32_e32 v11, v2, v0
	v_cmp_gt_u32_e32 vcc, 32, v11
	s_and_saveexec_b64 s[10:11], vcc
	s_cbranch_execz .LBB190_42
; %bb.41:
	v_mov_b32_e32 v11, 0
	v_lshlrev_b32_e32 v15, 4, v1
	v_mov_b32_e32 v12, v11
	v_mov_b32_e32 v13, v11
	v_mov_b32_e32 v14, v11
	ds_write_b128 v15, v[11:14]
.LBB190_42:
	s_or_b64 exec, exec, s[10:11]
                                        ; implicit-def: $vgpr11_vgpr12
.LBB190_43:
	s_andn2_saveexec_b64 s[8:9], s[8:9]
	s_cbranch_execz .LBB190_49
; %bb.44:
	v_lshlrev_b64 v[11:12], 4, v[11:12]
	v_mov_b32_e32 v13, s87
	v_add_co_u32_e32 v11, vcc, s86, v11
	v_addc_co_u32_e32 v12, vcc, v13, v12, vcc
	flat_load_dwordx4 v[11:14], v[11:12]
                                        ; implicit-def: $vgpr15_vgpr16
	s_waitcnt vmcnt(0) lgkmcnt(0)
	v_cmp_ngt_f64_e64 s[10:11], |v[11:12]|, |v[13:14]|
	s_and_saveexec_b64 s[12:13], s[10:11]
	s_xor_b64 s[10:11], exec, s[12:13]
	s_cbranch_execz .LBB190_46
; %bb.45:
	v_div_scale_f64 v[15:16], s[12:13], v[13:14], v[13:14], v[11:12]
	v_rcp_f64_e32 v[17:18], v[15:16]
	v_fma_f64 v[21:22], -v[15:16], v[17:18], 1.0
	v_fma_f64 v[17:18], v[17:18], v[21:22], v[17:18]
	v_div_scale_f64 v[21:22], vcc, v[11:12], v[13:14], v[11:12]
	v_fma_f64 v[23:24], -v[15:16], v[17:18], 1.0
	v_fma_f64 v[17:18], v[17:18], v[23:24], v[17:18]
	v_mul_f64 v[23:24], v[21:22], v[17:18]
	v_fma_f64 v[15:16], -v[15:16], v[23:24], v[21:22]
	v_div_fmas_f64 v[15:16], v[15:16], v[17:18], v[23:24]
	v_div_fixup_f64 v[15:16], v[15:16], v[13:14], v[11:12]
	v_fma_f64 v[11:12], v[11:12], v[15:16], v[13:14]
	v_div_scale_f64 v[13:14], s[12:13], v[11:12], v[11:12], 1.0
	v_div_scale_f64 v[23:24], vcc, 1.0, v[11:12], 1.0
	v_rcp_f64_e32 v[17:18], v[13:14]
	v_fma_f64 v[21:22], -v[13:14], v[17:18], 1.0
	v_fma_f64 v[17:18], v[17:18], v[21:22], v[17:18]
	v_fma_f64 v[21:22], -v[13:14], v[17:18], 1.0
	v_fma_f64 v[17:18], v[17:18], v[21:22], v[17:18]
	v_mul_f64 v[21:22], v[23:24], v[17:18]
	v_fma_f64 v[13:14], -v[13:14], v[21:22], v[23:24]
	v_div_fmas_f64 v[13:14], v[13:14], v[17:18], v[21:22]
	v_div_fixup_f64 v[17:18], v[13:14], v[11:12], 1.0
                                        ; implicit-def: $vgpr11_vgpr12
	v_mul_f64 v[15:16], v[15:16], v[17:18]
	v_xor_b32_e32 v18, 0x80000000, v18
.LBB190_46:
	s_andn2_saveexec_b64 s[10:11], s[10:11]
	s_cbranch_execz .LBB190_48
; %bb.47:
	v_div_scale_f64 v[15:16], s[12:13], v[11:12], v[11:12], v[13:14]
	v_rcp_f64_e32 v[17:18], v[15:16]
	v_fma_f64 v[21:22], -v[15:16], v[17:18], 1.0
	v_fma_f64 v[17:18], v[17:18], v[21:22], v[17:18]
	v_div_scale_f64 v[21:22], vcc, v[13:14], v[11:12], v[13:14]
	v_fma_f64 v[23:24], -v[15:16], v[17:18], 1.0
	v_fma_f64 v[17:18], v[17:18], v[23:24], v[17:18]
	v_mul_f64 v[23:24], v[21:22], v[17:18]
	v_fma_f64 v[15:16], -v[15:16], v[23:24], v[21:22]
	v_div_fmas_f64 v[15:16], v[15:16], v[17:18], v[23:24]
	v_div_fixup_f64 v[17:18], v[15:16], v[11:12], v[13:14]
	v_fma_f64 v[11:12], v[13:14], v[17:18], v[11:12]
	v_div_scale_f64 v[13:14], s[12:13], v[11:12], v[11:12], 1.0
	v_div_scale_f64 v[23:24], vcc, 1.0, v[11:12], 1.0
	v_rcp_f64_e32 v[15:16], v[13:14]
	v_fma_f64 v[21:22], -v[13:14], v[15:16], 1.0
	v_fma_f64 v[15:16], v[15:16], v[21:22], v[15:16]
	v_fma_f64 v[21:22], -v[13:14], v[15:16], 1.0
	v_fma_f64 v[15:16], v[15:16], v[21:22], v[15:16]
	v_mul_f64 v[21:22], v[23:24], v[15:16]
	v_fma_f64 v[13:14], -v[13:14], v[21:22], v[23:24]
	v_div_fmas_f64 v[13:14], v[13:14], v[15:16], v[21:22]
	v_div_fixup_f64 v[15:16], v[13:14], v[11:12], 1.0
	v_mul_f64 v[17:18], v[17:18], -v[15:16]
.LBB190_48:
	s_or_b64 exec, exec, s[10:11]
	v_lshlrev_b32_e32 v11, 4, v1
	ds_write_b128 v11, v[15:18]
.LBB190_49:
	s_or_b64 exec, exec, s[8:9]
                                        ; implicit-def: $vgpr11_vgpr12
.LBB190_50:
	s_andn2_saveexec_b64 s[2:3], s[2:3]
	s_cbranch_execz .LBB190_52
; %bb.51:
	v_lshlrev_b64 v[11:12], 4, v[11:12]
	v_mov_b32_e32 v13, s87
	v_add_co_u32_e32 v11, vcc, s86, v11
	v_addc_co_u32_e32 v12, vcc, v13, v12, vcc
	flat_load_dwordx4 v[11:14], v[11:12]
	v_lshlrev_b32_e32 v15, 4, v1
	s_waitcnt vmcnt(0) lgkmcnt(0)
	v_xor_b32_e32 v12, 0x80000000, v12
	v_xor_b32_e32 v14, 0x80000000, v14
	ds_write_b128 v15, v[11:14]
.LBB190_52:
	s_or_b64 exec, exec, s[2:3]
	v_add_u32_e32 v13, 16, v2
	v_mad_u64_u32 v[11:12], s[2:3], s26, v13, v[19:20]
	v_cmp_gt_u32_e32 vcc, v0, v13
	v_lshl_add_u32 v19, v13, 5, v0
	v_mad_u64_u32 v[14:15], s[2:3], s27, v13, v[12:13]
	v_cmp_gt_i32_e64 s[2:3], s85, v13
	s_and_b64 s[2:3], vcc, s[2:3]
	s_and_b64 s[2:3], s[0:1], s[2:3]
	v_mov_b32_e32 v12, v14
	s_xor_b64 s[2:3], s[2:3], -1
	s_and_saveexec_b64 s[8:9], s[2:3]
	s_xor_b64 s[2:3], exec, s[8:9]
	s_cbranch_execz .LBB190_64
; %bb.53:
	v_cmp_ne_u32_e32 vcc, v0, v13
	s_xor_b64 s[0:1], s[0:1], -1
	s_or_b64 s[0:1], s[0:1], vcc
	s_and_saveexec_b64 s[8:9], s[0:1]
	s_xor_b64 s[0:1], exec, s[8:9]
	s_cbranch_execz .LBB190_57
; %bb.54:
	v_or_b32_e32 v11, v13, v0
	v_cmp_gt_u32_e32 vcc, 32, v11
	s_and_saveexec_b64 s[8:9], vcc
	s_cbranch_execz .LBB190_56
; %bb.55:
	v_mov_b32_e32 v11, 0
	v_lshlrev_b32_e32 v15, 4, v19
	v_mov_b32_e32 v12, v11
	v_mov_b32_e32 v13, v11
	;; [unrolled: 1-line block ×3, first 2 shown]
	ds_write_b128 v15, v[11:14]
.LBB190_56:
	s_or_b64 exec, exec, s[8:9]
                                        ; implicit-def: $vgpr19
                                        ; implicit-def: $vgpr11_vgpr12
.LBB190_57:
	s_andn2_saveexec_b64 s[0:1], s[0:1]
	s_cbranch_execz .LBB190_63
; %bb.58:
	v_lshlrev_b64 v[11:12], 4, v[11:12]
	v_mov_b32_e32 v13, s87
	v_add_co_u32_e32 v11, vcc, s86, v11
	v_addc_co_u32_e32 v12, vcc, v13, v12, vcc
	flat_load_dwordx4 v[11:14], v[11:12]
                                        ; implicit-def: $vgpr15_vgpr16
	s_waitcnt vmcnt(0) lgkmcnt(0)
	v_cmp_ngt_f64_e64 s[8:9], |v[11:12]|, |v[13:14]|
	s_and_saveexec_b64 s[10:11], s[8:9]
	s_xor_b64 s[8:9], exec, s[10:11]
	s_cbranch_execz .LBB190_60
; %bb.59:
	v_div_scale_f64 v[15:16], s[10:11], v[13:14], v[13:14], v[11:12]
	v_rcp_f64_e32 v[17:18], v[15:16]
	v_fma_f64 v[20:21], -v[15:16], v[17:18], 1.0
	v_fma_f64 v[17:18], v[17:18], v[20:21], v[17:18]
	v_div_scale_f64 v[20:21], vcc, v[11:12], v[13:14], v[11:12]
	v_fma_f64 v[22:23], -v[15:16], v[17:18], 1.0
	v_fma_f64 v[17:18], v[17:18], v[22:23], v[17:18]
	v_mul_f64 v[22:23], v[20:21], v[17:18]
	v_fma_f64 v[15:16], -v[15:16], v[22:23], v[20:21]
	v_div_fmas_f64 v[15:16], v[15:16], v[17:18], v[22:23]
	v_div_fixup_f64 v[15:16], v[15:16], v[13:14], v[11:12]
	v_fma_f64 v[11:12], v[11:12], v[15:16], v[13:14]
	v_div_scale_f64 v[13:14], s[10:11], v[11:12], v[11:12], 1.0
	v_div_scale_f64 v[22:23], vcc, 1.0, v[11:12], 1.0
	v_rcp_f64_e32 v[17:18], v[13:14]
	v_fma_f64 v[20:21], -v[13:14], v[17:18], 1.0
	v_fma_f64 v[17:18], v[17:18], v[20:21], v[17:18]
	v_fma_f64 v[20:21], -v[13:14], v[17:18], 1.0
	v_fma_f64 v[17:18], v[17:18], v[20:21], v[17:18]
	v_mul_f64 v[20:21], v[22:23], v[17:18]
	v_fma_f64 v[13:14], -v[13:14], v[20:21], v[22:23]
	v_div_fmas_f64 v[13:14], v[13:14], v[17:18], v[20:21]
	v_div_fixup_f64 v[17:18], v[13:14], v[11:12], 1.0
                                        ; implicit-def: $vgpr11_vgpr12
	v_mul_f64 v[15:16], v[15:16], v[17:18]
	v_xor_b32_e32 v18, 0x80000000, v18
.LBB190_60:
	s_andn2_saveexec_b64 s[8:9], s[8:9]
	s_cbranch_execz .LBB190_62
; %bb.61:
	v_div_scale_f64 v[15:16], s[10:11], v[11:12], v[11:12], v[13:14]
	v_rcp_f64_e32 v[17:18], v[15:16]
	v_fma_f64 v[20:21], -v[15:16], v[17:18], 1.0
	v_fma_f64 v[17:18], v[17:18], v[20:21], v[17:18]
	v_div_scale_f64 v[20:21], vcc, v[13:14], v[11:12], v[13:14]
	v_fma_f64 v[22:23], -v[15:16], v[17:18], 1.0
	v_fma_f64 v[17:18], v[17:18], v[22:23], v[17:18]
	v_mul_f64 v[22:23], v[20:21], v[17:18]
	v_fma_f64 v[15:16], -v[15:16], v[22:23], v[20:21]
	v_div_fmas_f64 v[15:16], v[15:16], v[17:18], v[22:23]
	v_div_fixup_f64 v[17:18], v[15:16], v[11:12], v[13:14]
	v_fma_f64 v[11:12], v[13:14], v[17:18], v[11:12]
	v_div_scale_f64 v[13:14], s[10:11], v[11:12], v[11:12], 1.0
	v_div_scale_f64 v[22:23], vcc, 1.0, v[11:12], 1.0
	v_rcp_f64_e32 v[15:16], v[13:14]
	v_fma_f64 v[20:21], -v[13:14], v[15:16], 1.0
	v_fma_f64 v[15:16], v[15:16], v[20:21], v[15:16]
	v_fma_f64 v[20:21], -v[13:14], v[15:16], 1.0
	v_fma_f64 v[15:16], v[15:16], v[20:21], v[15:16]
	v_mul_f64 v[20:21], v[22:23], v[15:16]
	v_fma_f64 v[13:14], -v[13:14], v[20:21], v[22:23]
	v_div_fmas_f64 v[13:14], v[13:14], v[15:16], v[20:21]
	v_div_fixup_f64 v[15:16], v[13:14], v[11:12], 1.0
	v_mul_f64 v[17:18], v[17:18], -v[15:16]
.LBB190_62:
	s_or_b64 exec, exec, s[8:9]
	v_lshlrev_b32_e32 v11, 4, v19
	ds_write_b128 v11, v[15:18]
.LBB190_63:
	s_or_b64 exec, exec, s[0:1]
                                        ; implicit-def: $vgpr11_vgpr12
                                        ; implicit-def: $vgpr19
.LBB190_64:
	s_andn2_saveexec_b64 s[0:1], s[2:3]
	s_cbranch_execz .LBB190_66
; %bb.65:
	v_lshlrev_b64 v[11:12], 4, v[11:12]
	v_mov_b32_e32 v13, s87
	v_add_co_u32_e32 v11, vcc, s86, v11
	v_addc_co_u32_e32 v12, vcc, v13, v12, vcc
	flat_load_dwordx4 v[11:14], v[11:12]
	v_lshlrev_b32_e32 v15, 4, v19
	s_waitcnt vmcnt(0) lgkmcnt(0)
	v_xor_b32_e32 v12, 0x80000000, v12
	v_xor_b32_e32 v14, 0x80000000, v14
	ds_write_b128 v15, v[11:14]
.LBB190_66:
	s_or_b64 exec, exec, s[0:1]
.LBB190_67:
	s_cmp_lt_i32 s6, 5
	s_cselect_b64 s[0:1], -1, 0
	s_or_b64 s[34:35], s[0:1], s[28:29]
	s_and_b64 vcc, exec, s[34:35]
	s_waitcnt vmcnt(0) lgkmcnt(0)
	s_barrier
	s_cbranch_vccnz .LBB190_461
; %bb.68:
	v_or_b32_e32 v11, v0, v2
	v_cmp_eq_u32_e32 vcc, 0, v11
	s_and_saveexec_b64 s[0:1], vcc
	s_cbranch_execz .LBB190_70
; %bb.69:
	v_mov_b32_e32 v25, 0
	ds_read_b128 v[11:14], v25 offset:528
	ds_read_b128 v[15:18], v25
	ds_read_b128 v[19:22], v25 offset:16
	s_waitcnt lgkmcnt(1)
	v_mul_f64 v[23:24], v[11:12], v[17:18]
	v_mul_f64 v[17:18], v[13:14], v[17:18]
	v_fma_f64 v[13:14], v[13:14], v[15:16], v[23:24]
	v_fma_f64 v[11:12], v[11:12], v[15:16], -v[17:18]
	s_waitcnt lgkmcnt(0)
	v_mul_f64 v[15:16], v[13:14], v[21:22]
	v_mul_f64 v[17:18], v[11:12], v[21:22]
	v_fma_f64 v[11:12], v[19:20], v[11:12], -v[15:16]
	v_fma_f64 v[13:14], v[19:20], v[13:14], v[17:18]
	ds_write_b128 v25, v[11:14] offset:16
.LBB190_70:
	s_or_b64 exec, exec, s[0:1]
	v_and_b32_e32 v18, 1, v0
	v_lshrrev_b32_e32 v17, 1, v1
	v_lshlrev_b32_e32 v15, 4, v18
	v_mov_b32_e32 v13, 0
	v_mov_b32_e32 v11, 0
	v_cmp_lt_u32_e64 s[2:3], 3, v1
	v_cmp_gt_u32_e64 s[0:1], 4, v1
	v_mov_b32_e32 v14, 0
	v_mov_b32_e32 v12, 0
	v_lshl_or_b32 v15, v17, 9, v15
	s_waitcnt lgkmcnt(0)
	s_barrier
	s_and_saveexec_b64 s[10:11], s[0:1]
	s_cbranch_execz .LBB190_74
; %bb.71:
	v_mul_u32_u24_e32 v11, 0x210, v17
	ds_read_b128 v[11:14], v11
	ds_read_b128 v[19:22], v15 offset:32
	v_cmp_gt_u32_e64 s[8:9], 2, v1
	s_waitcnt lgkmcnt(0)
	v_mul_f64 v[23:24], v[13:14], v[21:22]
	v_mul_f64 v[21:22], v[11:12], v[21:22]
	v_fma_f64 v[11:12], v[11:12], v[19:20], -v[23:24]
	v_fma_f64 v[13:14], v[13:14], v[19:20], v[21:22]
	v_add_f64 v[11:12], v[11:12], 0
	v_add_f64 v[13:14], v[13:14], 0
	s_and_saveexec_b64 s[12:13], s[8:9]
	s_cbranch_execz .LBB190_73
; %bb.72:
	v_mov_b32_e32 v19, 0
	v_lshlrev_b32_e32 v16, 4, v0
	ds_read_b128 v[19:22], v19 offset:16
	ds_read_b128 v[23:26], v16 offset:544
	s_waitcnt lgkmcnt(0)
	v_mul_f64 v[27:28], v[21:22], v[25:26]
	v_mul_f64 v[25:26], v[19:20], v[25:26]
	v_fma_f64 v[19:20], v[19:20], v[23:24], -v[27:28]
	v_fma_f64 v[21:22], v[21:22], v[23:24], v[25:26]
	v_add_f64 v[11:12], v[11:12], v[19:20]
	v_add_f64 v[13:14], v[13:14], v[21:22]
.LBB190_73:
	s_or_b64 exec, exec, s[12:13]
	v_xor_b32_e32 v12, 0x80000000, v12
	v_xor_b32_e32 v14, 0x80000000, v14
.LBB190_74:
	s_or_b64 exec, exec, s[10:11]
	v_mov_b32_e32 v16, 0x4000
	v_cmp_eq_u32_e64 s[8:9], 0, v18
	s_xor_b64 s[10:11], s[2:3], -1
	v_lshl_add_u32 v16, v17, 4, v16
	s_and_b64 s[38:39], s[8:9], s[10:11]
	s_and_saveexec_b64 s[2:3], s[38:39]
	s_cbranch_execz .LBB190_76
; %bb.75:
	v_mov_b32_e32 v19, 0
	ds_read_b128 v[19:22], v19 offset:1056
	s_waitcnt lgkmcnt(0)
	v_mul_f64 v[23:24], v[13:14], v[21:22]
	v_mul_f64 v[21:22], v[11:12], v[21:22]
	v_fma_f64 v[11:12], v[11:12], v[19:20], -v[23:24]
	v_fma_f64 v[13:14], v[13:14], v[19:20], v[21:22]
	ds_write_b128 v16, v[11:14]
.LBB190_76:
	s_or_b64 exec, exec, s[2:3]
	v_cmp_ne_u32_e64 s[2:3], 0, v18
	s_and_b64 s[36:37], s[2:3], s[10:11]
	s_waitcnt lgkmcnt(0)
	s_barrier
	s_and_saveexec_b64 s[2:3], s[36:37]
	s_cbranch_execz .LBB190_78
; %bb.77:
	v_mov_b32_e32 v22, 0
	ds_read_b128 v[18:21], v16
	ds_read_b128 v[22:25], v22 offset:1072
	s_waitcnt lgkmcnt(0)
	v_mul_f64 v[26:27], v[20:21], v[24:25]
	v_mul_f64 v[24:25], v[18:19], v[24:25]
	v_fma_f64 v[18:19], v[18:19], v[22:23], -v[26:27]
	v_fma_f64 v[20:21], v[20:21], v[22:23], v[24:25]
	v_add_f64 v[11:12], v[11:12], v[18:19]
	v_add_f64 v[13:14], v[13:14], v[20:21]
.LBB190_78:
	s_or_b64 exec, exec, s[2:3]
	s_barrier
	s_and_saveexec_b64 s[2:3], s[36:37]
	s_cbranch_execz .LBB190_80
; %bb.79:
	v_mov_b32_e32 v18, 0
	ds_read_b128 v[18:21], v18 offset:1584
	s_waitcnt lgkmcnt(0)
	v_mul_f64 v[22:23], v[13:14], v[20:21]
	v_mul_f64 v[20:21], v[11:12], v[20:21]
	v_fma_f64 v[11:12], v[11:12], v[18:19], -v[22:23]
	v_fma_f64 v[13:14], v[13:14], v[18:19], v[20:21]
	ds_write_b128 v16, v[11:14]
.LBB190_80:
	s_or_b64 exec, exec, s[2:3]
	s_waitcnt lgkmcnt(0)
	s_barrier
	s_barrier
	s_and_saveexec_b64 s[2:3], s[0:1]
; %bb.81:
	v_xor_b32_e32 v12, 0x80000000, v12
	v_xor_b32_e32 v14, 0x80000000, v14
	ds_write_b128 v15, v[11:14] offset:32
; %bb.82:
	s_or_b64 exec, exec, s[2:3]
	s_waitcnt lgkmcnt(0)
	s_barrier
	s_barrier
	s_and_saveexec_b64 s[2:3], vcc
	s_cbranch_execz .LBB190_84
; %bb.83:
	v_mov_b32_e32 v28, 0
	ds_read_b128 v[11:14], v28 offset:1584
	ds_read_b128 v[18:21], v28 offset:1056
	;; [unrolled: 1-line block ×3, first 2 shown]
	s_waitcnt lgkmcnt(1)
	v_mul_f64 v[26:27], v[11:12], v[20:21]
	v_mul_f64 v[20:21], v[13:14], v[20:21]
	v_fma_f64 v[13:14], v[13:14], v[18:19], v[26:27]
	v_fma_f64 v[11:12], v[11:12], v[18:19], -v[20:21]
	s_waitcnt lgkmcnt(0)
	v_mul_f64 v[18:19], v[13:14], v[24:25]
	v_mul_f64 v[20:21], v[11:12], v[24:25]
	v_fma_f64 v[11:12], v[22:23], v[11:12], -v[18:19]
	v_fma_f64 v[13:14], v[22:23], v[13:14], v[20:21]
	ds_write_b128 v28, v[11:14] offset:1072
.LBB190_84:
	s_or_b64 exec, exec, s[2:3]
	v_and_b32_e32 v21, 3, v0
	v_lshrrev_b32_e32 v22, 2, v1
	v_lshlrev_b32_e32 v19, 4, v21
	v_mov_b32_e32 v13, 0
	v_mov_b32_e32 v11, 0
	v_cmp_lt_u32_e64 s[8:9], 15, v1
	v_cmp_gt_u32_e64 s[2:3], 16, v1
	v_mov_b32_e32 v14, 0
	v_mov_b32_e32 v12, 0
	v_lshl_or_b32 v18, v22, 9, v19
	s_waitcnt lgkmcnt(0)
	s_barrier
	s_and_saveexec_b64 s[12:13], s[2:3]
	s_cbranch_execz .LBB190_90
; %bb.85:
	v_mul_u32_u24_e32 v20, 0x210, v22
	ds_read_b128 v[11:14], v20
	ds_read_b128 v[23:26], v18 offset:64
	v_cmp_gt_u32_e64 s[10:11], 12, v1
	s_waitcnt lgkmcnt(0)
	v_mul_f64 v[27:28], v[13:14], v[25:26]
	v_mul_f64 v[25:26], v[11:12], v[25:26]
	v_fma_f64 v[11:12], v[11:12], v[23:24], -v[27:28]
	v_fma_f64 v[13:14], v[13:14], v[23:24], v[25:26]
	v_add_f64 v[11:12], v[11:12], 0
	v_add_f64 v[13:14], v[13:14], 0
	s_and_saveexec_b64 s[14:15], s[10:11]
	s_cbranch_execnz .LBB190_521
; %bb.86:
	s_or_b64 exec, exec, s[14:15]
	v_cmp_gt_u32_e64 s[10:11], 8, v1
	s_and_saveexec_b64 s[14:15], s[10:11]
	s_cbranch_execnz .LBB190_522
.LBB190_87:
	s_or_b64 exec, exec, s[14:15]
	v_cmp_gt_u32_e64 s[10:11], 4, v1
	s_and_saveexec_b64 s[14:15], s[10:11]
	s_cbranch_execz .LBB190_89
.LBB190_88:
	v_mov_b32_e32 v23, 0
	v_lshlrev_b32_e32 v20, 4, v0
	ds_read_b128 v[23:26], v23 offset:48
	ds_read_b128 v[27:30], v20 offset:1600
	s_waitcnt lgkmcnt(0)
	v_mul_f64 v[31:32], v[25:26], v[29:30]
	v_mul_f64 v[29:30], v[23:24], v[29:30]
	v_fma_f64 v[23:24], v[23:24], v[27:28], -v[31:32]
	v_fma_f64 v[25:26], v[25:26], v[27:28], v[29:30]
	v_add_f64 v[11:12], v[11:12], v[23:24]
	v_add_f64 v[13:14], v[13:14], v[25:26]
.LBB190_89:
	s_or_b64 exec, exec, s[14:15]
	v_xor_b32_e32 v12, 0x80000000, v12
	v_xor_b32_e32 v14, 0x80000000, v14
.LBB190_90:
	s_or_b64 exec, exec, s[12:13]
	v_mov_b32_e32 v20, 0x4000
	v_cmp_eq_u32_e64 s[10:11], 0, v21
	s_xor_b64 s[12:13], s[8:9], -1
	v_lshl_add_u32 v20, v22, 4, v20
	s_and_b64 s[42:43], s[10:11], s[12:13]
	s_and_saveexec_b64 s[8:9], s[42:43]
	s_cbranch_execz .LBB190_92
; %bb.91:
	v_mov_b32_e32 v23, 0
	ds_read_b128 v[23:26], v23 offset:2112
	s_waitcnt lgkmcnt(0)
	v_mul_f64 v[27:28], v[13:14], v[25:26]
	v_mul_f64 v[25:26], v[11:12], v[25:26]
	v_fma_f64 v[11:12], v[11:12], v[23:24], -v[27:28]
	v_fma_f64 v[13:14], v[13:14], v[23:24], v[25:26]
	ds_write_b128 v20, v[11:14]
.LBB190_92:
	s_or_b64 exec, exec, s[8:9]
	v_cmp_ne_u32_e64 s[8:9], 0, v21
	s_and_b64 s[44:45], s[8:9], s[12:13]
	s_waitcnt lgkmcnt(0)
	s_barrier
	s_and_saveexec_b64 s[8:9], s[44:45]
	s_cbranch_execz .LBB190_94
; %bb.93:
	ds_read_b128 v[23:26], v20
	ds_read_b128 v[27:30], v19 offset:2112
	s_waitcnt lgkmcnt(0)
	v_mul_f64 v[31:32], v[25:26], v[29:30]
	v_mul_f64 v[29:30], v[23:24], v[29:30]
	v_fma_f64 v[23:24], v[23:24], v[27:28], -v[31:32]
	v_fma_f64 v[25:26], v[25:26], v[27:28], v[29:30]
	v_add_f64 v[11:12], v[11:12], v[23:24]
	v_add_f64 v[13:14], v[13:14], v[25:26]
.LBB190_94:
	s_or_b64 exec, exec, s[8:9]
	v_cmp_eq_u32_e64 s[8:9], 1, v21
	s_and_b64 s[46:47], s[8:9], s[12:13]
	s_barrier
	s_and_saveexec_b64 s[8:9], s[46:47]
	s_cbranch_execz .LBB190_96
; %bb.95:
	v_mov_b32_e32 v23, 0
	ds_read_b128 v[23:26], v23 offset:2640
	s_waitcnt lgkmcnt(0)
	v_mul_f64 v[27:28], v[13:14], v[25:26]
	v_mul_f64 v[25:26], v[11:12], v[25:26]
	v_fma_f64 v[11:12], v[11:12], v[23:24], -v[27:28]
	v_fma_f64 v[13:14], v[13:14], v[23:24], v[25:26]
	ds_write_b128 v20, v[11:14]
.LBB190_96:
	s_or_b64 exec, exec, s[8:9]
	v_cmp_lt_u32_e64 s[8:9], 1, v21
	s_and_b64 s[48:49], s[8:9], s[12:13]
	s_waitcnt lgkmcnt(0)
	s_barrier
	s_and_saveexec_b64 s[8:9], s[48:49]
	s_cbranch_execz .LBB190_98
; %bb.97:
	ds_read_b128 v[23:26], v20
	ds_read_b128 v[27:30], v19 offset:2624
	s_waitcnt lgkmcnt(0)
	v_mul_f64 v[31:32], v[25:26], v[29:30]
	v_mul_f64 v[29:30], v[23:24], v[29:30]
	v_fma_f64 v[23:24], v[23:24], v[27:28], -v[31:32]
	v_fma_f64 v[25:26], v[25:26], v[27:28], v[29:30]
	v_add_f64 v[11:12], v[11:12], v[23:24]
	v_add_f64 v[13:14], v[13:14], v[25:26]
.LBB190_98:
	s_or_b64 exec, exec, s[8:9]
	v_cmp_eq_u32_e64 s[8:9], 2, v21
	s_and_b64 s[50:51], s[8:9], s[12:13]
	s_barrier
	s_and_saveexec_b64 s[8:9], s[50:51]
	s_cbranch_execz .LBB190_100
; %bb.99:
	v_mov_b32_e32 v23, 0
	ds_read_b128 v[23:26], v23 offset:3168
	s_waitcnt lgkmcnt(0)
	v_mul_f64 v[27:28], v[13:14], v[25:26]
	v_mul_f64 v[25:26], v[11:12], v[25:26]
	v_fma_f64 v[11:12], v[11:12], v[23:24], -v[27:28]
	v_fma_f64 v[13:14], v[13:14], v[23:24], v[25:26]
	ds_write_b128 v20, v[11:14]
.LBB190_100:
	s_or_b64 exec, exec, s[8:9]
	v_cmp_eq_u32_e64 s[8:9], 3, v21
	s_and_b64 s[40:41], s[8:9], s[12:13]
	s_waitcnt lgkmcnt(0)
	s_barrier
	s_and_saveexec_b64 s[8:9], s[40:41]
	s_cbranch_execz .LBB190_102
; %bb.101:
	v_mov_b32_e32 v27, 0
	ds_read_b128 v[23:26], v20
	ds_read_b128 v[27:30], v27 offset:3184
	s_waitcnt lgkmcnt(0)
	v_mul_f64 v[31:32], v[25:26], v[29:30]
	v_mul_f64 v[29:30], v[23:24], v[29:30]
	v_fma_f64 v[23:24], v[23:24], v[27:28], -v[31:32]
	v_fma_f64 v[25:26], v[25:26], v[27:28], v[29:30]
	v_add_f64 v[11:12], v[11:12], v[23:24]
	v_add_f64 v[13:14], v[13:14], v[25:26]
.LBB190_102:
	s_or_b64 exec, exec, s[8:9]
	s_barrier
	s_and_saveexec_b64 s[8:9], s[40:41]
	s_cbranch_execz .LBB190_104
; %bb.103:
	v_mov_b32_e32 v23, 0
	ds_read_b128 v[23:26], v23 offset:3696
	s_waitcnt lgkmcnt(0)
	v_mul_f64 v[27:28], v[13:14], v[25:26]
	v_mul_f64 v[25:26], v[11:12], v[25:26]
	v_fma_f64 v[11:12], v[11:12], v[23:24], -v[27:28]
	v_fma_f64 v[13:14], v[13:14], v[23:24], v[25:26]
	ds_write_b128 v20, v[11:14]
.LBB190_104:
	s_or_b64 exec, exec, s[8:9]
	s_waitcnt lgkmcnt(0)
	s_barrier
	s_barrier
	s_and_saveexec_b64 s[8:9], s[2:3]
; %bb.105:
	v_xor_b32_e32 v14, 0x80000000, v14
	v_xor_b32_e32 v12, 0x80000000, v12
	ds_write_b128 v18, v[11:14] offset:64
; %bb.106:
	s_or_b64 exec, exec, s[8:9]
	s_waitcnt lgkmcnt(0)
	s_barrier
	s_barrier
	s_and_saveexec_b64 s[8:9], vcc
	s_cbranch_execz .LBB190_108
; %bb.107:
	v_mov_b32_e32 v33, 0
	ds_read_b128 v[11:14], v33 offset:2640
	ds_read_b128 v[23:26], v33 offset:2112
	;; [unrolled: 1-line block ×3, first 2 shown]
	s_waitcnt lgkmcnt(1)
	v_mul_f64 v[31:32], v[11:12], v[25:26]
	v_mul_f64 v[25:26], v[13:14], v[25:26]
	v_fma_f64 v[13:14], v[13:14], v[23:24], v[31:32]
	v_fma_f64 v[11:12], v[11:12], v[23:24], -v[25:26]
	s_waitcnt lgkmcnt(0)
	v_mul_f64 v[23:24], v[13:14], v[29:30]
	v_mul_f64 v[25:26], v[11:12], v[29:30]
	v_fma_f64 v[11:12], v[27:28], v[11:12], -v[23:24]
	v_fma_f64 v[13:14], v[27:28], v[13:14], v[25:26]
	ds_write_b128 v33, v[11:14] offset:2128
.LBB190_108:
	s_or_b64 exec, exec, s[8:9]
	v_mov_b32_e32 v13, 0
	v_mov_b32_e32 v11, 0
	;; [unrolled: 1-line block ×4, first 2 shown]
	s_waitcnt lgkmcnt(0)
	s_barrier
	s_and_saveexec_b64 s[10:11], s[0:1]
	s_cbranch_execz .LBB190_112
; %bb.109:
	v_mul_u32_u24_e32 v11, 0x210, v17
	ds_read_b128 v[11:14], v11 offset:2112
	ds_read_b128 v[23:26], v15 offset:2144
	v_cmp_gt_u32_e64 s[8:9], 2, v1
	s_waitcnt lgkmcnt(0)
	v_mul_f64 v[27:28], v[13:14], v[25:26]
	v_mul_f64 v[25:26], v[11:12], v[25:26]
	v_fma_f64 v[11:12], v[11:12], v[23:24], -v[27:28]
	v_fma_f64 v[13:14], v[13:14], v[23:24], v[25:26]
	v_add_f64 v[11:12], v[11:12], 0
	v_add_f64 v[13:14], v[13:14], 0
	s_and_saveexec_b64 s[12:13], s[8:9]
	s_cbranch_execz .LBB190_111
; %bb.110:
	v_lshlrev_b32_e32 v27, 4, v0
	v_mov_b32_e32 v23, 0
	ds_read_b128 v[23:26], v23 offset:2128
	ds_read_b128 v[27:30], v27 offset:2656
	s_waitcnt lgkmcnt(0)
	v_mul_f64 v[31:32], v[25:26], v[29:30]
	v_mul_f64 v[29:30], v[23:24], v[29:30]
	v_fma_f64 v[23:24], v[23:24], v[27:28], -v[31:32]
	v_fma_f64 v[25:26], v[25:26], v[27:28], v[29:30]
	v_add_f64 v[11:12], v[11:12], v[23:24]
	v_add_f64 v[13:14], v[13:14], v[25:26]
.LBB190_111:
	s_or_b64 exec, exec, s[12:13]
	v_xor_b32_e32 v12, 0x80000000, v12
	v_xor_b32_e32 v14, 0x80000000, v14
.LBB190_112:
	s_or_b64 exec, exec, s[10:11]
	s_and_saveexec_b64 s[8:9], s[38:39]
	s_cbranch_execz .LBB190_114
; %bb.113:
	v_mov_b32_e32 v23, 0
	ds_read_b128 v[23:26], v23 offset:3168
	s_waitcnt lgkmcnt(0)
	v_mul_f64 v[27:28], v[13:14], v[25:26]
	v_mul_f64 v[25:26], v[11:12], v[25:26]
	v_fma_f64 v[11:12], v[11:12], v[23:24], -v[27:28]
	v_fma_f64 v[13:14], v[13:14], v[23:24], v[25:26]
	ds_write_b128 v16, v[11:14]
.LBB190_114:
	s_or_b64 exec, exec, s[8:9]
	s_waitcnt lgkmcnt(0)
	s_barrier
	s_and_saveexec_b64 s[8:9], s[36:37]
	s_cbranch_execz .LBB190_116
; %bb.115:
	v_mov_b32_e32 v27, 0
	ds_read_b128 v[23:26], v16
	ds_read_b128 v[27:30], v27 offset:3184
	s_waitcnt lgkmcnt(0)
	v_mul_f64 v[31:32], v[25:26], v[29:30]
	v_mul_f64 v[29:30], v[23:24], v[29:30]
	v_fma_f64 v[23:24], v[23:24], v[27:28], -v[31:32]
	v_fma_f64 v[25:26], v[25:26], v[27:28], v[29:30]
	v_add_f64 v[11:12], v[11:12], v[23:24]
	v_add_f64 v[13:14], v[13:14], v[25:26]
.LBB190_116:
	s_or_b64 exec, exec, s[8:9]
	s_barrier
	s_and_saveexec_b64 s[8:9], s[36:37]
	s_cbranch_execz .LBB190_118
; %bb.117:
	v_mov_b32_e32 v23, 0
	ds_read_b128 v[23:26], v23 offset:3696
	s_waitcnt lgkmcnt(0)
	v_mul_f64 v[27:28], v[13:14], v[25:26]
	v_mul_f64 v[25:26], v[11:12], v[25:26]
	v_fma_f64 v[11:12], v[11:12], v[23:24], -v[27:28]
	v_fma_f64 v[13:14], v[13:14], v[23:24], v[25:26]
	ds_write_b128 v16, v[11:14]
.LBB190_118:
	s_or_b64 exec, exec, s[8:9]
	s_waitcnt lgkmcnt(0)
	s_barrier
	s_barrier
	s_and_saveexec_b64 s[8:9], s[0:1]
; %bb.119:
	v_xor_b32_e32 v12, 0x80000000, v12
	v_xor_b32_e32 v14, 0x80000000, v14
	ds_write_b128 v15, v[11:14] offset:2144
; %bb.120:
	s_or_b64 exec, exec, s[8:9]
	s_waitcnt lgkmcnt(0)
	s_barrier
	s_barrier
	s_and_saveexec_b64 s[8:9], vcc
	s_cbranch_execz .LBB190_122
; %bb.121:
	v_mov_b32_e32 v33, 0
	ds_read_b128 v[11:14], v33 offset:3696
	ds_read_b128 v[23:26], v33 offset:3168
	;; [unrolled: 1-line block ×3, first 2 shown]
	s_waitcnt lgkmcnt(1)
	v_mul_f64 v[31:32], v[11:12], v[25:26]
	v_mul_f64 v[25:26], v[13:14], v[25:26]
	v_fma_f64 v[13:14], v[13:14], v[23:24], v[31:32]
	v_fma_f64 v[11:12], v[11:12], v[23:24], -v[25:26]
	s_waitcnt lgkmcnt(0)
	v_mul_f64 v[23:24], v[13:14], v[29:30]
	v_mul_f64 v[25:26], v[11:12], v[29:30]
	v_fma_f64 v[11:12], v[27:28], v[11:12], -v[23:24]
	v_fma_f64 v[13:14], v[27:28], v[13:14], v[25:26]
	ds_write_b128 v33, v[11:14] offset:3184
.LBB190_122:
	s_or_b64 exec, exec, s[8:9]
	v_and_b32_e32 v26, 7, v0
	v_lshrrev_b32_e32 v27, 3, v1
	v_lshlrev_b32_e32 v24, 4, v26
	v_mov_b32_e32 v13, 0
	v_mov_b32_e32 v11, 0
	v_cmp_lt_u32_e64 s[8:9], 63, v1
	v_cmp_gt_u32_e64 s[12:13], 64, v1
	v_mov_b32_e32 v14, 0
	v_mov_b32_e32 v12, 0
	v_lshl_or_b32 v23, v27, 9, v24
	s_waitcnt lgkmcnt(0)
	s_barrier
	s_and_saveexec_b64 s[14:15], s[12:13]
	s_cbranch_execz .LBB190_132
; %bb.123:
	v_mul_u32_u24_e32 v25, 0x210, v27
	ds_read_b128 v[11:14], v25
	ds_read_b128 v[28:31], v23 offset:128
	v_cmp_gt_u32_e64 s[10:11], 56, v1
	s_waitcnt lgkmcnt(0)
	v_mul_f64 v[32:33], v[13:14], v[30:31]
	v_mul_f64 v[30:31], v[11:12], v[30:31]
	v_fma_f64 v[11:12], v[11:12], v[28:29], -v[32:33]
	v_fma_f64 v[13:14], v[13:14], v[28:29], v[30:31]
	v_add_f64 v[11:12], v[11:12], 0
	v_add_f64 v[13:14], v[13:14], 0
	s_and_saveexec_b64 s[52:53], s[10:11]
	s_cbranch_execnz .LBB190_523
; %bb.124:
	s_or_b64 exec, exec, s[52:53]
	v_cmp_gt_u32_e64 s[10:11], 48, v1
	s_and_saveexec_b64 s[52:53], s[10:11]
	s_cbranch_execnz .LBB190_524
.LBB190_125:
	s_or_b64 exec, exec, s[52:53]
	v_cmp_gt_u32_e64 s[10:11], 40, v1
	s_and_saveexec_b64 s[52:53], s[10:11]
	s_cbranch_execnz .LBB190_525
.LBB190_126:
	s_or_b64 exec, exec, s[52:53]
	v_cmp_gt_u32_e64 s[10:11], 32, v1
	s_and_saveexec_b64 s[52:53], s[10:11]
	s_cbranch_execnz .LBB190_526
.LBB190_127:
	s_or_b64 exec, exec, s[52:53]
	v_cmp_gt_u32_e64 s[10:11], 24, v1
	s_and_saveexec_b64 s[52:53], s[10:11]
	s_cbranch_execnz .LBB190_527
.LBB190_128:
	s_or_b64 exec, exec, s[52:53]
	v_cmp_gt_u32_e64 s[10:11], 16, v1
	s_and_saveexec_b64 s[52:53], s[10:11]
	s_cbranch_execnz .LBB190_528
.LBB190_129:
	s_or_b64 exec, exec, s[52:53]
	v_cmp_gt_u32_e64 s[10:11], 8, v1
	s_and_saveexec_b64 s[52:53], s[10:11]
	s_cbranch_execz .LBB190_131
.LBB190_130:
	v_mov_b32_e32 v28, 0
	v_lshlrev_b32_e32 v25, 4, v0
	ds_read_b128 v[28:31], v28 offset:112
	ds_read_b128 v[32:35], v25 offset:3712
	s_waitcnt lgkmcnt(0)
	v_mul_f64 v[36:37], v[30:31], v[34:35]
	v_mul_f64 v[34:35], v[28:29], v[34:35]
	v_fma_f64 v[28:29], v[28:29], v[32:33], -v[36:37]
	v_fma_f64 v[30:31], v[30:31], v[32:33], v[34:35]
	v_add_f64 v[11:12], v[11:12], v[28:29]
	v_add_f64 v[13:14], v[13:14], v[30:31]
.LBB190_131:
	s_or_b64 exec, exec, s[52:53]
	v_xor_b32_e32 v12, 0x80000000, v12
	v_xor_b32_e32 v14, 0x80000000, v14
.LBB190_132:
	s_or_b64 exec, exec, s[14:15]
	v_mov_b32_e32 v25, 0x4000
	v_cmp_eq_u32_e64 s[10:11], 0, v26
	s_xor_b64 s[14:15], s[8:9], -1
	v_lshl_add_u32 v25, v27, 4, v25
	s_and_b64 s[54:55], s[10:11], s[14:15]
	s_and_saveexec_b64 s[8:9], s[54:55]
	s_cbranch_execz .LBB190_134
; %bb.133:
	v_mov_b32_e32 v28, 0
	ds_read_b128 v[28:31], v28 offset:4224
	s_waitcnt lgkmcnt(0)
	v_mul_f64 v[32:33], v[13:14], v[30:31]
	v_mul_f64 v[30:31], v[11:12], v[30:31]
	v_fma_f64 v[11:12], v[11:12], v[28:29], -v[32:33]
	v_fma_f64 v[13:14], v[13:14], v[28:29], v[30:31]
	ds_write_b128 v25, v[11:14]
.LBB190_134:
	s_or_b64 exec, exec, s[8:9]
	v_cmp_ne_u32_e64 s[8:9], 0, v26
	s_and_b64 s[56:57], s[8:9], s[14:15]
	s_waitcnt lgkmcnt(0)
	s_barrier
	s_and_saveexec_b64 s[8:9], s[56:57]
	s_cbranch_execz .LBB190_136
; %bb.135:
	ds_read_b128 v[28:31], v25
	ds_read_b128 v[32:35], v24 offset:4224
	s_waitcnt lgkmcnt(0)
	v_mul_f64 v[36:37], v[30:31], v[34:35]
	v_mul_f64 v[34:35], v[28:29], v[34:35]
	v_fma_f64 v[28:29], v[28:29], v[32:33], -v[36:37]
	v_fma_f64 v[30:31], v[30:31], v[32:33], v[34:35]
	v_add_f64 v[11:12], v[11:12], v[28:29]
	v_add_f64 v[13:14], v[13:14], v[30:31]
.LBB190_136:
	s_or_b64 exec, exec, s[8:9]
	v_cmp_eq_u32_e64 s[8:9], 1, v26
	s_and_b64 s[58:59], s[8:9], s[14:15]
	s_barrier
	s_and_saveexec_b64 s[8:9], s[58:59]
	s_cbranch_execz .LBB190_138
; %bb.137:
	v_mov_b32_e32 v28, 0
	ds_read_b128 v[28:31], v28 offset:4752
	s_waitcnt lgkmcnt(0)
	v_mul_f64 v[32:33], v[13:14], v[30:31]
	v_mul_f64 v[30:31], v[11:12], v[30:31]
	v_fma_f64 v[11:12], v[11:12], v[28:29], -v[32:33]
	v_fma_f64 v[13:14], v[13:14], v[28:29], v[30:31]
	ds_write_b128 v25, v[11:14]
.LBB190_138:
	s_or_b64 exec, exec, s[8:9]
	v_cmp_lt_u32_e64 s[8:9], 1, v26
	s_and_b64 s[60:61], s[8:9], s[14:15]
	s_waitcnt lgkmcnt(0)
	s_barrier
	s_and_saveexec_b64 s[8:9], s[60:61]
	s_cbranch_execz .LBB190_140
; %bb.139:
	ds_read_b128 v[28:31], v25
	ds_read_b128 v[32:35], v24 offset:4736
	s_waitcnt lgkmcnt(0)
	v_mul_f64 v[36:37], v[30:31], v[34:35]
	v_mul_f64 v[34:35], v[28:29], v[34:35]
	v_fma_f64 v[28:29], v[28:29], v[32:33], -v[36:37]
	v_fma_f64 v[30:31], v[30:31], v[32:33], v[34:35]
	v_add_f64 v[11:12], v[11:12], v[28:29]
	v_add_f64 v[13:14], v[13:14], v[30:31]
.LBB190_140:
	s_or_b64 exec, exec, s[8:9]
	v_cmp_eq_u32_e64 s[8:9], 2, v26
	s_and_b64 s[62:63], s[8:9], s[14:15]
	s_barrier
	s_and_saveexec_b64 s[8:9], s[62:63]
	s_cbranch_execz .LBB190_142
; %bb.141:
	v_mov_b32_e32 v28, 0
	ds_read_b128 v[28:31], v28 offset:5280
	s_waitcnt lgkmcnt(0)
	v_mul_f64 v[32:33], v[13:14], v[30:31]
	v_mul_f64 v[30:31], v[11:12], v[30:31]
	v_fma_f64 v[11:12], v[11:12], v[28:29], -v[32:33]
	v_fma_f64 v[13:14], v[13:14], v[28:29], v[30:31]
	ds_write_b128 v25, v[11:14]
.LBB190_142:
	s_or_b64 exec, exec, s[8:9]
	v_cmp_lt_u32_e64 s[8:9], 2, v26
	;; [unrolled: 34-line block ×5, first 2 shown]
	s_and_b64 s[76:77], s[8:9], s[14:15]
	s_waitcnt lgkmcnt(0)
	s_barrier
	s_and_saveexec_b64 s[8:9], s[76:77]
	s_cbranch_execz .LBB190_156
; %bb.155:
	ds_read_b128 v[28:31], v25
	ds_read_b128 v[32:35], v24 offset:6784
	s_waitcnt lgkmcnt(0)
	v_mul_f64 v[36:37], v[30:31], v[34:35]
	v_mul_f64 v[34:35], v[28:29], v[34:35]
	v_fma_f64 v[28:29], v[28:29], v[32:33], -v[36:37]
	v_fma_f64 v[30:31], v[30:31], v[32:33], v[34:35]
	v_add_f64 v[11:12], v[11:12], v[28:29]
	v_add_f64 v[13:14], v[13:14], v[30:31]
.LBB190_156:
	s_or_b64 exec, exec, s[8:9]
	v_cmp_eq_u32_e64 s[8:9], 6, v26
	s_and_b64 s[78:79], s[8:9], s[14:15]
	s_barrier
	s_and_saveexec_b64 s[8:9], s[78:79]
	s_cbranch_execz .LBB190_158
; %bb.157:
	v_mov_b32_e32 v28, 0
	ds_read_b128 v[28:31], v28 offset:7392
	s_waitcnt lgkmcnt(0)
	v_mul_f64 v[32:33], v[13:14], v[30:31]
	v_mul_f64 v[30:31], v[11:12], v[30:31]
	v_fma_f64 v[11:12], v[11:12], v[28:29], -v[32:33]
	v_fma_f64 v[13:14], v[13:14], v[28:29], v[30:31]
	ds_write_b128 v25, v[11:14]
.LBB190_158:
	s_or_b64 exec, exec, s[8:9]
	v_cmp_eq_u32_e64 s[8:9], 7, v26
	s_and_b64 s[52:53], s[8:9], s[14:15]
	s_waitcnt lgkmcnt(0)
	s_barrier
	s_and_saveexec_b64 s[8:9], s[52:53]
	s_cbranch_execz .LBB190_160
; %bb.159:
	v_mov_b32_e32 v32, 0
	ds_read_b128 v[28:31], v25
	ds_read_b128 v[32:35], v32 offset:7408
	s_waitcnt lgkmcnt(0)
	v_mul_f64 v[36:37], v[30:31], v[34:35]
	v_mul_f64 v[34:35], v[28:29], v[34:35]
	v_fma_f64 v[28:29], v[28:29], v[32:33], -v[36:37]
	v_fma_f64 v[30:31], v[30:31], v[32:33], v[34:35]
	v_add_f64 v[11:12], v[11:12], v[28:29]
	v_add_f64 v[13:14], v[13:14], v[30:31]
.LBB190_160:
	s_or_b64 exec, exec, s[8:9]
	s_barrier
	s_and_saveexec_b64 s[8:9], s[52:53]
	s_cbranch_execz .LBB190_162
; %bb.161:
	v_mov_b32_e32 v28, 0
	ds_read_b128 v[28:31], v28 offset:7920
	s_waitcnt lgkmcnt(0)
	v_mul_f64 v[32:33], v[13:14], v[30:31]
	v_mul_f64 v[30:31], v[11:12], v[30:31]
	v_fma_f64 v[11:12], v[11:12], v[28:29], -v[32:33]
	v_fma_f64 v[13:14], v[13:14], v[28:29], v[30:31]
	ds_write_b128 v25, v[11:14]
.LBB190_162:
	s_or_b64 exec, exec, s[8:9]
	s_waitcnt lgkmcnt(0)
	s_barrier
	s_barrier
	s_and_saveexec_b64 s[8:9], s[12:13]
; %bb.163:
	v_xor_b32_e32 v12, 0x80000000, v12
	v_xor_b32_e32 v14, 0x80000000, v14
	ds_write_b128 v23, v[11:14] offset:128
; %bb.164:
	s_or_b64 exec, exec, s[8:9]
	s_waitcnt lgkmcnt(0)
	s_barrier
	s_barrier
	s_and_saveexec_b64 s[8:9], vcc
	s_cbranch_execz .LBB190_166
; %bb.165:
	v_mov_b32_e32 v38, 0
	ds_read_b128 v[11:14], v38 offset:4752
	ds_read_b128 v[28:31], v38 offset:4224
	;; [unrolled: 1-line block ×3, first 2 shown]
	s_waitcnt lgkmcnt(1)
	v_mul_f64 v[36:37], v[11:12], v[30:31]
	v_mul_f64 v[30:31], v[13:14], v[30:31]
	v_fma_f64 v[13:14], v[13:14], v[28:29], v[36:37]
	v_fma_f64 v[11:12], v[11:12], v[28:29], -v[30:31]
	s_waitcnt lgkmcnt(0)
	v_mul_f64 v[28:29], v[13:14], v[34:35]
	v_mul_f64 v[30:31], v[11:12], v[34:35]
	v_fma_f64 v[11:12], v[32:33], v[11:12], -v[28:29]
	v_fma_f64 v[13:14], v[32:33], v[13:14], v[30:31]
	ds_write_b128 v38, v[11:14] offset:4240
.LBB190_166:
	s_or_b64 exec, exec, s[8:9]
	v_mov_b32_e32 v13, 0
	v_mov_b32_e32 v11, 0
	v_mov_b32_e32 v14, 0
	v_mov_b32_e32 v12, 0
	s_waitcnt lgkmcnt(0)
	s_barrier
	s_and_saveexec_b64 s[10:11], s[0:1]
	s_cbranch_execz .LBB190_170
; %bb.167:
	v_mul_u32_u24_e32 v11, 0x210, v17
	ds_read_b128 v[11:14], v11 offset:4224
	ds_read_b128 v[28:31], v15 offset:4256
	v_cmp_gt_u32_e64 s[8:9], 2, v1
	s_waitcnt lgkmcnt(0)
	v_mul_f64 v[32:33], v[13:14], v[30:31]
	v_mul_f64 v[30:31], v[11:12], v[30:31]
	v_fma_f64 v[11:12], v[11:12], v[28:29], -v[32:33]
	v_fma_f64 v[13:14], v[13:14], v[28:29], v[30:31]
	v_add_f64 v[11:12], v[11:12], 0
	v_add_f64 v[13:14], v[13:14], 0
	s_and_saveexec_b64 s[14:15], s[8:9]
	s_cbranch_execz .LBB190_169
; %bb.168:
	v_lshlrev_b32_e32 v32, 4, v0
	v_mov_b32_e32 v28, 0
	ds_read_b128 v[28:31], v28 offset:4240
	ds_read_b128 v[32:35], v32 offset:4768
	s_waitcnt lgkmcnt(0)
	v_mul_f64 v[36:37], v[30:31], v[34:35]
	v_mul_f64 v[34:35], v[28:29], v[34:35]
	v_fma_f64 v[28:29], v[28:29], v[32:33], -v[36:37]
	v_fma_f64 v[30:31], v[30:31], v[32:33], v[34:35]
	v_add_f64 v[11:12], v[11:12], v[28:29]
	v_add_f64 v[13:14], v[13:14], v[30:31]
.LBB190_169:
	s_or_b64 exec, exec, s[14:15]
	v_xor_b32_e32 v12, 0x80000000, v12
	v_xor_b32_e32 v14, 0x80000000, v14
.LBB190_170:
	s_or_b64 exec, exec, s[10:11]
	s_and_saveexec_b64 s[8:9], s[38:39]
	s_cbranch_execz .LBB190_172
; %bb.171:
	v_mov_b32_e32 v28, 0
	ds_read_b128 v[28:31], v28 offset:5280
	s_waitcnt lgkmcnt(0)
	v_mul_f64 v[32:33], v[13:14], v[30:31]
	v_mul_f64 v[30:31], v[11:12], v[30:31]
	v_fma_f64 v[11:12], v[11:12], v[28:29], -v[32:33]
	v_fma_f64 v[13:14], v[13:14], v[28:29], v[30:31]
	ds_write_b128 v16, v[11:14]
.LBB190_172:
	s_or_b64 exec, exec, s[8:9]
	s_waitcnt lgkmcnt(0)
	s_barrier
	s_and_saveexec_b64 s[8:9], s[36:37]
	s_cbranch_execz .LBB190_174
; %bb.173:
	v_mov_b32_e32 v32, 0
	ds_read_b128 v[28:31], v16
	ds_read_b128 v[32:35], v32 offset:5296
	s_waitcnt lgkmcnt(0)
	v_mul_f64 v[36:37], v[30:31], v[34:35]
	v_mul_f64 v[34:35], v[28:29], v[34:35]
	v_fma_f64 v[28:29], v[28:29], v[32:33], -v[36:37]
	v_fma_f64 v[30:31], v[30:31], v[32:33], v[34:35]
	v_add_f64 v[11:12], v[11:12], v[28:29]
	v_add_f64 v[13:14], v[13:14], v[30:31]
.LBB190_174:
	s_or_b64 exec, exec, s[8:9]
	s_barrier
	s_and_saveexec_b64 s[8:9], s[36:37]
	s_cbranch_execz .LBB190_176
; %bb.175:
	v_mov_b32_e32 v28, 0
	ds_read_b128 v[28:31], v28 offset:5808
	s_waitcnt lgkmcnt(0)
	v_mul_f64 v[32:33], v[13:14], v[30:31]
	v_mul_f64 v[30:31], v[11:12], v[30:31]
	v_fma_f64 v[11:12], v[11:12], v[28:29], -v[32:33]
	v_fma_f64 v[13:14], v[13:14], v[28:29], v[30:31]
	ds_write_b128 v16, v[11:14]
.LBB190_176:
	s_or_b64 exec, exec, s[8:9]
	s_waitcnt lgkmcnt(0)
	s_barrier
	s_barrier
	s_and_saveexec_b64 s[8:9], s[0:1]
; %bb.177:
	v_xor_b32_e32 v12, 0x80000000, v12
	v_xor_b32_e32 v14, 0x80000000, v14
	ds_write_b128 v15, v[11:14] offset:4256
; %bb.178:
	s_or_b64 exec, exec, s[8:9]
	s_waitcnt lgkmcnt(0)
	s_barrier
	s_barrier
	s_and_saveexec_b64 s[8:9], vcc
	s_cbranch_execz .LBB190_180
; %bb.179:
	v_mov_b32_e32 v38, 0
	ds_read_b128 v[11:14], v38 offset:5808
	ds_read_b128 v[28:31], v38 offset:5280
	;; [unrolled: 1-line block ×3, first 2 shown]
	s_waitcnt lgkmcnt(1)
	v_mul_f64 v[36:37], v[11:12], v[30:31]
	v_mul_f64 v[30:31], v[13:14], v[30:31]
	v_fma_f64 v[13:14], v[13:14], v[28:29], v[36:37]
	v_fma_f64 v[11:12], v[11:12], v[28:29], -v[30:31]
	s_waitcnt lgkmcnt(0)
	v_mul_f64 v[28:29], v[13:14], v[34:35]
	v_mul_f64 v[30:31], v[11:12], v[34:35]
	v_fma_f64 v[11:12], v[32:33], v[11:12], -v[28:29]
	v_fma_f64 v[13:14], v[32:33], v[13:14], v[30:31]
	ds_write_b128 v38, v[11:14] offset:5296
.LBB190_180:
	s_or_b64 exec, exec, s[8:9]
	v_mov_b32_e32 v13, 0
	v_mov_b32_e32 v11, 0
	;; [unrolled: 1-line block ×4, first 2 shown]
	s_waitcnt lgkmcnt(0)
	s_barrier
	s_and_saveexec_b64 s[10:11], s[2:3]
	s_cbranch_execz .LBB190_186
; %bb.181:
	v_mul_u32_u24_e32 v28, 0x210, v22
	ds_read_b128 v[11:14], v28 offset:4224
	ds_read_b128 v[29:32], v18 offset:4288
	v_cmp_gt_u32_e64 s[8:9], 12, v1
	s_waitcnt lgkmcnt(0)
	v_mul_f64 v[33:34], v[13:14], v[31:32]
	v_mul_f64 v[31:32], v[11:12], v[31:32]
	v_fma_f64 v[11:12], v[11:12], v[29:30], -v[33:34]
	v_fma_f64 v[13:14], v[13:14], v[29:30], v[31:32]
	v_add_f64 v[11:12], v[11:12], 0
	v_add_f64 v[13:14], v[13:14], 0
	s_and_saveexec_b64 s[14:15], s[8:9]
	s_cbranch_execnz .LBB190_529
; %bb.182:
	s_or_b64 exec, exec, s[14:15]
	v_cmp_gt_u32_e64 s[8:9], 8, v1
	s_and_saveexec_b64 s[14:15], s[8:9]
	s_cbranch_execnz .LBB190_530
.LBB190_183:
	s_or_b64 exec, exec, s[14:15]
	v_cmp_gt_u32_e64 s[8:9], 4, v1
	s_and_saveexec_b64 s[14:15], s[8:9]
	s_cbranch_execz .LBB190_185
.LBB190_184:
	v_lshlrev_b32_e32 v32, 4, v0
	v_mov_b32_e32 v28, 0
	ds_read_b128 v[28:31], v28 offset:4272
	ds_read_b128 v[32:35], v32 offset:5824
	s_waitcnt lgkmcnt(0)
	v_mul_f64 v[36:37], v[30:31], v[34:35]
	v_mul_f64 v[34:35], v[28:29], v[34:35]
	v_fma_f64 v[28:29], v[28:29], v[32:33], -v[36:37]
	v_fma_f64 v[30:31], v[30:31], v[32:33], v[34:35]
	v_add_f64 v[11:12], v[11:12], v[28:29]
	v_add_f64 v[13:14], v[13:14], v[30:31]
.LBB190_185:
	s_or_b64 exec, exec, s[14:15]
	v_xor_b32_e32 v12, 0x80000000, v12
	v_xor_b32_e32 v14, 0x80000000, v14
.LBB190_186:
	s_or_b64 exec, exec, s[10:11]
	s_and_saveexec_b64 s[8:9], s[42:43]
	s_cbranch_execz .LBB190_188
; %bb.187:
	v_mov_b32_e32 v28, 0
	ds_read_b128 v[28:31], v28 offset:6336
	s_waitcnt lgkmcnt(0)
	v_mul_f64 v[32:33], v[13:14], v[30:31]
	v_mul_f64 v[30:31], v[11:12], v[30:31]
	v_fma_f64 v[11:12], v[11:12], v[28:29], -v[32:33]
	v_fma_f64 v[13:14], v[13:14], v[28:29], v[30:31]
	ds_write_b128 v20, v[11:14]
.LBB190_188:
	s_or_b64 exec, exec, s[8:9]
	s_waitcnt lgkmcnt(0)
	s_barrier
	s_and_saveexec_b64 s[8:9], s[44:45]
	s_cbranch_execz .LBB190_190
; %bb.189:
	ds_read_b128 v[28:31], v20
	ds_read_b128 v[32:35], v19 offset:6336
	s_waitcnt lgkmcnt(0)
	v_mul_f64 v[36:37], v[30:31], v[34:35]
	v_mul_f64 v[34:35], v[28:29], v[34:35]
	v_fma_f64 v[28:29], v[28:29], v[32:33], -v[36:37]
	v_fma_f64 v[30:31], v[30:31], v[32:33], v[34:35]
	v_add_f64 v[11:12], v[11:12], v[28:29]
	v_add_f64 v[13:14], v[13:14], v[30:31]
.LBB190_190:
	s_or_b64 exec, exec, s[8:9]
	s_barrier
	s_and_saveexec_b64 s[8:9], s[46:47]
	s_cbranch_execz .LBB190_192
; %bb.191:
	v_mov_b32_e32 v28, 0
	ds_read_b128 v[28:31], v28 offset:6864
	s_waitcnt lgkmcnt(0)
	v_mul_f64 v[32:33], v[13:14], v[30:31]
	v_mul_f64 v[30:31], v[11:12], v[30:31]
	v_fma_f64 v[11:12], v[11:12], v[28:29], -v[32:33]
	v_fma_f64 v[13:14], v[13:14], v[28:29], v[30:31]
	ds_write_b128 v20, v[11:14]
.LBB190_192:
	s_or_b64 exec, exec, s[8:9]
	s_waitcnt lgkmcnt(0)
	s_barrier
	s_and_saveexec_b64 s[8:9], s[48:49]
	s_cbranch_execz .LBB190_194
; %bb.193:
	ds_read_b128 v[28:31], v20
	ds_read_b128 v[32:35], v19 offset:6848
	s_waitcnt lgkmcnt(0)
	v_mul_f64 v[36:37], v[30:31], v[34:35]
	v_mul_f64 v[34:35], v[28:29], v[34:35]
	v_fma_f64 v[28:29], v[28:29], v[32:33], -v[36:37]
	v_fma_f64 v[30:31], v[30:31], v[32:33], v[34:35]
	v_add_f64 v[11:12], v[11:12], v[28:29]
	v_add_f64 v[13:14], v[13:14], v[30:31]
.LBB190_194:
	s_or_b64 exec, exec, s[8:9]
	s_barrier
	s_and_saveexec_b64 s[8:9], s[50:51]
	s_cbranch_execz .LBB190_196
; %bb.195:
	v_mov_b32_e32 v28, 0
	ds_read_b128 v[28:31], v28 offset:7392
	s_waitcnt lgkmcnt(0)
	v_mul_f64 v[32:33], v[13:14], v[30:31]
	v_mul_f64 v[30:31], v[11:12], v[30:31]
	v_fma_f64 v[11:12], v[11:12], v[28:29], -v[32:33]
	v_fma_f64 v[13:14], v[13:14], v[28:29], v[30:31]
	ds_write_b128 v20, v[11:14]
.LBB190_196:
	s_or_b64 exec, exec, s[8:9]
	s_waitcnt lgkmcnt(0)
	s_barrier
	s_and_saveexec_b64 s[8:9], s[40:41]
	s_cbranch_execz .LBB190_198
; %bb.197:
	v_mov_b32_e32 v32, 0
	ds_read_b128 v[28:31], v20
	ds_read_b128 v[32:35], v32 offset:7408
	s_waitcnt lgkmcnt(0)
	v_mul_f64 v[36:37], v[30:31], v[34:35]
	v_mul_f64 v[34:35], v[28:29], v[34:35]
	v_fma_f64 v[28:29], v[28:29], v[32:33], -v[36:37]
	v_fma_f64 v[30:31], v[30:31], v[32:33], v[34:35]
	v_add_f64 v[11:12], v[11:12], v[28:29]
	v_add_f64 v[13:14], v[13:14], v[30:31]
.LBB190_198:
	s_or_b64 exec, exec, s[8:9]
	s_barrier
	s_and_saveexec_b64 s[8:9], s[40:41]
	s_cbranch_execz .LBB190_200
; %bb.199:
	v_mov_b32_e32 v28, 0
	ds_read_b128 v[28:31], v28 offset:7920
	s_waitcnt lgkmcnt(0)
	v_mul_f64 v[32:33], v[13:14], v[30:31]
	v_mul_f64 v[30:31], v[11:12], v[30:31]
	v_fma_f64 v[11:12], v[11:12], v[28:29], -v[32:33]
	v_fma_f64 v[13:14], v[13:14], v[28:29], v[30:31]
	ds_write_b128 v20, v[11:14]
.LBB190_200:
	s_or_b64 exec, exec, s[8:9]
	s_waitcnt lgkmcnt(0)
	s_barrier
	s_barrier
	s_and_saveexec_b64 s[8:9], s[2:3]
; %bb.201:
	v_xor_b32_e32 v14, 0x80000000, v14
	v_xor_b32_e32 v12, 0x80000000, v12
	ds_write_b128 v18, v[11:14] offset:4288
; %bb.202:
	s_or_b64 exec, exec, s[8:9]
	s_waitcnt lgkmcnt(0)
	s_barrier
	s_barrier
	s_and_saveexec_b64 s[8:9], vcc
	s_cbranch_execz .LBB190_204
; %bb.203:
	v_mov_b32_e32 v38, 0
	ds_read_b128 v[11:14], v38 offset:6864
	ds_read_b128 v[28:31], v38 offset:6336
	;; [unrolled: 1-line block ×3, first 2 shown]
	s_waitcnt lgkmcnt(1)
	v_mul_f64 v[36:37], v[11:12], v[30:31]
	v_mul_f64 v[30:31], v[13:14], v[30:31]
	v_fma_f64 v[13:14], v[13:14], v[28:29], v[36:37]
	v_fma_f64 v[11:12], v[11:12], v[28:29], -v[30:31]
	s_waitcnt lgkmcnt(0)
	v_mul_f64 v[28:29], v[13:14], v[34:35]
	v_mul_f64 v[30:31], v[11:12], v[34:35]
	v_fma_f64 v[11:12], v[32:33], v[11:12], -v[28:29]
	v_fma_f64 v[13:14], v[32:33], v[13:14], v[30:31]
	ds_write_b128 v38, v[11:14] offset:6352
.LBB190_204:
	s_or_b64 exec, exec, s[8:9]
	v_mov_b32_e32 v13, 0
	v_mov_b32_e32 v11, 0
	;; [unrolled: 1-line block ×4, first 2 shown]
	s_waitcnt lgkmcnt(0)
	s_barrier
	s_and_saveexec_b64 s[10:11], s[0:1]
	s_cbranch_execz .LBB190_208
; %bb.205:
	v_mul_u32_u24_e32 v11, 0x210, v17
	ds_read_b128 v[11:14], v11 offset:6336
	ds_read_b128 v[28:31], v15 offset:6368
	v_cmp_gt_u32_e64 s[8:9], 2, v1
	s_waitcnt lgkmcnt(0)
	v_mul_f64 v[32:33], v[13:14], v[30:31]
	v_mul_f64 v[30:31], v[11:12], v[30:31]
	v_fma_f64 v[11:12], v[11:12], v[28:29], -v[32:33]
	v_fma_f64 v[13:14], v[13:14], v[28:29], v[30:31]
	v_add_f64 v[11:12], v[11:12], 0
	v_add_f64 v[13:14], v[13:14], 0
	s_and_saveexec_b64 s[14:15], s[8:9]
	s_cbranch_execz .LBB190_207
; %bb.206:
	v_lshlrev_b32_e32 v32, 4, v0
	v_mov_b32_e32 v28, 0
	ds_read_b128 v[28:31], v28 offset:6352
	ds_read_b128 v[32:35], v32 offset:6880
	s_waitcnt lgkmcnt(0)
	v_mul_f64 v[36:37], v[30:31], v[34:35]
	v_mul_f64 v[34:35], v[28:29], v[34:35]
	v_fma_f64 v[28:29], v[28:29], v[32:33], -v[36:37]
	v_fma_f64 v[30:31], v[30:31], v[32:33], v[34:35]
	v_add_f64 v[11:12], v[11:12], v[28:29]
	v_add_f64 v[13:14], v[13:14], v[30:31]
.LBB190_207:
	s_or_b64 exec, exec, s[14:15]
	v_xor_b32_e32 v12, 0x80000000, v12
	v_xor_b32_e32 v14, 0x80000000, v14
.LBB190_208:
	s_or_b64 exec, exec, s[10:11]
	s_and_saveexec_b64 s[8:9], s[38:39]
	s_cbranch_execz .LBB190_210
; %bb.209:
	v_mov_b32_e32 v28, 0
	ds_read_b128 v[28:31], v28 offset:7392
	s_waitcnt lgkmcnt(0)
	v_mul_f64 v[32:33], v[13:14], v[30:31]
	v_mul_f64 v[30:31], v[11:12], v[30:31]
	v_fma_f64 v[11:12], v[11:12], v[28:29], -v[32:33]
	v_fma_f64 v[13:14], v[13:14], v[28:29], v[30:31]
	ds_write_b128 v16, v[11:14]
.LBB190_210:
	s_or_b64 exec, exec, s[8:9]
	s_waitcnt lgkmcnt(0)
	s_barrier
	s_and_saveexec_b64 s[8:9], s[36:37]
	s_cbranch_execz .LBB190_212
; %bb.211:
	v_mov_b32_e32 v32, 0
	ds_read_b128 v[28:31], v16
	ds_read_b128 v[32:35], v32 offset:7408
	s_waitcnt lgkmcnt(0)
	v_mul_f64 v[36:37], v[30:31], v[34:35]
	v_mul_f64 v[34:35], v[28:29], v[34:35]
	v_fma_f64 v[28:29], v[28:29], v[32:33], -v[36:37]
	v_fma_f64 v[30:31], v[30:31], v[32:33], v[34:35]
	v_add_f64 v[11:12], v[11:12], v[28:29]
	v_add_f64 v[13:14], v[13:14], v[30:31]
.LBB190_212:
	s_or_b64 exec, exec, s[8:9]
	s_barrier
	s_and_saveexec_b64 s[8:9], s[36:37]
	s_cbranch_execz .LBB190_214
; %bb.213:
	v_mov_b32_e32 v28, 0
	ds_read_b128 v[28:31], v28 offset:7920
	s_waitcnt lgkmcnt(0)
	v_mul_f64 v[32:33], v[13:14], v[30:31]
	v_mul_f64 v[30:31], v[11:12], v[30:31]
	v_fma_f64 v[11:12], v[11:12], v[28:29], -v[32:33]
	v_fma_f64 v[13:14], v[13:14], v[28:29], v[30:31]
	ds_write_b128 v16, v[11:14]
.LBB190_214:
	s_or_b64 exec, exec, s[8:9]
	s_waitcnt lgkmcnt(0)
	s_barrier
	s_barrier
	s_and_saveexec_b64 s[8:9], s[0:1]
; %bb.215:
	v_xor_b32_e32 v12, 0x80000000, v12
	v_xor_b32_e32 v14, 0x80000000, v14
	ds_write_b128 v15, v[11:14] offset:6368
; %bb.216:
	s_or_b64 exec, exec, s[8:9]
	s_waitcnt lgkmcnt(0)
	s_barrier
	s_barrier
	s_and_saveexec_b64 s[8:9], vcc
	s_cbranch_execz .LBB190_218
; %bb.217:
	v_mov_b32_e32 v38, 0
	ds_read_b128 v[11:14], v38 offset:7920
	ds_read_b128 v[28:31], v38 offset:7392
	;; [unrolled: 1-line block ×3, first 2 shown]
	s_waitcnt lgkmcnt(1)
	v_mul_f64 v[36:37], v[11:12], v[30:31]
	v_mul_f64 v[30:31], v[13:14], v[30:31]
	v_fma_f64 v[13:14], v[13:14], v[28:29], v[36:37]
	v_fma_f64 v[11:12], v[11:12], v[28:29], -v[30:31]
	s_waitcnt lgkmcnt(0)
	v_mul_f64 v[28:29], v[13:14], v[34:35]
	v_mul_f64 v[30:31], v[11:12], v[34:35]
	v_fma_f64 v[11:12], v[32:33], v[11:12], -v[28:29]
	v_fma_f64 v[13:14], v[32:33], v[13:14], v[30:31]
	ds_write_b128 v38, v[11:14] offset:7408
.LBB190_218:
	s_or_b64 exec, exec, s[8:9]
	v_and_b32_e32 v29, 15, v0
	s_movk_i32 s8, 0xff
	v_lshrrev_b32_e32 v31, 4, v1
	v_cmp_lt_u32_e64 s[10:11], s8, v1
	s_movk_i32 s8, 0x100
	v_lshlrev_b32_e32 v30, 4, v29
	v_mov_b32_e32 v13, 0
	v_mov_b32_e32 v11, 0
	v_cmp_gt_u32_e64 s[8:9], s8, v1
	v_mov_b32_e32 v14, 0
	v_mov_b32_e32 v12, 0
	v_lshl_or_b32 v28, v31, 9, v30
	s_waitcnt lgkmcnt(0)
	s_barrier
	s_and_saveexec_b64 s[80:81], s[8:9]
	s_cbranch_execz .LBB190_246
; %bb.219:
	v_mul_u32_u24_e32 v32, 0x210, v31
	ds_read_b128 v[11:14], v32
	ds_read_b128 v[33:36], v28 offset:256
	s_movk_i32 s14, 0xf0
	v_cmp_gt_u32_e64 s[14:15], s14, v1
	s_waitcnt lgkmcnt(0)
	v_mul_f64 v[37:38], v[13:14], v[35:36]
	v_mul_f64 v[35:36], v[11:12], v[35:36]
	v_fma_f64 v[11:12], v[11:12], v[33:34], -v[37:38]
	v_fma_f64 v[13:14], v[13:14], v[33:34], v[35:36]
	v_add_f64 v[11:12], v[11:12], 0
	v_add_f64 v[13:14], v[13:14], 0
	s_and_saveexec_b64 s[82:83], s[14:15]
	s_cbranch_execz .LBB190_221
; %bb.220:
	ds_read_b128 v[33:36], v32 offset:16
	ds_read_b128 v[37:40], v28 offset:768
	s_waitcnt lgkmcnt(0)
	v_mul_f64 v[41:42], v[35:36], v[39:40]
	v_mul_f64 v[39:40], v[33:34], v[39:40]
	v_fma_f64 v[33:34], v[33:34], v[37:38], -v[41:42]
	v_fma_f64 v[35:36], v[35:36], v[37:38], v[39:40]
	v_add_f64 v[11:12], v[11:12], v[33:34]
	v_add_f64 v[13:14], v[13:14], v[35:36]
.LBB190_221:
	s_or_b64 exec, exec, s[82:83]
	s_movk_i32 s14, 0xe0
	v_cmp_gt_u32_e64 s[14:15], s14, v1
	s_and_saveexec_b64 s[82:83], s[14:15]
	s_cbranch_execz .LBB190_223
; %bb.222:
	ds_read_b128 v[33:36], v32 offset:32
	ds_read_b128 v[37:40], v28 offset:1280
	s_waitcnt lgkmcnt(0)
	v_mul_f64 v[41:42], v[35:36], v[39:40]
	v_mul_f64 v[39:40], v[33:34], v[39:40]
	v_fma_f64 v[33:34], v[33:34], v[37:38], -v[41:42]
	v_fma_f64 v[35:36], v[35:36], v[37:38], v[39:40]
	v_add_f64 v[11:12], v[11:12], v[33:34]
	v_add_f64 v[13:14], v[13:14], v[35:36]
.LBB190_223:
	s_or_b64 exec, exec, s[82:83]
	s_movk_i32 s14, 0xd0
	v_cmp_gt_u32_e64 s[14:15], s14, v1
	;; [unrolled: 16-line block ×10, first 2 shown]
	s_and_saveexec_b64 s[82:83], s[14:15]
	s_cbranch_execnz .LBB190_531
; %bb.240:
	s_or_b64 exec, exec, s[82:83]
	v_cmp_gt_u32_e64 s[14:15], 64, v1
	s_and_saveexec_b64 s[82:83], s[14:15]
	s_cbranch_execnz .LBB190_532
.LBB190_241:
	s_or_b64 exec, exec, s[82:83]
	v_cmp_gt_u32_e64 s[14:15], 48, v1
	s_and_saveexec_b64 s[82:83], s[14:15]
	s_cbranch_execnz .LBB190_533
.LBB190_242:
	s_or_b64 exec, exec, s[82:83]
	v_cmp_gt_u32_e64 s[14:15], 32, v1
	s_and_saveexec_b64 s[82:83], s[14:15]
	s_cbranch_execnz .LBB190_534
.LBB190_243:
	s_or_b64 exec, exec, s[82:83]
	v_cmp_gt_u32_e64 s[14:15], 16, v1
	s_and_saveexec_b64 s[82:83], s[14:15]
	s_cbranch_execz .LBB190_245
.LBB190_244:
	v_lshlrev_b32_e32 v36, 4, v0
	v_mov_b32_e32 v32, 0
	ds_read_b128 v[32:35], v32 offset:240
	ds_read_b128 v[36:39], v36 offset:7936
	s_waitcnt lgkmcnt(0)
	v_mul_f64 v[40:41], v[34:35], v[38:39]
	v_mul_f64 v[38:39], v[32:33], v[38:39]
	v_fma_f64 v[32:33], v[32:33], v[36:37], -v[40:41]
	v_fma_f64 v[34:35], v[34:35], v[36:37], v[38:39]
	v_add_f64 v[11:12], v[11:12], v[32:33]
	v_add_f64 v[13:14], v[13:14], v[34:35]
.LBB190_245:
	s_or_b64 exec, exec, s[82:83]
	v_xor_b32_e32 v12, 0x80000000, v12
	v_xor_b32_e32 v14, 0x80000000, v14
.LBB190_246:
	s_or_b64 exec, exec, s[80:81]
	v_mov_b32_e32 v32, 0x4000
	v_cmp_eq_u32_e64 s[14:15], 0, v29
	s_xor_b64 s[80:81], s[10:11], -1
	v_lshl_add_u32 v31, v31, 4, v32
	s_and_b64 s[14:15], s[14:15], s[80:81]
	s_and_saveexec_b64 s[10:11], s[14:15]
	s_cbranch_execz .LBB190_248
; %bb.247:
	v_mov_b32_e32 v32, 0
	ds_read_b128 v[32:35], v32 offset:8448
	s_waitcnt lgkmcnt(0)
	v_mul_f64 v[36:37], v[13:14], v[34:35]
	v_mul_f64 v[34:35], v[11:12], v[34:35]
	v_fma_f64 v[11:12], v[11:12], v[32:33], -v[36:37]
	v_fma_f64 v[13:14], v[13:14], v[32:33], v[34:35]
	ds_write_b128 v31, v[11:14]
.LBB190_248:
	s_or_b64 exec, exec, s[10:11]
	v_cmp_ne_u32_e64 s[10:11], 0, v29
	s_and_b64 s[14:15], s[10:11], s[80:81]
	s_waitcnt lgkmcnt(0)
	s_barrier
	s_and_saveexec_b64 s[10:11], s[14:15]
	s_cbranch_execz .LBB190_250
; %bb.249:
	ds_read_b128 v[32:35], v31
	ds_read_b128 v[36:39], v30 offset:8448
	s_waitcnt lgkmcnt(0)
	v_mul_f64 v[40:41], v[34:35], v[38:39]
	v_mul_f64 v[38:39], v[32:33], v[38:39]
	v_fma_f64 v[32:33], v[32:33], v[36:37], -v[40:41]
	v_fma_f64 v[34:35], v[34:35], v[36:37], v[38:39]
	v_add_f64 v[11:12], v[11:12], v[32:33]
	v_add_f64 v[13:14], v[13:14], v[34:35]
.LBB190_250:
	s_or_b64 exec, exec, s[10:11]
	v_cmp_eq_u32_e64 s[10:11], 1, v29
	s_and_b64 s[14:15], s[10:11], s[80:81]
	s_barrier
	s_and_saveexec_b64 s[10:11], s[14:15]
	s_cbranch_execz .LBB190_252
; %bb.251:
	v_mov_b32_e32 v32, 0
	ds_read_b128 v[32:35], v32 offset:8976
	s_waitcnt lgkmcnt(0)
	v_mul_f64 v[36:37], v[13:14], v[34:35]
	v_mul_f64 v[34:35], v[11:12], v[34:35]
	v_fma_f64 v[11:12], v[11:12], v[32:33], -v[36:37]
	v_fma_f64 v[13:14], v[13:14], v[32:33], v[34:35]
	ds_write_b128 v31, v[11:14]
.LBB190_252:
	s_or_b64 exec, exec, s[10:11]
	v_cmp_lt_u32_e64 s[10:11], 1, v29
	s_and_b64 s[14:15], s[10:11], s[80:81]
	s_waitcnt lgkmcnt(0)
	s_barrier
	s_and_saveexec_b64 s[10:11], s[14:15]
	s_cbranch_execz .LBB190_254
; %bb.253:
	ds_read_b128 v[32:35], v31
	ds_read_b128 v[36:39], v30 offset:8960
	s_waitcnt lgkmcnt(0)
	v_mul_f64 v[40:41], v[34:35], v[38:39]
	v_mul_f64 v[38:39], v[32:33], v[38:39]
	v_fma_f64 v[32:33], v[32:33], v[36:37], -v[40:41]
	v_fma_f64 v[34:35], v[34:35], v[36:37], v[38:39]
	v_add_f64 v[11:12], v[11:12], v[32:33]
	v_add_f64 v[13:14], v[13:14], v[34:35]
.LBB190_254:
	s_or_b64 exec, exec, s[10:11]
	v_cmp_eq_u32_e64 s[10:11], 2, v29
	s_and_b64 s[14:15], s[10:11], s[80:81]
	s_barrier
	s_and_saveexec_b64 s[10:11], s[14:15]
	s_cbranch_execz .LBB190_256
; %bb.255:
	v_mov_b32_e32 v32, 0
	ds_read_b128 v[32:35], v32 offset:9504
	s_waitcnt lgkmcnt(0)
	v_mul_f64 v[36:37], v[13:14], v[34:35]
	v_mul_f64 v[34:35], v[11:12], v[34:35]
	v_fma_f64 v[11:12], v[11:12], v[32:33], -v[36:37]
	v_fma_f64 v[13:14], v[13:14], v[32:33], v[34:35]
	ds_write_b128 v31, v[11:14]
.LBB190_256:
	s_or_b64 exec, exec, s[10:11]
	v_cmp_lt_u32_e64 s[10:11], 2, v29
	;; [unrolled: 34-line block ×13, first 2 shown]
	s_and_b64 s[14:15], s[10:11], s[80:81]
	s_waitcnt lgkmcnt(0)
	s_barrier
	s_and_saveexec_b64 s[10:11], s[14:15]
	s_cbranch_execz .LBB190_302
; %bb.301:
	ds_read_b128 v[32:35], v31
	ds_read_b128 v[36:39], v30 offset:15104
	s_waitcnt lgkmcnt(0)
	v_mul_f64 v[40:41], v[34:35], v[38:39]
	v_mul_f64 v[38:39], v[32:33], v[38:39]
	v_fma_f64 v[32:33], v[32:33], v[36:37], -v[40:41]
	v_fma_f64 v[34:35], v[34:35], v[36:37], v[38:39]
	v_add_f64 v[11:12], v[11:12], v[32:33]
	v_add_f64 v[13:14], v[13:14], v[34:35]
.LBB190_302:
	s_or_b64 exec, exec, s[10:11]
	v_cmp_eq_u32_e64 s[10:11], 14, v29
	s_and_b64 s[14:15], s[10:11], s[80:81]
	s_barrier
	s_and_saveexec_b64 s[10:11], s[14:15]
	s_cbranch_execz .LBB190_304
; %bb.303:
	v_mov_b32_e32 v30, 0
	ds_read_b128 v[32:35], v30 offset:15840
	s_waitcnt lgkmcnt(0)
	v_mul_f64 v[36:37], v[13:14], v[34:35]
	v_mul_f64 v[34:35], v[11:12], v[34:35]
	v_fma_f64 v[11:12], v[11:12], v[32:33], -v[36:37]
	v_fma_f64 v[13:14], v[13:14], v[32:33], v[34:35]
	ds_write_b128 v31, v[11:14]
.LBB190_304:
	s_or_b64 exec, exec, s[10:11]
	v_cmp_eq_u32_e64 s[10:11], 15, v29
	s_and_b64 s[10:11], s[10:11], s[80:81]
	s_waitcnt lgkmcnt(0)
	s_barrier
	s_and_saveexec_b64 s[14:15], s[10:11]
	s_cbranch_execz .LBB190_306
; %bb.305:
	v_mov_b32_e32 v29, 0
	ds_read_b128 v[32:35], v31
	ds_read_b128 v[36:39], v29 offset:15856
	s_waitcnt lgkmcnt(0)
	v_mul_f64 v[29:30], v[34:35], v[38:39]
	v_mul_f64 v[38:39], v[32:33], v[38:39]
	v_fma_f64 v[29:30], v[32:33], v[36:37], -v[29:30]
	v_fma_f64 v[32:33], v[34:35], v[36:37], v[38:39]
	v_add_f64 v[11:12], v[11:12], v[29:30]
	v_add_f64 v[13:14], v[13:14], v[32:33]
.LBB190_306:
	s_or_b64 exec, exec, s[14:15]
	s_barrier
	s_and_saveexec_b64 s[14:15], s[10:11]
	s_cbranch_execz .LBB190_308
; %bb.307:
	v_mov_b32_e32 v29, 0
	ds_read_b128 v[32:35], v29 offset:16368
	s_waitcnt lgkmcnt(0)
	v_mul_f64 v[29:30], v[13:14], v[34:35]
	v_mul_f64 v[34:35], v[11:12], v[34:35]
	v_fma_f64 v[11:12], v[11:12], v[32:33], -v[29:30]
	v_fma_f64 v[13:14], v[13:14], v[32:33], v[34:35]
	ds_write_b128 v31, v[11:14]
.LBB190_308:
	s_or_b64 exec, exec, s[14:15]
	s_waitcnt lgkmcnt(0)
	s_barrier
	s_barrier
	s_and_saveexec_b64 s[10:11], s[8:9]
; %bb.309:
	v_xor_b32_e32 v14, 0x80000000, v14
	v_xor_b32_e32 v12, 0x80000000, v12
	ds_write_b128 v28, v[11:14] offset:256
; %bb.310:
	s_or_b64 exec, exec, s[10:11]
	s_waitcnt lgkmcnt(0)
	s_barrier
	s_barrier
	s_and_saveexec_b64 s[8:9], vcc
	s_cbranch_execz .LBB190_312
; %bb.311:
	v_mov_b32_e32 v38, 0
	ds_read_b128 v[11:14], v38 offset:8976
	ds_read_b128 v[28:31], v38 offset:8448
	;; [unrolled: 1-line block ×3, first 2 shown]
	s_waitcnt lgkmcnt(1)
	v_mul_f64 v[36:37], v[11:12], v[30:31]
	v_mul_f64 v[30:31], v[13:14], v[30:31]
	v_fma_f64 v[13:14], v[13:14], v[28:29], v[36:37]
	v_fma_f64 v[11:12], v[11:12], v[28:29], -v[30:31]
	s_waitcnt lgkmcnt(0)
	v_mul_f64 v[28:29], v[13:14], v[34:35]
	v_mul_f64 v[30:31], v[11:12], v[34:35]
	v_fma_f64 v[11:12], v[32:33], v[11:12], -v[28:29]
	v_fma_f64 v[13:14], v[32:33], v[13:14], v[30:31]
	ds_write_b128 v38, v[11:14] offset:8464
.LBB190_312:
	s_or_b64 exec, exec, s[8:9]
	v_mov_b32_e32 v13, 0
	v_mov_b32_e32 v11, 0
	;; [unrolled: 1-line block ×4, first 2 shown]
	s_waitcnt lgkmcnt(0)
	s_barrier
	s_and_saveexec_b64 s[10:11], s[0:1]
	s_cbranch_execz .LBB190_316
; %bb.313:
	v_mul_u32_u24_e32 v11, 0x210, v17
	ds_read_b128 v[11:14], v11 offset:8448
	ds_read_b128 v[28:31], v15 offset:8480
	v_cmp_gt_u32_e64 s[8:9], 2, v1
	s_waitcnt lgkmcnt(0)
	v_mul_f64 v[32:33], v[13:14], v[30:31]
	v_mul_f64 v[30:31], v[11:12], v[30:31]
	v_fma_f64 v[11:12], v[11:12], v[28:29], -v[32:33]
	v_fma_f64 v[13:14], v[13:14], v[28:29], v[30:31]
	v_add_f64 v[11:12], v[11:12], 0
	v_add_f64 v[13:14], v[13:14], 0
	s_and_saveexec_b64 s[14:15], s[8:9]
	s_cbranch_execz .LBB190_315
; %bb.314:
	v_lshlrev_b32_e32 v32, 4, v0
	v_mov_b32_e32 v28, 0
	ds_read_b128 v[28:31], v28 offset:8464
	ds_read_b128 v[32:35], v32 offset:8992
	s_waitcnt lgkmcnt(0)
	v_mul_f64 v[36:37], v[30:31], v[34:35]
	v_mul_f64 v[34:35], v[28:29], v[34:35]
	v_fma_f64 v[28:29], v[28:29], v[32:33], -v[36:37]
	v_fma_f64 v[30:31], v[30:31], v[32:33], v[34:35]
	v_add_f64 v[11:12], v[11:12], v[28:29]
	v_add_f64 v[13:14], v[13:14], v[30:31]
.LBB190_315:
	s_or_b64 exec, exec, s[14:15]
	v_xor_b32_e32 v12, 0x80000000, v12
	v_xor_b32_e32 v14, 0x80000000, v14
.LBB190_316:
	s_or_b64 exec, exec, s[10:11]
	s_and_saveexec_b64 s[8:9], s[38:39]
	s_cbranch_execz .LBB190_318
; %bb.317:
	v_mov_b32_e32 v28, 0
	ds_read_b128 v[28:31], v28 offset:9504
	s_waitcnt lgkmcnt(0)
	v_mul_f64 v[32:33], v[13:14], v[30:31]
	v_mul_f64 v[30:31], v[11:12], v[30:31]
	v_fma_f64 v[11:12], v[11:12], v[28:29], -v[32:33]
	v_fma_f64 v[13:14], v[13:14], v[28:29], v[30:31]
	ds_write_b128 v16, v[11:14]
.LBB190_318:
	s_or_b64 exec, exec, s[8:9]
	s_waitcnt lgkmcnt(0)
	s_barrier
	s_and_saveexec_b64 s[8:9], s[36:37]
	s_cbranch_execz .LBB190_320
; %bb.319:
	v_mov_b32_e32 v32, 0
	ds_read_b128 v[28:31], v16
	ds_read_b128 v[32:35], v32 offset:9520
	s_waitcnt lgkmcnt(0)
	v_mul_f64 v[36:37], v[30:31], v[34:35]
	v_mul_f64 v[34:35], v[28:29], v[34:35]
	v_fma_f64 v[28:29], v[28:29], v[32:33], -v[36:37]
	v_fma_f64 v[30:31], v[30:31], v[32:33], v[34:35]
	v_add_f64 v[11:12], v[11:12], v[28:29]
	v_add_f64 v[13:14], v[13:14], v[30:31]
.LBB190_320:
	s_or_b64 exec, exec, s[8:9]
	s_barrier
	s_and_saveexec_b64 s[8:9], s[36:37]
	s_cbranch_execz .LBB190_322
; %bb.321:
	v_mov_b32_e32 v28, 0
	ds_read_b128 v[28:31], v28 offset:10032
	s_waitcnt lgkmcnt(0)
	v_mul_f64 v[32:33], v[13:14], v[30:31]
	v_mul_f64 v[30:31], v[11:12], v[30:31]
	v_fma_f64 v[11:12], v[11:12], v[28:29], -v[32:33]
	v_fma_f64 v[13:14], v[13:14], v[28:29], v[30:31]
	ds_write_b128 v16, v[11:14]
.LBB190_322:
	s_or_b64 exec, exec, s[8:9]
	s_waitcnt lgkmcnt(0)
	s_barrier
	s_barrier
	s_and_saveexec_b64 s[8:9], s[0:1]
; %bb.323:
	v_xor_b32_e32 v12, 0x80000000, v12
	v_xor_b32_e32 v14, 0x80000000, v14
	ds_write_b128 v15, v[11:14] offset:8480
; %bb.324:
	s_or_b64 exec, exec, s[8:9]
	s_waitcnt lgkmcnt(0)
	s_barrier
	s_barrier
	s_and_saveexec_b64 s[8:9], vcc
	s_cbranch_execz .LBB190_326
; %bb.325:
	v_mov_b32_e32 v38, 0
	ds_read_b128 v[11:14], v38 offset:10032
	ds_read_b128 v[28:31], v38 offset:9504
	;; [unrolled: 1-line block ×3, first 2 shown]
	s_waitcnt lgkmcnt(1)
	v_mul_f64 v[36:37], v[11:12], v[30:31]
	v_mul_f64 v[30:31], v[13:14], v[30:31]
	v_fma_f64 v[13:14], v[13:14], v[28:29], v[36:37]
	v_fma_f64 v[11:12], v[11:12], v[28:29], -v[30:31]
	s_waitcnt lgkmcnt(0)
	v_mul_f64 v[28:29], v[13:14], v[34:35]
	v_mul_f64 v[30:31], v[11:12], v[34:35]
	v_fma_f64 v[11:12], v[32:33], v[11:12], -v[28:29]
	v_fma_f64 v[13:14], v[32:33], v[13:14], v[30:31]
	ds_write_b128 v38, v[11:14] offset:9520
.LBB190_326:
	s_or_b64 exec, exec, s[8:9]
	v_mov_b32_e32 v13, 0
	v_mov_b32_e32 v11, 0
	;; [unrolled: 1-line block ×4, first 2 shown]
	s_waitcnt lgkmcnt(0)
	s_barrier
	s_and_saveexec_b64 s[10:11], s[2:3]
	s_cbranch_execz .LBB190_332
; %bb.327:
	v_mul_u32_u24_e32 v28, 0x210, v22
	ds_read_b128 v[11:14], v28 offset:8448
	ds_read_b128 v[29:32], v18 offset:8512
	v_cmp_gt_u32_e64 s[8:9], 12, v1
	s_waitcnt lgkmcnt(0)
	v_mul_f64 v[33:34], v[13:14], v[31:32]
	v_mul_f64 v[31:32], v[11:12], v[31:32]
	v_fma_f64 v[11:12], v[11:12], v[29:30], -v[33:34]
	v_fma_f64 v[13:14], v[13:14], v[29:30], v[31:32]
	v_add_f64 v[11:12], v[11:12], 0
	v_add_f64 v[13:14], v[13:14], 0
	s_and_saveexec_b64 s[14:15], s[8:9]
	s_cbranch_execnz .LBB190_535
; %bb.328:
	s_or_b64 exec, exec, s[14:15]
	v_cmp_gt_u32_e64 s[8:9], 8, v1
	s_and_saveexec_b64 s[14:15], s[8:9]
	s_cbranch_execnz .LBB190_536
.LBB190_329:
	s_or_b64 exec, exec, s[14:15]
	v_cmp_gt_u32_e64 s[8:9], 4, v1
	s_and_saveexec_b64 s[14:15], s[8:9]
	s_cbranch_execz .LBB190_331
.LBB190_330:
	v_lshlrev_b32_e32 v32, 4, v0
	v_mov_b32_e32 v28, 0
	ds_read_b128 v[28:31], v28 offset:8496
	ds_read_b128 v[32:35], v32 offset:10048
	s_waitcnt lgkmcnt(0)
	v_mul_f64 v[36:37], v[30:31], v[34:35]
	v_mul_f64 v[34:35], v[28:29], v[34:35]
	v_fma_f64 v[28:29], v[28:29], v[32:33], -v[36:37]
	v_fma_f64 v[30:31], v[30:31], v[32:33], v[34:35]
	v_add_f64 v[11:12], v[11:12], v[28:29]
	v_add_f64 v[13:14], v[13:14], v[30:31]
.LBB190_331:
	s_or_b64 exec, exec, s[14:15]
	v_xor_b32_e32 v12, 0x80000000, v12
	v_xor_b32_e32 v14, 0x80000000, v14
.LBB190_332:
	s_or_b64 exec, exec, s[10:11]
	s_and_saveexec_b64 s[8:9], s[42:43]
	s_cbranch_execz .LBB190_334
; %bb.333:
	v_mov_b32_e32 v28, 0
	ds_read_b128 v[28:31], v28 offset:10560
	s_waitcnt lgkmcnt(0)
	v_mul_f64 v[32:33], v[13:14], v[30:31]
	v_mul_f64 v[30:31], v[11:12], v[30:31]
	v_fma_f64 v[11:12], v[11:12], v[28:29], -v[32:33]
	v_fma_f64 v[13:14], v[13:14], v[28:29], v[30:31]
	ds_write_b128 v20, v[11:14]
.LBB190_334:
	s_or_b64 exec, exec, s[8:9]
	s_waitcnt lgkmcnt(0)
	s_barrier
	s_and_saveexec_b64 s[8:9], s[44:45]
	s_cbranch_execz .LBB190_336
; %bb.335:
	ds_read_b128 v[28:31], v20
	ds_read_b128 v[32:35], v19 offset:10560
	s_waitcnt lgkmcnt(0)
	v_mul_f64 v[36:37], v[30:31], v[34:35]
	v_mul_f64 v[34:35], v[28:29], v[34:35]
	v_fma_f64 v[28:29], v[28:29], v[32:33], -v[36:37]
	v_fma_f64 v[30:31], v[30:31], v[32:33], v[34:35]
	v_add_f64 v[11:12], v[11:12], v[28:29]
	v_add_f64 v[13:14], v[13:14], v[30:31]
.LBB190_336:
	s_or_b64 exec, exec, s[8:9]
	s_barrier
	s_and_saveexec_b64 s[8:9], s[46:47]
	s_cbranch_execz .LBB190_338
; %bb.337:
	v_mov_b32_e32 v28, 0
	ds_read_b128 v[28:31], v28 offset:11088
	s_waitcnt lgkmcnt(0)
	v_mul_f64 v[32:33], v[13:14], v[30:31]
	v_mul_f64 v[30:31], v[11:12], v[30:31]
	v_fma_f64 v[11:12], v[11:12], v[28:29], -v[32:33]
	v_fma_f64 v[13:14], v[13:14], v[28:29], v[30:31]
	ds_write_b128 v20, v[11:14]
.LBB190_338:
	s_or_b64 exec, exec, s[8:9]
	s_waitcnt lgkmcnt(0)
	s_barrier
	s_and_saveexec_b64 s[8:9], s[48:49]
	s_cbranch_execz .LBB190_340
; %bb.339:
	ds_read_b128 v[28:31], v20
	ds_read_b128 v[32:35], v19 offset:11072
	s_waitcnt lgkmcnt(0)
	v_mul_f64 v[36:37], v[30:31], v[34:35]
	v_mul_f64 v[34:35], v[28:29], v[34:35]
	v_fma_f64 v[28:29], v[28:29], v[32:33], -v[36:37]
	v_fma_f64 v[30:31], v[30:31], v[32:33], v[34:35]
	v_add_f64 v[11:12], v[11:12], v[28:29]
	v_add_f64 v[13:14], v[13:14], v[30:31]
.LBB190_340:
	s_or_b64 exec, exec, s[8:9]
	s_barrier
	s_and_saveexec_b64 s[8:9], s[50:51]
	s_cbranch_execz .LBB190_342
; %bb.341:
	v_mov_b32_e32 v28, 0
	ds_read_b128 v[28:31], v28 offset:11616
	s_waitcnt lgkmcnt(0)
	v_mul_f64 v[32:33], v[13:14], v[30:31]
	v_mul_f64 v[30:31], v[11:12], v[30:31]
	v_fma_f64 v[11:12], v[11:12], v[28:29], -v[32:33]
	v_fma_f64 v[13:14], v[13:14], v[28:29], v[30:31]
	ds_write_b128 v20, v[11:14]
.LBB190_342:
	s_or_b64 exec, exec, s[8:9]
	s_waitcnt lgkmcnt(0)
	s_barrier
	s_and_saveexec_b64 s[8:9], s[40:41]
	s_cbranch_execz .LBB190_344
; %bb.343:
	v_mov_b32_e32 v32, 0
	ds_read_b128 v[28:31], v20
	ds_read_b128 v[32:35], v32 offset:11632
	s_waitcnt lgkmcnt(0)
	v_mul_f64 v[36:37], v[30:31], v[34:35]
	v_mul_f64 v[34:35], v[28:29], v[34:35]
	v_fma_f64 v[28:29], v[28:29], v[32:33], -v[36:37]
	v_fma_f64 v[30:31], v[30:31], v[32:33], v[34:35]
	v_add_f64 v[11:12], v[11:12], v[28:29]
	v_add_f64 v[13:14], v[13:14], v[30:31]
.LBB190_344:
	s_or_b64 exec, exec, s[8:9]
	s_barrier
	s_and_saveexec_b64 s[8:9], s[40:41]
	s_cbranch_execz .LBB190_346
; %bb.345:
	v_mov_b32_e32 v28, 0
	ds_read_b128 v[28:31], v28 offset:12144
	s_waitcnt lgkmcnt(0)
	v_mul_f64 v[32:33], v[13:14], v[30:31]
	v_mul_f64 v[30:31], v[11:12], v[30:31]
	v_fma_f64 v[11:12], v[11:12], v[28:29], -v[32:33]
	v_fma_f64 v[13:14], v[13:14], v[28:29], v[30:31]
	ds_write_b128 v20, v[11:14]
.LBB190_346:
	s_or_b64 exec, exec, s[8:9]
	s_waitcnt lgkmcnt(0)
	s_barrier
	s_barrier
	s_and_saveexec_b64 s[8:9], s[2:3]
; %bb.347:
	v_xor_b32_e32 v14, 0x80000000, v14
	v_xor_b32_e32 v12, 0x80000000, v12
	ds_write_b128 v18, v[11:14] offset:8512
; %bb.348:
	s_or_b64 exec, exec, s[8:9]
	s_waitcnt lgkmcnt(0)
	s_barrier
	s_barrier
	s_and_saveexec_b64 s[8:9], vcc
	s_cbranch_execz .LBB190_350
; %bb.349:
	v_mov_b32_e32 v38, 0
	ds_read_b128 v[11:14], v38 offset:11088
	ds_read_b128 v[28:31], v38 offset:10560
	ds_read_b128 v[32:35], v38 offset:10576
	s_waitcnt lgkmcnt(1)
	v_mul_f64 v[36:37], v[11:12], v[30:31]
	v_mul_f64 v[30:31], v[13:14], v[30:31]
	v_fma_f64 v[13:14], v[13:14], v[28:29], v[36:37]
	v_fma_f64 v[11:12], v[11:12], v[28:29], -v[30:31]
	s_waitcnt lgkmcnt(0)
	v_mul_f64 v[28:29], v[13:14], v[34:35]
	v_mul_f64 v[30:31], v[11:12], v[34:35]
	v_fma_f64 v[11:12], v[32:33], v[11:12], -v[28:29]
	v_fma_f64 v[13:14], v[32:33], v[13:14], v[30:31]
	ds_write_b128 v38, v[11:14] offset:10576
.LBB190_350:
	s_or_b64 exec, exec, s[8:9]
	v_mov_b32_e32 v13, 0
	v_mov_b32_e32 v11, 0
	;; [unrolled: 1-line block ×4, first 2 shown]
	s_waitcnt lgkmcnt(0)
	s_barrier
	s_and_saveexec_b64 s[10:11], s[0:1]
	s_cbranch_execz .LBB190_354
; %bb.351:
	v_mul_u32_u24_e32 v11, 0x210, v17
	ds_read_b128 v[11:14], v11 offset:10560
	ds_read_b128 v[28:31], v15 offset:10592
	v_cmp_gt_u32_e64 s[8:9], 2, v1
	s_waitcnt lgkmcnt(0)
	v_mul_f64 v[32:33], v[13:14], v[30:31]
	v_mul_f64 v[30:31], v[11:12], v[30:31]
	v_fma_f64 v[11:12], v[11:12], v[28:29], -v[32:33]
	v_fma_f64 v[13:14], v[13:14], v[28:29], v[30:31]
	v_add_f64 v[11:12], v[11:12], 0
	v_add_f64 v[13:14], v[13:14], 0
	s_and_saveexec_b64 s[14:15], s[8:9]
	s_cbranch_execz .LBB190_353
; %bb.352:
	v_lshlrev_b32_e32 v32, 4, v0
	v_mov_b32_e32 v28, 0
	ds_read_b128 v[28:31], v28 offset:10576
	ds_read_b128 v[32:35], v32 offset:11104
	s_waitcnt lgkmcnt(0)
	v_mul_f64 v[36:37], v[30:31], v[34:35]
	v_mul_f64 v[34:35], v[28:29], v[34:35]
	v_fma_f64 v[28:29], v[28:29], v[32:33], -v[36:37]
	v_fma_f64 v[30:31], v[30:31], v[32:33], v[34:35]
	v_add_f64 v[11:12], v[11:12], v[28:29]
	v_add_f64 v[13:14], v[13:14], v[30:31]
.LBB190_353:
	s_or_b64 exec, exec, s[14:15]
	v_xor_b32_e32 v12, 0x80000000, v12
	v_xor_b32_e32 v14, 0x80000000, v14
.LBB190_354:
	s_or_b64 exec, exec, s[10:11]
	s_and_saveexec_b64 s[8:9], s[38:39]
	s_cbranch_execz .LBB190_356
; %bb.355:
	v_mov_b32_e32 v28, 0
	ds_read_b128 v[28:31], v28 offset:11616
	s_waitcnt lgkmcnt(0)
	v_mul_f64 v[32:33], v[13:14], v[30:31]
	v_mul_f64 v[30:31], v[11:12], v[30:31]
	v_fma_f64 v[11:12], v[11:12], v[28:29], -v[32:33]
	v_fma_f64 v[13:14], v[13:14], v[28:29], v[30:31]
	ds_write_b128 v16, v[11:14]
.LBB190_356:
	s_or_b64 exec, exec, s[8:9]
	s_waitcnt lgkmcnt(0)
	s_barrier
	s_and_saveexec_b64 s[8:9], s[36:37]
	s_cbranch_execz .LBB190_358
; %bb.357:
	v_mov_b32_e32 v32, 0
	ds_read_b128 v[28:31], v16
	ds_read_b128 v[32:35], v32 offset:11632
	s_waitcnt lgkmcnt(0)
	v_mul_f64 v[36:37], v[30:31], v[34:35]
	v_mul_f64 v[34:35], v[28:29], v[34:35]
	v_fma_f64 v[28:29], v[28:29], v[32:33], -v[36:37]
	v_fma_f64 v[30:31], v[30:31], v[32:33], v[34:35]
	v_add_f64 v[11:12], v[11:12], v[28:29]
	v_add_f64 v[13:14], v[13:14], v[30:31]
.LBB190_358:
	s_or_b64 exec, exec, s[8:9]
	s_barrier
	s_and_saveexec_b64 s[8:9], s[36:37]
	s_cbranch_execz .LBB190_360
; %bb.359:
	v_mov_b32_e32 v28, 0
	ds_read_b128 v[28:31], v28 offset:12144
	s_waitcnt lgkmcnt(0)
	v_mul_f64 v[32:33], v[13:14], v[30:31]
	v_mul_f64 v[30:31], v[11:12], v[30:31]
	v_fma_f64 v[11:12], v[11:12], v[28:29], -v[32:33]
	v_fma_f64 v[13:14], v[13:14], v[28:29], v[30:31]
	ds_write_b128 v16, v[11:14]
.LBB190_360:
	s_or_b64 exec, exec, s[8:9]
	s_waitcnt lgkmcnt(0)
	s_barrier
	s_barrier
	s_and_saveexec_b64 s[8:9], s[0:1]
; %bb.361:
	v_xor_b32_e32 v12, 0x80000000, v12
	v_xor_b32_e32 v14, 0x80000000, v14
	ds_write_b128 v15, v[11:14] offset:10592
; %bb.362:
	s_or_b64 exec, exec, s[8:9]
	s_waitcnt lgkmcnt(0)
	s_barrier
	s_barrier
	s_and_saveexec_b64 s[8:9], vcc
	s_cbranch_execz .LBB190_364
; %bb.363:
	v_mov_b32_e32 v38, 0
	ds_read_b128 v[11:14], v38 offset:12144
	ds_read_b128 v[28:31], v38 offset:11616
	ds_read_b128 v[32:35], v38 offset:11632
	s_waitcnt lgkmcnt(1)
	v_mul_f64 v[36:37], v[11:12], v[30:31]
	v_mul_f64 v[30:31], v[13:14], v[30:31]
	v_fma_f64 v[13:14], v[13:14], v[28:29], v[36:37]
	v_fma_f64 v[11:12], v[11:12], v[28:29], -v[30:31]
	s_waitcnt lgkmcnt(0)
	v_mul_f64 v[28:29], v[13:14], v[34:35]
	v_mul_f64 v[30:31], v[11:12], v[34:35]
	v_fma_f64 v[11:12], v[32:33], v[11:12], -v[28:29]
	v_fma_f64 v[13:14], v[32:33], v[13:14], v[30:31]
	ds_write_b128 v38, v[11:14] offset:11632
.LBB190_364:
	s_or_b64 exec, exec, s[8:9]
	v_mov_b32_e32 v13, 0
	v_mov_b32_e32 v11, 0
	;; [unrolled: 1-line block ×4, first 2 shown]
	s_waitcnt lgkmcnt(0)
	s_barrier
	s_and_saveexec_b64 s[10:11], s[12:13]
	s_cbranch_execz .LBB190_374
; %bb.365:
	v_mul_u32_u24_e32 v28, 0x210, v27
	ds_read_b128 v[11:14], v28 offset:8448
	ds_read_b128 v[29:32], v23 offset:8576
	v_cmp_gt_u32_e64 s[8:9], 56, v1
	s_waitcnt lgkmcnt(0)
	v_mul_f64 v[33:34], v[13:14], v[31:32]
	v_mul_f64 v[31:32], v[11:12], v[31:32]
	v_fma_f64 v[11:12], v[11:12], v[29:30], -v[33:34]
	v_fma_f64 v[13:14], v[13:14], v[29:30], v[31:32]
	v_add_f64 v[11:12], v[11:12], 0
	v_add_f64 v[13:14], v[13:14], 0
	s_and_saveexec_b64 s[14:15], s[8:9]
	s_cbranch_execnz .LBB190_537
; %bb.366:
	s_or_b64 exec, exec, s[14:15]
	v_cmp_gt_u32_e64 s[8:9], 48, v1
	s_and_saveexec_b64 s[14:15], s[8:9]
	s_cbranch_execnz .LBB190_538
.LBB190_367:
	s_or_b64 exec, exec, s[14:15]
	v_cmp_gt_u32_e64 s[8:9], 40, v1
	s_and_saveexec_b64 s[14:15], s[8:9]
	s_cbranch_execnz .LBB190_539
.LBB190_368:
	s_or_b64 exec, exec, s[14:15]
	v_cmp_gt_u32_e64 s[8:9], 32, v1
	s_and_saveexec_b64 s[14:15], s[8:9]
	s_cbranch_execnz .LBB190_540
.LBB190_369:
	s_or_b64 exec, exec, s[14:15]
	v_cmp_gt_u32_e64 s[8:9], 24, v1
	s_and_saveexec_b64 s[14:15], s[8:9]
	s_cbranch_execnz .LBB190_541
.LBB190_370:
	s_or_b64 exec, exec, s[14:15]
	v_cmp_gt_u32_e64 s[8:9], 16, v1
	s_and_saveexec_b64 s[14:15], s[8:9]
	s_cbranch_execnz .LBB190_542
.LBB190_371:
	s_or_b64 exec, exec, s[14:15]
	v_cmp_gt_u32_e64 s[8:9], 8, v1
	s_and_saveexec_b64 s[14:15], s[8:9]
	s_cbranch_execz .LBB190_373
.LBB190_372:
	v_lshlrev_b32_e32 v30, 4, v0
	v_mov_b32_e32 v26, 0
	ds_read_b128 v[26:29], v26 offset:8560
	ds_read_b128 v[30:33], v30 offset:12160
	s_waitcnt lgkmcnt(0)
	v_mul_f64 v[34:35], v[28:29], v[32:33]
	v_mul_f64 v[32:33], v[26:27], v[32:33]
	v_fma_f64 v[26:27], v[26:27], v[30:31], -v[34:35]
	v_fma_f64 v[28:29], v[28:29], v[30:31], v[32:33]
	v_add_f64 v[11:12], v[11:12], v[26:27]
	v_add_f64 v[13:14], v[13:14], v[28:29]
.LBB190_373:
	s_or_b64 exec, exec, s[14:15]
	v_xor_b32_e32 v12, 0x80000000, v12
	v_xor_b32_e32 v14, 0x80000000, v14
.LBB190_374:
	s_or_b64 exec, exec, s[10:11]
	s_and_saveexec_b64 s[8:9], s[54:55]
	s_cbranch_execz .LBB190_376
; %bb.375:
	v_mov_b32_e32 v26, 0
	ds_read_b128 v[26:29], v26 offset:12672
	s_waitcnt lgkmcnt(0)
	v_mul_f64 v[30:31], v[13:14], v[28:29]
	v_mul_f64 v[28:29], v[11:12], v[28:29]
	v_fma_f64 v[11:12], v[11:12], v[26:27], -v[30:31]
	v_fma_f64 v[13:14], v[13:14], v[26:27], v[28:29]
	ds_write_b128 v25, v[11:14]
.LBB190_376:
	s_or_b64 exec, exec, s[8:9]
	s_waitcnt lgkmcnt(0)
	s_barrier
	s_and_saveexec_b64 s[8:9], s[56:57]
	s_cbranch_execz .LBB190_378
; %bb.377:
	ds_read_b128 v[26:29], v25
	ds_read_b128 v[30:33], v24 offset:12672
	s_waitcnt lgkmcnt(0)
	v_mul_f64 v[34:35], v[28:29], v[32:33]
	v_mul_f64 v[32:33], v[26:27], v[32:33]
	v_fma_f64 v[26:27], v[26:27], v[30:31], -v[34:35]
	v_fma_f64 v[28:29], v[28:29], v[30:31], v[32:33]
	v_add_f64 v[11:12], v[11:12], v[26:27]
	v_add_f64 v[13:14], v[13:14], v[28:29]
.LBB190_378:
	s_or_b64 exec, exec, s[8:9]
	s_barrier
	s_and_saveexec_b64 s[8:9], s[58:59]
	s_cbranch_execz .LBB190_380
; %bb.379:
	v_mov_b32_e32 v26, 0
	ds_read_b128 v[26:29], v26 offset:13200
	s_waitcnt lgkmcnt(0)
	v_mul_f64 v[30:31], v[13:14], v[28:29]
	v_mul_f64 v[28:29], v[11:12], v[28:29]
	v_fma_f64 v[11:12], v[11:12], v[26:27], -v[30:31]
	v_fma_f64 v[13:14], v[13:14], v[26:27], v[28:29]
	ds_write_b128 v25, v[11:14]
.LBB190_380:
	s_or_b64 exec, exec, s[8:9]
	s_waitcnt lgkmcnt(0)
	s_barrier
	s_and_saveexec_b64 s[8:9], s[60:61]
	s_cbranch_execz .LBB190_382
; %bb.381:
	ds_read_b128 v[26:29], v25
	ds_read_b128 v[30:33], v24 offset:13184
	s_waitcnt lgkmcnt(0)
	v_mul_f64 v[34:35], v[28:29], v[32:33]
	v_mul_f64 v[32:33], v[26:27], v[32:33]
	v_fma_f64 v[26:27], v[26:27], v[30:31], -v[34:35]
	v_fma_f64 v[28:29], v[28:29], v[30:31], v[32:33]
	v_add_f64 v[11:12], v[11:12], v[26:27]
	v_add_f64 v[13:14], v[13:14], v[28:29]
.LBB190_382:
	s_or_b64 exec, exec, s[8:9]
	s_barrier
	;; [unrolled: 30-line block ×6, first 2 shown]
	s_and_saveexec_b64 s[8:9], s[78:79]
	s_cbranch_execz .LBB190_400
; %bb.399:
	v_mov_b32_e32 v24, 0
	ds_read_b128 v[26:29], v24 offset:15840
	s_waitcnt lgkmcnt(0)
	v_mul_f64 v[30:31], v[13:14], v[28:29]
	v_mul_f64 v[28:29], v[11:12], v[28:29]
	v_fma_f64 v[11:12], v[11:12], v[26:27], -v[30:31]
	v_fma_f64 v[13:14], v[13:14], v[26:27], v[28:29]
	ds_write_b128 v25, v[11:14]
.LBB190_400:
	s_or_b64 exec, exec, s[8:9]
	s_waitcnt lgkmcnt(0)
	s_barrier
	s_and_saveexec_b64 s[8:9], s[52:53]
	s_cbranch_execz .LBB190_402
; %bb.401:
	v_mov_b32_e32 v24, 0
	ds_read_b128 v[26:29], v25
	ds_read_b128 v[30:33], v24 offset:15856
	s_waitcnt lgkmcnt(0)
	v_mul_f64 v[34:35], v[28:29], v[32:33]
	v_mul_f64 v[32:33], v[26:27], v[32:33]
	v_fma_f64 v[26:27], v[26:27], v[30:31], -v[34:35]
	v_fma_f64 v[28:29], v[28:29], v[30:31], v[32:33]
	v_add_f64 v[11:12], v[11:12], v[26:27]
	v_add_f64 v[13:14], v[13:14], v[28:29]
.LBB190_402:
	s_or_b64 exec, exec, s[8:9]
	s_barrier
	s_and_saveexec_b64 s[8:9], s[52:53]
	s_cbranch_execz .LBB190_404
; %bb.403:
	v_mov_b32_e32 v24, 0
	ds_read_b128 v[26:29], v24 offset:16368
	s_waitcnt lgkmcnt(0)
	v_mul_f64 v[30:31], v[13:14], v[28:29]
	v_mul_f64 v[28:29], v[11:12], v[28:29]
	v_fma_f64 v[11:12], v[11:12], v[26:27], -v[30:31]
	v_fma_f64 v[13:14], v[13:14], v[26:27], v[28:29]
	ds_write_b128 v25, v[11:14]
.LBB190_404:
	s_or_b64 exec, exec, s[8:9]
	s_waitcnt lgkmcnt(0)
	s_barrier
	s_barrier
	s_and_saveexec_b64 s[8:9], s[12:13]
; %bb.405:
	v_xor_b32_e32 v12, 0x80000000, v12
	v_xor_b32_e32 v14, 0x80000000, v14
	ds_write_b128 v23, v[11:14] offset:8576
; %bb.406:
	s_or_b64 exec, exec, s[8:9]
	s_waitcnt lgkmcnt(0)
	s_barrier
	s_barrier
	s_and_saveexec_b64 s[8:9], vcc
	s_cbranch_execz .LBB190_408
; %bb.407:
	v_mov_b32_e32 v33, 0
	ds_read_b128 v[11:14], v33 offset:13200
	ds_read_b128 v[23:26], v33 offset:12672
	;; [unrolled: 1-line block ×3, first 2 shown]
	s_waitcnt lgkmcnt(1)
	v_mul_f64 v[31:32], v[11:12], v[25:26]
	v_mul_f64 v[25:26], v[13:14], v[25:26]
	v_fma_f64 v[13:14], v[13:14], v[23:24], v[31:32]
	v_fma_f64 v[11:12], v[11:12], v[23:24], -v[25:26]
	s_waitcnt lgkmcnt(0)
	v_mul_f64 v[23:24], v[13:14], v[29:30]
	v_mul_f64 v[25:26], v[11:12], v[29:30]
	v_fma_f64 v[11:12], v[27:28], v[11:12], -v[23:24]
	v_fma_f64 v[13:14], v[27:28], v[13:14], v[25:26]
	ds_write_b128 v33, v[11:14] offset:12688
.LBB190_408:
	s_or_b64 exec, exec, s[8:9]
	v_mov_b32_e32 v13, 0
	v_mov_b32_e32 v11, 0
	;; [unrolled: 1-line block ×4, first 2 shown]
	s_waitcnt lgkmcnt(0)
	s_barrier
	s_and_saveexec_b64 s[10:11], s[0:1]
	s_cbranch_execz .LBB190_412
; %bb.409:
	v_mul_u32_u24_e32 v11, 0x210, v17
	ds_read_b128 v[11:14], v11 offset:12672
	ds_read_b128 v[23:26], v15 offset:12704
	v_cmp_gt_u32_e64 s[8:9], 2, v1
	s_waitcnt lgkmcnt(0)
	v_mul_f64 v[27:28], v[13:14], v[25:26]
	v_mul_f64 v[25:26], v[11:12], v[25:26]
	v_fma_f64 v[11:12], v[11:12], v[23:24], -v[27:28]
	v_fma_f64 v[13:14], v[13:14], v[23:24], v[25:26]
	v_add_f64 v[11:12], v[11:12], 0
	v_add_f64 v[13:14], v[13:14], 0
	s_and_saveexec_b64 s[12:13], s[8:9]
	s_cbranch_execz .LBB190_411
; %bb.410:
	v_lshlrev_b32_e32 v27, 4, v0
	v_mov_b32_e32 v23, 0
	ds_read_b128 v[23:26], v23 offset:12688
	ds_read_b128 v[27:30], v27 offset:13216
	s_waitcnt lgkmcnt(0)
	v_mul_f64 v[31:32], v[25:26], v[29:30]
	v_mul_f64 v[29:30], v[23:24], v[29:30]
	v_fma_f64 v[23:24], v[23:24], v[27:28], -v[31:32]
	v_fma_f64 v[25:26], v[25:26], v[27:28], v[29:30]
	v_add_f64 v[11:12], v[11:12], v[23:24]
	v_add_f64 v[13:14], v[13:14], v[25:26]
.LBB190_411:
	s_or_b64 exec, exec, s[12:13]
	v_xor_b32_e32 v12, 0x80000000, v12
	v_xor_b32_e32 v14, 0x80000000, v14
.LBB190_412:
	s_or_b64 exec, exec, s[10:11]
	s_and_saveexec_b64 s[8:9], s[38:39]
	s_cbranch_execz .LBB190_414
; %bb.413:
	v_mov_b32_e32 v23, 0
	ds_read_b128 v[23:26], v23 offset:13728
	s_waitcnt lgkmcnt(0)
	v_mul_f64 v[27:28], v[13:14], v[25:26]
	v_mul_f64 v[25:26], v[11:12], v[25:26]
	v_fma_f64 v[11:12], v[11:12], v[23:24], -v[27:28]
	v_fma_f64 v[13:14], v[13:14], v[23:24], v[25:26]
	ds_write_b128 v16, v[11:14]
.LBB190_414:
	s_or_b64 exec, exec, s[8:9]
	s_waitcnt lgkmcnt(0)
	s_barrier
	s_and_saveexec_b64 s[8:9], s[36:37]
	s_cbranch_execz .LBB190_416
; %bb.415:
	v_mov_b32_e32 v27, 0
	ds_read_b128 v[23:26], v16
	ds_read_b128 v[27:30], v27 offset:13744
	s_waitcnt lgkmcnt(0)
	v_mul_f64 v[31:32], v[25:26], v[29:30]
	v_mul_f64 v[29:30], v[23:24], v[29:30]
	v_fma_f64 v[23:24], v[23:24], v[27:28], -v[31:32]
	v_fma_f64 v[25:26], v[25:26], v[27:28], v[29:30]
	v_add_f64 v[11:12], v[11:12], v[23:24]
	v_add_f64 v[13:14], v[13:14], v[25:26]
.LBB190_416:
	s_or_b64 exec, exec, s[8:9]
	s_barrier
	s_and_saveexec_b64 s[8:9], s[36:37]
	s_cbranch_execz .LBB190_418
; %bb.417:
	v_mov_b32_e32 v23, 0
	ds_read_b128 v[23:26], v23 offset:14256
	s_waitcnt lgkmcnt(0)
	v_mul_f64 v[27:28], v[13:14], v[25:26]
	v_mul_f64 v[25:26], v[11:12], v[25:26]
	v_fma_f64 v[11:12], v[11:12], v[23:24], -v[27:28]
	v_fma_f64 v[13:14], v[13:14], v[23:24], v[25:26]
	ds_write_b128 v16, v[11:14]
.LBB190_418:
	s_or_b64 exec, exec, s[8:9]
	s_waitcnt lgkmcnt(0)
	s_barrier
	s_barrier
	s_and_saveexec_b64 s[8:9], s[0:1]
; %bb.419:
	v_xor_b32_e32 v12, 0x80000000, v12
	v_xor_b32_e32 v14, 0x80000000, v14
	ds_write_b128 v15, v[11:14] offset:12704
; %bb.420:
	s_or_b64 exec, exec, s[8:9]
	s_waitcnt lgkmcnt(0)
	s_barrier
	s_barrier
	s_and_saveexec_b64 s[8:9], vcc
	s_cbranch_execz .LBB190_422
; %bb.421:
	v_mov_b32_e32 v33, 0
	ds_read_b128 v[11:14], v33 offset:14256
	ds_read_b128 v[23:26], v33 offset:13728
	;; [unrolled: 1-line block ×3, first 2 shown]
	s_waitcnt lgkmcnt(1)
	v_mul_f64 v[31:32], v[11:12], v[25:26]
	v_mul_f64 v[25:26], v[13:14], v[25:26]
	v_fma_f64 v[13:14], v[13:14], v[23:24], v[31:32]
	v_fma_f64 v[11:12], v[11:12], v[23:24], -v[25:26]
	s_waitcnt lgkmcnt(0)
	v_mul_f64 v[23:24], v[13:14], v[29:30]
	v_mul_f64 v[25:26], v[11:12], v[29:30]
	v_fma_f64 v[11:12], v[27:28], v[11:12], -v[23:24]
	v_fma_f64 v[13:14], v[27:28], v[13:14], v[25:26]
	ds_write_b128 v33, v[11:14] offset:13744
.LBB190_422:
	s_or_b64 exec, exec, s[8:9]
	v_mov_b32_e32 v13, 0
	v_mov_b32_e32 v11, 0
	;; [unrolled: 1-line block ×4, first 2 shown]
	s_waitcnt lgkmcnt(0)
	s_barrier
	s_and_saveexec_b64 s[10:11], s[2:3]
	s_cbranch_execz .LBB190_428
; %bb.423:
	v_mul_u32_u24_e32 v23, 0x210, v22
	ds_read_b128 v[11:14], v23 offset:12672
	ds_read_b128 v[24:27], v18 offset:12736
	v_cmp_gt_u32_e64 s[8:9], 12, v1
	s_waitcnt lgkmcnt(0)
	v_mul_f64 v[28:29], v[13:14], v[26:27]
	v_mul_f64 v[26:27], v[11:12], v[26:27]
	v_fma_f64 v[11:12], v[11:12], v[24:25], -v[28:29]
	v_fma_f64 v[13:14], v[13:14], v[24:25], v[26:27]
	v_add_f64 v[11:12], v[11:12], 0
	v_add_f64 v[13:14], v[13:14], 0
	s_and_saveexec_b64 s[12:13], s[8:9]
	s_cbranch_execnz .LBB190_543
; %bb.424:
	s_or_b64 exec, exec, s[12:13]
	v_cmp_gt_u32_e64 s[8:9], 8, v1
	s_and_saveexec_b64 s[12:13], s[8:9]
	s_cbranch_execnz .LBB190_544
.LBB190_425:
	s_or_b64 exec, exec, s[12:13]
	v_cmp_gt_u32_e64 s[8:9], 4, v1
	s_and_saveexec_b64 s[12:13], s[8:9]
	s_cbranch_execz .LBB190_427
.LBB190_426:
	v_lshlrev_b32_e32 v25, 4, v0
	v_mov_b32_e32 v21, 0
	ds_read_b128 v[21:24], v21 offset:12720
	ds_read_b128 v[25:28], v25 offset:14272
	s_waitcnt lgkmcnt(0)
	v_mul_f64 v[29:30], v[23:24], v[27:28]
	v_mul_f64 v[27:28], v[21:22], v[27:28]
	v_fma_f64 v[21:22], v[21:22], v[25:26], -v[29:30]
	v_fma_f64 v[23:24], v[23:24], v[25:26], v[27:28]
	v_add_f64 v[11:12], v[11:12], v[21:22]
	v_add_f64 v[13:14], v[13:14], v[23:24]
.LBB190_427:
	s_or_b64 exec, exec, s[12:13]
	v_xor_b32_e32 v12, 0x80000000, v12
	v_xor_b32_e32 v14, 0x80000000, v14
.LBB190_428:
	s_or_b64 exec, exec, s[10:11]
	s_and_saveexec_b64 s[8:9], s[42:43]
	s_cbranch_execz .LBB190_430
; %bb.429:
	v_mov_b32_e32 v21, 0
	ds_read_b128 v[21:24], v21 offset:14784
	s_waitcnt lgkmcnt(0)
	v_mul_f64 v[25:26], v[13:14], v[23:24]
	v_mul_f64 v[23:24], v[11:12], v[23:24]
	v_fma_f64 v[11:12], v[11:12], v[21:22], -v[25:26]
	v_fma_f64 v[13:14], v[13:14], v[21:22], v[23:24]
	ds_write_b128 v20, v[11:14]
.LBB190_430:
	s_or_b64 exec, exec, s[8:9]
	s_waitcnt lgkmcnt(0)
	s_barrier
	s_and_saveexec_b64 s[8:9], s[44:45]
	s_cbranch_execz .LBB190_432
; %bb.431:
	ds_read_b128 v[21:24], v20
	ds_read_b128 v[25:28], v19 offset:14784
	s_waitcnt lgkmcnt(0)
	v_mul_f64 v[29:30], v[23:24], v[27:28]
	v_mul_f64 v[27:28], v[21:22], v[27:28]
	v_fma_f64 v[21:22], v[21:22], v[25:26], -v[29:30]
	v_fma_f64 v[23:24], v[23:24], v[25:26], v[27:28]
	v_add_f64 v[11:12], v[11:12], v[21:22]
	v_add_f64 v[13:14], v[13:14], v[23:24]
.LBB190_432:
	s_or_b64 exec, exec, s[8:9]
	s_barrier
	s_and_saveexec_b64 s[8:9], s[46:47]
	s_cbranch_execz .LBB190_434
; %bb.433:
	v_mov_b32_e32 v21, 0
	ds_read_b128 v[21:24], v21 offset:15312
	s_waitcnt lgkmcnt(0)
	v_mul_f64 v[25:26], v[13:14], v[23:24]
	v_mul_f64 v[23:24], v[11:12], v[23:24]
	v_fma_f64 v[11:12], v[11:12], v[21:22], -v[25:26]
	v_fma_f64 v[13:14], v[13:14], v[21:22], v[23:24]
	ds_write_b128 v20, v[11:14]
.LBB190_434:
	s_or_b64 exec, exec, s[8:9]
	s_waitcnt lgkmcnt(0)
	s_barrier
	s_and_saveexec_b64 s[8:9], s[48:49]
	s_cbranch_execz .LBB190_436
; %bb.435:
	ds_read_b128 v[21:24], v20
	ds_read_b128 v[25:28], v19 offset:15296
	s_waitcnt lgkmcnt(0)
	v_mul_f64 v[29:30], v[23:24], v[27:28]
	v_mul_f64 v[27:28], v[21:22], v[27:28]
	v_fma_f64 v[21:22], v[21:22], v[25:26], -v[29:30]
	v_fma_f64 v[23:24], v[23:24], v[25:26], v[27:28]
	v_add_f64 v[11:12], v[11:12], v[21:22]
	v_add_f64 v[13:14], v[13:14], v[23:24]
.LBB190_436:
	s_or_b64 exec, exec, s[8:9]
	s_barrier
	s_and_saveexec_b64 s[8:9], s[50:51]
	s_cbranch_execz .LBB190_438
; %bb.437:
	v_mov_b32_e32 v19, 0
	ds_read_b128 v[21:24], v19 offset:15840
	s_waitcnt lgkmcnt(0)
	v_mul_f64 v[25:26], v[13:14], v[23:24]
	v_mul_f64 v[23:24], v[11:12], v[23:24]
	v_fma_f64 v[11:12], v[11:12], v[21:22], -v[25:26]
	v_fma_f64 v[13:14], v[13:14], v[21:22], v[23:24]
	ds_write_b128 v20, v[11:14]
.LBB190_438:
	s_or_b64 exec, exec, s[8:9]
	s_waitcnt lgkmcnt(0)
	s_barrier
	s_and_saveexec_b64 s[8:9], s[40:41]
	s_cbranch_execz .LBB190_440
; %bb.439:
	v_mov_b32_e32 v19, 0
	ds_read_b128 v[21:24], v20
	ds_read_b128 v[25:28], v19 offset:15856
	s_waitcnt lgkmcnt(0)
	v_mul_f64 v[29:30], v[23:24], v[27:28]
	v_mul_f64 v[27:28], v[21:22], v[27:28]
	v_fma_f64 v[21:22], v[21:22], v[25:26], -v[29:30]
	v_fma_f64 v[23:24], v[23:24], v[25:26], v[27:28]
	v_add_f64 v[11:12], v[11:12], v[21:22]
	v_add_f64 v[13:14], v[13:14], v[23:24]
.LBB190_440:
	s_or_b64 exec, exec, s[8:9]
	s_barrier
	s_and_saveexec_b64 s[8:9], s[40:41]
	s_cbranch_execz .LBB190_442
; %bb.441:
	v_mov_b32_e32 v19, 0
	ds_read_b128 v[21:24], v19 offset:16368
	s_waitcnt lgkmcnt(0)
	v_mul_f64 v[25:26], v[13:14], v[23:24]
	v_mul_f64 v[23:24], v[11:12], v[23:24]
	v_fma_f64 v[11:12], v[11:12], v[21:22], -v[25:26]
	v_fma_f64 v[13:14], v[13:14], v[21:22], v[23:24]
	ds_write_b128 v20, v[11:14]
.LBB190_442:
	s_or_b64 exec, exec, s[8:9]
	s_waitcnt lgkmcnt(0)
	s_barrier
	s_barrier
	s_and_saveexec_b64 s[8:9], s[2:3]
; %bb.443:
	v_xor_b32_e32 v14, 0x80000000, v14
	v_xor_b32_e32 v12, 0x80000000, v12
	ds_write_b128 v18, v[11:14] offset:12736
; %bb.444:
	s_or_b64 exec, exec, s[8:9]
	s_waitcnt lgkmcnt(0)
	s_barrier
	s_barrier
	s_and_saveexec_b64 s[2:3], vcc
	s_cbranch_execz .LBB190_446
; %bb.445:
	v_mov_b32_e32 v28, 0
	ds_read_b128 v[11:14], v28 offset:15312
	ds_read_b128 v[18:21], v28 offset:14784
	;; [unrolled: 1-line block ×3, first 2 shown]
	s_waitcnt lgkmcnt(1)
	v_mul_f64 v[26:27], v[11:12], v[20:21]
	v_mul_f64 v[20:21], v[13:14], v[20:21]
	v_fma_f64 v[13:14], v[13:14], v[18:19], v[26:27]
	v_fma_f64 v[11:12], v[11:12], v[18:19], -v[20:21]
	s_waitcnt lgkmcnt(0)
	v_mul_f64 v[18:19], v[13:14], v[24:25]
	v_mul_f64 v[20:21], v[11:12], v[24:25]
	v_fma_f64 v[11:12], v[22:23], v[11:12], -v[18:19]
	v_fma_f64 v[13:14], v[22:23], v[13:14], v[20:21]
	ds_write_b128 v28, v[11:14] offset:14800
.LBB190_446:
	s_or_b64 exec, exec, s[2:3]
	v_mov_b32_e32 v13, 0
	v_mov_b32_e32 v11, 0
	;; [unrolled: 1-line block ×4, first 2 shown]
	s_waitcnt lgkmcnt(0)
	s_barrier
	s_and_saveexec_b64 s[8:9], s[0:1]
	s_cbranch_execz .LBB190_450
; %bb.447:
	v_mul_u32_u24_e32 v11, 0x210, v17
	ds_read_b128 v[11:14], v11 offset:14784
	ds_read_b128 v[17:20], v15 offset:14816
	v_cmp_gt_u32_e64 s[2:3], 2, v1
	s_waitcnt lgkmcnt(0)
	v_mul_f64 v[21:22], v[13:14], v[19:20]
	v_mul_f64 v[19:20], v[11:12], v[19:20]
	v_fma_f64 v[11:12], v[11:12], v[17:18], -v[21:22]
	v_fma_f64 v[13:14], v[13:14], v[17:18], v[19:20]
	v_add_f64 v[11:12], v[11:12], 0
	v_add_f64 v[13:14], v[13:14], 0
	s_and_saveexec_b64 s[10:11], s[2:3]
	s_cbranch_execz .LBB190_449
; %bb.448:
	v_lshlrev_b32_e32 v21, 4, v0
	v_mov_b32_e32 v17, 0
	ds_read_b128 v[17:20], v17 offset:14800
	ds_read_b128 v[21:24], v21 offset:15328
	s_waitcnt lgkmcnt(0)
	v_mul_f64 v[25:26], v[19:20], v[23:24]
	v_mul_f64 v[23:24], v[17:18], v[23:24]
	v_fma_f64 v[17:18], v[17:18], v[21:22], -v[25:26]
	v_fma_f64 v[19:20], v[19:20], v[21:22], v[23:24]
	v_add_f64 v[11:12], v[11:12], v[17:18]
	v_add_f64 v[13:14], v[13:14], v[19:20]
.LBB190_449:
	s_or_b64 exec, exec, s[10:11]
	v_xor_b32_e32 v12, 0x80000000, v12
	v_xor_b32_e32 v14, 0x80000000, v14
.LBB190_450:
	s_or_b64 exec, exec, s[8:9]
	s_and_saveexec_b64 s[2:3], s[38:39]
	s_cbranch_execz .LBB190_452
; %bb.451:
	v_mov_b32_e32 v17, 0
	ds_read_b128 v[17:20], v17 offset:15840
	s_waitcnt lgkmcnt(0)
	v_mul_f64 v[21:22], v[13:14], v[19:20]
	v_mul_f64 v[19:20], v[11:12], v[19:20]
	v_fma_f64 v[11:12], v[11:12], v[17:18], -v[21:22]
	v_fma_f64 v[13:14], v[13:14], v[17:18], v[19:20]
	ds_write_b128 v16, v[11:14]
.LBB190_452:
	s_or_b64 exec, exec, s[2:3]
	s_waitcnt lgkmcnt(0)
	s_barrier
	s_and_saveexec_b64 s[2:3], s[36:37]
	s_cbranch_execz .LBB190_454
; %bb.453:
	v_mov_b32_e32 v21, 0
	ds_read_b128 v[17:20], v16
	ds_read_b128 v[21:24], v21 offset:15856
	s_waitcnt lgkmcnt(0)
	v_mul_f64 v[25:26], v[19:20], v[23:24]
	v_mul_f64 v[23:24], v[17:18], v[23:24]
	v_fma_f64 v[17:18], v[17:18], v[21:22], -v[25:26]
	v_fma_f64 v[19:20], v[19:20], v[21:22], v[23:24]
	v_add_f64 v[11:12], v[11:12], v[17:18]
	v_add_f64 v[13:14], v[13:14], v[19:20]
.LBB190_454:
	s_or_b64 exec, exec, s[2:3]
	s_barrier
	s_and_saveexec_b64 s[2:3], s[36:37]
	s_cbranch_execz .LBB190_456
; %bb.455:
	v_mov_b32_e32 v17, 0
	ds_read_b128 v[17:20], v17 offset:16368
	s_waitcnt lgkmcnt(0)
	v_mul_f64 v[21:22], v[13:14], v[19:20]
	v_mul_f64 v[19:20], v[11:12], v[19:20]
	v_fma_f64 v[11:12], v[11:12], v[17:18], -v[21:22]
	v_fma_f64 v[13:14], v[13:14], v[17:18], v[19:20]
	ds_write_b128 v16, v[11:14]
.LBB190_456:
	s_or_b64 exec, exec, s[2:3]
	s_waitcnt lgkmcnt(0)
	s_barrier
	s_barrier
	s_and_saveexec_b64 s[2:3], s[0:1]
; %bb.457:
	v_xor_b32_e32 v12, 0x80000000, v12
	v_xor_b32_e32 v14, 0x80000000, v14
	ds_write_b128 v15, v[11:14] offset:14816
; %bb.458:
	s_or_b64 exec, exec, s[2:3]
	s_waitcnt lgkmcnt(0)
	s_barrier
	s_barrier
	s_and_saveexec_b64 s[0:1], vcc
	s_cbranch_execz .LBB190_460
; %bb.459:
	v_mov_b32_e32 v25, 0
	ds_read_b128 v[11:14], v25 offset:16368
	ds_read_b128 v[15:18], v25 offset:15840
	;; [unrolled: 1-line block ×3, first 2 shown]
	s_waitcnt lgkmcnt(1)
	v_mul_f64 v[23:24], v[11:12], v[17:18]
	v_mul_f64 v[17:18], v[13:14], v[17:18]
	v_fma_f64 v[13:14], v[13:14], v[15:16], v[23:24]
	v_fma_f64 v[11:12], v[11:12], v[15:16], -v[17:18]
	s_waitcnt lgkmcnt(0)
	v_mul_f64 v[15:16], v[13:14], v[21:22]
	v_mul_f64 v[17:18], v[11:12], v[21:22]
	v_fma_f64 v[11:12], v[19:20], v[11:12], -v[15:16]
	v_fma_f64 v[13:14], v[19:20], v[13:14], v[17:18]
	ds_write_b128 v25, v[11:14] offset:15856
.LBB190_460:
	s_or_b64 exec, exec, s[0:1]
.LBB190_461:
	s_lshl_b64 s[0:1], s[22:23], 4
	s_add_u32 s30, s30, s0
	v_cmp_le_i32_e32 vcc, s85, v0
	s_addc_u32 s31, s31, s1
	s_and_b64 s[14:15], vcc, s[28:29]
	v_cmp_eq_u32_e64 s[0:1], 0, v2
	s_xor_b64 s[2:3], s[14:15], -1
	v_mov_b32_e32 v13, 0
	v_mov_b32_e32 v11, 0
	s_and_b64 s[8:9], s[0:1], s[2:3]
	v_mov_b32_e32 v14, 0
	v_mov_b32_e32 v12, 0
	v_add_u32_e32 v16, s33, v0
	s_waitcnt lgkmcnt(0)
	s_barrier
	s_and_saveexec_b64 s[2:3], s[8:9]
	s_cbranch_execz .LBB190_463
; %bb.462:
	v_ashrrev_i32_e32 v13, 31, v16
	v_mul_lo_u32 v14, s21, v16
	v_mad_u64_u32 v[11:12], s[8:9], s20, v16, 0
	v_mul_lo_u32 v13, s20, v13
	v_add3_u32 v12, v12, v13, v14
	v_lshlrev_b64 v[11:12], 4, v[11:12]
	v_mov_b32_e32 v13, s31
	v_add_co_u32_e32 v11, vcc, s30, v11
	v_addc_co_u32_e32 v12, vcc, v13, v12, vcc
	flat_load_dwordx4 v[11:14], v[11:12]
	s_waitcnt vmcnt(0) lgkmcnt(0)
	v_mul_f64 v[17:18], s[16:17], v[11:12]
	v_mul_f64 v[19:20], s[16:17], v[13:14]
	v_fma_f64 v[13:14], s[18:19], v[13:14], -v[17:18]
	v_fma_f64 v[11:12], v[11:12], -s[18:19], -v[19:20]
.LBB190_463:
	s_or_b64 exec, exec, s[2:3]
	s_load_dwordx2 s[12:13], s[4:5], 0x58
	s_and_b32 s2, 0xffff, s88
	v_mad_u32_u24 v22, v2, s2, v0
	v_mov_b32_e32 v15, 0
	s_cmp_lt_i32 s6, 1
	v_cmp_eq_u32_e64 s[2:3], 0, v22
	s_cbranch_scc1 .LBB190_486
; %bb.464:
	v_mov_b32_e32 v17, v15
	v_cmp_gt_i32_e64 s[10:11], s7, v16
	v_lshlrev_b64 v[16:17], 4, v[16:17]
	s_lshl_b64 s[4:5], s[24:25], 2
	v_mov_b32_e32 v18, 0x6000
	s_waitcnt lgkmcnt(0)
	s_add_u32 s16, s12, s4
	v_lshl_add_u32 v23, v22, 4, v18
	v_lshl_or_b32 v24, v2, 4, v18
	v_mov_b32_e32 v18, s87
	v_add_co_u32_e32 v25, vcc, s86, v16
	s_mov_b32 s36, 0
	s_addc_u32 s17, s13, s5
	v_cmp_gt_u32_e64 s[4:5], 32, v22
	s_add_i32 s37, s6, -1
	v_addc_co_u32_e32 v26, vcc, v18, v17, vcc
	s_lshl_b64 s[18:19], s[26:27], 8
	v_mov_b32_e32 v27, -1
	s_branch .LBB190_467
.LBB190_465:                            ;   in Loop: Header=BB190_467 Depth=1
	ds_read_b128 v[28:31], v24 offset:256
	s_waitcnt vmcnt(0) lgkmcnt(0)
	v_mul_f64 v[18:19], v[20:21], v[30:31]
	v_mul_f64 v[30:31], v[16:17], v[30:31]
	v_fma_f64 v[16:17], v[16:17], v[28:29], -v[18:19]
	v_fma_f64 v[18:19], v[20:21], v[28:29], v[30:31]
	v_add_f64 v[13:14], v[13:14], v[16:17]
	v_add_f64 v[11:12], v[11:12], v[18:19]
.LBB190_466:                            ;   in Loop: Header=BB190_467 Depth=1
	s_or_b64 exec, exec, s[22:23]
	s_add_i32 s36, s36, 1
	s_cmp_eq_u32 s36, s6
	s_cbranch_scc1 .LBB190_486
.LBB190_467:                            ; =>This Loop Header: Depth=1
                                        ;     Child Loop BB190_469 Depth 2
	v_cmp_gt_i32_e32 vcc, s36, v27
	s_and_b64 s[22:23], s[2:3], vcc
	s_and_saveexec_b64 s[8:9], s[22:23]
	s_cbranch_execz .LBB190_470
; %bb.468:                              ;   in Loop: Header=BB190_467 Depth=1
	global_load_dword v27, v15, s[16:17]
	s_waitcnt vmcnt(0)
	v_cmp_le_i32_e32 vcc, s36, v27
	s_cbranch_vccnz .LBB190_470
.LBB190_469:                            ;   Parent Loop BB190_467 Depth=1
                                        ; =>  This Inner Loop Header: Depth=2
	buffer_wbinvl1_vol
	global_load_dword v27, v15, s[16:17]
	s_waitcnt vmcnt(0)
	v_cmp_gt_i32_e32 vcc, s36, v27
	s_cbranch_vccnz .LBB190_469
.LBB190_470:                            ;   in Loop: Header=BB190_467 Depth=1
	s_or_b64 exec, exec, s[8:9]
	s_lshl_b32 s38, s36, 5
	buffer_wbinvl1_vol
	s_barrier
	s_and_saveexec_b64 s[8:9], s[4:5]
	s_cbranch_execz .LBB190_475
; %bb.471:                              ;   in Loop: Header=BB190_467 Depth=1
	v_or_b32_e32 v16, s38, v22
	v_cmp_le_i32_e32 vcc, s7, v16
	s_and_saveexec_b64 s[22:23], vcc
	s_xor_b64 s[22:23], exec, s[22:23]
; %bb.472:                              ;   in Loop: Header=BB190_467 Depth=1
	v_mov_b32_e32 v16, v15
	v_mov_b32_e32 v17, v15
	;; [unrolled: 1-line block ×3, first 2 shown]
	ds_write_b128 v23, v[15:18]
                                        ; implicit-def: $vgpr16
; %bb.473:                              ;   in Loop: Header=BB190_467 Depth=1
	s_andn2_saveexec_b64 s[22:23], s[22:23]
	s_cbranch_execz .LBB190_475
; %bb.474:                              ;   in Loop: Header=BB190_467 Depth=1
	v_mad_u64_u32 v[17:18], s[22:23], s20, v16, 0
	v_mad_u64_u32 v[18:19], s[22:23], s21, v16, v[18:19]
	v_mov_b32_e32 v19, s31
	v_lshlrev_b64 v[16:17], 4, v[17:18]
	v_add_co_u32_e32 v16, vcc, s30, v16
	v_addc_co_u32_e32 v17, vcc, v19, v17, vcc
	flat_load_dwordx4 v[16:19], v[16:17]
	s_waitcnt vmcnt(0) lgkmcnt(0)
	ds_write2_b64 v23, v[16:17], v[18:19] offset1:1
.LBB190_475:                            ;   in Loop: Header=BB190_467 Depth=1
	s_or_b64 exec, exec, s[8:9]
	v_add_u32_e32 v28, s38, v2
	v_mad_u64_u32 v[16:17], s[8:9], s26, v28, 0
	s_cmp_lg_u32 s36, s37
	s_waitcnt lgkmcnt(0)
	v_mad_u64_u32 v[17:18], s[8:9], s27, v28, v[17:18]
	s_cselect_b64 s[8:9], -1, 0
	v_cndmask_b32_e64 v18, 0, 1, s[8:9]
	v_lshlrev_b64 v[16:17], 4, v[16:17]
	v_cmp_ne_u32_e64 s[8:9], 1, v18
	v_add_co_u32_e32 v16, vcc, v25, v16
	v_addc_co_u32_e32 v17, vcc, v26, v17, vcc
	v_cmp_gt_i32_e32 vcc, s7, v28
	s_and_b64 s[38:39], s[10:11], vcc
	s_barrier
	s_and_saveexec_b64 s[22:23], s[38:39]
	s_cbranch_execz .LBB190_481
; %bb.476:                              ;   in Loop: Header=BB190_467 Depth=1
	v_mov_b32_e32 v19, v4
	s_and_b64 vcc, exec, s[8:9]
	v_mov_b32_e32 v18, v3
	s_cbranch_vccnz .LBB190_478
; %bb.477:                              ;   in Loop: Header=BB190_467 Depth=1
	flat_load_dwordx2 v[18:19], v[16:17]
.LBB190_478:                            ;   in Loop: Header=BB190_467 Depth=1
	v_mov_b32_e32 v21, v6
	s_and_b64 vcc, exec, s[8:9]
	v_mov_b32_e32 v20, v5
	s_cbranch_vccnz .LBB190_480
; %bb.479:                              ;   in Loop: Header=BB190_467 Depth=1
	flat_load_dwordx2 v[20:21], v[16:17] offset:8
.LBB190_480:                            ;   in Loop: Header=BB190_467 Depth=1
	ds_read_b128 v[29:32], v24
	s_waitcnt vmcnt(0) lgkmcnt(0)
	v_mul_f64 v[33:34], v[20:21], v[31:32]
	v_mul_f64 v[31:32], v[18:19], v[31:32]
	v_fma_f64 v[18:19], v[18:19], v[29:30], -v[33:34]
	v_fma_f64 v[20:21], v[20:21], v[29:30], v[31:32]
	v_add_f64 v[13:14], v[13:14], v[18:19]
	v_add_f64 v[11:12], v[11:12], v[20:21]
.LBB190_481:                            ;   in Loop: Header=BB190_467 Depth=1
	s_or_b64 exec, exec, s[22:23]
	v_add_u32_e32 v18, 16, v28
	v_cmp_gt_i32_e32 vcc, s7, v18
	s_and_b64 s[38:39], s[10:11], vcc
	s_and_saveexec_b64 s[22:23], s[38:39]
	s_cbranch_execz .LBB190_466
; %bb.482:                              ;   in Loop: Header=BB190_467 Depth=1
	v_mov_b32_e32 v19, s19
	v_add_co_u32_e32 v18, vcc, s18, v16
	v_addc_co_u32_e32 v19, vcc, v17, v19, vcc
	v_mov_b32_e32 v17, v8
	s_and_b64 vcc, exec, s[8:9]
	v_mov_b32_e32 v16, v7
	s_cbranch_vccnz .LBB190_484
; %bb.483:                              ;   in Loop: Header=BB190_467 Depth=1
	flat_load_dwordx2 v[16:17], v[18:19]
.LBB190_484:                            ;   in Loop: Header=BB190_467 Depth=1
	v_mov_b32_e32 v21, v10
	s_and_b64 vcc, exec, s[8:9]
	v_mov_b32_e32 v20, v9
	s_cbranch_vccnz .LBB190_465
; %bb.485:                              ;   in Loop: Header=BB190_467 Depth=1
	flat_load_dwordx2 v[20:21], v[18:19] offset:8
	s_branch .LBB190_465
.LBB190_486:
	s_xor_b64 s[2:3], s[28:29], -1
	s_xor_b64 s[4:5], s[34:35], -1
	v_lshlrev_b32_e32 v1, 4, v1
	v_mov_b32_e32 v15, v11
	v_mov_b32_e32 v16, v12
	ds_write_b128 v1, v[13:16] offset:16384
	s_waitcnt lgkmcnt(0)
	s_barrier
	s_and_saveexec_b64 s[6:7], s[0:1]
	s_cbranch_execz .LBB190_488
; %bb.487:
	v_lshlrev_b32_e32 v15, 4, v0
	ds_read_b128 v[3:6], v15 offset:16896
	ds_read_b128 v[7:10], v15 offset:17408
	s_waitcnt lgkmcnt(1)
	v_add_f64 v[3:4], v[13:14], v[3:4]
	v_add_f64 v[5:6], v[11:12], v[5:6]
	s_waitcnt lgkmcnt(0)
	v_add_f64 v[11:12], v[3:4], v[7:8]
	v_add_f64 v[13:14], v[5:6], v[9:10]
	ds_read_b128 v[3:6], v15 offset:17920
	ds_read_b128 v[7:10], v15 offset:18432
	s_waitcnt lgkmcnt(1)
	v_add_f64 v[3:4], v[11:12], v[3:4]
	v_add_f64 v[5:6], v[13:14], v[5:6]
	s_waitcnt lgkmcnt(0)
	v_add_f64 v[11:12], v[3:4], v[7:8]
	v_add_f64 v[13:14], v[5:6], v[9:10]
	;; [unrolled: 8-line block ×7, first 2 shown]
	ds_read_b128 v[3:6], v15 offset:24064
	s_waitcnt lgkmcnt(0)
	v_add_f64 v[3:4], v[7:8], v[3:4]
	v_add_f64 v[5:6], v[9:10], v[5:6]
	v_xor_b32_e32 v4, 0x80000000, v4
	v_xor_b32_e32 v6, 0x80000000, v6
	v_cndmask_b32_e64 v13, v3, 0, s[14:15]
	v_cndmask_b32_e64 v14, v4, 0, s[14:15]
	;; [unrolled: 1-line block ×4, first 2 shown]
.LBB190_488:
	s_or_b64 exec, exec, s[6:7]
	s_andn2_b64 vcc, exec, s[4:5]
	s_cbranch_vccnz .LBB190_497
; %bb.489:
	v_mov_b32_e32 v3, 0x6000
	v_lshl_or_b32 v7, v2, 4, v3
	s_and_saveexec_b64 s[4:5], s[0:1]
; %bb.490:
	v_lshl_add_u32 v3, v0, 4, v7
	v_mov_b32_e32 v15, v11
	v_mov_b32_e32 v16, v12
	ds_write_b128 v3, v[13:16]
; %bb.491:
	s_or_b64 exec, exec, s[4:5]
	v_mov_b32_e32 v3, 0
	v_mov_b32_e32 v5, 0
	;; [unrolled: 1-line block ×4, first 2 shown]
	v_cmp_ge_u32_e32 vcc, v0, v2
	s_waitcnt lgkmcnt(0)
	s_barrier
	s_and_saveexec_b64 s[4:5], vcc
	s_cbranch_execz .LBB190_493
; %bb.492:
	ds_read_b128 v[3:6], v7
	ds_read_b128 v[15:18], v1
	s_waitcnt lgkmcnt(0)
	v_mul_f64 v[8:9], v[5:6], v[17:18]
	v_mul_f64 v[17:18], v[3:4], v[17:18]
	v_fma_f64 v[3:4], v[3:4], v[15:16], -v[8:9]
	v_fma_f64 v[5:6], v[5:6], v[15:16], v[17:18]
	v_add_f64 v[3:4], v[3:4], 0
	v_add_f64 v[5:6], v[5:6], 0
.LBB190_493:
	s_or_b64 exec, exec, s[4:5]
	v_add_u32_e32 v2, 16, v2
	v_add_u32_e32 v8, 0x4000, v1
	v_cmp_ge_u32_e32 vcc, v0, v2
	s_and_saveexec_b64 s[4:5], vcc
	s_cbranch_execz .LBB190_495
; %bb.494:
	ds_read_b128 v[15:18], v7 offset:256
	ds_read_b128 v[23:26], v1 offset:8192
	s_waitcnt lgkmcnt(0)
	v_mul_f64 v[1:2], v[17:18], v[25:26]
	v_mul_f64 v[9:10], v[15:16], v[25:26]
	v_fma_f64 v[1:2], v[15:16], v[23:24], -v[1:2]
	v_fma_f64 v[9:10], v[17:18], v[23:24], v[9:10]
	v_add_f64 v[3:4], v[3:4], v[1:2]
	v_add_f64 v[5:6], v[5:6], v[9:10]
.LBB190_495:
	s_or_b64 exec, exec, s[4:5]
	s_mov_b64 s[6:7], 0
	s_mov_b64 s[4:5], 0
	ds_write_b128 v8, v[3:6]
	s_waitcnt lgkmcnt(0)
	s_barrier
                                        ; implicit-def: $vgpr7_vgpr8
                                        ; implicit-def: $vgpr9_vgpr10
                                        ; implicit-def: $vgpr1_vgpr2
	s_and_saveexec_b64 s[8:9], s[0:1]
	s_cbranch_execz .LBB190_510
; %bb.496:
	v_lshlrev_b32_e32 v19, 4, v0
	ds_read_b128 v[7:10], v19 offset:16896
	ds_read_b128 v[15:18], v19 offset:17408
	s_mov_b64 s[4:5], exec
	s_waitcnt lgkmcnt(1)
	v_add_f64 v[1:2], v[3:4], v[7:8]
	v_add_f64 v[3:4], v[5:6], v[9:10]
	s_waitcnt lgkmcnt(0)
	v_add_f64 v[9:10], v[1:2], v[15:16]
	v_add_f64 v[15:16], v[3:4], v[17:18]
	ds_read_b128 v[1:4], v19 offset:17920
	ds_read_b128 v[5:8], v19 offset:18432
	s_waitcnt lgkmcnt(1)
	v_add_f64 v[1:2], v[9:10], v[1:2]
	v_add_f64 v[3:4], v[15:16], v[3:4]
	s_waitcnt lgkmcnt(0)
	v_add_f64 v[9:10], v[1:2], v[5:6]
	v_add_f64 v[15:16], v[3:4], v[7:8]
	ds_read_b128 v[1:4], v19 offset:18944
	ds_read_b128 v[5:8], v19 offset:19456
	;; [unrolled: 8-line block ×6, first 2 shown]
	s_waitcnt lgkmcnt(1)
	v_add_f64 v[1:2], v[9:10], v[1:2]
	v_add_f64 v[3:4], v[15:16], v[3:4]
	v_add_u32_e32 v15, s33, v22
	s_waitcnt lgkmcnt(0)
	v_add_f64 v[9:10], v[1:2], v[5:6]
	v_add_f64 v[7:8], v[3:4], v[7:8]
	ds_read_b128 v[3:6], v19 offset:24064
	v_mad_u64_u32 v[1:2], s[10:11], s20, v15, 0
	s_waitcnt lgkmcnt(0)
	v_add_f64 v[9:10], v[9:10], v[3:4]
	v_add_f64 v[7:8], v[7:8], v[5:6]
	v_mad_u64_u32 v[2:3], s[10:11], s21, v15, v[2:3]
	s_or_b64 exec, exec, s[8:9]
	s_and_b64 vcc, exec, s[6:7]
	s_cbranch_vccnz .LBB190_498
	s_branch .LBB190_511
.LBB190_497:
	s_mov_b64 s[4:5], 0
                                        ; implicit-def: $vgpr7_vgpr8
                                        ; implicit-def: $vgpr9_vgpr10
                                        ; implicit-def: $vgpr1_vgpr2
	s_cbranch_execz .LBB190_511
.LBB190_498:
	v_mul_u32_u24_e32 v1, 0x210, v0
	v_lshlrev_b32_e32 v2, 9, v0
	v_sub_u32_e32 v2, v1, v2
	s_mov_b32 s8, 0
	v_mov_b32_e32 v3, 0
	v_mov_b32_e32 v4, v0
	s_branch .LBB190_500
.LBB190_499:                            ;   in Loop: Header=BB190_500 Depth=1
	s_or_b64 exec, exec, s[6:7]
	s_add_i32 s8, s8, 2
	v_add_u32_e32 v2, 0x400, v2
	s_cmp_lg_u32 s8, 32
	v_add_u32_e32 v4, -2, v4
	s_barrier
	s_cbranch_scc0 .LBB190_508
.LBB190_500:                            ; =>This Inner Loop Header: Depth=1
	v_cmp_eq_u32_e32 vcc, 0, v4
	s_and_b64 s[10:11], s[0:1], vcc
	s_and_saveexec_b64 s[6:7], s[10:11]
	s_cbranch_execz .LBB190_502
; %bb.501:                              ;   in Loop: Header=BB190_500 Depth=1
	ds_read_b128 v[5:8], v1
	s_waitcnt lgkmcnt(0)
	v_mul_f64 v[9:10], v[11:12], v[7:8]
	v_mul_f64 v[7:8], v[13:14], v[7:8]
	v_fma_f64 v[9:10], v[13:14], v[5:6], -v[9:10]
	v_fma_f64 v[11:12], v[11:12], v[5:6], v[7:8]
	v_mov_b32_e32 v14, v10
	v_mov_b32_e32 v13, v9
	ds_write_b128 v3, v[9:12] offset:25088
.LBB190_502:                            ;   in Loop: Header=BB190_500 Depth=1
	s_or_b64 exec, exec, s[6:7]
	v_cmp_lt_u32_e32 vcc, s8, v0
	s_and_b64 s[10:11], s[0:1], vcc
	s_waitcnt lgkmcnt(0)
	s_barrier
	s_and_saveexec_b64 s[6:7], s[10:11]
	s_cbranch_execz .LBB190_504
; %bb.503:                              ;   in Loop: Header=BB190_500 Depth=1
	ds_read_b128 v[5:8], v3 offset:25088
	ds_read_b128 v[15:18], v2
	s_waitcnt lgkmcnt(0)
	v_mul_f64 v[9:10], v[7:8], v[17:18]
	v_mul_f64 v[17:18], v[5:6], v[17:18]
	v_fma_f64 v[5:6], v[5:6], v[15:16], -v[9:10]
	v_fma_f64 v[7:8], v[7:8], v[15:16], v[17:18]
	v_add_f64 v[13:14], v[13:14], v[5:6]
	v_add_f64 v[11:12], v[11:12], v[7:8]
.LBB190_504:                            ;   in Loop: Header=BB190_500 Depth=1
	s_or_b64 exec, exec, s[6:7]
	s_or_b32 s9, s8, 1
	v_cmp_eq_u32_e32 vcc, s9, v0
	s_and_b64 s[10:11], s[0:1], vcc
	s_barrier
	s_and_saveexec_b64 s[6:7], s[10:11]
	s_cbranch_execz .LBB190_506
; %bb.505:                              ;   in Loop: Header=BB190_500 Depth=1
	ds_read_b128 v[5:8], v1
	s_waitcnt lgkmcnt(0)
	v_mul_f64 v[9:10], v[11:12], v[7:8]
	v_mul_f64 v[7:8], v[13:14], v[7:8]
	v_fma_f64 v[9:10], v[13:14], v[5:6], -v[9:10]
	v_fma_f64 v[11:12], v[11:12], v[5:6], v[7:8]
	v_mov_b32_e32 v14, v10
	v_mov_b32_e32 v13, v9
	ds_write_b128 v3, v[9:12] offset:25088
.LBB190_506:                            ;   in Loop: Header=BB190_500 Depth=1
	s_or_b64 exec, exec, s[6:7]
	v_cmp_lt_u32_e32 vcc, s9, v0
	s_and_b64 s[10:11], s[0:1], vcc
	s_waitcnt lgkmcnt(0)
	s_barrier
	s_and_saveexec_b64 s[6:7], s[10:11]
	s_cbranch_execz .LBB190_499
; %bb.507:                              ;   in Loop: Header=BB190_500 Depth=1
	ds_read_b128 v[5:8], v3 offset:25088
	ds_read_b128 v[15:18], v2 offset:512
	s_waitcnt lgkmcnt(0)
	v_mul_f64 v[9:10], v[7:8], v[17:18]
	v_mul_f64 v[17:18], v[5:6], v[17:18]
	v_fma_f64 v[5:6], v[5:6], v[15:16], -v[9:10]
	v_fma_f64 v[7:8], v[7:8], v[15:16], v[17:18]
	v_add_f64 v[13:14], v[13:14], v[5:6]
	v_add_f64 v[11:12], v[11:12], v[7:8]
	s_branch .LBB190_499
.LBB190_508:
	s_and_b64 vcc, exec, s[2:3]
	s_cbranch_vccz .LBB190_512
; %bb.509:
	s_and_b64 s[2:3], s[0:1], exec
	s_cbranch_execz .LBB190_513
	s_branch .LBB190_514
.LBB190_510:
	s_or_b64 exec, exec, s[8:9]
	s_and_b64 vcc, exec, s[6:7]
	s_cbranch_vccnz .LBB190_498
.LBB190_511:
	v_mov_b32_e32 v12, v8
	v_mov_b32_e32 v14, v10
	;; [unrolled: 1-line block ×4, first 2 shown]
	s_and_saveexec_b64 s[0:1], s[4:5]
	s_cbranch_execnz .LBB190_517
	s_branch .LBB190_518
.LBB190_512:
	s_mov_b64 s[2:3], 0
.LBB190_513:
	v_cmp_gt_i32_e32 vcc, s85, v0
	s_and_b64 s[0:1], s[0:1], vcc
	s_andn2_b64 s[2:3], s[2:3], exec
	s_and_b64 s[0:1], s[0:1], exec
	s_or_b64 s[2:3], s[2:3], s[0:1]
.LBB190_514:
                                        ; implicit-def: $vgpr1_vgpr2
	s_and_saveexec_b64 s[0:1], s[2:3]
	s_cbranch_execz .LBB190_516
; %bb.515:
	v_mov_b32_e32 v0, s84
	v_add_co_u32_e32 v1, vcc, s33, v22
	v_addc_co_u32_e32 v0, vcc, 0, v0, vcc
	v_mul_lo_u32 v0, v0, s20
	v_mul_lo_u32 v3, v1, s21
	v_mad_u64_u32 v[1:2], s[2:3], v1, s20, 0
	s_or_b64 s[4:5], s[4:5], exec
	v_add3_u32 v2, v2, v3, v0
.LBB190_516:
	s_or_b64 exec, exec, s[0:1]
	s_and_saveexec_b64 s[0:1], s[4:5]
	s_cbranch_execz .LBB190_518
.LBB190_517:
	v_lshlrev_b64 v[0:1], 4, v[1:2]
	v_mov_b32_e32 v2, s31
	v_add_co_u32_e32 v0, vcc, s30, v0
	v_addc_co_u32_e32 v1, vcc, v2, v1, vcc
	v_mov_b32_e32 v15, v11
	v_mov_b32_e32 v16, v12
	flat_store_dwordx4 v[0:1], v[13:16]
.LBB190_518:
	s_or_b64 exec, exec, s[0:1]
	v_cmp_eq_u32_e32 vcc, 0, v22
	s_waitcnt vmcnt(0) lgkmcnt(0)
	buffer_wbinvl1_vol
	s_barrier
	s_and_saveexec_b64 s[0:1], vcc
	s_cbranch_execz .LBB190_520
; %bb.519:
	s_lshl_b64 s[2:3], s[24:25], 2
	s_add_u32 s2, s12, s2
	s_addc_u32 s3, s13, s3
	v_mov_b32_e32 v0, 0
	global_load_dword v1, v0, s[2:3]
	s_waitcnt vmcnt(0)
	v_add_u32_e32 v1, 1, v1
	global_store_dword v0, v1, s[2:3]
.LBB190_520:
	s_or_b64 exec, exec, s[0:1]
	s_waitcnt vmcnt(0)
	buffer_wbinvl1_vol
	s_endpgm
.LBB190_521:
	v_lshlrev_b32_e32 v23, 4, v22
	v_sub_u32_e32 v23, v20, v23
	v_lshl_add_u32 v27, v21, 4, v23
	ds_read_b128 v[23:26], v20 offset:16
	ds_read_b128 v[27:30], v27 offset:576
	s_waitcnt lgkmcnt(0)
	v_mul_f64 v[31:32], v[25:26], v[29:30]
	v_mul_f64 v[29:30], v[23:24], v[29:30]
	v_fma_f64 v[23:24], v[23:24], v[27:28], -v[31:32]
	v_fma_f64 v[25:26], v[25:26], v[27:28], v[29:30]
	v_add_f64 v[11:12], v[11:12], v[23:24]
	v_add_f64 v[13:14], v[13:14], v[25:26]
	s_or_b64 exec, exec, s[14:15]
	v_cmp_gt_u32_e64 s[10:11], 8, v1
	s_and_saveexec_b64 s[14:15], s[10:11]
	s_cbranch_execz .LBB190_87
.LBB190_522:
	ds_read_b128 v[23:26], v20 offset:32
	ds_read_b128 v[27:30], v18 offset:1088
	s_waitcnt lgkmcnt(0)
	v_mul_f64 v[31:32], v[25:26], v[29:30]
	v_mul_f64 v[29:30], v[23:24], v[29:30]
	v_fma_f64 v[23:24], v[23:24], v[27:28], -v[31:32]
	v_fma_f64 v[25:26], v[25:26], v[27:28], v[29:30]
	v_add_f64 v[11:12], v[11:12], v[23:24]
	v_add_f64 v[13:14], v[13:14], v[25:26]
	s_or_b64 exec, exec, s[14:15]
	v_cmp_gt_u32_e64 s[10:11], 4, v1
	s_and_saveexec_b64 s[14:15], s[10:11]
	s_cbranch_execnz .LBB190_88
	s_branch .LBB190_89
.LBB190_523:
	v_lshlrev_b32_e32 v28, 4, v27
	v_sub_u32_e32 v28, v25, v28
	v_lshl_add_u32 v32, v26, 4, v28
	ds_read_b128 v[28:31], v25 offset:16
	ds_read_b128 v[32:35], v32 offset:640
	s_waitcnt lgkmcnt(0)
	v_mul_f64 v[36:37], v[30:31], v[34:35]
	v_mul_f64 v[34:35], v[28:29], v[34:35]
	v_fma_f64 v[28:29], v[28:29], v[32:33], -v[36:37]
	v_fma_f64 v[30:31], v[30:31], v[32:33], v[34:35]
	v_add_f64 v[11:12], v[11:12], v[28:29]
	v_add_f64 v[13:14], v[13:14], v[30:31]
	s_or_b64 exec, exec, s[52:53]
	v_cmp_gt_u32_e64 s[10:11], 48, v1
	s_and_saveexec_b64 s[52:53], s[10:11]
	s_cbranch_execz .LBB190_125
.LBB190_524:
	v_lshlrev_b32_e32 v28, 4, v27
	v_sub_u32_e32 v28, v25, v28
	v_lshl_add_u32 v32, v26, 4, v28
	ds_read_b128 v[28:31], v25 offset:32
	ds_read_b128 v[32:35], v32 offset:1152
	s_waitcnt lgkmcnt(0)
	v_mul_f64 v[36:37], v[30:31], v[34:35]
	v_mul_f64 v[34:35], v[28:29], v[34:35]
	v_fma_f64 v[28:29], v[28:29], v[32:33], -v[36:37]
	v_fma_f64 v[30:31], v[30:31], v[32:33], v[34:35]
	v_add_f64 v[11:12], v[11:12], v[28:29]
	v_add_f64 v[13:14], v[13:14], v[30:31]
	s_or_b64 exec, exec, s[52:53]
	v_cmp_gt_u32_e64 s[10:11], 40, v1
	s_and_saveexec_b64 s[52:53], s[10:11]
	s_cbranch_execz .LBB190_126
.LBB190_525:
	v_lshlrev_b32_e32 v28, 4, v27
	v_sub_u32_e32 v28, v25, v28
	v_lshl_add_u32 v32, v26, 4, v28
	ds_read_b128 v[28:31], v25 offset:48
	ds_read_b128 v[32:35], v32 offset:1664
	s_waitcnt lgkmcnt(0)
	v_mul_f64 v[36:37], v[30:31], v[34:35]
	v_mul_f64 v[34:35], v[28:29], v[34:35]
	v_fma_f64 v[28:29], v[28:29], v[32:33], -v[36:37]
	v_fma_f64 v[30:31], v[30:31], v[32:33], v[34:35]
	v_add_f64 v[11:12], v[11:12], v[28:29]
	v_add_f64 v[13:14], v[13:14], v[30:31]
	s_or_b64 exec, exec, s[52:53]
	v_cmp_gt_u32_e64 s[10:11], 32, v1
	s_and_saveexec_b64 s[52:53], s[10:11]
	s_cbranch_execz .LBB190_127
.LBB190_526:
	ds_read_b128 v[28:31], v25 offset:64
	ds_read_b128 v[32:35], v23 offset:2176
	s_waitcnt lgkmcnt(0)
	v_mul_f64 v[36:37], v[30:31], v[34:35]
	v_mul_f64 v[34:35], v[28:29], v[34:35]
	v_fma_f64 v[28:29], v[28:29], v[32:33], -v[36:37]
	v_fma_f64 v[30:31], v[30:31], v[32:33], v[34:35]
	v_add_f64 v[11:12], v[11:12], v[28:29]
	v_add_f64 v[13:14], v[13:14], v[30:31]
	s_or_b64 exec, exec, s[52:53]
	v_cmp_gt_u32_e64 s[10:11], 24, v1
	s_and_saveexec_b64 s[52:53], s[10:11]
	s_cbranch_execz .LBB190_128
.LBB190_527:
	v_lshlrev_b32_e32 v28, 4, v27
	v_sub_u32_e32 v28, v25, v28
	v_lshl_add_u32 v32, v26, 4, v28
	ds_read_b128 v[28:31], v25 offset:80
	ds_read_b128 v[32:35], v32 offset:2688
	s_waitcnt lgkmcnt(0)
	v_mul_f64 v[36:37], v[30:31], v[34:35]
	v_mul_f64 v[34:35], v[28:29], v[34:35]
	v_fma_f64 v[28:29], v[28:29], v[32:33], -v[36:37]
	v_fma_f64 v[30:31], v[30:31], v[32:33], v[34:35]
	v_add_f64 v[11:12], v[11:12], v[28:29]
	v_add_f64 v[13:14], v[13:14], v[30:31]
	s_or_b64 exec, exec, s[52:53]
	v_cmp_gt_u32_e64 s[10:11], 16, v1
	s_and_saveexec_b64 s[52:53], s[10:11]
	s_cbranch_execz .LBB190_129
.LBB190_528:
	ds_read_b128 v[28:31], v25 offset:96
	ds_read_b128 v[32:35], v23 offset:3200
	s_waitcnt lgkmcnt(0)
	v_mul_f64 v[36:37], v[30:31], v[34:35]
	v_mul_f64 v[34:35], v[28:29], v[34:35]
	v_fma_f64 v[28:29], v[28:29], v[32:33], -v[36:37]
	v_fma_f64 v[30:31], v[30:31], v[32:33], v[34:35]
	v_add_f64 v[11:12], v[11:12], v[28:29]
	v_add_f64 v[13:14], v[13:14], v[30:31]
	s_or_b64 exec, exec, s[52:53]
	v_cmp_gt_u32_e64 s[10:11], 8, v1
	s_and_saveexec_b64 s[52:53], s[10:11]
	s_cbranch_execnz .LBB190_130
	s_branch .LBB190_131
.LBB190_529:
	v_lshlrev_b32_e32 v29, 4, v22
	v_sub_u32_e32 v29, v28, v29
	v_lshl_add_u32 v33, v21, 4, v29
	ds_read_b128 v[29:32], v28 offset:4240
	ds_read_b128 v[33:36], v33 offset:4800
	s_waitcnt lgkmcnt(0)
	v_mul_f64 v[37:38], v[31:32], v[35:36]
	v_mul_f64 v[35:36], v[29:30], v[35:36]
	v_fma_f64 v[29:30], v[29:30], v[33:34], -v[37:38]
	v_fma_f64 v[31:32], v[31:32], v[33:34], v[35:36]
	v_add_f64 v[11:12], v[11:12], v[29:30]
	v_add_f64 v[13:14], v[13:14], v[31:32]
	s_or_b64 exec, exec, s[14:15]
	v_cmp_gt_u32_e64 s[8:9], 8, v1
	s_and_saveexec_b64 s[14:15], s[8:9]
	s_cbranch_execz .LBB190_183
.LBB190_530:
	ds_read_b128 v[28:31], v28 offset:4256
	ds_read_b128 v[32:35], v18 offset:5312
	s_waitcnt lgkmcnt(0)
	v_mul_f64 v[36:37], v[30:31], v[34:35]
	v_mul_f64 v[34:35], v[28:29], v[34:35]
	v_fma_f64 v[28:29], v[28:29], v[32:33], -v[36:37]
	v_fma_f64 v[30:31], v[30:31], v[32:33], v[34:35]
	v_add_f64 v[11:12], v[11:12], v[28:29]
	v_add_f64 v[13:14], v[13:14], v[30:31]
	s_or_b64 exec, exec, s[14:15]
	v_cmp_gt_u32_e64 s[8:9], 4, v1
	s_and_saveexec_b64 s[14:15], s[8:9]
	s_cbranch_execnz .LBB190_184
	s_branch .LBB190_185
.LBB190_531:
	ds_read_b128 v[33:36], v32 offset:176
	ds_read_b128 v[37:40], v28 offset:5888
	s_waitcnt lgkmcnt(0)
	v_mul_f64 v[41:42], v[35:36], v[39:40]
	v_mul_f64 v[39:40], v[33:34], v[39:40]
	v_fma_f64 v[33:34], v[33:34], v[37:38], -v[41:42]
	v_fma_f64 v[35:36], v[35:36], v[37:38], v[39:40]
	v_add_f64 v[11:12], v[11:12], v[33:34]
	v_add_f64 v[13:14], v[13:14], v[35:36]
	s_or_b64 exec, exec, s[82:83]
	v_cmp_gt_u32_e64 s[14:15], 64, v1
	s_and_saveexec_b64 s[82:83], s[14:15]
	s_cbranch_execz .LBB190_241
.LBB190_532:
	ds_read_b128 v[33:36], v32 offset:192
	ds_read_b128 v[37:40], v28 offset:6400
	s_waitcnt lgkmcnt(0)
	v_mul_f64 v[41:42], v[35:36], v[39:40]
	v_mul_f64 v[39:40], v[33:34], v[39:40]
	v_fma_f64 v[33:34], v[33:34], v[37:38], -v[41:42]
	v_fma_f64 v[35:36], v[35:36], v[37:38], v[39:40]
	v_add_f64 v[11:12], v[11:12], v[33:34]
	v_add_f64 v[13:14], v[13:14], v[35:36]
	s_or_b64 exec, exec, s[82:83]
	v_cmp_gt_u32_e64 s[14:15], 48, v1
	s_and_saveexec_b64 s[82:83], s[14:15]
	s_cbranch_execz .LBB190_242
.LBB190_533:
	ds_read_b128 v[33:36], v32 offset:208
	ds_read_b128 v[37:40], v28 offset:6912
	s_waitcnt lgkmcnt(0)
	v_mul_f64 v[41:42], v[35:36], v[39:40]
	v_mul_f64 v[39:40], v[33:34], v[39:40]
	v_fma_f64 v[33:34], v[33:34], v[37:38], -v[41:42]
	v_fma_f64 v[35:36], v[35:36], v[37:38], v[39:40]
	v_add_f64 v[11:12], v[11:12], v[33:34]
	v_add_f64 v[13:14], v[13:14], v[35:36]
	s_or_b64 exec, exec, s[82:83]
	v_cmp_gt_u32_e64 s[14:15], 32, v1
	s_and_saveexec_b64 s[82:83], s[14:15]
	s_cbranch_execz .LBB190_243
.LBB190_534:
	ds_read_b128 v[32:35], v32 offset:224
	ds_read_b128 v[36:39], v28 offset:7424
	s_waitcnt lgkmcnt(0)
	v_mul_f64 v[40:41], v[34:35], v[38:39]
	v_mul_f64 v[38:39], v[32:33], v[38:39]
	v_fma_f64 v[32:33], v[32:33], v[36:37], -v[40:41]
	v_fma_f64 v[34:35], v[34:35], v[36:37], v[38:39]
	v_add_f64 v[11:12], v[11:12], v[32:33]
	v_add_f64 v[13:14], v[13:14], v[34:35]
	s_or_b64 exec, exec, s[82:83]
	v_cmp_gt_u32_e64 s[14:15], 16, v1
	s_and_saveexec_b64 s[82:83], s[14:15]
	s_cbranch_execnz .LBB190_244
	s_branch .LBB190_245
.LBB190_535:
	v_lshlrev_b32_e32 v29, 4, v22
	v_sub_u32_e32 v29, v28, v29
	v_lshl_add_u32 v33, v21, 4, v29
	ds_read_b128 v[29:32], v28 offset:8464
	ds_read_b128 v[33:36], v33 offset:9024
	s_waitcnt lgkmcnt(0)
	v_mul_f64 v[37:38], v[31:32], v[35:36]
	v_mul_f64 v[35:36], v[29:30], v[35:36]
	v_fma_f64 v[29:30], v[29:30], v[33:34], -v[37:38]
	v_fma_f64 v[31:32], v[31:32], v[33:34], v[35:36]
	v_add_f64 v[11:12], v[11:12], v[29:30]
	v_add_f64 v[13:14], v[13:14], v[31:32]
	s_or_b64 exec, exec, s[14:15]
	v_cmp_gt_u32_e64 s[8:9], 8, v1
	s_and_saveexec_b64 s[14:15], s[8:9]
	s_cbranch_execz .LBB190_329
.LBB190_536:
	ds_read_b128 v[28:31], v28 offset:8480
	ds_read_b128 v[32:35], v18 offset:9536
	s_waitcnt lgkmcnt(0)
	v_mul_f64 v[36:37], v[30:31], v[34:35]
	v_mul_f64 v[34:35], v[28:29], v[34:35]
	v_fma_f64 v[28:29], v[28:29], v[32:33], -v[36:37]
	v_fma_f64 v[30:31], v[30:31], v[32:33], v[34:35]
	v_add_f64 v[11:12], v[11:12], v[28:29]
	v_add_f64 v[13:14], v[13:14], v[30:31]
	s_or_b64 exec, exec, s[14:15]
	v_cmp_gt_u32_e64 s[8:9], 4, v1
	s_and_saveexec_b64 s[14:15], s[8:9]
	s_cbranch_execnz .LBB190_330
	s_branch .LBB190_331
.LBB190_537:
	v_lshlrev_b32_e32 v29, 4, v27
	v_sub_u32_e32 v29, v28, v29
	v_lshl_add_u32 v33, v26, 4, v29
	ds_read_b128 v[29:32], v28 offset:8464
	ds_read_b128 v[33:36], v33 offset:9088
	s_waitcnt lgkmcnt(0)
	v_mul_f64 v[37:38], v[31:32], v[35:36]
	v_mul_f64 v[35:36], v[29:30], v[35:36]
	v_fma_f64 v[29:30], v[29:30], v[33:34], -v[37:38]
	v_fma_f64 v[31:32], v[31:32], v[33:34], v[35:36]
	v_add_f64 v[11:12], v[11:12], v[29:30]
	v_add_f64 v[13:14], v[13:14], v[31:32]
	s_or_b64 exec, exec, s[14:15]
	v_cmp_gt_u32_e64 s[8:9], 48, v1
	s_and_saveexec_b64 s[14:15], s[8:9]
	s_cbranch_execz .LBB190_367
.LBB190_538:
	v_lshlrev_b32_e32 v29, 4, v27
	v_sub_u32_e32 v29, v28, v29
	v_lshl_add_u32 v33, v26, 4, v29
	ds_read_b128 v[29:32], v28 offset:8480
	ds_read_b128 v[33:36], v33 offset:9600
	s_waitcnt lgkmcnt(0)
	v_mul_f64 v[37:38], v[31:32], v[35:36]
	v_mul_f64 v[35:36], v[29:30], v[35:36]
	v_fma_f64 v[29:30], v[29:30], v[33:34], -v[37:38]
	v_fma_f64 v[31:32], v[31:32], v[33:34], v[35:36]
	v_add_f64 v[11:12], v[11:12], v[29:30]
	v_add_f64 v[13:14], v[13:14], v[31:32]
	s_or_b64 exec, exec, s[14:15]
	v_cmp_gt_u32_e64 s[8:9], 40, v1
	s_and_saveexec_b64 s[14:15], s[8:9]
	s_cbranch_execz .LBB190_368
.LBB190_539:
	v_lshlrev_b32_e32 v29, 4, v27
	v_sub_u32_e32 v29, v28, v29
	v_lshl_add_u32 v33, v26, 4, v29
	ds_read_b128 v[29:32], v28 offset:8496
	ds_read_b128 v[33:36], v33 offset:10112
	s_waitcnt lgkmcnt(0)
	v_mul_f64 v[37:38], v[31:32], v[35:36]
	v_mul_f64 v[35:36], v[29:30], v[35:36]
	v_fma_f64 v[29:30], v[29:30], v[33:34], -v[37:38]
	v_fma_f64 v[31:32], v[31:32], v[33:34], v[35:36]
	v_add_f64 v[11:12], v[11:12], v[29:30]
	v_add_f64 v[13:14], v[13:14], v[31:32]
	s_or_b64 exec, exec, s[14:15]
	v_cmp_gt_u32_e64 s[8:9], 32, v1
	s_and_saveexec_b64 s[14:15], s[8:9]
	s_cbranch_execz .LBB190_369
.LBB190_540:
	ds_read_b128 v[29:32], v28 offset:8512
	ds_read_b128 v[33:36], v23 offset:10624
	s_waitcnt lgkmcnt(0)
	v_mul_f64 v[37:38], v[31:32], v[35:36]
	v_mul_f64 v[35:36], v[29:30], v[35:36]
	v_fma_f64 v[29:30], v[29:30], v[33:34], -v[37:38]
	v_fma_f64 v[31:32], v[31:32], v[33:34], v[35:36]
	v_add_f64 v[11:12], v[11:12], v[29:30]
	v_add_f64 v[13:14], v[13:14], v[31:32]
	s_or_b64 exec, exec, s[14:15]
	v_cmp_gt_u32_e64 s[8:9], 24, v1
	s_and_saveexec_b64 s[14:15], s[8:9]
	s_cbranch_execz .LBB190_370
.LBB190_541:
	v_lshlrev_b32_e32 v27, 4, v27
	v_sub_u32_e32 v27, v28, v27
	v_lshl_add_u32 v26, v26, 4, v27
	ds_read_b128 v[29:32], v28 offset:8528
	ds_read_b128 v[33:36], v26 offset:11136
	s_waitcnt lgkmcnt(0)
	v_mul_f64 v[26:27], v[31:32], v[35:36]
	v_mul_f64 v[35:36], v[29:30], v[35:36]
	v_fma_f64 v[26:27], v[29:30], v[33:34], -v[26:27]
	v_fma_f64 v[29:30], v[31:32], v[33:34], v[35:36]
	v_add_f64 v[11:12], v[11:12], v[26:27]
	v_add_f64 v[13:14], v[13:14], v[29:30]
	s_or_b64 exec, exec, s[14:15]
	v_cmp_gt_u32_e64 s[8:9], 16, v1
	s_and_saveexec_b64 s[14:15], s[8:9]
	s_cbranch_execz .LBB190_371
.LBB190_542:
	ds_read_b128 v[26:29], v28 offset:8544
	ds_read_b128 v[30:33], v23 offset:11648
	s_waitcnt lgkmcnt(0)
	v_mul_f64 v[34:35], v[28:29], v[32:33]
	v_mul_f64 v[32:33], v[26:27], v[32:33]
	v_fma_f64 v[26:27], v[26:27], v[30:31], -v[34:35]
	v_fma_f64 v[28:29], v[28:29], v[30:31], v[32:33]
	v_add_f64 v[11:12], v[11:12], v[26:27]
	v_add_f64 v[13:14], v[13:14], v[28:29]
	s_or_b64 exec, exec, s[14:15]
	v_cmp_gt_u32_e64 s[8:9], 8, v1
	s_and_saveexec_b64 s[14:15], s[8:9]
	s_cbranch_execnz .LBB190_372
	s_branch .LBB190_373
.LBB190_543:
	v_lshlrev_b32_e32 v22, 4, v22
	v_sub_u32_e32 v22, v23, v22
	v_lshl_add_u32 v21, v21, 4, v22
	ds_read_b128 v[24:27], v23 offset:12688
	ds_read_b128 v[28:31], v21 offset:13248
	s_waitcnt lgkmcnt(0)
	v_mul_f64 v[21:22], v[26:27], v[30:31]
	v_mul_f64 v[30:31], v[24:25], v[30:31]
	v_fma_f64 v[21:22], v[24:25], v[28:29], -v[21:22]
	v_fma_f64 v[24:25], v[26:27], v[28:29], v[30:31]
	v_add_f64 v[11:12], v[11:12], v[21:22]
	v_add_f64 v[13:14], v[13:14], v[24:25]
	s_or_b64 exec, exec, s[12:13]
	v_cmp_gt_u32_e64 s[8:9], 8, v1
	s_and_saveexec_b64 s[12:13], s[8:9]
	s_cbranch_execz .LBB190_425
.LBB190_544:
	ds_read_b128 v[21:24], v23 offset:12704
	ds_read_b128 v[25:28], v18 offset:13760
	s_waitcnt lgkmcnt(0)
	v_mul_f64 v[29:30], v[23:24], v[27:28]
	v_mul_f64 v[27:28], v[21:22], v[27:28]
	v_fma_f64 v[21:22], v[21:22], v[25:26], -v[29:30]
	v_fma_f64 v[23:24], v[23:24], v[25:26], v[27:28]
	v_add_f64 v[11:12], v[11:12], v[21:22]
	v_add_f64 v[13:14], v[13:14], v[23:24]
	s_or_b64 exec, exec, s[12:13]
	v_cmp_gt_u32_e64 s[8:9], 4, v1
	s_and_saveexec_b64 s[12:13], s[8:9]
	s_cbranch_execnz .LBB190_426
	s_branch .LBB190_427
	.section	.rodata,"a",@progbits
	.p2align	6, 0x0
	.amdhsa_kernel _ZL19rocblas_trsv_deviceILi32ELi16ELb1ELb0ELb0ELb0E19rocblas_complex_numIdES1_PKPKS1_PKPS1_EviT7_lllT6_T8_lllPii
		.amdhsa_group_segment_fixed_size 25104
		.amdhsa_private_segment_fixed_size 0
		.amdhsa_kernarg_size 360
		.amdhsa_user_sgpr_count 6
		.amdhsa_user_sgpr_private_segment_buffer 1
		.amdhsa_user_sgpr_dispatch_ptr 0
		.amdhsa_user_sgpr_queue_ptr 0
		.amdhsa_user_sgpr_kernarg_segment_ptr 1
		.amdhsa_user_sgpr_dispatch_id 0
		.amdhsa_user_sgpr_flat_scratch_init 0
		.amdhsa_user_sgpr_private_segment_size 0
		.amdhsa_uses_dynamic_stack 0
		.amdhsa_system_sgpr_private_segment_wavefront_offset 0
		.amdhsa_system_sgpr_workgroup_id_x 1
		.amdhsa_system_sgpr_workgroup_id_y 0
		.amdhsa_system_sgpr_workgroup_id_z 1
		.amdhsa_system_sgpr_workgroup_info 0
		.amdhsa_system_vgpr_workitem_id 1
		.amdhsa_next_free_vgpr 49
		.amdhsa_next_free_sgpr 98
		.amdhsa_reserve_vcc 1
		.amdhsa_reserve_flat_scratch 0
		.amdhsa_float_round_mode_32 0
		.amdhsa_float_round_mode_16_64 0
		.amdhsa_float_denorm_mode_32 3
		.amdhsa_float_denorm_mode_16_64 3
		.amdhsa_dx10_clamp 1
		.amdhsa_ieee_mode 1
		.amdhsa_fp16_overflow 0
		.amdhsa_exception_fp_ieee_invalid_op 0
		.amdhsa_exception_fp_denorm_src 0
		.amdhsa_exception_fp_ieee_div_zero 0
		.amdhsa_exception_fp_ieee_overflow 0
		.amdhsa_exception_fp_ieee_underflow 0
		.amdhsa_exception_fp_ieee_inexact 0
		.amdhsa_exception_int_div_zero 0
	.end_amdhsa_kernel
	.section	.text._ZL19rocblas_trsv_deviceILi32ELi16ELb1ELb0ELb0ELb0E19rocblas_complex_numIdES1_PKPKS1_PKPS1_EviT7_lllT6_T8_lllPii,"axG",@progbits,_ZL19rocblas_trsv_deviceILi32ELi16ELb1ELb0ELb0ELb0E19rocblas_complex_numIdES1_PKPKS1_PKPS1_EviT7_lllT6_T8_lllPii,comdat
.Lfunc_end190:
	.size	_ZL19rocblas_trsv_deviceILi32ELi16ELb1ELb0ELb0ELb0E19rocblas_complex_numIdES1_PKPKS1_PKPS1_EviT7_lllT6_T8_lllPii, .Lfunc_end190-_ZL19rocblas_trsv_deviceILi32ELi16ELb1ELb0ELb0ELb0E19rocblas_complex_numIdES1_PKPKS1_PKPS1_EviT7_lllT6_T8_lllPii
                                        ; -- End function
	.set _ZL19rocblas_trsv_deviceILi32ELi16ELb1ELb0ELb0ELb0E19rocblas_complex_numIdES1_PKPKS1_PKPS1_EviT7_lllT6_T8_lllPii.num_vgpr, 43
	.set _ZL19rocblas_trsv_deviceILi32ELi16ELb1ELb0ELb0ELb0E19rocblas_complex_numIdES1_PKPKS1_PKPS1_EviT7_lllT6_T8_lllPii.num_agpr, 0
	.set _ZL19rocblas_trsv_deviceILi32ELi16ELb1ELb0ELb0ELb0E19rocblas_complex_numIdES1_PKPKS1_PKPS1_EviT7_lllT6_T8_lllPii.numbered_sgpr, 89
	.set _ZL19rocblas_trsv_deviceILi32ELi16ELb1ELb0ELb0ELb0E19rocblas_complex_numIdES1_PKPKS1_PKPS1_EviT7_lllT6_T8_lllPii.num_named_barrier, 0
	.set _ZL19rocblas_trsv_deviceILi32ELi16ELb1ELb0ELb0ELb0E19rocblas_complex_numIdES1_PKPKS1_PKPS1_EviT7_lllT6_T8_lllPii.private_seg_size, 0
	.set _ZL19rocblas_trsv_deviceILi32ELi16ELb1ELb0ELb0ELb0E19rocblas_complex_numIdES1_PKPKS1_PKPS1_EviT7_lllT6_T8_lllPii.uses_vcc, 1
	.set _ZL19rocblas_trsv_deviceILi32ELi16ELb1ELb0ELb0ELb0E19rocblas_complex_numIdES1_PKPKS1_PKPS1_EviT7_lllT6_T8_lllPii.uses_flat_scratch, 0
	.set _ZL19rocblas_trsv_deviceILi32ELi16ELb1ELb0ELb0ELb0E19rocblas_complex_numIdES1_PKPKS1_PKPS1_EviT7_lllT6_T8_lllPii.has_dyn_sized_stack, 0
	.set _ZL19rocblas_trsv_deviceILi32ELi16ELb1ELb0ELb0ELb0E19rocblas_complex_numIdES1_PKPKS1_PKPS1_EviT7_lllT6_T8_lllPii.has_recursion, 0
	.set _ZL19rocblas_trsv_deviceILi32ELi16ELb1ELb0ELb0ELb0E19rocblas_complex_numIdES1_PKPKS1_PKPS1_EviT7_lllT6_T8_lllPii.has_indirect_call, 0
	.section	.AMDGPU.csdata,"",@progbits
; Kernel info:
; codeLenInByte = 25664
; TotalNumSgprs: 93
; NumVgprs: 43
; ScratchSize: 0
; MemoryBound: 1
; FloatMode: 240
; IeeeMode: 1
; LDSByteSize: 25104 bytes/workgroup (compile time only)
; SGPRBlocks: 12
; VGPRBlocks: 12
; NumSGPRsForWavesPerEU: 102
; NumVGPRsForWavesPerEU: 49
; Occupancy: 4
; WaveLimiterHint : 1
; COMPUTE_PGM_RSRC2:SCRATCH_EN: 0
; COMPUTE_PGM_RSRC2:USER_SGPR: 6
; COMPUTE_PGM_RSRC2:TRAP_HANDLER: 0
; COMPUTE_PGM_RSRC2:TGID_X_EN: 1
; COMPUTE_PGM_RSRC2:TGID_Y_EN: 0
; COMPUTE_PGM_RSRC2:TGID_Z_EN: 1
; COMPUTE_PGM_RSRC2:TIDIG_COMP_CNT: 1
	.section	.text._ZL19rocblas_trsv_deviceILi32ELi16ELb1ELb1ELb0ELb0E19rocblas_complex_numIdES1_PKPKS1_PKPS1_EviT7_lllT6_T8_lllPii,"axG",@progbits,_ZL19rocblas_trsv_deviceILi32ELi16ELb1ELb1ELb0ELb0E19rocblas_complex_numIdES1_PKPKS1_PKPS1_EviT7_lllT6_T8_lllPii,comdat
	.globl	_ZL19rocblas_trsv_deviceILi32ELi16ELb1ELb1ELb0ELb0E19rocblas_complex_numIdES1_PKPKS1_PKPS1_EviT7_lllT6_T8_lllPii ; -- Begin function _ZL19rocblas_trsv_deviceILi32ELi16ELb1ELb1ELb0ELb0E19rocblas_complex_numIdES1_PKPKS1_PKPS1_EviT7_lllT6_T8_lllPii
	.p2align	8
	.type	_ZL19rocblas_trsv_deviceILi32ELi16ELb1ELb1ELb0ELb0E19rocblas_complex_numIdES1_PKPKS1_PKPS1_EviT7_lllT6_T8_lllPii,@function
_ZL19rocblas_trsv_deviceILi32ELi16ELb1ELb1ELb0ELb0E19rocblas_complex_numIdES1_PKPKS1_PKPS1_EviT7_lllT6_T8_lllPii: ; @_ZL19rocblas_trsv_deviceILi32ELi16ELb1ELb1ELb0ELb0E19rocblas_complex_numIdES1_PKPKS1_PKPS1_EviT7_lllT6_T8_lllPii
; %bb.0:
	s_load_dwordx4 s[0:3], s[4:5], 0x8
	s_mov_b32 s28, s7
	s_mov_b32 s29, 0
	s_lshl_b64 s[8:9], s[28:29], 3
	v_mov_b32_e32 v2, v1
	s_waitcnt lgkmcnt(0)
	s_add_u32 s0, s0, s8
	s_addc_u32 s1, s1, s9
	s_load_dwordx2 s[10:11], s[0:1], 0x0
	s_load_dword s30, s[4:5], 0x0
	s_load_dwordx2 s[36:37], s[4:5], 0x18
	s_load_dwordx8 s[20:27], s[4:5], 0x28
	s_lshl_b64 s[0:1], s[2:3], 4
	s_waitcnt lgkmcnt(0)
	s_add_u32 s94, s10, s0
	s_addc_u32 s62, s11, s1
	s_load_dword s7, s[4:5], 0x68
	s_add_u32 s0, s24, s8
	s_addc_u32 s1, s25, s9
	s_load_dwordx2 s[38:39], s[0:1], 0x0
	s_load_dword s43, s[4:5], 0x74
	s_waitcnt lgkmcnt(0)
	s_add_i32 s7, s7, -1
	s_sub_i32 s63, s7, s6
	s_cmp_lg_u32 s6, 0
	s_cbranch_scc0 .LBB191_545
; %bb.1:
	s_lshl_b32 s33, s63, 5
	v_add_u32_e32 v1, s33, v0
	v_ashrrev_i32_e32 v3, 31, v1
	v_mul_lo_u32 v7, s36, v3
	v_mul_lo_u32 v8, s37, v1
	v_mad_u64_u32 v[5:6], s[0:1], s36, v1, 0
	v_add3_u32 v3, v2, s33, 32
	v_ashrrev_i32_e32 v4, 31, v3
	v_add3_u32 v6, v6, v7, v8
	v_lshlrev_b64 v[5:6], 4, v[5:6]
	v_cmp_gt_i32_e32 vcc, s30, v1
	v_mov_b32_e32 v1, s62
	v_add_co_u32_e64 v7, s[0:1], s94, v5
	v_lshlrev_b64 v[4:5], 4, v[3:4]
	v_addc_co_u32_e64 v1, s[0:1], v1, v6, s[0:1]
	v_add_co_u32_e64 v11, s[0:1], v7, v4
	v_addc_co_u32_e64 v12, s[0:1], v1, v5, s[0:1]
	v_cmp_gt_i32_e64 s[0:1], s30, v3
	v_mov_b32_e32 v5, 0
	v_mov_b32_e32 v7, 0
	;; [unrolled: 1-line block ×6, first 2 shown]
	s_and_b64 s[2:3], s[0:1], vcc
	s_barrier
	s_and_saveexec_b64 s[0:1], s[2:3]
	s_cbranch_execz .LBB191_3
; %bb.2:
	flat_load_dwordx4 v[7:10], v[11:12]
.LBB191_3:
	s_or_b64 exec, exec, s[0:1]
	v_add_u32_e32 v1, 16, v3
	v_cmp_gt_i32_e64 s[0:1], s30, v1
	v_mov_b32_e32 v3, 0
	v_mov_b32_e32 v4, 0
	s_and_b64 s[2:3], s[0:1], vcc
	s_waitcnt vmcnt(0) lgkmcnt(0)
	s_barrier
	s_and_saveexec_b64 s[0:1], s[2:3]
	s_cbranch_execz .LBB191_5
; %bb.4:
	flat_load_dwordx4 v[3:6], v[11:12] offset:256
.LBB191_5:
	s_or_b64 exec, exec, s[0:1]
	s_branch .LBB191_7
.LBB191_6:
	s_lshl_b32 s33, s63, 5
                                        ; implicit-def: $vgpr7_vgpr8
                                        ; implicit-def: $vgpr3_vgpr4
.LBB191_7:
	s_ashr_i32 s31, s30, 31
	s_lshr_b32 s0, s31, 27
	s_add_i32 s0, s30, s0
	s_andn2_b32 s0, s0, 31
	s_sub_i32 s95, s30, s0
	s_add_i32 s0, s30, -1
	s_ashr_i32 s1, s0, 31
	s_lshr_b32 s1, s1, 27
	s_add_i32 s0, s0, s1
	s_ashr_i32 s0, s0, 5
	s_cmp_eq_u32 s0, s63
	s_cselect_b64 s[0:1], -1, 0
	s_cmp_lg_u32 s95, 0
	s_cselect_b64 s[2:3], -1, 0
	s_and_b64 s[34:35], s[2:3], s[0:1]
	s_cmp_lt_i32 s6, 5
	s_cselect_b64 s[2:3], -1, 0
	s_or_b64 s[0:1], s[2:3], s[34:35]
	s_ashr_i32 s42, s33, 31
	s_add_u32 s10, s36, 1
	v_mov_b32_e32 v1, 0
	v_mov_b32_e32 v11, s33
	s_load_dwordx2 s[24:25], s[4:5], 0x48
	v_mad_u64_u32 v[19:20], s[8:9], s10, v11, v[0:1]
	s_addc_u32 s11, s37, 0
	s_mul_i32 s8, s10, s42
	s_mul_i32 s11, s11, s33
	v_lshlrev_b32_e32 v21, 5, v0
	s_add_i32 s8, s8, s11
	s_mov_b64 s[12:13], -1
	v_add_u32_e32 v20, s8, v20
	s_and_b64 vcc, exec, s[34:35]
	v_add_u32_e32 v22, v2, v21
	v_cmp_le_u32_e64 s[8:9], v0, v2
	v_lshl_add_u32 v1, v2, 5, v0
	s_cbranch_vccnz .LBB191_37
; %bb.8:
	v_mad_u64_u32 v[11:12], s[10:11], s36, v2, v[19:20]
	v_cndmask_b32_e64 v23, v1, v22, s[2:3]
	v_mad_u64_u32 v[12:13], s[10:11], s37, v2, v[12:13]
	s_and_saveexec_b64 s[2:3], s[8:9]
	s_xor_b64 s[2:3], exec, s[2:3]
	s_cbranch_execz .LBB191_20
; %bb.9:
	v_cmp_ne_u32_e32 vcc, v0, v2
	s_and_saveexec_b64 s[8:9], vcc
	s_xor_b64 s[8:9], exec, s[8:9]
	s_cbranch_execz .LBB191_13
; %bb.10:
	v_or_b32_e32 v11, v2, v0
	v_cmp_gt_u32_e32 vcc, 32, v11
	s_and_saveexec_b64 s[10:11], vcc
	s_cbranch_execz .LBB191_12
; %bb.11:
	v_mov_b32_e32 v11, 0
	v_lshlrev_b32_e32 v15, 4, v23
	v_mov_b32_e32 v12, v11
	v_mov_b32_e32 v13, v11
	;; [unrolled: 1-line block ×3, first 2 shown]
	ds_write_b128 v15, v[11:14]
.LBB191_12:
	s_or_b64 exec, exec, s[10:11]
                                        ; implicit-def: $vgpr23
                                        ; implicit-def: $vgpr11_vgpr12
.LBB191_13:
	s_andn2_saveexec_b64 s[8:9], s[8:9]
	s_cbranch_execz .LBB191_19
; %bb.14:
	v_lshlrev_b64 v[11:12], 4, v[11:12]
	v_mov_b32_e32 v13, s62
	v_add_co_u32_e32 v11, vcc, s94, v11
	v_addc_co_u32_e32 v12, vcc, v13, v12, vcc
	flat_load_dwordx4 v[11:14], v[11:12]
                                        ; implicit-def: $vgpr15_vgpr16
	s_waitcnt vmcnt(0) lgkmcnt(0)
	v_cmp_ngt_f64_e64 s[10:11], |v[11:12]|, |v[13:14]|
	s_and_saveexec_b64 s[12:13], s[10:11]
	s_xor_b64 s[10:11], exec, s[12:13]
	s_cbranch_execz .LBB191_16
; %bb.15:
	v_div_scale_f64 v[15:16], s[12:13], v[13:14], v[13:14], v[11:12]
	v_rcp_f64_e32 v[17:18], v[15:16]
	v_fma_f64 v[24:25], -v[15:16], v[17:18], 1.0
	v_fma_f64 v[17:18], v[17:18], v[24:25], v[17:18]
	v_div_scale_f64 v[24:25], vcc, v[11:12], v[13:14], v[11:12]
	v_fma_f64 v[26:27], -v[15:16], v[17:18], 1.0
	v_fma_f64 v[17:18], v[17:18], v[26:27], v[17:18]
	v_mul_f64 v[26:27], v[24:25], v[17:18]
	v_fma_f64 v[15:16], -v[15:16], v[26:27], v[24:25]
	v_div_fmas_f64 v[15:16], v[15:16], v[17:18], v[26:27]
	v_div_fixup_f64 v[15:16], v[15:16], v[13:14], v[11:12]
	v_fma_f64 v[11:12], v[11:12], v[15:16], v[13:14]
	v_div_scale_f64 v[13:14], s[12:13], v[11:12], v[11:12], 1.0
	v_div_scale_f64 v[26:27], vcc, 1.0, v[11:12], 1.0
	v_rcp_f64_e32 v[17:18], v[13:14]
	v_fma_f64 v[24:25], -v[13:14], v[17:18], 1.0
	v_fma_f64 v[17:18], v[17:18], v[24:25], v[17:18]
	v_fma_f64 v[24:25], -v[13:14], v[17:18], 1.0
	v_fma_f64 v[17:18], v[17:18], v[24:25], v[17:18]
	v_mul_f64 v[24:25], v[26:27], v[17:18]
	v_fma_f64 v[13:14], -v[13:14], v[24:25], v[26:27]
	v_div_fmas_f64 v[13:14], v[13:14], v[17:18], v[24:25]
	v_div_fixup_f64 v[17:18], v[13:14], v[11:12], 1.0
                                        ; implicit-def: $vgpr11_vgpr12
	v_mul_f64 v[15:16], v[15:16], v[17:18]
	v_xor_b32_e32 v18, 0x80000000, v18
.LBB191_16:
	s_andn2_saveexec_b64 s[10:11], s[10:11]
	s_cbranch_execz .LBB191_18
; %bb.17:
	v_div_scale_f64 v[15:16], s[12:13], v[11:12], v[11:12], v[13:14]
	v_rcp_f64_e32 v[17:18], v[15:16]
	v_fma_f64 v[24:25], -v[15:16], v[17:18], 1.0
	v_fma_f64 v[17:18], v[17:18], v[24:25], v[17:18]
	v_div_scale_f64 v[24:25], vcc, v[13:14], v[11:12], v[13:14]
	v_fma_f64 v[26:27], -v[15:16], v[17:18], 1.0
	v_fma_f64 v[17:18], v[17:18], v[26:27], v[17:18]
	v_mul_f64 v[26:27], v[24:25], v[17:18]
	v_fma_f64 v[15:16], -v[15:16], v[26:27], v[24:25]
	v_div_fmas_f64 v[15:16], v[15:16], v[17:18], v[26:27]
	v_div_fixup_f64 v[17:18], v[15:16], v[11:12], v[13:14]
	v_fma_f64 v[11:12], v[13:14], v[17:18], v[11:12]
	v_div_scale_f64 v[13:14], s[12:13], v[11:12], v[11:12], 1.0
	v_div_scale_f64 v[26:27], vcc, 1.0, v[11:12], 1.0
	v_rcp_f64_e32 v[15:16], v[13:14]
	v_fma_f64 v[24:25], -v[13:14], v[15:16], 1.0
	v_fma_f64 v[15:16], v[15:16], v[24:25], v[15:16]
	v_fma_f64 v[24:25], -v[13:14], v[15:16], 1.0
	v_fma_f64 v[15:16], v[15:16], v[24:25], v[15:16]
	v_mul_f64 v[24:25], v[26:27], v[15:16]
	v_fma_f64 v[13:14], -v[13:14], v[24:25], v[26:27]
	v_div_fmas_f64 v[13:14], v[13:14], v[15:16], v[24:25]
	v_div_fixup_f64 v[15:16], v[13:14], v[11:12], 1.0
	v_mul_f64 v[17:18], v[17:18], -v[15:16]
.LBB191_18:
	s_or_b64 exec, exec, s[10:11]
	v_lshlrev_b32_e32 v11, 4, v23
	ds_write_b128 v11, v[15:18]
.LBB191_19:
	s_or_b64 exec, exec, s[8:9]
                                        ; implicit-def: $vgpr11_vgpr12
                                        ; implicit-def: $vgpr23
.LBB191_20:
	s_andn2_saveexec_b64 s[2:3], s[2:3]
	s_cbranch_execz .LBB191_22
; %bb.21:
	v_lshlrev_b64 v[11:12], 4, v[11:12]
	v_mov_b32_e32 v13, s62
	v_add_co_u32_e32 v11, vcc, s94, v11
	v_addc_co_u32_e32 v12, vcc, v13, v12, vcc
	flat_load_dwordx4 v[11:14], v[11:12]
	v_lshlrev_b32_e32 v15, 4, v23
	s_waitcnt vmcnt(0) lgkmcnt(0)
	v_xor_b32_e32 v12, 0x80000000, v12
	v_xor_b32_e32 v14, 0x80000000, v14
	ds_write_b128 v15, v[11:14]
.LBB191_22:
	s_or_b64 exec, exec, s[2:3]
	v_add_u32_e32 v13, 16, v2
	v_mad_u64_u32 v[11:12], s[2:3], s36, v13, v[19:20]
	v_cmp_le_u32_e32 vcc, v0, v13
	v_mad_u64_u32 v[14:15], s[2:3], s37, v13, v[12:13]
	v_add_u32_e32 v12, v13, v21
	v_lshl_add_u32 v15, v13, 5, v0
	v_cndmask_b32_e64 v23, v15, v12, s[0:1]
	v_mov_b32_e32 v12, v14
	s_and_saveexec_b64 s[2:3], vcc
	s_xor_b64 s[2:3], exec, s[2:3]
	s_cbranch_execz .LBB191_34
; %bb.23:
	v_cmp_ne_u32_e32 vcc, v0, v13
	s_and_saveexec_b64 s[8:9], vcc
	s_xor_b64 s[8:9], exec, s[8:9]
	s_cbranch_execz .LBB191_27
; %bb.24:
	v_or_b32_e32 v11, v13, v0
	v_cmp_gt_u32_e32 vcc, 32, v11
	s_and_saveexec_b64 s[10:11], vcc
	s_cbranch_execz .LBB191_26
; %bb.25:
	v_mov_b32_e32 v11, 0
	v_lshlrev_b32_e32 v15, 4, v23
	v_mov_b32_e32 v12, v11
	v_mov_b32_e32 v13, v11
	;; [unrolled: 1-line block ×3, first 2 shown]
	ds_write_b128 v15, v[11:14]
.LBB191_26:
	s_or_b64 exec, exec, s[10:11]
                                        ; implicit-def: $vgpr23
                                        ; implicit-def: $vgpr11_vgpr12
.LBB191_27:
	s_andn2_saveexec_b64 s[8:9], s[8:9]
	s_cbranch_execz .LBB191_33
; %bb.28:
	v_lshlrev_b64 v[11:12], 4, v[11:12]
	v_mov_b32_e32 v13, s62
	v_add_co_u32_e32 v11, vcc, s94, v11
	v_addc_co_u32_e32 v12, vcc, v13, v12, vcc
	flat_load_dwordx4 v[11:14], v[11:12]
                                        ; implicit-def: $vgpr15_vgpr16
	s_waitcnt vmcnt(0) lgkmcnt(0)
	v_cmp_ngt_f64_e64 s[10:11], |v[11:12]|, |v[13:14]|
	s_and_saveexec_b64 s[12:13], s[10:11]
	s_xor_b64 s[10:11], exec, s[12:13]
	s_cbranch_execz .LBB191_30
; %bb.29:
	v_div_scale_f64 v[15:16], s[12:13], v[13:14], v[13:14], v[11:12]
	v_rcp_f64_e32 v[17:18], v[15:16]
	v_fma_f64 v[24:25], -v[15:16], v[17:18], 1.0
	v_fma_f64 v[17:18], v[17:18], v[24:25], v[17:18]
	v_div_scale_f64 v[24:25], vcc, v[11:12], v[13:14], v[11:12]
	v_fma_f64 v[26:27], -v[15:16], v[17:18], 1.0
	v_fma_f64 v[17:18], v[17:18], v[26:27], v[17:18]
	v_mul_f64 v[26:27], v[24:25], v[17:18]
	v_fma_f64 v[15:16], -v[15:16], v[26:27], v[24:25]
	v_div_fmas_f64 v[15:16], v[15:16], v[17:18], v[26:27]
	v_div_fixup_f64 v[15:16], v[15:16], v[13:14], v[11:12]
	v_fma_f64 v[11:12], v[11:12], v[15:16], v[13:14]
	v_div_scale_f64 v[13:14], s[12:13], v[11:12], v[11:12], 1.0
	v_div_scale_f64 v[26:27], vcc, 1.0, v[11:12], 1.0
	v_rcp_f64_e32 v[17:18], v[13:14]
	v_fma_f64 v[24:25], -v[13:14], v[17:18], 1.0
	v_fma_f64 v[17:18], v[17:18], v[24:25], v[17:18]
	v_fma_f64 v[24:25], -v[13:14], v[17:18], 1.0
	v_fma_f64 v[17:18], v[17:18], v[24:25], v[17:18]
	v_mul_f64 v[24:25], v[26:27], v[17:18]
	v_fma_f64 v[13:14], -v[13:14], v[24:25], v[26:27]
	v_div_fmas_f64 v[13:14], v[13:14], v[17:18], v[24:25]
	v_div_fixup_f64 v[17:18], v[13:14], v[11:12], 1.0
                                        ; implicit-def: $vgpr11_vgpr12
	v_mul_f64 v[15:16], v[15:16], v[17:18]
	v_xor_b32_e32 v18, 0x80000000, v18
.LBB191_30:
	s_andn2_saveexec_b64 s[10:11], s[10:11]
	s_cbranch_execz .LBB191_32
; %bb.31:
	v_div_scale_f64 v[15:16], s[12:13], v[11:12], v[11:12], v[13:14]
	v_rcp_f64_e32 v[17:18], v[15:16]
	v_fma_f64 v[24:25], -v[15:16], v[17:18], 1.0
	v_fma_f64 v[17:18], v[17:18], v[24:25], v[17:18]
	v_div_scale_f64 v[24:25], vcc, v[13:14], v[11:12], v[13:14]
	v_fma_f64 v[26:27], -v[15:16], v[17:18], 1.0
	v_fma_f64 v[17:18], v[17:18], v[26:27], v[17:18]
	v_mul_f64 v[26:27], v[24:25], v[17:18]
	v_fma_f64 v[15:16], -v[15:16], v[26:27], v[24:25]
	v_div_fmas_f64 v[15:16], v[15:16], v[17:18], v[26:27]
	v_div_fixup_f64 v[17:18], v[15:16], v[11:12], v[13:14]
	v_fma_f64 v[11:12], v[13:14], v[17:18], v[11:12]
	v_div_scale_f64 v[13:14], s[12:13], v[11:12], v[11:12], 1.0
	v_div_scale_f64 v[26:27], vcc, 1.0, v[11:12], 1.0
	v_rcp_f64_e32 v[15:16], v[13:14]
	v_fma_f64 v[24:25], -v[13:14], v[15:16], 1.0
	v_fma_f64 v[15:16], v[15:16], v[24:25], v[15:16]
	v_fma_f64 v[24:25], -v[13:14], v[15:16], 1.0
	v_fma_f64 v[15:16], v[15:16], v[24:25], v[15:16]
	v_mul_f64 v[24:25], v[26:27], v[15:16]
	v_fma_f64 v[13:14], -v[13:14], v[24:25], v[26:27]
	v_div_fmas_f64 v[13:14], v[13:14], v[15:16], v[24:25]
	v_div_fixup_f64 v[15:16], v[13:14], v[11:12], 1.0
	v_mul_f64 v[17:18], v[17:18], -v[15:16]
.LBB191_32:
	s_or_b64 exec, exec, s[10:11]
	v_lshlrev_b32_e32 v11, 4, v23
	ds_write_b128 v11, v[15:18]
.LBB191_33:
	s_or_b64 exec, exec, s[8:9]
                                        ; implicit-def: $vgpr11_vgpr12
                                        ; implicit-def: $vgpr23
.LBB191_34:
	s_andn2_saveexec_b64 s[2:3], s[2:3]
	s_cbranch_execz .LBB191_36
; %bb.35:
	v_lshlrev_b64 v[11:12], 4, v[11:12]
	v_mov_b32_e32 v13, s62
	v_add_co_u32_e32 v11, vcc, s94, v11
	v_addc_co_u32_e32 v12, vcc, v13, v12, vcc
	flat_load_dwordx4 v[11:14], v[11:12]
	v_lshlrev_b32_e32 v15, 4, v23
	s_waitcnt vmcnt(0) lgkmcnt(0)
	v_xor_b32_e32 v12, 0x80000000, v12
	v_xor_b32_e32 v14, 0x80000000, v14
	ds_write_b128 v15, v[11:14]
.LBB191_36:
	s_or_b64 exec, exec, s[2:3]
	s_mov_b64 s[12:13], 0
.LBB191_37:
	s_xor_b64 s[10:11], s[0:1], -1
	s_and_b64 vcc, exec, s[12:13]
	s_cbranch_vccz .LBB191_67
; %bb.38:
	v_mad_u64_u32 v[11:12], s[2:3], s36, v2, v[19:20]
	v_cmp_le_u32_e32 vcc, v0, v2
	v_cmp_gt_i32_e64 s[2:3], s95, v0
	v_mad_u64_u32 v[12:13], s[8:9], s37, v2, v[12:13]
	v_max_i32_e32 v13, v2, v0
	v_cmp_le_i32_e64 s[8:9], s95, v13
	s_or_b64 s[8:9], s[8:9], vcc
	s_and_saveexec_b64 s[12:13], s[8:9]
	s_xor_b64 s[8:9], exec, s[12:13]
	s_cbranch_execz .LBB191_50
; %bb.39:
	v_cmp_ne_u32_e32 vcc, v0, v2
	s_xor_b64 s[12:13], s[2:3], -1
	s_or_b64 s[12:13], s[12:13], vcc
	s_and_saveexec_b64 s[14:15], s[12:13]
	s_xor_b64 s[12:13], exec, s[14:15]
	s_cbranch_execz .LBB191_43
; %bb.40:
	v_or_b32_e32 v11, v2, v0
	v_cmp_gt_u32_e32 vcc, 32, v11
	s_and_saveexec_b64 s[14:15], vcc
	s_cbranch_execz .LBB191_42
; %bb.41:
	v_mov_b32_e32 v11, 0
	v_lshlrev_b32_e32 v15, 4, v22
	v_mov_b32_e32 v12, v11
	v_mov_b32_e32 v13, v11
	v_mov_b32_e32 v14, v11
	ds_write_b128 v15, v[11:14]
.LBB191_42:
	s_or_b64 exec, exec, s[14:15]
                                        ; implicit-def: $vgpr22
                                        ; implicit-def: $vgpr11_vgpr12
.LBB191_43:
	s_andn2_saveexec_b64 s[12:13], s[12:13]
	s_cbranch_execz .LBB191_49
; %bb.44:
	v_lshlrev_b64 v[11:12], 4, v[11:12]
	v_mov_b32_e32 v13, s62
	v_add_co_u32_e32 v11, vcc, s94, v11
	v_addc_co_u32_e32 v12, vcc, v13, v12, vcc
	flat_load_dwordx4 v[11:14], v[11:12]
                                        ; implicit-def: $vgpr15_vgpr16
	s_waitcnt vmcnt(0) lgkmcnt(0)
	v_cmp_ngt_f64_e64 s[14:15], |v[11:12]|, |v[13:14]|
	s_and_saveexec_b64 s[16:17], s[14:15]
	s_xor_b64 s[14:15], exec, s[16:17]
	s_cbranch_execz .LBB191_46
; %bb.45:
	v_div_scale_f64 v[15:16], s[16:17], v[13:14], v[13:14], v[11:12]
	v_rcp_f64_e32 v[17:18], v[15:16]
	v_fma_f64 v[23:24], -v[15:16], v[17:18], 1.0
	v_fma_f64 v[17:18], v[17:18], v[23:24], v[17:18]
	v_div_scale_f64 v[23:24], vcc, v[11:12], v[13:14], v[11:12]
	v_fma_f64 v[25:26], -v[15:16], v[17:18], 1.0
	v_fma_f64 v[17:18], v[17:18], v[25:26], v[17:18]
	v_mul_f64 v[25:26], v[23:24], v[17:18]
	v_fma_f64 v[15:16], -v[15:16], v[25:26], v[23:24]
	v_div_fmas_f64 v[15:16], v[15:16], v[17:18], v[25:26]
	v_div_fixup_f64 v[15:16], v[15:16], v[13:14], v[11:12]
	v_fma_f64 v[11:12], v[11:12], v[15:16], v[13:14]
	v_div_scale_f64 v[13:14], s[16:17], v[11:12], v[11:12], 1.0
	v_div_scale_f64 v[25:26], vcc, 1.0, v[11:12], 1.0
	v_rcp_f64_e32 v[17:18], v[13:14]
	v_fma_f64 v[23:24], -v[13:14], v[17:18], 1.0
	v_fma_f64 v[17:18], v[17:18], v[23:24], v[17:18]
	v_fma_f64 v[23:24], -v[13:14], v[17:18], 1.0
	v_fma_f64 v[17:18], v[17:18], v[23:24], v[17:18]
	v_mul_f64 v[23:24], v[25:26], v[17:18]
	v_fma_f64 v[13:14], -v[13:14], v[23:24], v[25:26]
	v_div_fmas_f64 v[13:14], v[13:14], v[17:18], v[23:24]
	v_div_fixup_f64 v[17:18], v[13:14], v[11:12], 1.0
                                        ; implicit-def: $vgpr11_vgpr12
	v_mul_f64 v[15:16], v[15:16], v[17:18]
	v_xor_b32_e32 v18, 0x80000000, v18
.LBB191_46:
	s_andn2_saveexec_b64 s[14:15], s[14:15]
	s_cbranch_execz .LBB191_48
; %bb.47:
	v_div_scale_f64 v[15:16], s[16:17], v[11:12], v[11:12], v[13:14]
	v_rcp_f64_e32 v[17:18], v[15:16]
	v_fma_f64 v[23:24], -v[15:16], v[17:18], 1.0
	v_fma_f64 v[17:18], v[17:18], v[23:24], v[17:18]
	v_div_scale_f64 v[23:24], vcc, v[13:14], v[11:12], v[13:14]
	v_fma_f64 v[25:26], -v[15:16], v[17:18], 1.0
	v_fma_f64 v[17:18], v[17:18], v[25:26], v[17:18]
	v_mul_f64 v[25:26], v[23:24], v[17:18]
	v_fma_f64 v[15:16], -v[15:16], v[25:26], v[23:24]
	v_div_fmas_f64 v[15:16], v[15:16], v[17:18], v[25:26]
	v_div_fixup_f64 v[17:18], v[15:16], v[11:12], v[13:14]
	v_fma_f64 v[11:12], v[13:14], v[17:18], v[11:12]
	v_div_scale_f64 v[13:14], s[16:17], v[11:12], v[11:12], 1.0
	v_div_scale_f64 v[25:26], vcc, 1.0, v[11:12], 1.0
	v_rcp_f64_e32 v[15:16], v[13:14]
	v_fma_f64 v[23:24], -v[13:14], v[15:16], 1.0
	v_fma_f64 v[15:16], v[15:16], v[23:24], v[15:16]
	v_fma_f64 v[23:24], -v[13:14], v[15:16], 1.0
	v_fma_f64 v[15:16], v[15:16], v[23:24], v[15:16]
	v_mul_f64 v[23:24], v[25:26], v[15:16]
	v_fma_f64 v[13:14], -v[13:14], v[23:24], v[25:26]
	v_div_fmas_f64 v[13:14], v[13:14], v[15:16], v[23:24]
	v_div_fixup_f64 v[15:16], v[13:14], v[11:12], 1.0
	v_mul_f64 v[17:18], v[17:18], -v[15:16]
.LBB191_48:
	s_or_b64 exec, exec, s[14:15]
	v_lshlrev_b32_e32 v11, 4, v22
	ds_write_b128 v11, v[15:18]
.LBB191_49:
	s_or_b64 exec, exec, s[12:13]
                                        ; implicit-def: $vgpr11_vgpr12
                                        ; implicit-def: $vgpr22
.LBB191_50:
	s_andn2_saveexec_b64 s[8:9], s[8:9]
	s_cbranch_execz .LBB191_52
; %bb.51:
	v_lshlrev_b64 v[11:12], 4, v[11:12]
	v_mov_b32_e32 v13, s62
	v_add_co_u32_e32 v11, vcc, s94, v11
	v_addc_co_u32_e32 v12, vcc, v13, v12, vcc
	flat_load_dwordx4 v[11:14], v[11:12]
	v_lshlrev_b32_e32 v15, 4, v22
	s_waitcnt vmcnt(0) lgkmcnt(0)
	v_xor_b32_e32 v12, 0x80000000, v12
	v_xor_b32_e32 v14, 0x80000000, v14
	ds_write_b128 v15, v[11:14]
.LBB191_52:
	s_or_b64 exec, exec, s[8:9]
	v_add_u32_e32 v13, 16, v2
	v_mad_u64_u32 v[11:12], s[8:9], s36, v13, v[19:20]
	v_add_u32_e32 v16, v13, v21
	v_cmp_gt_u32_e32 vcc, v0, v13
	v_mad_u64_u32 v[14:15], s[8:9], s37, v13, v[12:13]
	v_lshl_add_u32 v12, v13, 5, v0
	v_cndmask_b32_e64 v19, v12, v16, s[0:1]
	v_cmp_gt_i32_e64 s[0:1], s95, v13
	s_and_b64 s[0:1], vcc, s[0:1]
	s_and_b64 s[0:1], s[2:3], s[0:1]
	v_mov_b32_e32 v12, v14
	s_xor_b64 s[0:1], s[0:1], -1
	s_and_saveexec_b64 s[8:9], s[0:1]
	s_xor_b64 s[0:1], exec, s[8:9]
	s_cbranch_execz .LBB191_64
; %bb.53:
	v_cmp_ne_u32_e32 vcc, v0, v13
	s_xor_b64 s[2:3], s[2:3], -1
	s_or_b64 s[2:3], s[2:3], vcc
	s_and_saveexec_b64 s[8:9], s[2:3]
	s_xor_b64 s[2:3], exec, s[8:9]
	s_cbranch_execz .LBB191_57
; %bb.54:
	v_or_b32_e32 v11, v13, v0
	v_cmp_gt_u32_e32 vcc, 32, v11
	s_and_saveexec_b64 s[8:9], vcc
	s_cbranch_execz .LBB191_56
; %bb.55:
	v_mov_b32_e32 v11, 0
	v_lshlrev_b32_e32 v15, 4, v19
	v_mov_b32_e32 v12, v11
	v_mov_b32_e32 v13, v11
	v_mov_b32_e32 v14, v11
	ds_write_b128 v15, v[11:14]
.LBB191_56:
	s_or_b64 exec, exec, s[8:9]
                                        ; implicit-def: $vgpr19
                                        ; implicit-def: $vgpr11_vgpr12
.LBB191_57:
	s_andn2_saveexec_b64 s[2:3], s[2:3]
	s_cbranch_execz .LBB191_63
; %bb.58:
	v_lshlrev_b64 v[11:12], 4, v[11:12]
	v_mov_b32_e32 v13, s62
	v_add_co_u32_e32 v11, vcc, s94, v11
	v_addc_co_u32_e32 v12, vcc, v13, v12, vcc
	flat_load_dwordx4 v[11:14], v[11:12]
                                        ; implicit-def: $vgpr15_vgpr16
	s_waitcnt vmcnt(0) lgkmcnt(0)
	v_cmp_ngt_f64_e64 s[8:9], |v[11:12]|, |v[13:14]|
	s_and_saveexec_b64 s[12:13], s[8:9]
	s_xor_b64 s[8:9], exec, s[12:13]
	s_cbranch_execz .LBB191_60
; %bb.59:
	v_div_scale_f64 v[15:16], s[12:13], v[13:14], v[13:14], v[11:12]
	v_rcp_f64_e32 v[17:18], v[15:16]
	v_fma_f64 v[20:21], -v[15:16], v[17:18], 1.0
	v_fma_f64 v[17:18], v[17:18], v[20:21], v[17:18]
	v_div_scale_f64 v[20:21], vcc, v[11:12], v[13:14], v[11:12]
	v_fma_f64 v[22:23], -v[15:16], v[17:18], 1.0
	v_fma_f64 v[17:18], v[17:18], v[22:23], v[17:18]
	v_mul_f64 v[22:23], v[20:21], v[17:18]
	v_fma_f64 v[15:16], -v[15:16], v[22:23], v[20:21]
	v_div_fmas_f64 v[15:16], v[15:16], v[17:18], v[22:23]
	v_div_fixup_f64 v[15:16], v[15:16], v[13:14], v[11:12]
	v_fma_f64 v[11:12], v[11:12], v[15:16], v[13:14]
	v_div_scale_f64 v[13:14], s[12:13], v[11:12], v[11:12], 1.0
	v_div_scale_f64 v[22:23], vcc, 1.0, v[11:12], 1.0
	v_rcp_f64_e32 v[17:18], v[13:14]
	v_fma_f64 v[20:21], -v[13:14], v[17:18], 1.0
	v_fma_f64 v[17:18], v[17:18], v[20:21], v[17:18]
	v_fma_f64 v[20:21], -v[13:14], v[17:18], 1.0
	v_fma_f64 v[17:18], v[17:18], v[20:21], v[17:18]
	v_mul_f64 v[20:21], v[22:23], v[17:18]
	v_fma_f64 v[13:14], -v[13:14], v[20:21], v[22:23]
	v_div_fmas_f64 v[13:14], v[13:14], v[17:18], v[20:21]
	v_div_fixup_f64 v[17:18], v[13:14], v[11:12], 1.0
                                        ; implicit-def: $vgpr11_vgpr12
	v_mul_f64 v[15:16], v[15:16], v[17:18]
	v_xor_b32_e32 v18, 0x80000000, v18
.LBB191_60:
	s_andn2_saveexec_b64 s[8:9], s[8:9]
	s_cbranch_execz .LBB191_62
; %bb.61:
	v_div_scale_f64 v[15:16], s[12:13], v[11:12], v[11:12], v[13:14]
	v_rcp_f64_e32 v[17:18], v[15:16]
	v_fma_f64 v[20:21], -v[15:16], v[17:18], 1.0
	v_fma_f64 v[17:18], v[17:18], v[20:21], v[17:18]
	v_div_scale_f64 v[20:21], vcc, v[13:14], v[11:12], v[13:14]
	v_fma_f64 v[22:23], -v[15:16], v[17:18], 1.0
	v_fma_f64 v[17:18], v[17:18], v[22:23], v[17:18]
	v_mul_f64 v[22:23], v[20:21], v[17:18]
	v_fma_f64 v[15:16], -v[15:16], v[22:23], v[20:21]
	v_div_fmas_f64 v[15:16], v[15:16], v[17:18], v[22:23]
	v_div_fixup_f64 v[17:18], v[15:16], v[11:12], v[13:14]
	v_fma_f64 v[11:12], v[13:14], v[17:18], v[11:12]
	v_div_scale_f64 v[13:14], s[12:13], v[11:12], v[11:12], 1.0
	v_div_scale_f64 v[22:23], vcc, 1.0, v[11:12], 1.0
	v_rcp_f64_e32 v[15:16], v[13:14]
	v_fma_f64 v[20:21], -v[13:14], v[15:16], 1.0
	v_fma_f64 v[15:16], v[15:16], v[20:21], v[15:16]
	v_fma_f64 v[20:21], -v[13:14], v[15:16], 1.0
	v_fma_f64 v[15:16], v[15:16], v[20:21], v[15:16]
	v_mul_f64 v[20:21], v[22:23], v[15:16]
	v_fma_f64 v[13:14], -v[13:14], v[20:21], v[22:23]
	v_div_fmas_f64 v[13:14], v[13:14], v[15:16], v[20:21]
	v_div_fixup_f64 v[15:16], v[13:14], v[11:12], 1.0
	v_mul_f64 v[17:18], v[17:18], -v[15:16]
.LBB191_62:
	s_or_b64 exec, exec, s[8:9]
	v_lshlrev_b32_e32 v11, 4, v19
	ds_write_b128 v11, v[15:18]
.LBB191_63:
	s_or_b64 exec, exec, s[2:3]
                                        ; implicit-def: $vgpr11_vgpr12
                                        ; implicit-def: $vgpr19
.LBB191_64:
	s_andn2_saveexec_b64 s[0:1], s[0:1]
	s_cbranch_execz .LBB191_66
; %bb.65:
	v_lshlrev_b64 v[11:12], 4, v[11:12]
	v_mov_b32_e32 v13, s62
	v_add_co_u32_e32 v11, vcc, s94, v11
	v_addc_co_u32_e32 v12, vcc, v13, v12, vcc
	flat_load_dwordx4 v[11:14], v[11:12]
	v_lshlrev_b32_e32 v15, 4, v19
	s_waitcnt vmcnt(0) lgkmcnt(0)
	v_xor_b32_e32 v12, 0x80000000, v12
	v_xor_b32_e32 v14, 0x80000000, v14
	ds_write_b128 v15, v[11:14]
.LBB191_66:
	s_or_b64 exec, exec, s[0:1]
.LBB191_67:
	v_cndmask_b32_e64 v11, 0, 1, s[10:11]
	v_cmp_ne_u32_e64 s[48:49], 1, v11
	s_andn2_b64 vcc, exec, s[10:11]
	s_waitcnt vmcnt(0) lgkmcnt(0)
	s_barrier
	s_cbranch_vccnz .LBB191_491
; %bb.68:
	v_or_b32_e32 v11, v0, v2
	v_cmp_eq_u32_e32 vcc, 0, v11
	s_and_saveexec_b64 s[2:3], vcc
	s_cbranch_execz .LBB191_70
; %bb.69:
	v_mov_b32_e32 v25, 0
	ds_read_b128 v[11:14], v25 offset:528
	ds_read_b128 v[15:18], v25
	ds_read_b128 v[19:22], v25 offset:16
	s_waitcnt lgkmcnt(1)
	v_mul_f64 v[23:24], v[11:12], v[17:18]
	v_mul_f64 v[17:18], v[13:14], v[17:18]
	v_fma_f64 v[13:14], v[13:14], v[15:16], v[23:24]
	v_fma_f64 v[11:12], v[11:12], v[15:16], -v[17:18]
	s_waitcnt lgkmcnt(0)
	v_mul_f64 v[15:16], v[13:14], v[21:22]
	v_mul_f64 v[17:18], v[11:12], v[21:22]
	v_fma_f64 v[11:12], v[19:20], v[11:12], -v[15:16]
	v_fma_f64 v[13:14], v[19:20], v[13:14], v[17:18]
	ds_write_b128 v25, v[11:14] offset:16
	ds_write_b128 v25, v[11:14] offset:512
.LBB191_70:
	s_or_b64 exec, exec, s[2:3]
	v_and_b32_e32 v18, 1, v0
	v_lshrrev_b32_e32 v17, 1, v1
	v_lshlrev_b32_e32 v15, 4, v18
	v_mov_b32_e32 v13, 0
	v_mov_b32_e32 v11, 0
	v_cmp_lt_u32_e64 s[8:9], 3, v1
	v_cmp_gt_u32_e64 s[2:3], 4, v1
	v_mov_b32_e32 v14, 0
	v_mov_b32_e32 v12, 0
	v_lshl_or_b32 v15, v17, 9, v15
	s_waitcnt lgkmcnt(0)
	s_barrier
	s_and_saveexec_b64 s[12:13], s[2:3]
	s_cbranch_execz .LBB191_74
; %bb.71:
	v_mul_u32_u24_e32 v11, 0x210, v17
	ds_read_b128 v[11:14], v11
	ds_read_b128 v[19:22], v15 offset:32
	v_cmp_gt_u32_e64 s[10:11], 2, v1
	s_waitcnt lgkmcnt(0)
	v_mul_f64 v[23:24], v[13:14], v[21:22]
	v_mul_f64 v[21:22], v[11:12], v[21:22]
	v_fma_f64 v[11:12], v[11:12], v[19:20], -v[23:24]
	v_fma_f64 v[13:14], v[13:14], v[19:20], v[21:22]
	v_add_f64 v[11:12], v[11:12], 0
	v_add_f64 v[13:14], v[13:14], 0
	s_and_saveexec_b64 s[14:15], s[10:11]
	s_cbranch_execz .LBB191_73
; %bb.72:
	v_mov_b32_e32 v19, 0
	v_lshlrev_b32_e32 v16, 4, v0
	ds_read_b128 v[19:22], v19 offset:16
	ds_read_b128 v[23:26], v16 offset:544
	s_waitcnt lgkmcnt(0)
	v_mul_f64 v[27:28], v[21:22], v[25:26]
	v_mul_f64 v[25:26], v[19:20], v[25:26]
	v_fma_f64 v[19:20], v[19:20], v[23:24], -v[27:28]
	v_fma_f64 v[21:22], v[21:22], v[23:24], v[25:26]
	v_add_f64 v[11:12], v[11:12], v[19:20]
	v_add_f64 v[13:14], v[13:14], v[21:22]
.LBB191_73:
	s_or_b64 exec, exec, s[14:15]
	v_xor_b32_e32 v12, 0x80000000, v12
	v_xor_b32_e32 v14, 0x80000000, v14
.LBB191_74:
                                        ; implicit-def: $vgpr43 : SGPR spill to VGPR lane
	v_writelane_b32 v43, s42, 0
	s_or_b64 exec, exec, s[12:13]
	v_mov_b32_e32 v16, 0x4000
	v_cmp_eq_u32_e64 s[10:11], 0, v18
	s_xor_b64 s[12:13], s[8:9], -1
	v_lshl_add_u32 v16, v17, 4, v16
	s_and_b64 s[42:43], s[10:11], s[12:13]
	s_and_saveexec_b64 s[8:9], s[42:43]
	s_cbranch_execz .LBB191_76
; %bb.75:
	v_mov_b32_e32 v19, 0
	ds_read_b128 v[19:22], v19 offset:1056
	s_waitcnt lgkmcnt(0)
	v_mul_f64 v[23:24], v[13:14], v[21:22]
	v_mul_f64 v[21:22], v[11:12], v[21:22]
	v_fma_f64 v[11:12], v[11:12], v[19:20], -v[23:24]
	v_fma_f64 v[13:14], v[13:14], v[19:20], v[21:22]
	ds_write_b128 v16, v[11:14]
.LBB191_76:
	s_or_b64 exec, exec, s[8:9]
	v_cmp_ne_u32_e64 s[8:9], 0, v18
	s_and_b64 s[40:41], s[8:9], s[12:13]
	s_waitcnt lgkmcnt(0)
	s_barrier
	s_and_saveexec_b64 s[8:9], s[40:41]
	s_cbranch_execz .LBB191_78
; %bb.77:
	v_mov_b32_e32 v22, 0
	ds_read_b128 v[18:21], v16
	ds_read_b128 v[22:25], v22 offset:1072
	s_waitcnt lgkmcnt(0)
	v_mul_f64 v[26:27], v[20:21], v[24:25]
	v_mul_f64 v[24:25], v[18:19], v[24:25]
	v_fma_f64 v[18:19], v[18:19], v[22:23], -v[26:27]
	v_fma_f64 v[20:21], v[20:21], v[22:23], v[24:25]
	v_add_f64 v[11:12], v[11:12], v[18:19]
	v_add_f64 v[13:14], v[13:14], v[20:21]
.LBB191_78:
	s_or_b64 exec, exec, s[8:9]
	s_barrier
	s_and_saveexec_b64 s[8:9], s[40:41]
	s_cbranch_execz .LBB191_80
; %bb.79:
	v_mov_b32_e32 v18, 0
	ds_read_b128 v[18:21], v18 offset:1584
	s_waitcnt lgkmcnt(0)
	v_mul_f64 v[22:23], v[13:14], v[20:21]
	v_mul_f64 v[20:21], v[11:12], v[20:21]
	v_fma_f64 v[11:12], v[11:12], v[18:19], -v[22:23]
	v_fma_f64 v[13:14], v[13:14], v[18:19], v[20:21]
	ds_write_b128 v16, v[11:14]
.LBB191_80:
	s_or_b64 exec, exec, s[8:9]
	s_waitcnt lgkmcnt(0)
	s_barrier
	s_barrier
	s_and_saveexec_b64 s[8:9], s[2:3]
; %bb.81:
	v_xor_b32_e32 v12, 0x80000000, v12
	v_xor_b32_e32 v14, 0x80000000, v14
	ds_write_b128 v15, v[11:14] offset:32
; %bb.82:
	s_or_b64 exec, exec, s[8:9]
	v_cmp_eq_u32_e64 s[10:11], 0, v2
	v_cmp_gt_u32_e64 s[8:9], 2, v0
	s_and_b64 s[44:45], s[10:11], s[8:9]
	s_waitcnt lgkmcnt(0)
	s_barrier
	s_barrier
	s_and_saveexec_b64 s[8:9], s[44:45]
	s_cbranch_execz .LBB191_84
; %bb.83:
	v_lshlrev_b32_e32 v18, 9, v0
	ds_read_b128 v[11:14], v18 offset:32
	s_movk_i32 s0, 0xfe10
	v_mad_i32_i24 v19, v0, s0, v18
	s_waitcnt lgkmcnt(0)
	ds_write_b128 v19, v[11:14] offset:1024
	ds_read_b128 v[11:14], v18 offset:48
	s_waitcnt lgkmcnt(0)
	ds_write_b128 v19, v[11:14] offset:1536
.LBB191_84:
	s_or_b64 exec, exec, s[8:9]
	s_waitcnt lgkmcnt(0)
	s_barrier
	s_and_saveexec_b64 s[8:9], vcc
	s_cbranch_execz .LBB191_86
; %bb.85:
	v_mov_b32_e32 v28, 0
	ds_read_b128 v[11:14], v28 offset:1584
	ds_read_b128 v[18:21], v28 offset:1056
	;; [unrolled: 1-line block ×3, first 2 shown]
	s_waitcnt lgkmcnt(1)
	v_mul_f64 v[26:27], v[11:12], v[20:21]
	v_mul_f64 v[20:21], v[13:14], v[20:21]
	v_fma_f64 v[13:14], v[13:14], v[18:19], v[26:27]
	v_fma_f64 v[11:12], v[11:12], v[18:19], -v[20:21]
	s_waitcnt lgkmcnt(0)
	v_mul_f64 v[18:19], v[13:14], v[24:25]
	v_mul_f64 v[20:21], v[11:12], v[24:25]
	v_fma_f64 v[11:12], v[22:23], v[11:12], -v[18:19]
	v_fma_f64 v[13:14], v[22:23], v[13:14], v[20:21]
	ds_write_b128 v28, v[11:14] offset:1072
	ds_write_b128 v28, v[11:14] offset:1568
.LBB191_86:
	s_or_b64 exec, exec, s[8:9]
	v_and_b32_e32 v21, 3, v0
	v_lshrrev_b32_e32 v22, 2, v1
	v_lshlrev_b32_e32 v19, 4, v21
	v_mov_b32_e32 v13, 0
	v_mov_b32_e32 v11, 0
	v_cmp_lt_u32_e64 s[8:9], 15, v1
	v_cmp_gt_u32_e64 s[16:17], 16, v1
	v_mov_b32_e32 v14, 0
	v_mov_b32_e32 v12, 0
	v_lshl_or_b32 v18, v22, 9, v19
	s_waitcnt lgkmcnt(0)
	s_barrier
	s_and_saveexec_b64 s[14:15], s[16:17]
	s_cbranch_execz .LBB191_92
; %bb.87:
	v_mul_u32_u24_e32 v20, 0x210, v22
	ds_read_b128 v[11:14], v20
	ds_read_b128 v[23:26], v18 offset:64
	v_cmp_gt_u32_e64 s[12:13], 12, v1
	s_waitcnt lgkmcnt(0)
	v_mul_f64 v[27:28], v[13:14], v[25:26]
	v_mul_f64 v[25:26], v[11:12], v[25:26]
	v_fma_f64 v[11:12], v[11:12], v[23:24], -v[27:28]
	v_fma_f64 v[13:14], v[13:14], v[23:24], v[25:26]
	v_add_f64 v[11:12], v[11:12], 0
	v_add_f64 v[13:14], v[13:14], 0
	s_and_saveexec_b64 s[18:19], s[12:13]
	s_cbranch_execnz .LBB191_550
; %bb.88:
	s_or_b64 exec, exec, s[18:19]
	v_cmp_gt_u32_e64 s[12:13], 8, v1
	s_and_saveexec_b64 s[18:19], s[12:13]
	s_cbranch_execnz .LBB191_551
.LBB191_89:
	s_or_b64 exec, exec, s[18:19]
	v_cmp_gt_u32_e64 s[12:13], 4, v1
	s_and_saveexec_b64 s[18:19], s[12:13]
	s_cbranch_execz .LBB191_91
.LBB191_90:
	v_mov_b32_e32 v23, 0
	v_lshlrev_b32_e32 v20, 4, v0
	ds_read_b128 v[23:26], v23 offset:48
	ds_read_b128 v[27:30], v20 offset:1600
	s_waitcnt lgkmcnt(0)
	v_mul_f64 v[31:32], v[25:26], v[29:30]
	v_mul_f64 v[29:30], v[23:24], v[29:30]
	v_fma_f64 v[23:24], v[23:24], v[27:28], -v[31:32]
	v_fma_f64 v[25:26], v[25:26], v[27:28], v[29:30]
	v_add_f64 v[11:12], v[11:12], v[23:24]
	v_add_f64 v[13:14], v[13:14], v[25:26]
.LBB191_91:
	s_or_b64 exec, exec, s[18:19]
	v_xor_b32_e32 v12, 0x80000000, v12
	v_xor_b32_e32 v14, 0x80000000, v14
.LBB191_92:
	v_writelane_b32 v43, s48, 1
	v_writelane_b32 v43, s49, 2
	s_or_b64 exec, exec, s[14:15]
	v_mov_b32_e32 v20, 0x4000
	v_cmp_eq_u32_e64 s[12:13], 0, v21
	s_xor_b64 s[14:15], s[8:9], -1
	v_lshl_add_u32 v20, v22, 4, v20
	s_and_b64 s[48:49], s[12:13], s[14:15]
	s_and_saveexec_b64 s[8:9], s[48:49]
	s_cbranch_execz .LBB191_94
; %bb.93:
	v_mov_b32_e32 v23, 0
	ds_read_b128 v[23:26], v23 offset:2112
	s_waitcnt lgkmcnt(0)
	v_mul_f64 v[27:28], v[13:14], v[25:26]
	v_mul_f64 v[25:26], v[11:12], v[25:26]
	v_fma_f64 v[11:12], v[11:12], v[23:24], -v[27:28]
	v_fma_f64 v[13:14], v[13:14], v[23:24], v[25:26]
	ds_write_b128 v20, v[11:14]
.LBB191_94:
	s_or_b64 exec, exec, s[8:9]
	v_cmp_ne_u32_e64 s[8:9], 0, v21
	s_and_b64 s[50:51], s[8:9], s[14:15]
	s_waitcnt lgkmcnt(0)
	s_barrier
	s_and_saveexec_b64 s[8:9], s[50:51]
	s_cbranch_execz .LBB191_96
; %bb.95:
	ds_read_b128 v[23:26], v20
	ds_read_b128 v[27:30], v19 offset:2112
	s_waitcnt lgkmcnt(0)
	v_mul_f64 v[31:32], v[25:26], v[29:30]
	v_mul_f64 v[29:30], v[23:24], v[29:30]
	v_fma_f64 v[23:24], v[23:24], v[27:28], -v[31:32]
	v_fma_f64 v[25:26], v[25:26], v[27:28], v[29:30]
	v_add_f64 v[11:12], v[11:12], v[23:24]
	v_add_f64 v[13:14], v[13:14], v[25:26]
.LBB191_96:
	s_or_b64 exec, exec, s[8:9]
	v_cmp_eq_u32_e64 s[8:9], 1, v21
	s_and_b64 s[52:53], s[8:9], s[14:15]
	s_barrier
	s_and_saveexec_b64 s[8:9], s[52:53]
	s_cbranch_execz .LBB191_98
; %bb.97:
	v_mov_b32_e32 v23, 0
	ds_read_b128 v[23:26], v23 offset:2640
	s_waitcnt lgkmcnt(0)
	v_mul_f64 v[27:28], v[13:14], v[25:26]
	v_mul_f64 v[25:26], v[11:12], v[25:26]
	v_fma_f64 v[11:12], v[11:12], v[23:24], -v[27:28]
	v_fma_f64 v[13:14], v[13:14], v[23:24], v[25:26]
	ds_write_b128 v20, v[11:14]
.LBB191_98:
	s_or_b64 exec, exec, s[8:9]
	v_cmp_lt_u32_e64 s[8:9], 1, v21
	s_and_b64 s[54:55], s[8:9], s[14:15]
	s_waitcnt lgkmcnt(0)
	s_barrier
	s_and_saveexec_b64 s[8:9], s[54:55]
	s_cbranch_execz .LBB191_100
; %bb.99:
	ds_read_b128 v[23:26], v20
	ds_read_b128 v[27:30], v19 offset:2624
	s_waitcnt lgkmcnt(0)
	v_mul_f64 v[31:32], v[25:26], v[29:30]
	v_mul_f64 v[29:30], v[23:24], v[29:30]
	v_fma_f64 v[23:24], v[23:24], v[27:28], -v[31:32]
	v_fma_f64 v[25:26], v[25:26], v[27:28], v[29:30]
	v_add_f64 v[11:12], v[11:12], v[23:24]
	v_add_f64 v[13:14], v[13:14], v[25:26]
.LBB191_100:
	s_or_b64 exec, exec, s[8:9]
	v_cmp_eq_u32_e64 s[8:9], 2, v21
	s_and_b64 s[56:57], s[8:9], s[14:15]
	s_barrier
	s_and_saveexec_b64 s[8:9], s[56:57]
	s_cbranch_execz .LBB191_102
; %bb.101:
	v_mov_b32_e32 v23, 0
	ds_read_b128 v[23:26], v23 offset:3168
	s_waitcnt lgkmcnt(0)
	v_mul_f64 v[27:28], v[13:14], v[25:26]
	v_mul_f64 v[25:26], v[11:12], v[25:26]
	v_fma_f64 v[11:12], v[11:12], v[23:24], -v[27:28]
	v_fma_f64 v[13:14], v[13:14], v[23:24], v[25:26]
	ds_write_b128 v20, v[11:14]
.LBB191_102:
	s_or_b64 exec, exec, s[8:9]
	v_cmp_eq_u32_e64 s[8:9], 3, v21
	s_and_b64 s[46:47], s[8:9], s[14:15]
	s_waitcnt lgkmcnt(0)
	s_barrier
	s_and_saveexec_b64 s[8:9], s[46:47]
	s_cbranch_execz .LBB191_104
; %bb.103:
	v_mov_b32_e32 v27, 0
	ds_read_b128 v[23:26], v20
	ds_read_b128 v[27:30], v27 offset:3184
	s_waitcnt lgkmcnt(0)
	v_mul_f64 v[31:32], v[25:26], v[29:30]
	v_mul_f64 v[29:30], v[23:24], v[29:30]
	v_fma_f64 v[23:24], v[23:24], v[27:28], -v[31:32]
	v_fma_f64 v[25:26], v[25:26], v[27:28], v[29:30]
	v_add_f64 v[11:12], v[11:12], v[23:24]
	v_add_f64 v[13:14], v[13:14], v[25:26]
.LBB191_104:
	s_or_b64 exec, exec, s[8:9]
	s_barrier
	s_and_saveexec_b64 s[8:9], s[46:47]
	s_cbranch_execz .LBB191_106
; %bb.105:
	v_mov_b32_e32 v23, 0
	ds_read_b128 v[23:26], v23 offset:3696
	s_waitcnt lgkmcnt(0)
	v_mul_f64 v[27:28], v[13:14], v[25:26]
	v_mul_f64 v[25:26], v[11:12], v[25:26]
	v_fma_f64 v[11:12], v[11:12], v[23:24], -v[27:28]
	v_fma_f64 v[13:14], v[13:14], v[23:24], v[25:26]
	ds_write_b128 v20, v[11:14]
.LBB191_106:
	s_or_b64 exec, exec, s[8:9]
	s_waitcnt lgkmcnt(0)
	s_barrier
	s_barrier
	s_and_saveexec_b64 s[8:9], s[16:17]
; %bb.107:
	v_xor_b32_e32 v14, 0x80000000, v14
	v_xor_b32_e32 v12, 0x80000000, v12
	ds_write_b128 v18, v[11:14] offset:64
; %bb.108:
	s_or_b64 exec, exec, s[8:9]
	v_cmp_gt_u32_e64 s[8:9], 4, v0
	s_and_b64 s[58:59], s[10:11], s[8:9]
	s_waitcnt lgkmcnt(0)
	s_barrier
	s_barrier
	s_and_saveexec_b64 s[8:9], s[58:59]
	s_cbranch_execz .LBB191_110
; %bb.109:
	v_lshlrev_b32_e32 v23, 4, v0
	s_movk_i32 s0, 0x1f0
	v_mad_u32_u24 v24, v0, s0, v23
	ds_read_b128 v[11:14], v24 offset:64
	s_waitcnt lgkmcnt(0)
	ds_write_b128 v23, v[11:14] offset:2048
	ds_read_b128 v[11:14], v24 offset:80
	s_waitcnt lgkmcnt(0)
	ds_write_b128 v23, v[11:14] offset:2560
	;; [unrolled: 3-line block ×4, first 2 shown]
.LBB191_110:
	s_or_b64 exec, exec, s[8:9]
	s_waitcnt lgkmcnt(0)
	s_barrier
	s_and_saveexec_b64 s[8:9], vcc
	s_cbranch_execz .LBB191_112
; %bb.111:
	v_mov_b32_e32 v33, 0
	ds_read_b128 v[11:14], v33 offset:2640
	ds_read_b128 v[23:26], v33 offset:2112
	;; [unrolled: 1-line block ×3, first 2 shown]
	s_waitcnt lgkmcnt(1)
	v_mul_f64 v[31:32], v[11:12], v[25:26]
	v_mul_f64 v[25:26], v[13:14], v[25:26]
	v_fma_f64 v[13:14], v[13:14], v[23:24], v[31:32]
	v_fma_f64 v[11:12], v[11:12], v[23:24], -v[25:26]
	s_waitcnt lgkmcnt(0)
	v_mul_f64 v[23:24], v[13:14], v[29:30]
	v_mul_f64 v[25:26], v[11:12], v[29:30]
	v_fma_f64 v[11:12], v[27:28], v[11:12], -v[23:24]
	v_fma_f64 v[13:14], v[27:28], v[13:14], v[25:26]
	ds_write_b128 v33, v[11:14] offset:2128
	ds_write_b128 v33, v[11:14] offset:2624
.LBB191_112:
	s_or_b64 exec, exec, s[8:9]
	v_mov_b32_e32 v13, 0
	v_mov_b32_e32 v11, 0
	;; [unrolled: 1-line block ×4, first 2 shown]
	s_waitcnt lgkmcnt(0)
	s_barrier
	s_and_saveexec_b64 s[12:13], s[2:3]
	s_cbranch_execz .LBB191_116
; %bb.113:
	v_mul_u32_u24_e32 v11, 0x210, v17
	ds_read_b128 v[11:14], v11 offset:2112
	ds_read_b128 v[23:26], v15 offset:2144
	v_cmp_gt_u32_e64 s[8:9], 2, v1
	s_waitcnt lgkmcnt(0)
	v_mul_f64 v[27:28], v[13:14], v[25:26]
	v_mul_f64 v[25:26], v[11:12], v[25:26]
	v_fma_f64 v[11:12], v[11:12], v[23:24], -v[27:28]
	v_fma_f64 v[13:14], v[13:14], v[23:24], v[25:26]
	v_add_f64 v[11:12], v[11:12], 0
	v_add_f64 v[13:14], v[13:14], 0
	s_and_saveexec_b64 s[14:15], s[8:9]
	s_cbranch_execz .LBB191_115
; %bb.114:
	v_lshlrev_b32_e32 v27, 4, v0
	v_mov_b32_e32 v23, 0
	ds_read_b128 v[23:26], v23 offset:2128
	ds_read_b128 v[27:30], v27 offset:2656
	s_waitcnt lgkmcnt(0)
	v_mul_f64 v[31:32], v[25:26], v[29:30]
	v_mul_f64 v[29:30], v[23:24], v[29:30]
	v_fma_f64 v[23:24], v[23:24], v[27:28], -v[31:32]
	v_fma_f64 v[25:26], v[25:26], v[27:28], v[29:30]
	v_add_f64 v[11:12], v[11:12], v[23:24]
	v_add_f64 v[13:14], v[13:14], v[25:26]
.LBB191_115:
	s_or_b64 exec, exec, s[14:15]
	v_xor_b32_e32 v12, 0x80000000, v12
	v_xor_b32_e32 v14, 0x80000000, v14
.LBB191_116:
	s_or_b64 exec, exec, s[12:13]
	s_and_saveexec_b64 s[8:9], s[42:43]
	s_cbranch_execz .LBB191_118
; %bb.117:
	v_mov_b32_e32 v23, 0
	ds_read_b128 v[23:26], v23 offset:3168
	s_waitcnt lgkmcnt(0)
	v_mul_f64 v[27:28], v[13:14], v[25:26]
	v_mul_f64 v[25:26], v[11:12], v[25:26]
	v_fma_f64 v[11:12], v[11:12], v[23:24], -v[27:28]
	v_fma_f64 v[13:14], v[13:14], v[23:24], v[25:26]
	ds_write_b128 v16, v[11:14]
.LBB191_118:
	s_or_b64 exec, exec, s[8:9]
	s_waitcnt lgkmcnt(0)
	s_barrier
	s_and_saveexec_b64 s[8:9], s[40:41]
	s_cbranch_execz .LBB191_120
; %bb.119:
	v_mov_b32_e32 v27, 0
	ds_read_b128 v[23:26], v16
	ds_read_b128 v[27:30], v27 offset:3184
	s_waitcnt lgkmcnt(0)
	v_mul_f64 v[31:32], v[25:26], v[29:30]
	v_mul_f64 v[29:30], v[23:24], v[29:30]
	v_fma_f64 v[23:24], v[23:24], v[27:28], -v[31:32]
	v_fma_f64 v[25:26], v[25:26], v[27:28], v[29:30]
	v_add_f64 v[11:12], v[11:12], v[23:24]
	v_add_f64 v[13:14], v[13:14], v[25:26]
.LBB191_120:
	s_or_b64 exec, exec, s[8:9]
	s_barrier
	s_and_saveexec_b64 s[8:9], s[40:41]
	s_cbranch_execz .LBB191_122
; %bb.121:
	v_mov_b32_e32 v23, 0
	ds_read_b128 v[23:26], v23 offset:3696
	s_waitcnt lgkmcnt(0)
	v_mul_f64 v[27:28], v[13:14], v[25:26]
	v_mul_f64 v[25:26], v[11:12], v[25:26]
	v_fma_f64 v[11:12], v[11:12], v[23:24], -v[27:28]
	v_fma_f64 v[13:14], v[13:14], v[23:24], v[25:26]
	ds_write_b128 v16, v[11:14]
.LBB191_122:
	s_or_b64 exec, exec, s[8:9]
	s_waitcnt lgkmcnt(0)
	s_barrier
	s_barrier
	s_and_saveexec_b64 s[8:9], s[2:3]
; %bb.123:
	v_xor_b32_e32 v12, 0x80000000, v12
	v_xor_b32_e32 v14, 0x80000000, v14
	ds_write_b128 v15, v[11:14] offset:2144
; %bb.124:
	s_or_b64 exec, exec, s[8:9]
	s_waitcnt lgkmcnt(0)
	s_barrier
	s_barrier
	s_and_saveexec_b64 s[8:9], s[44:45]
	s_cbranch_execz .LBB191_126
; %bb.125:
	v_lshlrev_b32_e32 v23, 9, v0
	ds_read_b128 v[11:14], v23 offset:2144
	s_movk_i32 s0, 0xfe10
	v_mad_i32_i24 v24, v0, s0, v23
	s_waitcnt lgkmcnt(0)
	ds_write_b128 v24, v[11:14] offset:3136
	ds_read_b128 v[11:14], v23 offset:2160
	s_waitcnt lgkmcnt(0)
	ds_write_b128 v24, v[11:14] offset:3648
.LBB191_126:
	s_or_b64 exec, exec, s[8:9]
	s_waitcnt lgkmcnt(0)
	s_barrier
	s_and_saveexec_b64 s[8:9], vcc
	s_cbranch_execz .LBB191_128
; %bb.127:
	v_mov_b32_e32 v33, 0
	ds_read_b128 v[11:14], v33 offset:3696
	ds_read_b128 v[23:26], v33 offset:3168
	;; [unrolled: 1-line block ×3, first 2 shown]
	s_waitcnt lgkmcnt(1)
	v_mul_f64 v[31:32], v[11:12], v[25:26]
	v_mul_f64 v[25:26], v[13:14], v[25:26]
	v_fma_f64 v[13:14], v[13:14], v[23:24], v[31:32]
	v_fma_f64 v[11:12], v[11:12], v[23:24], -v[25:26]
	s_waitcnt lgkmcnt(0)
	v_mul_f64 v[23:24], v[13:14], v[29:30]
	v_mul_f64 v[25:26], v[11:12], v[29:30]
	v_fma_f64 v[11:12], v[27:28], v[11:12], -v[23:24]
	v_fma_f64 v[13:14], v[27:28], v[13:14], v[25:26]
	ds_write_b128 v33, v[11:14] offset:3184
	ds_write_b128 v33, v[11:14] offset:3680
.LBB191_128:
	s_or_b64 exec, exec, s[8:9]
	v_and_b32_e32 v26, 7, v0
	v_lshrrev_b32_e32 v27, 3, v1
	v_lshlrev_b32_e32 v24, 4, v26
	v_mov_b32_e32 v13, 0
	v_mov_b32_e32 v11, 0
	v_cmp_lt_u32_e64 s[12:13], 63, v1
	v_cmp_gt_u32_e64 s[8:9], 64, v1
	v_mov_b32_e32 v14, 0
	v_mov_b32_e32 v12, 0
	v_lshl_or_b32 v23, v27, 9, v24
	s_waitcnt lgkmcnt(0)
	s_barrier
	s_and_saveexec_b64 s[18:19], s[8:9]
	s_cbranch_execz .LBB191_138
; %bb.129:
	v_mul_u32_u24_e32 v25, 0x210, v27
	ds_read_b128 v[11:14], v25
	ds_read_b128 v[28:31], v23 offset:128
	v_cmp_gt_u32_e64 s[14:15], 56, v1
	s_waitcnt lgkmcnt(0)
	v_mul_f64 v[32:33], v[13:14], v[30:31]
	v_mul_f64 v[30:31], v[11:12], v[30:31]
	v_fma_f64 v[11:12], v[11:12], v[28:29], -v[32:33]
	v_fma_f64 v[13:14], v[13:14], v[28:29], v[30:31]
	v_add_f64 v[11:12], v[11:12], 0
	v_add_f64 v[13:14], v[13:14], 0
	s_and_saveexec_b64 s[60:61], s[14:15]
	s_cbranch_execnz .LBB191_552
; %bb.130:
	s_or_b64 exec, exec, s[60:61]
	v_cmp_gt_u32_e64 s[14:15], 48, v1
	s_and_saveexec_b64 s[60:61], s[14:15]
	s_cbranch_execnz .LBB191_553
.LBB191_131:
	s_or_b64 exec, exec, s[60:61]
	v_cmp_gt_u32_e64 s[14:15], 40, v1
	s_and_saveexec_b64 s[60:61], s[14:15]
	s_cbranch_execnz .LBB191_554
.LBB191_132:
	s_or_b64 exec, exec, s[60:61]
	v_cmp_gt_u32_e64 s[14:15], 32, v1
	s_and_saveexec_b64 s[60:61], s[14:15]
	s_cbranch_execnz .LBB191_555
.LBB191_133:
	s_or_b64 exec, exec, s[60:61]
	v_cmp_gt_u32_e64 s[14:15], 24, v1
	s_and_saveexec_b64 s[60:61], s[14:15]
	s_cbranch_execnz .LBB191_556
.LBB191_134:
	s_or_b64 exec, exec, s[60:61]
	v_cmp_gt_u32_e64 s[14:15], 16, v1
	s_and_saveexec_b64 s[60:61], s[14:15]
	s_cbranch_execnz .LBB191_557
.LBB191_135:
	s_or_b64 exec, exec, s[60:61]
	v_cmp_gt_u32_e64 s[14:15], 8, v1
	s_and_saveexec_b64 s[60:61], s[14:15]
	s_cbranch_execz .LBB191_137
.LBB191_136:
	v_mov_b32_e32 v28, 0
	v_lshlrev_b32_e32 v25, 4, v0
	ds_read_b128 v[28:31], v28 offset:112
	ds_read_b128 v[32:35], v25 offset:3712
	s_waitcnt lgkmcnt(0)
	v_mul_f64 v[36:37], v[30:31], v[34:35]
	v_mul_f64 v[34:35], v[28:29], v[34:35]
	v_fma_f64 v[28:29], v[28:29], v[32:33], -v[36:37]
	v_fma_f64 v[30:31], v[30:31], v[32:33], v[34:35]
	v_add_f64 v[11:12], v[11:12], v[28:29]
	v_add_f64 v[13:14], v[13:14], v[30:31]
.LBB191_137:
	s_or_b64 exec, exec, s[60:61]
	v_xor_b32_e32 v12, 0x80000000, v12
	v_xor_b32_e32 v14, 0x80000000, v14
.LBB191_138:
	s_or_b64 exec, exec, s[18:19]
	v_mov_b32_e32 v25, 0x4000
	v_cmp_eq_u32_e64 s[14:15], 0, v26
	s_xor_b64 s[18:19], s[12:13], -1
	v_lshl_add_u32 v25, v27, 4, v25
	s_and_b64 s[0:1], s[14:15], s[18:19]
	s_and_saveexec_b64 s[12:13], s[0:1]
	s_cbranch_execz .LBB191_140
; %bb.139:
	v_mov_b32_e32 v28, 0
	ds_read_b128 v[28:31], v28 offset:4224
	s_waitcnt lgkmcnt(0)
	v_mul_f64 v[32:33], v[13:14], v[30:31]
	v_mul_f64 v[30:31], v[11:12], v[30:31]
	v_fma_f64 v[11:12], v[11:12], v[28:29], -v[32:33]
	v_fma_f64 v[13:14], v[13:14], v[28:29], v[30:31]
	ds_write_b128 v25, v[11:14]
.LBB191_140:
	s_or_b64 exec, exec, s[12:13]
	v_cmp_ne_u32_e64 s[12:13], 0, v26
	s_and_b64 s[64:65], s[12:13], s[18:19]
	s_waitcnt lgkmcnt(0)
	s_barrier
	s_and_saveexec_b64 s[12:13], s[64:65]
	s_cbranch_execz .LBB191_142
; %bb.141:
	ds_read_b128 v[28:31], v25
	ds_read_b128 v[32:35], v24 offset:4224
	s_waitcnt lgkmcnt(0)
	v_mul_f64 v[36:37], v[30:31], v[34:35]
	v_mul_f64 v[34:35], v[28:29], v[34:35]
	v_fma_f64 v[28:29], v[28:29], v[32:33], -v[36:37]
	v_fma_f64 v[30:31], v[30:31], v[32:33], v[34:35]
	v_add_f64 v[11:12], v[11:12], v[28:29]
	v_add_f64 v[13:14], v[13:14], v[30:31]
.LBB191_142:
	s_or_b64 exec, exec, s[12:13]
	v_cmp_eq_u32_e64 s[12:13], 1, v26
	s_and_b64 s[66:67], s[12:13], s[18:19]
	s_barrier
	s_and_saveexec_b64 s[12:13], s[66:67]
	s_cbranch_execz .LBB191_144
; %bb.143:
	v_mov_b32_e32 v28, 0
	ds_read_b128 v[28:31], v28 offset:4752
	s_waitcnt lgkmcnt(0)
	v_mul_f64 v[32:33], v[13:14], v[30:31]
	v_mul_f64 v[30:31], v[11:12], v[30:31]
	v_fma_f64 v[11:12], v[11:12], v[28:29], -v[32:33]
	v_fma_f64 v[13:14], v[13:14], v[28:29], v[30:31]
	ds_write_b128 v25, v[11:14]
.LBB191_144:
	s_or_b64 exec, exec, s[12:13]
	v_cmp_lt_u32_e64 s[12:13], 1, v26
	s_and_b64 s[68:69], s[12:13], s[18:19]
	s_waitcnt lgkmcnt(0)
	s_barrier
	s_and_saveexec_b64 s[12:13], s[68:69]
	s_cbranch_execz .LBB191_146
; %bb.145:
	ds_read_b128 v[28:31], v25
	ds_read_b128 v[32:35], v24 offset:4736
	s_waitcnt lgkmcnt(0)
	v_mul_f64 v[36:37], v[30:31], v[34:35]
	v_mul_f64 v[34:35], v[28:29], v[34:35]
	v_fma_f64 v[28:29], v[28:29], v[32:33], -v[36:37]
	v_fma_f64 v[30:31], v[30:31], v[32:33], v[34:35]
	v_add_f64 v[11:12], v[11:12], v[28:29]
	v_add_f64 v[13:14], v[13:14], v[30:31]
.LBB191_146:
	s_or_b64 exec, exec, s[12:13]
	v_cmp_eq_u32_e64 s[12:13], 2, v26
	s_and_b64 s[70:71], s[12:13], s[18:19]
	s_barrier
	s_and_saveexec_b64 s[12:13], s[70:71]
	s_cbranch_execz .LBB191_148
; %bb.147:
	v_mov_b32_e32 v28, 0
	ds_read_b128 v[28:31], v28 offset:5280
	s_waitcnt lgkmcnt(0)
	v_mul_f64 v[32:33], v[13:14], v[30:31]
	v_mul_f64 v[30:31], v[11:12], v[30:31]
	v_fma_f64 v[11:12], v[11:12], v[28:29], -v[32:33]
	v_fma_f64 v[13:14], v[13:14], v[28:29], v[30:31]
	ds_write_b128 v25, v[11:14]
.LBB191_148:
	s_or_b64 exec, exec, s[12:13]
	v_cmp_lt_u32_e64 s[12:13], 2, v26
	;; [unrolled: 34-line block ×5, first 2 shown]
	s_and_b64 s[84:85], s[12:13], s[18:19]
	s_waitcnt lgkmcnt(0)
	s_barrier
	s_and_saveexec_b64 s[12:13], s[84:85]
	s_cbranch_execz .LBB191_162
; %bb.161:
	ds_read_b128 v[28:31], v25
	ds_read_b128 v[32:35], v24 offset:6784
	s_waitcnt lgkmcnt(0)
	v_mul_f64 v[36:37], v[30:31], v[34:35]
	v_mul_f64 v[34:35], v[28:29], v[34:35]
	v_fma_f64 v[28:29], v[28:29], v[32:33], -v[36:37]
	v_fma_f64 v[30:31], v[30:31], v[32:33], v[34:35]
	v_add_f64 v[11:12], v[11:12], v[28:29]
	v_add_f64 v[13:14], v[13:14], v[30:31]
.LBB191_162:
	s_or_b64 exec, exec, s[12:13]
	v_cmp_eq_u32_e64 s[12:13], 6, v26
	s_and_b64 s[86:87], s[12:13], s[18:19]
	s_barrier
	s_and_saveexec_b64 s[12:13], s[86:87]
	s_cbranch_execz .LBB191_164
; %bb.163:
	v_mov_b32_e32 v28, 0
	ds_read_b128 v[28:31], v28 offset:7392
	s_waitcnt lgkmcnt(0)
	v_mul_f64 v[32:33], v[13:14], v[30:31]
	v_mul_f64 v[30:31], v[11:12], v[30:31]
	v_fma_f64 v[11:12], v[11:12], v[28:29], -v[32:33]
	v_fma_f64 v[13:14], v[13:14], v[28:29], v[30:31]
	ds_write_b128 v25, v[11:14]
.LBB191_164:
	s_or_b64 exec, exec, s[12:13]
	v_cmp_eq_u32_e64 s[12:13], 7, v26
	s_and_b64 s[60:61], s[12:13], s[18:19]
	s_waitcnt lgkmcnt(0)
	s_barrier
	s_and_saveexec_b64 s[12:13], s[60:61]
	s_cbranch_execz .LBB191_166
; %bb.165:
	v_mov_b32_e32 v32, 0
	ds_read_b128 v[28:31], v25
	ds_read_b128 v[32:35], v32 offset:7408
	s_waitcnt lgkmcnt(0)
	v_mul_f64 v[36:37], v[30:31], v[34:35]
	v_mul_f64 v[34:35], v[28:29], v[34:35]
	v_fma_f64 v[28:29], v[28:29], v[32:33], -v[36:37]
	v_fma_f64 v[30:31], v[30:31], v[32:33], v[34:35]
	v_add_f64 v[11:12], v[11:12], v[28:29]
	v_add_f64 v[13:14], v[13:14], v[30:31]
.LBB191_166:
	s_or_b64 exec, exec, s[12:13]
	s_barrier
	s_and_saveexec_b64 s[12:13], s[60:61]
	s_cbranch_execz .LBB191_168
; %bb.167:
	v_mov_b32_e32 v28, 0
	ds_read_b128 v[28:31], v28 offset:7920
	s_waitcnt lgkmcnt(0)
	v_mul_f64 v[32:33], v[13:14], v[30:31]
	v_mul_f64 v[30:31], v[11:12], v[30:31]
	v_fma_f64 v[11:12], v[11:12], v[28:29], -v[32:33]
	v_fma_f64 v[13:14], v[13:14], v[28:29], v[30:31]
	ds_write_b128 v25, v[11:14]
.LBB191_168:
	s_or_b64 exec, exec, s[12:13]
	s_waitcnt lgkmcnt(0)
	s_barrier
	s_barrier
	s_and_saveexec_b64 s[12:13], s[8:9]
; %bb.169:
	v_xor_b32_e32 v12, 0x80000000, v12
	v_xor_b32_e32 v14, 0x80000000, v14
	ds_write_b128 v23, v[11:14] offset:128
; %bb.170:
	s_or_b64 exec, exec, s[12:13]
	v_cmp_gt_u32_e64 s[12:13], 8, v0
	s_and_b64 s[88:89], s[10:11], s[12:13]
	s_waitcnt lgkmcnt(0)
	s_barrier
	s_barrier
	s_and_saveexec_b64 s[12:13], s[88:89]
	s_cbranch_execz .LBB191_172
; %bb.171:
	v_lshlrev_b32_e32 v28, 9, v0
	ds_read_b128 v[11:14], v28 offset:128
	s_movk_i32 s14, 0xfe10
	v_mad_i32_i24 v29, v0, s14, v28
	s_waitcnt lgkmcnt(0)
	ds_write_b128 v29, v[11:14] offset:4096
	ds_read_b128 v[11:14], v28 offset:144
	s_waitcnt lgkmcnt(0)
	ds_write_b128 v29, v[11:14] offset:4608
	ds_read_b128 v[11:14], v28 offset:160
	;; [unrolled: 3-line block ×7, first 2 shown]
	s_waitcnt lgkmcnt(0)
	ds_write_b128 v29, v[11:14] offset:7680
.LBB191_172:
	s_or_b64 exec, exec, s[12:13]
	s_waitcnt lgkmcnt(0)
	s_barrier
	s_and_saveexec_b64 s[12:13], vcc
	s_cbranch_execz .LBB191_174
; %bb.173:
	v_mov_b32_e32 v38, 0
	ds_read_b128 v[11:14], v38 offset:4752
	ds_read_b128 v[28:31], v38 offset:4224
	;; [unrolled: 1-line block ×3, first 2 shown]
	s_waitcnt lgkmcnt(1)
	v_mul_f64 v[36:37], v[11:12], v[30:31]
	v_mul_f64 v[30:31], v[13:14], v[30:31]
	v_fma_f64 v[13:14], v[13:14], v[28:29], v[36:37]
	v_fma_f64 v[11:12], v[11:12], v[28:29], -v[30:31]
	s_waitcnt lgkmcnt(0)
	v_mul_f64 v[28:29], v[13:14], v[34:35]
	v_mul_f64 v[30:31], v[11:12], v[34:35]
	v_fma_f64 v[11:12], v[32:33], v[11:12], -v[28:29]
	v_fma_f64 v[13:14], v[32:33], v[13:14], v[30:31]
	ds_write_b128 v38, v[11:14] offset:4240
	ds_write_b128 v38, v[11:14] offset:4736
.LBB191_174:
	s_or_b64 exec, exec, s[12:13]
	v_mov_b32_e32 v13, 0
	v_mov_b32_e32 v11, 0
	v_mov_b32_e32 v14, 0
	v_mov_b32_e32 v12, 0
	s_waitcnt lgkmcnt(0)
	s_barrier
	s_and_saveexec_b64 s[14:15], s[2:3]
	s_cbranch_execz .LBB191_178
; %bb.175:
	v_mul_u32_u24_e32 v11, 0x210, v17
	ds_read_b128 v[11:14], v11 offset:4224
	ds_read_b128 v[28:31], v15 offset:4256
	v_cmp_gt_u32_e64 s[12:13], 2, v1
	s_waitcnt lgkmcnt(0)
	v_mul_f64 v[32:33], v[13:14], v[30:31]
	v_mul_f64 v[30:31], v[11:12], v[30:31]
	v_fma_f64 v[11:12], v[11:12], v[28:29], -v[32:33]
	v_fma_f64 v[13:14], v[13:14], v[28:29], v[30:31]
	v_add_f64 v[11:12], v[11:12], 0
	v_add_f64 v[13:14], v[13:14], 0
	s_and_saveexec_b64 s[18:19], s[12:13]
	s_cbranch_execz .LBB191_177
; %bb.176:
	v_lshlrev_b32_e32 v32, 4, v0
	v_mov_b32_e32 v28, 0
	ds_read_b128 v[28:31], v28 offset:4240
	ds_read_b128 v[32:35], v32 offset:4768
	s_waitcnt lgkmcnt(0)
	v_mul_f64 v[36:37], v[30:31], v[34:35]
	v_mul_f64 v[34:35], v[28:29], v[34:35]
	v_fma_f64 v[28:29], v[28:29], v[32:33], -v[36:37]
	v_fma_f64 v[30:31], v[30:31], v[32:33], v[34:35]
	v_add_f64 v[11:12], v[11:12], v[28:29]
	v_add_f64 v[13:14], v[13:14], v[30:31]
.LBB191_177:
	s_or_b64 exec, exec, s[18:19]
	v_xor_b32_e32 v12, 0x80000000, v12
	v_xor_b32_e32 v14, 0x80000000, v14
.LBB191_178:
	s_or_b64 exec, exec, s[14:15]
	s_and_saveexec_b64 s[12:13], s[42:43]
	s_cbranch_execz .LBB191_180
; %bb.179:
	v_mov_b32_e32 v28, 0
	ds_read_b128 v[28:31], v28 offset:5280
	s_waitcnt lgkmcnt(0)
	v_mul_f64 v[32:33], v[13:14], v[30:31]
	v_mul_f64 v[30:31], v[11:12], v[30:31]
	v_fma_f64 v[11:12], v[11:12], v[28:29], -v[32:33]
	v_fma_f64 v[13:14], v[13:14], v[28:29], v[30:31]
	ds_write_b128 v16, v[11:14]
.LBB191_180:
	s_or_b64 exec, exec, s[12:13]
	s_waitcnt lgkmcnt(0)
	s_barrier
	s_and_saveexec_b64 s[12:13], s[40:41]
	s_cbranch_execz .LBB191_182
; %bb.181:
	v_mov_b32_e32 v32, 0
	ds_read_b128 v[28:31], v16
	ds_read_b128 v[32:35], v32 offset:5296
	s_waitcnt lgkmcnt(0)
	v_mul_f64 v[36:37], v[30:31], v[34:35]
	v_mul_f64 v[34:35], v[28:29], v[34:35]
	v_fma_f64 v[28:29], v[28:29], v[32:33], -v[36:37]
	v_fma_f64 v[30:31], v[30:31], v[32:33], v[34:35]
	v_add_f64 v[11:12], v[11:12], v[28:29]
	v_add_f64 v[13:14], v[13:14], v[30:31]
.LBB191_182:
	s_or_b64 exec, exec, s[12:13]
	s_barrier
	s_and_saveexec_b64 s[12:13], s[40:41]
	s_cbranch_execz .LBB191_184
; %bb.183:
	v_mov_b32_e32 v28, 0
	ds_read_b128 v[28:31], v28 offset:5808
	s_waitcnt lgkmcnt(0)
	v_mul_f64 v[32:33], v[13:14], v[30:31]
	v_mul_f64 v[30:31], v[11:12], v[30:31]
	v_fma_f64 v[11:12], v[11:12], v[28:29], -v[32:33]
	v_fma_f64 v[13:14], v[13:14], v[28:29], v[30:31]
	ds_write_b128 v16, v[11:14]
.LBB191_184:
	s_or_b64 exec, exec, s[12:13]
	s_waitcnt lgkmcnt(0)
	s_barrier
	s_barrier
	s_and_saveexec_b64 s[12:13], s[2:3]
; %bb.185:
	v_xor_b32_e32 v12, 0x80000000, v12
	v_xor_b32_e32 v14, 0x80000000, v14
	ds_write_b128 v15, v[11:14] offset:4256
; %bb.186:
	s_or_b64 exec, exec, s[12:13]
	s_waitcnt lgkmcnt(0)
	s_barrier
	s_barrier
	s_and_saveexec_b64 s[12:13], s[44:45]
	s_cbranch_execz .LBB191_188
; %bb.187:
	v_lshlrev_b32_e32 v28, 9, v0
	ds_read_b128 v[11:14], v28 offset:4256
	s_movk_i32 s14, 0xfe10
	v_mad_i32_i24 v29, v0, s14, v28
	s_waitcnt lgkmcnt(0)
	ds_write_b128 v29, v[11:14] offset:5248
	ds_read_b128 v[11:14], v28 offset:4272
	s_waitcnt lgkmcnt(0)
	ds_write_b128 v29, v[11:14] offset:5760
.LBB191_188:
	s_or_b64 exec, exec, s[12:13]
	s_waitcnt lgkmcnt(0)
	s_barrier
	s_and_saveexec_b64 s[12:13], vcc
	s_cbranch_execz .LBB191_190
; %bb.189:
	v_mov_b32_e32 v38, 0
	ds_read_b128 v[11:14], v38 offset:5808
	ds_read_b128 v[28:31], v38 offset:5280
	;; [unrolled: 1-line block ×3, first 2 shown]
	s_waitcnt lgkmcnt(1)
	v_mul_f64 v[36:37], v[11:12], v[30:31]
	v_mul_f64 v[30:31], v[13:14], v[30:31]
	v_fma_f64 v[13:14], v[13:14], v[28:29], v[36:37]
	v_fma_f64 v[11:12], v[11:12], v[28:29], -v[30:31]
	s_waitcnt lgkmcnt(0)
	v_mul_f64 v[28:29], v[13:14], v[34:35]
	v_mul_f64 v[30:31], v[11:12], v[34:35]
	v_fma_f64 v[11:12], v[32:33], v[11:12], -v[28:29]
	v_fma_f64 v[13:14], v[32:33], v[13:14], v[30:31]
	ds_write_b128 v38, v[11:14] offset:5296
	ds_write_b128 v38, v[11:14] offset:5792
.LBB191_190:
	s_or_b64 exec, exec, s[12:13]
	v_mov_b32_e32 v13, 0
	v_mov_b32_e32 v11, 0
	;; [unrolled: 1-line block ×4, first 2 shown]
	s_waitcnt lgkmcnt(0)
	s_barrier
	s_and_saveexec_b64 s[14:15], s[16:17]
	s_cbranch_execz .LBB191_196
; %bb.191:
	v_mul_u32_u24_e32 v28, 0x210, v22
	ds_read_b128 v[11:14], v28 offset:4224
	ds_read_b128 v[29:32], v18 offset:4288
	v_cmp_gt_u32_e64 s[12:13], 12, v1
	s_waitcnt lgkmcnt(0)
	v_mul_f64 v[33:34], v[13:14], v[31:32]
	v_mul_f64 v[31:32], v[11:12], v[31:32]
	v_fma_f64 v[11:12], v[11:12], v[29:30], -v[33:34]
	v_fma_f64 v[13:14], v[13:14], v[29:30], v[31:32]
	v_add_f64 v[11:12], v[11:12], 0
	v_add_f64 v[13:14], v[13:14], 0
	s_and_saveexec_b64 s[18:19], s[12:13]
	s_cbranch_execnz .LBB191_558
; %bb.192:
	s_or_b64 exec, exec, s[18:19]
	v_cmp_gt_u32_e64 s[12:13], 8, v1
	s_and_saveexec_b64 s[18:19], s[12:13]
	s_cbranch_execnz .LBB191_559
.LBB191_193:
	s_or_b64 exec, exec, s[18:19]
	v_cmp_gt_u32_e64 s[12:13], 4, v1
	s_and_saveexec_b64 s[18:19], s[12:13]
	s_cbranch_execz .LBB191_195
.LBB191_194:
	v_lshlrev_b32_e32 v32, 4, v0
	v_mov_b32_e32 v28, 0
	ds_read_b128 v[28:31], v28 offset:4272
	ds_read_b128 v[32:35], v32 offset:5824
	s_waitcnt lgkmcnt(0)
	v_mul_f64 v[36:37], v[30:31], v[34:35]
	v_mul_f64 v[34:35], v[28:29], v[34:35]
	v_fma_f64 v[28:29], v[28:29], v[32:33], -v[36:37]
	v_fma_f64 v[30:31], v[30:31], v[32:33], v[34:35]
	v_add_f64 v[11:12], v[11:12], v[28:29]
	v_add_f64 v[13:14], v[13:14], v[30:31]
.LBB191_195:
	s_or_b64 exec, exec, s[18:19]
	v_xor_b32_e32 v12, 0x80000000, v12
	v_xor_b32_e32 v14, 0x80000000, v14
.LBB191_196:
	s_or_b64 exec, exec, s[14:15]
	s_and_saveexec_b64 s[12:13], s[48:49]
	s_cbranch_execz .LBB191_198
; %bb.197:
	v_mov_b32_e32 v28, 0
	ds_read_b128 v[28:31], v28 offset:6336
	s_waitcnt lgkmcnt(0)
	v_mul_f64 v[32:33], v[13:14], v[30:31]
	v_mul_f64 v[30:31], v[11:12], v[30:31]
	v_fma_f64 v[11:12], v[11:12], v[28:29], -v[32:33]
	v_fma_f64 v[13:14], v[13:14], v[28:29], v[30:31]
	ds_write_b128 v20, v[11:14]
.LBB191_198:
	s_or_b64 exec, exec, s[12:13]
	s_waitcnt lgkmcnt(0)
	s_barrier
	s_and_saveexec_b64 s[12:13], s[50:51]
	s_cbranch_execz .LBB191_200
; %bb.199:
	ds_read_b128 v[28:31], v20
	ds_read_b128 v[32:35], v19 offset:6336
	s_waitcnt lgkmcnt(0)
	v_mul_f64 v[36:37], v[30:31], v[34:35]
	v_mul_f64 v[34:35], v[28:29], v[34:35]
	v_fma_f64 v[28:29], v[28:29], v[32:33], -v[36:37]
	v_fma_f64 v[30:31], v[30:31], v[32:33], v[34:35]
	v_add_f64 v[11:12], v[11:12], v[28:29]
	v_add_f64 v[13:14], v[13:14], v[30:31]
.LBB191_200:
	s_or_b64 exec, exec, s[12:13]
	s_barrier
	s_and_saveexec_b64 s[12:13], s[52:53]
	s_cbranch_execz .LBB191_202
; %bb.201:
	v_mov_b32_e32 v28, 0
	ds_read_b128 v[28:31], v28 offset:6864
	s_waitcnt lgkmcnt(0)
	v_mul_f64 v[32:33], v[13:14], v[30:31]
	v_mul_f64 v[30:31], v[11:12], v[30:31]
	v_fma_f64 v[11:12], v[11:12], v[28:29], -v[32:33]
	v_fma_f64 v[13:14], v[13:14], v[28:29], v[30:31]
	ds_write_b128 v20, v[11:14]
.LBB191_202:
	s_or_b64 exec, exec, s[12:13]
	s_waitcnt lgkmcnt(0)
	s_barrier
	s_and_saveexec_b64 s[12:13], s[54:55]
	s_cbranch_execz .LBB191_204
; %bb.203:
	ds_read_b128 v[28:31], v20
	ds_read_b128 v[32:35], v19 offset:6848
	s_waitcnt lgkmcnt(0)
	v_mul_f64 v[36:37], v[30:31], v[34:35]
	v_mul_f64 v[34:35], v[28:29], v[34:35]
	v_fma_f64 v[28:29], v[28:29], v[32:33], -v[36:37]
	v_fma_f64 v[30:31], v[30:31], v[32:33], v[34:35]
	v_add_f64 v[11:12], v[11:12], v[28:29]
	v_add_f64 v[13:14], v[13:14], v[30:31]
.LBB191_204:
	s_or_b64 exec, exec, s[12:13]
	s_barrier
	s_and_saveexec_b64 s[12:13], s[56:57]
	s_cbranch_execz .LBB191_206
; %bb.205:
	v_mov_b32_e32 v28, 0
	ds_read_b128 v[28:31], v28 offset:7392
	s_waitcnt lgkmcnt(0)
	v_mul_f64 v[32:33], v[13:14], v[30:31]
	v_mul_f64 v[30:31], v[11:12], v[30:31]
	v_fma_f64 v[11:12], v[11:12], v[28:29], -v[32:33]
	v_fma_f64 v[13:14], v[13:14], v[28:29], v[30:31]
	ds_write_b128 v20, v[11:14]
.LBB191_206:
	s_or_b64 exec, exec, s[12:13]
	s_waitcnt lgkmcnt(0)
	s_barrier
	s_and_saveexec_b64 s[12:13], s[46:47]
	s_cbranch_execz .LBB191_208
; %bb.207:
	v_mov_b32_e32 v32, 0
	ds_read_b128 v[28:31], v20
	ds_read_b128 v[32:35], v32 offset:7408
	s_waitcnt lgkmcnt(0)
	v_mul_f64 v[36:37], v[30:31], v[34:35]
	v_mul_f64 v[34:35], v[28:29], v[34:35]
	v_fma_f64 v[28:29], v[28:29], v[32:33], -v[36:37]
	v_fma_f64 v[30:31], v[30:31], v[32:33], v[34:35]
	v_add_f64 v[11:12], v[11:12], v[28:29]
	v_add_f64 v[13:14], v[13:14], v[30:31]
.LBB191_208:
	s_or_b64 exec, exec, s[12:13]
	s_barrier
	s_and_saveexec_b64 s[12:13], s[46:47]
	s_cbranch_execz .LBB191_210
; %bb.209:
	v_mov_b32_e32 v28, 0
	ds_read_b128 v[28:31], v28 offset:7920
	s_waitcnt lgkmcnt(0)
	v_mul_f64 v[32:33], v[13:14], v[30:31]
	v_mul_f64 v[30:31], v[11:12], v[30:31]
	v_fma_f64 v[11:12], v[11:12], v[28:29], -v[32:33]
	v_fma_f64 v[13:14], v[13:14], v[28:29], v[30:31]
	ds_write_b128 v20, v[11:14]
.LBB191_210:
	s_or_b64 exec, exec, s[12:13]
	s_waitcnt lgkmcnt(0)
	s_barrier
	s_barrier
	s_and_saveexec_b64 s[12:13], s[16:17]
; %bb.211:
	v_xor_b32_e32 v14, 0x80000000, v14
	v_xor_b32_e32 v12, 0x80000000, v12
	ds_write_b128 v18, v[11:14] offset:4288
; %bb.212:
	s_or_b64 exec, exec, s[12:13]
	s_waitcnt lgkmcnt(0)
	s_barrier
	s_barrier
	s_and_saveexec_b64 s[12:13], s[58:59]
	s_cbranch_execz .LBB191_214
; %bb.213:
	v_lshlrev_b32_e32 v28, 4, v0
	s_movk_i32 s14, 0x1f0
	v_mad_u32_u24 v29, v0, s14, v28
	ds_read_b128 v[11:14], v29 offset:4288
	s_waitcnt lgkmcnt(0)
	ds_write_b128 v28, v[11:14] offset:6272
	ds_read_b128 v[11:14], v29 offset:4304
	s_waitcnt lgkmcnt(0)
	ds_write_b128 v28, v[11:14] offset:6784
	;; [unrolled: 3-line block ×4, first 2 shown]
.LBB191_214:
	s_or_b64 exec, exec, s[12:13]
	s_waitcnt lgkmcnt(0)
	s_barrier
	s_and_saveexec_b64 s[12:13], vcc
	s_cbranch_execz .LBB191_216
; %bb.215:
	v_mov_b32_e32 v38, 0
	ds_read_b128 v[11:14], v38 offset:6864
	ds_read_b128 v[28:31], v38 offset:6336
	;; [unrolled: 1-line block ×3, first 2 shown]
	s_waitcnt lgkmcnt(1)
	v_mul_f64 v[36:37], v[11:12], v[30:31]
	v_mul_f64 v[30:31], v[13:14], v[30:31]
	v_fma_f64 v[13:14], v[13:14], v[28:29], v[36:37]
	v_fma_f64 v[11:12], v[11:12], v[28:29], -v[30:31]
	s_waitcnt lgkmcnt(0)
	v_mul_f64 v[28:29], v[13:14], v[34:35]
	v_mul_f64 v[30:31], v[11:12], v[34:35]
	v_fma_f64 v[11:12], v[32:33], v[11:12], -v[28:29]
	v_fma_f64 v[13:14], v[32:33], v[13:14], v[30:31]
	ds_write_b128 v38, v[11:14] offset:6352
	ds_write_b128 v38, v[11:14] offset:6848
.LBB191_216:
	s_or_b64 exec, exec, s[12:13]
	v_mov_b32_e32 v13, 0
	v_mov_b32_e32 v11, 0
	v_mov_b32_e32 v14, 0
	v_mov_b32_e32 v12, 0
	s_waitcnt lgkmcnt(0)
	s_barrier
	s_and_saveexec_b64 s[14:15], s[2:3]
	s_cbranch_execz .LBB191_220
; %bb.217:
	v_mul_u32_u24_e32 v11, 0x210, v17
	ds_read_b128 v[11:14], v11 offset:6336
	ds_read_b128 v[28:31], v15 offset:6368
	v_cmp_gt_u32_e64 s[12:13], 2, v1
	s_waitcnt lgkmcnt(0)
	v_mul_f64 v[32:33], v[13:14], v[30:31]
	v_mul_f64 v[30:31], v[11:12], v[30:31]
	v_fma_f64 v[11:12], v[11:12], v[28:29], -v[32:33]
	v_fma_f64 v[13:14], v[13:14], v[28:29], v[30:31]
	v_add_f64 v[11:12], v[11:12], 0
	v_add_f64 v[13:14], v[13:14], 0
	s_and_saveexec_b64 s[18:19], s[12:13]
	s_cbranch_execz .LBB191_219
; %bb.218:
	v_lshlrev_b32_e32 v32, 4, v0
	v_mov_b32_e32 v28, 0
	ds_read_b128 v[28:31], v28 offset:6352
	ds_read_b128 v[32:35], v32 offset:6880
	s_waitcnt lgkmcnt(0)
	v_mul_f64 v[36:37], v[30:31], v[34:35]
	v_mul_f64 v[34:35], v[28:29], v[34:35]
	v_fma_f64 v[28:29], v[28:29], v[32:33], -v[36:37]
	v_fma_f64 v[30:31], v[30:31], v[32:33], v[34:35]
	v_add_f64 v[11:12], v[11:12], v[28:29]
	v_add_f64 v[13:14], v[13:14], v[30:31]
.LBB191_219:
	s_or_b64 exec, exec, s[18:19]
	v_xor_b32_e32 v12, 0x80000000, v12
	v_xor_b32_e32 v14, 0x80000000, v14
.LBB191_220:
	s_or_b64 exec, exec, s[14:15]
	s_and_saveexec_b64 s[12:13], s[42:43]
	s_cbranch_execz .LBB191_222
; %bb.221:
	v_mov_b32_e32 v28, 0
	ds_read_b128 v[28:31], v28 offset:7392
	s_waitcnt lgkmcnt(0)
	v_mul_f64 v[32:33], v[13:14], v[30:31]
	v_mul_f64 v[30:31], v[11:12], v[30:31]
	v_fma_f64 v[11:12], v[11:12], v[28:29], -v[32:33]
	v_fma_f64 v[13:14], v[13:14], v[28:29], v[30:31]
	ds_write_b128 v16, v[11:14]
.LBB191_222:
	s_or_b64 exec, exec, s[12:13]
	s_waitcnt lgkmcnt(0)
	s_barrier
	s_and_saveexec_b64 s[12:13], s[40:41]
	s_cbranch_execz .LBB191_224
; %bb.223:
	v_mov_b32_e32 v32, 0
	ds_read_b128 v[28:31], v16
	ds_read_b128 v[32:35], v32 offset:7408
	s_waitcnt lgkmcnt(0)
	v_mul_f64 v[36:37], v[30:31], v[34:35]
	v_mul_f64 v[34:35], v[28:29], v[34:35]
	v_fma_f64 v[28:29], v[28:29], v[32:33], -v[36:37]
	v_fma_f64 v[30:31], v[30:31], v[32:33], v[34:35]
	v_add_f64 v[11:12], v[11:12], v[28:29]
	v_add_f64 v[13:14], v[13:14], v[30:31]
.LBB191_224:
	s_or_b64 exec, exec, s[12:13]
	s_barrier
	s_and_saveexec_b64 s[12:13], s[40:41]
	s_cbranch_execz .LBB191_226
; %bb.225:
	v_mov_b32_e32 v28, 0
	ds_read_b128 v[28:31], v28 offset:7920
	s_waitcnt lgkmcnt(0)
	v_mul_f64 v[32:33], v[13:14], v[30:31]
	v_mul_f64 v[30:31], v[11:12], v[30:31]
	v_fma_f64 v[11:12], v[11:12], v[28:29], -v[32:33]
	v_fma_f64 v[13:14], v[13:14], v[28:29], v[30:31]
	ds_write_b128 v16, v[11:14]
.LBB191_226:
	s_or_b64 exec, exec, s[12:13]
	s_waitcnt lgkmcnt(0)
	s_barrier
	s_barrier
	s_and_saveexec_b64 s[12:13], s[2:3]
; %bb.227:
	v_xor_b32_e32 v12, 0x80000000, v12
	v_xor_b32_e32 v14, 0x80000000, v14
	ds_write_b128 v15, v[11:14] offset:6368
; %bb.228:
	s_or_b64 exec, exec, s[12:13]
	s_waitcnt lgkmcnt(0)
	s_barrier
	s_barrier
	s_and_saveexec_b64 s[12:13], s[44:45]
	s_cbranch_execz .LBB191_230
; %bb.229:
	v_lshlrev_b32_e32 v28, 9, v0
	ds_read_b128 v[11:14], v28 offset:6368
	s_movk_i32 s14, 0xfe10
	v_mad_i32_i24 v29, v0, s14, v28
	s_waitcnt lgkmcnt(0)
	ds_write_b128 v29, v[11:14] offset:7360
	ds_read_b128 v[11:14], v28 offset:6384
	s_waitcnt lgkmcnt(0)
	ds_write_b128 v29, v[11:14] offset:7872
.LBB191_230:
	s_or_b64 exec, exec, s[12:13]
	s_waitcnt lgkmcnt(0)
	s_barrier
	s_and_saveexec_b64 s[12:13], vcc
	s_cbranch_execz .LBB191_232
; %bb.231:
	v_mov_b32_e32 v38, 0
	ds_read_b128 v[11:14], v38 offset:7920
	ds_read_b128 v[28:31], v38 offset:7392
	;; [unrolled: 1-line block ×3, first 2 shown]
	s_waitcnt lgkmcnt(1)
	v_mul_f64 v[36:37], v[11:12], v[30:31]
	v_mul_f64 v[30:31], v[13:14], v[30:31]
	v_fma_f64 v[13:14], v[13:14], v[28:29], v[36:37]
	v_fma_f64 v[11:12], v[11:12], v[28:29], -v[30:31]
	s_waitcnt lgkmcnt(0)
	v_mul_f64 v[28:29], v[13:14], v[34:35]
	v_mul_f64 v[30:31], v[11:12], v[34:35]
	v_fma_f64 v[11:12], v[32:33], v[11:12], -v[28:29]
	v_fma_f64 v[13:14], v[32:33], v[13:14], v[30:31]
	ds_write_b128 v38, v[11:14] offset:7408
	ds_write_b128 v38, v[11:14] offset:7904
.LBB191_232:
	s_or_b64 exec, exec, s[12:13]
	v_and_b32_e32 v29, 15, v0
	s_movk_i32 s12, 0xff
	v_lshrrev_b32_e32 v31, 4, v1
	v_cmp_lt_u32_e64 s[14:15], s12, v1
	s_movk_i32 s12, 0x100
	v_lshlrev_b32_e32 v30, 4, v29
	v_mov_b32_e32 v13, 0
	v_mov_b32_e32 v11, 0
	v_cmp_gt_u32_e64 s[12:13], s12, v1
	v_mov_b32_e32 v14, 0
	v_mov_b32_e32 v12, 0
	v_lshl_or_b32 v28, v31, 9, v30
	s_waitcnt lgkmcnt(0)
	s_barrier
	s_and_saveexec_b64 s[90:91], s[12:13]
	s_cbranch_execz .LBB191_260
; %bb.233:
	v_mul_u32_u24_e32 v32, 0x210, v31
	ds_read_b128 v[11:14], v32
	ds_read_b128 v[33:36], v28 offset:256
	s_movk_i32 s18, 0xf0
	v_cmp_gt_u32_e64 s[18:19], s18, v1
	s_waitcnt lgkmcnt(0)
	v_mul_f64 v[37:38], v[13:14], v[35:36]
	v_mul_f64 v[35:36], v[11:12], v[35:36]
	v_fma_f64 v[11:12], v[11:12], v[33:34], -v[37:38]
	v_fma_f64 v[13:14], v[13:14], v[33:34], v[35:36]
	v_add_f64 v[11:12], v[11:12], 0
	v_add_f64 v[13:14], v[13:14], 0
	s_and_saveexec_b64 s[92:93], s[18:19]
	s_cbranch_execz .LBB191_235
; %bb.234:
	ds_read_b128 v[33:36], v32 offset:16
	ds_read_b128 v[37:40], v28 offset:768
	s_waitcnt lgkmcnt(0)
	v_mul_f64 v[41:42], v[35:36], v[39:40]
	v_mul_f64 v[39:40], v[33:34], v[39:40]
	v_fma_f64 v[33:34], v[33:34], v[37:38], -v[41:42]
	v_fma_f64 v[35:36], v[35:36], v[37:38], v[39:40]
	v_add_f64 v[11:12], v[11:12], v[33:34]
	v_add_f64 v[13:14], v[13:14], v[35:36]
.LBB191_235:
	s_or_b64 exec, exec, s[92:93]
	s_movk_i32 s18, 0xe0
	v_cmp_gt_u32_e64 s[18:19], s18, v1
	s_and_saveexec_b64 s[92:93], s[18:19]
	s_cbranch_execz .LBB191_237
; %bb.236:
	ds_read_b128 v[33:36], v32 offset:32
	ds_read_b128 v[37:40], v28 offset:1280
	s_waitcnt lgkmcnt(0)
	v_mul_f64 v[41:42], v[35:36], v[39:40]
	v_mul_f64 v[39:40], v[33:34], v[39:40]
	v_fma_f64 v[33:34], v[33:34], v[37:38], -v[41:42]
	v_fma_f64 v[35:36], v[35:36], v[37:38], v[39:40]
	v_add_f64 v[11:12], v[11:12], v[33:34]
	v_add_f64 v[13:14], v[13:14], v[35:36]
.LBB191_237:
	s_or_b64 exec, exec, s[92:93]
	s_movk_i32 s18, 0xd0
	v_cmp_gt_u32_e64 s[18:19], s18, v1
	;; [unrolled: 16-line block ×10, first 2 shown]
	s_and_saveexec_b64 s[92:93], s[18:19]
	s_cbranch_execnz .LBB191_560
; %bb.254:
	s_or_b64 exec, exec, s[92:93]
	v_cmp_gt_u32_e64 s[18:19], 64, v1
	s_and_saveexec_b64 s[92:93], s[18:19]
	s_cbranch_execnz .LBB191_561
.LBB191_255:
	s_or_b64 exec, exec, s[92:93]
	v_cmp_gt_u32_e64 s[18:19], 48, v1
	s_and_saveexec_b64 s[92:93], s[18:19]
	s_cbranch_execnz .LBB191_562
.LBB191_256:
	s_or_b64 exec, exec, s[92:93]
	v_cmp_gt_u32_e64 s[18:19], 32, v1
	s_and_saveexec_b64 s[92:93], s[18:19]
	s_cbranch_execnz .LBB191_563
.LBB191_257:
	s_or_b64 exec, exec, s[92:93]
	v_cmp_gt_u32_e64 s[18:19], 16, v1
	s_and_saveexec_b64 s[92:93], s[18:19]
	s_cbranch_execz .LBB191_259
.LBB191_258:
	v_lshlrev_b32_e32 v36, 4, v0
	v_mov_b32_e32 v32, 0
	ds_read_b128 v[32:35], v32 offset:240
	ds_read_b128 v[36:39], v36 offset:7936
	s_waitcnt lgkmcnt(0)
	v_mul_f64 v[40:41], v[34:35], v[38:39]
	v_mul_f64 v[38:39], v[32:33], v[38:39]
	v_fma_f64 v[32:33], v[32:33], v[36:37], -v[40:41]
	v_fma_f64 v[34:35], v[34:35], v[36:37], v[38:39]
	v_add_f64 v[11:12], v[11:12], v[32:33]
	v_add_f64 v[13:14], v[13:14], v[34:35]
.LBB191_259:
	s_or_b64 exec, exec, s[92:93]
	v_xor_b32_e32 v12, 0x80000000, v12
	v_xor_b32_e32 v14, 0x80000000, v14
.LBB191_260:
	s_or_b64 exec, exec, s[90:91]
	v_mov_b32_e32 v32, 0x4000
	v_cmp_eq_u32_e64 s[18:19], 0, v29
	s_xor_b64 s[90:91], s[14:15], -1
	v_lshl_add_u32 v31, v31, 4, v32
	s_and_b64 s[18:19], s[18:19], s[90:91]
	s_and_saveexec_b64 s[14:15], s[18:19]
	s_cbranch_execz .LBB191_262
; %bb.261:
	v_mov_b32_e32 v32, 0
	ds_read_b128 v[32:35], v32 offset:8448
	s_waitcnt lgkmcnt(0)
	v_mul_f64 v[36:37], v[13:14], v[34:35]
	v_mul_f64 v[34:35], v[11:12], v[34:35]
	v_fma_f64 v[11:12], v[11:12], v[32:33], -v[36:37]
	v_fma_f64 v[13:14], v[13:14], v[32:33], v[34:35]
	ds_write_b128 v31, v[11:14]
.LBB191_262:
	s_or_b64 exec, exec, s[14:15]
	v_cmp_ne_u32_e64 s[14:15], 0, v29
	s_and_b64 s[18:19], s[14:15], s[90:91]
	s_waitcnt lgkmcnt(0)
	s_barrier
	s_and_saveexec_b64 s[14:15], s[18:19]
	s_cbranch_execz .LBB191_264
; %bb.263:
	ds_read_b128 v[32:35], v31
	ds_read_b128 v[36:39], v30 offset:8448
	s_waitcnt lgkmcnt(0)
	v_mul_f64 v[40:41], v[34:35], v[38:39]
	v_mul_f64 v[38:39], v[32:33], v[38:39]
	v_fma_f64 v[32:33], v[32:33], v[36:37], -v[40:41]
	v_fma_f64 v[34:35], v[34:35], v[36:37], v[38:39]
	v_add_f64 v[11:12], v[11:12], v[32:33]
	v_add_f64 v[13:14], v[13:14], v[34:35]
.LBB191_264:
	s_or_b64 exec, exec, s[14:15]
	v_cmp_eq_u32_e64 s[14:15], 1, v29
	s_and_b64 s[18:19], s[14:15], s[90:91]
	s_barrier
	s_and_saveexec_b64 s[14:15], s[18:19]
	s_cbranch_execz .LBB191_266
; %bb.265:
	v_mov_b32_e32 v32, 0
	ds_read_b128 v[32:35], v32 offset:8976
	s_waitcnt lgkmcnt(0)
	v_mul_f64 v[36:37], v[13:14], v[34:35]
	v_mul_f64 v[34:35], v[11:12], v[34:35]
	v_fma_f64 v[11:12], v[11:12], v[32:33], -v[36:37]
	v_fma_f64 v[13:14], v[13:14], v[32:33], v[34:35]
	ds_write_b128 v31, v[11:14]
.LBB191_266:
	s_or_b64 exec, exec, s[14:15]
	v_cmp_lt_u32_e64 s[14:15], 1, v29
	s_and_b64 s[18:19], s[14:15], s[90:91]
	s_waitcnt lgkmcnt(0)
	s_barrier
	s_and_saveexec_b64 s[14:15], s[18:19]
	s_cbranch_execz .LBB191_268
; %bb.267:
	ds_read_b128 v[32:35], v31
	ds_read_b128 v[36:39], v30 offset:8960
	s_waitcnt lgkmcnt(0)
	v_mul_f64 v[40:41], v[34:35], v[38:39]
	v_mul_f64 v[38:39], v[32:33], v[38:39]
	v_fma_f64 v[32:33], v[32:33], v[36:37], -v[40:41]
	v_fma_f64 v[34:35], v[34:35], v[36:37], v[38:39]
	v_add_f64 v[11:12], v[11:12], v[32:33]
	v_add_f64 v[13:14], v[13:14], v[34:35]
.LBB191_268:
	s_or_b64 exec, exec, s[14:15]
	v_cmp_eq_u32_e64 s[14:15], 2, v29
	s_and_b64 s[18:19], s[14:15], s[90:91]
	s_barrier
	s_and_saveexec_b64 s[14:15], s[18:19]
	s_cbranch_execz .LBB191_270
; %bb.269:
	v_mov_b32_e32 v32, 0
	ds_read_b128 v[32:35], v32 offset:9504
	s_waitcnt lgkmcnt(0)
	v_mul_f64 v[36:37], v[13:14], v[34:35]
	v_mul_f64 v[34:35], v[11:12], v[34:35]
	v_fma_f64 v[11:12], v[11:12], v[32:33], -v[36:37]
	v_fma_f64 v[13:14], v[13:14], v[32:33], v[34:35]
	ds_write_b128 v31, v[11:14]
.LBB191_270:
	s_or_b64 exec, exec, s[14:15]
	v_cmp_lt_u32_e64 s[14:15], 2, v29
	;; [unrolled: 34-line block ×13, first 2 shown]
	s_and_b64 s[18:19], s[14:15], s[90:91]
	s_waitcnt lgkmcnt(0)
	s_barrier
	s_and_saveexec_b64 s[14:15], s[18:19]
	s_cbranch_execz .LBB191_316
; %bb.315:
	ds_read_b128 v[32:35], v31
	ds_read_b128 v[36:39], v30 offset:15104
	s_waitcnt lgkmcnt(0)
	v_mul_f64 v[40:41], v[34:35], v[38:39]
	v_mul_f64 v[38:39], v[32:33], v[38:39]
	v_fma_f64 v[32:33], v[32:33], v[36:37], -v[40:41]
	v_fma_f64 v[34:35], v[34:35], v[36:37], v[38:39]
	v_add_f64 v[11:12], v[11:12], v[32:33]
	v_add_f64 v[13:14], v[13:14], v[34:35]
.LBB191_316:
	s_or_b64 exec, exec, s[14:15]
	v_cmp_eq_u32_e64 s[14:15], 14, v29
	s_and_b64 s[18:19], s[14:15], s[90:91]
	s_barrier
	s_and_saveexec_b64 s[14:15], s[18:19]
	s_cbranch_execz .LBB191_318
; %bb.317:
	v_mov_b32_e32 v30, 0
	ds_read_b128 v[32:35], v30 offset:15840
	s_waitcnt lgkmcnt(0)
	v_mul_f64 v[36:37], v[13:14], v[34:35]
	v_mul_f64 v[34:35], v[11:12], v[34:35]
	v_fma_f64 v[11:12], v[11:12], v[32:33], -v[36:37]
	v_fma_f64 v[13:14], v[13:14], v[32:33], v[34:35]
	ds_write_b128 v31, v[11:14]
.LBB191_318:
	s_or_b64 exec, exec, s[14:15]
	v_cmp_eq_u32_e64 s[14:15], 15, v29
	s_and_b64 s[14:15], s[14:15], s[90:91]
	s_waitcnt lgkmcnt(0)
	s_barrier
	s_and_saveexec_b64 s[18:19], s[14:15]
	s_cbranch_execz .LBB191_320
; %bb.319:
	v_mov_b32_e32 v29, 0
	ds_read_b128 v[32:35], v31
	ds_read_b128 v[36:39], v29 offset:15856
	s_waitcnt lgkmcnt(0)
	v_mul_f64 v[29:30], v[34:35], v[38:39]
	v_mul_f64 v[38:39], v[32:33], v[38:39]
	v_fma_f64 v[29:30], v[32:33], v[36:37], -v[29:30]
	v_fma_f64 v[32:33], v[34:35], v[36:37], v[38:39]
	v_add_f64 v[11:12], v[11:12], v[29:30]
	v_add_f64 v[13:14], v[13:14], v[32:33]
.LBB191_320:
	s_or_b64 exec, exec, s[18:19]
	s_barrier
	s_and_saveexec_b64 s[18:19], s[14:15]
	s_cbranch_execz .LBB191_322
; %bb.321:
	v_mov_b32_e32 v29, 0
	ds_read_b128 v[32:35], v29 offset:16368
	s_waitcnt lgkmcnt(0)
	v_mul_f64 v[29:30], v[13:14], v[34:35]
	v_mul_f64 v[34:35], v[11:12], v[34:35]
	v_fma_f64 v[11:12], v[11:12], v[32:33], -v[29:30]
	v_fma_f64 v[13:14], v[13:14], v[32:33], v[34:35]
	ds_write_b128 v31, v[11:14]
.LBB191_322:
	s_or_b64 exec, exec, s[18:19]
	s_waitcnt lgkmcnt(0)
	s_barrier
	s_barrier
	s_and_saveexec_b64 s[14:15], s[12:13]
; %bb.323:
	v_xor_b32_e32 v14, 0x80000000, v14
	v_xor_b32_e32 v12, 0x80000000, v12
	ds_write_b128 v28, v[11:14] offset:256
; %bb.324:
	s_or_b64 exec, exec, s[14:15]
	v_cmp_gt_u32_e64 s[12:13], 16, v0
	s_and_b64 s[12:13], s[10:11], s[12:13]
	s_waitcnt lgkmcnt(0)
	s_barrier
	s_barrier
	s_and_saveexec_b64 s[10:11], s[12:13]
	s_cbranch_execz .LBB191_326
; %bb.325:
	v_lshlrev_b32_e32 v28, 9, v0
	ds_read_b128 v[11:14], v28 offset:256
	s_movk_i32 s12, 0xfe10
	v_mad_i32_i24 v29, v0, s12, v28
	s_waitcnt lgkmcnt(0)
	ds_write_b128 v29, v[11:14] offset:8192
	ds_read_b128 v[11:14], v28 offset:272
	s_waitcnt lgkmcnt(0)
	ds_write_b128 v29, v[11:14] offset:8704
	ds_read_b128 v[11:14], v28 offset:288
	;; [unrolled: 3-line block ×15, first 2 shown]
	s_waitcnt lgkmcnt(0)
	ds_write_b128 v29, v[11:14] offset:15872
.LBB191_326:
	s_or_b64 exec, exec, s[10:11]
	s_waitcnt lgkmcnt(0)
	s_barrier
	s_and_saveexec_b64 s[10:11], vcc
	s_cbranch_execz .LBB191_328
; %bb.327:
	v_mov_b32_e32 v38, 0
	ds_read_b128 v[11:14], v38 offset:8976
	ds_read_b128 v[28:31], v38 offset:8448
	;; [unrolled: 1-line block ×3, first 2 shown]
	s_waitcnt lgkmcnt(1)
	v_mul_f64 v[36:37], v[11:12], v[30:31]
	v_mul_f64 v[30:31], v[13:14], v[30:31]
	v_fma_f64 v[13:14], v[13:14], v[28:29], v[36:37]
	v_fma_f64 v[11:12], v[11:12], v[28:29], -v[30:31]
	s_waitcnt lgkmcnt(0)
	v_mul_f64 v[28:29], v[13:14], v[34:35]
	v_mul_f64 v[30:31], v[11:12], v[34:35]
	v_fma_f64 v[11:12], v[32:33], v[11:12], -v[28:29]
	v_fma_f64 v[13:14], v[32:33], v[13:14], v[30:31]
	ds_write_b128 v38, v[11:14] offset:8464
	ds_write_b128 v38, v[11:14] offset:8960
.LBB191_328:
	s_or_b64 exec, exec, s[10:11]
	v_mov_b32_e32 v13, 0
	v_mov_b32_e32 v11, 0
	;; [unrolled: 1-line block ×4, first 2 shown]
	s_waitcnt lgkmcnt(0)
	s_barrier
	s_and_saveexec_b64 s[12:13], s[2:3]
	s_cbranch_execz .LBB191_332
; %bb.329:
	v_mul_u32_u24_e32 v11, 0x210, v17
	ds_read_b128 v[11:14], v11 offset:8448
	ds_read_b128 v[28:31], v15 offset:8480
	v_cmp_gt_u32_e64 s[10:11], 2, v1
	s_waitcnt lgkmcnt(0)
	v_mul_f64 v[32:33], v[13:14], v[30:31]
	v_mul_f64 v[30:31], v[11:12], v[30:31]
	v_fma_f64 v[11:12], v[11:12], v[28:29], -v[32:33]
	v_fma_f64 v[13:14], v[13:14], v[28:29], v[30:31]
	v_add_f64 v[11:12], v[11:12], 0
	v_add_f64 v[13:14], v[13:14], 0
	s_and_saveexec_b64 s[14:15], s[10:11]
	s_cbranch_execz .LBB191_331
; %bb.330:
	v_lshlrev_b32_e32 v32, 4, v0
	v_mov_b32_e32 v28, 0
	ds_read_b128 v[28:31], v28 offset:8464
	ds_read_b128 v[32:35], v32 offset:8992
	s_waitcnt lgkmcnt(0)
	v_mul_f64 v[36:37], v[30:31], v[34:35]
	v_mul_f64 v[34:35], v[28:29], v[34:35]
	v_fma_f64 v[28:29], v[28:29], v[32:33], -v[36:37]
	v_fma_f64 v[30:31], v[30:31], v[32:33], v[34:35]
	v_add_f64 v[11:12], v[11:12], v[28:29]
	v_add_f64 v[13:14], v[13:14], v[30:31]
.LBB191_331:
	s_or_b64 exec, exec, s[14:15]
	v_xor_b32_e32 v12, 0x80000000, v12
	v_xor_b32_e32 v14, 0x80000000, v14
.LBB191_332:
	s_or_b64 exec, exec, s[12:13]
	s_and_saveexec_b64 s[10:11], s[42:43]
	s_cbranch_execz .LBB191_334
; %bb.333:
	v_mov_b32_e32 v28, 0
	ds_read_b128 v[28:31], v28 offset:9504
	s_waitcnt lgkmcnt(0)
	v_mul_f64 v[32:33], v[13:14], v[30:31]
	v_mul_f64 v[30:31], v[11:12], v[30:31]
	v_fma_f64 v[11:12], v[11:12], v[28:29], -v[32:33]
	v_fma_f64 v[13:14], v[13:14], v[28:29], v[30:31]
	ds_write_b128 v16, v[11:14]
.LBB191_334:
	s_or_b64 exec, exec, s[10:11]
	s_waitcnt lgkmcnt(0)
	s_barrier
	s_and_saveexec_b64 s[10:11], s[40:41]
	s_cbranch_execz .LBB191_336
; %bb.335:
	v_mov_b32_e32 v32, 0
	ds_read_b128 v[28:31], v16
	ds_read_b128 v[32:35], v32 offset:9520
	s_waitcnt lgkmcnt(0)
	v_mul_f64 v[36:37], v[30:31], v[34:35]
	v_mul_f64 v[34:35], v[28:29], v[34:35]
	v_fma_f64 v[28:29], v[28:29], v[32:33], -v[36:37]
	v_fma_f64 v[30:31], v[30:31], v[32:33], v[34:35]
	v_add_f64 v[11:12], v[11:12], v[28:29]
	v_add_f64 v[13:14], v[13:14], v[30:31]
.LBB191_336:
	s_or_b64 exec, exec, s[10:11]
	s_barrier
	s_and_saveexec_b64 s[10:11], s[40:41]
	s_cbranch_execz .LBB191_338
; %bb.337:
	v_mov_b32_e32 v28, 0
	ds_read_b128 v[28:31], v28 offset:10032
	s_waitcnt lgkmcnt(0)
	v_mul_f64 v[32:33], v[13:14], v[30:31]
	v_mul_f64 v[30:31], v[11:12], v[30:31]
	v_fma_f64 v[11:12], v[11:12], v[28:29], -v[32:33]
	v_fma_f64 v[13:14], v[13:14], v[28:29], v[30:31]
	ds_write_b128 v16, v[11:14]
.LBB191_338:
	s_or_b64 exec, exec, s[10:11]
	s_waitcnt lgkmcnt(0)
	s_barrier
	s_barrier
	s_and_saveexec_b64 s[10:11], s[2:3]
; %bb.339:
	v_xor_b32_e32 v12, 0x80000000, v12
	v_xor_b32_e32 v14, 0x80000000, v14
	ds_write_b128 v15, v[11:14] offset:8480
; %bb.340:
	s_or_b64 exec, exec, s[10:11]
	s_waitcnt lgkmcnt(0)
	s_barrier
	s_barrier
	s_and_saveexec_b64 s[10:11], s[44:45]
	s_cbranch_execz .LBB191_342
; %bb.341:
	v_lshlrev_b32_e32 v28, 9, v0
	ds_read_b128 v[11:14], v28 offset:8480
	s_movk_i32 s12, 0xfe10
	v_mad_i32_i24 v29, v0, s12, v28
	s_waitcnt lgkmcnt(0)
	ds_write_b128 v29, v[11:14] offset:9472
	ds_read_b128 v[11:14], v28 offset:8496
	s_waitcnt lgkmcnt(0)
	ds_write_b128 v29, v[11:14] offset:9984
.LBB191_342:
	s_or_b64 exec, exec, s[10:11]
	s_waitcnt lgkmcnt(0)
	s_barrier
	s_and_saveexec_b64 s[10:11], vcc
	s_cbranch_execz .LBB191_344
; %bb.343:
	v_mov_b32_e32 v38, 0
	ds_read_b128 v[11:14], v38 offset:10032
	ds_read_b128 v[28:31], v38 offset:9504
	;; [unrolled: 1-line block ×3, first 2 shown]
	s_waitcnt lgkmcnt(1)
	v_mul_f64 v[36:37], v[11:12], v[30:31]
	v_mul_f64 v[30:31], v[13:14], v[30:31]
	v_fma_f64 v[13:14], v[13:14], v[28:29], v[36:37]
	v_fma_f64 v[11:12], v[11:12], v[28:29], -v[30:31]
	s_waitcnt lgkmcnt(0)
	v_mul_f64 v[28:29], v[13:14], v[34:35]
	v_mul_f64 v[30:31], v[11:12], v[34:35]
	v_fma_f64 v[11:12], v[32:33], v[11:12], -v[28:29]
	v_fma_f64 v[13:14], v[32:33], v[13:14], v[30:31]
	ds_write_b128 v38, v[11:14] offset:9520
	ds_write_b128 v38, v[11:14] offset:10016
.LBB191_344:
	s_or_b64 exec, exec, s[10:11]
	v_mov_b32_e32 v13, 0
	v_mov_b32_e32 v11, 0
	;; [unrolled: 1-line block ×4, first 2 shown]
	s_waitcnt lgkmcnt(0)
	s_barrier
	s_and_saveexec_b64 s[12:13], s[16:17]
	s_cbranch_execz .LBB191_350
; %bb.345:
	v_mul_u32_u24_e32 v28, 0x210, v22
	ds_read_b128 v[11:14], v28 offset:8448
	ds_read_b128 v[29:32], v18 offset:8512
	v_cmp_gt_u32_e64 s[10:11], 12, v1
	s_waitcnt lgkmcnt(0)
	v_mul_f64 v[33:34], v[13:14], v[31:32]
	v_mul_f64 v[31:32], v[11:12], v[31:32]
	v_fma_f64 v[11:12], v[11:12], v[29:30], -v[33:34]
	v_fma_f64 v[13:14], v[13:14], v[29:30], v[31:32]
	v_add_f64 v[11:12], v[11:12], 0
	v_add_f64 v[13:14], v[13:14], 0
	s_and_saveexec_b64 s[14:15], s[10:11]
	s_cbranch_execnz .LBB191_564
; %bb.346:
	s_or_b64 exec, exec, s[14:15]
	v_cmp_gt_u32_e64 s[10:11], 8, v1
	s_and_saveexec_b64 s[14:15], s[10:11]
	s_cbranch_execnz .LBB191_565
.LBB191_347:
	s_or_b64 exec, exec, s[14:15]
	v_cmp_gt_u32_e64 s[10:11], 4, v1
	s_and_saveexec_b64 s[14:15], s[10:11]
	s_cbranch_execz .LBB191_349
.LBB191_348:
	v_lshlrev_b32_e32 v32, 4, v0
	v_mov_b32_e32 v28, 0
	ds_read_b128 v[28:31], v28 offset:8496
	ds_read_b128 v[32:35], v32 offset:10048
	s_waitcnt lgkmcnt(0)
	v_mul_f64 v[36:37], v[30:31], v[34:35]
	v_mul_f64 v[34:35], v[28:29], v[34:35]
	v_fma_f64 v[28:29], v[28:29], v[32:33], -v[36:37]
	v_fma_f64 v[30:31], v[30:31], v[32:33], v[34:35]
	v_add_f64 v[11:12], v[11:12], v[28:29]
	v_add_f64 v[13:14], v[13:14], v[30:31]
.LBB191_349:
	s_or_b64 exec, exec, s[14:15]
	v_xor_b32_e32 v12, 0x80000000, v12
	v_xor_b32_e32 v14, 0x80000000, v14
.LBB191_350:
	s_or_b64 exec, exec, s[12:13]
	s_and_saveexec_b64 s[10:11], s[48:49]
	s_cbranch_execz .LBB191_352
; %bb.351:
	v_mov_b32_e32 v28, 0
	ds_read_b128 v[28:31], v28 offset:10560
	s_waitcnt lgkmcnt(0)
	v_mul_f64 v[32:33], v[13:14], v[30:31]
	v_mul_f64 v[30:31], v[11:12], v[30:31]
	v_fma_f64 v[11:12], v[11:12], v[28:29], -v[32:33]
	v_fma_f64 v[13:14], v[13:14], v[28:29], v[30:31]
	ds_write_b128 v20, v[11:14]
.LBB191_352:
	s_or_b64 exec, exec, s[10:11]
	s_waitcnt lgkmcnt(0)
	s_barrier
	s_and_saveexec_b64 s[10:11], s[50:51]
	s_cbranch_execz .LBB191_354
; %bb.353:
	ds_read_b128 v[28:31], v20
	ds_read_b128 v[32:35], v19 offset:10560
	s_waitcnt lgkmcnt(0)
	v_mul_f64 v[36:37], v[30:31], v[34:35]
	v_mul_f64 v[34:35], v[28:29], v[34:35]
	v_fma_f64 v[28:29], v[28:29], v[32:33], -v[36:37]
	v_fma_f64 v[30:31], v[30:31], v[32:33], v[34:35]
	v_add_f64 v[11:12], v[11:12], v[28:29]
	v_add_f64 v[13:14], v[13:14], v[30:31]
.LBB191_354:
	s_or_b64 exec, exec, s[10:11]
	s_barrier
	s_and_saveexec_b64 s[10:11], s[52:53]
	s_cbranch_execz .LBB191_356
; %bb.355:
	v_mov_b32_e32 v28, 0
	ds_read_b128 v[28:31], v28 offset:11088
	s_waitcnt lgkmcnt(0)
	v_mul_f64 v[32:33], v[13:14], v[30:31]
	v_mul_f64 v[30:31], v[11:12], v[30:31]
	v_fma_f64 v[11:12], v[11:12], v[28:29], -v[32:33]
	v_fma_f64 v[13:14], v[13:14], v[28:29], v[30:31]
	ds_write_b128 v20, v[11:14]
.LBB191_356:
	s_or_b64 exec, exec, s[10:11]
	s_waitcnt lgkmcnt(0)
	s_barrier
	s_and_saveexec_b64 s[10:11], s[54:55]
	s_cbranch_execz .LBB191_358
; %bb.357:
	ds_read_b128 v[28:31], v20
	ds_read_b128 v[32:35], v19 offset:11072
	s_waitcnt lgkmcnt(0)
	v_mul_f64 v[36:37], v[30:31], v[34:35]
	v_mul_f64 v[34:35], v[28:29], v[34:35]
	v_fma_f64 v[28:29], v[28:29], v[32:33], -v[36:37]
	v_fma_f64 v[30:31], v[30:31], v[32:33], v[34:35]
	v_add_f64 v[11:12], v[11:12], v[28:29]
	v_add_f64 v[13:14], v[13:14], v[30:31]
.LBB191_358:
	s_or_b64 exec, exec, s[10:11]
	s_barrier
	s_and_saveexec_b64 s[10:11], s[56:57]
	s_cbranch_execz .LBB191_360
; %bb.359:
	v_mov_b32_e32 v28, 0
	ds_read_b128 v[28:31], v28 offset:11616
	s_waitcnt lgkmcnt(0)
	v_mul_f64 v[32:33], v[13:14], v[30:31]
	v_mul_f64 v[30:31], v[11:12], v[30:31]
	v_fma_f64 v[11:12], v[11:12], v[28:29], -v[32:33]
	v_fma_f64 v[13:14], v[13:14], v[28:29], v[30:31]
	ds_write_b128 v20, v[11:14]
.LBB191_360:
	s_or_b64 exec, exec, s[10:11]
	s_waitcnt lgkmcnt(0)
	s_barrier
	s_and_saveexec_b64 s[10:11], s[46:47]
	s_cbranch_execz .LBB191_362
; %bb.361:
	v_mov_b32_e32 v32, 0
	ds_read_b128 v[28:31], v20
	ds_read_b128 v[32:35], v32 offset:11632
	s_waitcnt lgkmcnt(0)
	v_mul_f64 v[36:37], v[30:31], v[34:35]
	v_mul_f64 v[34:35], v[28:29], v[34:35]
	v_fma_f64 v[28:29], v[28:29], v[32:33], -v[36:37]
	v_fma_f64 v[30:31], v[30:31], v[32:33], v[34:35]
	v_add_f64 v[11:12], v[11:12], v[28:29]
	v_add_f64 v[13:14], v[13:14], v[30:31]
.LBB191_362:
	s_or_b64 exec, exec, s[10:11]
	s_barrier
	s_and_saveexec_b64 s[10:11], s[46:47]
	s_cbranch_execz .LBB191_364
; %bb.363:
	v_mov_b32_e32 v28, 0
	ds_read_b128 v[28:31], v28 offset:12144
	s_waitcnt lgkmcnt(0)
	v_mul_f64 v[32:33], v[13:14], v[30:31]
	v_mul_f64 v[30:31], v[11:12], v[30:31]
	v_fma_f64 v[11:12], v[11:12], v[28:29], -v[32:33]
	v_fma_f64 v[13:14], v[13:14], v[28:29], v[30:31]
	ds_write_b128 v20, v[11:14]
.LBB191_364:
	s_or_b64 exec, exec, s[10:11]
	s_waitcnt lgkmcnt(0)
	s_barrier
	s_barrier
	s_and_saveexec_b64 s[10:11], s[16:17]
; %bb.365:
	v_xor_b32_e32 v14, 0x80000000, v14
	v_xor_b32_e32 v12, 0x80000000, v12
	ds_write_b128 v18, v[11:14] offset:8512
; %bb.366:
	s_or_b64 exec, exec, s[10:11]
	s_waitcnt lgkmcnt(0)
	s_barrier
	s_barrier
	s_and_saveexec_b64 s[10:11], s[58:59]
	s_cbranch_execz .LBB191_368
; %bb.367:
	v_lshlrev_b32_e32 v28, 4, v0
	s_movk_i32 s12, 0x1f0
	v_mad_u32_u24 v29, v0, s12, v28
	ds_read_b128 v[11:14], v29 offset:8512
	s_waitcnt lgkmcnt(0)
	ds_write_b128 v28, v[11:14] offset:10496
	ds_read_b128 v[11:14], v29 offset:8528
	s_waitcnt lgkmcnt(0)
	ds_write_b128 v28, v[11:14] offset:11008
	;; [unrolled: 3-line block ×4, first 2 shown]
.LBB191_368:
	s_or_b64 exec, exec, s[10:11]
	s_waitcnt lgkmcnt(0)
	s_barrier
	s_and_saveexec_b64 s[10:11], vcc
	s_cbranch_execz .LBB191_370
; %bb.369:
	v_mov_b32_e32 v38, 0
	ds_read_b128 v[11:14], v38 offset:11088
	ds_read_b128 v[28:31], v38 offset:10560
	;; [unrolled: 1-line block ×3, first 2 shown]
	s_waitcnt lgkmcnt(1)
	v_mul_f64 v[36:37], v[11:12], v[30:31]
	v_mul_f64 v[30:31], v[13:14], v[30:31]
	v_fma_f64 v[13:14], v[13:14], v[28:29], v[36:37]
	v_fma_f64 v[11:12], v[11:12], v[28:29], -v[30:31]
	s_waitcnt lgkmcnt(0)
	v_mul_f64 v[28:29], v[13:14], v[34:35]
	v_mul_f64 v[30:31], v[11:12], v[34:35]
	v_fma_f64 v[11:12], v[32:33], v[11:12], -v[28:29]
	v_fma_f64 v[13:14], v[32:33], v[13:14], v[30:31]
	ds_write_b128 v38, v[11:14] offset:10576
	ds_write_b128 v38, v[11:14] offset:11072
.LBB191_370:
	s_or_b64 exec, exec, s[10:11]
	v_mov_b32_e32 v13, 0
	v_mov_b32_e32 v11, 0
	;; [unrolled: 1-line block ×4, first 2 shown]
	s_waitcnt lgkmcnt(0)
	s_barrier
	s_and_saveexec_b64 s[12:13], s[2:3]
	s_cbranch_execz .LBB191_374
; %bb.371:
	v_mul_u32_u24_e32 v11, 0x210, v17
	ds_read_b128 v[11:14], v11 offset:10560
	ds_read_b128 v[28:31], v15 offset:10592
	v_cmp_gt_u32_e64 s[10:11], 2, v1
	s_waitcnt lgkmcnt(0)
	v_mul_f64 v[32:33], v[13:14], v[30:31]
	v_mul_f64 v[30:31], v[11:12], v[30:31]
	v_fma_f64 v[11:12], v[11:12], v[28:29], -v[32:33]
	v_fma_f64 v[13:14], v[13:14], v[28:29], v[30:31]
	v_add_f64 v[11:12], v[11:12], 0
	v_add_f64 v[13:14], v[13:14], 0
	s_and_saveexec_b64 s[14:15], s[10:11]
	s_cbranch_execz .LBB191_373
; %bb.372:
	v_lshlrev_b32_e32 v32, 4, v0
	v_mov_b32_e32 v28, 0
	ds_read_b128 v[28:31], v28 offset:10576
	ds_read_b128 v[32:35], v32 offset:11104
	s_waitcnt lgkmcnt(0)
	v_mul_f64 v[36:37], v[30:31], v[34:35]
	v_mul_f64 v[34:35], v[28:29], v[34:35]
	v_fma_f64 v[28:29], v[28:29], v[32:33], -v[36:37]
	v_fma_f64 v[30:31], v[30:31], v[32:33], v[34:35]
	v_add_f64 v[11:12], v[11:12], v[28:29]
	v_add_f64 v[13:14], v[13:14], v[30:31]
.LBB191_373:
	s_or_b64 exec, exec, s[14:15]
	v_xor_b32_e32 v12, 0x80000000, v12
	v_xor_b32_e32 v14, 0x80000000, v14
.LBB191_374:
	s_or_b64 exec, exec, s[12:13]
	s_and_saveexec_b64 s[10:11], s[42:43]
	s_cbranch_execz .LBB191_376
; %bb.375:
	v_mov_b32_e32 v28, 0
	ds_read_b128 v[28:31], v28 offset:11616
	s_waitcnt lgkmcnt(0)
	v_mul_f64 v[32:33], v[13:14], v[30:31]
	v_mul_f64 v[30:31], v[11:12], v[30:31]
	v_fma_f64 v[11:12], v[11:12], v[28:29], -v[32:33]
	v_fma_f64 v[13:14], v[13:14], v[28:29], v[30:31]
	ds_write_b128 v16, v[11:14]
.LBB191_376:
	s_or_b64 exec, exec, s[10:11]
	s_waitcnt lgkmcnt(0)
	s_barrier
	s_and_saveexec_b64 s[10:11], s[40:41]
	s_cbranch_execz .LBB191_378
; %bb.377:
	v_mov_b32_e32 v32, 0
	ds_read_b128 v[28:31], v16
	ds_read_b128 v[32:35], v32 offset:11632
	s_waitcnt lgkmcnt(0)
	v_mul_f64 v[36:37], v[30:31], v[34:35]
	v_mul_f64 v[34:35], v[28:29], v[34:35]
	v_fma_f64 v[28:29], v[28:29], v[32:33], -v[36:37]
	v_fma_f64 v[30:31], v[30:31], v[32:33], v[34:35]
	v_add_f64 v[11:12], v[11:12], v[28:29]
	v_add_f64 v[13:14], v[13:14], v[30:31]
.LBB191_378:
	s_or_b64 exec, exec, s[10:11]
	s_barrier
	s_and_saveexec_b64 s[10:11], s[40:41]
	s_cbranch_execz .LBB191_380
; %bb.379:
	v_mov_b32_e32 v28, 0
	ds_read_b128 v[28:31], v28 offset:12144
	s_waitcnt lgkmcnt(0)
	v_mul_f64 v[32:33], v[13:14], v[30:31]
	v_mul_f64 v[30:31], v[11:12], v[30:31]
	v_fma_f64 v[11:12], v[11:12], v[28:29], -v[32:33]
	v_fma_f64 v[13:14], v[13:14], v[28:29], v[30:31]
	ds_write_b128 v16, v[11:14]
.LBB191_380:
	s_or_b64 exec, exec, s[10:11]
	s_waitcnt lgkmcnt(0)
	s_barrier
	s_barrier
	s_and_saveexec_b64 s[10:11], s[2:3]
; %bb.381:
	v_xor_b32_e32 v12, 0x80000000, v12
	v_xor_b32_e32 v14, 0x80000000, v14
	ds_write_b128 v15, v[11:14] offset:10592
; %bb.382:
	s_or_b64 exec, exec, s[10:11]
	s_waitcnt lgkmcnt(0)
	s_barrier
	s_barrier
	s_and_saveexec_b64 s[10:11], s[44:45]
	s_cbranch_execz .LBB191_384
; %bb.383:
	v_lshlrev_b32_e32 v28, 9, v0
	ds_read_b128 v[11:14], v28 offset:10592
	s_movk_i32 s12, 0xfe10
	v_mad_i32_i24 v29, v0, s12, v28
	s_waitcnt lgkmcnt(0)
	ds_write_b128 v29, v[11:14] offset:11584
	ds_read_b128 v[11:14], v28 offset:10608
	s_waitcnt lgkmcnt(0)
	ds_write_b128 v29, v[11:14] offset:12096
.LBB191_384:
	s_or_b64 exec, exec, s[10:11]
	s_waitcnt lgkmcnt(0)
	s_barrier
	s_and_saveexec_b64 s[10:11], vcc
	s_cbranch_execz .LBB191_386
; %bb.385:
	v_mov_b32_e32 v38, 0
	ds_read_b128 v[11:14], v38 offset:12144
	ds_read_b128 v[28:31], v38 offset:11616
	;; [unrolled: 1-line block ×3, first 2 shown]
	s_waitcnt lgkmcnt(1)
	v_mul_f64 v[36:37], v[11:12], v[30:31]
	v_mul_f64 v[30:31], v[13:14], v[30:31]
	v_fma_f64 v[13:14], v[13:14], v[28:29], v[36:37]
	v_fma_f64 v[11:12], v[11:12], v[28:29], -v[30:31]
	s_waitcnt lgkmcnt(0)
	v_mul_f64 v[28:29], v[13:14], v[34:35]
	v_mul_f64 v[30:31], v[11:12], v[34:35]
	v_fma_f64 v[11:12], v[32:33], v[11:12], -v[28:29]
	v_fma_f64 v[13:14], v[32:33], v[13:14], v[30:31]
	ds_write_b128 v38, v[11:14] offset:11632
	ds_write_b128 v38, v[11:14] offset:12128
.LBB191_386:
	s_or_b64 exec, exec, s[10:11]
	v_mov_b32_e32 v13, 0
	v_mov_b32_e32 v11, 0
	;; [unrolled: 1-line block ×4, first 2 shown]
	s_waitcnt lgkmcnt(0)
	s_barrier
	s_and_saveexec_b64 s[12:13], s[8:9]
	s_cbranch_execz .LBB191_396
; %bb.387:
	v_mul_u32_u24_e32 v28, 0x210, v27
	ds_read_b128 v[11:14], v28 offset:8448
	ds_read_b128 v[29:32], v23 offset:8576
	v_cmp_gt_u32_e64 s[10:11], 56, v1
	s_waitcnt lgkmcnt(0)
	v_mul_f64 v[33:34], v[13:14], v[31:32]
	v_mul_f64 v[31:32], v[11:12], v[31:32]
	v_fma_f64 v[11:12], v[11:12], v[29:30], -v[33:34]
	v_fma_f64 v[13:14], v[13:14], v[29:30], v[31:32]
	v_add_f64 v[11:12], v[11:12], 0
	v_add_f64 v[13:14], v[13:14], 0
	s_and_saveexec_b64 s[14:15], s[10:11]
	s_cbranch_execnz .LBB191_566
; %bb.388:
	s_or_b64 exec, exec, s[14:15]
	v_cmp_gt_u32_e64 s[10:11], 48, v1
	s_and_saveexec_b64 s[14:15], s[10:11]
	s_cbranch_execnz .LBB191_567
.LBB191_389:
	s_or_b64 exec, exec, s[14:15]
	v_cmp_gt_u32_e64 s[10:11], 40, v1
	s_and_saveexec_b64 s[14:15], s[10:11]
	s_cbranch_execnz .LBB191_568
.LBB191_390:
	s_or_b64 exec, exec, s[14:15]
	v_cmp_gt_u32_e64 s[10:11], 32, v1
	s_and_saveexec_b64 s[14:15], s[10:11]
	s_cbranch_execnz .LBB191_569
.LBB191_391:
	s_or_b64 exec, exec, s[14:15]
	v_cmp_gt_u32_e64 s[10:11], 24, v1
	s_and_saveexec_b64 s[14:15], s[10:11]
	s_cbranch_execnz .LBB191_570
.LBB191_392:
	s_or_b64 exec, exec, s[14:15]
	v_cmp_gt_u32_e64 s[10:11], 16, v1
	s_and_saveexec_b64 s[14:15], s[10:11]
	s_cbranch_execnz .LBB191_571
.LBB191_393:
	s_or_b64 exec, exec, s[14:15]
	v_cmp_gt_u32_e64 s[10:11], 8, v1
	s_and_saveexec_b64 s[14:15], s[10:11]
	s_cbranch_execz .LBB191_395
.LBB191_394:
	v_lshlrev_b32_e32 v30, 4, v0
	v_mov_b32_e32 v26, 0
	ds_read_b128 v[26:29], v26 offset:8560
	ds_read_b128 v[30:33], v30 offset:12160
	s_waitcnt lgkmcnt(0)
	v_mul_f64 v[34:35], v[28:29], v[32:33]
	v_mul_f64 v[32:33], v[26:27], v[32:33]
	v_fma_f64 v[26:27], v[26:27], v[30:31], -v[34:35]
	v_fma_f64 v[28:29], v[28:29], v[30:31], v[32:33]
	v_add_f64 v[11:12], v[11:12], v[26:27]
	v_add_f64 v[13:14], v[13:14], v[28:29]
.LBB191_395:
	s_or_b64 exec, exec, s[14:15]
	v_xor_b32_e32 v12, 0x80000000, v12
	v_xor_b32_e32 v14, 0x80000000, v14
.LBB191_396:
	s_or_b64 exec, exec, s[12:13]
	s_and_saveexec_b64 s[10:11], s[0:1]
	s_cbranch_execz .LBB191_398
; %bb.397:
	v_mov_b32_e32 v26, 0
	ds_read_b128 v[26:29], v26 offset:12672
	s_waitcnt lgkmcnt(0)
	v_mul_f64 v[30:31], v[13:14], v[28:29]
	v_mul_f64 v[28:29], v[11:12], v[28:29]
	v_fma_f64 v[11:12], v[11:12], v[26:27], -v[30:31]
	v_fma_f64 v[13:14], v[13:14], v[26:27], v[28:29]
	ds_write_b128 v25, v[11:14]
.LBB191_398:
	s_or_b64 exec, exec, s[10:11]
	s_waitcnt lgkmcnt(0)
	s_barrier
	s_and_saveexec_b64 s[10:11], s[64:65]
	s_cbranch_execz .LBB191_400
; %bb.399:
	ds_read_b128 v[26:29], v25
	ds_read_b128 v[30:33], v24 offset:12672
	s_waitcnt lgkmcnt(0)
	v_mul_f64 v[34:35], v[28:29], v[32:33]
	v_mul_f64 v[32:33], v[26:27], v[32:33]
	v_fma_f64 v[26:27], v[26:27], v[30:31], -v[34:35]
	v_fma_f64 v[28:29], v[28:29], v[30:31], v[32:33]
	v_add_f64 v[11:12], v[11:12], v[26:27]
	v_add_f64 v[13:14], v[13:14], v[28:29]
.LBB191_400:
	s_or_b64 exec, exec, s[10:11]
	s_barrier
	s_and_saveexec_b64 s[10:11], s[66:67]
	s_cbranch_execz .LBB191_402
; %bb.401:
	v_mov_b32_e32 v26, 0
	ds_read_b128 v[26:29], v26 offset:13200
	s_waitcnt lgkmcnt(0)
	v_mul_f64 v[30:31], v[13:14], v[28:29]
	v_mul_f64 v[28:29], v[11:12], v[28:29]
	v_fma_f64 v[11:12], v[11:12], v[26:27], -v[30:31]
	v_fma_f64 v[13:14], v[13:14], v[26:27], v[28:29]
	ds_write_b128 v25, v[11:14]
.LBB191_402:
	s_or_b64 exec, exec, s[10:11]
	s_waitcnt lgkmcnt(0)
	s_barrier
	s_and_saveexec_b64 s[10:11], s[68:69]
	s_cbranch_execz .LBB191_404
; %bb.403:
	ds_read_b128 v[26:29], v25
	ds_read_b128 v[30:33], v24 offset:13184
	s_waitcnt lgkmcnt(0)
	v_mul_f64 v[34:35], v[28:29], v[32:33]
	v_mul_f64 v[32:33], v[26:27], v[32:33]
	v_fma_f64 v[26:27], v[26:27], v[30:31], -v[34:35]
	v_fma_f64 v[28:29], v[28:29], v[30:31], v[32:33]
	v_add_f64 v[11:12], v[11:12], v[26:27]
	v_add_f64 v[13:14], v[13:14], v[28:29]
.LBB191_404:
	s_or_b64 exec, exec, s[10:11]
	s_barrier
	;; [unrolled: 30-line block ×6, first 2 shown]
	s_and_saveexec_b64 s[10:11], s[86:87]
	s_cbranch_execz .LBB191_422
; %bb.421:
	v_mov_b32_e32 v24, 0
	ds_read_b128 v[26:29], v24 offset:15840
	s_waitcnt lgkmcnt(0)
	v_mul_f64 v[30:31], v[13:14], v[28:29]
	v_mul_f64 v[28:29], v[11:12], v[28:29]
	v_fma_f64 v[11:12], v[11:12], v[26:27], -v[30:31]
	v_fma_f64 v[13:14], v[13:14], v[26:27], v[28:29]
	ds_write_b128 v25, v[11:14]
.LBB191_422:
	s_or_b64 exec, exec, s[10:11]
	s_waitcnt lgkmcnt(0)
	s_barrier
	s_and_saveexec_b64 s[10:11], s[60:61]
	s_cbranch_execz .LBB191_424
; %bb.423:
	v_mov_b32_e32 v24, 0
	ds_read_b128 v[26:29], v25
	ds_read_b128 v[30:33], v24 offset:15856
	s_waitcnt lgkmcnt(0)
	v_mul_f64 v[34:35], v[28:29], v[32:33]
	v_mul_f64 v[32:33], v[26:27], v[32:33]
	v_fma_f64 v[26:27], v[26:27], v[30:31], -v[34:35]
	v_fma_f64 v[28:29], v[28:29], v[30:31], v[32:33]
	v_add_f64 v[11:12], v[11:12], v[26:27]
	v_add_f64 v[13:14], v[13:14], v[28:29]
.LBB191_424:
	s_or_b64 exec, exec, s[10:11]
	s_barrier
	s_and_saveexec_b64 s[10:11], s[60:61]
	s_cbranch_execz .LBB191_426
; %bb.425:
	v_mov_b32_e32 v24, 0
	ds_read_b128 v[26:29], v24 offset:16368
	s_waitcnt lgkmcnt(0)
	v_mul_f64 v[30:31], v[13:14], v[28:29]
	v_mul_f64 v[28:29], v[11:12], v[28:29]
	v_fma_f64 v[11:12], v[11:12], v[26:27], -v[30:31]
	v_fma_f64 v[13:14], v[13:14], v[26:27], v[28:29]
	ds_write_b128 v25, v[11:14]
.LBB191_426:
	s_or_b64 exec, exec, s[10:11]
	s_waitcnt lgkmcnt(0)
	s_barrier
	s_barrier
	s_and_saveexec_b64 s[10:11], s[8:9]
; %bb.427:
	v_xor_b32_e32 v12, 0x80000000, v12
	v_xor_b32_e32 v14, 0x80000000, v14
	ds_write_b128 v23, v[11:14] offset:8576
; %bb.428:
	s_or_b64 exec, exec, s[10:11]
	s_waitcnt lgkmcnt(0)
	s_barrier
	s_barrier
	s_and_saveexec_b64 s[8:9], s[88:89]
	s_cbranch_execz .LBB191_430
; %bb.429:
	v_lshlrev_b32_e32 v23, 9, v0
	ds_read_b128 v[11:14], v23 offset:8576
	s_movk_i32 s0, 0xfe10
	v_mad_i32_i24 v24, v0, s0, v23
	s_waitcnt lgkmcnt(0)
	ds_write_b128 v24, v[11:14] offset:12544
	ds_read_b128 v[11:14], v23 offset:8592
	s_waitcnt lgkmcnt(0)
	ds_write_b128 v24, v[11:14] offset:13056
	ds_read_b128 v[11:14], v23 offset:8608
	;; [unrolled: 3-line block ×7, first 2 shown]
	s_waitcnt lgkmcnt(0)
	ds_write_b128 v24, v[11:14] offset:16128
.LBB191_430:
	s_or_b64 exec, exec, s[8:9]
	s_waitcnt lgkmcnt(0)
	s_barrier
	s_and_saveexec_b64 s[8:9], vcc
	s_cbranch_execz .LBB191_432
; %bb.431:
	v_mov_b32_e32 v33, 0
	ds_read_b128 v[11:14], v33 offset:13200
	ds_read_b128 v[23:26], v33 offset:12672
	;; [unrolled: 1-line block ×3, first 2 shown]
	s_waitcnt lgkmcnt(1)
	v_mul_f64 v[31:32], v[11:12], v[25:26]
	v_mul_f64 v[25:26], v[13:14], v[25:26]
	v_fma_f64 v[13:14], v[13:14], v[23:24], v[31:32]
	v_fma_f64 v[11:12], v[11:12], v[23:24], -v[25:26]
	s_waitcnt lgkmcnt(0)
	v_mul_f64 v[23:24], v[13:14], v[29:30]
	v_mul_f64 v[25:26], v[11:12], v[29:30]
	v_fma_f64 v[11:12], v[27:28], v[11:12], -v[23:24]
	v_fma_f64 v[13:14], v[27:28], v[13:14], v[25:26]
	ds_write_b128 v33, v[11:14] offset:12688
	ds_write_b128 v33, v[11:14] offset:13184
.LBB191_432:
	s_or_b64 exec, exec, s[8:9]
	v_mov_b32_e32 v13, 0
	v_mov_b32_e32 v11, 0
	;; [unrolled: 1-line block ×4, first 2 shown]
	s_waitcnt lgkmcnt(0)
	s_barrier
	s_and_saveexec_b64 s[10:11], s[2:3]
	s_cbranch_execz .LBB191_436
; %bb.433:
	v_mul_u32_u24_e32 v11, 0x210, v17
	ds_read_b128 v[11:14], v11 offset:12672
	ds_read_b128 v[23:26], v15 offset:12704
	v_cmp_gt_u32_e64 s[8:9], 2, v1
	s_waitcnt lgkmcnt(0)
	v_mul_f64 v[27:28], v[13:14], v[25:26]
	v_mul_f64 v[25:26], v[11:12], v[25:26]
	v_fma_f64 v[11:12], v[11:12], v[23:24], -v[27:28]
	v_fma_f64 v[13:14], v[13:14], v[23:24], v[25:26]
	v_add_f64 v[11:12], v[11:12], 0
	v_add_f64 v[13:14], v[13:14], 0
	s_and_saveexec_b64 s[12:13], s[8:9]
	s_cbranch_execz .LBB191_435
; %bb.434:
	v_lshlrev_b32_e32 v27, 4, v0
	v_mov_b32_e32 v23, 0
	ds_read_b128 v[23:26], v23 offset:12688
	ds_read_b128 v[27:30], v27 offset:13216
	s_waitcnt lgkmcnt(0)
	v_mul_f64 v[31:32], v[25:26], v[29:30]
	v_mul_f64 v[29:30], v[23:24], v[29:30]
	v_fma_f64 v[23:24], v[23:24], v[27:28], -v[31:32]
	v_fma_f64 v[25:26], v[25:26], v[27:28], v[29:30]
	v_add_f64 v[11:12], v[11:12], v[23:24]
	v_add_f64 v[13:14], v[13:14], v[25:26]
.LBB191_435:
	s_or_b64 exec, exec, s[12:13]
	v_xor_b32_e32 v12, 0x80000000, v12
	v_xor_b32_e32 v14, 0x80000000, v14
.LBB191_436:
	s_or_b64 exec, exec, s[10:11]
	s_and_saveexec_b64 s[8:9], s[42:43]
	s_cbranch_execz .LBB191_438
; %bb.437:
	v_mov_b32_e32 v23, 0
	ds_read_b128 v[23:26], v23 offset:13728
	s_waitcnt lgkmcnt(0)
	v_mul_f64 v[27:28], v[13:14], v[25:26]
	v_mul_f64 v[25:26], v[11:12], v[25:26]
	v_fma_f64 v[11:12], v[11:12], v[23:24], -v[27:28]
	v_fma_f64 v[13:14], v[13:14], v[23:24], v[25:26]
	ds_write_b128 v16, v[11:14]
.LBB191_438:
	s_or_b64 exec, exec, s[8:9]
	s_waitcnt lgkmcnt(0)
	s_barrier
	s_and_saveexec_b64 s[8:9], s[40:41]
	s_cbranch_execz .LBB191_440
; %bb.439:
	v_mov_b32_e32 v27, 0
	ds_read_b128 v[23:26], v16
	ds_read_b128 v[27:30], v27 offset:13744
	s_waitcnt lgkmcnt(0)
	v_mul_f64 v[31:32], v[25:26], v[29:30]
	v_mul_f64 v[29:30], v[23:24], v[29:30]
	v_fma_f64 v[23:24], v[23:24], v[27:28], -v[31:32]
	v_fma_f64 v[25:26], v[25:26], v[27:28], v[29:30]
	v_add_f64 v[11:12], v[11:12], v[23:24]
	v_add_f64 v[13:14], v[13:14], v[25:26]
.LBB191_440:
	s_or_b64 exec, exec, s[8:9]
	s_barrier
	s_and_saveexec_b64 s[8:9], s[40:41]
	s_cbranch_execz .LBB191_442
; %bb.441:
	v_mov_b32_e32 v23, 0
	ds_read_b128 v[23:26], v23 offset:14256
	s_waitcnt lgkmcnt(0)
	v_mul_f64 v[27:28], v[13:14], v[25:26]
	v_mul_f64 v[25:26], v[11:12], v[25:26]
	v_fma_f64 v[11:12], v[11:12], v[23:24], -v[27:28]
	v_fma_f64 v[13:14], v[13:14], v[23:24], v[25:26]
	ds_write_b128 v16, v[11:14]
.LBB191_442:
	s_or_b64 exec, exec, s[8:9]
	s_waitcnt lgkmcnt(0)
	s_barrier
	s_barrier
	s_and_saveexec_b64 s[8:9], s[2:3]
; %bb.443:
	v_xor_b32_e32 v12, 0x80000000, v12
	v_xor_b32_e32 v14, 0x80000000, v14
	ds_write_b128 v15, v[11:14] offset:12704
; %bb.444:
	s_or_b64 exec, exec, s[8:9]
	s_waitcnt lgkmcnt(0)
	s_barrier
	s_barrier
	s_and_saveexec_b64 s[8:9], s[44:45]
	s_cbranch_execz .LBB191_446
; %bb.445:
	v_lshlrev_b32_e32 v23, 9, v0
	ds_read_b128 v[11:14], v23 offset:12704
	s_movk_i32 s0, 0xfe10
	v_mad_i32_i24 v24, v0, s0, v23
	s_waitcnt lgkmcnt(0)
	ds_write_b128 v24, v[11:14] offset:13696
	ds_read_b128 v[11:14], v23 offset:12720
	s_waitcnt lgkmcnt(0)
	ds_write_b128 v24, v[11:14] offset:14208
.LBB191_446:
	s_or_b64 exec, exec, s[8:9]
	s_waitcnt lgkmcnt(0)
	s_barrier
	s_and_saveexec_b64 s[8:9], vcc
	s_cbranch_execz .LBB191_448
; %bb.447:
	v_mov_b32_e32 v33, 0
	ds_read_b128 v[11:14], v33 offset:14256
	ds_read_b128 v[23:26], v33 offset:13728
	;; [unrolled: 1-line block ×3, first 2 shown]
	s_waitcnt lgkmcnt(1)
	v_mul_f64 v[31:32], v[11:12], v[25:26]
	v_mul_f64 v[25:26], v[13:14], v[25:26]
	v_fma_f64 v[13:14], v[13:14], v[23:24], v[31:32]
	v_fma_f64 v[11:12], v[11:12], v[23:24], -v[25:26]
	s_waitcnt lgkmcnt(0)
	v_mul_f64 v[23:24], v[13:14], v[29:30]
	v_mul_f64 v[25:26], v[11:12], v[29:30]
	v_fma_f64 v[11:12], v[27:28], v[11:12], -v[23:24]
	v_fma_f64 v[13:14], v[27:28], v[13:14], v[25:26]
	ds_write_b128 v33, v[11:14] offset:13744
	ds_write_b128 v33, v[11:14] offset:14240
.LBB191_448:
	s_or_b64 exec, exec, s[8:9]
	v_mov_b32_e32 v13, 0
	v_mov_b32_e32 v11, 0
	;; [unrolled: 1-line block ×4, first 2 shown]
	s_waitcnt lgkmcnt(0)
	s_barrier
	s_and_saveexec_b64 s[10:11], s[16:17]
	s_cbranch_execz .LBB191_454
; %bb.449:
	v_mul_u32_u24_e32 v23, 0x210, v22
	ds_read_b128 v[11:14], v23 offset:12672
	ds_read_b128 v[24:27], v18 offset:12736
	v_cmp_gt_u32_e64 s[8:9], 12, v1
	s_waitcnt lgkmcnt(0)
	v_mul_f64 v[28:29], v[13:14], v[26:27]
	v_mul_f64 v[26:27], v[11:12], v[26:27]
	v_fma_f64 v[11:12], v[11:12], v[24:25], -v[28:29]
	v_fma_f64 v[13:14], v[13:14], v[24:25], v[26:27]
	v_add_f64 v[11:12], v[11:12], 0
	v_add_f64 v[13:14], v[13:14], 0
	s_and_saveexec_b64 s[12:13], s[8:9]
	s_cbranch_execnz .LBB191_572
; %bb.450:
	s_or_b64 exec, exec, s[12:13]
	v_cmp_gt_u32_e64 s[8:9], 8, v1
	s_and_saveexec_b64 s[12:13], s[8:9]
	s_cbranch_execnz .LBB191_573
.LBB191_451:
	s_or_b64 exec, exec, s[12:13]
	v_cmp_gt_u32_e64 s[8:9], 4, v1
	s_and_saveexec_b64 s[12:13], s[8:9]
	s_cbranch_execz .LBB191_453
.LBB191_452:
	v_lshlrev_b32_e32 v25, 4, v0
	v_mov_b32_e32 v21, 0
	ds_read_b128 v[21:24], v21 offset:12720
	ds_read_b128 v[25:28], v25 offset:14272
	s_waitcnt lgkmcnt(0)
	v_mul_f64 v[29:30], v[23:24], v[27:28]
	v_mul_f64 v[27:28], v[21:22], v[27:28]
	v_fma_f64 v[21:22], v[21:22], v[25:26], -v[29:30]
	v_fma_f64 v[23:24], v[23:24], v[25:26], v[27:28]
	v_add_f64 v[11:12], v[11:12], v[21:22]
	v_add_f64 v[13:14], v[13:14], v[23:24]
.LBB191_453:
	s_or_b64 exec, exec, s[12:13]
	v_xor_b32_e32 v12, 0x80000000, v12
	v_xor_b32_e32 v14, 0x80000000, v14
.LBB191_454:
	s_or_b64 exec, exec, s[10:11]
	s_and_saveexec_b64 s[8:9], s[48:49]
	s_cbranch_execz .LBB191_456
; %bb.455:
	v_mov_b32_e32 v21, 0
	ds_read_b128 v[21:24], v21 offset:14784
	s_waitcnt lgkmcnt(0)
	v_mul_f64 v[25:26], v[13:14], v[23:24]
	v_mul_f64 v[23:24], v[11:12], v[23:24]
	v_fma_f64 v[11:12], v[11:12], v[21:22], -v[25:26]
	v_fma_f64 v[13:14], v[13:14], v[21:22], v[23:24]
	ds_write_b128 v20, v[11:14]
.LBB191_456:
	s_or_b64 exec, exec, s[8:9]
	s_waitcnt lgkmcnt(0)
	s_barrier
	s_and_saveexec_b64 s[8:9], s[50:51]
	v_readlane_b32 s48, v43, 1
	v_readlane_b32 s49, v43, 2
	s_cbranch_execz .LBB191_458
; %bb.457:
	ds_read_b128 v[21:24], v20
	ds_read_b128 v[25:28], v19 offset:14784
	s_waitcnt lgkmcnt(0)
	v_mul_f64 v[29:30], v[23:24], v[27:28]
	v_mul_f64 v[27:28], v[21:22], v[27:28]
	v_fma_f64 v[21:22], v[21:22], v[25:26], -v[29:30]
	v_fma_f64 v[23:24], v[23:24], v[25:26], v[27:28]
	v_add_f64 v[11:12], v[11:12], v[21:22]
	v_add_f64 v[13:14], v[13:14], v[23:24]
.LBB191_458:
	s_or_b64 exec, exec, s[8:9]
	s_barrier
	s_and_saveexec_b64 s[8:9], s[52:53]
	s_cbranch_execz .LBB191_460
; %bb.459:
	v_mov_b32_e32 v21, 0
	ds_read_b128 v[21:24], v21 offset:15312
	s_waitcnt lgkmcnt(0)
	v_mul_f64 v[25:26], v[13:14], v[23:24]
	v_mul_f64 v[23:24], v[11:12], v[23:24]
	v_fma_f64 v[11:12], v[11:12], v[21:22], -v[25:26]
	v_fma_f64 v[13:14], v[13:14], v[21:22], v[23:24]
	ds_write_b128 v20, v[11:14]
.LBB191_460:
	s_or_b64 exec, exec, s[8:9]
	s_waitcnt lgkmcnt(0)
	s_barrier
	s_and_saveexec_b64 s[8:9], s[54:55]
	s_cbranch_execz .LBB191_462
; %bb.461:
	ds_read_b128 v[21:24], v20
	ds_read_b128 v[25:28], v19 offset:15296
	s_waitcnt lgkmcnt(0)
	v_mul_f64 v[29:30], v[23:24], v[27:28]
	v_mul_f64 v[27:28], v[21:22], v[27:28]
	v_fma_f64 v[21:22], v[21:22], v[25:26], -v[29:30]
	v_fma_f64 v[23:24], v[23:24], v[25:26], v[27:28]
	v_add_f64 v[11:12], v[11:12], v[21:22]
	v_add_f64 v[13:14], v[13:14], v[23:24]
.LBB191_462:
	s_or_b64 exec, exec, s[8:9]
	s_barrier
	s_and_saveexec_b64 s[8:9], s[56:57]
	s_cbranch_execz .LBB191_464
; %bb.463:
	v_mov_b32_e32 v19, 0
	ds_read_b128 v[21:24], v19 offset:15840
	s_waitcnt lgkmcnt(0)
	v_mul_f64 v[25:26], v[13:14], v[23:24]
	v_mul_f64 v[23:24], v[11:12], v[23:24]
	v_fma_f64 v[11:12], v[11:12], v[21:22], -v[25:26]
	v_fma_f64 v[13:14], v[13:14], v[21:22], v[23:24]
	ds_write_b128 v20, v[11:14]
.LBB191_464:
	s_or_b64 exec, exec, s[8:9]
	s_waitcnt lgkmcnt(0)
	s_barrier
	s_and_saveexec_b64 s[8:9], s[46:47]
	s_cbranch_execz .LBB191_466
; %bb.465:
	v_mov_b32_e32 v19, 0
	ds_read_b128 v[21:24], v20
	ds_read_b128 v[25:28], v19 offset:15856
	s_waitcnt lgkmcnt(0)
	v_mul_f64 v[29:30], v[23:24], v[27:28]
	v_mul_f64 v[27:28], v[21:22], v[27:28]
	v_fma_f64 v[21:22], v[21:22], v[25:26], -v[29:30]
	v_fma_f64 v[23:24], v[23:24], v[25:26], v[27:28]
	v_add_f64 v[11:12], v[11:12], v[21:22]
	v_add_f64 v[13:14], v[13:14], v[23:24]
.LBB191_466:
	s_or_b64 exec, exec, s[8:9]
	s_barrier
	s_and_saveexec_b64 s[8:9], s[46:47]
	s_cbranch_execz .LBB191_468
; %bb.467:
	v_mov_b32_e32 v19, 0
	ds_read_b128 v[21:24], v19 offset:16368
	s_waitcnt lgkmcnt(0)
	v_mul_f64 v[25:26], v[13:14], v[23:24]
	v_mul_f64 v[23:24], v[11:12], v[23:24]
	v_fma_f64 v[11:12], v[11:12], v[21:22], -v[25:26]
	v_fma_f64 v[13:14], v[13:14], v[21:22], v[23:24]
	ds_write_b128 v20, v[11:14]
.LBB191_468:
	s_or_b64 exec, exec, s[8:9]
	s_waitcnt lgkmcnt(0)
	s_barrier
	s_barrier
	s_and_saveexec_b64 s[8:9], s[16:17]
; %bb.469:
	v_xor_b32_e32 v14, 0x80000000, v14
	v_xor_b32_e32 v12, 0x80000000, v12
	ds_write_b128 v18, v[11:14] offset:12736
; %bb.470:
	s_or_b64 exec, exec, s[8:9]
	s_waitcnt lgkmcnt(0)
	s_barrier
	s_barrier
	s_and_saveexec_b64 s[8:9], s[58:59]
	s_cbranch_execz .LBB191_472
; %bb.471:
	v_lshlrev_b32_e32 v18, 4, v0
	s_movk_i32 s0, 0x1f0
	v_mad_u32_u24 v19, v0, s0, v18
	ds_read_b128 v[11:14], v19 offset:12736
	s_waitcnt lgkmcnt(0)
	ds_write_b128 v18, v[11:14] offset:14720
	ds_read_b128 v[11:14], v19 offset:12752
	s_waitcnt lgkmcnt(0)
	ds_write_b128 v18, v[11:14] offset:15232
	;; [unrolled: 3-line block ×4, first 2 shown]
.LBB191_472:
	s_or_b64 exec, exec, s[8:9]
	s_waitcnt lgkmcnt(0)
	s_barrier
	s_and_saveexec_b64 s[8:9], vcc
	s_cbranch_execz .LBB191_474
; %bb.473:
	v_mov_b32_e32 v28, 0
	ds_read_b128 v[11:14], v28 offset:15312
	ds_read_b128 v[18:21], v28 offset:14784
	;; [unrolled: 1-line block ×3, first 2 shown]
	s_waitcnt lgkmcnt(1)
	v_mul_f64 v[26:27], v[11:12], v[20:21]
	v_mul_f64 v[20:21], v[13:14], v[20:21]
	v_fma_f64 v[13:14], v[13:14], v[18:19], v[26:27]
	v_fma_f64 v[11:12], v[11:12], v[18:19], -v[20:21]
	s_waitcnt lgkmcnt(0)
	v_mul_f64 v[18:19], v[13:14], v[24:25]
	v_mul_f64 v[20:21], v[11:12], v[24:25]
	v_fma_f64 v[11:12], v[22:23], v[11:12], -v[18:19]
	v_fma_f64 v[13:14], v[22:23], v[13:14], v[20:21]
	ds_write_b128 v28, v[11:14] offset:14800
	ds_write_b128 v28, v[11:14] offset:15296
.LBB191_474:
	s_or_b64 exec, exec, s[8:9]
	v_mov_b32_e32 v13, 0
	v_mov_b32_e32 v11, 0
	;; [unrolled: 1-line block ×4, first 2 shown]
	s_waitcnt lgkmcnt(0)
	s_barrier
	s_and_saveexec_b64 s[10:11], s[2:3]
	s_cbranch_execz .LBB191_478
; %bb.475:
	v_mul_u32_u24_e32 v11, 0x210, v17
	ds_read_b128 v[11:14], v11 offset:14784
	ds_read_b128 v[17:20], v15 offset:14816
	v_cmp_gt_u32_e64 s[8:9], 2, v1
	s_waitcnt lgkmcnt(0)
	v_mul_f64 v[21:22], v[13:14], v[19:20]
	v_mul_f64 v[19:20], v[11:12], v[19:20]
	v_fma_f64 v[11:12], v[11:12], v[17:18], -v[21:22]
	v_fma_f64 v[13:14], v[13:14], v[17:18], v[19:20]
	v_add_f64 v[11:12], v[11:12], 0
	v_add_f64 v[13:14], v[13:14], 0
	s_and_saveexec_b64 s[12:13], s[8:9]
	s_cbranch_execz .LBB191_477
; %bb.476:
	v_lshlrev_b32_e32 v21, 4, v0
	v_mov_b32_e32 v17, 0
	ds_read_b128 v[17:20], v17 offset:14800
	ds_read_b128 v[21:24], v21 offset:15328
	s_waitcnt lgkmcnt(0)
	v_mul_f64 v[25:26], v[19:20], v[23:24]
	v_mul_f64 v[23:24], v[17:18], v[23:24]
	v_fma_f64 v[17:18], v[17:18], v[21:22], -v[25:26]
	v_fma_f64 v[19:20], v[19:20], v[21:22], v[23:24]
	v_add_f64 v[11:12], v[11:12], v[17:18]
	v_add_f64 v[13:14], v[13:14], v[19:20]
.LBB191_477:
	s_or_b64 exec, exec, s[12:13]
	v_xor_b32_e32 v12, 0x80000000, v12
	v_xor_b32_e32 v14, 0x80000000, v14
.LBB191_478:
	s_or_b64 exec, exec, s[10:11]
	s_and_saveexec_b64 s[8:9], s[42:43]
	s_cbranch_execz .LBB191_480
; %bb.479:
	v_mov_b32_e32 v17, 0
	ds_read_b128 v[17:20], v17 offset:15840
	s_waitcnt lgkmcnt(0)
	v_mul_f64 v[21:22], v[13:14], v[19:20]
	v_mul_f64 v[19:20], v[11:12], v[19:20]
	v_fma_f64 v[11:12], v[11:12], v[17:18], -v[21:22]
	v_fma_f64 v[13:14], v[13:14], v[17:18], v[19:20]
	ds_write_b128 v16, v[11:14]
.LBB191_480:
	s_or_b64 exec, exec, s[8:9]
	s_waitcnt lgkmcnt(0)
	s_barrier
	s_and_saveexec_b64 s[8:9], s[40:41]
	s_load_dword s43, s[4:5], 0x74
	v_readlane_b32 s42, v43, 0
	s_cbranch_execz .LBB191_482
; %bb.481:
	v_mov_b32_e32 v21, 0
	ds_read_b128 v[17:20], v16
	ds_read_b128 v[21:24], v21 offset:15856
	s_waitcnt lgkmcnt(0)
	v_mul_f64 v[25:26], v[19:20], v[23:24]
	v_mul_f64 v[23:24], v[17:18], v[23:24]
	v_fma_f64 v[17:18], v[17:18], v[21:22], -v[25:26]
	v_fma_f64 v[19:20], v[19:20], v[21:22], v[23:24]
	v_add_f64 v[11:12], v[11:12], v[17:18]
	v_add_f64 v[13:14], v[13:14], v[19:20]
.LBB191_482:
	s_or_b64 exec, exec, s[8:9]
	s_waitcnt lgkmcnt(0)
	s_barrier
	s_and_saveexec_b64 s[8:9], s[40:41]
	s_cbranch_execz .LBB191_484
; %bb.483:
	v_mov_b32_e32 v17, 0
	ds_read_b128 v[17:20], v17 offset:16368
	s_waitcnt lgkmcnt(0)
	v_mul_f64 v[21:22], v[13:14], v[19:20]
	v_mul_f64 v[19:20], v[11:12], v[19:20]
	v_fma_f64 v[11:12], v[11:12], v[17:18], -v[21:22]
	v_fma_f64 v[13:14], v[13:14], v[17:18], v[19:20]
	ds_write_b128 v16, v[11:14]
.LBB191_484:
	s_or_b64 exec, exec, s[8:9]
	s_waitcnt lgkmcnt(0)
	s_barrier
	s_barrier
	s_and_saveexec_b64 s[8:9], s[2:3]
; %bb.485:
	v_xor_b32_e32 v12, 0x80000000, v12
	v_xor_b32_e32 v14, 0x80000000, v14
	ds_write_b128 v15, v[11:14] offset:14816
; %bb.486:
	s_or_b64 exec, exec, s[8:9]
	s_waitcnt lgkmcnt(0)
	s_barrier
	s_barrier
	s_and_saveexec_b64 s[2:3], s[44:45]
	s_cbranch_execz .LBB191_488
; %bb.487:
	v_lshlrev_b32_e32 v15, 9, v0
	ds_read_b128 v[11:14], v15 offset:14816
	s_movk_i32 s0, 0xfe10
	v_mad_i32_i24 v16, v0, s0, v15
	s_waitcnt lgkmcnt(0)
	ds_write_b128 v16, v[11:14] offset:15808
	ds_read_b128 v[11:14], v15 offset:14832
	s_waitcnt lgkmcnt(0)
	ds_write_b128 v16, v[11:14] offset:16320
.LBB191_488:
	s_or_b64 exec, exec, s[2:3]
	s_waitcnt lgkmcnt(0)
	s_barrier
	s_and_saveexec_b64 s[2:3], vcc
	s_cbranch_execz .LBB191_490
; %bb.489:
	v_mov_b32_e32 v25, 0
	ds_read_b128 v[11:14], v25 offset:16368
	ds_read_b128 v[15:18], v25 offset:15840
	;; [unrolled: 1-line block ×3, first 2 shown]
	s_waitcnt lgkmcnt(1)
	v_mul_f64 v[23:24], v[11:12], v[17:18]
	v_mul_f64 v[17:18], v[13:14], v[17:18]
	v_fma_f64 v[13:14], v[13:14], v[15:16], v[23:24]
	v_fma_f64 v[11:12], v[11:12], v[15:16], -v[17:18]
	s_waitcnt lgkmcnt(0)
	v_mul_f64 v[15:16], v[13:14], v[21:22]
	v_mul_f64 v[17:18], v[11:12], v[21:22]
	v_fma_f64 v[11:12], v[19:20], v[11:12], -v[15:16]
	v_fma_f64 v[13:14], v[19:20], v[13:14], v[17:18]
	ds_write_b128 v25, v[11:14] offset:15856
	ds_write_b128 v25, v[11:14] offset:16352
.LBB191_490:
	s_or_b64 exec, exec, s[2:3]
.LBB191_491:
	s_lshl_b64 s[0:1], s[26:27], 4
	s_add_u32 s26, s38, s0
	v_cmp_le_i32_e32 vcc, s95, v0
	s_addc_u32 s27, s39, s1
	s_and_b64 s[16:17], vcc, s[34:35]
	v_cmp_eq_u32_e64 s[2:3], 0, v2
	s_xor_b64 s[0:1], s[16:17], -1
	v_mov_b32_e32 v13, 0
	v_mov_b32_e32 v11, 0
	s_and_b64 s[0:1], s[2:3], s[0:1]
	v_mov_b32_e32 v14, 0
	v_mov_b32_e32 v12, 0
	v_add_u32_e32 v16, s33, v0
	s_waitcnt lgkmcnt(0)
	s_barrier
	s_and_saveexec_b64 s[8:9], s[0:1]
	s_cbranch_execz .LBB191_493
; %bb.492:
	v_ashrrev_i32_e32 v13, 31, v16
	v_mul_lo_u32 v14, s25, v16
	v_mad_u64_u32 v[11:12], s[0:1], s24, v16, 0
	v_mul_lo_u32 v13, s24, v13
	v_add3_u32 v12, v12, v13, v14
	v_lshlrev_b64 v[11:12], 4, v[11:12]
	v_mov_b32_e32 v13, s27
	v_add_co_u32_e32 v11, vcc, s26, v11
	v_addc_co_u32_e32 v12, vcc, v13, v12, vcc
	flat_load_dwordx4 v[11:14], v[11:12]
	s_waitcnt vmcnt(0) lgkmcnt(0)
	v_mul_f64 v[17:18], s[20:21], v[11:12]
	v_mul_f64 v[19:20], s[20:21], v[13:14]
	v_fma_f64 v[13:14], s[22:23], v[13:14], -v[17:18]
	v_fma_f64 v[11:12], v[11:12], -s[22:23], -v[19:20]
.LBB191_493:
	s_or_b64 exec, exec, s[8:9]
	s_load_dwordx2 s[14:15], s[4:5], 0x58
	s_and_b32 s0, 0xffff, s43
	v_mad_u32_u24 v23, v2, s0, v0
	v_mov_b32_e32 v15, 0
	s_cmp_lt_i32 s6, 1
	v_cmp_eq_u32_e64 s[4:5], 0, v23
	s_cbranch_scc1 .LBB191_516
; %bb.494:
	v_ashrrev_i32_e32 v19, 31, v16
	v_mul_lo_u32 v20, s37, v16
	v_mad_u64_u32 v[17:18], s[0:1], s36, v16, 0
	v_mul_lo_u32 v19, s36, v19
	s_lshl_b64 s[8:9], s[28:29], 2
	s_waitcnt lgkmcnt(0)
	s_add_u32 s18, s14, s8
	s_addc_u32 s19, s15, s9
	v_add3_u32 v18, v18, v19, v20
	v_cmp_gt_i32_e64 s[8:9], s30, v16
	v_lshlrev_b64 v[16:17], 4, v[17:18]
	v_mov_b32_e32 v19, 0x6000
	v_mov_b32_e32 v18, s62
	v_add_co_u32_e32 v26, vcc, s94, v16
	s_mov_b32 s0, 0
	v_cmp_gt_u32_e64 s[12:13], 32, v23
	v_lshl_add_u32 v24, v23, 4, v19
	v_lshl_or_b32 v25, v2, 4, v19
	s_add_i32 s63, s63, 1
	v_addc_co_u32_e32 v27, vcc, v18, v17, vcc
	v_mov_b32_e32 v28, -1
	s_branch .LBB191_497
.LBB191_495:                            ;   in Loop: Header=BB191_497 Depth=1
	ds_read_b128 v[29:32], v25 offset:256
	s_waitcnt vmcnt(0) lgkmcnt(0)
	v_mul_f64 v[16:17], v[20:21], v[31:32]
	v_mul_f64 v[31:32], v[18:19], v[31:32]
	v_fma_f64 v[16:17], v[18:19], v[29:30], -v[16:17]
	v_fma_f64 v[18:19], v[20:21], v[29:30], v[31:32]
	v_add_f64 v[13:14], v[13:14], v[16:17]
	v_add_f64 v[11:12], v[11:12], v[18:19]
.LBB191_496:                            ;   in Loop: Header=BB191_497 Depth=1
	s_or_b64 exec, exec, s[20:21]
	s_add_i32 s0, s0, 1
	s_cmp_eq_u32 s0, s6
	s_cbranch_scc1 .LBB191_516
.LBB191_497:                            ; =>This Loop Header: Depth=1
                                        ;     Child Loop BB191_499 Depth 2
	v_cmp_gt_i32_e32 vcc, s0, v28
	s_and_b64 s[20:21], s[4:5], vcc
	s_and_saveexec_b64 s[10:11], s[20:21]
	s_cbranch_execz .LBB191_500
; %bb.498:                              ;   in Loop: Header=BB191_497 Depth=1
	global_load_dword v28, v15, s[18:19]
	s_waitcnt vmcnt(0)
	v_cmp_le_i32_e32 vcc, s0, v28
	s_cbranch_vccnz .LBB191_500
.LBB191_499:                            ;   Parent Loop BB191_497 Depth=1
                                        ; =>  This Inner Loop Header: Depth=2
	buffer_wbinvl1_vol
	global_load_dword v28, v15, s[18:19]
	s_waitcnt vmcnt(0)
	v_cmp_gt_i32_e32 vcc, s0, v28
	s_cbranch_vccnz .LBB191_499
.LBB191_500:                            ;   in Loop: Header=BB191_497 Depth=1
	s_or_b64 exec, exec, s[10:11]
	s_sub_i32 s1, s7, s0
	s_lshl_b32 s22, s1, 5
	buffer_wbinvl1_vol
	s_barrier
	s_and_saveexec_b64 s[10:11], s[12:13]
	s_cbranch_execz .LBB191_505
; %bb.501:                              ;   in Loop: Header=BB191_497 Depth=1
	s_ashr_i32 s20, s22, 31
	v_mov_b32_e32 v17, s20
	v_or_b32_e32 v16, s22, v23
	v_cmp_le_i64_e32 vcc, s[30:31], v[16:17]
	s_and_saveexec_b64 s[20:21], vcc
	s_xor_b64 s[20:21], exec, s[20:21]
; %bb.502:                              ;   in Loop: Header=BB191_497 Depth=1
	v_mov_b32_e32 v16, v15
	v_mov_b32_e32 v17, v15
	;; [unrolled: 1-line block ×3, first 2 shown]
	ds_write_b128 v24, v[15:18]
                                        ; implicit-def: $vgpr16_vgpr17
; %bb.503:                              ;   in Loop: Header=BB191_497 Depth=1
	s_andn2_saveexec_b64 s[20:21], s[20:21]
	s_cbranch_execz .LBB191_505
; %bb.504:                              ;   in Loop: Header=BB191_497 Depth=1
	v_mul_lo_u32 v18, v17, s24
	v_mul_lo_u32 v19, v16, s25
	v_mad_u64_u32 v[16:17], s[20:21], v16, s24, 0
	v_add3_u32 v17, v17, v19, v18
	v_lshlrev_b64 v[16:17], 4, v[16:17]
	v_mov_b32_e32 v18, s27
	v_add_co_u32_e32 v16, vcc, s26, v16
	v_addc_co_u32_e32 v17, vcc, v18, v17, vcc
	flat_load_dwordx4 v[16:19], v[16:17]
	s_waitcnt vmcnt(0) lgkmcnt(0)
	ds_write2_b64 v24, v[16:17], v[18:19] offset1:1
.LBB191_505:                            ;   in Loop: Header=BB191_497 Depth=1
	s_or_b64 exec, exec, s[10:11]
	v_add_u32_e32 v18, s22, v2
	v_ashrrev_i32_e32 v19, 31, v18
	v_lshlrev_b64 v[16:17], 4, v[18:19]
	s_cmp_lg_u32 s1, s63
	v_add_co_u32_e32 v16, vcc, v26, v16
	s_cselect_b64 s[10:11], -1, 0
	v_addc_co_u32_e32 v17, vcc, v27, v17, vcc
	v_cmp_gt_i32_e32 vcc, s30, v18
	v_cndmask_b32_e64 v19, 0, 1, s[10:11]
	s_and_b64 s[22:23], vcc, s[8:9]
	v_cmp_ne_u32_e64 s[10:11], 1, v19
	s_waitcnt lgkmcnt(0)
	s_barrier
	s_and_saveexec_b64 s[20:21], s[22:23]
	s_cbranch_execz .LBB191_511
; %bb.506:                              ;   in Loop: Header=BB191_497 Depth=1
	v_mov_b32_e32 v20, v8
	s_and_b64 vcc, exec, s[10:11]
	v_mov_b32_e32 v19, v7
	s_cbranch_vccnz .LBB191_508
; %bb.507:                              ;   in Loop: Header=BB191_497 Depth=1
	flat_load_dwordx2 v[19:20], v[16:17]
.LBB191_508:                            ;   in Loop: Header=BB191_497 Depth=1
	v_mov_b32_e32 v22, v10
	s_and_b64 vcc, exec, s[10:11]
	v_mov_b32_e32 v21, v9
	s_cbranch_vccnz .LBB191_510
; %bb.509:                              ;   in Loop: Header=BB191_497 Depth=1
	flat_load_dwordx2 v[21:22], v[16:17] offset:8
.LBB191_510:                            ;   in Loop: Header=BB191_497 Depth=1
	ds_read_b128 v[29:32], v25
	s_waitcnt vmcnt(0) lgkmcnt(0)
	v_mul_f64 v[33:34], v[21:22], v[31:32]
	v_mul_f64 v[31:32], v[19:20], v[31:32]
	v_fma_f64 v[19:20], v[19:20], v[29:30], -v[33:34]
	v_fma_f64 v[21:22], v[21:22], v[29:30], v[31:32]
	v_add_f64 v[13:14], v[13:14], v[19:20]
	v_add_f64 v[11:12], v[11:12], v[21:22]
.LBB191_511:                            ;   in Loop: Header=BB191_497 Depth=1
	s_or_b64 exec, exec, s[20:21]
	v_add_u32_e32 v18, 16, v18
	v_cmp_gt_i32_e32 vcc, s30, v18
	s_and_b64 s[22:23], vcc, s[8:9]
	s_and_saveexec_b64 s[20:21], s[22:23]
	s_cbranch_execz .LBB191_496
; %bb.512:                              ;   in Loop: Header=BB191_497 Depth=1
	v_mov_b32_e32 v19, v4
	s_and_b64 vcc, exec, s[10:11]
	v_mov_b32_e32 v18, v3
	s_cbranch_vccnz .LBB191_514
; %bb.513:                              ;   in Loop: Header=BB191_497 Depth=1
	flat_load_dwordx2 v[18:19], v[16:17] offset:256
.LBB191_514:                            ;   in Loop: Header=BB191_497 Depth=1
	v_mov_b32_e32 v21, v6
	s_and_b64 vcc, exec, s[10:11]
	v_mov_b32_e32 v20, v5
	s_cbranch_vccnz .LBB191_495
; %bb.515:                              ;   in Loop: Header=BB191_497 Depth=1
	flat_load_dwordx2 v[20:21], v[16:17] offset:264
	s_branch .LBB191_495
.LBB191_516:
	s_xor_b64 s[4:5], s[34:35], -1
	v_lshlrev_b32_e32 v1, 4, v1
	v_mov_b32_e32 v15, v11
	v_mov_b32_e32 v16, v12
	ds_write_b128 v1, v[13:16] offset:16384
	s_waitcnt lgkmcnt(0)
	s_barrier
	s_and_saveexec_b64 s[6:7], s[2:3]
	s_cbranch_execz .LBB191_518
; %bb.517:
	v_lshlrev_b32_e32 v15, 4, v0
	ds_read_b128 v[3:6], v15 offset:16896
	ds_read_b128 v[7:10], v15 offset:17408
	s_waitcnt lgkmcnt(1)
	v_add_f64 v[3:4], v[13:14], v[3:4]
	v_add_f64 v[5:6], v[11:12], v[5:6]
	s_waitcnt lgkmcnt(0)
	v_add_f64 v[11:12], v[3:4], v[7:8]
	v_add_f64 v[13:14], v[5:6], v[9:10]
	ds_read_b128 v[3:6], v15 offset:17920
	ds_read_b128 v[7:10], v15 offset:18432
	s_waitcnt lgkmcnt(1)
	v_add_f64 v[3:4], v[11:12], v[3:4]
	v_add_f64 v[5:6], v[13:14], v[5:6]
	s_waitcnt lgkmcnt(0)
	v_add_f64 v[11:12], v[3:4], v[7:8]
	v_add_f64 v[13:14], v[5:6], v[9:10]
	;; [unrolled: 8-line block ×7, first 2 shown]
	ds_read_b128 v[3:6], v15 offset:24064
	s_waitcnt lgkmcnt(0)
	v_add_f64 v[3:4], v[7:8], v[3:4]
	v_add_f64 v[5:6], v[9:10], v[5:6]
	v_xor_b32_e32 v4, 0x80000000, v4
	v_xor_b32_e32 v6, 0x80000000, v6
	v_cndmask_b32_e64 v13, v3, 0, s[16:17]
	v_cndmask_b32_e64 v14, v4, 0, s[16:17]
	;; [unrolled: 1-line block ×4, first 2 shown]
.LBB191_518:
	s_or_b64 exec, exec, s[6:7]
	s_and_b64 vcc, exec, s[48:49]
	s_cbranch_vccnz .LBB191_527
; %bb.519:
	v_mov_b32_e32 v3, 0x6000
	v_lshl_or_b32 v7, v2, 4, v3
	s_and_saveexec_b64 s[0:1], s[2:3]
; %bb.520:
	v_lshl_add_u32 v3, v0, 4, v7
	v_mov_b32_e32 v15, v11
	v_mov_b32_e32 v16, v12
	ds_write_b128 v3, v[13:16]
; %bb.521:
	s_or_b64 exec, exec, s[0:1]
	v_mov_b32_e32 v3, 0
	v_mov_b32_e32 v5, 0
	;; [unrolled: 1-line block ×4, first 2 shown]
	v_cmp_le_u32_e32 vcc, v0, v2
	s_waitcnt lgkmcnt(0)
	s_barrier
	s_and_saveexec_b64 s[0:1], vcc
	s_cbranch_execz .LBB191_523
; %bb.522:
	ds_read_b128 v[3:6], v7
	ds_read_b128 v[15:18], v1
	s_waitcnt lgkmcnt(0)
	v_mul_f64 v[8:9], v[5:6], v[17:18]
	v_mul_f64 v[17:18], v[3:4], v[17:18]
	v_fma_f64 v[3:4], v[3:4], v[15:16], -v[8:9]
	v_fma_f64 v[5:6], v[5:6], v[15:16], v[17:18]
	v_add_f64 v[3:4], v[3:4], 0
	v_add_f64 v[5:6], v[5:6], 0
.LBB191_523:
	s_or_b64 exec, exec, s[0:1]
	v_add_u32_e32 v2, 16, v2
	v_add_u32_e32 v8, 0x4000, v1
	v_cmp_le_u32_e32 vcc, v0, v2
	s_and_saveexec_b64 s[0:1], vcc
	s_cbranch_execz .LBB191_525
; %bb.524:
	ds_read_b128 v[15:18], v7 offset:256
	ds_read_b128 v[19:22], v1 offset:8192
	s_waitcnt lgkmcnt(0)
	v_mul_f64 v[1:2], v[17:18], v[21:22]
	v_mul_f64 v[9:10], v[15:16], v[21:22]
	v_fma_f64 v[1:2], v[15:16], v[19:20], -v[1:2]
	v_fma_f64 v[9:10], v[17:18], v[19:20], v[9:10]
	v_add_f64 v[3:4], v[3:4], v[1:2]
	v_add_f64 v[5:6], v[5:6], v[9:10]
.LBB191_525:
	s_or_b64 exec, exec, s[0:1]
	s_mov_b64 s[6:7], 0
	s_mov_b64 s[0:1], 0
	ds_write_b128 v8, v[3:6]
	s_waitcnt lgkmcnt(0)
	s_barrier
                                        ; implicit-def: $vgpr1_vgpr2
                                        ; implicit-def: $vgpr7_vgpr8
	s_and_saveexec_b64 s[8:9], s[2:3]
	s_cbranch_execz .LBB191_546
; %bb.526:
	v_lshlrev_b32_e32 v19, 4, v0
	ds_read_b128 v[7:10], v19 offset:16896
	ds_read_b128 v[15:18], v19 offset:17408
	s_mov_b64 s[0:1], exec
	s_waitcnt lgkmcnt(1)
	v_add_f64 v[1:2], v[3:4], v[7:8]
	v_add_f64 v[3:4], v[5:6], v[9:10]
	s_waitcnt lgkmcnt(0)
	v_add_f64 v[9:10], v[1:2], v[15:16]
	v_add_f64 v[15:16], v[3:4], v[17:18]
	ds_read_b128 v[1:4], v19 offset:17920
	ds_read_b128 v[5:8], v19 offset:18432
	s_waitcnt lgkmcnt(1)
	v_add_f64 v[1:2], v[9:10], v[1:2]
	v_add_f64 v[3:4], v[15:16], v[3:4]
	s_waitcnt lgkmcnt(0)
	v_add_f64 v[9:10], v[1:2], v[5:6]
	v_add_f64 v[15:16], v[3:4], v[7:8]
	ds_read_b128 v[1:4], v19 offset:18944
	ds_read_b128 v[5:8], v19 offset:19456
	;; [unrolled: 8-line block ×6, first 2 shown]
	s_waitcnt lgkmcnt(1)
	v_add_f64 v[1:2], v[9:10], v[1:2]
	v_add_f64 v[3:4], v[15:16], v[3:4]
	s_waitcnt lgkmcnt(0)
	v_add_f64 v[5:6], v[1:2], v[5:6]
	v_add_f64 v[9:10], v[3:4], v[7:8]
	ds_read_b128 v[1:4], v19 offset:24064
	s_waitcnt lgkmcnt(0)
	v_add_f64 v[7:8], v[5:6], v[1:2]
	v_add_f64 v[1:2], v[9:10], v[3:4]
	s_or_b64 exec, exec, s[8:9]
	s_and_b64 vcc, exec, s[6:7]
	s_cbranch_vccnz .LBB191_528
	s_branch .LBB191_547
.LBB191_527:
	s_mov_b64 s[0:1], 0
                                        ; implicit-def: $vgpr1_vgpr2
                                        ; implicit-def: $vgpr7_vgpr8
	s_cbranch_execz .LBB191_547
.LBB191_528:
	s_movk_i32 s6, 0x210
	v_lshlrev_b32_e32 v2, 9, v0
	v_mov_b32_e32 v3, 0x3c00
	v_mul_u32_u24_e32 v1, 0x210, v0
	v_sub_u32_e32 v2, 0, v2
	v_mad_u32_u24 v3, v0, s6, v3
	s_mov_b32 s8, 31
	s_movk_i32 s9, 0xc200
	v_mov_b32_e32 v4, 0
	s_branch .LBB191_530
.LBB191_529:                            ;   in Loop: Header=BB191_530 Depth=1
	s_or_b64 exec, exec, s[6:7]
	s_add_i32 s8, s8, -2
	s_cmp_lg_u32 s10, 0
	v_add_u32_e32 v2, 0xfffffc00, v2
	s_barrier
	s_cbranch_scc0 .LBB191_538
.LBB191_530:                            ; =>This Inner Loop Header: Depth=1
	v_cmp_eq_u32_e32 vcc, s9, v2
	s_and_b64 s[10:11], s[2:3], vcc
	s_and_saveexec_b64 s[6:7], s[10:11]
	s_cbranch_execz .LBB191_532
; %bb.531:                              ;   in Loop: Header=BB191_530 Depth=1
	ds_read_b128 v[5:8], v1
	s_waitcnt lgkmcnt(0)
	v_mul_f64 v[9:10], v[11:12], v[7:8]
	v_mul_f64 v[7:8], v[13:14], v[7:8]
	v_fma_f64 v[9:10], v[13:14], v[5:6], -v[9:10]
	v_fma_f64 v[11:12], v[11:12], v[5:6], v[7:8]
	v_mov_b32_e32 v14, v10
	v_mov_b32_e32 v13, v9
	ds_write_b128 v4, v[9:12] offset:25088
.LBB191_532:                            ;   in Loop: Header=BB191_530 Depth=1
	s_or_b64 exec, exec, s[6:7]
	v_cmp_gt_u32_e32 vcc, s8, v0
	s_and_b64 s[10:11], s[2:3], vcc
	v_add_u32_e32 v5, v3, v2
	s_waitcnt lgkmcnt(0)
	s_barrier
	s_and_saveexec_b64 s[6:7], s[10:11]
	s_cbranch_execz .LBB191_534
; %bb.533:                              ;   in Loop: Header=BB191_530 Depth=1
	ds_read_b128 v[6:9], v4 offset:25088
	ds_read_b128 v[15:18], v5 offset:512
	s_waitcnt lgkmcnt(0)
	v_mul_f64 v[19:20], v[8:9], v[17:18]
	v_mul_f64 v[17:18], v[6:7], v[17:18]
	v_fma_f64 v[6:7], v[6:7], v[15:16], -v[19:20]
	v_fma_f64 v[8:9], v[8:9], v[15:16], v[17:18]
	v_add_f64 v[13:14], v[13:14], v[6:7]
	v_add_f64 v[11:12], v[11:12], v[8:9]
.LBB191_534:                            ;   in Loop: Header=BB191_530 Depth=1
	s_or_b64 exec, exec, s[6:7]
	s_add_i32 s10, s8, -1
	v_cmp_eq_u32_e32 vcc, s10, v0
	s_and_b64 s[12:13], s[2:3], vcc
	s_barrier
	s_and_saveexec_b64 s[6:7], s[12:13]
	s_cbranch_execz .LBB191_536
; %bb.535:                              ;   in Loop: Header=BB191_530 Depth=1
	ds_read_b128 v[6:9], v1
	s_waitcnt lgkmcnt(0)
	v_mul_f64 v[15:16], v[11:12], v[8:9]
	v_mul_f64 v[17:18], v[13:14], v[8:9]
	v_fma_f64 v[9:10], v[13:14], v[6:7], -v[15:16]
	v_fma_f64 v[11:12], v[11:12], v[6:7], v[17:18]
	v_mov_b32_e32 v14, v10
	v_mov_b32_e32 v13, v9
	ds_write_b128 v4, v[9:12] offset:25088
.LBB191_536:                            ;   in Loop: Header=BB191_530 Depth=1
	s_or_b64 exec, exec, s[6:7]
	v_cmp_gt_u32_e32 vcc, s10, v0
	s_and_b64 s[12:13], s[2:3], vcc
	s_waitcnt lgkmcnt(0)
	s_barrier
	s_and_saveexec_b64 s[6:7], s[12:13]
	s_cbranch_execz .LBB191_529
; %bb.537:                              ;   in Loop: Header=BB191_530 Depth=1
	ds_read_b128 v[6:9], v4 offset:25088
	ds_read_b128 v[15:18], v5
	s_waitcnt lgkmcnt(0)
	v_mul_f64 v[19:20], v[8:9], v[17:18]
	v_mul_f64 v[17:18], v[6:7], v[17:18]
	v_fma_f64 v[5:6], v[6:7], v[15:16], -v[19:20]
	v_fma_f64 v[7:8], v[8:9], v[15:16], v[17:18]
	v_add_f64 v[13:14], v[13:14], v[5:6]
	v_add_f64 v[11:12], v[11:12], v[7:8]
	s_branch .LBB191_529
.LBB191_538:
	s_mov_b64 s[6:7], -1
	s_and_b64 vcc, exec, s[4:5]
	s_cbranch_vccnz .LBB191_548
; %bb.539:
	s_andn2_b64 vcc, exec, s[6:7]
	s_cbranch_vccz .LBB191_549
.LBB191_540:
	s_and_saveexec_b64 s[2:3], s[0:1]
	s_cbranch_execz .LBB191_542
.LBB191_541:
	v_mov_b32_e32 v0, s42
	v_add_co_u32_e32 v1, vcc, s33, v23
	v_addc_co_u32_e32 v0, vcc, 0, v0, vcc
	v_mul_lo_u32 v2, v0, s24
	v_mul_lo_u32 v3, v1, s25
	v_mad_u64_u32 v[0:1], s[0:1], v1, s24, 0
	v_mov_b32_e32 v15, v11
	v_mov_b32_e32 v16, v12
	v_add3_u32 v1, v1, v3, v2
	v_lshlrev_b64 v[0:1], 4, v[0:1]
	v_mov_b32_e32 v2, s27
	v_add_co_u32_e32 v0, vcc, s26, v0
	v_addc_co_u32_e32 v1, vcc, v2, v1, vcc
	flat_store_dwordx4 v[0:1], v[13:16]
.LBB191_542:
	s_or_b64 exec, exec, s[2:3]
	v_cmp_eq_u32_e32 vcc, 0, v23
	s_waitcnt vmcnt(0) lgkmcnt(0)
	buffer_wbinvl1_vol
	s_barrier
	s_and_saveexec_b64 s[0:1], vcc
	s_cbranch_execz .LBB191_544
; %bb.543:
	s_lshl_b64 s[2:3], s[28:29], 2
	s_add_u32 s2, s14, s2
	s_addc_u32 s3, s15, s3
	v_mov_b32_e32 v0, 0
	global_load_dword v1, v0, s[2:3]
	s_waitcnt vmcnt(0)
	v_add_u32_e32 v1, 1, v1
	global_store_dword v0, v1, s[2:3]
.LBB191_544:
	s_or_b64 exec, exec, s[0:1]
	s_waitcnt vmcnt(0)
	buffer_wbinvl1_vol
	s_endpgm
.LBB191_545:
                                        ; implicit-def: $vgpr5_vgpr6
                                        ; implicit-def: $vgpr9_vgpr10
                                        ; implicit-def: $sgpr33
	s_cbranch_execnz .LBB191_6
	s_branch .LBB191_7
.LBB191_546:
	s_or_b64 exec, exec, s[8:9]
	s_and_b64 vcc, exec, s[6:7]
	s_cbranch_vccnz .LBB191_528
.LBB191_547:
	v_mov_b32_e32 v12, v2
	v_mov_b32_e32 v14, v8
	;; [unrolled: 1-line block ×4, first 2 shown]
	s_and_saveexec_b64 s[2:3], s[0:1]
	s_cbranch_execnz .LBB191_541
	s_branch .LBB191_542
.LBB191_548:
	s_andn2_b64 s[0:1], s[0:1], exec
	s_and_b64 s[4:5], s[2:3], exec
	s_or_b64 s[0:1], s[0:1], s[4:5]
	s_cbranch_execnz .LBB191_540
.LBB191_549:
	v_cmp_gt_i32_e32 vcc, s95, v0
	s_and_b64 s[2:3], s[2:3], vcc
	s_andn2_b64 s[0:1], s[0:1], exec
	s_and_b64 s[2:3], s[2:3], exec
	s_or_b64 s[0:1], s[0:1], s[2:3]
	s_and_saveexec_b64 s[2:3], s[0:1]
	s_cbranch_execnz .LBB191_541
	s_branch .LBB191_542
.LBB191_550:
	v_lshlrev_b32_e32 v23, 4, v22
	v_sub_u32_e32 v23, v20, v23
	v_lshl_add_u32 v27, v21, 4, v23
	ds_read_b128 v[23:26], v20 offset:16
	ds_read_b128 v[27:30], v27 offset:576
	s_waitcnt lgkmcnt(0)
	v_mul_f64 v[31:32], v[25:26], v[29:30]
	v_mul_f64 v[29:30], v[23:24], v[29:30]
	v_fma_f64 v[23:24], v[23:24], v[27:28], -v[31:32]
	v_fma_f64 v[25:26], v[25:26], v[27:28], v[29:30]
	v_add_f64 v[11:12], v[11:12], v[23:24]
	v_add_f64 v[13:14], v[13:14], v[25:26]
	s_or_b64 exec, exec, s[18:19]
	v_cmp_gt_u32_e64 s[12:13], 8, v1
	s_and_saveexec_b64 s[18:19], s[12:13]
	s_cbranch_execz .LBB191_89
.LBB191_551:
	ds_read_b128 v[23:26], v20 offset:32
	ds_read_b128 v[27:30], v18 offset:1088
	s_waitcnt lgkmcnt(0)
	v_mul_f64 v[31:32], v[25:26], v[29:30]
	v_mul_f64 v[29:30], v[23:24], v[29:30]
	v_fma_f64 v[23:24], v[23:24], v[27:28], -v[31:32]
	v_fma_f64 v[25:26], v[25:26], v[27:28], v[29:30]
	v_add_f64 v[11:12], v[11:12], v[23:24]
	v_add_f64 v[13:14], v[13:14], v[25:26]
	s_or_b64 exec, exec, s[18:19]
	v_cmp_gt_u32_e64 s[12:13], 4, v1
	s_and_saveexec_b64 s[18:19], s[12:13]
	s_cbranch_execnz .LBB191_90
	s_branch .LBB191_91
.LBB191_552:
	v_lshlrev_b32_e32 v28, 4, v27
	v_sub_u32_e32 v28, v25, v28
	v_lshl_add_u32 v32, v26, 4, v28
	ds_read_b128 v[28:31], v25 offset:16
	ds_read_b128 v[32:35], v32 offset:640
	s_waitcnt lgkmcnt(0)
	v_mul_f64 v[36:37], v[30:31], v[34:35]
	v_mul_f64 v[34:35], v[28:29], v[34:35]
	v_fma_f64 v[28:29], v[28:29], v[32:33], -v[36:37]
	v_fma_f64 v[30:31], v[30:31], v[32:33], v[34:35]
	v_add_f64 v[11:12], v[11:12], v[28:29]
	v_add_f64 v[13:14], v[13:14], v[30:31]
	s_or_b64 exec, exec, s[60:61]
	v_cmp_gt_u32_e64 s[14:15], 48, v1
	s_and_saveexec_b64 s[60:61], s[14:15]
	s_cbranch_execz .LBB191_131
.LBB191_553:
	v_lshlrev_b32_e32 v28, 4, v27
	v_sub_u32_e32 v28, v25, v28
	v_lshl_add_u32 v32, v26, 4, v28
	ds_read_b128 v[28:31], v25 offset:32
	ds_read_b128 v[32:35], v32 offset:1152
	s_waitcnt lgkmcnt(0)
	v_mul_f64 v[36:37], v[30:31], v[34:35]
	v_mul_f64 v[34:35], v[28:29], v[34:35]
	v_fma_f64 v[28:29], v[28:29], v[32:33], -v[36:37]
	v_fma_f64 v[30:31], v[30:31], v[32:33], v[34:35]
	v_add_f64 v[11:12], v[11:12], v[28:29]
	v_add_f64 v[13:14], v[13:14], v[30:31]
	s_or_b64 exec, exec, s[60:61]
	v_cmp_gt_u32_e64 s[14:15], 40, v1
	s_and_saveexec_b64 s[60:61], s[14:15]
	s_cbranch_execz .LBB191_132
.LBB191_554:
	v_lshlrev_b32_e32 v28, 4, v27
	v_sub_u32_e32 v28, v25, v28
	v_lshl_add_u32 v32, v26, 4, v28
	ds_read_b128 v[28:31], v25 offset:48
	ds_read_b128 v[32:35], v32 offset:1664
	s_waitcnt lgkmcnt(0)
	v_mul_f64 v[36:37], v[30:31], v[34:35]
	v_mul_f64 v[34:35], v[28:29], v[34:35]
	v_fma_f64 v[28:29], v[28:29], v[32:33], -v[36:37]
	v_fma_f64 v[30:31], v[30:31], v[32:33], v[34:35]
	v_add_f64 v[11:12], v[11:12], v[28:29]
	v_add_f64 v[13:14], v[13:14], v[30:31]
	s_or_b64 exec, exec, s[60:61]
	v_cmp_gt_u32_e64 s[14:15], 32, v1
	s_and_saveexec_b64 s[60:61], s[14:15]
	s_cbranch_execz .LBB191_133
.LBB191_555:
	ds_read_b128 v[28:31], v25 offset:64
	ds_read_b128 v[32:35], v23 offset:2176
	s_waitcnt lgkmcnt(0)
	v_mul_f64 v[36:37], v[30:31], v[34:35]
	v_mul_f64 v[34:35], v[28:29], v[34:35]
	v_fma_f64 v[28:29], v[28:29], v[32:33], -v[36:37]
	v_fma_f64 v[30:31], v[30:31], v[32:33], v[34:35]
	v_add_f64 v[11:12], v[11:12], v[28:29]
	v_add_f64 v[13:14], v[13:14], v[30:31]
	s_or_b64 exec, exec, s[60:61]
	v_cmp_gt_u32_e64 s[14:15], 24, v1
	s_and_saveexec_b64 s[60:61], s[14:15]
	s_cbranch_execz .LBB191_134
.LBB191_556:
	v_lshlrev_b32_e32 v28, 4, v27
	v_sub_u32_e32 v28, v25, v28
	v_lshl_add_u32 v32, v26, 4, v28
	ds_read_b128 v[28:31], v25 offset:80
	ds_read_b128 v[32:35], v32 offset:2688
	s_waitcnt lgkmcnt(0)
	v_mul_f64 v[36:37], v[30:31], v[34:35]
	v_mul_f64 v[34:35], v[28:29], v[34:35]
	v_fma_f64 v[28:29], v[28:29], v[32:33], -v[36:37]
	v_fma_f64 v[30:31], v[30:31], v[32:33], v[34:35]
	v_add_f64 v[11:12], v[11:12], v[28:29]
	v_add_f64 v[13:14], v[13:14], v[30:31]
	s_or_b64 exec, exec, s[60:61]
	v_cmp_gt_u32_e64 s[14:15], 16, v1
	s_and_saveexec_b64 s[60:61], s[14:15]
	s_cbranch_execz .LBB191_135
.LBB191_557:
	ds_read_b128 v[28:31], v25 offset:96
	ds_read_b128 v[32:35], v23 offset:3200
	s_waitcnt lgkmcnt(0)
	v_mul_f64 v[36:37], v[30:31], v[34:35]
	v_mul_f64 v[34:35], v[28:29], v[34:35]
	v_fma_f64 v[28:29], v[28:29], v[32:33], -v[36:37]
	v_fma_f64 v[30:31], v[30:31], v[32:33], v[34:35]
	v_add_f64 v[11:12], v[11:12], v[28:29]
	v_add_f64 v[13:14], v[13:14], v[30:31]
	s_or_b64 exec, exec, s[60:61]
	v_cmp_gt_u32_e64 s[14:15], 8, v1
	s_and_saveexec_b64 s[60:61], s[14:15]
	s_cbranch_execnz .LBB191_136
	s_branch .LBB191_137
.LBB191_558:
	v_lshlrev_b32_e32 v29, 4, v22
	v_sub_u32_e32 v29, v28, v29
	v_lshl_add_u32 v33, v21, 4, v29
	ds_read_b128 v[29:32], v28 offset:4240
	ds_read_b128 v[33:36], v33 offset:4800
	s_waitcnt lgkmcnt(0)
	v_mul_f64 v[37:38], v[31:32], v[35:36]
	v_mul_f64 v[35:36], v[29:30], v[35:36]
	v_fma_f64 v[29:30], v[29:30], v[33:34], -v[37:38]
	v_fma_f64 v[31:32], v[31:32], v[33:34], v[35:36]
	v_add_f64 v[11:12], v[11:12], v[29:30]
	v_add_f64 v[13:14], v[13:14], v[31:32]
	s_or_b64 exec, exec, s[18:19]
	v_cmp_gt_u32_e64 s[12:13], 8, v1
	s_and_saveexec_b64 s[18:19], s[12:13]
	s_cbranch_execz .LBB191_193
.LBB191_559:
	ds_read_b128 v[28:31], v28 offset:4256
	ds_read_b128 v[32:35], v18 offset:5312
	s_waitcnt lgkmcnt(0)
	v_mul_f64 v[36:37], v[30:31], v[34:35]
	v_mul_f64 v[34:35], v[28:29], v[34:35]
	v_fma_f64 v[28:29], v[28:29], v[32:33], -v[36:37]
	v_fma_f64 v[30:31], v[30:31], v[32:33], v[34:35]
	v_add_f64 v[11:12], v[11:12], v[28:29]
	v_add_f64 v[13:14], v[13:14], v[30:31]
	s_or_b64 exec, exec, s[18:19]
	v_cmp_gt_u32_e64 s[12:13], 4, v1
	s_and_saveexec_b64 s[18:19], s[12:13]
	s_cbranch_execnz .LBB191_194
	s_branch .LBB191_195
.LBB191_560:
	ds_read_b128 v[33:36], v32 offset:176
	ds_read_b128 v[37:40], v28 offset:5888
	s_waitcnt lgkmcnt(0)
	v_mul_f64 v[41:42], v[35:36], v[39:40]
	v_mul_f64 v[39:40], v[33:34], v[39:40]
	v_fma_f64 v[33:34], v[33:34], v[37:38], -v[41:42]
	v_fma_f64 v[35:36], v[35:36], v[37:38], v[39:40]
	v_add_f64 v[11:12], v[11:12], v[33:34]
	v_add_f64 v[13:14], v[13:14], v[35:36]
	s_or_b64 exec, exec, s[92:93]
	v_cmp_gt_u32_e64 s[18:19], 64, v1
	s_and_saveexec_b64 s[92:93], s[18:19]
	s_cbranch_execz .LBB191_255
.LBB191_561:
	ds_read_b128 v[33:36], v32 offset:192
	ds_read_b128 v[37:40], v28 offset:6400
	s_waitcnt lgkmcnt(0)
	v_mul_f64 v[41:42], v[35:36], v[39:40]
	v_mul_f64 v[39:40], v[33:34], v[39:40]
	v_fma_f64 v[33:34], v[33:34], v[37:38], -v[41:42]
	v_fma_f64 v[35:36], v[35:36], v[37:38], v[39:40]
	v_add_f64 v[11:12], v[11:12], v[33:34]
	v_add_f64 v[13:14], v[13:14], v[35:36]
	s_or_b64 exec, exec, s[92:93]
	v_cmp_gt_u32_e64 s[18:19], 48, v1
	s_and_saveexec_b64 s[92:93], s[18:19]
	s_cbranch_execz .LBB191_256
.LBB191_562:
	ds_read_b128 v[33:36], v32 offset:208
	ds_read_b128 v[37:40], v28 offset:6912
	s_waitcnt lgkmcnt(0)
	v_mul_f64 v[41:42], v[35:36], v[39:40]
	v_mul_f64 v[39:40], v[33:34], v[39:40]
	v_fma_f64 v[33:34], v[33:34], v[37:38], -v[41:42]
	v_fma_f64 v[35:36], v[35:36], v[37:38], v[39:40]
	v_add_f64 v[11:12], v[11:12], v[33:34]
	v_add_f64 v[13:14], v[13:14], v[35:36]
	s_or_b64 exec, exec, s[92:93]
	v_cmp_gt_u32_e64 s[18:19], 32, v1
	s_and_saveexec_b64 s[92:93], s[18:19]
	s_cbranch_execz .LBB191_257
.LBB191_563:
	ds_read_b128 v[32:35], v32 offset:224
	ds_read_b128 v[36:39], v28 offset:7424
	s_waitcnt lgkmcnt(0)
	v_mul_f64 v[40:41], v[34:35], v[38:39]
	v_mul_f64 v[38:39], v[32:33], v[38:39]
	v_fma_f64 v[32:33], v[32:33], v[36:37], -v[40:41]
	v_fma_f64 v[34:35], v[34:35], v[36:37], v[38:39]
	v_add_f64 v[11:12], v[11:12], v[32:33]
	v_add_f64 v[13:14], v[13:14], v[34:35]
	s_or_b64 exec, exec, s[92:93]
	v_cmp_gt_u32_e64 s[18:19], 16, v1
	s_and_saveexec_b64 s[92:93], s[18:19]
	s_cbranch_execnz .LBB191_258
	s_branch .LBB191_259
.LBB191_564:
	v_lshlrev_b32_e32 v29, 4, v22
	v_sub_u32_e32 v29, v28, v29
	v_lshl_add_u32 v33, v21, 4, v29
	ds_read_b128 v[29:32], v28 offset:8464
	ds_read_b128 v[33:36], v33 offset:9024
	s_waitcnt lgkmcnt(0)
	v_mul_f64 v[37:38], v[31:32], v[35:36]
	v_mul_f64 v[35:36], v[29:30], v[35:36]
	v_fma_f64 v[29:30], v[29:30], v[33:34], -v[37:38]
	v_fma_f64 v[31:32], v[31:32], v[33:34], v[35:36]
	v_add_f64 v[11:12], v[11:12], v[29:30]
	v_add_f64 v[13:14], v[13:14], v[31:32]
	s_or_b64 exec, exec, s[14:15]
	v_cmp_gt_u32_e64 s[10:11], 8, v1
	s_and_saveexec_b64 s[14:15], s[10:11]
	s_cbranch_execz .LBB191_347
.LBB191_565:
	ds_read_b128 v[28:31], v28 offset:8480
	ds_read_b128 v[32:35], v18 offset:9536
	s_waitcnt lgkmcnt(0)
	v_mul_f64 v[36:37], v[30:31], v[34:35]
	v_mul_f64 v[34:35], v[28:29], v[34:35]
	v_fma_f64 v[28:29], v[28:29], v[32:33], -v[36:37]
	v_fma_f64 v[30:31], v[30:31], v[32:33], v[34:35]
	v_add_f64 v[11:12], v[11:12], v[28:29]
	v_add_f64 v[13:14], v[13:14], v[30:31]
	s_or_b64 exec, exec, s[14:15]
	v_cmp_gt_u32_e64 s[10:11], 4, v1
	s_and_saveexec_b64 s[14:15], s[10:11]
	s_cbranch_execnz .LBB191_348
	s_branch .LBB191_349
.LBB191_566:
	v_lshlrev_b32_e32 v29, 4, v27
	v_sub_u32_e32 v29, v28, v29
	v_lshl_add_u32 v33, v26, 4, v29
	ds_read_b128 v[29:32], v28 offset:8464
	ds_read_b128 v[33:36], v33 offset:9088
	s_waitcnt lgkmcnt(0)
	v_mul_f64 v[37:38], v[31:32], v[35:36]
	v_mul_f64 v[35:36], v[29:30], v[35:36]
	v_fma_f64 v[29:30], v[29:30], v[33:34], -v[37:38]
	v_fma_f64 v[31:32], v[31:32], v[33:34], v[35:36]
	v_add_f64 v[11:12], v[11:12], v[29:30]
	v_add_f64 v[13:14], v[13:14], v[31:32]
	s_or_b64 exec, exec, s[14:15]
	v_cmp_gt_u32_e64 s[10:11], 48, v1
	s_and_saveexec_b64 s[14:15], s[10:11]
	s_cbranch_execz .LBB191_389
.LBB191_567:
	v_lshlrev_b32_e32 v29, 4, v27
	v_sub_u32_e32 v29, v28, v29
	v_lshl_add_u32 v33, v26, 4, v29
	ds_read_b128 v[29:32], v28 offset:8480
	ds_read_b128 v[33:36], v33 offset:9600
	s_waitcnt lgkmcnt(0)
	v_mul_f64 v[37:38], v[31:32], v[35:36]
	v_mul_f64 v[35:36], v[29:30], v[35:36]
	v_fma_f64 v[29:30], v[29:30], v[33:34], -v[37:38]
	v_fma_f64 v[31:32], v[31:32], v[33:34], v[35:36]
	v_add_f64 v[11:12], v[11:12], v[29:30]
	v_add_f64 v[13:14], v[13:14], v[31:32]
	s_or_b64 exec, exec, s[14:15]
	v_cmp_gt_u32_e64 s[10:11], 40, v1
	s_and_saveexec_b64 s[14:15], s[10:11]
	s_cbranch_execz .LBB191_390
.LBB191_568:
	v_lshlrev_b32_e32 v29, 4, v27
	v_sub_u32_e32 v29, v28, v29
	v_lshl_add_u32 v33, v26, 4, v29
	ds_read_b128 v[29:32], v28 offset:8496
	ds_read_b128 v[33:36], v33 offset:10112
	s_waitcnt lgkmcnt(0)
	v_mul_f64 v[37:38], v[31:32], v[35:36]
	v_mul_f64 v[35:36], v[29:30], v[35:36]
	v_fma_f64 v[29:30], v[29:30], v[33:34], -v[37:38]
	v_fma_f64 v[31:32], v[31:32], v[33:34], v[35:36]
	v_add_f64 v[11:12], v[11:12], v[29:30]
	v_add_f64 v[13:14], v[13:14], v[31:32]
	s_or_b64 exec, exec, s[14:15]
	v_cmp_gt_u32_e64 s[10:11], 32, v1
	s_and_saveexec_b64 s[14:15], s[10:11]
	s_cbranch_execz .LBB191_391
.LBB191_569:
	ds_read_b128 v[29:32], v28 offset:8512
	ds_read_b128 v[33:36], v23 offset:10624
	s_waitcnt lgkmcnt(0)
	v_mul_f64 v[37:38], v[31:32], v[35:36]
	v_mul_f64 v[35:36], v[29:30], v[35:36]
	v_fma_f64 v[29:30], v[29:30], v[33:34], -v[37:38]
	v_fma_f64 v[31:32], v[31:32], v[33:34], v[35:36]
	v_add_f64 v[11:12], v[11:12], v[29:30]
	v_add_f64 v[13:14], v[13:14], v[31:32]
	s_or_b64 exec, exec, s[14:15]
	v_cmp_gt_u32_e64 s[10:11], 24, v1
	s_and_saveexec_b64 s[14:15], s[10:11]
	s_cbranch_execz .LBB191_392
.LBB191_570:
	v_lshlrev_b32_e32 v27, 4, v27
	v_sub_u32_e32 v27, v28, v27
	v_lshl_add_u32 v26, v26, 4, v27
	ds_read_b128 v[29:32], v28 offset:8528
	ds_read_b128 v[33:36], v26 offset:11136
	s_waitcnt lgkmcnt(0)
	v_mul_f64 v[26:27], v[31:32], v[35:36]
	v_mul_f64 v[35:36], v[29:30], v[35:36]
	v_fma_f64 v[26:27], v[29:30], v[33:34], -v[26:27]
	v_fma_f64 v[29:30], v[31:32], v[33:34], v[35:36]
	v_add_f64 v[11:12], v[11:12], v[26:27]
	v_add_f64 v[13:14], v[13:14], v[29:30]
	s_or_b64 exec, exec, s[14:15]
	v_cmp_gt_u32_e64 s[10:11], 16, v1
	s_and_saveexec_b64 s[14:15], s[10:11]
	s_cbranch_execz .LBB191_393
.LBB191_571:
	ds_read_b128 v[26:29], v28 offset:8544
	ds_read_b128 v[30:33], v23 offset:11648
	s_waitcnt lgkmcnt(0)
	v_mul_f64 v[34:35], v[28:29], v[32:33]
	v_mul_f64 v[32:33], v[26:27], v[32:33]
	v_fma_f64 v[26:27], v[26:27], v[30:31], -v[34:35]
	v_fma_f64 v[28:29], v[28:29], v[30:31], v[32:33]
	v_add_f64 v[11:12], v[11:12], v[26:27]
	v_add_f64 v[13:14], v[13:14], v[28:29]
	s_or_b64 exec, exec, s[14:15]
	v_cmp_gt_u32_e64 s[10:11], 8, v1
	s_and_saveexec_b64 s[14:15], s[10:11]
	s_cbranch_execnz .LBB191_394
	s_branch .LBB191_395
.LBB191_572:
	v_lshlrev_b32_e32 v22, 4, v22
	v_sub_u32_e32 v22, v23, v22
	v_lshl_add_u32 v21, v21, 4, v22
	ds_read_b128 v[24:27], v23 offset:12688
	ds_read_b128 v[28:31], v21 offset:13248
	s_waitcnt lgkmcnt(0)
	v_mul_f64 v[21:22], v[26:27], v[30:31]
	v_mul_f64 v[30:31], v[24:25], v[30:31]
	v_fma_f64 v[21:22], v[24:25], v[28:29], -v[21:22]
	v_fma_f64 v[24:25], v[26:27], v[28:29], v[30:31]
	v_add_f64 v[11:12], v[11:12], v[21:22]
	v_add_f64 v[13:14], v[13:14], v[24:25]
	s_or_b64 exec, exec, s[12:13]
	v_cmp_gt_u32_e64 s[8:9], 8, v1
	s_and_saveexec_b64 s[12:13], s[8:9]
	s_cbranch_execz .LBB191_451
.LBB191_573:
	ds_read_b128 v[21:24], v23 offset:12704
	ds_read_b128 v[25:28], v18 offset:13760
	s_waitcnt lgkmcnt(0)
	v_mul_f64 v[29:30], v[23:24], v[27:28]
	v_mul_f64 v[27:28], v[21:22], v[27:28]
	v_fma_f64 v[21:22], v[21:22], v[25:26], -v[29:30]
	v_fma_f64 v[23:24], v[23:24], v[25:26], v[27:28]
	v_add_f64 v[11:12], v[11:12], v[21:22]
	v_add_f64 v[13:14], v[13:14], v[23:24]
	s_or_b64 exec, exec, s[12:13]
	v_cmp_gt_u32_e64 s[8:9], 4, v1
	s_and_saveexec_b64 s[12:13], s[8:9]
	s_cbranch_execnz .LBB191_452
	s_branch .LBB191_453
	.section	.rodata,"a",@progbits
	.p2align	6, 0x0
	.amdhsa_kernel _ZL19rocblas_trsv_deviceILi32ELi16ELb1ELb1ELb0ELb0E19rocblas_complex_numIdES1_PKPKS1_PKPS1_EviT7_lllT6_T8_lllPii
		.amdhsa_group_segment_fixed_size 25104
		.amdhsa_private_segment_fixed_size 0
		.amdhsa_kernarg_size 360
		.amdhsa_user_sgpr_count 6
		.amdhsa_user_sgpr_private_segment_buffer 1
		.amdhsa_user_sgpr_dispatch_ptr 0
		.amdhsa_user_sgpr_queue_ptr 0
		.amdhsa_user_sgpr_kernarg_segment_ptr 1
		.amdhsa_user_sgpr_dispatch_id 0
		.amdhsa_user_sgpr_flat_scratch_init 0
		.amdhsa_user_sgpr_private_segment_size 0
		.amdhsa_uses_dynamic_stack 0
		.amdhsa_system_sgpr_private_segment_wavefront_offset 0
		.amdhsa_system_sgpr_workgroup_id_x 1
		.amdhsa_system_sgpr_workgroup_id_y 0
		.amdhsa_system_sgpr_workgroup_id_z 1
		.amdhsa_system_sgpr_workgroup_info 0
		.amdhsa_system_vgpr_workitem_id 1
		.amdhsa_next_free_vgpr 49
		.amdhsa_next_free_sgpr 98
		.amdhsa_reserve_vcc 1
		.amdhsa_reserve_flat_scratch 0
		.amdhsa_float_round_mode_32 0
		.amdhsa_float_round_mode_16_64 0
		.amdhsa_float_denorm_mode_32 3
		.amdhsa_float_denorm_mode_16_64 3
		.amdhsa_dx10_clamp 1
		.amdhsa_ieee_mode 1
		.amdhsa_fp16_overflow 0
		.amdhsa_exception_fp_ieee_invalid_op 0
		.amdhsa_exception_fp_denorm_src 0
		.amdhsa_exception_fp_ieee_div_zero 0
		.amdhsa_exception_fp_ieee_overflow 0
		.amdhsa_exception_fp_ieee_underflow 0
		.amdhsa_exception_fp_ieee_inexact 0
		.amdhsa_exception_int_div_zero 0
	.end_amdhsa_kernel
	.section	.text._ZL19rocblas_trsv_deviceILi32ELi16ELb1ELb1ELb0ELb0E19rocblas_complex_numIdES1_PKPKS1_PKPS1_EviT7_lllT6_T8_lllPii,"axG",@progbits,_ZL19rocblas_trsv_deviceILi32ELi16ELb1ELb1ELb0ELb0E19rocblas_complex_numIdES1_PKPKS1_PKPS1_EviT7_lllT6_T8_lllPii,comdat
.Lfunc_end191:
	.size	_ZL19rocblas_trsv_deviceILi32ELi16ELb1ELb1ELb0ELb0E19rocblas_complex_numIdES1_PKPKS1_PKPS1_EviT7_lllT6_T8_lllPii, .Lfunc_end191-_ZL19rocblas_trsv_deviceILi32ELi16ELb1ELb1ELb0ELb0E19rocblas_complex_numIdES1_PKPKS1_PKPS1_EviT7_lllT6_T8_lllPii
                                        ; -- End function
	.set _ZL19rocblas_trsv_deviceILi32ELi16ELb1ELb1ELb0ELb0E19rocblas_complex_numIdES1_PKPKS1_PKPS1_EviT7_lllT6_T8_lllPii.num_vgpr, 44
	.set _ZL19rocblas_trsv_deviceILi32ELi16ELb1ELb1ELb0ELb0E19rocblas_complex_numIdES1_PKPKS1_PKPS1_EviT7_lllT6_T8_lllPii.num_agpr, 0
	.set _ZL19rocblas_trsv_deviceILi32ELi16ELb1ELb1ELb0ELb0E19rocblas_complex_numIdES1_PKPKS1_PKPS1_EviT7_lllT6_T8_lllPii.numbered_sgpr, 96
	.set _ZL19rocblas_trsv_deviceILi32ELi16ELb1ELb1ELb0ELb0E19rocblas_complex_numIdES1_PKPKS1_PKPS1_EviT7_lllT6_T8_lllPii.num_named_barrier, 0
	.set _ZL19rocblas_trsv_deviceILi32ELi16ELb1ELb1ELb0ELb0E19rocblas_complex_numIdES1_PKPKS1_PKPS1_EviT7_lllT6_T8_lllPii.private_seg_size, 0
	.set _ZL19rocblas_trsv_deviceILi32ELi16ELb1ELb1ELb0ELb0E19rocblas_complex_numIdES1_PKPKS1_PKPS1_EviT7_lllT6_T8_lllPii.uses_vcc, 1
	.set _ZL19rocblas_trsv_deviceILi32ELi16ELb1ELb1ELb0ELb0E19rocblas_complex_numIdES1_PKPKS1_PKPS1_EviT7_lllT6_T8_lllPii.uses_flat_scratch, 0
	.set _ZL19rocblas_trsv_deviceILi32ELi16ELb1ELb1ELb0ELb0E19rocblas_complex_numIdES1_PKPKS1_PKPS1_EviT7_lllT6_T8_lllPii.has_dyn_sized_stack, 0
	.set _ZL19rocblas_trsv_deviceILi32ELi16ELb1ELb1ELb0ELb0E19rocblas_complex_numIdES1_PKPKS1_PKPS1_EviT7_lllT6_T8_lllPii.has_recursion, 0
	.set _ZL19rocblas_trsv_deviceILi32ELi16ELb1ELb1ELb0ELb0E19rocblas_complex_numIdES1_PKPKS1_PKPS1_EviT7_lllT6_T8_lllPii.has_indirect_call, 0
	.section	.AMDGPU.csdata,"",@progbits
; Kernel info:
; codeLenInByte = 27832
; TotalNumSgprs: 100
; NumVgprs: 44
; ScratchSize: 0
; MemoryBound: 1
; FloatMode: 240
; IeeeMode: 1
; LDSByteSize: 25104 bytes/workgroup (compile time only)
; SGPRBlocks: 12
; VGPRBlocks: 12
; NumSGPRsForWavesPerEU: 102
; NumVGPRsForWavesPerEU: 49
; Occupancy: 4
; WaveLimiterHint : 1
; COMPUTE_PGM_RSRC2:SCRATCH_EN: 0
; COMPUTE_PGM_RSRC2:USER_SGPR: 6
; COMPUTE_PGM_RSRC2:TRAP_HANDLER: 0
; COMPUTE_PGM_RSRC2:TGID_X_EN: 1
; COMPUTE_PGM_RSRC2:TGID_Y_EN: 0
; COMPUTE_PGM_RSRC2:TGID_Z_EN: 1
; COMPUTE_PGM_RSRC2:TIDIG_COMP_CNT: 1
	.section	.text._ZL19rocblas_trsv_deviceILi32ELi16ELb1ELb1ELb1ELb0E19rocblas_complex_numIdES1_PKPKS1_PKPS1_EviT7_lllT6_T8_lllPii,"axG",@progbits,_ZL19rocblas_trsv_deviceILi32ELi16ELb1ELb1ELb1ELb0E19rocblas_complex_numIdES1_PKPKS1_PKPS1_EviT7_lllT6_T8_lllPii,comdat
	.globl	_ZL19rocblas_trsv_deviceILi32ELi16ELb1ELb1ELb1ELb0E19rocblas_complex_numIdES1_PKPKS1_PKPS1_EviT7_lllT6_T8_lllPii ; -- Begin function _ZL19rocblas_trsv_deviceILi32ELi16ELb1ELb1ELb1ELb0E19rocblas_complex_numIdES1_PKPKS1_PKPS1_EviT7_lllT6_T8_lllPii
	.p2align	8
	.type	_ZL19rocblas_trsv_deviceILi32ELi16ELb1ELb1ELb1ELb0E19rocblas_complex_numIdES1_PKPKS1_PKPS1_EviT7_lllT6_T8_lllPii,@function
_ZL19rocblas_trsv_deviceILi32ELi16ELb1ELb1ELb1ELb0E19rocblas_complex_numIdES1_PKPKS1_PKPS1_EviT7_lllT6_T8_lllPii: ; @_ZL19rocblas_trsv_deviceILi32ELi16ELb1ELb1ELb1ELb0E19rocblas_complex_numIdES1_PKPKS1_PKPS1_EviT7_lllT6_T8_lllPii
; %bb.0:
	s_load_dwordx4 s[0:3], s[4:5], 0x8
	s_mov_b32 s28, s7
	s_mov_b32 s29, 0
	s_lshl_b64 s[8:9], s[28:29], 3
	v_mov_b32_e32 v2, v1
	s_waitcnt lgkmcnt(0)
	s_add_u32 s0, s0, s8
	s_addc_u32 s1, s1, s9
	s_load_dwordx2 s[10:11], s[0:1], 0x0
	s_load_dword s30, s[4:5], 0x0
	s_load_dwordx2 s[36:37], s[4:5], 0x18
	s_load_dwordx8 s[20:27], s[4:5], 0x28
	s_lshl_b64 s[0:1], s[2:3], 4
	s_waitcnt lgkmcnt(0)
	s_add_u32 s94, s10, s0
	s_addc_u32 s62, s11, s1
	s_load_dword s7, s[4:5], 0x68
	s_add_u32 s0, s24, s8
	s_addc_u32 s1, s25, s9
	s_load_dwordx2 s[38:39], s[0:1], 0x0
	s_load_dword s43, s[4:5], 0x74
	s_waitcnt lgkmcnt(0)
	s_add_i32 s7, s7, -1
	s_sub_i32 s63, s7, s6
	s_cmp_lg_u32 s6, 0
	s_cbranch_scc0 .LBB192_545
; %bb.1:
	s_lshl_b32 s33, s63, 5
	v_add_u32_e32 v1, s33, v0
	v_ashrrev_i32_e32 v3, 31, v1
	v_mul_lo_u32 v7, s36, v3
	v_mul_lo_u32 v8, s37, v1
	v_mad_u64_u32 v[5:6], s[0:1], s36, v1, 0
	v_add3_u32 v3, v2, s33, 32
	v_ashrrev_i32_e32 v4, 31, v3
	v_add3_u32 v6, v6, v7, v8
	v_lshlrev_b64 v[5:6], 4, v[5:6]
	v_cmp_gt_i32_e32 vcc, s30, v1
	v_mov_b32_e32 v1, s62
	v_add_co_u32_e64 v7, s[0:1], s94, v5
	v_lshlrev_b64 v[4:5], 4, v[3:4]
	v_addc_co_u32_e64 v1, s[0:1], v1, v6, s[0:1]
	v_add_co_u32_e64 v11, s[0:1], v7, v4
	v_addc_co_u32_e64 v12, s[0:1], v1, v5, s[0:1]
	v_cmp_gt_i32_e64 s[0:1], s30, v3
	v_mov_b32_e32 v5, 0
	v_mov_b32_e32 v7, 0
	;; [unrolled: 1-line block ×6, first 2 shown]
	s_and_b64 s[2:3], s[0:1], vcc
	s_barrier
	s_and_saveexec_b64 s[0:1], s[2:3]
	s_cbranch_execz .LBB192_3
; %bb.2:
	flat_load_dwordx4 v[7:10], v[11:12]
.LBB192_3:
	s_or_b64 exec, exec, s[0:1]
	v_add_u32_e32 v1, 16, v3
	v_cmp_gt_i32_e64 s[0:1], s30, v1
	v_mov_b32_e32 v3, 0
	v_mov_b32_e32 v4, 0
	s_and_b64 s[2:3], s[0:1], vcc
	s_waitcnt vmcnt(0) lgkmcnt(0)
	s_barrier
	s_and_saveexec_b64 s[0:1], s[2:3]
	s_cbranch_execz .LBB192_5
; %bb.4:
	flat_load_dwordx4 v[3:6], v[11:12] offset:256
.LBB192_5:
	s_or_b64 exec, exec, s[0:1]
	s_branch .LBB192_7
.LBB192_6:
	s_lshl_b32 s33, s63, 5
                                        ; implicit-def: $vgpr7_vgpr8
                                        ; implicit-def: $vgpr3_vgpr4
.LBB192_7:
	s_ashr_i32 s31, s30, 31
	s_lshr_b32 s0, s31, 27
	s_add_i32 s0, s30, s0
	s_andn2_b32 s0, s0, 31
	s_sub_i32 s95, s30, s0
	s_add_i32 s0, s30, -1
	s_ashr_i32 s1, s0, 31
	s_lshr_b32 s1, s1, 27
	s_add_i32 s0, s0, s1
	s_ashr_i32 s0, s0, 5
	s_cmp_eq_u32 s0, s63
	s_cselect_b64 s[0:1], -1, 0
	s_cmp_lg_u32 s95, 0
	s_cselect_b64 s[2:3], -1, 0
	s_and_b64 s[34:35], s[2:3], s[0:1]
	s_cmp_lt_i32 s6, 5
	s_cselect_b64 s[2:3], -1, 0
	s_or_b64 s[0:1], s[2:3], s[34:35]
	s_ashr_i32 s42, s33, 31
	s_add_u32 s10, s36, 1
	v_mov_b32_e32 v1, 0
	v_mov_b32_e32 v11, s33
	s_load_dwordx2 s[24:25], s[4:5], 0x48
	v_mad_u64_u32 v[19:20], s[8:9], s10, v11, v[0:1]
	s_addc_u32 s11, s37, 0
	s_mul_i32 s8, s10, s42
	s_mul_i32 s11, s11, s33
	v_lshlrev_b32_e32 v21, 5, v0
	s_add_i32 s8, s8, s11
	s_mov_b64 s[12:13], -1
	v_add_u32_e32 v20, s8, v20
	s_and_b64 vcc, exec, s[34:35]
	v_add_u32_e32 v22, v2, v21
	v_cmp_le_u32_e64 s[8:9], v0, v2
	v_lshl_add_u32 v1, v2, 5, v0
	s_cbranch_vccnz .LBB192_37
; %bb.8:
	v_mad_u64_u32 v[11:12], s[10:11], s36, v2, v[19:20]
	v_cndmask_b32_e64 v23, v1, v22, s[2:3]
	v_mad_u64_u32 v[12:13], s[10:11], s37, v2, v[12:13]
	s_and_saveexec_b64 s[2:3], s[8:9]
	s_xor_b64 s[2:3], exec, s[2:3]
	s_cbranch_execz .LBB192_20
; %bb.9:
	v_cmp_ne_u32_e32 vcc, v0, v2
	s_and_saveexec_b64 s[8:9], vcc
	s_xor_b64 s[8:9], exec, s[8:9]
	s_cbranch_execz .LBB192_13
; %bb.10:
	v_or_b32_e32 v11, v2, v0
	v_cmp_gt_u32_e32 vcc, 32, v11
	s_and_saveexec_b64 s[10:11], vcc
	s_cbranch_execz .LBB192_12
; %bb.11:
	v_mov_b32_e32 v11, 0
	v_lshlrev_b32_e32 v15, 4, v23
	v_mov_b32_e32 v12, v11
	v_mov_b32_e32 v13, v11
	;; [unrolled: 1-line block ×3, first 2 shown]
	ds_write_b128 v15, v[11:14]
.LBB192_12:
	s_or_b64 exec, exec, s[10:11]
                                        ; implicit-def: $vgpr23
                                        ; implicit-def: $vgpr11_vgpr12
.LBB192_13:
	s_andn2_saveexec_b64 s[8:9], s[8:9]
	s_cbranch_execz .LBB192_19
; %bb.14:
	v_lshlrev_b64 v[11:12], 4, v[11:12]
	v_mov_b32_e32 v13, s62
	v_add_co_u32_e32 v11, vcc, s94, v11
	v_addc_co_u32_e32 v12, vcc, v13, v12, vcc
	flat_load_dwordx4 v[11:14], v[11:12]
                                        ; implicit-def: $vgpr15_vgpr16
	s_waitcnt vmcnt(0) lgkmcnt(0)
	v_cmp_ngt_f64_e64 s[10:11], |v[11:12]|, |v[13:14]|
	s_and_saveexec_b64 s[12:13], s[10:11]
	s_xor_b64 s[10:11], exec, s[12:13]
	s_cbranch_execz .LBB192_16
; %bb.15:
	v_div_scale_f64 v[15:16], s[12:13], -v[13:14], -v[13:14], v[11:12]
	v_rcp_f64_e32 v[17:18], v[15:16]
	v_fma_f64 v[24:25], -v[15:16], v[17:18], 1.0
	v_fma_f64 v[17:18], v[17:18], v[24:25], v[17:18]
	v_div_scale_f64 v[24:25], vcc, v[11:12], -v[13:14], v[11:12]
	v_fma_f64 v[26:27], -v[15:16], v[17:18], 1.0
	v_fma_f64 v[17:18], v[17:18], v[26:27], v[17:18]
	v_mul_f64 v[26:27], v[24:25], v[17:18]
	v_fma_f64 v[15:16], -v[15:16], v[26:27], v[24:25]
	v_div_fmas_f64 v[15:16], v[15:16], v[17:18], v[26:27]
	v_div_fixup_f64 v[15:16], v[15:16], -v[13:14], v[11:12]
	v_fma_f64 v[11:12], v[11:12], v[15:16], -v[13:14]
	v_div_scale_f64 v[13:14], s[12:13], v[11:12], v[11:12], 1.0
	v_div_scale_f64 v[26:27], vcc, 1.0, v[11:12], 1.0
	v_rcp_f64_e32 v[17:18], v[13:14]
	v_fma_f64 v[24:25], -v[13:14], v[17:18], 1.0
	v_fma_f64 v[17:18], v[17:18], v[24:25], v[17:18]
	v_fma_f64 v[24:25], -v[13:14], v[17:18], 1.0
	v_fma_f64 v[17:18], v[17:18], v[24:25], v[17:18]
	v_mul_f64 v[24:25], v[26:27], v[17:18]
	v_fma_f64 v[13:14], -v[13:14], v[24:25], v[26:27]
	v_div_fmas_f64 v[13:14], v[13:14], v[17:18], v[24:25]
	v_div_fixup_f64 v[17:18], v[13:14], v[11:12], 1.0
                                        ; implicit-def: $vgpr11_vgpr12
	v_mul_f64 v[15:16], v[15:16], v[17:18]
	v_xor_b32_e32 v18, 0x80000000, v18
.LBB192_16:
	s_andn2_saveexec_b64 s[10:11], s[10:11]
	s_cbranch_execz .LBB192_18
; %bb.17:
	v_div_scale_f64 v[15:16], s[12:13], v[11:12], v[11:12], -v[13:14]
	v_rcp_f64_e32 v[17:18], v[15:16]
	v_fma_f64 v[24:25], -v[15:16], v[17:18], 1.0
	v_fma_f64 v[17:18], v[17:18], v[24:25], v[17:18]
	v_div_scale_f64 v[24:25], vcc, -v[13:14], v[11:12], -v[13:14]
	v_fma_f64 v[26:27], -v[15:16], v[17:18], 1.0
	v_fma_f64 v[17:18], v[17:18], v[26:27], v[17:18]
	v_mul_f64 v[26:27], v[24:25], v[17:18]
	v_fma_f64 v[15:16], -v[15:16], v[26:27], v[24:25]
	v_div_fmas_f64 v[15:16], v[15:16], v[17:18], v[26:27]
	v_div_fixup_f64 v[17:18], v[15:16], v[11:12], -v[13:14]
	v_fma_f64 v[11:12], -v[13:14], v[17:18], v[11:12]
	v_div_scale_f64 v[13:14], s[12:13], v[11:12], v[11:12], 1.0
	v_div_scale_f64 v[26:27], vcc, 1.0, v[11:12], 1.0
	v_rcp_f64_e32 v[15:16], v[13:14]
	v_fma_f64 v[24:25], -v[13:14], v[15:16], 1.0
	v_fma_f64 v[15:16], v[15:16], v[24:25], v[15:16]
	v_fma_f64 v[24:25], -v[13:14], v[15:16], 1.0
	v_fma_f64 v[15:16], v[15:16], v[24:25], v[15:16]
	v_mul_f64 v[24:25], v[26:27], v[15:16]
	v_fma_f64 v[13:14], -v[13:14], v[24:25], v[26:27]
	v_div_fmas_f64 v[13:14], v[13:14], v[15:16], v[24:25]
	v_div_fixup_f64 v[15:16], v[13:14], v[11:12], 1.0
	v_mul_f64 v[17:18], v[17:18], -v[15:16]
.LBB192_18:
	s_or_b64 exec, exec, s[10:11]
	v_lshlrev_b32_e32 v11, 4, v23
	ds_write_b128 v11, v[15:18]
.LBB192_19:
	s_or_b64 exec, exec, s[8:9]
                                        ; implicit-def: $vgpr11_vgpr12
                                        ; implicit-def: $vgpr23
.LBB192_20:
	s_andn2_saveexec_b64 s[2:3], s[2:3]
	s_cbranch_execz .LBB192_22
; %bb.21:
	v_lshlrev_b64 v[11:12], 4, v[11:12]
	v_mov_b32_e32 v13, s62
	v_add_co_u32_e32 v11, vcc, s94, v11
	v_addc_co_u32_e32 v12, vcc, v13, v12, vcc
	flat_load_dwordx4 v[11:14], v[11:12]
	v_lshlrev_b32_e32 v15, 4, v23
	s_waitcnt vmcnt(0) lgkmcnt(0)
	v_xor_b32_e32 v12, 0x80000000, v12
	ds_write_b128 v15, v[11:14]
.LBB192_22:
	s_or_b64 exec, exec, s[2:3]
	v_add_u32_e32 v13, 16, v2
	v_mad_u64_u32 v[11:12], s[2:3], s36, v13, v[19:20]
	v_cmp_le_u32_e32 vcc, v0, v13
	v_mad_u64_u32 v[14:15], s[2:3], s37, v13, v[12:13]
	v_add_u32_e32 v12, v13, v21
	v_lshl_add_u32 v15, v13, 5, v0
	v_cndmask_b32_e64 v23, v15, v12, s[0:1]
	v_mov_b32_e32 v12, v14
	s_and_saveexec_b64 s[2:3], vcc
	s_xor_b64 s[2:3], exec, s[2:3]
	s_cbranch_execz .LBB192_34
; %bb.23:
	v_cmp_ne_u32_e32 vcc, v0, v13
	s_and_saveexec_b64 s[8:9], vcc
	s_xor_b64 s[8:9], exec, s[8:9]
	s_cbranch_execz .LBB192_27
; %bb.24:
	v_or_b32_e32 v11, v13, v0
	v_cmp_gt_u32_e32 vcc, 32, v11
	s_and_saveexec_b64 s[10:11], vcc
	s_cbranch_execz .LBB192_26
; %bb.25:
	v_mov_b32_e32 v11, 0
	v_lshlrev_b32_e32 v15, 4, v23
	v_mov_b32_e32 v12, v11
	v_mov_b32_e32 v13, v11
	;; [unrolled: 1-line block ×3, first 2 shown]
	ds_write_b128 v15, v[11:14]
.LBB192_26:
	s_or_b64 exec, exec, s[10:11]
                                        ; implicit-def: $vgpr23
                                        ; implicit-def: $vgpr11_vgpr12
.LBB192_27:
	s_andn2_saveexec_b64 s[8:9], s[8:9]
	s_cbranch_execz .LBB192_33
; %bb.28:
	v_lshlrev_b64 v[11:12], 4, v[11:12]
	v_mov_b32_e32 v13, s62
	v_add_co_u32_e32 v11, vcc, s94, v11
	v_addc_co_u32_e32 v12, vcc, v13, v12, vcc
	flat_load_dwordx4 v[11:14], v[11:12]
                                        ; implicit-def: $vgpr15_vgpr16
	s_waitcnt vmcnt(0) lgkmcnt(0)
	v_cmp_ngt_f64_e64 s[10:11], |v[11:12]|, |v[13:14]|
	s_and_saveexec_b64 s[12:13], s[10:11]
	s_xor_b64 s[10:11], exec, s[12:13]
	s_cbranch_execz .LBB192_30
; %bb.29:
	v_div_scale_f64 v[15:16], s[12:13], -v[13:14], -v[13:14], v[11:12]
	v_rcp_f64_e32 v[17:18], v[15:16]
	v_fma_f64 v[24:25], -v[15:16], v[17:18], 1.0
	v_fma_f64 v[17:18], v[17:18], v[24:25], v[17:18]
	v_div_scale_f64 v[24:25], vcc, v[11:12], -v[13:14], v[11:12]
	v_fma_f64 v[26:27], -v[15:16], v[17:18], 1.0
	v_fma_f64 v[17:18], v[17:18], v[26:27], v[17:18]
	v_mul_f64 v[26:27], v[24:25], v[17:18]
	v_fma_f64 v[15:16], -v[15:16], v[26:27], v[24:25]
	v_div_fmas_f64 v[15:16], v[15:16], v[17:18], v[26:27]
	v_div_fixup_f64 v[15:16], v[15:16], -v[13:14], v[11:12]
	v_fma_f64 v[11:12], v[11:12], v[15:16], -v[13:14]
	v_div_scale_f64 v[13:14], s[12:13], v[11:12], v[11:12], 1.0
	v_div_scale_f64 v[26:27], vcc, 1.0, v[11:12], 1.0
	v_rcp_f64_e32 v[17:18], v[13:14]
	v_fma_f64 v[24:25], -v[13:14], v[17:18], 1.0
	v_fma_f64 v[17:18], v[17:18], v[24:25], v[17:18]
	v_fma_f64 v[24:25], -v[13:14], v[17:18], 1.0
	v_fma_f64 v[17:18], v[17:18], v[24:25], v[17:18]
	v_mul_f64 v[24:25], v[26:27], v[17:18]
	v_fma_f64 v[13:14], -v[13:14], v[24:25], v[26:27]
	v_div_fmas_f64 v[13:14], v[13:14], v[17:18], v[24:25]
	v_div_fixup_f64 v[17:18], v[13:14], v[11:12], 1.0
                                        ; implicit-def: $vgpr11_vgpr12
	v_mul_f64 v[15:16], v[15:16], v[17:18]
	v_xor_b32_e32 v18, 0x80000000, v18
.LBB192_30:
	s_andn2_saveexec_b64 s[10:11], s[10:11]
	s_cbranch_execz .LBB192_32
; %bb.31:
	v_div_scale_f64 v[15:16], s[12:13], v[11:12], v[11:12], -v[13:14]
	v_rcp_f64_e32 v[17:18], v[15:16]
	v_fma_f64 v[24:25], -v[15:16], v[17:18], 1.0
	v_fma_f64 v[17:18], v[17:18], v[24:25], v[17:18]
	v_div_scale_f64 v[24:25], vcc, -v[13:14], v[11:12], -v[13:14]
	v_fma_f64 v[26:27], -v[15:16], v[17:18], 1.0
	v_fma_f64 v[17:18], v[17:18], v[26:27], v[17:18]
	v_mul_f64 v[26:27], v[24:25], v[17:18]
	v_fma_f64 v[15:16], -v[15:16], v[26:27], v[24:25]
	v_div_fmas_f64 v[15:16], v[15:16], v[17:18], v[26:27]
	v_div_fixup_f64 v[17:18], v[15:16], v[11:12], -v[13:14]
	v_fma_f64 v[11:12], -v[13:14], v[17:18], v[11:12]
	v_div_scale_f64 v[13:14], s[12:13], v[11:12], v[11:12], 1.0
	v_div_scale_f64 v[26:27], vcc, 1.0, v[11:12], 1.0
	v_rcp_f64_e32 v[15:16], v[13:14]
	v_fma_f64 v[24:25], -v[13:14], v[15:16], 1.0
	v_fma_f64 v[15:16], v[15:16], v[24:25], v[15:16]
	v_fma_f64 v[24:25], -v[13:14], v[15:16], 1.0
	v_fma_f64 v[15:16], v[15:16], v[24:25], v[15:16]
	v_mul_f64 v[24:25], v[26:27], v[15:16]
	v_fma_f64 v[13:14], -v[13:14], v[24:25], v[26:27]
	v_div_fmas_f64 v[13:14], v[13:14], v[15:16], v[24:25]
	v_div_fixup_f64 v[15:16], v[13:14], v[11:12], 1.0
	v_mul_f64 v[17:18], v[17:18], -v[15:16]
.LBB192_32:
	s_or_b64 exec, exec, s[10:11]
	v_lshlrev_b32_e32 v11, 4, v23
	ds_write_b128 v11, v[15:18]
.LBB192_33:
	s_or_b64 exec, exec, s[8:9]
                                        ; implicit-def: $vgpr11_vgpr12
                                        ; implicit-def: $vgpr23
.LBB192_34:
	s_andn2_saveexec_b64 s[2:3], s[2:3]
	s_cbranch_execz .LBB192_36
; %bb.35:
	v_lshlrev_b64 v[11:12], 4, v[11:12]
	v_mov_b32_e32 v13, s62
	v_add_co_u32_e32 v11, vcc, s94, v11
	v_addc_co_u32_e32 v12, vcc, v13, v12, vcc
	flat_load_dwordx4 v[11:14], v[11:12]
	v_lshlrev_b32_e32 v15, 4, v23
	s_waitcnt vmcnt(0) lgkmcnt(0)
	v_xor_b32_e32 v12, 0x80000000, v12
	ds_write_b128 v15, v[11:14]
.LBB192_36:
	s_or_b64 exec, exec, s[2:3]
	s_mov_b64 s[12:13], 0
.LBB192_37:
	s_xor_b64 s[10:11], s[0:1], -1
	s_and_b64 vcc, exec, s[12:13]
	s_cbranch_vccz .LBB192_67
; %bb.38:
	v_mad_u64_u32 v[11:12], s[2:3], s36, v2, v[19:20]
	v_cmp_le_u32_e32 vcc, v0, v2
	v_cmp_gt_i32_e64 s[2:3], s95, v0
	v_mad_u64_u32 v[12:13], s[8:9], s37, v2, v[12:13]
	v_max_i32_e32 v13, v2, v0
	v_cmp_le_i32_e64 s[8:9], s95, v13
	s_or_b64 s[8:9], s[8:9], vcc
	s_and_saveexec_b64 s[12:13], s[8:9]
	s_xor_b64 s[8:9], exec, s[12:13]
	s_cbranch_execz .LBB192_50
; %bb.39:
	v_cmp_ne_u32_e32 vcc, v0, v2
	s_xor_b64 s[12:13], s[2:3], -1
	s_or_b64 s[12:13], s[12:13], vcc
	s_and_saveexec_b64 s[14:15], s[12:13]
	s_xor_b64 s[12:13], exec, s[14:15]
	s_cbranch_execz .LBB192_43
; %bb.40:
	v_or_b32_e32 v11, v2, v0
	v_cmp_gt_u32_e32 vcc, 32, v11
	s_and_saveexec_b64 s[14:15], vcc
	s_cbranch_execz .LBB192_42
; %bb.41:
	v_mov_b32_e32 v11, 0
	v_lshlrev_b32_e32 v15, 4, v22
	v_mov_b32_e32 v12, v11
	v_mov_b32_e32 v13, v11
	;; [unrolled: 1-line block ×3, first 2 shown]
	ds_write_b128 v15, v[11:14]
.LBB192_42:
	s_or_b64 exec, exec, s[14:15]
                                        ; implicit-def: $vgpr22
                                        ; implicit-def: $vgpr11_vgpr12
.LBB192_43:
	s_andn2_saveexec_b64 s[12:13], s[12:13]
	s_cbranch_execz .LBB192_49
; %bb.44:
	v_lshlrev_b64 v[11:12], 4, v[11:12]
	v_mov_b32_e32 v13, s62
	v_add_co_u32_e32 v11, vcc, s94, v11
	v_addc_co_u32_e32 v12, vcc, v13, v12, vcc
	flat_load_dwordx4 v[11:14], v[11:12]
                                        ; implicit-def: $vgpr15_vgpr16
	s_waitcnt vmcnt(0) lgkmcnt(0)
	v_cmp_ngt_f64_e64 s[14:15], |v[11:12]|, |v[13:14]|
	s_and_saveexec_b64 s[16:17], s[14:15]
	s_xor_b64 s[14:15], exec, s[16:17]
	s_cbranch_execz .LBB192_46
; %bb.45:
	v_div_scale_f64 v[15:16], s[16:17], -v[13:14], -v[13:14], v[11:12]
	v_rcp_f64_e32 v[17:18], v[15:16]
	v_fma_f64 v[23:24], -v[15:16], v[17:18], 1.0
	v_fma_f64 v[17:18], v[17:18], v[23:24], v[17:18]
	v_div_scale_f64 v[23:24], vcc, v[11:12], -v[13:14], v[11:12]
	v_fma_f64 v[25:26], -v[15:16], v[17:18], 1.0
	v_fma_f64 v[17:18], v[17:18], v[25:26], v[17:18]
	v_mul_f64 v[25:26], v[23:24], v[17:18]
	v_fma_f64 v[15:16], -v[15:16], v[25:26], v[23:24]
	v_div_fmas_f64 v[15:16], v[15:16], v[17:18], v[25:26]
	v_div_fixup_f64 v[15:16], v[15:16], -v[13:14], v[11:12]
	v_fma_f64 v[11:12], v[11:12], v[15:16], -v[13:14]
	v_div_scale_f64 v[13:14], s[16:17], v[11:12], v[11:12], 1.0
	v_div_scale_f64 v[25:26], vcc, 1.0, v[11:12], 1.0
	v_rcp_f64_e32 v[17:18], v[13:14]
	v_fma_f64 v[23:24], -v[13:14], v[17:18], 1.0
	v_fma_f64 v[17:18], v[17:18], v[23:24], v[17:18]
	v_fma_f64 v[23:24], -v[13:14], v[17:18], 1.0
	v_fma_f64 v[17:18], v[17:18], v[23:24], v[17:18]
	v_mul_f64 v[23:24], v[25:26], v[17:18]
	v_fma_f64 v[13:14], -v[13:14], v[23:24], v[25:26]
	v_div_fmas_f64 v[13:14], v[13:14], v[17:18], v[23:24]
	v_div_fixup_f64 v[17:18], v[13:14], v[11:12], 1.0
                                        ; implicit-def: $vgpr11_vgpr12
	v_mul_f64 v[15:16], v[15:16], v[17:18]
	v_xor_b32_e32 v18, 0x80000000, v18
.LBB192_46:
	s_andn2_saveexec_b64 s[14:15], s[14:15]
	s_cbranch_execz .LBB192_48
; %bb.47:
	v_div_scale_f64 v[15:16], s[16:17], v[11:12], v[11:12], -v[13:14]
	v_rcp_f64_e32 v[17:18], v[15:16]
	v_fma_f64 v[23:24], -v[15:16], v[17:18], 1.0
	v_fma_f64 v[17:18], v[17:18], v[23:24], v[17:18]
	v_div_scale_f64 v[23:24], vcc, -v[13:14], v[11:12], -v[13:14]
	v_fma_f64 v[25:26], -v[15:16], v[17:18], 1.0
	v_fma_f64 v[17:18], v[17:18], v[25:26], v[17:18]
	v_mul_f64 v[25:26], v[23:24], v[17:18]
	v_fma_f64 v[15:16], -v[15:16], v[25:26], v[23:24]
	v_div_fmas_f64 v[15:16], v[15:16], v[17:18], v[25:26]
	v_div_fixup_f64 v[17:18], v[15:16], v[11:12], -v[13:14]
	v_fma_f64 v[11:12], -v[13:14], v[17:18], v[11:12]
	v_div_scale_f64 v[13:14], s[16:17], v[11:12], v[11:12], 1.0
	v_div_scale_f64 v[25:26], vcc, 1.0, v[11:12], 1.0
	v_rcp_f64_e32 v[15:16], v[13:14]
	v_fma_f64 v[23:24], -v[13:14], v[15:16], 1.0
	v_fma_f64 v[15:16], v[15:16], v[23:24], v[15:16]
	v_fma_f64 v[23:24], -v[13:14], v[15:16], 1.0
	v_fma_f64 v[15:16], v[15:16], v[23:24], v[15:16]
	v_mul_f64 v[23:24], v[25:26], v[15:16]
	v_fma_f64 v[13:14], -v[13:14], v[23:24], v[25:26]
	v_div_fmas_f64 v[13:14], v[13:14], v[15:16], v[23:24]
	v_div_fixup_f64 v[15:16], v[13:14], v[11:12], 1.0
	v_mul_f64 v[17:18], v[17:18], -v[15:16]
.LBB192_48:
	s_or_b64 exec, exec, s[14:15]
	v_lshlrev_b32_e32 v11, 4, v22
	ds_write_b128 v11, v[15:18]
.LBB192_49:
	s_or_b64 exec, exec, s[12:13]
                                        ; implicit-def: $vgpr11_vgpr12
                                        ; implicit-def: $vgpr22
.LBB192_50:
	s_andn2_saveexec_b64 s[8:9], s[8:9]
	s_cbranch_execz .LBB192_52
; %bb.51:
	v_lshlrev_b64 v[11:12], 4, v[11:12]
	v_mov_b32_e32 v13, s62
	v_add_co_u32_e32 v11, vcc, s94, v11
	v_addc_co_u32_e32 v12, vcc, v13, v12, vcc
	flat_load_dwordx4 v[11:14], v[11:12]
	v_lshlrev_b32_e32 v15, 4, v22
	s_waitcnt vmcnt(0) lgkmcnt(0)
	v_xor_b32_e32 v12, 0x80000000, v12
	ds_write_b128 v15, v[11:14]
.LBB192_52:
	s_or_b64 exec, exec, s[8:9]
	v_add_u32_e32 v13, 16, v2
	v_mad_u64_u32 v[11:12], s[8:9], s36, v13, v[19:20]
	v_add_u32_e32 v16, v13, v21
	v_cmp_gt_u32_e32 vcc, v0, v13
	v_mad_u64_u32 v[14:15], s[8:9], s37, v13, v[12:13]
	v_lshl_add_u32 v12, v13, 5, v0
	v_cndmask_b32_e64 v19, v12, v16, s[0:1]
	v_cmp_gt_i32_e64 s[0:1], s95, v13
	s_and_b64 s[0:1], vcc, s[0:1]
	s_and_b64 s[0:1], s[2:3], s[0:1]
	v_mov_b32_e32 v12, v14
	s_xor_b64 s[0:1], s[0:1], -1
	s_and_saveexec_b64 s[8:9], s[0:1]
	s_xor_b64 s[0:1], exec, s[8:9]
	s_cbranch_execz .LBB192_64
; %bb.53:
	v_cmp_ne_u32_e32 vcc, v0, v13
	s_xor_b64 s[2:3], s[2:3], -1
	s_or_b64 s[2:3], s[2:3], vcc
	s_and_saveexec_b64 s[8:9], s[2:3]
	s_xor_b64 s[2:3], exec, s[8:9]
	s_cbranch_execz .LBB192_57
; %bb.54:
	v_or_b32_e32 v11, v13, v0
	v_cmp_gt_u32_e32 vcc, 32, v11
	s_and_saveexec_b64 s[8:9], vcc
	s_cbranch_execz .LBB192_56
; %bb.55:
	v_mov_b32_e32 v11, 0
	v_lshlrev_b32_e32 v15, 4, v19
	v_mov_b32_e32 v12, v11
	v_mov_b32_e32 v13, v11
	v_mov_b32_e32 v14, v11
	ds_write_b128 v15, v[11:14]
.LBB192_56:
	s_or_b64 exec, exec, s[8:9]
                                        ; implicit-def: $vgpr19
                                        ; implicit-def: $vgpr11_vgpr12
.LBB192_57:
	s_andn2_saveexec_b64 s[2:3], s[2:3]
	s_cbranch_execz .LBB192_63
; %bb.58:
	v_lshlrev_b64 v[11:12], 4, v[11:12]
	v_mov_b32_e32 v13, s62
	v_add_co_u32_e32 v11, vcc, s94, v11
	v_addc_co_u32_e32 v12, vcc, v13, v12, vcc
	flat_load_dwordx4 v[11:14], v[11:12]
                                        ; implicit-def: $vgpr15_vgpr16
	s_waitcnt vmcnt(0) lgkmcnt(0)
	v_cmp_ngt_f64_e64 s[8:9], |v[11:12]|, |v[13:14]|
	s_and_saveexec_b64 s[12:13], s[8:9]
	s_xor_b64 s[8:9], exec, s[12:13]
	s_cbranch_execz .LBB192_60
; %bb.59:
	v_div_scale_f64 v[15:16], s[12:13], -v[13:14], -v[13:14], v[11:12]
	v_rcp_f64_e32 v[17:18], v[15:16]
	v_fma_f64 v[20:21], -v[15:16], v[17:18], 1.0
	v_fma_f64 v[17:18], v[17:18], v[20:21], v[17:18]
	v_div_scale_f64 v[20:21], vcc, v[11:12], -v[13:14], v[11:12]
	v_fma_f64 v[22:23], -v[15:16], v[17:18], 1.0
	v_fma_f64 v[17:18], v[17:18], v[22:23], v[17:18]
	v_mul_f64 v[22:23], v[20:21], v[17:18]
	v_fma_f64 v[15:16], -v[15:16], v[22:23], v[20:21]
	v_div_fmas_f64 v[15:16], v[15:16], v[17:18], v[22:23]
	v_div_fixup_f64 v[15:16], v[15:16], -v[13:14], v[11:12]
	v_fma_f64 v[11:12], v[11:12], v[15:16], -v[13:14]
	v_div_scale_f64 v[13:14], s[12:13], v[11:12], v[11:12], 1.0
	v_div_scale_f64 v[22:23], vcc, 1.0, v[11:12], 1.0
	v_rcp_f64_e32 v[17:18], v[13:14]
	v_fma_f64 v[20:21], -v[13:14], v[17:18], 1.0
	v_fma_f64 v[17:18], v[17:18], v[20:21], v[17:18]
	v_fma_f64 v[20:21], -v[13:14], v[17:18], 1.0
	v_fma_f64 v[17:18], v[17:18], v[20:21], v[17:18]
	v_mul_f64 v[20:21], v[22:23], v[17:18]
	v_fma_f64 v[13:14], -v[13:14], v[20:21], v[22:23]
	v_div_fmas_f64 v[13:14], v[13:14], v[17:18], v[20:21]
	v_div_fixup_f64 v[17:18], v[13:14], v[11:12], 1.0
                                        ; implicit-def: $vgpr11_vgpr12
	v_mul_f64 v[15:16], v[15:16], v[17:18]
	v_xor_b32_e32 v18, 0x80000000, v18
.LBB192_60:
	s_andn2_saveexec_b64 s[8:9], s[8:9]
	s_cbranch_execz .LBB192_62
; %bb.61:
	v_div_scale_f64 v[15:16], s[12:13], v[11:12], v[11:12], -v[13:14]
	v_rcp_f64_e32 v[17:18], v[15:16]
	v_fma_f64 v[20:21], -v[15:16], v[17:18], 1.0
	v_fma_f64 v[17:18], v[17:18], v[20:21], v[17:18]
	v_div_scale_f64 v[20:21], vcc, -v[13:14], v[11:12], -v[13:14]
	v_fma_f64 v[22:23], -v[15:16], v[17:18], 1.0
	v_fma_f64 v[17:18], v[17:18], v[22:23], v[17:18]
	v_mul_f64 v[22:23], v[20:21], v[17:18]
	v_fma_f64 v[15:16], -v[15:16], v[22:23], v[20:21]
	v_div_fmas_f64 v[15:16], v[15:16], v[17:18], v[22:23]
	v_div_fixup_f64 v[17:18], v[15:16], v[11:12], -v[13:14]
	v_fma_f64 v[11:12], -v[13:14], v[17:18], v[11:12]
	v_div_scale_f64 v[13:14], s[12:13], v[11:12], v[11:12], 1.0
	v_div_scale_f64 v[22:23], vcc, 1.0, v[11:12], 1.0
	v_rcp_f64_e32 v[15:16], v[13:14]
	v_fma_f64 v[20:21], -v[13:14], v[15:16], 1.0
	v_fma_f64 v[15:16], v[15:16], v[20:21], v[15:16]
	v_fma_f64 v[20:21], -v[13:14], v[15:16], 1.0
	v_fma_f64 v[15:16], v[15:16], v[20:21], v[15:16]
	v_mul_f64 v[20:21], v[22:23], v[15:16]
	v_fma_f64 v[13:14], -v[13:14], v[20:21], v[22:23]
	v_div_fmas_f64 v[13:14], v[13:14], v[15:16], v[20:21]
	v_div_fixup_f64 v[15:16], v[13:14], v[11:12], 1.0
	v_mul_f64 v[17:18], v[17:18], -v[15:16]
.LBB192_62:
	s_or_b64 exec, exec, s[8:9]
	v_lshlrev_b32_e32 v11, 4, v19
	ds_write_b128 v11, v[15:18]
.LBB192_63:
	s_or_b64 exec, exec, s[2:3]
                                        ; implicit-def: $vgpr11_vgpr12
                                        ; implicit-def: $vgpr19
.LBB192_64:
	s_andn2_saveexec_b64 s[0:1], s[0:1]
	s_cbranch_execz .LBB192_66
; %bb.65:
	v_lshlrev_b64 v[11:12], 4, v[11:12]
	v_mov_b32_e32 v13, s62
	v_add_co_u32_e32 v11, vcc, s94, v11
	v_addc_co_u32_e32 v12, vcc, v13, v12, vcc
	flat_load_dwordx4 v[11:14], v[11:12]
	v_lshlrev_b32_e32 v15, 4, v19
	s_waitcnt vmcnt(0) lgkmcnt(0)
	v_xor_b32_e32 v12, 0x80000000, v12
	ds_write_b128 v15, v[11:14]
.LBB192_66:
	s_or_b64 exec, exec, s[0:1]
.LBB192_67:
	v_cndmask_b32_e64 v11, 0, 1, s[10:11]
	v_cmp_ne_u32_e64 s[48:49], 1, v11
	s_andn2_b64 vcc, exec, s[10:11]
	s_waitcnt vmcnt(0) lgkmcnt(0)
	s_barrier
	s_cbranch_vccnz .LBB192_491
; %bb.68:
	v_or_b32_e32 v11, v0, v2
	v_cmp_eq_u32_e32 vcc, 0, v11
	s_and_saveexec_b64 s[2:3], vcc
	s_cbranch_execz .LBB192_70
; %bb.69:
	v_mov_b32_e32 v25, 0
	ds_read_b128 v[11:14], v25 offset:528
	ds_read_b128 v[15:18], v25
	ds_read_b128 v[19:22], v25 offset:16
	s_waitcnt lgkmcnt(1)
	v_mul_f64 v[23:24], v[11:12], v[17:18]
	v_mul_f64 v[17:18], v[13:14], v[17:18]
	v_fma_f64 v[13:14], v[13:14], v[15:16], v[23:24]
	v_fma_f64 v[11:12], v[11:12], v[15:16], -v[17:18]
	s_waitcnt lgkmcnt(0)
	v_mul_f64 v[15:16], v[13:14], v[21:22]
	v_mul_f64 v[17:18], v[11:12], v[21:22]
	v_fma_f64 v[11:12], v[19:20], v[11:12], -v[15:16]
	v_fma_f64 v[13:14], v[19:20], v[13:14], v[17:18]
	ds_write_b128 v25, v[11:14] offset:16
	ds_write_b128 v25, v[11:14] offset:512
.LBB192_70:
	s_or_b64 exec, exec, s[2:3]
	v_and_b32_e32 v18, 1, v0
	v_lshrrev_b32_e32 v17, 1, v1
	v_lshlrev_b32_e32 v15, 4, v18
	v_mov_b32_e32 v13, 0
	v_mov_b32_e32 v11, 0
	v_cmp_lt_u32_e64 s[8:9], 3, v1
	v_cmp_gt_u32_e64 s[2:3], 4, v1
	v_mov_b32_e32 v14, 0
	v_mov_b32_e32 v12, 0
	v_lshl_or_b32 v15, v17, 9, v15
	s_waitcnt lgkmcnt(0)
	s_barrier
	s_and_saveexec_b64 s[12:13], s[2:3]
	s_cbranch_execz .LBB192_74
; %bb.71:
	v_mul_u32_u24_e32 v11, 0x210, v17
	ds_read_b128 v[11:14], v11
	ds_read_b128 v[19:22], v15 offset:32
	v_cmp_gt_u32_e64 s[10:11], 2, v1
	s_waitcnt lgkmcnt(0)
	v_mul_f64 v[23:24], v[13:14], v[21:22]
	v_mul_f64 v[21:22], v[11:12], v[21:22]
	v_fma_f64 v[11:12], v[11:12], v[19:20], -v[23:24]
	v_fma_f64 v[13:14], v[13:14], v[19:20], v[21:22]
	v_add_f64 v[11:12], v[11:12], 0
	v_add_f64 v[13:14], v[13:14], 0
	s_and_saveexec_b64 s[14:15], s[10:11]
	s_cbranch_execz .LBB192_73
; %bb.72:
	v_mov_b32_e32 v19, 0
	v_lshlrev_b32_e32 v16, 4, v0
	ds_read_b128 v[19:22], v19 offset:16
	ds_read_b128 v[23:26], v16 offset:544
	s_waitcnt lgkmcnt(0)
	v_mul_f64 v[27:28], v[21:22], v[25:26]
	v_mul_f64 v[25:26], v[19:20], v[25:26]
	v_fma_f64 v[19:20], v[19:20], v[23:24], -v[27:28]
	v_fma_f64 v[21:22], v[21:22], v[23:24], v[25:26]
	v_add_f64 v[11:12], v[11:12], v[19:20]
	v_add_f64 v[13:14], v[13:14], v[21:22]
.LBB192_73:
	s_or_b64 exec, exec, s[14:15]
	v_xor_b32_e32 v12, 0x80000000, v12
	v_xor_b32_e32 v14, 0x80000000, v14
.LBB192_74:
                                        ; implicit-def: $vgpr43 : SGPR spill to VGPR lane
	v_writelane_b32 v43, s42, 0
	s_or_b64 exec, exec, s[12:13]
	v_mov_b32_e32 v16, 0x4000
	v_cmp_eq_u32_e64 s[10:11], 0, v18
	s_xor_b64 s[12:13], s[8:9], -1
	v_lshl_add_u32 v16, v17, 4, v16
	s_and_b64 s[42:43], s[10:11], s[12:13]
	s_and_saveexec_b64 s[8:9], s[42:43]
	s_cbranch_execz .LBB192_76
; %bb.75:
	v_mov_b32_e32 v19, 0
	ds_read_b128 v[19:22], v19 offset:1056
	s_waitcnt lgkmcnt(0)
	v_mul_f64 v[23:24], v[13:14], v[21:22]
	v_mul_f64 v[21:22], v[11:12], v[21:22]
	v_fma_f64 v[11:12], v[11:12], v[19:20], -v[23:24]
	v_fma_f64 v[13:14], v[13:14], v[19:20], v[21:22]
	ds_write_b128 v16, v[11:14]
.LBB192_76:
	s_or_b64 exec, exec, s[8:9]
	v_cmp_ne_u32_e64 s[8:9], 0, v18
	s_and_b64 s[40:41], s[8:9], s[12:13]
	s_waitcnt lgkmcnt(0)
	s_barrier
	s_and_saveexec_b64 s[8:9], s[40:41]
	s_cbranch_execz .LBB192_78
; %bb.77:
	v_mov_b32_e32 v22, 0
	ds_read_b128 v[18:21], v16
	ds_read_b128 v[22:25], v22 offset:1072
	s_waitcnt lgkmcnt(0)
	v_mul_f64 v[26:27], v[20:21], v[24:25]
	v_mul_f64 v[24:25], v[18:19], v[24:25]
	v_fma_f64 v[18:19], v[18:19], v[22:23], -v[26:27]
	v_fma_f64 v[20:21], v[20:21], v[22:23], v[24:25]
	v_add_f64 v[11:12], v[11:12], v[18:19]
	v_add_f64 v[13:14], v[13:14], v[20:21]
.LBB192_78:
	s_or_b64 exec, exec, s[8:9]
	s_barrier
	s_and_saveexec_b64 s[8:9], s[40:41]
	s_cbranch_execz .LBB192_80
; %bb.79:
	v_mov_b32_e32 v18, 0
	ds_read_b128 v[18:21], v18 offset:1584
	s_waitcnt lgkmcnt(0)
	v_mul_f64 v[22:23], v[13:14], v[20:21]
	v_mul_f64 v[20:21], v[11:12], v[20:21]
	v_fma_f64 v[11:12], v[11:12], v[18:19], -v[22:23]
	v_fma_f64 v[13:14], v[13:14], v[18:19], v[20:21]
	ds_write_b128 v16, v[11:14]
.LBB192_80:
	s_or_b64 exec, exec, s[8:9]
	s_waitcnt lgkmcnt(0)
	s_barrier
	s_barrier
	s_and_saveexec_b64 s[8:9], s[2:3]
; %bb.81:
	v_xor_b32_e32 v12, 0x80000000, v12
	v_xor_b32_e32 v14, 0x80000000, v14
	ds_write_b128 v15, v[11:14] offset:32
; %bb.82:
	s_or_b64 exec, exec, s[8:9]
	v_cmp_eq_u32_e64 s[10:11], 0, v2
	v_cmp_gt_u32_e64 s[8:9], 2, v0
	s_and_b64 s[44:45], s[10:11], s[8:9]
	s_waitcnt lgkmcnt(0)
	s_barrier
	s_barrier
	s_and_saveexec_b64 s[8:9], s[44:45]
	s_cbranch_execz .LBB192_84
; %bb.83:
	v_lshlrev_b32_e32 v18, 9, v0
	ds_read_b128 v[11:14], v18 offset:32
	s_movk_i32 s0, 0xfe10
	v_mad_i32_i24 v19, v0, s0, v18
	s_waitcnt lgkmcnt(0)
	ds_write_b128 v19, v[11:14] offset:1024
	ds_read_b128 v[11:14], v18 offset:48
	s_waitcnt lgkmcnt(0)
	ds_write_b128 v19, v[11:14] offset:1536
.LBB192_84:
	s_or_b64 exec, exec, s[8:9]
	s_waitcnt lgkmcnt(0)
	s_barrier
	s_and_saveexec_b64 s[8:9], vcc
	s_cbranch_execz .LBB192_86
; %bb.85:
	v_mov_b32_e32 v28, 0
	ds_read_b128 v[11:14], v28 offset:1584
	ds_read_b128 v[18:21], v28 offset:1056
	;; [unrolled: 1-line block ×3, first 2 shown]
	s_waitcnt lgkmcnt(1)
	v_mul_f64 v[26:27], v[11:12], v[20:21]
	v_mul_f64 v[20:21], v[13:14], v[20:21]
	v_fma_f64 v[13:14], v[13:14], v[18:19], v[26:27]
	v_fma_f64 v[11:12], v[11:12], v[18:19], -v[20:21]
	s_waitcnt lgkmcnt(0)
	v_mul_f64 v[18:19], v[13:14], v[24:25]
	v_mul_f64 v[20:21], v[11:12], v[24:25]
	v_fma_f64 v[11:12], v[22:23], v[11:12], -v[18:19]
	v_fma_f64 v[13:14], v[22:23], v[13:14], v[20:21]
	ds_write_b128 v28, v[11:14] offset:1072
	ds_write_b128 v28, v[11:14] offset:1568
.LBB192_86:
	s_or_b64 exec, exec, s[8:9]
	v_and_b32_e32 v21, 3, v0
	v_lshrrev_b32_e32 v22, 2, v1
	v_lshlrev_b32_e32 v19, 4, v21
	v_mov_b32_e32 v13, 0
	v_mov_b32_e32 v11, 0
	v_cmp_lt_u32_e64 s[8:9], 15, v1
	v_cmp_gt_u32_e64 s[16:17], 16, v1
	v_mov_b32_e32 v14, 0
	v_mov_b32_e32 v12, 0
	v_lshl_or_b32 v18, v22, 9, v19
	s_waitcnt lgkmcnt(0)
	s_barrier
	s_and_saveexec_b64 s[14:15], s[16:17]
	s_cbranch_execz .LBB192_92
; %bb.87:
	v_mul_u32_u24_e32 v20, 0x210, v22
	ds_read_b128 v[11:14], v20
	ds_read_b128 v[23:26], v18 offset:64
	v_cmp_gt_u32_e64 s[12:13], 12, v1
	s_waitcnt lgkmcnt(0)
	v_mul_f64 v[27:28], v[13:14], v[25:26]
	v_mul_f64 v[25:26], v[11:12], v[25:26]
	v_fma_f64 v[11:12], v[11:12], v[23:24], -v[27:28]
	v_fma_f64 v[13:14], v[13:14], v[23:24], v[25:26]
	v_add_f64 v[11:12], v[11:12], 0
	v_add_f64 v[13:14], v[13:14], 0
	s_and_saveexec_b64 s[18:19], s[12:13]
	s_cbranch_execnz .LBB192_550
; %bb.88:
	s_or_b64 exec, exec, s[18:19]
	v_cmp_gt_u32_e64 s[12:13], 8, v1
	s_and_saveexec_b64 s[18:19], s[12:13]
	s_cbranch_execnz .LBB192_551
.LBB192_89:
	s_or_b64 exec, exec, s[18:19]
	v_cmp_gt_u32_e64 s[12:13], 4, v1
	s_and_saveexec_b64 s[18:19], s[12:13]
	s_cbranch_execz .LBB192_91
.LBB192_90:
	v_mov_b32_e32 v23, 0
	v_lshlrev_b32_e32 v20, 4, v0
	ds_read_b128 v[23:26], v23 offset:48
	ds_read_b128 v[27:30], v20 offset:1600
	s_waitcnt lgkmcnt(0)
	v_mul_f64 v[31:32], v[25:26], v[29:30]
	v_mul_f64 v[29:30], v[23:24], v[29:30]
	v_fma_f64 v[23:24], v[23:24], v[27:28], -v[31:32]
	v_fma_f64 v[25:26], v[25:26], v[27:28], v[29:30]
	v_add_f64 v[11:12], v[11:12], v[23:24]
	v_add_f64 v[13:14], v[13:14], v[25:26]
.LBB192_91:
	s_or_b64 exec, exec, s[18:19]
	v_xor_b32_e32 v12, 0x80000000, v12
	v_xor_b32_e32 v14, 0x80000000, v14
.LBB192_92:
	v_writelane_b32 v43, s48, 1
	v_writelane_b32 v43, s49, 2
	s_or_b64 exec, exec, s[14:15]
	v_mov_b32_e32 v20, 0x4000
	v_cmp_eq_u32_e64 s[12:13], 0, v21
	s_xor_b64 s[14:15], s[8:9], -1
	v_lshl_add_u32 v20, v22, 4, v20
	s_and_b64 s[48:49], s[12:13], s[14:15]
	s_and_saveexec_b64 s[8:9], s[48:49]
	s_cbranch_execz .LBB192_94
; %bb.93:
	v_mov_b32_e32 v23, 0
	ds_read_b128 v[23:26], v23 offset:2112
	s_waitcnt lgkmcnt(0)
	v_mul_f64 v[27:28], v[13:14], v[25:26]
	v_mul_f64 v[25:26], v[11:12], v[25:26]
	v_fma_f64 v[11:12], v[11:12], v[23:24], -v[27:28]
	v_fma_f64 v[13:14], v[13:14], v[23:24], v[25:26]
	ds_write_b128 v20, v[11:14]
.LBB192_94:
	s_or_b64 exec, exec, s[8:9]
	v_cmp_ne_u32_e64 s[8:9], 0, v21
	s_and_b64 s[50:51], s[8:9], s[14:15]
	s_waitcnt lgkmcnt(0)
	s_barrier
	s_and_saveexec_b64 s[8:9], s[50:51]
	s_cbranch_execz .LBB192_96
; %bb.95:
	ds_read_b128 v[23:26], v20
	ds_read_b128 v[27:30], v19 offset:2112
	s_waitcnt lgkmcnt(0)
	v_mul_f64 v[31:32], v[25:26], v[29:30]
	v_mul_f64 v[29:30], v[23:24], v[29:30]
	v_fma_f64 v[23:24], v[23:24], v[27:28], -v[31:32]
	v_fma_f64 v[25:26], v[25:26], v[27:28], v[29:30]
	v_add_f64 v[11:12], v[11:12], v[23:24]
	v_add_f64 v[13:14], v[13:14], v[25:26]
.LBB192_96:
	s_or_b64 exec, exec, s[8:9]
	v_cmp_eq_u32_e64 s[8:9], 1, v21
	s_and_b64 s[52:53], s[8:9], s[14:15]
	s_barrier
	s_and_saveexec_b64 s[8:9], s[52:53]
	s_cbranch_execz .LBB192_98
; %bb.97:
	v_mov_b32_e32 v23, 0
	ds_read_b128 v[23:26], v23 offset:2640
	s_waitcnt lgkmcnt(0)
	v_mul_f64 v[27:28], v[13:14], v[25:26]
	v_mul_f64 v[25:26], v[11:12], v[25:26]
	v_fma_f64 v[11:12], v[11:12], v[23:24], -v[27:28]
	v_fma_f64 v[13:14], v[13:14], v[23:24], v[25:26]
	ds_write_b128 v20, v[11:14]
.LBB192_98:
	s_or_b64 exec, exec, s[8:9]
	v_cmp_lt_u32_e64 s[8:9], 1, v21
	s_and_b64 s[54:55], s[8:9], s[14:15]
	s_waitcnt lgkmcnt(0)
	s_barrier
	s_and_saveexec_b64 s[8:9], s[54:55]
	s_cbranch_execz .LBB192_100
; %bb.99:
	ds_read_b128 v[23:26], v20
	ds_read_b128 v[27:30], v19 offset:2624
	s_waitcnt lgkmcnt(0)
	v_mul_f64 v[31:32], v[25:26], v[29:30]
	v_mul_f64 v[29:30], v[23:24], v[29:30]
	v_fma_f64 v[23:24], v[23:24], v[27:28], -v[31:32]
	v_fma_f64 v[25:26], v[25:26], v[27:28], v[29:30]
	v_add_f64 v[11:12], v[11:12], v[23:24]
	v_add_f64 v[13:14], v[13:14], v[25:26]
.LBB192_100:
	s_or_b64 exec, exec, s[8:9]
	v_cmp_eq_u32_e64 s[8:9], 2, v21
	s_and_b64 s[56:57], s[8:9], s[14:15]
	s_barrier
	s_and_saveexec_b64 s[8:9], s[56:57]
	s_cbranch_execz .LBB192_102
; %bb.101:
	v_mov_b32_e32 v23, 0
	ds_read_b128 v[23:26], v23 offset:3168
	s_waitcnt lgkmcnt(0)
	v_mul_f64 v[27:28], v[13:14], v[25:26]
	v_mul_f64 v[25:26], v[11:12], v[25:26]
	v_fma_f64 v[11:12], v[11:12], v[23:24], -v[27:28]
	v_fma_f64 v[13:14], v[13:14], v[23:24], v[25:26]
	ds_write_b128 v20, v[11:14]
.LBB192_102:
	s_or_b64 exec, exec, s[8:9]
	v_cmp_eq_u32_e64 s[8:9], 3, v21
	s_and_b64 s[46:47], s[8:9], s[14:15]
	s_waitcnt lgkmcnt(0)
	s_barrier
	s_and_saveexec_b64 s[8:9], s[46:47]
	s_cbranch_execz .LBB192_104
; %bb.103:
	v_mov_b32_e32 v27, 0
	ds_read_b128 v[23:26], v20
	ds_read_b128 v[27:30], v27 offset:3184
	s_waitcnt lgkmcnt(0)
	v_mul_f64 v[31:32], v[25:26], v[29:30]
	v_mul_f64 v[29:30], v[23:24], v[29:30]
	v_fma_f64 v[23:24], v[23:24], v[27:28], -v[31:32]
	v_fma_f64 v[25:26], v[25:26], v[27:28], v[29:30]
	v_add_f64 v[11:12], v[11:12], v[23:24]
	v_add_f64 v[13:14], v[13:14], v[25:26]
.LBB192_104:
	s_or_b64 exec, exec, s[8:9]
	s_barrier
	s_and_saveexec_b64 s[8:9], s[46:47]
	s_cbranch_execz .LBB192_106
; %bb.105:
	v_mov_b32_e32 v23, 0
	ds_read_b128 v[23:26], v23 offset:3696
	s_waitcnt lgkmcnt(0)
	v_mul_f64 v[27:28], v[13:14], v[25:26]
	v_mul_f64 v[25:26], v[11:12], v[25:26]
	v_fma_f64 v[11:12], v[11:12], v[23:24], -v[27:28]
	v_fma_f64 v[13:14], v[13:14], v[23:24], v[25:26]
	ds_write_b128 v20, v[11:14]
.LBB192_106:
	s_or_b64 exec, exec, s[8:9]
	s_waitcnt lgkmcnt(0)
	s_barrier
	s_barrier
	s_and_saveexec_b64 s[8:9], s[16:17]
; %bb.107:
	v_xor_b32_e32 v14, 0x80000000, v14
	v_xor_b32_e32 v12, 0x80000000, v12
	ds_write_b128 v18, v[11:14] offset:64
; %bb.108:
	s_or_b64 exec, exec, s[8:9]
	v_cmp_gt_u32_e64 s[8:9], 4, v0
	s_and_b64 s[58:59], s[10:11], s[8:9]
	s_waitcnt lgkmcnt(0)
	s_barrier
	s_barrier
	s_and_saveexec_b64 s[8:9], s[58:59]
	s_cbranch_execz .LBB192_110
; %bb.109:
	v_lshlrev_b32_e32 v23, 4, v0
	s_movk_i32 s0, 0x1f0
	v_mad_u32_u24 v24, v0, s0, v23
	ds_read_b128 v[11:14], v24 offset:64
	s_waitcnt lgkmcnt(0)
	ds_write_b128 v23, v[11:14] offset:2048
	ds_read_b128 v[11:14], v24 offset:80
	s_waitcnt lgkmcnt(0)
	ds_write_b128 v23, v[11:14] offset:2560
	;; [unrolled: 3-line block ×4, first 2 shown]
.LBB192_110:
	s_or_b64 exec, exec, s[8:9]
	s_waitcnt lgkmcnt(0)
	s_barrier
	s_and_saveexec_b64 s[8:9], vcc
	s_cbranch_execz .LBB192_112
; %bb.111:
	v_mov_b32_e32 v33, 0
	ds_read_b128 v[11:14], v33 offset:2640
	ds_read_b128 v[23:26], v33 offset:2112
	;; [unrolled: 1-line block ×3, first 2 shown]
	s_waitcnt lgkmcnt(1)
	v_mul_f64 v[31:32], v[11:12], v[25:26]
	v_mul_f64 v[25:26], v[13:14], v[25:26]
	v_fma_f64 v[13:14], v[13:14], v[23:24], v[31:32]
	v_fma_f64 v[11:12], v[11:12], v[23:24], -v[25:26]
	s_waitcnt lgkmcnt(0)
	v_mul_f64 v[23:24], v[13:14], v[29:30]
	v_mul_f64 v[25:26], v[11:12], v[29:30]
	v_fma_f64 v[11:12], v[27:28], v[11:12], -v[23:24]
	v_fma_f64 v[13:14], v[27:28], v[13:14], v[25:26]
	ds_write_b128 v33, v[11:14] offset:2128
	ds_write_b128 v33, v[11:14] offset:2624
.LBB192_112:
	s_or_b64 exec, exec, s[8:9]
	v_mov_b32_e32 v13, 0
	v_mov_b32_e32 v11, 0
	;; [unrolled: 1-line block ×4, first 2 shown]
	s_waitcnt lgkmcnt(0)
	s_barrier
	s_and_saveexec_b64 s[12:13], s[2:3]
	s_cbranch_execz .LBB192_116
; %bb.113:
	v_mul_u32_u24_e32 v11, 0x210, v17
	ds_read_b128 v[11:14], v11 offset:2112
	ds_read_b128 v[23:26], v15 offset:2144
	v_cmp_gt_u32_e64 s[8:9], 2, v1
	s_waitcnt lgkmcnt(0)
	v_mul_f64 v[27:28], v[13:14], v[25:26]
	v_mul_f64 v[25:26], v[11:12], v[25:26]
	v_fma_f64 v[11:12], v[11:12], v[23:24], -v[27:28]
	v_fma_f64 v[13:14], v[13:14], v[23:24], v[25:26]
	v_add_f64 v[11:12], v[11:12], 0
	v_add_f64 v[13:14], v[13:14], 0
	s_and_saveexec_b64 s[14:15], s[8:9]
	s_cbranch_execz .LBB192_115
; %bb.114:
	v_lshlrev_b32_e32 v27, 4, v0
	v_mov_b32_e32 v23, 0
	ds_read_b128 v[23:26], v23 offset:2128
	ds_read_b128 v[27:30], v27 offset:2656
	s_waitcnt lgkmcnt(0)
	v_mul_f64 v[31:32], v[25:26], v[29:30]
	v_mul_f64 v[29:30], v[23:24], v[29:30]
	v_fma_f64 v[23:24], v[23:24], v[27:28], -v[31:32]
	v_fma_f64 v[25:26], v[25:26], v[27:28], v[29:30]
	v_add_f64 v[11:12], v[11:12], v[23:24]
	v_add_f64 v[13:14], v[13:14], v[25:26]
.LBB192_115:
	s_or_b64 exec, exec, s[14:15]
	v_xor_b32_e32 v12, 0x80000000, v12
	v_xor_b32_e32 v14, 0x80000000, v14
.LBB192_116:
	s_or_b64 exec, exec, s[12:13]
	s_and_saveexec_b64 s[8:9], s[42:43]
	s_cbranch_execz .LBB192_118
; %bb.117:
	v_mov_b32_e32 v23, 0
	ds_read_b128 v[23:26], v23 offset:3168
	s_waitcnt lgkmcnt(0)
	v_mul_f64 v[27:28], v[13:14], v[25:26]
	v_mul_f64 v[25:26], v[11:12], v[25:26]
	v_fma_f64 v[11:12], v[11:12], v[23:24], -v[27:28]
	v_fma_f64 v[13:14], v[13:14], v[23:24], v[25:26]
	ds_write_b128 v16, v[11:14]
.LBB192_118:
	s_or_b64 exec, exec, s[8:9]
	s_waitcnt lgkmcnt(0)
	s_barrier
	s_and_saveexec_b64 s[8:9], s[40:41]
	s_cbranch_execz .LBB192_120
; %bb.119:
	v_mov_b32_e32 v27, 0
	ds_read_b128 v[23:26], v16
	ds_read_b128 v[27:30], v27 offset:3184
	s_waitcnt lgkmcnt(0)
	v_mul_f64 v[31:32], v[25:26], v[29:30]
	v_mul_f64 v[29:30], v[23:24], v[29:30]
	v_fma_f64 v[23:24], v[23:24], v[27:28], -v[31:32]
	v_fma_f64 v[25:26], v[25:26], v[27:28], v[29:30]
	v_add_f64 v[11:12], v[11:12], v[23:24]
	v_add_f64 v[13:14], v[13:14], v[25:26]
.LBB192_120:
	s_or_b64 exec, exec, s[8:9]
	s_barrier
	s_and_saveexec_b64 s[8:9], s[40:41]
	s_cbranch_execz .LBB192_122
; %bb.121:
	v_mov_b32_e32 v23, 0
	ds_read_b128 v[23:26], v23 offset:3696
	s_waitcnt lgkmcnt(0)
	v_mul_f64 v[27:28], v[13:14], v[25:26]
	v_mul_f64 v[25:26], v[11:12], v[25:26]
	v_fma_f64 v[11:12], v[11:12], v[23:24], -v[27:28]
	v_fma_f64 v[13:14], v[13:14], v[23:24], v[25:26]
	ds_write_b128 v16, v[11:14]
.LBB192_122:
	s_or_b64 exec, exec, s[8:9]
	s_waitcnt lgkmcnt(0)
	s_barrier
	s_barrier
	s_and_saveexec_b64 s[8:9], s[2:3]
; %bb.123:
	v_xor_b32_e32 v12, 0x80000000, v12
	v_xor_b32_e32 v14, 0x80000000, v14
	ds_write_b128 v15, v[11:14] offset:2144
; %bb.124:
	s_or_b64 exec, exec, s[8:9]
	s_waitcnt lgkmcnt(0)
	s_barrier
	s_barrier
	s_and_saveexec_b64 s[8:9], s[44:45]
	s_cbranch_execz .LBB192_126
; %bb.125:
	v_lshlrev_b32_e32 v23, 9, v0
	ds_read_b128 v[11:14], v23 offset:2144
	s_movk_i32 s0, 0xfe10
	v_mad_i32_i24 v24, v0, s0, v23
	s_waitcnt lgkmcnt(0)
	ds_write_b128 v24, v[11:14] offset:3136
	ds_read_b128 v[11:14], v23 offset:2160
	s_waitcnt lgkmcnt(0)
	ds_write_b128 v24, v[11:14] offset:3648
.LBB192_126:
	s_or_b64 exec, exec, s[8:9]
	s_waitcnt lgkmcnt(0)
	s_barrier
	s_and_saveexec_b64 s[8:9], vcc
	s_cbranch_execz .LBB192_128
; %bb.127:
	v_mov_b32_e32 v33, 0
	ds_read_b128 v[11:14], v33 offset:3696
	ds_read_b128 v[23:26], v33 offset:3168
	;; [unrolled: 1-line block ×3, first 2 shown]
	s_waitcnt lgkmcnt(1)
	v_mul_f64 v[31:32], v[11:12], v[25:26]
	v_mul_f64 v[25:26], v[13:14], v[25:26]
	v_fma_f64 v[13:14], v[13:14], v[23:24], v[31:32]
	v_fma_f64 v[11:12], v[11:12], v[23:24], -v[25:26]
	s_waitcnt lgkmcnt(0)
	v_mul_f64 v[23:24], v[13:14], v[29:30]
	v_mul_f64 v[25:26], v[11:12], v[29:30]
	v_fma_f64 v[11:12], v[27:28], v[11:12], -v[23:24]
	v_fma_f64 v[13:14], v[27:28], v[13:14], v[25:26]
	ds_write_b128 v33, v[11:14] offset:3184
	ds_write_b128 v33, v[11:14] offset:3680
.LBB192_128:
	s_or_b64 exec, exec, s[8:9]
	v_and_b32_e32 v26, 7, v0
	v_lshrrev_b32_e32 v27, 3, v1
	v_lshlrev_b32_e32 v24, 4, v26
	v_mov_b32_e32 v13, 0
	v_mov_b32_e32 v11, 0
	v_cmp_lt_u32_e64 s[12:13], 63, v1
	v_cmp_gt_u32_e64 s[8:9], 64, v1
	v_mov_b32_e32 v14, 0
	v_mov_b32_e32 v12, 0
	v_lshl_or_b32 v23, v27, 9, v24
	s_waitcnt lgkmcnt(0)
	s_barrier
	s_and_saveexec_b64 s[18:19], s[8:9]
	s_cbranch_execz .LBB192_138
; %bb.129:
	v_mul_u32_u24_e32 v25, 0x210, v27
	ds_read_b128 v[11:14], v25
	ds_read_b128 v[28:31], v23 offset:128
	v_cmp_gt_u32_e64 s[14:15], 56, v1
	s_waitcnt lgkmcnt(0)
	v_mul_f64 v[32:33], v[13:14], v[30:31]
	v_mul_f64 v[30:31], v[11:12], v[30:31]
	v_fma_f64 v[11:12], v[11:12], v[28:29], -v[32:33]
	v_fma_f64 v[13:14], v[13:14], v[28:29], v[30:31]
	v_add_f64 v[11:12], v[11:12], 0
	v_add_f64 v[13:14], v[13:14], 0
	s_and_saveexec_b64 s[60:61], s[14:15]
	s_cbranch_execnz .LBB192_552
; %bb.130:
	s_or_b64 exec, exec, s[60:61]
	v_cmp_gt_u32_e64 s[14:15], 48, v1
	s_and_saveexec_b64 s[60:61], s[14:15]
	s_cbranch_execnz .LBB192_553
.LBB192_131:
	s_or_b64 exec, exec, s[60:61]
	v_cmp_gt_u32_e64 s[14:15], 40, v1
	s_and_saveexec_b64 s[60:61], s[14:15]
	s_cbranch_execnz .LBB192_554
.LBB192_132:
	s_or_b64 exec, exec, s[60:61]
	v_cmp_gt_u32_e64 s[14:15], 32, v1
	s_and_saveexec_b64 s[60:61], s[14:15]
	s_cbranch_execnz .LBB192_555
.LBB192_133:
	s_or_b64 exec, exec, s[60:61]
	v_cmp_gt_u32_e64 s[14:15], 24, v1
	s_and_saveexec_b64 s[60:61], s[14:15]
	s_cbranch_execnz .LBB192_556
.LBB192_134:
	s_or_b64 exec, exec, s[60:61]
	v_cmp_gt_u32_e64 s[14:15], 16, v1
	s_and_saveexec_b64 s[60:61], s[14:15]
	s_cbranch_execnz .LBB192_557
.LBB192_135:
	s_or_b64 exec, exec, s[60:61]
	v_cmp_gt_u32_e64 s[14:15], 8, v1
	s_and_saveexec_b64 s[60:61], s[14:15]
	s_cbranch_execz .LBB192_137
.LBB192_136:
	v_mov_b32_e32 v28, 0
	v_lshlrev_b32_e32 v25, 4, v0
	ds_read_b128 v[28:31], v28 offset:112
	ds_read_b128 v[32:35], v25 offset:3712
	s_waitcnt lgkmcnt(0)
	v_mul_f64 v[36:37], v[30:31], v[34:35]
	v_mul_f64 v[34:35], v[28:29], v[34:35]
	v_fma_f64 v[28:29], v[28:29], v[32:33], -v[36:37]
	v_fma_f64 v[30:31], v[30:31], v[32:33], v[34:35]
	v_add_f64 v[11:12], v[11:12], v[28:29]
	v_add_f64 v[13:14], v[13:14], v[30:31]
.LBB192_137:
	s_or_b64 exec, exec, s[60:61]
	v_xor_b32_e32 v12, 0x80000000, v12
	v_xor_b32_e32 v14, 0x80000000, v14
.LBB192_138:
	s_or_b64 exec, exec, s[18:19]
	v_mov_b32_e32 v25, 0x4000
	v_cmp_eq_u32_e64 s[14:15], 0, v26
	s_xor_b64 s[18:19], s[12:13], -1
	v_lshl_add_u32 v25, v27, 4, v25
	s_and_b64 s[0:1], s[14:15], s[18:19]
	s_and_saveexec_b64 s[12:13], s[0:1]
	s_cbranch_execz .LBB192_140
; %bb.139:
	v_mov_b32_e32 v28, 0
	ds_read_b128 v[28:31], v28 offset:4224
	s_waitcnt lgkmcnt(0)
	v_mul_f64 v[32:33], v[13:14], v[30:31]
	v_mul_f64 v[30:31], v[11:12], v[30:31]
	v_fma_f64 v[11:12], v[11:12], v[28:29], -v[32:33]
	v_fma_f64 v[13:14], v[13:14], v[28:29], v[30:31]
	ds_write_b128 v25, v[11:14]
.LBB192_140:
	s_or_b64 exec, exec, s[12:13]
	v_cmp_ne_u32_e64 s[12:13], 0, v26
	s_and_b64 s[64:65], s[12:13], s[18:19]
	s_waitcnt lgkmcnt(0)
	s_barrier
	s_and_saveexec_b64 s[12:13], s[64:65]
	s_cbranch_execz .LBB192_142
; %bb.141:
	ds_read_b128 v[28:31], v25
	ds_read_b128 v[32:35], v24 offset:4224
	s_waitcnt lgkmcnt(0)
	v_mul_f64 v[36:37], v[30:31], v[34:35]
	v_mul_f64 v[34:35], v[28:29], v[34:35]
	v_fma_f64 v[28:29], v[28:29], v[32:33], -v[36:37]
	v_fma_f64 v[30:31], v[30:31], v[32:33], v[34:35]
	v_add_f64 v[11:12], v[11:12], v[28:29]
	v_add_f64 v[13:14], v[13:14], v[30:31]
.LBB192_142:
	s_or_b64 exec, exec, s[12:13]
	v_cmp_eq_u32_e64 s[12:13], 1, v26
	s_and_b64 s[66:67], s[12:13], s[18:19]
	s_barrier
	s_and_saveexec_b64 s[12:13], s[66:67]
	s_cbranch_execz .LBB192_144
; %bb.143:
	v_mov_b32_e32 v28, 0
	ds_read_b128 v[28:31], v28 offset:4752
	s_waitcnt lgkmcnt(0)
	v_mul_f64 v[32:33], v[13:14], v[30:31]
	v_mul_f64 v[30:31], v[11:12], v[30:31]
	v_fma_f64 v[11:12], v[11:12], v[28:29], -v[32:33]
	v_fma_f64 v[13:14], v[13:14], v[28:29], v[30:31]
	ds_write_b128 v25, v[11:14]
.LBB192_144:
	s_or_b64 exec, exec, s[12:13]
	v_cmp_lt_u32_e64 s[12:13], 1, v26
	s_and_b64 s[68:69], s[12:13], s[18:19]
	s_waitcnt lgkmcnt(0)
	s_barrier
	s_and_saveexec_b64 s[12:13], s[68:69]
	s_cbranch_execz .LBB192_146
; %bb.145:
	ds_read_b128 v[28:31], v25
	ds_read_b128 v[32:35], v24 offset:4736
	s_waitcnt lgkmcnt(0)
	v_mul_f64 v[36:37], v[30:31], v[34:35]
	v_mul_f64 v[34:35], v[28:29], v[34:35]
	v_fma_f64 v[28:29], v[28:29], v[32:33], -v[36:37]
	v_fma_f64 v[30:31], v[30:31], v[32:33], v[34:35]
	v_add_f64 v[11:12], v[11:12], v[28:29]
	v_add_f64 v[13:14], v[13:14], v[30:31]
.LBB192_146:
	s_or_b64 exec, exec, s[12:13]
	v_cmp_eq_u32_e64 s[12:13], 2, v26
	s_and_b64 s[70:71], s[12:13], s[18:19]
	s_barrier
	s_and_saveexec_b64 s[12:13], s[70:71]
	s_cbranch_execz .LBB192_148
; %bb.147:
	v_mov_b32_e32 v28, 0
	ds_read_b128 v[28:31], v28 offset:5280
	s_waitcnt lgkmcnt(0)
	v_mul_f64 v[32:33], v[13:14], v[30:31]
	v_mul_f64 v[30:31], v[11:12], v[30:31]
	v_fma_f64 v[11:12], v[11:12], v[28:29], -v[32:33]
	v_fma_f64 v[13:14], v[13:14], v[28:29], v[30:31]
	ds_write_b128 v25, v[11:14]
.LBB192_148:
	s_or_b64 exec, exec, s[12:13]
	v_cmp_lt_u32_e64 s[12:13], 2, v26
	;; [unrolled: 34-line block ×5, first 2 shown]
	s_and_b64 s[84:85], s[12:13], s[18:19]
	s_waitcnt lgkmcnt(0)
	s_barrier
	s_and_saveexec_b64 s[12:13], s[84:85]
	s_cbranch_execz .LBB192_162
; %bb.161:
	ds_read_b128 v[28:31], v25
	ds_read_b128 v[32:35], v24 offset:6784
	s_waitcnt lgkmcnt(0)
	v_mul_f64 v[36:37], v[30:31], v[34:35]
	v_mul_f64 v[34:35], v[28:29], v[34:35]
	v_fma_f64 v[28:29], v[28:29], v[32:33], -v[36:37]
	v_fma_f64 v[30:31], v[30:31], v[32:33], v[34:35]
	v_add_f64 v[11:12], v[11:12], v[28:29]
	v_add_f64 v[13:14], v[13:14], v[30:31]
.LBB192_162:
	s_or_b64 exec, exec, s[12:13]
	v_cmp_eq_u32_e64 s[12:13], 6, v26
	s_and_b64 s[86:87], s[12:13], s[18:19]
	s_barrier
	s_and_saveexec_b64 s[12:13], s[86:87]
	s_cbranch_execz .LBB192_164
; %bb.163:
	v_mov_b32_e32 v28, 0
	ds_read_b128 v[28:31], v28 offset:7392
	s_waitcnt lgkmcnt(0)
	v_mul_f64 v[32:33], v[13:14], v[30:31]
	v_mul_f64 v[30:31], v[11:12], v[30:31]
	v_fma_f64 v[11:12], v[11:12], v[28:29], -v[32:33]
	v_fma_f64 v[13:14], v[13:14], v[28:29], v[30:31]
	ds_write_b128 v25, v[11:14]
.LBB192_164:
	s_or_b64 exec, exec, s[12:13]
	v_cmp_eq_u32_e64 s[12:13], 7, v26
	s_and_b64 s[60:61], s[12:13], s[18:19]
	s_waitcnt lgkmcnt(0)
	s_barrier
	s_and_saveexec_b64 s[12:13], s[60:61]
	s_cbranch_execz .LBB192_166
; %bb.165:
	v_mov_b32_e32 v32, 0
	ds_read_b128 v[28:31], v25
	ds_read_b128 v[32:35], v32 offset:7408
	s_waitcnt lgkmcnt(0)
	v_mul_f64 v[36:37], v[30:31], v[34:35]
	v_mul_f64 v[34:35], v[28:29], v[34:35]
	v_fma_f64 v[28:29], v[28:29], v[32:33], -v[36:37]
	v_fma_f64 v[30:31], v[30:31], v[32:33], v[34:35]
	v_add_f64 v[11:12], v[11:12], v[28:29]
	v_add_f64 v[13:14], v[13:14], v[30:31]
.LBB192_166:
	s_or_b64 exec, exec, s[12:13]
	s_barrier
	s_and_saveexec_b64 s[12:13], s[60:61]
	s_cbranch_execz .LBB192_168
; %bb.167:
	v_mov_b32_e32 v28, 0
	ds_read_b128 v[28:31], v28 offset:7920
	s_waitcnt lgkmcnt(0)
	v_mul_f64 v[32:33], v[13:14], v[30:31]
	v_mul_f64 v[30:31], v[11:12], v[30:31]
	v_fma_f64 v[11:12], v[11:12], v[28:29], -v[32:33]
	v_fma_f64 v[13:14], v[13:14], v[28:29], v[30:31]
	ds_write_b128 v25, v[11:14]
.LBB192_168:
	s_or_b64 exec, exec, s[12:13]
	s_waitcnt lgkmcnt(0)
	s_barrier
	s_barrier
	s_and_saveexec_b64 s[12:13], s[8:9]
; %bb.169:
	v_xor_b32_e32 v12, 0x80000000, v12
	v_xor_b32_e32 v14, 0x80000000, v14
	ds_write_b128 v23, v[11:14] offset:128
; %bb.170:
	s_or_b64 exec, exec, s[12:13]
	v_cmp_gt_u32_e64 s[12:13], 8, v0
	s_and_b64 s[88:89], s[10:11], s[12:13]
	s_waitcnt lgkmcnt(0)
	s_barrier
	s_barrier
	s_and_saveexec_b64 s[12:13], s[88:89]
	s_cbranch_execz .LBB192_172
; %bb.171:
	v_lshlrev_b32_e32 v28, 9, v0
	ds_read_b128 v[11:14], v28 offset:128
	s_movk_i32 s14, 0xfe10
	v_mad_i32_i24 v29, v0, s14, v28
	s_waitcnt lgkmcnt(0)
	ds_write_b128 v29, v[11:14] offset:4096
	ds_read_b128 v[11:14], v28 offset:144
	s_waitcnt lgkmcnt(0)
	ds_write_b128 v29, v[11:14] offset:4608
	ds_read_b128 v[11:14], v28 offset:160
	;; [unrolled: 3-line block ×7, first 2 shown]
	s_waitcnt lgkmcnt(0)
	ds_write_b128 v29, v[11:14] offset:7680
.LBB192_172:
	s_or_b64 exec, exec, s[12:13]
	s_waitcnt lgkmcnt(0)
	s_barrier
	s_and_saveexec_b64 s[12:13], vcc
	s_cbranch_execz .LBB192_174
; %bb.173:
	v_mov_b32_e32 v38, 0
	ds_read_b128 v[11:14], v38 offset:4752
	ds_read_b128 v[28:31], v38 offset:4224
	;; [unrolled: 1-line block ×3, first 2 shown]
	s_waitcnt lgkmcnt(1)
	v_mul_f64 v[36:37], v[11:12], v[30:31]
	v_mul_f64 v[30:31], v[13:14], v[30:31]
	v_fma_f64 v[13:14], v[13:14], v[28:29], v[36:37]
	v_fma_f64 v[11:12], v[11:12], v[28:29], -v[30:31]
	s_waitcnt lgkmcnt(0)
	v_mul_f64 v[28:29], v[13:14], v[34:35]
	v_mul_f64 v[30:31], v[11:12], v[34:35]
	v_fma_f64 v[11:12], v[32:33], v[11:12], -v[28:29]
	v_fma_f64 v[13:14], v[32:33], v[13:14], v[30:31]
	ds_write_b128 v38, v[11:14] offset:4240
	ds_write_b128 v38, v[11:14] offset:4736
.LBB192_174:
	s_or_b64 exec, exec, s[12:13]
	v_mov_b32_e32 v13, 0
	v_mov_b32_e32 v11, 0
	;; [unrolled: 1-line block ×4, first 2 shown]
	s_waitcnt lgkmcnt(0)
	s_barrier
	s_and_saveexec_b64 s[14:15], s[2:3]
	s_cbranch_execz .LBB192_178
; %bb.175:
	v_mul_u32_u24_e32 v11, 0x210, v17
	ds_read_b128 v[11:14], v11 offset:4224
	ds_read_b128 v[28:31], v15 offset:4256
	v_cmp_gt_u32_e64 s[12:13], 2, v1
	s_waitcnt lgkmcnt(0)
	v_mul_f64 v[32:33], v[13:14], v[30:31]
	v_mul_f64 v[30:31], v[11:12], v[30:31]
	v_fma_f64 v[11:12], v[11:12], v[28:29], -v[32:33]
	v_fma_f64 v[13:14], v[13:14], v[28:29], v[30:31]
	v_add_f64 v[11:12], v[11:12], 0
	v_add_f64 v[13:14], v[13:14], 0
	s_and_saveexec_b64 s[18:19], s[12:13]
	s_cbranch_execz .LBB192_177
; %bb.176:
	v_lshlrev_b32_e32 v32, 4, v0
	v_mov_b32_e32 v28, 0
	ds_read_b128 v[28:31], v28 offset:4240
	ds_read_b128 v[32:35], v32 offset:4768
	s_waitcnt lgkmcnt(0)
	v_mul_f64 v[36:37], v[30:31], v[34:35]
	v_mul_f64 v[34:35], v[28:29], v[34:35]
	v_fma_f64 v[28:29], v[28:29], v[32:33], -v[36:37]
	v_fma_f64 v[30:31], v[30:31], v[32:33], v[34:35]
	v_add_f64 v[11:12], v[11:12], v[28:29]
	v_add_f64 v[13:14], v[13:14], v[30:31]
.LBB192_177:
	s_or_b64 exec, exec, s[18:19]
	v_xor_b32_e32 v12, 0x80000000, v12
	v_xor_b32_e32 v14, 0x80000000, v14
.LBB192_178:
	s_or_b64 exec, exec, s[14:15]
	s_and_saveexec_b64 s[12:13], s[42:43]
	s_cbranch_execz .LBB192_180
; %bb.179:
	v_mov_b32_e32 v28, 0
	ds_read_b128 v[28:31], v28 offset:5280
	s_waitcnt lgkmcnt(0)
	v_mul_f64 v[32:33], v[13:14], v[30:31]
	v_mul_f64 v[30:31], v[11:12], v[30:31]
	v_fma_f64 v[11:12], v[11:12], v[28:29], -v[32:33]
	v_fma_f64 v[13:14], v[13:14], v[28:29], v[30:31]
	ds_write_b128 v16, v[11:14]
.LBB192_180:
	s_or_b64 exec, exec, s[12:13]
	s_waitcnt lgkmcnt(0)
	s_barrier
	s_and_saveexec_b64 s[12:13], s[40:41]
	s_cbranch_execz .LBB192_182
; %bb.181:
	v_mov_b32_e32 v32, 0
	ds_read_b128 v[28:31], v16
	ds_read_b128 v[32:35], v32 offset:5296
	s_waitcnt lgkmcnt(0)
	v_mul_f64 v[36:37], v[30:31], v[34:35]
	v_mul_f64 v[34:35], v[28:29], v[34:35]
	v_fma_f64 v[28:29], v[28:29], v[32:33], -v[36:37]
	v_fma_f64 v[30:31], v[30:31], v[32:33], v[34:35]
	v_add_f64 v[11:12], v[11:12], v[28:29]
	v_add_f64 v[13:14], v[13:14], v[30:31]
.LBB192_182:
	s_or_b64 exec, exec, s[12:13]
	s_barrier
	s_and_saveexec_b64 s[12:13], s[40:41]
	s_cbranch_execz .LBB192_184
; %bb.183:
	v_mov_b32_e32 v28, 0
	ds_read_b128 v[28:31], v28 offset:5808
	s_waitcnt lgkmcnt(0)
	v_mul_f64 v[32:33], v[13:14], v[30:31]
	v_mul_f64 v[30:31], v[11:12], v[30:31]
	v_fma_f64 v[11:12], v[11:12], v[28:29], -v[32:33]
	v_fma_f64 v[13:14], v[13:14], v[28:29], v[30:31]
	ds_write_b128 v16, v[11:14]
.LBB192_184:
	s_or_b64 exec, exec, s[12:13]
	s_waitcnt lgkmcnt(0)
	s_barrier
	s_barrier
	s_and_saveexec_b64 s[12:13], s[2:3]
; %bb.185:
	v_xor_b32_e32 v12, 0x80000000, v12
	v_xor_b32_e32 v14, 0x80000000, v14
	ds_write_b128 v15, v[11:14] offset:4256
; %bb.186:
	s_or_b64 exec, exec, s[12:13]
	s_waitcnt lgkmcnt(0)
	s_barrier
	s_barrier
	s_and_saveexec_b64 s[12:13], s[44:45]
	s_cbranch_execz .LBB192_188
; %bb.187:
	v_lshlrev_b32_e32 v28, 9, v0
	ds_read_b128 v[11:14], v28 offset:4256
	s_movk_i32 s14, 0xfe10
	v_mad_i32_i24 v29, v0, s14, v28
	s_waitcnt lgkmcnt(0)
	ds_write_b128 v29, v[11:14] offset:5248
	ds_read_b128 v[11:14], v28 offset:4272
	s_waitcnt lgkmcnt(0)
	ds_write_b128 v29, v[11:14] offset:5760
.LBB192_188:
	s_or_b64 exec, exec, s[12:13]
	s_waitcnt lgkmcnt(0)
	s_barrier
	s_and_saveexec_b64 s[12:13], vcc
	s_cbranch_execz .LBB192_190
; %bb.189:
	v_mov_b32_e32 v38, 0
	ds_read_b128 v[11:14], v38 offset:5808
	ds_read_b128 v[28:31], v38 offset:5280
	;; [unrolled: 1-line block ×3, first 2 shown]
	s_waitcnt lgkmcnt(1)
	v_mul_f64 v[36:37], v[11:12], v[30:31]
	v_mul_f64 v[30:31], v[13:14], v[30:31]
	v_fma_f64 v[13:14], v[13:14], v[28:29], v[36:37]
	v_fma_f64 v[11:12], v[11:12], v[28:29], -v[30:31]
	s_waitcnt lgkmcnt(0)
	v_mul_f64 v[28:29], v[13:14], v[34:35]
	v_mul_f64 v[30:31], v[11:12], v[34:35]
	v_fma_f64 v[11:12], v[32:33], v[11:12], -v[28:29]
	v_fma_f64 v[13:14], v[32:33], v[13:14], v[30:31]
	ds_write_b128 v38, v[11:14] offset:5296
	ds_write_b128 v38, v[11:14] offset:5792
.LBB192_190:
	s_or_b64 exec, exec, s[12:13]
	v_mov_b32_e32 v13, 0
	v_mov_b32_e32 v11, 0
	;; [unrolled: 1-line block ×4, first 2 shown]
	s_waitcnt lgkmcnt(0)
	s_barrier
	s_and_saveexec_b64 s[14:15], s[16:17]
	s_cbranch_execz .LBB192_196
; %bb.191:
	v_mul_u32_u24_e32 v28, 0x210, v22
	ds_read_b128 v[11:14], v28 offset:4224
	ds_read_b128 v[29:32], v18 offset:4288
	v_cmp_gt_u32_e64 s[12:13], 12, v1
	s_waitcnt lgkmcnt(0)
	v_mul_f64 v[33:34], v[13:14], v[31:32]
	v_mul_f64 v[31:32], v[11:12], v[31:32]
	v_fma_f64 v[11:12], v[11:12], v[29:30], -v[33:34]
	v_fma_f64 v[13:14], v[13:14], v[29:30], v[31:32]
	v_add_f64 v[11:12], v[11:12], 0
	v_add_f64 v[13:14], v[13:14], 0
	s_and_saveexec_b64 s[18:19], s[12:13]
	s_cbranch_execnz .LBB192_558
; %bb.192:
	s_or_b64 exec, exec, s[18:19]
	v_cmp_gt_u32_e64 s[12:13], 8, v1
	s_and_saveexec_b64 s[18:19], s[12:13]
	s_cbranch_execnz .LBB192_559
.LBB192_193:
	s_or_b64 exec, exec, s[18:19]
	v_cmp_gt_u32_e64 s[12:13], 4, v1
	s_and_saveexec_b64 s[18:19], s[12:13]
	s_cbranch_execz .LBB192_195
.LBB192_194:
	v_lshlrev_b32_e32 v32, 4, v0
	v_mov_b32_e32 v28, 0
	ds_read_b128 v[28:31], v28 offset:4272
	ds_read_b128 v[32:35], v32 offset:5824
	s_waitcnt lgkmcnt(0)
	v_mul_f64 v[36:37], v[30:31], v[34:35]
	v_mul_f64 v[34:35], v[28:29], v[34:35]
	v_fma_f64 v[28:29], v[28:29], v[32:33], -v[36:37]
	v_fma_f64 v[30:31], v[30:31], v[32:33], v[34:35]
	v_add_f64 v[11:12], v[11:12], v[28:29]
	v_add_f64 v[13:14], v[13:14], v[30:31]
.LBB192_195:
	s_or_b64 exec, exec, s[18:19]
	v_xor_b32_e32 v12, 0x80000000, v12
	v_xor_b32_e32 v14, 0x80000000, v14
.LBB192_196:
	s_or_b64 exec, exec, s[14:15]
	s_and_saveexec_b64 s[12:13], s[48:49]
	s_cbranch_execz .LBB192_198
; %bb.197:
	v_mov_b32_e32 v28, 0
	ds_read_b128 v[28:31], v28 offset:6336
	s_waitcnt lgkmcnt(0)
	v_mul_f64 v[32:33], v[13:14], v[30:31]
	v_mul_f64 v[30:31], v[11:12], v[30:31]
	v_fma_f64 v[11:12], v[11:12], v[28:29], -v[32:33]
	v_fma_f64 v[13:14], v[13:14], v[28:29], v[30:31]
	ds_write_b128 v20, v[11:14]
.LBB192_198:
	s_or_b64 exec, exec, s[12:13]
	s_waitcnt lgkmcnt(0)
	s_barrier
	s_and_saveexec_b64 s[12:13], s[50:51]
	s_cbranch_execz .LBB192_200
; %bb.199:
	ds_read_b128 v[28:31], v20
	ds_read_b128 v[32:35], v19 offset:6336
	s_waitcnt lgkmcnt(0)
	v_mul_f64 v[36:37], v[30:31], v[34:35]
	v_mul_f64 v[34:35], v[28:29], v[34:35]
	v_fma_f64 v[28:29], v[28:29], v[32:33], -v[36:37]
	v_fma_f64 v[30:31], v[30:31], v[32:33], v[34:35]
	v_add_f64 v[11:12], v[11:12], v[28:29]
	v_add_f64 v[13:14], v[13:14], v[30:31]
.LBB192_200:
	s_or_b64 exec, exec, s[12:13]
	s_barrier
	s_and_saveexec_b64 s[12:13], s[52:53]
	s_cbranch_execz .LBB192_202
; %bb.201:
	v_mov_b32_e32 v28, 0
	ds_read_b128 v[28:31], v28 offset:6864
	s_waitcnt lgkmcnt(0)
	v_mul_f64 v[32:33], v[13:14], v[30:31]
	v_mul_f64 v[30:31], v[11:12], v[30:31]
	v_fma_f64 v[11:12], v[11:12], v[28:29], -v[32:33]
	v_fma_f64 v[13:14], v[13:14], v[28:29], v[30:31]
	ds_write_b128 v20, v[11:14]
.LBB192_202:
	s_or_b64 exec, exec, s[12:13]
	s_waitcnt lgkmcnt(0)
	s_barrier
	s_and_saveexec_b64 s[12:13], s[54:55]
	s_cbranch_execz .LBB192_204
; %bb.203:
	ds_read_b128 v[28:31], v20
	ds_read_b128 v[32:35], v19 offset:6848
	s_waitcnt lgkmcnt(0)
	v_mul_f64 v[36:37], v[30:31], v[34:35]
	v_mul_f64 v[34:35], v[28:29], v[34:35]
	v_fma_f64 v[28:29], v[28:29], v[32:33], -v[36:37]
	v_fma_f64 v[30:31], v[30:31], v[32:33], v[34:35]
	v_add_f64 v[11:12], v[11:12], v[28:29]
	v_add_f64 v[13:14], v[13:14], v[30:31]
.LBB192_204:
	s_or_b64 exec, exec, s[12:13]
	s_barrier
	s_and_saveexec_b64 s[12:13], s[56:57]
	s_cbranch_execz .LBB192_206
; %bb.205:
	v_mov_b32_e32 v28, 0
	ds_read_b128 v[28:31], v28 offset:7392
	s_waitcnt lgkmcnt(0)
	v_mul_f64 v[32:33], v[13:14], v[30:31]
	v_mul_f64 v[30:31], v[11:12], v[30:31]
	v_fma_f64 v[11:12], v[11:12], v[28:29], -v[32:33]
	v_fma_f64 v[13:14], v[13:14], v[28:29], v[30:31]
	ds_write_b128 v20, v[11:14]
.LBB192_206:
	s_or_b64 exec, exec, s[12:13]
	s_waitcnt lgkmcnt(0)
	s_barrier
	s_and_saveexec_b64 s[12:13], s[46:47]
	s_cbranch_execz .LBB192_208
; %bb.207:
	v_mov_b32_e32 v32, 0
	ds_read_b128 v[28:31], v20
	ds_read_b128 v[32:35], v32 offset:7408
	s_waitcnt lgkmcnt(0)
	v_mul_f64 v[36:37], v[30:31], v[34:35]
	v_mul_f64 v[34:35], v[28:29], v[34:35]
	v_fma_f64 v[28:29], v[28:29], v[32:33], -v[36:37]
	v_fma_f64 v[30:31], v[30:31], v[32:33], v[34:35]
	v_add_f64 v[11:12], v[11:12], v[28:29]
	v_add_f64 v[13:14], v[13:14], v[30:31]
.LBB192_208:
	s_or_b64 exec, exec, s[12:13]
	s_barrier
	s_and_saveexec_b64 s[12:13], s[46:47]
	s_cbranch_execz .LBB192_210
; %bb.209:
	v_mov_b32_e32 v28, 0
	ds_read_b128 v[28:31], v28 offset:7920
	s_waitcnt lgkmcnt(0)
	v_mul_f64 v[32:33], v[13:14], v[30:31]
	v_mul_f64 v[30:31], v[11:12], v[30:31]
	v_fma_f64 v[11:12], v[11:12], v[28:29], -v[32:33]
	v_fma_f64 v[13:14], v[13:14], v[28:29], v[30:31]
	ds_write_b128 v20, v[11:14]
.LBB192_210:
	s_or_b64 exec, exec, s[12:13]
	s_waitcnt lgkmcnt(0)
	s_barrier
	s_barrier
	s_and_saveexec_b64 s[12:13], s[16:17]
; %bb.211:
	v_xor_b32_e32 v14, 0x80000000, v14
	v_xor_b32_e32 v12, 0x80000000, v12
	ds_write_b128 v18, v[11:14] offset:4288
; %bb.212:
	s_or_b64 exec, exec, s[12:13]
	s_waitcnt lgkmcnt(0)
	s_barrier
	s_barrier
	s_and_saveexec_b64 s[12:13], s[58:59]
	s_cbranch_execz .LBB192_214
; %bb.213:
	v_lshlrev_b32_e32 v28, 4, v0
	s_movk_i32 s14, 0x1f0
	v_mad_u32_u24 v29, v0, s14, v28
	ds_read_b128 v[11:14], v29 offset:4288
	s_waitcnt lgkmcnt(0)
	ds_write_b128 v28, v[11:14] offset:6272
	ds_read_b128 v[11:14], v29 offset:4304
	s_waitcnt lgkmcnt(0)
	ds_write_b128 v28, v[11:14] offset:6784
	;; [unrolled: 3-line block ×4, first 2 shown]
.LBB192_214:
	s_or_b64 exec, exec, s[12:13]
	s_waitcnt lgkmcnt(0)
	s_barrier
	s_and_saveexec_b64 s[12:13], vcc
	s_cbranch_execz .LBB192_216
; %bb.215:
	v_mov_b32_e32 v38, 0
	ds_read_b128 v[11:14], v38 offset:6864
	ds_read_b128 v[28:31], v38 offset:6336
	;; [unrolled: 1-line block ×3, first 2 shown]
	s_waitcnt lgkmcnt(1)
	v_mul_f64 v[36:37], v[11:12], v[30:31]
	v_mul_f64 v[30:31], v[13:14], v[30:31]
	v_fma_f64 v[13:14], v[13:14], v[28:29], v[36:37]
	v_fma_f64 v[11:12], v[11:12], v[28:29], -v[30:31]
	s_waitcnt lgkmcnt(0)
	v_mul_f64 v[28:29], v[13:14], v[34:35]
	v_mul_f64 v[30:31], v[11:12], v[34:35]
	v_fma_f64 v[11:12], v[32:33], v[11:12], -v[28:29]
	v_fma_f64 v[13:14], v[32:33], v[13:14], v[30:31]
	ds_write_b128 v38, v[11:14] offset:6352
	ds_write_b128 v38, v[11:14] offset:6848
.LBB192_216:
	s_or_b64 exec, exec, s[12:13]
	v_mov_b32_e32 v13, 0
	v_mov_b32_e32 v11, 0
	;; [unrolled: 1-line block ×4, first 2 shown]
	s_waitcnt lgkmcnt(0)
	s_barrier
	s_and_saveexec_b64 s[14:15], s[2:3]
	s_cbranch_execz .LBB192_220
; %bb.217:
	v_mul_u32_u24_e32 v11, 0x210, v17
	ds_read_b128 v[11:14], v11 offset:6336
	ds_read_b128 v[28:31], v15 offset:6368
	v_cmp_gt_u32_e64 s[12:13], 2, v1
	s_waitcnt lgkmcnt(0)
	v_mul_f64 v[32:33], v[13:14], v[30:31]
	v_mul_f64 v[30:31], v[11:12], v[30:31]
	v_fma_f64 v[11:12], v[11:12], v[28:29], -v[32:33]
	v_fma_f64 v[13:14], v[13:14], v[28:29], v[30:31]
	v_add_f64 v[11:12], v[11:12], 0
	v_add_f64 v[13:14], v[13:14], 0
	s_and_saveexec_b64 s[18:19], s[12:13]
	s_cbranch_execz .LBB192_219
; %bb.218:
	v_lshlrev_b32_e32 v32, 4, v0
	v_mov_b32_e32 v28, 0
	ds_read_b128 v[28:31], v28 offset:6352
	ds_read_b128 v[32:35], v32 offset:6880
	s_waitcnt lgkmcnt(0)
	v_mul_f64 v[36:37], v[30:31], v[34:35]
	v_mul_f64 v[34:35], v[28:29], v[34:35]
	v_fma_f64 v[28:29], v[28:29], v[32:33], -v[36:37]
	v_fma_f64 v[30:31], v[30:31], v[32:33], v[34:35]
	v_add_f64 v[11:12], v[11:12], v[28:29]
	v_add_f64 v[13:14], v[13:14], v[30:31]
.LBB192_219:
	s_or_b64 exec, exec, s[18:19]
	v_xor_b32_e32 v12, 0x80000000, v12
	v_xor_b32_e32 v14, 0x80000000, v14
.LBB192_220:
	s_or_b64 exec, exec, s[14:15]
	s_and_saveexec_b64 s[12:13], s[42:43]
	s_cbranch_execz .LBB192_222
; %bb.221:
	v_mov_b32_e32 v28, 0
	ds_read_b128 v[28:31], v28 offset:7392
	s_waitcnt lgkmcnt(0)
	v_mul_f64 v[32:33], v[13:14], v[30:31]
	v_mul_f64 v[30:31], v[11:12], v[30:31]
	v_fma_f64 v[11:12], v[11:12], v[28:29], -v[32:33]
	v_fma_f64 v[13:14], v[13:14], v[28:29], v[30:31]
	ds_write_b128 v16, v[11:14]
.LBB192_222:
	s_or_b64 exec, exec, s[12:13]
	s_waitcnt lgkmcnt(0)
	s_barrier
	s_and_saveexec_b64 s[12:13], s[40:41]
	s_cbranch_execz .LBB192_224
; %bb.223:
	v_mov_b32_e32 v32, 0
	ds_read_b128 v[28:31], v16
	ds_read_b128 v[32:35], v32 offset:7408
	s_waitcnt lgkmcnt(0)
	v_mul_f64 v[36:37], v[30:31], v[34:35]
	v_mul_f64 v[34:35], v[28:29], v[34:35]
	v_fma_f64 v[28:29], v[28:29], v[32:33], -v[36:37]
	v_fma_f64 v[30:31], v[30:31], v[32:33], v[34:35]
	v_add_f64 v[11:12], v[11:12], v[28:29]
	v_add_f64 v[13:14], v[13:14], v[30:31]
.LBB192_224:
	s_or_b64 exec, exec, s[12:13]
	s_barrier
	s_and_saveexec_b64 s[12:13], s[40:41]
	s_cbranch_execz .LBB192_226
; %bb.225:
	v_mov_b32_e32 v28, 0
	ds_read_b128 v[28:31], v28 offset:7920
	s_waitcnt lgkmcnt(0)
	v_mul_f64 v[32:33], v[13:14], v[30:31]
	v_mul_f64 v[30:31], v[11:12], v[30:31]
	v_fma_f64 v[11:12], v[11:12], v[28:29], -v[32:33]
	v_fma_f64 v[13:14], v[13:14], v[28:29], v[30:31]
	ds_write_b128 v16, v[11:14]
.LBB192_226:
	s_or_b64 exec, exec, s[12:13]
	s_waitcnt lgkmcnt(0)
	s_barrier
	s_barrier
	s_and_saveexec_b64 s[12:13], s[2:3]
; %bb.227:
	v_xor_b32_e32 v12, 0x80000000, v12
	v_xor_b32_e32 v14, 0x80000000, v14
	ds_write_b128 v15, v[11:14] offset:6368
; %bb.228:
	s_or_b64 exec, exec, s[12:13]
	s_waitcnt lgkmcnt(0)
	s_barrier
	s_barrier
	s_and_saveexec_b64 s[12:13], s[44:45]
	s_cbranch_execz .LBB192_230
; %bb.229:
	v_lshlrev_b32_e32 v28, 9, v0
	ds_read_b128 v[11:14], v28 offset:6368
	s_movk_i32 s14, 0xfe10
	v_mad_i32_i24 v29, v0, s14, v28
	s_waitcnt lgkmcnt(0)
	ds_write_b128 v29, v[11:14] offset:7360
	ds_read_b128 v[11:14], v28 offset:6384
	s_waitcnt lgkmcnt(0)
	ds_write_b128 v29, v[11:14] offset:7872
.LBB192_230:
	s_or_b64 exec, exec, s[12:13]
	s_waitcnt lgkmcnt(0)
	s_barrier
	s_and_saveexec_b64 s[12:13], vcc
	s_cbranch_execz .LBB192_232
; %bb.231:
	v_mov_b32_e32 v38, 0
	ds_read_b128 v[11:14], v38 offset:7920
	ds_read_b128 v[28:31], v38 offset:7392
	ds_read_b128 v[32:35], v38 offset:7408
	s_waitcnt lgkmcnt(1)
	v_mul_f64 v[36:37], v[11:12], v[30:31]
	v_mul_f64 v[30:31], v[13:14], v[30:31]
	v_fma_f64 v[13:14], v[13:14], v[28:29], v[36:37]
	v_fma_f64 v[11:12], v[11:12], v[28:29], -v[30:31]
	s_waitcnt lgkmcnt(0)
	v_mul_f64 v[28:29], v[13:14], v[34:35]
	v_mul_f64 v[30:31], v[11:12], v[34:35]
	v_fma_f64 v[11:12], v[32:33], v[11:12], -v[28:29]
	v_fma_f64 v[13:14], v[32:33], v[13:14], v[30:31]
	ds_write_b128 v38, v[11:14] offset:7408
	ds_write_b128 v38, v[11:14] offset:7904
.LBB192_232:
	s_or_b64 exec, exec, s[12:13]
	v_and_b32_e32 v29, 15, v0
	s_movk_i32 s12, 0xff
	v_lshrrev_b32_e32 v31, 4, v1
	v_cmp_lt_u32_e64 s[14:15], s12, v1
	s_movk_i32 s12, 0x100
	v_lshlrev_b32_e32 v30, 4, v29
	v_mov_b32_e32 v13, 0
	v_mov_b32_e32 v11, 0
	v_cmp_gt_u32_e64 s[12:13], s12, v1
	v_mov_b32_e32 v14, 0
	v_mov_b32_e32 v12, 0
	v_lshl_or_b32 v28, v31, 9, v30
	s_waitcnt lgkmcnt(0)
	s_barrier
	s_and_saveexec_b64 s[90:91], s[12:13]
	s_cbranch_execz .LBB192_260
; %bb.233:
	v_mul_u32_u24_e32 v32, 0x210, v31
	ds_read_b128 v[11:14], v32
	ds_read_b128 v[33:36], v28 offset:256
	s_movk_i32 s18, 0xf0
	v_cmp_gt_u32_e64 s[18:19], s18, v1
	s_waitcnt lgkmcnt(0)
	v_mul_f64 v[37:38], v[13:14], v[35:36]
	v_mul_f64 v[35:36], v[11:12], v[35:36]
	v_fma_f64 v[11:12], v[11:12], v[33:34], -v[37:38]
	v_fma_f64 v[13:14], v[13:14], v[33:34], v[35:36]
	v_add_f64 v[11:12], v[11:12], 0
	v_add_f64 v[13:14], v[13:14], 0
	s_and_saveexec_b64 s[92:93], s[18:19]
	s_cbranch_execz .LBB192_235
; %bb.234:
	ds_read_b128 v[33:36], v32 offset:16
	ds_read_b128 v[37:40], v28 offset:768
	s_waitcnt lgkmcnt(0)
	v_mul_f64 v[41:42], v[35:36], v[39:40]
	v_mul_f64 v[39:40], v[33:34], v[39:40]
	v_fma_f64 v[33:34], v[33:34], v[37:38], -v[41:42]
	v_fma_f64 v[35:36], v[35:36], v[37:38], v[39:40]
	v_add_f64 v[11:12], v[11:12], v[33:34]
	v_add_f64 v[13:14], v[13:14], v[35:36]
.LBB192_235:
	s_or_b64 exec, exec, s[92:93]
	s_movk_i32 s18, 0xe0
	v_cmp_gt_u32_e64 s[18:19], s18, v1
	s_and_saveexec_b64 s[92:93], s[18:19]
	s_cbranch_execz .LBB192_237
; %bb.236:
	ds_read_b128 v[33:36], v32 offset:32
	ds_read_b128 v[37:40], v28 offset:1280
	s_waitcnt lgkmcnt(0)
	v_mul_f64 v[41:42], v[35:36], v[39:40]
	v_mul_f64 v[39:40], v[33:34], v[39:40]
	v_fma_f64 v[33:34], v[33:34], v[37:38], -v[41:42]
	v_fma_f64 v[35:36], v[35:36], v[37:38], v[39:40]
	v_add_f64 v[11:12], v[11:12], v[33:34]
	v_add_f64 v[13:14], v[13:14], v[35:36]
.LBB192_237:
	s_or_b64 exec, exec, s[92:93]
	s_movk_i32 s18, 0xd0
	v_cmp_gt_u32_e64 s[18:19], s18, v1
	;; [unrolled: 16-line block ×10, first 2 shown]
	s_and_saveexec_b64 s[92:93], s[18:19]
	s_cbranch_execnz .LBB192_560
; %bb.254:
	s_or_b64 exec, exec, s[92:93]
	v_cmp_gt_u32_e64 s[18:19], 64, v1
	s_and_saveexec_b64 s[92:93], s[18:19]
	s_cbranch_execnz .LBB192_561
.LBB192_255:
	s_or_b64 exec, exec, s[92:93]
	v_cmp_gt_u32_e64 s[18:19], 48, v1
	s_and_saveexec_b64 s[92:93], s[18:19]
	s_cbranch_execnz .LBB192_562
.LBB192_256:
	s_or_b64 exec, exec, s[92:93]
	v_cmp_gt_u32_e64 s[18:19], 32, v1
	s_and_saveexec_b64 s[92:93], s[18:19]
	s_cbranch_execnz .LBB192_563
.LBB192_257:
	s_or_b64 exec, exec, s[92:93]
	v_cmp_gt_u32_e64 s[18:19], 16, v1
	s_and_saveexec_b64 s[92:93], s[18:19]
	s_cbranch_execz .LBB192_259
.LBB192_258:
	v_lshlrev_b32_e32 v36, 4, v0
	v_mov_b32_e32 v32, 0
	ds_read_b128 v[32:35], v32 offset:240
	ds_read_b128 v[36:39], v36 offset:7936
	s_waitcnt lgkmcnt(0)
	v_mul_f64 v[40:41], v[34:35], v[38:39]
	v_mul_f64 v[38:39], v[32:33], v[38:39]
	v_fma_f64 v[32:33], v[32:33], v[36:37], -v[40:41]
	v_fma_f64 v[34:35], v[34:35], v[36:37], v[38:39]
	v_add_f64 v[11:12], v[11:12], v[32:33]
	v_add_f64 v[13:14], v[13:14], v[34:35]
.LBB192_259:
	s_or_b64 exec, exec, s[92:93]
	v_xor_b32_e32 v12, 0x80000000, v12
	v_xor_b32_e32 v14, 0x80000000, v14
.LBB192_260:
	s_or_b64 exec, exec, s[90:91]
	v_mov_b32_e32 v32, 0x4000
	v_cmp_eq_u32_e64 s[18:19], 0, v29
	s_xor_b64 s[90:91], s[14:15], -1
	v_lshl_add_u32 v31, v31, 4, v32
	s_and_b64 s[18:19], s[18:19], s[90:91]
	s_and_saveexec_b64 s[14:15], s[18:19]
	s_cbranch_execz .LBB192_262
; %bb.261:
	v_mov_b32_e32 v32, 0
	ds_read_b128 v[32:35], v32 offset:8448
	s_waitcnt lgkmcnt(0)
	v_mul_f64 v[36:37], v[13:14], v[34:35]
	v_mul_f64 v[34:35], v[11:12], v[34:35]
	v_fma_f64 v[11:12], v[11:12], v[32:33], -v[36:37]
	v_fma_f64 v[13:14], v[13:14], v[32:33], v[34:35]
	ds_write_b128 v31, v[11:14]
.LBB192_262:
	s_or_b64 exec, exec, s[14:15]
	v_cmp_ne_u32_e64 s[14:15], 0, v29
	s_and_b64 s[18:19], s[14:15], s[90:91]
	s_waitcnt lgkmcnt(0)
	s_barrier
	s_and_saveexec_b64 s[14:15], s[18:19]
	s_cbranch_execz .LBB192_264
; %bb.263:
	ds_read_b128 v[32:35], v31
	ds_read_b128 v[36:39], v30 offset:8448
	s_waitcnt lgkmcnt(0)
	v_mul_f64 v[40:41], v[34:35], v[38:39]
	v_mul_f64 v[38:39], v[32:33], v[38:39]
	v_fma_f64 v[32:33], v[32:33], v[36:37], -v[40:41]
	v_fma_f64 v[34:35], v[34:35], v[36:37], v[38:39]
	v_add_f64 v[11:12], v[11:12], v[32:33]
	v_add_f64 v[13:14], v[13:14], v[34:35]
.LBB192_264:
	s_or_b64 exec, exec, s[14:15]
	v_cmp_eq_u32_e64 s[14:15], 1, v29
	s_and_b64 s[18:19], s[14:15], s[90:91]
	s_barrier
	s_and_saveexec_b64 s[14:15], s[18:19]
	s_cbranch_execz .LBB192_266
; %bb.265:
	v_mov_b32_e32 v32, 0
	ds_read_b128 v[32:35], v32 offset:8976
	s_waitcnt lgkmcnt(0)
	v_mul_f64 v[36:37], v[13:14], v[34:35]
	v_mul_f64 v[34:35], v[11:12], v[34:35]
	v_fma_f64 v[11:12], v[11:12], v[32:33], -v[36:37]
	v_fma_f64 v[13:14], v[13:14], v[32:33], v[34:35]
	ds_write_b128 v31, v[11:14]
.LBB192_266:
	s_or_b64 exec, exec, s[14:15]
	v_cmp_lt_u32_e64 s[14:15], 1, v29
	s_and_b64 s[18:19], s[14:15], s[90:91]
	s_waitcnt lgkmcnt(0)
	s_barrier
	s_and_saveexec_b64 s[14:15], s[18:19]
	s_cbranch_execz .LBB192_268
; %bb.267:
	ds_read_b128 v[32:35], v31
	ds_read_b128 v[36:39], v30 offset:8960
	s_waitcnt lgkmcnt(0)
	v_mul_f64 v[40:41], v[34:35], v[38:39]
	v_mul_f64 v[38:39], v[32:33], v[38:39]
	v_fma_f64 v[32:33], v[32:33], v[36:37], -v[40:41]
	v_fma_f64 v[34:35], v[34:35], v[36:37], v[38:39]
	v_add_f64 v[11:12], v[11:12], v[32:33]
	v_add_f64 v[13:14], v[13:14], v[34:35]
.LBB192_268:
	s_or_b64 exec, exec, s[14:15]
	v_cmp_eq_u32_e64 s[14:15], 2, v29
	s_and_b64 s[18:19], s[14:15], s[90:91]
	s_barrier
	s_and_saveexec_b64 s[14:15], s[18:19]
	s_cbranch_execz .LBB192_270
; %bb.269:
	v_mov_b32_e32 v32, 0
	ds_read_b128 v[32:35], v32 offset:9504
	s_waitcnt lgkmcnt(0)
	v_mul_f64 v[36:37], v[13:14], v[34:35]
	v_mul_f64 v[34:35], v[11:12], v[34:35]
	v_fma_f64 v[11:12], v[11:12], v[32:33], -v[36:37]
	v_fma_f64 v[13:14], v[13:14], v[32:33], v[34:35]
	ds_write_b128 v31, v[11:14]
.LBB192_270:
	s_or_b64 exec, exec, s[14:15]
	v_cmp_lt_u32_e64 s[14:15], 2, v29
	;; [unrolled: 34-line block ×13, first 2 shown]
	s_and_b64 s[18:19], s[14:15], s[90:91]
	s_waitcnt lgkmcnt(0)
	s_barrier
	s_and_saveexec_b64 s[14:15], s[18:19]
	s_cbranch_execz .LBB192_316
; %bb.315:
	ds_read_b128 v[32:35], v31
	ds_read_b128 v[36:39], v30 offset:15104
	s_waitcnt lgkmcnt(0)
	v_mul_f64 v[40:41], v[34:35], v[38:39]
	v_mul_f64 v[38:39], v[32:33], v[38:39]
	v_fma_f64 v[32:33], v[32:33], v[36:37], -v[40:41]
	v_fma_f64 v[34:35], v[34:35], v[36:37], v[38:39]
	v_add_f64 v[11:12], v[11:12], v[32:33]
	v_add_f64 v[13:14], v[13:14], v[34:35]
.LBB192_316:
	s_or_b64 exec, exec, s[14:15]
	v_cmp_eq_u32_e64 s[14:15], 14, v29
	s_and_b64 s[18:19], s[14:15], s[90:91]
	s_barrier
	s_and_saveexec_b64 s[14:15], s[18:19]
	s_cbranch_execz .LBB192_318
; %bb.317:
	v_mov_b32_e32 v30, 0
	ds_read_b128 v[32:35], v30 offset:15840
	s_waitcnt lgkmcnt(0)
	v_mul_f64 v[36:37], v[13:14], v[34:35]
	v_mul_f64 v[34:35], v[11:12], v[34:35]
	v_fma_f64 v[11:12], v[11:12], v[32:33], -v[36:37]
	v_fma_f64 v[13:14], v[13:14], v[32:33], v[34:35]
	ds_write_b128 v31, v[11:14]
.LBB192_318:
	s_or_b64 exec, exec, s[14:15]
	v_cmp_eq_u32_e64 s[14:15], 15, v29
	s_and_b64 s[14:15], s[14:15], s[90:91]
	s_waitcnt lgkmcnt(0)
	s_barrier
	s_and_saveexec_b64 s[18:19], s[14:15]
	s_cbranch_execz .LBB192_320
; %bb.319:
	v_mov_b32_e32 v29, 0
	ds_read_b128 v[32:35], v31
	ds_read_b128 v[36:39], v29 offset:15856
	s_waitcnt lgkmcnt(0)
	v_mul_f64 v[29:30], v[34:35], v[38:39]
	v_mul_f64 v[38:39], v[32:33], v[38:39]
	v_fma_f64 v[29:30], v[32:33], v[36:37], -v[29:30]
	v_fma_f64 v[32:33], v[34:35], v[36:37], v[38:39]
	v_add_f64 v[11:12], v[11:12], v[29:30]
	v_add_f64 v[13:14], v[13:14], v[32:33]
.LBB192_320:
	s_or_b64 exec, exec, s[18:19]
	s_barrier
	s_and_saveexec_b64 s[18:19], s[14:15]
	s_cbranch_execz .LBB192_322
; %bb.321:
	v_mov_b32_e32 v29, 0
	ds_read_b128 v[32:35], v29 offset:16368
	s_waitcnt lgkmcnt(0)
	v_mul_f64 v[29:30], v[13:14], v[34:35]
	v_mul_f64 v[34:35], v[11:12], v[34:35]
	v_fma_f64 v[11:12], v[11:12], v[32:33], -v[29:30]
	v_fma_f64 v[13:14], v[13:14], v[32:33], v[34:35]
	ds_write_b128 v31, v[11:14]
.LBB192_322:
	s_or_b64 exec, exec, s[18:19]
	s_waitcnt lgkmcnt(0)
	s_barrier
	s_barrier
	s_and_saveexec_b64 s[14:15], s[12:13]
; %bb.323:
	v_xor_b32_e32 v14, 0x80000000, v14
	v_xor_b32_e32 v12, 0x80000000, v12
	ds_write_b128 v28, v[11:14] offset:256
; %bb.324:
	s_or_b64 exec, exec, s[14:15]
	v_cmp_gt_u32_e64 s[12:13], 16, v0
	s_and_b64 s[12:13], s[10:11], s[12:13]
	s_waitcnt lgkmcnt(0)
	s_barrier
	s_barrier
	s_and_saveexec_b64 s[10:11], s[12:13]
	s_cbranch_execz .LBB192_326
; %bb.325:
	v_lshlrev_b32_e32 v28, 9, v0
	ds_read_b128 v[11:14], v28 offset:256
	s_movk_i32 s12, 0xfe10
	v_mad_i32_i24 v29, v0, s12, v28
	s_waitcnt lgkmcnt(0)
	ds_write_b128 v29, v[11:14] offset:8192
	ds_read_b128 v[11:14], v28 offset:272
	s_waitcnt lgkmcnt(0)
	ds_write_b128 v29, v[11:14] offset:8704
	ds_read_b128 v[11:14], v28 offset:288
	;; [unrolled: 3-line block ×15, first 2 shown]
	s_waitcnt lgkmcnt(0)
	ds_write_b128 v29, v[11:14] offset:15872
.LBB192_326:
	s_or_b64 exec, exec, s[10:11]
	s_waitcnt lgkmcnt(0)
	s_barrier
	s_and_saveexec_b64 s[10:11], vcc
	s_cbranch_execz .LBB192_328
; %bb.327:
	v_mov_b32_e32 v38, 0
	ds_read_b128 v[11:14], v38 offset:8976
	ds_read_b128 v[28:31], v38 offset:8448
	;; [unrolled: 1-line block ×3, first 2 shown]
	s_waitcnt lgkmcnt(1)
	v_mul_f64 v[36:37], v[11:12], v[30:31]
	v_mul_f64 v[30:31], v[13:14], v[30:31]
	v_fma_f64 v[13:14], v[13:14], v[28:29], v[36:37]
	v_fma_f64 v[11:12], v[11:12], v[28:29], -v[30:31]
	s_waitcnt lgkmcnt(0)
	v_mul_f64 v[28:29], v[13:14], v[34:35]
	v_mul_f64 v[30:31], v[11:12], v[34:35]
	v_fma_f64 v[11:12], v[32:33], v[11:12], -v[28:29]
	v_fma_f64 v[13:14], v[32:33], v[13:14], v[30:31]
	ds_write_b128 v38, v[11:14] offset:8464
	ds_write_b128 v38, v[11:14] offset:8960
.LBB192_328:
	s_or_b64 exec, exec, s[10:11]
	v_mov_b32_e32 v13, 0
	v_mov_b32_e32 v11, 0
	;; [unrolled: 1-line block ×4, first 2 shown]
	s_waitcnt lgkmcnt(0)
	s_barrier
	s_and_saveexec_b64 s[12:13], s[2:3]
	s_cbranch_execz .LBB192_332
; %bb.329:
	v_mul_u32_u24_e32 v11, 0x210, v17
	ds_read_b128 v[11:14], v11 offset:8448
	ds_read_b128 v[28:31], v15 offset:8480
	v_cmp_gt_u32_e64 s[10:11], 2, v1
	s_waitcnt lgkmcnt(0)
	v_mul_f64 v[32:33], v[13:14], v[30:31]
	v_mul_f64 v[30:31], v[11:12], v[30:31]
	v_fma_f64 v[11:12], v[11:12], v[28:29], -v[32:33]
	v_fma_f64 v[13:14], v[13:14], v[28:29], v[30:31]
	v_add_f64 v[11:12], v[11:12], 0
	v_add_f64 v[13:14], v[13:14], 0
	s_and_saveexec_b64 s[14:15], s[10:11]
	s_cbranch_execz .LBB192_331
; %bb.330:
	v_lshlrev_b32_e32 v32, 4, v0
	v_mov_b32_e32 v28, 0
	ds_read_b128 v[28:31], v28 offset:8464
	ds_read_b128 v[32:35], v32 offset:8992
	s_waitcnt lgkmcnt(0)
	v_mul_f64 v[36:37], v[30:31], v[34:35]
	v_mul_f64 v[34:35], v[28:29], v[34:35]
	v_fma_f64 v[28:29], v[28:29], v[32:33], -v[36:37]
	v_fma_f64 v[30:31], v[30:31], v[32:33], v[34:35]
	v_add_f64 v[11:12], v[11:12], v[28:29]
	v_add_f64 v[13:14], v[13:14], v[30:31]
.LBB192_331:
	s_or_b64 exec, exec, s[14:15]
	v_xor_b32_e32 v12, 0x80000000, v12
	v_xor_b32_e32 v14, 0x80000000, v14
.LBB192_332:
	s_or_b64 exec, exec, s[12:13]
	s_and_saveexec_b64 s[10:11], s[42:43]
	s_cbranch_execz .LBB192_334
; %bb.333:
	v_mov_b32_e32 v28, 0
	ds_read_b128 v[28:31], v28 offset:9504
	s_waitcnt lgkmcnt(0)
	v_mul_f64 v[32:33], v[13:14], v[30:31]
	v_mul_f64 v[30:31], v[11:12], v[30:31]
	v_fma_f64 v[11:12], v[11:12], v[28:29], -v[32:33]
	v_fma_f64 v[13:14], v[13:14], v[28:29], v[30:31]
	ds_write_b128 v16, v[11:14]
.LBB192_334:
	s_or_b64 exec, exec, s[10:11]
	s_waitcnt lgkmcnt(0)
	s_barrier
	s_and_saveexec_b64 s[10:11], s[40:41]
	s_cbranch_execz .LBB192_336
; %bb.335:
	v_mov_b32_e32 v32, 0
	ds_read_b128 v[28:31], v16
	ds_read_b128 v[32:35], v32 offset:9520
	s_waitcnt lgkmcnt(0)
	v_mul_f64 v[36:37], v[30:31], v[34:35]
	v_mul_f64 v[34:35], v[28:29], v[34:35]
	v_fma_f64 v[28:29], v[28:29], v[32:33], -v[36:37]
	v_fma_f64 v[30:31], v[30:31], v[32:33], v[34:35]
	v_add_f64 v[11:12], v[11:12], v[28:29]
	v_add_f64 v[13:14], v[13:14], v[30:31]
.LBB192_336:
	s_or_b64 exec, exec, s[10:11]
	s_barrier
	s_and_saveexec_b64 s[10:11], s[40:41]
	s_cbranch_execz .LBB192_338
; %bb.337:
	v_mov_b32_e32 v28, 0
	ds_read_b128 v[28:31], v28 offset:10032
	s_waitcnt lgkmcnt(0)
	v_mul_f64 v[32:33], v[13:14], v[30:31]
	v_mul_f64 v[30:31], v[11:12], v[30:31]
	v_fma_f64 v[11:12], v[11:12], v[28:29], -v[32:33]
	v_fma_f64 v[13:14], v[13:14], v[28:29], v[30:31]
	ds_write_b128 v16, v[11:14]
.LBB192_338:
	s_or_b64 exec, exec, s[10:11]
	s_waitcnt lgkmcnt(0)
	s_barrier
	s_barrier
	s_and_saveexec_b64 s[10:11], s[2:3]
; %bb.339:
	v_xor_b32_e32 v12, 0x80000000, v12
	v_xor_b32_e32 v14, 0x80000000, v14
	ds_write_b128 v15, v[11:14] offset:8480
; %bb.340:
	s_or_b64 exec, exec, s[10:11]
	s_waitcnt lgkmcnt(0)
	s_barrier
	s_barrier
	s_and_saveexec_b64 s[10:11], s[44:45]
	s_cbranch_execz .LBB192_342
; %bb.341:
	v_lshlrev_b32_e32 v28, 9, v0
	ds_read_b128 v[11:14], v28 offset:8480
	s_movk_i32 s12, 0xfe10
	v_mad_i32_i24 v29, v0, s12, v28
	s_waitcnt lgkmcnt(0)
	ds_write_b128 v29, v[11:14] offset:9472
	ds_read_b128 v[11:14], v28 offset:8496
	s_waitcnt lgkmcnt(0)
	ds_write_b128 v29, v[11:14] offset:9984
.LBB192_342:
	s_or_b64 exec, exec, s[10:11]
	s_waitcnt lgkmcnt(0)
	s_barrier
	s_and_saveexec_b64 s[10:11], vcc
	s_cbranch_execz .LBB192_344
; %bb.343:
	v_mov_b32_e32 v38, 0
	ds_read_b128 v[11:14], v38 offset:10032
	ds_read_b128 v[28:31], v38 offset:9504
	;; [unrolled: 1-line block ×3, first 2 shown]
	s_waitcnt lgkmcnt(1)
	v_mul_f64 v[36:37], v[11:12], v[30:31]
	v_mul_f64 v[30:31], v[13:14], v[30:31]
	v_fma_f64 v[13:14], v[13:14], v[28:29], v[36:37]
	v_fma_f64 v[11:12], v[11:12], v[28:29], -v[30:31]
	s_waitcnt lgkmcnt(0)
	v_mul_f64 v[28:29], v[13:14], v[34:35]
	v_mul_f64 v[30:31], v[11:12], v[34:35]
	v_fma_f64 v[11:12], v[32:33], v[11:12], -v[28:29]
	v_fma_f64 v[13:14], v[32:33], v[13:14], v[30:31]
	ds_write_b128 v38, v[11:14] offset:9520
	ds_write_b128 v38, v[11:14] offset:10016
.LBB192_344:
	s_or_b64 exec, exec, s[10:11]
	v_mov_b32_e32 v13, 0
	v_mov_b32_e32 v11, 0
	;; [unrolled: 1-line block ×4, first 2 shown]
	s_waitcnt lgkmcnt(0)
	s_barrier
	s_and_saveexec_b64 s[12:13], s[16:17]
	s_cbranch_execz .LBB192_350
; %bb.345:
	v_mul_u32_u24_e32 v28, 0x210, v22
	ds_read_b128 v[11:14], v28 offset:8448
	ds_read_b128 v[29:32], v18 offset:8512
	v_cmp_gt_u32_e64 s[10:11], 12, v1
	s_waitcnt lgkmcnt(0)
	v_mul_f64 v[33:34], v[13:14], v[31:32]
	v_mul_f64 v[31:32], v[11:12], v[31:32]
	v_fma_f64 v[11:12], v[11:12], v[29:30], -v[33:34]
	v_fma_f64 v[13:14], v[13:14], v[29:30], v[31:32]
	v_add_f64 v[11:12], v[11:12], 0
	v_add_f64 v[13:14], v[13:14], 0
	s_and_saveexec_b64 s[14:15], s[10:11]
	s_cbranch_execnz .LBB192_564
; %bb.346:
	s_or_b64 exec, exec, s[14:15]
	v_cmp_gt_u32_e64 s[10:11], 8, v1
	s_and_saveexec_b64 s[14:15], s[10:11]
	s_cbranch_execnz .LBB192_565
.LBB192_347:
	s_or_b64 exec, exec, s[14:15]
	v_cmp_gt_u32_e64 s[10:11], 4, v1
	s_and_saveexec_b64 s[14:15], s[10:11]
	s_cbranch_execz .LBB192_349
.LBB192_348:
	v_lshlrev_b32_e32 v32, 4, v0
	v_mov_b32_e32 v28, 0
	ds_read_b128 v[28:31], v28 offset:8496
	ds_read_b128 v[32:35], v32 offset:10048
	s_waitcnt lgkmcnt(0)
	v_mul_f64 v[36:37], v[30:31], v[34:35]
	v_mul_f64 v[34:35], v[28:29], v[34:35]
	v_fma_f64 v[28:29], v[28:29], v[32:33], -v[36:37]
	v_fma_f64 v[30:31], v[30:31], v[32:33], v[34:35]
	v_add_f64 v[11:12], v[11:12], v[28:29]
	v_add_f64 v[13:14], v[13:14], v[30:31]
.LBB192_349:
	s_or_b64 exec, exec, s[14:15]
	v_xor_b32_e32 v12, 0x80000000, v12
	v_xor_b32_e32 v14, 0x80000000, v14
.LBB192_350:
	s_or_b64 exec, exec, s[12:13]
	s_and_saveexec_b64 s[10:11], s[48:49]
	s_cbranch_execz .LBB192_352
; %bb.351:
	v_mov_b32_e32 v28, 0
	ds_read_b128 v[28:31], v28 offset:10560
	s_waitcnt lgkmcnt(0)
	v_mul_f64 v[32:33], v[13:14], v[30:31]
	v_mul_f64 v[30:31], v[11:12], v[30:31]
	v_fma_f64 v[11:12], v[11:12], v[28:29], -v[32:33]
	v_fma_f64 v[13:14], v[13:14], v[28:29], v[30:31]
	ds_write_b128 v20, v[11:14]
.LBB192_352:
	s_or_b64 exec, exec, s[10:11]
	s_waitcnt lgkmcnt(0)
	s_barrier
	s_and_saveexec_b64 s[10:11], s[50:51]
	s_cbranch_execz .LBB192_354
; %bb.353:
	ds_read_b128 v[28:31], v20
	ds_read_b128 v[32:35], v19 offset:10560
	s_waitcnt lgkmcnt(0)
	v_mul_f64 v[36:37], v[30:31], v[34:35]
	v_mul_f64 v[34:35], v[28:29], v[34:35]
	v_fma_f64 v[28:29], v[28:29], v[32:33], -v[36:37]
	v_fma_f64 v[30:31], v[30:31], v[32:33], v[34:35]
	v_add_f64 v[11:12], v[11:12], v[28:29]
	v_add_f64 v[13:14], v[13:14], v[30:31]
.LBB192_354:
	s_or_b64 exec, exec, s[10:11]
	s_barrier
	s_and_saveexec_b64 s[10:11], s[52:53]
	s_cbranch_execz .LBB192_356
; %bb.355:
	v_mov_b32_e32 v28, 0
	ds_read_b128 v[28:31], v28 offset:11088
	s_waitcnt lgkmcnt(0)
	v_mul_f64 v[32:33], v[13:14], v[30:31]
	v_mul_f64 v[30:31], v[11:12], v[30:31]
	v_fma_f64 v[11:12], v[11:12], v[28:29], -v[32:33]
	v_fma_f64 v[13:14], v[13:14], v[28:29], v[30:31]
	ds_write_b128 v20, v[11:14]
.LBB192_356:
	s_or_b64 exec, exec, s[10:11]
	s_waitcnt lgkmcnt(0)
	s_barrier
	s_and_saveexec_b64 s[10:11], s[54:55]
	s_cbranch_execz .LBB192_358
; %bb.357:
	ds_read_b128 v[28:31], v20
	ds_read_b128 v[32:35], v19 offset:11072
	s_waitcnt lgkmcnt(0)
	v_mul_f64 v[36:37], v[30:31], v[34:35]
	v_mul_f64 v[34:35], v[28:29], v[34:35]
	v_fma_f64 v[28:29], v[28:29], v[32:33], -v[36:37]
	v_fma_f64 v[30:31], v[30:31], v[32:33], v[34:35]
	v_add_f64 v[11:12], v[11:12], v[28:29]
	v_add_f64 v[13:14], v[13:14], v[30:31]
.LBB192_358:
	s_or_b64 exec, exec, s[10:11]
	s_barrier
	s_and_saveexec_b64 s[10:11], s[56:57]
	s_cbranch_execz .LBB192_360
; %bb.359:
	v_mov_b32_e32 v28, 0
	ds_read_b128 v[28:31], v28 offset:11616
	s_waitcnt lgkmcnt(0)
	v_mul_f64 v[32:33], v[13:14], v[30:31]
	v_mul_f64 v[30:31], v[11:12], v[30:31]
	v_fma_f64 v[11:12], v[11:12], v[28:29], -v[32:33]
	v_fma_f64 v[13:14], v[13:14], v[28:29], v[30:31]
	ds_write_b128 v20, v[11:14]
.LBB192_360:
	s_or_b64 exec, exec, s[10:11]
	s_waitcnt lgkmcnt(0)
	s_barrier
	s_and_saveexec_b64 s[10:11], s[46:47]
	s_cbranch_execz .LBB192_362
; %bb.361:
	v_mov_b32_e32 v32, 0
	ds_read_b128 v[28:31], v20
	ds_read_b128 v[32:35], v32 offset:11632
	s_waitcnt lgkmcnt(0)
	v_mul_f64 v[36:37], v[30:31], v[34:35]
	v_mul_f64 v[34:35], v[28:29], v[34:35]
	v_fma_f64 v[28:29], v[28:29], v[32:33], -v[36:37]
	v_fma_f64 v[30:31], v[30:31], v[32:33], v[34:35]
	v_add_f64 v[11:12], v[11:12], v[28:29]
	v_add_f64 v[13:14], v[13:14], v[30:31]
.LBB192_362:
	s_or_b64 exec, exec, s[10:11]
	s_barrier
	s_and_saveexec_b64 s[10:11], s[46:47]
	s_cbranch_execz .LBB192_364
; %bb.363:
	v_mov_b32_e32 v28, 0
	ds_read_b128 v[28:31], v28 offset:12144
	s_waitcnt lgkmcnt(0)
	v_mul_f64 v[32:33], v[13:14], v[30:31]
	v_mul_f64 v[30:31], v[11:12], v[30:31]
	v_fma_f64 v[11:12], v[11:12], v[28:29], -v[32:33]
	v_fma_f64 v[13:14], v[13:14], v[28:29], v[30:31]
	ds_write_b128 v20, v[11:14]
.LBB192_364:
	s_or_b64 exec, exec, s[10:11]
	s_waitcnt lgkmcnt(0)
	s_barrier
	s_barrier
	s_and_saveexec_b64 s[10:11], s[16:17]
; %bb.365:
	v_xor_b32_e32 v14, 0x80000000, v14
	v_xor_b32_e32 v12, 0x80000000, v12
	ds_write_b128 v18, v[11:14] offset:8512
; %bb.366:
	s_or_b64 exec, exec, s[10:11]
	s_waitcnt lgkmcnt(0)
	s_barrier
	s_barrier
	s_and_saveexec_b64 s[10:11], s[58:59]
	s_cbranch_execz .LBB192_368
; %bb.367:
	v_lshlrev_b32_e32 v28, 4, v0
	s_movk_i32 s12, 0x1f0
	v_mad_u32_u24 v29, v0, s12, v28
	ds_read_b128 v[11:14], v29 offset:8512
	s_waitcnt lgkmcnt(0)
	ds_write_b128 v28, v[11:14] offset:10496
	ds_read_b128 v[11:14], v29 offset:8528
	s_waitcnt lgkmcnt(0)
	ds_write_b128 v28, v[11:14] offset:11008
	;; [unrolled: 3-line block ×4, first 2 shown]
.LBB192_368:
	s_or_b64 exec, exec, s[10:11]
	s_waitcnt lgkmcnt(0)
	s_barrier
	s_and_saveexec_b64 s[10:11], vcc
	s_cbranch_execz .LBB192_370
; %bb.369:
	v_mov_b32_e32 v38, 0
	ds_read_b128 v[11:14], v38 offset:11088
	ds_read_b128 v[28:31], v38 offset:10560
	;; [unrolled: 1-line block ×3, first 2 shown]
	s_waitcnt lgkmcnt(1)
	v_mul_f64 v[36:37], v[11:12], v[30:31]
	v_mul_f64 v[30:31], v[13:14], v[30:31]
	v_fma_f64 v[13:14], v[13:14], v[28:29], v[36:37]
	v_fma_f64 v[11:12], v[11:12], v[28:29], -v[30:31]
	s_waitcnt lgkmcnt(0)
	v_mul_f64 v[28:29], v[13:14], v[34:35]
	v_mul_f64 v[30:31], v[11:12], v[34:35]
	v_fma_f64 v[11:12], v[32:33], v[11:12], -v[28:29]
	v_fma_f64 v[13:14], v[32:33], v[13:14], v[30:31]
	ds_write_b128 v38, v[11:14] offset:10576
	ds_write_b128 v38, v[11:14] offset:11072
.LBB192_370:
	s_or_b64 exec, exec, s[10:11]
	v_mov_b32_e32 v13, 0
	v_mov_b32_e32 v11, 0
	;; [unrolled: 1-line block ×4, first 2 shown]
	s_waitcnt lgkmcnt(0)
	s_barrier
	s_and_saveexec_b64 s[12:13], s[2:3]
	s_cbranch_execz .LBB192_374
; %bb.371:
	v_mul_u32_u24_e32 v11, 0x210, v17
	ds_read_b128 v[11:14], v11 offset:10560
	ds_read_b128 v[28:31], v15 offset:10592
	v_cmp_gt_u32_e64 s[10:11], 2, v1
	s_waitcnt lgkmcnt(0)
	v_mul_f64 v[32:33], v[13:14], v[30:31]
	v_mul_f64 v[30:31], v[11:12], v[30:31]
	v_fma_f64 v[11:12], v[11:12], v[28:29], -v[32:33]
	v_fma_f64 v[13:14], v[13:14], v[28:29], v[30:31]
	v_add_f64 v[11:12], v[11:12], 0
	v_add_f64 v[13:14], v[13:14], 0
	s_and_saveexec_b64 s[14:15], s[10:11]
	s_cbranch_execz .LBB192_373
; %bb.372:
	v_lshlrev_b32_e32 v32, 4, v0
	v_mov_b32_e32 v28, 0
	ds_read_b128 v[28:31], v28 offset:10576
	ds_read_b128 v[32:35], v32 offset:11104
	s_waitcnt lgkmcnt(0)
	v_mul_f64 v[36:37], v[30:31], v[34:35]
	v_mul_f64 v[34:35], v[28:29], v[34:35]
	v_fma_f64 v[28:29], v[28:29], v[32:33], -v[36:37]
	v_fma_f64 v[30:31], v[30:31], v[32:33], v[34:35]
	v_add_f64 v[11:12], v[11:12], v[28:29]
	v_add_f64 v[13:14], v[13:14], v[30:31]
.LBB192_373:
	s_or_b64 exec, exec, s[14:15]
	v_xor_b32_e32 v12, 0x80000000, v12
	v_xor_b32_e32 v14, 0x80000000, v14
.LBB192_374:
	s_or_b64 exec, exec, s[12:13]
	s_and_saveexec_b64 s[10:11], s[42:43]
	s_cbranch_execz .LBB192_376
; %bb.375:
	v_mov_b32_e32 v28, 0
	ds_read_b128 v[28:31], v28 offset:11616
	s_waitcnt lgkmcnt(0)
	v_mul_f64 v[32:33], v[13:14], v[30:31]
	v_mul_f64 v[30:31], v[11:12], v[30:31]
	v_fma_f64 v[11:12], v[11:12], v[28:29], -v[32:33]
	v_fma_f64 v[13:14], v[13:14], v[28:29], v[30:31]
	ds_write_b128 v16, v[11:14]
.LBB192_376:
	s_or_b64 exec, exec, s[10:11]
	s_waitcnt lgkmcnt(0)
	s_barrier
	s_and_saveexec_b64 s[10:11], s[40:41]
	s_cbranch_execz .LBB192_378
; %bb.377:
	v_mov_b32_e32 v32, 0
	ds_read_b128 v[28:31], v16
	ds_read_b128 v[32:35], v32 offset:11632
	s_waitcnt lgkmcnt(0)
	v_mul_f64 v[36:37], v[30:31], v[34:35]
	v_mul_f64 v[34:35], v[28:29], v[34:35]
	v_fma_f64 v[28:29], v[28:29], v[32:33], -v[36:37]
	v_fma_f64 v[30:31], v[30:31], v[32:33], v[34:35]
	v_add_f64 v[11:12], v[11:12], v[28:29]
	v_add_f64 v[13:14], v[13:14], v[30:31]
.LBB192_378:
	s_or_b64 exec, exec, s[10:11]
	s_barrier
	s_and_saveexec_b64 s[10:11], s[40:41]
	s_cbranch_execz .LBB192_380
; %bb.379:
	v_mov_b32_e32 v28, 0
	ds_read_b128 v[28:31], v28 offset:12144
	s_waitcnt lgkmcnt(0)
	v_mul_f64 v[32:33], v[13:14], v[30:31]
	v_mul_f64 v[30:31], v[11:12], v[30:31]
	v_fma_f64 v[11:12], v[11:12], v[28:29], -v[32:33]
	v_fma_f64 v[13:14], v[13:14], v[28:29], v[30:31]
	ds_write_b128 v16, v[11:14]
.LBB192_380:
	s_or_b64 exec, exec, s[10:11]
	s_waitcnt lgkmcnt(0)
	s_barrier
	s_barrier
	s_and_saveexec_b64 s[10:11], s[2:3]
; %bb.381:
	v_xor_b32_e32 v12, 0x80000000, v12
	v_xor_b32_e32 v14, 0x80000000, v14
	ds_write_b128 v15, v[11:14] offset:10592
; %bb.382:
	s_or_b64 exec, exec, s[10:11]
	s_waitcnt lgkmcnt(0)
	s_barrier
	s_barrier
	s_and_saveexec_b64 s[10:11], s[44:45]
	s_cbranch_execz .LBB192_384
; %bb.383:
	v_lshlrev_b32_e32 v28, 9, v0
	ds_read_b128 v[11:14], v28 offset:10592
	s_movk_i32 s12, 0xfe10
	v_mad_i32_i24 v29, v0, s12, v28
	s_waitcnt lgkmcnt(0)
	ds_write_b128 v29, v[11:14] offset:11584
	ds_read_b128 v[11:14], v28 offset:10608
	s_waitcnt lgkmcnt(0)
	ds_write_b128 v29, v[11:14] offset:12096
.LBB192_384:
	s_or_b64 exec, exec, s[10:11]
	s_waitcnt lgkmcnt(0)
	s_barrier
	s_and_saveexec_b64 s[10:11], vcc
	s_cbranch_execz .LBB192_386
; %bb.385:
	v_mov_b32_e32 v38, 0
	ds_read_b128 v[11:14], v38 offset:12144
	ds_read_b128 v[28:31], v38 offset:11616
	;; [unrolled: 1-line block ×3, first 2 shown]
	s_waitcnt lgkmcnt(1)
	v_mul_f64 v[36:37], v[11:12], v[30:31]
	v_mul_f64 v[30:31], v[13:14], v[30:31]
	v_fma_f64 v[13:14], v[13:14], v[28:29], v[36:37]
	v_fma_f64 v[11:12], v[11:12], v[28:29], -v[30:31]
	s_waitcnt lgkmcnt(0)
	v_mul_f64 v[28:29], v[13:14], v[34:35]
	v_mul_f64 v[30:31], v[11:12], v[34:35]
	v_fma_f64 v[11:12], v[32:33], v[11:12], -v[28:29]
	v_fma_f64 v[13:14], v[32:33], v[13:14], v[30:31]
	ds_write_b128 v38, v[11:14] offset:11632
	ds_write_b128 v38, v[11:14] offset:12128
.LBB192_386:
	s_or_b64 exec, exec, s[10:11]
	v_mov_b32_e32 v13, 0
	v_mov_b32_e32 v11, 0
	;; [unrolled: 1-line block ×4, first 2 shown]
	s_waitcnt lgkmcnt(0)
	s_barrier
	s_and_saveexec_b64 s[12:13], s[8:9]
	s_cbranch_execz .LBB192_396
; %bb.387:
	v_mul_u32_u24_e32 v28, 0x210, v27
	ds_read_b128 v[11:14], v28 offset:8448
	ds_read_b128 v[29:32], v23 offset:8576
	v_cmp_gt_u32_e64 s[10:11], 56, v1
	s_waitcnt lgkmcnt(0)
	v_mul_f64 v[33:34], v[13:14], v[31:32]
	v_mul_f64 v[31:32], v[11:12], v[31:32]
	v_fma_f64 v[11:12], v[11:12], v[29:30], -v[33:34]
	v_fma_f64 v[13:14], v[13:14], v[29:30], v[31:32]
	v_add_f64 v[11:12], v[11:12], 0
	v_add_f64 v[13:14], v[13:14], 0
	s_and_saveexec_b64 s[14:15], s[10:11]
	s_cbranch_execnz .LBB192_566
; %bb.388:
	s_or_b64 exec, exec, s[14:15]
	v_cmp_gt_u32_e64 s[10:11], 48, v1
	s_and_saveexec_b64 s[14:15], s[10:11]
	s_cbranch_execnz .LBB192_567
.LBB192_389:
	s_or_b64 exec, exec, s[14:15]
	v_cmp_gt_u32_e64 s[10:11], 40, v1
	s_and_saveexec_b64 s[14:15], s[10:11]
	s_cbranch_execnz .LBB192_568
.LBB192_390:
	s_or_b64 exec, exec, s[14:15]
	v_cmp_gt_u32_e64 s[10:11], 32, v1
	s_and_saveexec_b64 s[14:15], s[10:11]
	s_cbranch_execnz .LBB192_569
.LBB192_391:
	s_or_b64 exec, exec, s[14:15]
	v_cmp_gt_u32_e64 s[10:11], 24, v1
	s_and_saveexec_b64 s[14:15], s[10:11]
	s_cbranch_execnz .LBB192_570
.LBB192_392:
	s_or_b64 exec, exec, s[14:15]
	v_cmp_gt_u32_e64 s[10:11], 16, v1
	s_and_saveexec_b64 s[14:15], s[10:11]
	s_cbranch_execnz .LBB192_571
.LBB192_393:
	s_or_b64 exec, exec, s[14:15]
	v_cmp_gt_u32_e64 s[10:11], 8, v1
	s_and_saveexec_b64 s[14:15], s[10:11]
	s_cbranch_execz .LBB192_395
.LBB192_394:
	v_lshlrev_b32_e32 v30, 4, v0
	v_mov_b32_e32 v26, 0
	ds_read_b128 v[26:29], v26 offset:8560
	ds_read_b128 v[30:33], v30 offset:12160
	s_waitcnt lgkmcnt(0)
	v_mul_f64 v[34:35], v[28:29], v[32:33]
	v_mul_f64 v[32:33], v[26:27], v[32:33]
	v_fma_f64 v[26:27], v[26:27], v[30:31], -v[34:35]
	v_fma_f64 v[28:29], v[28:29], v[30:31], v[32:33]
	v_add_f64 v[11:12], v[11:12], v[26:27]
	v_add_f64 v[13:14], v[13:14], v[28:29]
.LBB192_395:
	s_or_b64 exec, exec, s[14:15]
	v_xor_b32_e32 v12, 0x80000000, v12
	v_xor_b32_e32 v14, 0x80000000, v14
.LBB192_396:
	s_or_b64 exec, exec, s[12:13]
	s_and_saveexec_b64 s[10:11], s[0:1]
	s_cbranch_execz .LBB192_398
; %bb.397:
	v_mov_b32_e32 v26, 0
	ds_read_b128 v[26:29], v26 offset:12672
	s_waitcnt lgkmcnt(0)
	v_mul_f64 v[30:31], v[13:14], v[28:29]
	v_mul_f64 v[28:29], v[11:12], v[28:29]
	v_fma_f64 v[11:12], v[11:12], v[26:27], -v[30:31]
	v_fma_f64 v[13:14], v[13:14], v[26:27], v[28:29]
	ds_write_b128 v25, v[11:14]
.LBB192_398:
	s_or_b64 exec, exec, s[10:11]
	s_waitcnt lgkmcnt(0)
	s_barrier
	s_and_saveexec_b64 s[10:11], s[64:65]
	s_cbranch_execz .LBB192_400
; %bb.399:
	ds_read_b128 v[26:29], v25
	ds_read_b128 v[30:33], v24 offset:12672
	s_waitcnt lgkmcnt(0)
	v_mul_f64 v[34:35], v[28:29], v[32:33]
	v_mul_f64 v[32:33], v[26:27], v[32:33]
	v_fma_f64 v[26:27], v[26:27], v[30:31], -v[34:35]
	v_fma_f64 v[28:29], v[28:29], v[30:31], v[32:33]
	v_add_f64 v[11:12], v[11:12], v[26:27]
	v_add_f64 v[13:14], v[13:14], v[28:29]
.LBB192_400:
	s_or_b64 exec, exec, s[10:11]
	s_barrier
	s_and_saveexec_b64 s[10:11], s[66:67]
	s_cbranch_execz .LBB192_402
; %bb.401:
	v_mov_b32_e32 v26, 0
	ds_read_b128 v[26:29], v26 offset:13200
	s_waitcnt lgkmcnt(0)
	v_mul_f64 v[30:31], v[13:14], v[28:29]
	v_mul_f64 v[28:29], v[11:12], v[28:29]
	v_fma_f64 v[11:12], v[11:12], v[26:27], -v[30:31]
	v_fma_f64 v[13:14], v[13:14], v[26:27], v[28:29]
	ds_write_b128 v25, v[11:14]
.LBB192_402:
	s_or_b64 exec, exec, s[10:11]
	s_waitcnt lgkmcnt(0)
	s_barrier
	s_and_saveexec_b64 s[10:11], s[68:69]
	s_cbranch_execz .LBB192_404
; %bb.403:
	ds_read_b128 v[26:29], v25
	ds_read_b128 v[30:33], v24 offset:13184
	s_waitcnt lgkmcnt(0)
	v_mul_f64 v[34:35], v[28:29], v[32:33]
	v_mul_f64 v[32:33], v[26:27], v[32:33]
	v_fma_f64 v[26:27], v[26:27], v[30:31], -v[34:35]
	v_fma_f64 v[28:29], v[28:29], v[30:31], v[32:33]
	v_add_f64 v[11:12], v[11:12], v[26:27]
	v_add_f64 v[13:14], v[13:14], v[28:29]
.LBB192_404:
	s_or_b64 exec, exec, s[10:11]
	s_barrier
	;; [unrolled: 30-line block ×6, first 2 shown]
	s_and_saveexec_b64 s[10:11], s[86:87]
	s_cbranch_execz .LBB192_422
; %bb.421:
	v_mov_b32_e32 v24, 0
	ds_read_b128 v[26:29], v24 offset:15840
	s_waitcnt lgkmcnt(0)
	v_mul_f64 v[30:31], v[13:14], v[28:29]
	v_mul_f64 v[28:29], v[11:12], v[28:29]
	v_fma_f64 v[11:12], v[11:12], v[26:27], -v[30:31]
	v_fma_f64 v[13:14], v[13:14], v[26:27], v[28:29]
	ds_write_b128 v25, v[11:14]
.LBB192_422:
	s_or_b64 exec, exec, s[10:11]
	s_waitcnt lgkmcnt(0)
	s_barrier
	s_and_saveexec_b64 s[10:11], s[60:61]
	s_cbranch_execz .LBB192_424
; %bb.423:
	v_mov_b32_e32 v24, 0
	ds_read_b128 v[26:29], v25
	ds_read_b128 v[30:33], v24 offset:15856
	s_waitcnt lgkmcnt(0)
	v_mul_f64 v[34:35], v[28:29], v[32:33]
	v_mul_f64 v[32:33], v[26:27], v[32:33]
	v_fma_f64 v[26:27], v[26:27], v[30:31], -v[34:35]
	v_fma_f64 v[28:29], v[28:29], v[30:31], v[32:33]
	v_add_f64 v[11:12], v[11:12], v[26:27]
	v_add_f64 v[13:14], v[13:14], v[28:29]
.LBB192_424:
	s_or_b64 exec, exec, s[10:11]
	s_barrier
	s_and_saveexec_b64 s[10:11], s[60:61]
	s_cbranch_execz .LBB192_426
; %bb.425:
	v_mov_b32_e32 v24, 0
	ds_read_b128 v[26:29], v24 offset:16368
	s_waitcnt lgkmcnt(0)
	v_mul_f64 v[30:31], v[13:14], v[28:29]
	v_mul_f64 v[28:29], v[11:12], v[28:29]
	v_fma_f64 v[11:12], v[11:12], v[26:27], -v[30:31]
	v_fma_f64 v[13:14], v[13:14], v[26:27], v[28:29]
	ds_write_b128 v25, v[11:14]
.LBB192_426:
	s_or_b64 exec, exec, s[10:11]
	s_waitcnt lgkmcnt(0)
	s_barrier
	s_barrier
	s_and_saveexec_b64 s[10:11], s[8:9]
; %bb.427:
	v_xor_b32_e32 v12, 0x80000000, v12
	v_xor_b32_e32 v14, 0x80000000, v14
	ds_write_b128 v23, v[11:14] offset:8576
; %bb.428:
	s_or_b64 exec, exec, s[10:11]
	s_waitcnt lgkmcnt(0)
	s_barrier
	s_barrier
	s_and_saveexec_b64 s[8:9], s[88:89]
	s_cbranch_execz .LBB192_430
; %bb.429:
	v_lshlrev_b32_e32 v23, 9, v0
	ds_read_b128 v[11:14], v23 offset:8576
	s_movk_i32 s0, 0xfe10
	v_mad_i32_i24 v24, v0, s0, v23
	s_waitcnt lgkmcnt(0)
	ds_write_b128 v24, v[11:14] offset:12544
	ds_read_b128 v[11:14], v23 offset:8592
	s_waitcnt lgkmcnt(0)
	ds_write_b128 v24, v[11:14] offset:13056
	ds_read_b128 v[11:14], v23 offset:8608
	;; [unrolled: 3-line block ×7, first 2 shown]
	s_waitcnt lgkmcnt(0)
	ds_write_b128 v24, v[11:14] offset:16128
.LBB192_430:
	s_or_b64 exec, exec, s[8:9]
	s_waitcnt lgkmcnt(0)
	s_barrier
	s_and_saveexec_b64 s[8:9], vcc
	s_cbranch_execz .LBB192_432
; %bb.431:
	v_mov_b32_e32 v33, 0
	ds_read_b128 v[11:14], v33 offset:13200
	ds_read_b128 v[23:26], v33 offset:12672
	;; [unrolled: 1-line block ×3, first 2 shown]
	s_waitcnt lgkmcnt(1)
	v_mul_f64 v[31:32], v[11:12], v[25:26]
	v_mul_f64 v[25:26], v[13:14], v[25:26]
	v_fma_f64 v[13:14], v[13:14], v[23:24], v[31:32]
	v_fma_f64 v[11:12], v[11:12], v[23:24], -v[25:26]
	s_waitcnt lgkmcnt(0)
	v_mul_f64 v[23:24], v[13:14], v[29:30]
	v_mul_f64 v[25:26], v[11:12], v[29:30]
	v_fma_f64 v[11:12], v[27:28], v[11:12], -v[23:24]
	v_fma_f64 v[13:14], v[27:28], v[13:14], v[25:26]
	ds_write_b128 v33, v[11:14] offset:12688
	ds_write_b128 v33, v[11:14] offset:13184
.LBB192_432:
	s_or_b64 exec, exec, s[8:9]
	v_mov_b32_e32 v13, 0
	v_mov_b32_e32 v11, 0
	;; [unrolled: 1-line block ×4, first 2 shown]
	s_waitcnt lgkmcnt(0)
	s_barrier
	s_and_saveexec_b64 s[10:11], s[2:3]
	s_cbranch_execz .LBB192_436
; %bb.433:
	v_mul_u32_u24_e32 v11, 0x210, v17
	ds_read_b128 v[11:14], v11 offset:12672
	ds_read_b128 v[23:26], v15 offset:12704
	v_cmp_gt_u32_e64 s[8:9], 2, v1
	s_waitcnt lgkmcnt(0)
	v_mul_f64 v[27:28], v[13:14], v[25:26]
	v_mul_f64 v[25:26], v[11:12], v[25:26]
	v_fma_f64 v[11:12], v[11:12], v[23:24], -v[27:28]
	v_fma_f64 v[13:14], v[13:14], v[23:24], v[25:26]
	v_add_f64 v[11:12], v[11:12], 0
	v_add_f64 v[13:14], v[13:14], 0
	s_and_saveexec_b64 s[12:13], s[8:9]
	s_cbranch_execz .LBB192_435
; %bb.434:
	v_lshlrev_b32_e32 v27, 4, v0
	v_mov_b32_e32 v23, 0
	ds_read_b128 v[23:26], v23 offset:12688
	ds_read_b128 v[27:30], v27 offset:13216
	s_waitcnt lgkmcnt(0)
	v_mul_f64 v[31:32], v[25:26], v[29:30]
	v_mul_f64 v[29:30], v[23:24], v[29:30]
	v_fma_f64 v[23:24], v[23:24], v[27:28], -v[31:32]
	v_fma_f64 v[25:26], v[25:26], v[27:28], v[29:30]
	v_add_f64 v[11:12], v[11:12], v[23:24]
	v_add_f64 v[13:14], v[13:14], v[25:26]
.LBB192_435:
	s_or_b64 exec, exec, s[12:13]
	v_xor_b32_e32 v12, 0x80000000, v12
	v_xor_b32_e32 v14, 0x80000000, v14
.LBB192_436:
	s_or_b64 exec, exec, s[10:11]
	s_and_saveexec_b64 s[8:9], s[42:43]
	s_cbranch_execz .LBB192_438
; %bb.437:
	v_mov_b32_e32 v23, 0
	ds_read_b128 v[23:26], v23 offset:13728
	s_waitcnt lgkmcnt(0)
	v_mul_f64 v[27:28], v[13:14], v[25:26]
	v_mul_f64 v[25:26], v[11:12], v[25:26]
	v_fma_f64 v[11:12], v[11:12], v[23:24], -v[27:28]
	v_fma_f64 v[13:14], v[13:14], v[23:24], v[25:26]
	ds_write_b128 v16, v[11:14]
.LBB192_438:
	s_or_b64 exec, exec, s[8:9]
	s_waitcnt lgkmcnt(0)
	s_barrier
	s_and_saveexec_b64 s[8:9], s[40:41]
	s_cbranch_execz .LBB192_440
; %bb.439:
	v_mov_b32_e32 v27, 0
	ds_read_b128 v[23:26], v16
	ds_read_b128 v[27:30], v27 offset:13744
	s_waitcnt lgkmcnt(0)
	v_mul_f64 v[31:32], v[25:26], v[29:30]
	v_mul_f64 v[29:30], v[23:24], v[29:30]
	v_fma_f64 v[23:24], v[23:24], v[27:28], -v[31:32]
	v_fma_f64 v[25:26], v[25:26], v[27:28], v[29:30]
	v_add_f64 v[11:12], v[11:12], v[23:24]
	v_add_f64 v[13:14], v[13:14], v[25:26]
.LBB192_440:
	s_or_b64 exec, exec, s[8:9]
	s_barrier
	s_and_saveexec_b64 s[8:9], s[40:41]
	s_cbranch_execz .LBB192_442
; %bb.441:
	v_mov_b32_e32 v23, 0
	ds_read_b128 v[23:26], v23 offset:14256
	s_waitcnt lgkmcnt(0)
	v_mul_f64 v[27:28], v[13:14], v[25:26]
	v_mul_f64 v[25:26], v[11:12], v[25:26]
	v_fma_f64 v[11:12], v[11:12], v[23:24], -v[27:28]
	v_fma_f64 v[13:14], v[13:14], v[23:24], v[25:26]
	ds_write_b128 v16, v[11:14]
.LBB192_442:
	s_or_b64 exec, exec, s[8:9]
	s_waitcnt lgkmcnt(0)
	s_barrier
	s_barrier
	s_and_saveexec_b64 s[8:9], s[2:3]
; %bb.443:
	v_xor_b32_e32 v12, 0x80000000, v12
	v_xor_b32_e32 v14, 0x80000000, v14
	ds_write_b128 v15, v[11:14] offset:12704
; %bb.444:
	s_or_b64 exec, exec, s[8:9]
	s_waitcnt lgkmcnt(0)
	s_barrier
	s_barrier
	s_and_saveexec_b64 s[8:9], s[44:45]
	s_cbranch_execz .LBB192_446
; %bb.445:
	v_lshlrev_b32_e32 v23, 9, v0
	ds_read_b128 v[11:14], v23 offset:12704
	s_movk_i32 s0, 0xfe10
	v_mad_i32_i24 v24, v0, s0, v23
	s_waitcnt lgkmcnt(0)
	ds_write_b128 v24, v[11:14] offset:13696
	ds_read_b128 v[11:14], v23 offset:12720
	s_waitcnt lgkmcnt(0)
	ds_write_b128 v24, v[11:14] offset:14208
.LBB192_446:
	s_or_b64 exec, exec, s[8:9]
	s_waitcnt lgkmcnt(0)
	s_barrier
	s_and_saveexec_b64 s[8:9], vcc
	s_cbranch_execz .LBB192_448
; %bb.447:
	v_mov_b32_e32 v33, 0
	ds_read_b128 v[11:14], v33 offset:14256
	ds_read_b128 v[23:26], v33 offset:13728
	;; [unrolled: 1-line block ×3, first 2 shown]
	s_waitcnt lgkmcnt(1)
	v_mul_f64 v[31:32], v[11:12], v[25:26]
	v_mul_f64 v[25:26], v[13:14], v[25:26]
	v_fma_f64 v[13:14], v[13:14], v[23:24], v[31:32]
	v_fma_f64 v[11:12], v[11:12], v[23:24], -v[25:26]
	s_waitcnt lgkmcnt(0)
	v_mul_f64 v[23:24], v[13:14], v[29:30]
	v_mul_f64 v[25:26], v[11:12], v[29:30]
	v_fma_f64 v[11:12], v[27:28], v[11:12], -v[23:24]
	v_fma_f64 v[13:14], v[27:28], v[13:14], v[25:26]
	ds_write_b128 v33, v[11:14] offset:13744
	ds_write_b128 v33, v[11:14] offset:14240
.LBB192_448:
	s_or_b64 exec, exec, s[8:9]
	v_mov_b32_e32 v13, 0
	v_mov_b32_e32 v11, 0
	;; [unrolled: 1-line block ×4, first 2 shown]
	s_waitcnt lgkmcnt(0)
	s_barrier
	s_and_saveexec_b64 s[10:11], s[16:17]
	s_cbranch_execz .LBB192_454
; %bb.449:
	v_mul_u32_u24_e32 v23, 0x210, v22
	ds_read_b128 v[11:14], v23 offset:12672
	ds_read_b128 v[24:27], v18 offset:12736
	v_cmp_gt_u32_e64 s[8:9], 12, v1
	s_waitcnt lgkmcnt(0)
	v_mul_f64 v[28:29], v[13:14], v[26:27]
	v_mul_f64 v[26:27], v[11:12], v[26:27]
	v_fma_f64 v[11:12], v[11:12], v[24:25], -v[28:29]
	v_fma_f64 v[13:14], v[13:14], v[24:25], v[26:27]
	v_add_f64 v[11:12], v[11:12], 0
	v_add_f64 v[13:14], v[13:14], 0
	s_and_saveexec_b64 s[12:13], s[8:9]
	s_cbranch_execnz .LBB192_572
; %bb.450:
	s_or_b64 exec, exec, s[12:13]
	v_cmp_gt_u32_e64 s[8:9], 8, v1
	s_and_saveexec_b64 s[12:13], s[8:9]
	s_cbranch_execnz .LBB192_573
.LBB192_451:
	s_or_b64 exec, exec, s[12:13]
	v_cmp_gt_u32_e64 s[8:9], 4, v1
	s_and_saveexec_b64 s[12:13], s[8:9]
	s_cbranch_execz .LBB192_453
.LBB192_452:
	v_lshlrev_b32_e32 v25, 4, v0
	v_mov_b32_e32 v21, 0
	ds_read_b128 v[21:24], v21 offset:12720
	ds_read_b128 v[25:28], v25 offset:14272
	s_waitcnt lgkmcnt(0)
	v_mul_f64 v[29:30], v[23:24], v[27:28]
	v_mul_f64 v[27:28], v[21:22], v[27:28]
	v_fma_f64 v[21:22], v[21:22], v[25:26], -v[29:30]
	v_fma_f64 v[23:24], v[23:24], v[25:26], v[27:28]
	v_add_f64 v[11:12], v[11:12], v[21:22]
	v_add_f64 v[13:14], v[13:14], v[23:24]
.LBB192_453:
	s_or_b64 exec, exec, s[12:13]
	v_xor_b32_e32 v12, 0x80000000, v12
	v_xor_b32_e32 v14, 0x80000000, v14
.LBB192_454:
	s_or_b64 exec, exec, s[10:11]
	s_and_saveexec_b64 s[8:9], s[48:49]
	s_cbranch_execz .LBB192_456
; %bb.455:
	v_mov_b32_e32 v21, 0
	ds_read_b128 v[21:24], v21 offset:14784
	s_waitcnt lgkmcnt(0)
	v_mul_f64 v[25:26], v[13:14], v[23:24]
	v_mul_f64 v[23:24], v[11:12], v[23:24]
	v_fma_f64 v[11:12], v[11:12], v[21:22], -v[25:26]
	v_fma_f64 v[13:14], v[13:14], v[21:22], v[23:24]
	ds_write_b128 v20, v[11:14]
.LBB192_456:
	s_or_b64 exec, exec, s[8:9]
	s_waitcnt lgkmcnt(0)
	s_barrier
	s_and_saveexec_b64 s[8:9], s[50:51]
	v_readlane_b32 s48, v43, 1
	v_readlane_b32 s49, v43, 2
	s_cbranch_execz .LBB192_458
; %bb.457:
	ds_read_b128 v[21:24], v20
	ds_read_b128 v[25:28], v19 offset:14784
	s_waitcnt lgkmcnt(0)
	v_mul_f64 v[29:30], v[23:24], v[27:28]
	v_mul_f64 v[27:28], v[21:22], v[27:28]
	v_fma_f64 v[21:22], v[21:22], v[25:26], -v[29:30]
	v_fma_f64 v[23:24], v[23:24], v[25:26], v[27:28]
	v_add_f64 v[11:12], v[11:12], v[21:22]
	v_add_f64 v[13:14], v[13:14], v[23:24]
.LBB192_458:
	s_or_b64 exec, exec, s[8:9]
	s_barrier
	s_and_saveexec_b64 s[8:9], s[52:53]
	s_cbranch_execz .LBB192_460
; %bb.459:
	v_mov_b32_e32 v21, 0
	ds_read_b128 v[21:24], v21 offset:15312
	s_waitcnt lgkmcnt(0)
	v_mul_f64 v[25:26], v[13:14], v[23:24]
	v_mul_f64 v[23:24], v[11:12], v[23:24]
	v_fma_f64 v[11:12], v[11:12], v[21:22], -v[25:26]
	v_fma_f64 v[13:14], v[13:14], v[21:22], v[23:24]
	ds_write_b128 v20, v[11:14]
.LBB192_460:
	s_or_b64 exec, exec, s[8:9]
	s_waitcnt lgkmcnt(0)
	s_barrier
	s_and_saveexec_b64 s[8:9], s[54:55]
	s_cbranch_execz .LBB192_462
; %bb.461:
	ds_read_b128 v[21:24], v20
	ds_read_b128 v[25:28], v19 offset:15296
	s_waitcnt lgkmcnt(0)
	v_mul_f64 v[29:30], v[23:24], v[27:28]
	v_mul_f64 v[27:28], v[21:22], v[27:28]
	v_fma_f64 v[21:22], v[21:22], v[25:26], -v[29:30]
	v_fma_f64 v[23:24], v[23:24], v[25:26], v[27:28]
	v_add_f64 v[11:12], v[11:12], v[21:22]
	v_add_f64 v[13:14], v[13:14], v[23:24]
.LBB192_462:
	s_or_b64 exec, exec, s[8:9]
	s_barrier
	s_and_saveexec_b64 s[8:9], s[56:57]
	s_cbranch_execz .LBB192_464
; %bb.463:
	v_mov_b32_e32 v19, 0
	ds_read_b128 v[21:24], v19 offset:15840
	s_waitcnt lgkmcnt(0)
	v_mul_f64 v[25:26], v[13:14], v[23:24]
	v_mul_f64 v[23:24], v[11:12], v[23:24]
	v_fma_f64 v[11:12], v[11:12], v[21:22], -v[25:26]
	v_fma_f64 v[13:14], v[13:14], v[21:22], v[23:24]
	ds_write_b128 v20, v[11:14]
.LBB192_464:
	s_or_b64 exec, exec, s[8:9]
	s_waitcnt lgkmcnt(0)
	s_barrier
	s_and_saveexec_b64 s[8:9], s[46:47]
	s_cbranch_execz .LBB192_466
; %bb.465:
	v_mov_b32_e32 v19, 0
	ds_read_b128 v[21:24], v20
	ds_read_b128 v[25:28], v19 offset:15856
	s_waitcnt lgkmcnt(0)
	v_mul_f64 v[29:30], v[23:24], v[27:28]
	v_mul_f64 v[27:28], v[21:22], v[27:28]
	v_fma_f64 v[21:22], v[21:22], v[25:26], -v[29:30]
	v_fma_f64 v[23:24], v[23:24], v[25:26], v[27:28]
	v_add_f64 v[11:12], v[11:12], v[21:22]
	v_add_f64 v[13:14], v[13:14], v[23:24]
.LBB192_466:
	s_or_b64 exec, exec, s[8:9]
	s_barrier
	s_and_saveexec_b64 s[8:9], s[46:47]
	s_cbranch_execz .LBB192_468
; %bb.467:
	v_mov_b32_e32 v19, 0
	ds_read_b128 v[21:24], v19 offset:16368
	s_waitcnt lgkmcnt(0)
	v_mul_f64 v[25:26], v[13:14], v[23:24]
	v_mul_f64 v[23:24], v[11:12], v[23:24]
	v_fma_f64 v[11:12], v[11:12], v[21:22], -v[25:26]
	v_fma_f64 v[13:14], v[13:14], v[21:22], v[23:24]
	ds_write_b128 v20, v[11:14]
.LBB192_468:
	s_or_b64 exec, exec, s[8:9]
	s_waitcnt lgkmcnt(0)
	s_barrier
	s_barrier
	s_and_saveexec_b64 s[8:9], s[16:17]
; %bb.469:
	v_xor_b32_e32 v14, 0x80000000, v14
	v_xor_b32_e32 v12, 0x80000000, v12
	ds_write_b128 v18, v[11:14] offset:12736
; %bb.470:
	s_or_b64 exec, exec, s[8:9]
	s_waitcnt lgkmcnt(0)
	s_barrier
	s_barrier
	s_and_saveexec_b64 s[8:9], s[58:59]
	s_cbranch_execz .LBB192_472
; %bb.471:
	v_lshlrev_b32_e32 v18, 4, v0
	s_movk_i32 s0, 0x1f0
	v_mad_u32_u24 v19, v0, s0, v18
	ds_read_b128 v[11:14], v19 offset:12736
	s_waitcnt lgkmcnt(0)
	ds_write_b128 v18, v[11:14] offset:14720
	ds_read_b128 v[11:14], v19 offset:12752
	s_waitcnt lgkmcnt(0)
	ds_write_b128 v18, v[11:14] offset:15232
	;; [unrolled: 3-line block ×4, first 2 shown]
.LBB192_472:
	s_or_b64 exec, exec, s[8:9]
	s_waitcnt lgkmcnt(0)
	s_barrier
	s_and_saveexec_b64 s[8:9], vcc
	s_cbranch_execz .LBB192_474
; %bb.473:
	v_mov_b32_e32 v28, 0
	ds_read_b128 v[11:14], v28 offset:15312
	ds_read_b128 v[18:21], v28 offset:14784
	;; [unrolled: 1-line block ×3, first 2 shown]
	s_waitcnt lgkmcnt(1)
	v_mul_f64 v[26:27], v[11:12], v[20:21]
	v_mul_f64 v[20:21], v[13:14], v[20:21]
	v_fma_f64 v[13:14], v[13:14], v[18:19], v[26:27]
	v_fma_f64 v[11:12], v[11:12], v[18:19], -v[20:21]
	s_waitcnt lgkmcnt(0)
	v_mul_f64 v[18:19], v[13:14], v[24:25]
	v_mul_f64 v[20:21], v[11:12], v[24:25]
	v_fma_f64 v[11:12], v[22:23], v[11:12], -v[18:19]
	v_fma_f64 v[13:14], v[22:23], v[13:14], v[20:21]
	ds_write_b128 v28, v[11:14] offset:14800
	ds_write_b128 v28, v[11:14] offset:15296
.LBB192_474:
	s_or_b64 exec, exec, s[8:9]
	v_mov_b32_e32 v13, 0
	v_mov_b32_e32 v11, 0
	;; [unrolled: 1-line block ×4, first 2 shown]
	s_waitcnt lgkmcnt(0)
	s_barrier
	s_and_saveexec_b64 s[10:11], s[2:3]
	s_cbranch_execz .LBB192_478
; %bb.475:
	v_mul_u32_u24_e32 v11, 0x210, v17
	ds_read_b128 v[11:14], v11 offset:14784
	ds_read_b128 v[17:20], v15 offset:14816
	v_cmp_gt_u32_e64 s[8:9], 2, v1
	s_waitcnt lgkmcnt(0)
	v_mul_f64 v[21:22], v[13:14], v[19:20]
	v_mul_f64 v[19:20], v[11:12], v[19:20]
	v_fma_f64 v[11:12], v[11:12], v[17:18], -v[21:22]
	v_fma_f64 v[13:14], v[13:14], v[17:18], v[19:20]
	v_add_f64 v[11:12], v[11:12], 0
	v_add_f64 v[13:14], v[13:14], 0
	s_and_saveexec_b64 s[12:13], s[8:9]
	s_cbranch_execz .LBB192_477
; %bb.476:
	v_lshlrev_b32_e32 v21, 4, v0
	v_mov_b32_e32 v17, 0
	ds_read_b128 v[17:20], v17 offset:14800
	ds_read_b128 v[21:24], v21 offset:15328
	s_waitcnt lgkmcnt(0)
	v_mul_f64 v[25:26], v[19:20], v[23:24]
	v_mul_f64 v[23:24], v[17:18], v[23:24]
	v_fma_f64 v[17:18], v[17:18], v[21:22], -v[25:26]
	v_fma_f64 v[19:20], v[19:20], v[21:22], v[23:24]
	v_add_f64 v[11:12], v[11:12], v[17:18]
	v_add_f64 v[13:14], v[13:14], v[19:20]
.LBB192_477:
	s_or_b64 exec, exec, s[12:13]
	v_xor_b32_e32 v12, 0x80000000, v12
	v_xor_b32_e32 v14, 0x80000000, v14
.LBB192_478:
	s_or_b64 exec, exec, s[10:11]
	s_and_saveexec_b64 s[8:9], s[42:43]
	s_cbranch_execz .LBB192_480
; %bb.479:
	v_mov_b32_e32 v17, 0
	ds_read_b128 v[17:20], v17 offset:15840
	s_waitcnt lgkmcnt(0)
	v_mul_f64 v[21:22], v[13:14], v[19:20]
	v_mul_f64 v[19:20], v[11:12], v[19:20]
	v_fma_f64 v[11:12], v[11:12], v[17:18], -v[21:22]
	v_fma_f64 v[13:14], v[13:14], v[17:18], v[19:20]
	ds_write_b128 v16, v[11:14]
.LBB192_480:
	s_or_b64 exec, exec, s[8:9]
	s_waitcnt lgkmcnt(0)
	s_barrier
	s_and_saveexec_b64 s[8:9], s[40:41]
	s_load_dword s43, s[4:5], 0x74
	v_readlane_b32 s42, v43, 0
	s_cbranch_execz .LBB192_482
; %bb.481:
	v_mov_b32_e32 v21, 0
	ds_read_b128 v[17:20], v16
	ds_read_b128 v[21:24], v21 offset:15856
	s_waitcnt lgkmcnt(0)
	v_mul_f64 v[25:26], v[19:20], v[23:24]
	v_mul_f64 v[23:24], v[17:18], v[23:24]
	v_fma_f64 v[17:18], v[17:18], v[21:22], -v[25:26]
	v_fma_f64 v[19:20], v[19:20], v[21:22], v[23:24]
	v_add_f64 v[11:12], v[11:12], v[17:18]
	v_add_f64 v[13:14], v[13:14], v[19:20]
.LBB192_482:
	s_or_b64 exec, exec, s[8:9]
	s_waitcnt lgkmcnt(0)
	s_barrier
	s_and_saveexec_b64 s[8:9], s[40:41]
	s_cbranch_execz .LBB192_484
; %bb.483:
	v_mov_b32_e32 v17, 0
	ds_read_b128 v[17:20], v17 offset:16368
	s_waitcnt lgkmcnt(0)
	v_mul_f64 v[21:22], v[13:14], v[19:20]
	v_mul_f64 v[19:20], v[11:12], v[19:20]
	v_fma_f64 v[11:12], v[11:12], v[17:18], -v[21:22]
	v_fma_f64 v[13:14], v[13:14], v[17:18], v[19:20]
	ds_write_b128 v16, v[11:14]
.LBB192_484:
	s_or_b64 exec, exec, s[8:9]
	s_waitcnt lgkmcnt(0)
	s_barrier
	s_barrier
	s_and_saveexec_b64 s[8:9], s[2:3]
; %bb.485:
	v_xor_b32_e32 v12, 0x80000000, v12
	v_xor_b32_e32 v14, 0x80000000, v14
	ds_write_b128 v15, v[11:14] offset:14816
; %bb.486:
	s_or_b64 exec, exec, s[8:9]
	s_waitcnt lgkmcnt(0)
	s_barrier
	s_barrier
	s_and_saveexec_b64 s[2:3], s[44:45]
	s_cbranch_execz .LBB192_488
; %bb.487:
	v_lshlrev_b32_e32 v15, 9, v0
	ds_read_b128 v[11:14], v15 offset:14816
	s_movk_i32 s0, 0xfe10
	v_mad_i32_i24 v16, v0, s0, v15
	s_waitcnt lgkmcnt(0)
	ds_write_b128 v16, v[11:14] offset:15808
	ds_read_b128 v[11:14], v15 offset:14832
	s_waitcnt lgkmcnt(0)
	ds_write_b128 v16, v[11:14] offset:16320
.LBB192_488:
	s_or_b64 exec, exec, s[2:3]
	s_waitcnt lgkmcnt(0)
	s_barrier
	s_and_saveexec_b64 s[2:3], vcc
	s_cbranch_execz .LBB192_490
; %bb.489:
	v_mov_b32_e32 v25, 0
	ds_read_b128 v[11:14], v25 offset:16368
	ds_read_b128 v[15:18], v25 offset:15840
	;; [unrolled: 1-line block ×3, first 2 shown]
	s_waitcnt lgkmcnt(1)
	v_mul_f64 v[23:24], v[11:12], v[17:18]
	v_mul_f64 v[17:18], v[13:14], v[17:18]
	v_fma_f64 v[13:14], v[13:14], v[15:16], v[23:24]
	v_fma_f64 v[11:12], v[11:12], v[15:16], -v[17:18]
	s_waitcnt lgkmcnt(0)
	v_mul_f64 v[15:16], v[13:14], v[21:22]
	v_mul_f64 v[17:18], v[11:12], v[21:22]
	v_fma_f64 v[11:12], v[19:20], v[11:12], -v[15:16]
	v_fma_f64 v[13:14], v[19:20], v[13:14], v[17:18]
	ds_write_b128 v25, v[11:14] offset:15856
	ds_write_b128 v25, v[11:14] offset:16352
.LBB192_490:
	s_or_b64 exec, exec, s[2:3]
.LBB192_491:
	s_lshl_b64 s[0:1], s[26:27], 4
	s_add_u32 s26, s38, s0
	v_cmp_le_i32_e32 vcc, s95, v0
	s_addc_u32 s27, s39, s1
	s_and_b64 s[16:17], vcc, s[34:35]
	v_cmp_eq_u32_e64 s[2:3], 0, v2
	s_xor_b64 s[0:1], s[16:17], -1
	v_mov_b32_e32 v13, 0
	v_mov_b32_e32 v11, 0
	s_and_b64 s[0:1], s[2:3], s[0:1]
	v_mov_b32_e32 v14, 0
	v_mov_b32_e32 v12, 0
	v_add_u32_e32 v16, s33, v0
	s_waitcnt lgkmcnt(0)
	s_barrier
	s_and_saveexec_b64 s[8:9], s[0:1]
	s_cbranch_execz .LBB192_493
; %bb.492:
	v_ashrrev_i32_e32 v13, 31, v16
	v_mul_lo_u32 v14, s25, v16
	v_mad_u64_u32 v[11:12], s[0:1], s24, v16, 0
	v_mul_lo_u32 v13, s24, v13
	v_add3_u32 v12, v12, v13, v14
	v_lshlrev_b64 v[11:12], 4, v[11:12]
	v_mov_b32_e32 v13, s27
	v_add_co_u32_e32 v11, vcc, s26, v11
	v_addc_co_u32_e32 v12, vcc, v13, v12, vcc
	flat_load_dwordx4 v[11:14], v[11:12]
	s_waitcnt vmcnt(0) lgkmcnt(0)
	v_mul_f64 v[17:18], s[20:21], v[11:12]
	v_mul_f64 v[19:20], s[20:21], v[13:14]
	v_fma_f64 v[13:14], s[22:23], v[13:14], -v[17:18]
	v_fma_f64 v[11:12], v[11:12], -s[22:23], -v[19:20]
.LBB192_493:
	s_or_b64 exec, exec, s[8:9]
	s_load_dwordx2 s[14:15], s[4:5], 0x58
	s_and_b32 s0, 0xffff, s43
	v_mad_u32_u24 v23, v2, s0, v0
	v_mov_b32_e32 v15, 0
	s_cmp_lt_i32 s6, 1
	v_cmp_eq_u32_e64 s[4:5], 0, v23
	s_cbranch_scc1 .LBB192_516
; %bb.494:
	v_ashrrev_i32_e32 v19, 31, v16
	v_mul_lo_u32 v20, s37, v16
	v_mad_u64_u32 v[17:18], s[0:1], s36, v16, 0
	v_mul_lo_u32 v19, s36, v19
	s_lshl_b64 s[8:9], s[28:29], 2
	s_waitcnt lgkmcnt(0)
	s_add_u32 s18, s14, s8
	s_addc_u32 s19, s15, s9
	v_add3_u32 v18, v18, v19, v20
	v_cmp_gt_i32_e64 s[8:9], s30, v16
	v_lshlrev_b64 v[16:17], 4, v[17:18]
	v_mov_b32_e32 v19, 0x6000
	v_mov_b32_e32 v18, s62
	v_add_co_u32_e32 v26, vcc, s94, v16
	s_mov_b32 s0, 0
	v_cmp_gt_u32_e64 s[12:13], 32, v23
	v_lshl_add_u32 v24, v23, 4, v19
	v_lshl_or_b32 v25, v2, 4, v19
	s_add_i32 s63, s63, 1
	v_addc_co_u32_e32 v27, vcc, v18, v17, vcc
	v_mov_b32_e32 v28, -1
	s_branch .LBB192_497
.LBB192_495:                            ;   in Loop: Header=BB192_497 Depth=1
	ds_read_b128 v[29:32], v25 offset:256
	s_waitcnt vmcnt(0) lgkmcnt(0)
	v_mul_f64 v[16:17], v[20:21], v[31:32]
	v_mul_f64 v[20:21], v[20:21], v[29:30]
	v_fma_f64 v[16:17], v[18:19], v[29:30], v[16:17]
	v_fma_f64 v[18:19], v[18:19], v[31:32], -v[20:21]
	v_add_f64 v[13:14], v[13:14], v[16:17]
	v_add_f64 v[11:12], v[11:12], v[18:19]
.LBB192_496:                            ;   in Loop: Header=BB192_497 Depth=1
	s_or_b64 exec, exec, s[20:21]
	s_add_i32 s0, s0, 1
	s_cmp_eq_u32 s0, s6
	s_cbranch_scc1 .LBB192_516
.LBB192_497:                            ; =>This Loop Header: Depth=1
                                        ;     Child Loop BB192_499 Depth 2
	v_cmp_gt_i32_e32 vcc, s0, v28
	s_and_b64 s[20:21], s[4:5], vcc
	s_and_saveexec_b64 s[10:11], s[20:21]
	s_cbranch_execz .LBB192_500
; %bb.498:                              ;   in Loop: Header=BB192_497 Depth=1
	global_load_dword v28, v15, s[18:19]
	s_waitcnt vmcnt(0)
	v_cmp_le_i32_e32 vcc, s0, v28
	s_cbranch_vccnz .LBB192_500
.LBB192_499:                            ;   Parent Loop BB192_497 Depth=1
                                        ; =>  This Inner Loop Header: Depth=2
	buffer_wbinvl1_vol
	global_load_dword v28, v15, s[18:19]
	s_waitcnt vmcnt(0)
	v_cmp_gt_i32_e32 vcc, s0, v28
	s_cbranch_vccnz .LBB192_499
.LBB192_500:                            ;   in Loop: Header=BB192_497 Depth=1
	s_or_b64 exec, exec, s[10:11]
	s_sub_i32 s1, s7, s0
	s_lshl_b32 s22, s1, 5
	buffer_wbinvl1_vol
	s_barrier
	s_and_saveexec_b64 s[10:11], s[12:13]
	s_cbranch_execz .LBB192_505
; %bb.501:                              ;   in Loop: Header=BB192_497 Depth=1
	s_ashr_i32 s20, s22, 31
	v_mov_b32_e32 v17, s20
	v_or_b32_e32 v16, s22, v23
	v_cmp_le_i64_e32 vcc, s[30:31], v[16:17]
	s_and_saveexec_b64 s[20:21], vcc
	s_xor_b64 s[20:21], exec, s[20:21]
; %bb.502:                              ;   in Loop: Header=BB192_497 Depth=1
	v_mov_b32_e32 v16, v15
	v_mov_b32_e32 v17, v15
	v_mov_b32_e32 v18, v15
	ds_write_b128 v24, v[15:18]
                                        ; implicit-def: $vgpr16_vgpr17
; %bb.503:                              ;   in Loop: Header=BB192_497 Depth=1
	s_andn2_saveexec_b64 s[20:21], s[20:21]
	s_cbranch_execz .LBB192_505
; %bb.504:                              ;   in Loop: Header=BB192_497 Depth=1
	v_mul_lo_u32 v18, v17, s24
	v_mul_lo_u32 v19, v16, s25
	v_mad_u64_u32 v[16:17], s[20:21], v16, s24, 0
	v_add3_u32 v17, v17, v19, v18
	v_lshlrev_b64 v[16:17], 4, v[16:17]
	v_mov_b32_e32 v18, s27
	v_add_co_u32_e32 v16, vcc, s26, v16
	v_addc_co_u32_e32 v17, vcc, v18, v17, vcc
	flat_load_dwordx4 v[16:19], v[16:17]
	s_waitcnt vmcnt(0) lgkmcnt(0)
	ds_write2_b64 v24, v[16:17], v[18:19] offset1:1
.LBB192_505:                            ;   in Loop: Header=BB192_497 Depth=1
	s_or_b64 exec, exec, s[10:11]
	v_add_u32_e32 v18, s22, v2
	v_ashrrev_i32_e32 v19, 31, v18
	v_lshlrev_b64 v[16:17], 4, v[18:19]
	s_cmp_lg_u32 s1, s63
	v_add_co_u32_e32 v16, vcc, v26, v16
	s_cselect_b64 s[10:11], -1, 0
	v_addc_co_u32_e32 v17, vcc, v27, v17, vcc
	v_cmp_gt_i32_e32 vcc, s30, v18
	v_cndmask_b32_e64 v19, 0, 1, s[10:11]
	s_and_b64 s[22:23], vcc, s[8:9]
	v_cmp_ne_u32_e64 s[10:11], 1, v19
	s_waitcnt lgkmcnt(0)
	s_barrier
	s_and_saveexec_b64 s[20:21], s[22:23]
	s_cbranch_execz .LBB192_511
; %bb.506:                              ;   in Loop: Header=BB192_497 Depth=1
	v_mov_b32_e32 v20, v8
	s_and_b64 vcc, exec, s[10:11]
	v_mov_b32_e32 v19, v7
	s_cbranch_vccnz .LBB192_508
; %bb.507:                              ;   in Loop: Header=BB192_497 Depth=1
	flat_load_dwordx2 v[19:20], v[16:17]
.LBB192_508:                            ;   in Loop: Header=BB192_497 Depth=1
	v_mov_b32_e32 v22, v10
	s_and_b64 vcc, exec, s[10:11]
	v_mov_b32_e32 v21, v9
	s_cbranch_vccnz .LBB192_510
; %bb.509:                              ;   in Loop: Header=BB192_497 Depth=1
	flat_load_dwordx2 v[21:22], v[16:17] offset:8
.LBB192_510:                            ;   in Loop: Header=BB192_497 Depth=1
	ds_read_b128 v[29:32], v25
	s_waitcnt vmcnt(0) lgkmcnt(0)
	v_mul_f64 v[33:34], v[21:22], v[31:32]
	v_mul_f64 v[21:22], v[21:22], v[29:30]
	v_fma_f64 v[29:30], v[19:20], v[29:30], v[33:34]
	v_fma_f64 v[19:20], v[19:20], v[31:32], -v[21:22]
	v_add_f64 v[13:14], v[13:14], v[29:30]
	v_add_f64 v[11:12], v[11:12], v[19:20]
.LBB192_511:                            ;   in Loop: Header=BB192_497 Depth=1
	s_or_b64 exec, exec, s[20:21]
	v_add_u32_e32 v18, 16, v18
	v_cmp_gt_i32_e32 vcc, s30, v18
	s_and_b64 s[22:23], vcc, s[8:9]
	s_and_saveexec_b64 s[20:21], s[22:23]
	s_cbranch_execz .LBB192_496
; %bb.512:                              ;   in Loop: Header=BB192_497 Depth=1
	v_mov_b32_e32 v19, v4
	s_and_b64 vcc, exec, s[10:11]
	v_mov_b32_e32 v18, v3
	s_cbranch_vccnz .LBB192_514
; %bb.513:                              ;   in Loop: Header=BB192_497 Depth=1
	flat_load_dwordx2 v[18:19], v[16:17] offset:256
.LBB192_514:                            ;   in Loop: Header=BB192_497 Depth=1
	v_mov_b32_e32 v21, v6
	s_and_b64 vcc, exec, s[10:11]
	v_mov_b32_e32 v20, v5
	s_cbranch_vccnz .LBB192_495
; %bb.515:                              ;   in Loop: Header=BB192_497 Depth=1
	flat_load_dwordx2 v[20:21], v[16:17] offset:264
	s_branch .LBB192_495
.LBB192_516:
	s_xor_b64 s[4:5], s[34:35], -1
	v_lshlrev_b32_e32 v1, 4, v1
	v_mov_b32_e32 v15, v11
	v_mov_b32_e32 v16, v12
	ds_write_b128 v1, v[13:16] offset:16384
	s_waitcnt lgkmcnt(0)
	s_barrier
	s_and_saveexec_b64 s[6:7], s[2:3]
	s_cbranch_execz .LBB192_518
; %bb.517:
	v_lshlrev_b32_e32 v15, 4, v0
	ds_read_b128 v[3:6], v15 offset:16896
	ds_read_b128 v[7:10], v15 offset:17408
	s_waitcnt lgkmcnt(1)
	v_add_f64 v[3:4], v[13:14], v[3:4]
	v_add_f64 v[5:6], v[11:12], v[5:6]
	s_waitcnt lgkmcnt(0)
	v_add_f64 v[11:12], v[3:4], v[7:8]
	v_add_f64 v[13:14], v[5:6], v[9:10]
	ds_read_b128 v[3:6], v15 offset:17920
	ds_read_b128 v[7:10], v15 offset:18432
	s_waitcnt lgkmcnt(1)
	v_add_f64 v[3:4], v[11:12], v[3:4]
	v_add_f64 v[5:6], v[13:14], v[5:6]
	s_waitcnt lgkmcnt(0)
	v_add_f64 v[11:12], v[3:4], v[7:8]
	v_add_f64 v[13:14], v[5:6], v[9:10]
	;; [unrolled: 8-line block ×7, first 2 shown]
	ds_read_b128 v[3:6], v15 offset:24064
	s_waitcnt lgkmcnt(0)
	v_add_f64 v[3:4], v[7:8], v[3:4]
	v_add_f64 v[5:6], v[9:10], v[5:6]
	v_xor_b32_e32 v4, 0x80000000, v4
	v_xor_b32_e32 v6, 0x80000000, v6
	v_cndmask_b32_e64 v13, v3, 0, s[16:17]
	v_cndmask_b32_e64 v14, v4, 0, s[16:17]
	;; [unrolled: 1-line block ×4, first 2 shown]
.LBB192_518:
	s_or_b64 exec, exec, s[6:7]
	s_and_b64 vcc, exec, s[48:49]
	s_cbranch_vccnz .LBB192_527
; %bb.519:
	v_mov_b32_e32 v3, 0x6000
	v_lshl_or_b32 v7, v2, 4, v3
	s_and_saveexec_b64 s[0:1], s[2:3]
; %bb.520:
	v_lshl_add_u32 v3, v0, 4, v7
	v_mov_b32_e32 v15, v11
	v_mov_b32_e32 v16, v12
	ds_write_b128 v3, v[13:16]
; %bb.521:
	s_or_b64 exec, exec, s[0:1]
	v_mov_b32_e32 v3, 0
	v_mov_b32_e32 v5, 0
	;; [unrolled: 1-line block ×4, first 2 shown]
	v_cmp_le_u32_e32 vcc, v0, v2
	s_waitcnt lgkmcnt(0)
	s_barrier
	s_and_saveexec_b64 s[0:1], vcc
	s_cbranch_execz .LBB192_523
; %bb.522:
	ds_read_b128 v[3:6], v7
	ds_read_b128 v[15:18], v1
	s_waitcnt lgkmcnt(0)
	v_mul_f64 v[8:9], v[5:6], v[17:18]
	v_mul_f64 v[17:18], v[3:4], v[17:18]
	v_fma_f64 v[3:4], v[3:4], v[15:16], -v[8:9]
	v_fma_f64 v[5:6], v[5:6], v[15:16], v[17:18]
	v_add_f64 v[3:4], v[3:4], 0
	v_add_f64 v[5:6], v[5:6], 0
.LBB192_523:
	s_or_b64 exec, exec, s[0:1]
	v_add_u32_e32 v2, 16, v2
	v_add_u32_e32 v8, 0x4000, v1
	v_cmp_le_u32_e32 vcc, v0, v2
	s_and_saveexec_b64 s[0:1], vcc
	s_cbranch_execz .LBB192_525
; %bb.524:
	ds_read_b128 v[15:18], v7 offset:256
	ds_read_b128 v[19:22], v1 offset:8192
	s_waitcnt lgkmcnt(0)
	v_mul_f64 v[1:2], v[17:18], v[21:22]
	v_mul_f64 v[9:10], v[15:16], v[21:22]
	v_fma_f64 v[1:2], v[15:16], v[19:20], -v[1:2]
	v_fma_f64 v[9:10], v[17:18], v[19:20], v[9:10]
	v_add_f64 v[3:4], v[3:4], v[1:2]
	v_add_f64 v[5:6], v[5:6], v[9:10]
.LBB192_525:
	s_or_b64 exec, exec, s[0:1]
	s_mov_b64 s[6:7], 0
	s_mov_b64 s[0:1], 0
	ds_write_b128 v8, v[3:6]
	s_waitcnt lgkmcnt(0)
	s_barrier
                                        ; implicit-def: $vgpr1_vgpr2
                                        ; implicit-def: $vgpr7_vgpr8
	s_and_saveexec_b64 s[8:9], s[2:3]
	s_cbranch_execz .LBB192_546
; %bb.526:
	v_lshlrev_b32_e32 v19, 4, v0
	ds_read_b128 v[7:10], v19 offset:16896
	ds_read_b128 v[15:18], v19 offset:17408
	s_mov_b64 s[0:1], exec
	s_waitcnt lgkmcnt(1)
	v_add_f64 v[1:2], v[3:4], v[7:8]
	v_add_f64 v[3:4], v[5:6], v[9:10]
	s_waitcnt lgkmcnt(0)
	v_add_f64 v[9:10], v[1:2], v[15:16]
	v_add_f64 v[15:16], v[3:4], v[17:18]
	ds_read_b128 v[1:4], v19 offset:17920
	ds_read_b128 v[5:8], v19 offset:18432
	s_waitcnt lgkmcnt(1)
	v_add_f64 v[1:2], v[9:10], v[1:2]
	v_add_f64 v[3:4], v[15:16], v[3:4]
	s_waitcnt lgkmcnt(0)
	v_add_f64 v[9:10], v[1:2], v[5:6]
	v_add_f64 v[15:16], v[3:4], v[7:8]
	ds_read_b128 v[1:4], v19 offset:18944
	ds_read_b128 v[5:8], v19 offset:19456
	;; [unrolled: 8-line block ×6, first 2 shown]
	s_waitcnt lgkmcnt(1)
	v_add_f64 v[1:2], v[9:10], v[1:2]
	v_add_f64 v[3:4], v[15:16], v[3:4]
	s_waitcnt lgkmcnt(0)
	v_add_f64 v[5:6], v[1:2], v[5:6]
	v_add_f64 v[9:10], v[3:4], v[7:8]
	ds_read_b128 v[1:4], v19 offset:24064
	s_waitcnt lgkmcnt(0)
	v_add_f64 v[7:8], v[5:6], v[1:2]
	v_add_f64 v[1:2], v[9:10], v[3:4]
	s_or_b64 exec, exec, s[8:9]
	s_and_b64 vcc, exec, s[6:7]
	s_cbranch_vccnz .LBB192_528
	s_branch .LBB192_547
.LBB192_527:
	s_mov_b64 s[0:1], 0
                                        ; implicit-def: $vgpr1_vgpr2
                                        ; implicit-def: $vgpr7_vgpr8
	s_cbranch_execz .LBB192_547
.LBB192_528:
	s_movk_i32 s6, 0x210
	v_lshlrev_b32_e32 v2, 9, v0
	v_mov_b32_e32 v3, 0x3c00
	v_mul_u32_u24_e32 v1, 0x210, v0
	v_sub_u32_e32 v2, 0, v2
	v_mad_u32_u24 v3, v0, s6, v3
	s_mov_b32 s8, 31
	s_movk_i32 s9, 0xc200
	v_mov_b32_e32 v4, 0
	s_branch .LBB192_530
.LBB192_529:                            ;   in Loop: Header=BB192_530 Depth=1
	s_or_b64 exec, exec, s[6:7]
	s_add_i32 s8, s8, -2
	s_cmp_lg_u32 s10, 0
	v_add_u32_e32 v2, 0xfffffc00, v2
	s_barrier
	s_cbranch_scc0 .LBB192_538
.LBB192_530:                            ; =>This Inner Loop Header: Depth=1
	v_cmp_eq_u32_e32 vcc, s9, v2
	s_and_b64 s[10:11], s[2:3], vcc
	s_and_saveexec_b64 s[6:7], s[10:11]
	s_cbranch_execz .LBB192_532
; %bb.531:                              ;   in Loop: Header=BB192_530 Depth=1
	ds_read_b128 v[5:8], v1
	s_waitcnt lgkmcnt(0)
	v_mul_f64 v[9:10], v[11:12], v[7:8]
	v_mul_f64 v[7:8], v[13:14], v[7:8]
	v_fma_f64 v[9:10], v[13:14], v[5:6], -v[9:10]
	v_fma_f64 v[11:12], v[11:12], v[5:6], v[7:8]
	v_mov_b32_e32 v14, v10
	v_mov_b32_e32 v13, v9
	ds_write_b128 v4, v[9:12] offset:25088
.LBB192_532:                            ;   in Loop: Header=BB192_530 Depth=1
	s_or_b64 exec, exec, s[6:7]
	v_cmp_gt_u32_e32 vcc, s8, v0
	s_and_b64 s[10:11], s[2:3], vcc
	v_add_u32_e32 v5, v3, v2
	s_waitcnt lgkmcnt(0)
	s_barrier
	s_and_saveexec_b64 s[6:7], s[10:11]
	s_cbranch_execz .LBB192_534
; %bb.533:                              ;   in Loop: Header=BB192_530 Depth=1
	ds_read_b128 v[6:9], v4 offset:25088
	ds_read_b128 v[15:18], v5 offset:512
	s_waitcnt lgkmcnt(0)
	v_mul_f64 v[19:20], v[8:9], v[17:18]
	v_mul_f64 v[17:18], v[6:7], v[17:18]
	v_fma_f64 v[6:7], v[6:7], v[15:16], -v[19:20]
	v_fma_f64 v[8:9], v[8:9], v[15:16], v[17:18]
	v_add_f64 v[13:14], v[13:14], v[6:7]
	v_add_f64 v[11:12], v[11:12], v[8:9]
.LBB192_534:                            ;   in Loop: Header=BB192_530 Depth=1
	s_or_b64 exec, exec, s[6:7]
	s_add_i32 s10, s8, -1
	v_cmp_eq_u32_e32 vcc, s10, v0
	s_and_b64 s[12:13], s[2:3], vcc
	s_barrier
	s_and_saveexec_b64 s[6:7], s[12:13]
	s_cbranch_execz .LBB192_536
; %bb.535:                              ;   in Loop: Header=BB192_530 Depth=1
	ds_read_b128 v[6:9], v1
	s_waitcnt lgkmcnt(0)
	v_mul_f64 v[15:16], v[11:12], v[8:9]
	v_mul_f64 v[17:18], v[13:14], v[8:9]
	v_fma_f64 v[9:10], v[13:14], v[6:7], -v[15:16]
	v_fma_f64 v[11:12], v[11:12], v[6:7], v[17:18]
	v_mov_b32_e32 v14, v10
	v_mov_b32_e32 v13, v9
	ds_write_b128 v4, v[9:12] offset:25088
.LBB192_536:                            ;   in Loop: Header=BB192_530 Depth=1
	s_or_b64 exec, exec, s[6:7]
	v_cmp_gt_u32_e32 vcc, s10, v0
	s_and_b64 s[12:13], s[2:3], vcc
	s_waitcnt lgkmcnt(0)
	s_barrier
	s_and_saveexec_b64 s[6:7], s[12:13]
	s_cbranch_execz .LBB192_529
; %bb.537:                              ;   in Loop: Header=BB192_530 Depth=1
	ds_read_b128 v[6:9], v4 offset:25088
	ds_read_b128 v[15:18], v5
	s_waitcnt lgkmcnt(0)
	v_mul_f64 v[19:20], v[8:9], v[17:18]
	v_mul_f64 v[17:18], v[6:7], v[17:18]
	v_fma_f64 v[5:6], v[6:7], v[15:16], -v[19:20]
	v_fma_f64 v[7:8], v[8:9], v[15:16], v[17:18]
	v_add_f64 v[13:14], v[13:14], v[5:6]
	v_add_f64 v[11:12], v[11:12], v[7:8]
	s_branch .LBB192_529
.LBB192_538:
	s_mov_b64 s[6:7], -1
	s_and_b64 vcc, exec, s[4:5]
	s_cbranch_vccnz .LBB192_548
; %bb.539:
	s_andn2_b64 vcc, exec, s[6:7]
	s_cbranch_vccz .LBB192_549
.LBB192_540:
	s_and_saveexec_b64 s[2:3], s[0:1]
	s_cbranch_execz .LBB192_542
.LBB192_541:
	v_mov_b32_e32 v0, s42
	v_add_co_u32_e32 v1, vcc, s33, v23
	v_addc_co_u32_e32 v0, vcc, 0, v0, vcc
	v_mul_lo_u32 v2, v0, s24
	v_mul_lo_u32 v3, v1, s25
	v_mad_u64_u32 v[0:1], s[0:1], v1, s24, 0
	v_mov_b32_e32 v15, v11
	v_mov_b32_e32 v16, v12
	v_add3_u32 v1, v1, v3, v2
	v_lshlrev_b64 v[0:1], 4, v[0:1]
	v_mov_b32_e32 v2, s27
	v_add_co_u32_e32 v0, vcc, s26, v0
	v_addc_co_u32_e32 v1, vcc, v2, v1, vcc
	flat_store_dwordx4 v[0:1], v[13:16]
.LBB192_542:
	s_or_b64 exec, exec, s[2:3]
	v_cmp_eq_u32_e32 vcc, 0, v23
	s_waitcnt vmcnt(0) lgkmcnt(0)
	buffer_wbinvl1_vol
	s_barrier
	s_and_saveexec_b64 s[0:1], vcc
	s_cbranch_execz .LBB192_544
; %bb.543:
	s_lshl_b64 s[2:3], s[28:29], 2
	s_add_u32 s2, s14, s2
	s_addc_u32 s3, s15, s3
	v_mov_b32_e32 v0, 0
	global_load_dword v1, v0, s[2:3]
	s_waitcnt vmcnt(0)
	v_add_u32_e32 v1, 1, v1
	global_store_dword v0, v1, s[2:3]
.LBB192_544:
	s_or_b64 exec, exec, s[0:1]
	s_waitcnt vmcnt(0)
	buffer_wbinvl1_vol
	s_endpgm
.LBB192_545:
                                        ; implicit-def: $vgpr5_vgpr6
                                        ; implicit-def: $vgpr9_vgpr10
                                        ; implicit-def: $sgpr33
	s_cbranch_execnz .LBB192_6
	s_branch .LBB192_7
.LBB192_546:
	s_or_b64 exec, exec, s[8:9]
	s_and_b64 vcc, exec, s[6:7]
	s_cbranch_vccnz .LBB192_528
.LBB192_547:
	v_mov_b32_e32 v12, v2
	v_mov_b32_e32 v14, v8
	;; [unrolled: 1-line block ×4, first 2 shown]
	s_and_saveexec_b64 s[2:3], s[0:1]
	s_cbranch_execnz .LBB192_541
	s_branch .LBB192_542
.LBB192_548:
	s_andn2_b64 s[0:1], s[0:1], exec
	s_and_b64 s[4:5], s[2:3], exec
	s_or_b64 s[0:1], s[0:1], s[4:5]
	s_cbranch_execnz .LBB192_540
.LBB192_549:
	v_cmp_gt_i32_e32 vcc, s95, v0
	s_and_b64 s[2:3], s[2:3], vcc
	s_andn2_b64 s[0:1], s[0:1], exec
	s_and_b64 s[2:3], s[2:3], exec
	s_or_b64 s[0:1], s[0:1], s[2:3]
	s_and_saveexec_b64 s[2:3], s[0:1]
	s_cbranch_execnz .LBB192_541
	s_branch .LBB192_542
.LBB192_550:
	v_lshlrev_b32_e32 v23, 4, v22
	v_sub_u32_e32 v23, v20, v23
	v_lshl_add_u32 v27, v21, 4, v23
	ds_read_b128 v[23:26], v20 offset:16
	ds_read_b128 v[27:30], v27 offset:576
	s_waitcnt lgkmcnt(0)
	v_mul_f64 v[31:32], v[25:26], v[29:30]
	v_mul_f64 v[29:30], v[23:24], v[29:30]
	v_fma_f64 v[23:24], v[23:24], v[27:28], -v[31:32]
	v_fma_f64 v[25:26], v[25:26], v[27:28], v[29:30]
	v_add_f64 v[11:12], v[11:12], v[23:24]
	v_add_f64 v[13:14], v[13:14], v[25:26]
	s_or_b64 exec, exec, s[18:19]
	v_cmp_gt_u32_e64 s[12:13], 8, v1
	s_and_saveexec_b64 s[18:19], s[12:13]
	s_cbranch_execz .LBB192_89
.LBB192_551:
	ds_read_b128 v[23:26], v20 offset:32
	ds_read_b128 v[27:30], v18 offset:1088
	s_waitcnt lgkmcnt(0)
	v_mul_f64 v[31:32], v[25:26], v[29:30]
	v_mul_f64 v[29:30], v[23:24], v[29:30]
	v_fma_f64 v[23:24], v[23:24], v[27:28], -v[31:32]
	v_fma_f64 v[25:26], v[25:26], v[27:28], v[29:30]
	v_add_f64 v[11:12], v[11:12], v[23:24]
	v_add_f64 v[13:14], v[13:14], v[25:26]
	s_or_b64 exec, exec, s[18:19]
	v_cmp_gt_u32_e64 s[12:13], 4, v1
	s_and_saveexec_b64 s[18:19], s[12:13]
	s_cbranch_execnz .LBB192_90
	s_branch .LBB192_91
.LBB192_552:
	v_lshlrev_b32_e32 v28, 4, v27
	v_sub_u32_e32 v28, v25, v28
	v_lshl_add_u32 v32, v26, 4, v28
	ds_read_b128 v[28:31], v25 offset:16
	ds_read_b128 v[32:35], v32 offset:640
	s_waitcnt lgkmcnt(0)
	v_mul_f64 v[36:37], v[30:31], v[34:35]
	v_mul_f64 v[34:35], v[28:29], v[34:35]
	v_fma_f64 v[28:29], v[28:29], v[32:33], -v[36:37]
	v_fma_f64 v[30:31], v[30:31], v[32:33], v[34:35]
	v_add_f64 v[11:12], v[11:12], v[28:29]
	v_add_f64 v[13:14], v[13:14], v[30:31]
	s_or_b64 exec, exec, s[60:61]
	v_cmp_gt_u32_e64 s[14:15], 48, v1
	s_and_saveexec_b64 s[60:61], s[14:15]
	s_cbranch_execz .LBB192_131
.LBB192_553:
	v_lshlrev_b32_e32 v28, 4, v27
	v_sub_u32_e32 v28, v25, v28
	v_lshl_add_u32 v32, v26, 4, v28
	ds_read_b128 v[28:31], v25 offset:32
	ds_read_b128 v[32:35], v32 offset:1152
	s_waitcnt lgkmcnt(0)
	v_mul_f64 v[36:37], v[30:31], v[34:35]
	v_mul_f64 v[34:35], v[28:29], v[34:35]
	v_fma_f64 v[28:29], v[28:29], v[32:33], -v[36:37]
	v_fma_f64 v[30:31], v[30:31], v[32:33], v[34:35]
	v_add_f64 v[11:12], v[11:12], v[28:29]
	v_add_f64 v[13:14], v[13:14], v[30:31]
	s_or_b64 exec, exec, s[60:61]
	v_cmp_gt_u32_e64 s[14:15], 40, v1
	s_and_saveexec_b64 s[60:61], s[14:15]
	s_cbranch_execz .LBB192_132
.LBB192_554:
	v_lshlrev_b32_e32 v28, 4, v27
	v_sub_u32_e32 v28, v25, v28
	v_lshl_add_u32 v32, v26, 4, v28
	ds_read_b128 v[28:31], v25 offset:48
	ds_read_b128 v[32:35], v32 offset:1664
	s_waitcnt lgkmcnt(0)
	v_mul_f64 v[36:37], v[30:31], v[34:35]
	v_mul_f64 v[34:35], v[28:29], v[34:35]
	v_fma_f64 v[28:29], v[28:29], v[32:33], -v[36:37]
	v_fma_f64 v[30:31], v[30:31], v[32:33], v[34:35]
	v_add_f64 v[11:12], v[11:12], v[28:29]
	v_add_f64 v[13:14], v[13:14], v[30:31]
	s_or_b64 exec, exec, s[60:61]
	v_cmp_gt_u32_e64 s[14:15], 32, v1
	s_and_saveexec_b64 s[60:61], s[14:15]
	s_cbranch_execz .LBB192_133
.LBB192_555:
	ds_read_b128 v[28:31], v25 offset:64
	ds_read_b128 v[32:35], v23 offset:2176
	s_waitcnt lgkmcnt(0)
	v_mul_f64 v[36:37], v[30:31], v[34:35]
	v_mul_f64 v[34:35], v[28:29], v[34:35]
	v_fma_f64 v[28:29], v[28:29], v[32:33], -v[36:37]
	v_fma_f64 v[30:31], v[30:31], v[32:33], v[34:35]
	v_add_f64 v[11:12], v[11:12], v[28:29]
	v_add_f64 v[13:14], v[13:14], v[30:31]
	s_or_b64 exec, exec, s[60:61]
	v_cmp_gt_u32_e64 s[14:15], 24, v1
	s_and_saveexec_b64 s[60:61], s[14:15]
	s_cbranch_execz .LBB192_134
.LBB192_556:
	v_lshlrev_b32_e32 v28, 4, v27
	v_sub_u32_e32 v28, v25, v28
	v_lshl_add_u32 v32, v26, 4, v28
	ds_read_b128 v[28:31], v25 offset:80
	ds_read_b128 v[32:35], v32 offset:2688
	s_waitcnt lgkmcnt(0)
	v_mul_f64 v[36:37], v[30:31], v[34:35]
	v_mul_f64 v[34:35], v[28:29], v[34:35]
	v_fma_f64 v[28:29], v[28:29], v[32:33], -v[36:37]
	v_fma_f64 v[30:31], v[30:31], v[32:33], v[34:35]
	v_add_f64 v[11:12], v[11:12], v[28:29]
	v_add_f64 v[13:14], v[13:14], v[30:31]
	s_or_b64 exec, exec, s[60:61]
	v_cmp_gt_u32_e64 s[14:15], 16, v1
	s_and_saveexec_b64 s[60:61], s[14:15]
	s_cbranch_execz .LBB192_135
.LBB192_557:
	ds_read_b128 v[28:31], v25 offset:96
	ds_read_b128 v[32:35], v23 offset:3200
	s_waitcnt lgkmcnt(0)
	v_mul_f64 v[36:37], v[30:31], v[34:35]
	v_mul_f64 v[34:35], v[28:29], v[34:35]
	v_fma_f64 v[28:29], v[28:29], v[32:33], -v[36:37]
	v_fma_f64 v[30:31], v[30:31], v[32:33], v[34:35]
	v_add_f64 v[11:12], v[11:12], v[28:29]
	v_add_f64 v[13:14], v[13:14], v[30:31]
	s_or_b64 exec, exec, s[60:61]
	v_cmp_gt_u32_e64 s[14:15], 8, v1
	s_and_saveexec_b64 s[60:61], s[14:15]
	s_cbranch_execnz .LBB192_136
	s_branch .LBB192_137
.LBB192_558:
	v_lshlrev_b32_e32 v29, 4, v22
	v_sub_u32_e32 v29, v28, v29
	v_lshl_add_u32 v33, v21, 4, v29
	ds_read_b128 v[29:32], v28 offset:4240
	ds_read_b128 v[33:36], v33 offset:4800
	s_waitcnt lgkmcnt(0)
	v_mul_f64 v[37:38], v[31:32], v[35:36]
	v_mul_f64 v[35:36], v[29:30], v[35:36]
	v_fma_f64 v[29:30], v[29:30], v[33:34], -v[37:38]
	v_fma_f64 v[31:32], v[31:32], v[33:34], v[35:36]
	v_add_f64 v[11:12], v[11:12], v[29:30]
	v_add_f64 v[13:14], v[13:14], v[31:32]
	s_or_b64 exec, exec, s[18:19]
	v_cmp_gt_u32_e64 s[12:13], 8, v1
	s_and_saveexec_b64 s[18:19], s[12:13]
	s_cbranch_execz .LBB192_193
.LBB192_559:
	ds_read_b128 v[28:31], v28 offset:4256
	ds_read_b128 v[32:35], v18 offset:5312
	s_waitcnt lgkmcnt(0)
	v_mul_f64 v[36:37], v[30:31], v[34:35]
	v_mul_f64 v[34:35], v[28:29], v[34:35]
	v_fma_f64 v[28:29], v[28:29], v[32:33], -v[36:37]
	v_fma_f64 v[30:31], v[30:31], v[32:33], v[34:35]
	v_add_f64 v[11:12], v[11:12], v[28:29]
	v_add_f64 v[13:14], v[13:14], v[30:31]
	s_or_b64 exec, exec, s[18:19]
	v_cmp_gt_u32_e64 s[12:13], 4, v1
	s_and_saveexec_b64 s[18:19], s[12:13]
	s_cbranch_execnz .LBB192_194
	s_branch .LBB192_195
.LBB192_560:
	ds_read_b128 v[33:36], v32 offset:176
	ds_read_b128 v[37:40], v28 offset:5888
	s_waitcnt lgkmcnt(0)
	v_mul_f64 v[41:42], v[35:36], v[39:40]
	v_mul_f64 v[39:40], v[33:34], v[39:40]
	v_fma_f64 v[33:34], v[33:34], v[37:38], -v[41:42]
	v_fma_f64 v[35:36], v[35:36], v[37:38], v[39:40]
	v_add_f64 v[11:12], v[11:12], v[33:34]
	v_add_f64 v[13:14], v[13:14], v[35:36]
	s_or_b64 exec, exec, s[92:93]
	v_cmp_gt_u32_e64 s[18:19], 64, v1
	s_and_saveexec_b64 s[92:93], s[18:19]
	s_cbranch_execz .LBB192_255
.LBB192_561:
	ds_read_b128 v[33:36], v32 offset:192
	ds_read_b128 v[37:40], v28 offset:6400
	s_waitcnt lgkmcnt(0)
	v_mul_f64 v[41:42], v[35:36], v[39:40]
	v_mul_f64 v[39:40], v[33:34], v[39:40]
	v_fma_f64 v[33:34], v[33:34], v[37:38], -v[41:42]
	v_fma_f64 v[35:36], v[35:36], v[37:38], v[39:40]
	v_add_f64 v[11:12], v[11:12], v[33:34]
	v_add_f64 v[13:14], v[13:14], v[35:36]
	s_or_b64 exec, exec, s[92:93]
	v_cmp_gt_u32_e64 s[18:19], 48, v1
	s_and_saveexec_b64 s[92:93], s[18:19]
	s_cbranch_execz .LBB192_256
.LBB192_562:
	ds_read_b128 v[33:36], v32 offset:208
	ds_read_b128 v[37:40], v28 offset:6912
	s_waitcnt lgkmcnt(0)
	v_mul_f64 v[41:42], v[35:36], v[39:40]
	v_mul_f64 v[39:40], v[33:34], v[39:40]
	v_fma_f64 v[33:34], v[33:34], v[37:38], -v[41:42]
	v_fma_f64 v[35:36], v[35:36], v[37:38], v[39:40]
	v_add_f64 v[11:12], v[11:12], v[33:34]
	v_add_f64 v[13:14], v[13:14], v[35:36]
	s_or_b64 exec, exec, s[92:93]
	v_cmp_gt_u32_e64 s[18:19], 32, v1
	s_and_saveexec_b64 s[92:93], s[18:19]
	s_cbranch_execz .LBB192_257
.LBB192_563:
	ds_read_b128 v[32:35], v32 offset:224
	ds_read_b128 v[36:39], v28 offset:7424
	s_waitcnt lgkmcnt(0)
	v_mul_f64 v[40:41], v[34:35], v[38:39]
	v_mul_f64 v[38:39], v[32:33], v[38:39]
	v_fma_f64 v[32:33], v[32:33], v[36:37], -v[40:41]
	v_fma_f64 v[34:35], v[34:35], v[36:37], v[38:39]
	v_add_f64 v[11:12], v[11:12], v[32:33]
	v_add_f64 v[13:14], v[13:14], v[34:35]
	s_or_b64 exec, exec, s[92:93]
	v_cmp_gt_u32_e64 s[18:19], 16, v1
	s_and_saveexec_b64 s[92:93], s[18:19]
	s_cbranch_execnz .LBB192_258
	s_branch .LBB192_259
.LBB192_564:
	v_lshlrev_b32_e32 v29, 4, v22
	v_sub_u32_e32 v29, v28, v29
	v_lshl_add_u32 v33, v21, 4, v29
	ds_read_b128 v[29:32], v28 offset:8464
	ds_read_b128 v[33:36], v33 offset:9024
	s_waitcnt lgkmcnt(0)
	v_mul_f64 v[37:38], v[31:32], v[35:36]
	v_mul_f64 v[35:36], v[29:30], v[35:36]
	v_fma_f64 v[29:30], v[29:30], v[33:34], -v[37:38]
	v_fma_f64 v[31:32], v[31:32], v[33:34], v[35:36]
	v_add_f64 v[11:12], v[11:12], v[29:30]
	v_add_f64 v[13:14], v[13:14], v[31:32]
	s_or_b64 exec, exec, s[14:15]
	v_cmp_gt_u32_e64 s[10:11], 8, v1
	s_and_saveexec_b64 s[14:15], s[10:11]
	s_cbranch_execz .LBB192_347
.LBB192_565:
	ds_read_b128 v[28:31], v28 offset:8480
	ds_read_b128 v[32:35], v18 offset:9536
	s_waitcnt lgkmcnt(0)
	v_mul_f64 v[36:37], v[30:31], v[34:35]
	v_mul_f64 v[34:35], v[28:29], v[34:35]
	v_fma_f64 v[28:29], v[28:29], v[32:33], -v[36:37]
	v_fma_f64 v[30:31], v[30:31], v[32:33], v[34:35]
	v_add_f64 v[11:12], v[11:12], v[28:29]
	v_add_f64 v[13:14], v[13:14], v[30:31]
	s_or_b64 exec, exec, s[14:15]
	v_cmp_gt_u32_e64 s[10:11], 4, v1
	s_and_saveexec_b64 s[14:15], s[10:11]
	s_cbranch_execnz .LBB192_348
	s_branch .LBB192_349
.LBB192_566:
	v_lshlrev_b32_e32 v29, 4, v27
	v_sub_u32_e32 v29, v28, v29
	v_lshl_add_u32 v33, v26, 4, v29
	ds_read_b128 v[29:32], v28 offset:8464
	ds_read_b128 v[33:36], v33 offset:9088
	s_waitcnt lgkmcnt(0)
	v_mul_f64 v[37:38], v[31:32], v[35:36]
	v_mul_f64 v[35:36], v[29:30], v[35:36]
	v_fma_f64 v[29:30], v[29:30], v[33:34], -v[37:38]
	v_fma_f64 v[31:32], v[31:32], v[33:34], v[35:36]
	v_add_f64 v[11:12], v[11:12], v[29:30]
	v_add_f64 v[13:14], v[13:14], v[31:32]
	s_or_b64 exec, exec, s[14:15]
	v_cmp_gt_u32_e64 s[10:11], 48, v1
	s_and_saveexec_b64 s[14:15], s[10:11]
	s_cbranch_execz .LBB192_389
.LBB192_567:
	v_lshlrev_b32_e32 v29, 4, v27
	v_sub_u32_e32 v29, v28, v29
	v_lshl_add_u32 v33, v26, 4, v29
	ds_read_b128 v[29:32], v28 offset:8480
	ds_read_b128 v[33:36], v33 offset:9600
	s_waitcnt lgkmcnt(0)
	v_mul_f64 v[37:38], v[31:32], v[35:36]
	v_mul_f64 v[35:36], v[29:30], v[35:36]
	v_fma_f64 v[29:30], v[29:30], v[33:34], -v[37:38]
	v_fma_f64 v[31:32], v[31:32], v[33:34], v[35:36]
	v_add_f64 v[11:12], v[11:12], v[29:30]
	v_add_f64 v[13:14], v[13:14], v[31:32]
	s_or_b64 exec, exec, s[14:15]
	v_cmp_gt_u32_e64 s[10:11], 40, v1
	s_and_saveexec_b64 s[14:15], s[10:11]
	s_cbranch_execz .LBB192_390
.LBB192_568:
	v_lshlrev_b32_e32 v29, 4, v27
	v_sub_u32_e32 v29, v28, v29
	v_lshl_add_u32 v33, v26, 4, v29
	ds_read_b128 v[29:32], v28 offset:8496
	ds_read_b128 v[33:36], v33 offset:10112
	s_waitcnt lgkmcnt(0)
	v_mul_f64 v[37:38], v[31:32], v[35:36]
	v_mul_f64 v[35:36], v[29:30], v[35:36]
	v_fma_f64 v[29:30], v[29:30], v[33:34], -v[37:38]
	v_fma_f64 v[31:32], v[31:32], v[33:34], v[35:36]
	v_add_f64 v[11:12], v[11:12], v[29:30]
	v_add_f64 v[13:14], v[13:14], v[31:32]
	s_or_b64 exec, exec, s[14:15]
	v_cmp_gt_u32_e64 s[10:11], 32, v1
	s_and_saveexec_b64 s[14:15], s[10:11]
	s_cbranch_execz .LBB192_391
.LBB192_569:
	ds_read_b128 v[29:32], v28 offset:8512
	ds_read_b128 v[33:36], v23 offset:10624
	s_waitcnt lgkmcnt(0)
	v_mul_f64 v[37:38], v[31:32], v[35:36]
	v_mul_f64 v[35:36], v[29:30], v[35:36]
	v_fma_f64 v[29:30], v[29:30], v[33:34], -v[37:38]
	v_fma_f64 v[31:32], v[31:32], v[33:34], v[35:36]
	v_add_f64 v[11:12], v[11:12], v[29:30]
	v_add_f64 v[13:14], v[13:14], v[31:32]
	s_or_b64 exec, exec, s[14:15]
	v_cmp_gt_u32_e64 s[10:11], 24, v1
	s_and_saveexec_b64 s[14:15], s[10:11]
	s_cbranch_execz .LBB192_392
.LBB192_570:
	v_lshlrev_b32_e32 v27, 4, v27
	v_sub_u32_e32 v27, v28, v27
	v_lshl_add_u32 v26, v26, 4, v27
	ds_read_b128 v[29:32], v28 offset:8528
	ds_read_b128 v[33:36], v26 offset:11136
	s_waitcnt lgkmcnt(0)
	v_mul_f64 v[26:27], v[31:32], v[35:36]
	v_mul_f64 v[35:36], v[29:30], v[35:36]
	v_fma_f64 v[26:27], v[29:30], v[33:34], -v[26:27]
	v_fma_f64 v[29:30], v[31:32], v[33:34], v[35:36]
	v_add_f64 v[11:12], v[11:12], v[26:27]
	v_add_f64 v[13:14], v[13:14], v[29:30]
	s_or_b64 exec, exec, s[14:15]
	v_cmp_gt_u32_e64 s[10:11], 16, v1
	s_and_saveexec_b64 s[14:15], s[10:11]
	s_cbranch_execz .LBB192_393
.LBB192_571:
	ds_read_b128 v[26:29], v28 offset:8544
	ds_read_b128 v[30:33], v23 offset:11648
	s_waitcnt lgkmcnt(0)
	v_mul_f64 v[34:35], v[28:29], v[32:33]
	v_mul_f64 v[32:33], v[26:27], v[32:33]
	v_fma_f64 v[26:27], v[26:27], v[30:31], -v[34:35]
	v_fma_f64 v[28:29], v[28:29], v[30:31], v[32:33]
	v_add_f64 v[11:12], v[11:12], v[26:27]
	v_add_f64 v[13:14], v[13:14], v[28:29]
	s_or_b64 exec, exec, s[14:15]
	v_cmp_gt_u32_e64 s[10:11], 8, v1
	s_and_saveexec_b64 s[14:15], s[10:11]
	s_cbranch_execnz .LBB192_394
	s_branch .LBB192_395
.LBB192_572:
	v_lshlrev_b32_e32 v22, 4, v22
	v_sub_u32_e32 v22, v23, v22
	v_lshl_add_u32 v21, v21, 4, v22
	ds_read_b128 v[24:27], v23 offset:12688
	ds_read_b128 v[28:31], v21 offset:13248
	s_waitcnt lgkmcnt(0)
	v_mul_f64 v[21:22], v[26:27], v[30:31]
	v_mul_f64 v[30:31], v[24:25], v[30:31]
	v_fma_f64 v[21:22], v[24:25], v[28:29], -v[21:22]
	v_fma_f64 v[24:25], v[26:27], v[28:29], v[30:31]
	v_add_f64 v[11:12], v[11:12], v[21:22]
	v_add_f64 v[13:14], v[13:14], v[24:25]
	s_or_b64 exec, exec, s[12:13]
	v_cmp_gt_u32_e64 s[8:9], 8, v1
	s_and_saveexec_b64 s[12:13], s[8:9]
	s_cbranch_execz .LBB192_451
.LBB192_573:
	ds_read_b128 v[21:24], v23 offset:12704
	ds_read_b128 v[25:28], v18 offset:13760
	s_waitcnt lgkmcnt(0)
	v_mul_f64 v[29:30], v[23:24], v[27:28]
	v_mul_f64 v[27:28], v[21:22], v[27:28]
	v_fma_f64 v[21:22], v[21:22], v[25:26], -v[29:30]
	v_fma_f64 v[23:24], v[23:24], v[25:26], v[27:28]
	v_add_f64 v[11:12], v[11:12], v[21:22]
	v_add_f64 v[13:14], v[13:14], v[23:24]
	s_or_b64 exec, exec, s[12:13]
	v_cmp_gt_u32_e64 s[8:9], 4, v1
	s_and_saveexec_b64 s[12:13], s[8:9]
	s_cbranch_execnz .LBB192_452
	s_branch .LBB192_453
	.section	.rodata,"a",@progbits
	.p2align	6, 0x0
	.amdhsa_kernel _ZL19rocblas_trsv_deviceILi32ELi16ELb1ELb1ELb1ELb0E19rocblas_complex_numIdES1_PKPKS1_PKPS1_EviT7_lllT6_T8_lllPii
		.amdhsa_group_segment_fixed_size 25104
		.amdhsa_private_segment_fixed_size 0
		.amdhsa_kernarg_size 360
		.amdhsa_user_sgpr_count 6
		.amdhsa_user_sgpr_private_segment_buffer 1
		.amdhsa_user_sgpr_dispatch_ptr 0
		.amdhsa_user_sgpr_queue_ptr 0
		.amdhsa_user_sgpr_kernarg_segment_ptr 1
		.amdhsa_user_sgpr_dispatch_id 0
		.amdhsa_user_sgpr_flat_scratch_init 0
		.amdhsa_user_sgpr_private_segment_size 0
		.amdhsa_uses_dynamic_stack 0
		.amdhsa_system_sgpr_private_segment_wavefront_offset 0
		.amdhsa_system_sgpr_workgroup_id_x 1
		.amdhsa_system_sgpr_workgroup_id_y 0
		.amdhsa_system_sgpr_workgroup_id_z 1
		.amdhsa_system_sgpr_workgroup_info 0
		.amdhsa_system_vgpr_workitem_id 1
		.amdhsa_next_free_vgpr 49
		.amdhsa_next_free_sgpr 98
		.amdhsa_reserve_vcc 1
		.amdhsa_reserve_flat_scratch 0
		.amdhsa_float_round_mode_32 0
		.amdhsa_float_round_mode_16_64 0
		.amdhsa_float_denorm_mode_32 3
		.amdhsa_float_denorm_mode_16_64 3
		.amdhsa_dx10_clamp 1
		.amdhsa_ieee_mode 1
		.amdhsa_fp16_overflow 0
		.amdhsa_exception_fp_ieee_invalid_op 0
		.amdhsa_exception_fp_denorm_src 0
		.amdhsa_exception_fp_ieee_div_zero 0
		.amdhsa_exception_fp_ieee_overflow 0
		.amdhsa_exception_fp_ieee_underflow 0
		.amdhsa_exception_fp_ieee_inexact 0
		.amdhsa_exception_int_div_zero 0
	.end_amdhsa_kernel
	.section	.text._ZL19rocblas_trsv_deviceILi32ELi16ELb1ELb1ELb1ELb0E19rocblas_complex_numIdES1_PKPKS1_PKPS1_EviT7_lllT6_T8_lllPii,"axG",@progbits,_ZL19rocblas_trsv_deviceILi32ELi16ELb1ELb1ELb1ELb0E19rocblas_complex_numIdES1_PKPKS1_PKPS1_EviT7_lllT6_T8_lllPii,comdat
.Lfunc_end192:
	.size	_ZL19rocblas_trsv_deviceILi32ELi16ELb1ELb1ELb1ELb0E19rocblas_complex_numIdES1_PKPKS1_PKPS1_EviT7_lllT6_T8_lllPii, .Lfunc_end192-_ZL19rocblas_trsv_deviceILi32ELi16ELb1ELb1ELb1ELb0E19rocblas_complex_numIdES1_PKPKS1_PKPS1_EviT7_lllT6_T8_lllPii
                                        ; -- End function
	.set _ZL19rocblas_trsv_deviceILi32ELi16ELb1ELb1ELb1ELb0E19rocblas_complex_numIdES1_PKPKS1_PKPS1_EviT7_lllT6_T8_lllPii.num_vgpr, 44
	.set _ZL19rocblas_trsv_deviceILi32ELi16ELb1ELb1ELb1ELb0E19rocblas_complex_numIdES1_PKPKS1_PKPS1_EviT7_lllT6_T8_lllPii.num_agpr, 0
	.set _ZL19rocblas_trsv_deviceILi32ELi16ELb1ELb1ELb1ELb0E19rocblas_complex_numIdES1_PKPKS1_PKPS1_EviT7_lllT6_T8_lllPii.numbered_sgpr, 96
	.set _ZL19rocblas_trsv_deviceILi32ELi16ELb1ELb1ELb1ELb0E19rocblas_complex_numIdES1_PKPKS1_PKPS1_EviT7_lllT6_T8_lllPii.num_named_barrier, 0
	.set _ZL19rocblas_trsv_deviceILi32ELi16ELb1ELb1ELb1ELb0E19rocblas_complex_numIdES1_PKPKS1_PKPS1_EviT7_lllT6_T8_lllPii.private_seg_size, 0
	.set _ZL19rocblas_trsv_deviceILi32ELi16ELb1ELb1ELb1ELb0E19rocblas_complex_numIdES1_PKPKS1_PKPS1_EviT7_lllT6_T8_lllPii.uses_vcc, 1
	.set _ZL19rocblas_trsv_deviceILi32ELi16ELb1ELb1ELb1ELb0E19rocblas_complex_numIdES1_PKPKS1_PKPS1_EviT7_lllT6_T8_lllPii.uses_flat_scratch, 0
	.set _ZL19rocblas_trsv_deviceILi32ELi16ELb1ELb1ELb1ELb0E19rocblas_complex_numIdES1_PKPKS1_PKPS1_EviT7_lllT6_T8_lllPii.has_dyn_sized_stack, 0
	.set _ZL19rocblas_trsv_deviceILi32ELi16ELb1ELb1ELb1ELb0E19rocblas_complex_numIdES1_PKPKS1_PKPS1_EviT7_lllT6_T8_lllPii.has_recursion, 0
	.set _ZL19rocblas_trsv_deviceILi32ELi16ELb1ELb1ELb1ELb0E19rocblas_complex_numIdES1_PKPKS1_PKPS1_EviT7_lllT6_T8_lllPii.has_indirect_call, 0
	.section	.AMDGPU.csdata,"",@progbits
; Kernel info:
; codeLenInByte = 27800
; TotalNumSgprs: 100
; NumVgprs: 44
; ScratchSize: 0
; MemoryBound: 1
; FloatMode: 240
; IeeeMode: 1
; LDSByteSize: 25104 bytes/workgroup (compile time only)
; SGPRBlocks: 12
; VGPRBlocks: 12
; NumSGPRsForWavesPerEU: 102
; NumVGPRsForWavesPerEU: 49
; Occupancy: 4
; WaveLimiterHint : 1
; COMPUTE_PGM_RSRC2:SCRATCH_EN: 0
; COMPUTE_PGM_RSRC2:USER_SGPR: 6
; COMPUTE_PGM_RSRC2:TRAP_HANDLER: 0
; COMPUTE_PGM_RSRC2:TGID_X_EN: 1
; COMPUTE_PGM_RSRC2:TGID_Y_EN: 0
; COMPUTE_PGM_RSRC2:TGID_Z_EN: 1
; COMPUTE_PGM_RSRC2:TIDIG_COMP_CNT: 1
	.section	.AMDGPU.gpr_maximums,"",@progbits
	.set amdgpu.max_num_vgpr, 0
	.set amdgpu.max_num_agpr, 0
	.set amdgpu.max_num_sgpr, 0
	.section	.AMDGPU.csdata,"",@progbits
	.type	__hip_cuid_9ee0597269f1d7ab,@object ; @__hip_cuid_9ee0597269f1d7ab
	.section	.bss,"aw",@nobits
	.globl	__hip_cuid_9ee0597269f1d7ab
__hip_cuid_9ee0597269f1d7ab:
	.byte	0                               ; 0x0
	.size	__hip_cuid_9ee0597269f1d7ab, 1

	.ident	"AMD clang version 22.0.0git (https://github.com/RadeonOpenCompute/llvm-project roc-7.2.4 26084 f58b06dce1f9c15707c5f808fd002e18c2accf7e)"
	.section	".note.GNU-stack","",@progbits
	.addrsig
	.addrsig_sym __hip_cuid_9ee0597269f1d7ab
	.amdgpu_metadata
---
amdhsa.kernels:
  - .args:
      - .address_space:  global
        .offset:         0
        .size:           8
        .value_kind:     global_buffer
    .group_segment_fixed_size: 0
    .kernarg_segment_align: 8
    .kernarg_segment_size: 8
    .language:       OpenCL C
    .language_version:
      - 2
      - 0
    .max_flat_workgroup_size: 1
    .name:           _ZL17rocblas_trsv_initPi
    .private_segment_fixed_size: 0
    .sgpr_count:     12
    .sgpr_spill_count: 0
    .symbol:         _ZL17rocblas_trsv_initPi.kd
    .uniform_work_group_size: 1
    .uses_dynamic_stack: false
    .vgpr_count:     2
    .vgpr_spill_count: 0
    .wavefront_size: 64
  - .args:
      - .offset:         0
        .size:           4
        .value_kind:     by_value
      - .address_space:  global
        .offset:         8
        .size:           8
        .value_kind:     global_buffer
      - .offset:         16
        .size:           8
        .value_kind:     by_value
      - .offset:         24
        .size:           8
        .value_kind:     by_value
      - .offset:         32
        .size:           8
        .value_kind:     by_value
      - .address_space:  global
        .offset:         40
        .size:           8
        .value_kind:     global_buffer
      - .address_space:  global
        .offset:         48
        .size:           8
        .value_kind:     global_buffer
      - .offset:         56
        .size:           8
        .value_kind:     by_value
      - .offset:         64
        .size:           8
        .value_kind:     by_value
      - .offset:         72
        .size:           8
        .value_kind:     by_value
      - .address_space:  global
        .offset:         80
        .size:           8
        .value_kind:     global_buffer
      - .offset:         88
        .size:           4
        .value_kind:     by_value
      - .offset:         96
        .size:           4
        .value_kind:     hidden_block_count_x
      - .offset:         100
        .size:           4
        .value_kind:     hidden_block_count_y
      - .offset:         104
        .size:           4
        .value_kind:     hidden_block_count_z
      - .offset:         108
        .size:           2
        .value_kind:     hidden_group_size_x
      - .offset:         110
        .size:           2
        .value_kind:     hidden_group_size_y
      - .offset:         112
        .size:           2
        .value_kind:     hidden_group_size_z
      - .offset:         114
        .size:           2
        .value_kind:     hidden_remainder_x
      - .offset:         116
        .size:           2
        .value_kind:     hidden_remainder_y
      - .offset:         118
        .size:           2
        .value_kind:     hidden_remainder_z
      - .offset:         136
        .size:           8
        .value_kind:     hidden_global_offset_x
      - .offset:         144
        .size:           8
        .value_kind:     hidden_global_offset_y
      - .offset:         152
        .size:           8
        .value_kind:     hidden_global_offset_z
      - .offset:         160
        .size:           2
        .value_kind:     hidden_grid_dims
    .group_segment_fixed_size: 20740
    .kernarg_segment_align: 8
    .kernarg_segment_size: 352
    .language:       OpenCL C
    .language_version:
      - 2
      - 0
    .max_flat_workgroup_size: 1024
    .name:           _ZL19rocblas_trsv_deviceILi64ELi16ELb0ELb0ELb0ELb1EfPKfS1_PfEviT7_lllT6_T8_lllPii
    .private_segment_fixed_size: 0
    .sgpr_count:     100
    .sgpr_spill_count: 53
    .symbol:         _ZL19rocblas_trsv_deviceILi64ELi16ELb0ELb0ELb0ELb1EfPKfS1_PfEviT7_lllT6_T8_lllPii.kd
    .uniform_work_group_size: 1
    .uses_dynamic_stack: false
    .vgpr_count:     28
    .vgpr_spill_count: 0
    .wavefront_size: 64
  - .args:
      - .offset:         0
        .size:           4
        .value_kind:     by_value
      - .address_space:  global
        .offset:         8
        .size:           8
        .value_kind:     global_buffer
      - .offset:         16
        .size:           8
        .value_kind:     by_value
      - .offset:         24
        .size:           8
        .value_kind:     by_value
      - .offset:         32
        .size:           8
        .value_kind:     by_value
      - .address_space:  global
        .offset:         40
        .size:           8
        .value_kind:     global_buffer
      - .address_space:  global
        .offset:         48
        .size:           8
        .value_kind:     global_buffer
      - .offset:         56
        .size:           8
        .value_kind:     by_value
      - .offset:         64
        .size:           8
        .value_kind:     by_value
      - .offset:         72
        .size:           8
        .value_kind:     by_value
      - .address_space:  global
        .offset:         80
        .size:           8
        .value_kind:     global_buffer
      - .offset:         88
        .size:           4
        .value_kind:     by_value
      - .offset:         96
        .size:           4
        .value_kind:     hidden_block_count_x
      - .offset:         100
        .size:           4
        .value_kind:     hidden_block_count_y
      - .offset:         104
        .size:           4
        .value_kind:     hidden_block_count_z
      - .offset:         108
        .size:           2
        .value_kind:     hidden_group_size_x
      - .offset:         110
        .size:           2
        .value_kind:     hidden_group_size_y
      - .offset:         112
        .size:           2
        .value_kind:     hidden_group_size_z
      - .offset:         114
        .size:           2
        .value_kind:     hidden_remainder_x
      - .offset:         116
        .size:           2
        .value_kind:     hidden_remainder_y
      - .offset:         118
        .size:           2
        .value_kind:     hidden_remainder_z
      - .offset:         136
        .size:           8
        .value_kind:     hidden_global_offset_x
      - .offset:         144
        .size:           8
        .value_kind:     hidden_global_offset_y
      - .offset:         152
        .size:           8
        .value_kind:     hidden_global_offset_z
      - .offset:         160
        .size:           2
        .value_kind:     hidden_grid_dims
    .group_segment_fixed_size: 20740
    .kernarg_segment_align: 8
    .kernarg_segment_size: 352
    .language:       OpenCL C
    .language_version:
      - 2
      - 0
    .max_flat_workgroup_size: 1024
    .name:           _ZL19rocblas_trsv_deviceILi64ELi16ELb0ELb1ELb0ELb1EfPKfS1_PfEviT7_lllT6_T8_lllPii
    .private_segment_fixed_size: 0
    .sgpr_count:     100
    .sgpr_spill_count: 59
    .symbol:         _ZL19rocblas_trsv_deviceILi64ELi16ELb0ELb1ELb0ELb1EfPKfS1_PfEviT7_lllT6_T8_lllPii.kd
    .uniform_work_group_size: 1
    .uses_dynamic_stack: false
    .vgpr_count:     29
    .vgpr_spill_count: 0
    .wavefront_size: 64
  - .args:
      - .offset:         0
        .size:           4
        .value_kind:     by_value
      - .address_space:  global
        .offset:         8
        .size:           8
        .value_kind:     global_buffer
      - .offset:         16
        .size:           8
        .value_kind:     by_value
      - .offset:         24
        .size:           8
        .value_kind:     by_value
      - .offset:         32
        .size:           8
        .value_kind:     by_value
      - .address_space:  global
        .offset:         40
        .size:           8
        .value_kind:     global_buffer
      - .address_space:  global
        .offset:         48
        .size:           8
        .value_kind:     global_buffer
      - .offset:         56
        .size:           8
        .value_kind:     by_value
      - .offset:         64
        .size:           8
        .value_kind:     by_value
      - .offset:         72
        .size:           8
        .value_kind:     by_value
      - .address_space:  global
        .offset:         80
        .size:           8
        .value_kind:     global_buffer
      - .offset:         88
        .size:           4
        .value_kind:     by_value
      - .offset:         96
        .size:           4
        .value_kind:     hidden_block_count_x
      - .offset:         100
        .size:           4
        .value_kind:     hidden_block_count_y
      - .offset:         104
        .size:           4
        .value_kind:     hidden_block_count_z
      - .offset:         108
        .size:           2
        .value_kind:     hidden_group_size_x
      - .offset:         110
        .size:           2
        .value_kind:     hidden_group_size_y
      - .offset:         112
        .size:           2
        .value_kind:     hidden_group_size_z
      - .offset:         114
        .size:           2
        .value_kind:     hidden_remainder_x
      - .offset:         116
        .size:           2
        .value_kind:     hidden_remainder_y
      - .offset:         118
        .size:           2
        .value_kind:     hidden_remainder_z
      - .offset:         136
        .size:           8
        .value_kind:     hidden_global_offset_x
      - .offset:         144
        .size:           8
        .value_kind:     hidden_global_offset_y
      - .offset:         152
        .size:           8
        .value_kind:     hidden_global_offset_z
      - .offset:         160
        .size:           2
        .value_kind:     hidden_grid_dims
    .group_segment_fixed_size: 20740
    .kernarg_segment_align: 8
    .kernarg_segment_size: 352
    .language:       OpenCL C
    .language_version:
      - 2
      - 0
    .max_flat_workgroup_size: 1024
    .name:           _ZL19rocblas_trsv_deviceILi64ELi16ELb0ELb1ELb1ELb1EfPKfS1_PfEviT7_lllT6_T8_lllPii
    .private_segment_fixed_size: 0
    .sgpr_count:     100
    .sgpr_spill_count: 59
    .symbol:         _ZL19rocblas_trsv_deviceILi64ELi16ELb0ELb1ELb1ELb1EfPKfS1_PfEviT7_lllT6_T8_lllPii.kd
    .uniform_work_group_size: 1
    .uses_dynamic_stack: false
    .vgpr_count:     29
    .vgpr_spill_count: 0
    .wavefront_size: 64
  - .args:
      - .offset:         0
        .size:           4
        .value_kind:     by_value
      - .address_space:  global
        .offset:         8
        .size:           8
        .value_kind:     global_buffer
      - .offset:         16
        .size:           8
        .value_kind:     by_value
      - .offset:         24
        .size:           8
        .value_kind:     by_value
      - .offset:         32
        .size:           8
        .value_kind:     by_value
      - .address_space:  global
        .offset:         40
        .size:           8
        .value_kind:     global_buffer
      - .address_space:  global
        .offset:         48
        .size:           8
        .value_kind:     global_buffer
      - .offset:         56
        .size:           8
        .value_kind:     by_value
      - .offset:         64
        .size:           8
        .value_kind:     by_value
      - .offset:         72
        .size:           8
        .value_kind:     by_value
      - .address_space:  global
        .offset:         80
        .size:           8
        .value_kind:     global_buffer
      - .offset:         88
        .size:           4
        .value_kind:     by_value
      - .offset:         96
        .size:           4
        .value_kind:     hidden_block_count_x
      - .offset:         100
        .size:           4
        .value_kind:     hidden_block_count_y
      - .offset:         104
        .size:           4
        .value_kind:     hidden_block_count_z
      - .offset:         108
        .size:           2
        .value_kind:     hidden_group_size_x
      - .offset:         110
        .size:           2
        .value_kind:     hidden_group_size_y
      - .offset:         112
        .size:           2
        .value_kind:     hidden_group_size_z
      - .offset:         114
        .size:           2
        .value_kind:     hidden_remainder_x
      - .offset:         116
        .size:           2
        .value_kind:     hidden_remainder_y
      - .offset:         118
        .size:           2
        .value_kind:     hidden_remainder_z
      - .offset:         136
        .size:           8
        .value_kind:     hidden_global_offset_x
      - .offset:         144
        .size:           8
        .value_kind:     hidden_global_offset_y
      - .offset:         152
        .size:           8
        .value_kind:     hidden_global_offset_z
      - .offset:         160
        .size:           2
        .value_kind:     hidden_grid_dims
    .group_segment_fixed_size: 20740
    .kernarg_segment_align: 8
    .kernarg_segment_size: 352
    .language:       OpenCL C
    .language_version:
      - 2
      - 0
    .max_flat_workgroup_size: 1024
    .name:           _ZL19rocblas_trsv_deviceILi64ELi16ELb0ELb0ELb0ELb0EfPKfS1_PfEviT7_lllT6_T8_lllPii
    .private_segment_fixed_size: 0
    .sgpr_count:     100
    .sgpr_spill_count: 54
    .symbol:         _ZL19rocblas_trsv_deviceILi64ELi16ELb0ELb0ELb0ELb0EfPKfS1_PfEviT7_lllT6_T8_lllPii.kd
    .uniform_work_group_size: 1
    .uses_dynamic_stack: false
    .vgpr_count:     28
    .vgpr_spill_count: 0
    .wavefront_size: 64
  - .args:
      - .offset:         0
        .size:           4
        .value_kind:     by_value
      - .address_space:  global
        .offset:         8
        .size:           8
        .value_kind:     global_buffer
      - .offset:         16
        .size:           8
        .value_kind:     by_value
      - .offset:         24
        .size:           8
        .value_kind:     by_value
      - .offset:         32
        .size:           8
        .value_kind:     by_value
      - .address_space:  global
        .offset:         40
        .size:           8
        .value_kind:     global_buffer
      - .address_space:  global
        .offset:         48
        .size:           8
        .value_kind:     global_buffer
      - .offset:         56
        .size:           8
        .value_kind:     by_value
      - .offset:         64
        .size:           8
        .value_kind:     by_value
      - .offset:         72
        .size:           8
        .value_kind:     by_value
      - .address_space:  global
        .offset:         80
        .size:           8
        .value_kind:     global_buffer
      - .offset:         88
        .size:           4
        .value_kind:     by_value
      - .offset:         96
        .size:           4
        .value_kind:     hidden_block_count_x
      - .offset:         100
        .size:           4
        .value_kind:     hidden_block_count_y
      - .offset:         104
        .size:           4
        .value_kind:     hidden_block_count_z
      - .offset:         108
        .size:           2
        .value_kind:     hidden_group_size_x
      - .offset:         110
        .size:           2
        .value_kind:     hidden_group_size_y
      - .offset:         112
        .size:           2
        .value_kind:     hidden_group_size_z
      - .offset:         114
        .size:           2
        .value_kind:     hidden_remainder_x
      - .offset:         116
        .size:           2
        .value_kind:     hidden_remainder_y
      - .offset:         118
        .size:           2
        .value_kind:     hidden_remainder_z
      - .offset:         136
        .size:           8
        .value_kind:     hidden_global_offset_x
      - .offset:         144
        .size:           8
        .value_kind:     hidden_global_offset_y
      - .offset:         152
        .size:           8
        .value_kind:     hidden_global_offset_z
      - .offset:         160
        .size:           2
        .value_kind:     hidden_grid_dims
    .group_segment_fixed_size: 20740
    .kernarg_segment_align: 8
    .kernarg_segment_size: 352
    .language:       OpenCL C
    .language_version:
      - 2
      - 0
    .max_flat_workgroup_size: 1024
    .name:           _ZL19rocblas_trsv_deviceILi64ELi16ELb0ELb1ELb0ELb0EfPKfS1_PfEviT7_lllT6_T8_lllPii
    .private_segment_fixed_size: 0
    .sgpr_count:     100
    .sgpr_spill_count: 62
    .symbol:         _ZL19rocblas_trsv_deviceILi64ELi16ELb0ELb1ELb0ELb0EfPKfS1_PfEviT7_lllT6_T8_lllPii.kd
    .uniform_work_group_size: 1
    .uses_dynamic_stack: false
    .vgpr_count:     28
    .vgpr_spill_count: 0
    .wavefront_size: 64
  - .args:
      - .offset:         0
        .size:           4
        .value_kind:     by_value
      - .address_space:  global
        .offset:         8
        .size:           8
        .value_kind:     global_buffer
      - .offset:         16
        .size:           8
        .value_kind:     by_value
      - .offset:         24
        .size:           8
        .value_kind:     by_value
      - .offset:         32
        .size:           8
        .value_kind:     by_value
      - .address_space:  global
        .offset:         40
        .size:           8
        .value_kind:     global_buffer
      - .address_space:  global
        .offset:         48
        .size:           8
        .value_kind:     global_buffer
      - .offset:         56
        .size:           8
        .value_kind:     by_value
      - .offset:         64
        .size:           8
        .value_kind:     by_value
      - .offset:         72
        .size:           8
        .value_kind:     by_value
      - .address_space:  global
        .offset:         80
        .size:           8
        .value_kind:     global_buffer
      - .offset:         88
        .size:           4
        .value_kind:     by_value
      - .offset:         96
        .size:           4
        .value_kind:     hidden_block_count_x
      - .offset:         100
        .size:           4
        .value_kind:     hidden_block_count_y
      - .offset:         104
        .size:           4
        .value_kind:     hidden_block_count_z
      - .offset:         108
        .size:           2
        .value_kind:     hidden_group_size_x
      - .offset:         110
        .size:           2
        .value_kind:     hidden_group_size_y
      - .offset:         112
        .size:           2
        .value_kind:     hidden_group_size_z
      - .offset:         114
        .size:           2
        .value_kind:     hidden_remainder_x
      - .offset:         116
        .size:           2
        .value_kind:     hidden_remainder_y
      - .offset:         118
        .size:           2
        .value_kind:     hidden_remainder_z
      - .offset:         136
        .size:           8
        .value_kind:     hidden_global_offset_x
      - .offset:         144
        .size:           8
        .value_kind:     hidden_global_offset_y
      - .offset:         152
        .size:           8
        .value_kind:     hidden_global_offset_z
      - .offset:         160
        .size:           2
        .value_kind:     hidden_grid_dims
    .group_segment_fixed_size: 20740
    .kernarg_segment_align: 8
    .kernarg_segment_size: 352
    .language:       OpenCL C
    .language_version:
      - 2
      - 0
    .max_flat_workgroup_size: 1024
    .name:           _ZL19rocblas_trsv_deviceILi64ELi16ELb0ELb1ELb1ELb0EfPKfS1_PfEviT7_lllT6_T8_lllPii
    .private_segment_fixed_size: 0
    .sgpr_count:     100
    .sgpr_spill_count: 62
    .symbol:         _ZL19rocblas_trsv_deviceILi64ELi16ELb0ELb1ELb1ELb0EfPKfS1_PfEviT7_lllT6_T8_lllPii.kd
    .uniform_work_group_size: 1
    .uses_dynamic_stack: false
    .vgpr_count:     28
    .vgpr_spill_count: 0
    .wavefront_size: 64
  - .args:
      - .offset:         0
        .size:           4
        .value_kind:     by_value
      - .address_space:  global
        .offset:         8
        .size:           8
        .value_kind:     global_buffer
      - .offset:         16
        .size:           8
        .value_kind:     by_value
      - .offset:         24
        .size:           8
        .value_kind:     by_value
      - .offset:         32
        .size:           8
        .value_kind:     by_value
      - .address_space:  global
        .offset:         40
        .size:           8
        .value_kind:     global_buffer
      - .address_space:  global
        .offset:         48
        .size:           8
        .value_kind:     global_buffer
      - .offset:         56
        .size:           8
        .value_kind:     by_value
      - .offset:         64
        .size:           8
        .value_kind:     by_value
      - .offset:         72
        .size:           8
        .value_kind:     by_value
      - .address_space:  global
        .offset:         80
        .size:           8
        .value_kind:     global_buffer
      - .offset:         88
        .size:           4
        .value_kind:     by_value
      - .offset:         96
        .size:           4
        .value_kind:     hidden_block_count_x
      - .offset:         100
        .size:           4
        .value_kind:     hidden_block_count_y
      - .offset:         104
        .size:           4
        .value_kind:     hidden_block_count_z
      - .offset:         108
        .size:           2
        .value_kind:     hidden_group_size_x
      - .offset:         110
        .size:           2
        .value_kind:     hidden_group_size_y
      - .offset:         112
        .size:           2
        .value_kind:     hidden_group_size_z
      - .offset:         114
        .size:           2
        .value_kind:     hidden_remainder_x
      - .offset:         116
        .size:           2
        .value_kind:     hidden_remainder_y
      - .offset:         118
        .size:           2
        .value_kind:     hidden_remainder_z
      - .offset:         136
        .size:           8
        .value_kind:     hidden_global_offset_x
      - .offset:         144
        .size:           8
        .value_kind:     hidden_global_offset_y
      - .offset:         152
        .size:           8
        .value_kind:     hidden_global_offset_z
      - .offset:         160
        .size:           2
        .value_kind:     hidden_grid_dims
    .group_segment_fixed_size: 20740
    .kernarg_segment_align: 8
    .kernarg_segment_size: 352
    .language:       OpenCL C
    .language_version:
      - 2
      - 0
    .max_flat_workgroup_size: 1024
    .name:           _ZL19rocblas_trsv_deviceILi64ELi16ELb1ELb0ELb0ELb1EfPKfS1_PfEviT7_lllT6_T8_lllPii
    .private_segment_fixed_size: 0
    .sgpr_count:     100
    .sgpr_spill_count: 49
    .symbol:         _ZL19rocblas_trsv_deviceILi64ELi16ELb1ELb0ELb0ELb1EfPKfS1_PfEviT7_lllT6_T8_lllPii.kd
    .uniform_work_group_size: 1
    .uses_dynamic_stack: false
    .vgpr_count:     35
    .vgpr_spill_count: 0
    .wavefront_size: 64
  - .args:
      - .offset:         0
        .size:           4
        .value_kind:     by_value
      - .address_space:  global
        .offset:         8
        .size:           8
        .value_kind:     global_buffer
      - .offset:         16
        .size:           8
        .value_kind:     by_value
      - .offset:         24
        .size:           8
        .value_kind:     by_value
      - .offset:         32
        .size:           8
        .value_kind:     by_value
      - .address_space:  global
        .offset:         40
        .size:           8
        .value_kind:     global_buffer
      - .address_space:  global
        .offset:         48
        .size:           8
        .value_kind:     global_buffer
      - .offset:         56
        .size:           8
        .value_kind:     by_value
      - .offset:         64
        .size:           8
        .value_kind:     by_value
      - .offset:         72
        .size:           8
        .value_kind:     by_value
      - .address_space:  global
        .offset:         80
        .size:           8
        .value_kind:     global_buffer
      - .offset:         88
        .size:           4
        .value_kind:     by_value
      - .offset:         96
        .size:           4
        .value_kind:     hidden_block_count_x
      - .offset:         100
        .size:           4
        .value_kind:     hidden_block_count_y
      - .offset:         104
        .size:           4
        .value_kind:     hidden_block_count_z
      - .offset:         108
        .size:           2
        .value_kind:     hidden_group_size_x
      - .offset:         110
        .size:           2
        .value_kind:     hidden_group_size_y
      - .offset:         112
        .size:           2
        .value_kind:     hidden_group_size_z
      - .offset:         114
        .size:           2
        .value_kind:     hidden_remainder_x
      - .offset:         116
        .size:           2
        .value_kind:     hidden_remainder_y
      - .offset:         118
        .size:           2
        .value_kind:     hidden_remainder_z
      - .offset:         136
        .size:           8
        .value_kind:     hidden_global_offset_x
      - .offset:         144
        .size:           8
        .value_kind:     hidden_global_offset_y
      - .offset:         152
        .size:           8
        .value_kind:     hidden_global_offset_z
      - .offset:         160
        .size:           2
        .value_kind:     hidden_grid_dims
    .group_segment_fixed_size: 20740
    .kernarg_segment_align: 8
    .kernarg_segment_size: 352
    .language:       OpenCL C
    .language_version:
      - 2
      - 0
    .max_flat_workgroup_size: 1024
    .name:           _ZL19rocblas_trsv_deviceILi64ELi16ELb1ELb1ELb0ELb1EfPKfS1_PfEviT7_lllT6_T8_lllPii
    .private_segment_fixed_size: 0
    .sgpr_count:     100
    .sgpr_spill_count: 63
    .symbol:         _ZL19rocblas_trsv_deviceILi64ELi16ELb1ELb1ELb0ELb1EfPKfS1_PfEviT7_lllT6_T8_lllPii.kd
    .uniform_work_group_size: 1
    .uses_dynamic_stack: false
    .vgpr_count:     34
    .vgpr_spill_count: 0
    .wavefront_size: 64
  - .args:
      - .offset:         0
        .size:           4
        .value_kind:     by_value
      - .address_space:  global
        .offset:         8
        .size:           8
        .value_kind:     global_buffer
      - .offset:         16
        .size:           8
        .value_kind:     by_value
      - .offset:         24
        .size:           8
        .value_kind:     by_value
      - .offset:         32
        .size:           8
        .value_kind:     by_value
      - .address_space:  global
        .offset:         40
        .size:           8
        .value_kind:     global_buffer
      - .address_space:  global
        .offset:         48
        .size:           8
        .value_kind:     global_buffer
      - .offset:         56
        .size:           8
        .value_kind:     by_value
      - .offset:         64
        .size:           8
        .value_kind:     by_value
      - .offset:         72
        .size:           8
        .value_kind:     by_value
      - .address_space:  global
        .offset:         80
        .size:           8
        .value_kind:     global_buffer
      - .offset:         88
        .size:           4
        .value_kind:     by_value
      - .offset:         96
        .size:           4
        .value_kind:     hidden_block_count_x
      - .offset:         100
        .size:           4
        .value_kind:     hidden_block_count_y
      - .offset:         104
        .size:           4
        .value_kind:     hidden_block_count_z
      - .offset:         108
        .size:           2
        .value_kind:     hidden_group_size_x
      - .offset:         110
        .size:           2
        .value_kind:     hidden_group_size_y
      - .offset:         112
        .size:           2
        .value_kind:     hidden_group_size_z
      - .offset:         114
        .size:           2
        .value_kind:     hidden_remainder_x
      - .offset:         116
        .size:           2
        .value_kind:     hidden_remainder_y
      - .offset:         118
        .size:           2
        .value_kind:     hidden_remainder_z
      - .offset:         136
        .size:           8
        .value_kind:     hidden_global_offset_x
      - .offset:         144
        .size:           8
        .value_kind:     hidden_global_offset_y
      - .offset:         152
        .size:           8
        .value_kind:     hidden_global_offset_z
      - .offset:         160
        .size:           2
        .value_kind:     hidden_grid_dims
    .group_segment_fixed_size: 20740
    .kernarg_segment_align: 8
    .kernarg_segment_size: 352
    .language:       OpenCL C
    .language_version:
      - 2
      - 0
    .max_flat_workgroup_size: 1024
    .name:           _ZL19rocblas_trsv_deviceILi64ELi16ELb1ELb1ELb1ELb1EfPKfS1_PfEviT7_lllT6_T8_lllPii
    .private_segment_fixed_size: 0
    .sgpr_count:     100
    .sgpr_spill_count: 63
    .symbol:         _ZL19rocblas_trsv_deviceILi64ELi16ELb1ELb1ELb1ELb1EfPKfS1_PfEviT7_lllT6_T8_lllPii.kd
    .uniform_work_group_size: 1
    .uses_dynamic_stack: false
    .vgpr_count:     34
    .vgpr_spill_count: 0
    .wavefront_size: 64
  - .args:
      - .offset:         0
        .size:           4
        .value_kind:     by_value
      - .address_space:  global
        .offset:         8
        .size:           8
        .value_kind:     global_buffer
      - .offset:         16
        .size:           8
        .value_kind:     by_value
      - .offset:         24
        .size:           8
        .value_kind:     by_value
      - .offset:         32
        .size:           8
        .value_kind:     by_value
      - .address_space:  global
        .offset:         40
        .size:           8
        .value_kind:     global_buffer
      - .address_space:  global
        .offset:         48
        .size:           8
        .value_kind:     global_buffer
      - .offset:         56
        .size:           8
        .value_kind:     by_value
      - .offset:         64
        .size:           8
        .value_kind:     by_value
      - .offset:         72
        .size:           8
        .value_kind:     by_value
      - .address_space:  global
        .offset:         80
        .size:           8
        .value_kind:     global_buffer
      - .offset:         88
        .size:           4
        .value_kind:     by_value
      - .offset:         96
        .size:           4
        .value_kind:     hidden_block_count_x
      - .offset:         100
        .size:           4
        .value_kind:     hidden_block_count_y
      - .offset:         104
        .size:           4
        .value_kind:     hidden_block_count_z
      - .offset:         108
        .size:           2
        .value_kind:     hidden_group_size_x
      - .offset:         110
        .size:           2
        .value_kind:     hidden_group_size_y
      - .offset:         112
        .size:           2
        .value_kind:     hidden_group_size_z
      - .offset:         114
        .size:           2
        .value_kind:     hidden_remainder_x
      - .offset:         116
        .size:           2
        .value_kind:     hidden_remainder_y
      - .offset:         118
        .size:           2
        .value_kind:     hidden_remainder_z
      - .offset:         136
        .size:           8
        .value_kind:     hidden_global_offset_x
      - .offset:         144
        .size:           8
        .value_kind:     hidden_global_offset_y
      - .offset:         152
        .size:           8
        .value_kind:     hidden_global_offset_z
      - .offset:         160
        .size:           2
        .value_kind:     hidden_grid_dims
    .group_segment_fixed_size: 20740
    .kernarg_segment_align: 8
    .kernarg_segment_size: 352
    .language:       OpenCL C
    .language_version:
      - 2
      - 0
    .max_flat_workgroup_size: 1024
    .name:           _ZL19rocblas_trsv_deviceILi64ELi16ELb1ELb0ELb0ELb0EfPKfS1_PfEviT7_lllT6_T8_lllPii
    .private_segment_fixed_size: 0
    .sgpr_count:     100
    .sgpr_spill_count: 52
    .symbol:         _ZL19rocblas_trsv_deviceILi64ELi16ELb1ELb0ELb0ELb0EfPKfS1_PfEviT7_lllT6_T8_lllPii.kd
    .uniform_work_group_size: 1
    .uses_dynamic_stack: false
    .vgpr_count:     34
    .vgpr_spill_count: 0
    .wavefront_size: 64
  - .args:
      - .offset:         0
        .size:           4
        .value_kind:     by_value
      - .address_space:  global
        .offset:         8
        .size:           8
        .value_kind:     global_buffer
      - .offset:         16
        .size:           8
        .value_kind:     by_value
      - .offset:         24
        .size:           8
        .value_kind:     by_value
      - .offset:         32
        .size:           8
        .value_kind:     by_value
      - .address_space:  global
        .offset:         40
        .size:           8
        .value_kind:     global_buffer
      - .address_space:  global
        .offset:         48
        .size:           8
        .value_kind:     global_buffer
      - .offset:         56
        .size:           8
        .value_kind:     by_value
      - .offset:         64
        .size:           8
        .value_kind:     by_value
      - .offset:         72
        .size:           8
        .value_kind:     by_value
      - .address_space:  global
        .offset:         80
        .size:           8
        .value_kind:     global_buffer
      - .offset:         88
        .size:           4
        .value_kind:     by_value
      - .offset:         96
        .size:           4
        .value_kind:     hidden_block_count_x
      - .offset:         100
        .size:           4
        .value_kind:     hidden_block_count_y
      - .offset:         104
        .size:           4
        .value_kind:     hidden_block_count_z
      - .offset:         108
        .size:           2
        .value_kind:     hidden_group_size_x
      - .offset:         110
        .size:           2
        .value_kind:     hidden_group_size_y
      - .offset:         112
        .size:           2
        .value_kind:     hidden_group_size_z
      - .offset:         114
        .size:           2
        .value_kind:     hidden_remainder_x
      - .offset:         116
        .size:           2
        .value_kind:     hidden_remainder_y
      - .offset:         118
        .size:           2
        .value_kind:     hidden_remainder_z
      - .offset:         136
        .size:           8
        .value_kind:     hidden_global_offset_x
      - .offset:         144
        .size:           8
        .value_kind:     hidden_global_offset_y
      - .offset:         152
        .size:           8
        .value_kind:     hidden_global_offset_z
      - .offset:         160
        .size:           2
        .value_kind:     hidden_grid_dims
    .group_segment_fixed_size: 20740
    .kernarg_segment_align: 8
    .kernarg_segment_size: 352
    .language:       OpenCL C
    .language_version:
      - 2
      - 0
    .max_flat_workgroup_size: 1024
    .name:           _ZL19rocblas_trsv_deviceILi64ELi16ELb1ELb1ELb0ELb0EfPKfS1_PfEviT7_lllT6_T8_lllPii
    .private_segment_fixed_size: 0
    .sgpr_count:     100
    .sgpr_spill_count: 64
    .symbol:         _ZL19rocblas_trsv_deviceILi64ELi16ELb1ELb1ELb0ELb0EfPKfS1_PfEviT7_lllT6_T8_lllPii.kd
    .uniform_work_group_size: 1
    .uses_dynamic_stack: false
    .vgpr_count:     34
    .vgpr_spill_count: 0
    .wavefront_size: 64
  - .args:
      - .offset:         0
        .size:           4
        .value_kind:     by_value
      - .address_space:  global
        .offset:         8
        .size:           8
        .value_kind:     global_buffer
      - .offset:         16
        .size:           8
        .value_kind:     by_value
      - .offset:         24
        .size:           8
        .value_kind:     by_value
      - .offset:         32
        .size:           8
        .value_kind:     by_value
      - .address_space:  global
        .offset:         40
        .size:           8
        .value_kind:     global_buffer
      - .address_space:  global
        .offset:         48
        .size:           8
        .value_kind:     global_buffer
      - .offset:         56
        .size:           8
        .value_kind:     by_value
      - .offset:         64
        .size:           8
        .value_kind:     by_value
      - .offset:         72
        .size:           8
        .value_kind:     by_value
      - .address_space:  global
        .offset:         80
        .size:           8
        .value_kind:     global_buffer
      - .offset:         88
        .size:           4
        .value_kind:     by_value
      - .offset:         96
        .size:           4
        .value_kind:     hidden_block_count_x
      - .offset:         100
        .size:           4
        .value_kind:     hidden_block_count_y
      - .offset:         104
        .size:           4
        .value_kind:     hidden_block_count_z
      - .offset:         108
        .size:           2
        .value_kind:     hidden_group_size_x
      - .offset:         110
        .size:           2
        .value_kind:     hidden_group_size_y
      - .offset:         112
        .size:           2
        .value_kind:     hidden_group_size_z
      - .offset:         114
        .size:           2
        .value_kind:     hidden_remainder_x
      - .offset:         116
        .size:           2
        .value_kind:     hidden_remainder_y
      - .offset:         118
        .size:           2
        .value_kind:     hidden_remainder_z
      - .offset:         136
        .size:           8
        .value_kind:     hidden_global_offset_x
      - .offset:         144
        .size:           8
        .value_kind:     hidden_global_offset_y
      - .offset:         152
        .size:           8
        .value_kind:     hidden_global_offset_z
      - .offset:         160
        .size:           2
        .value_kind:     hidden_grid_dims
    .group_segment_fixed_size: 20740
    .kernarg_segment_align: 8
    .kernarg_segment_size: 352
    .language:       OpenCL C
    .language_version:
      - 2
      - 0
    .max_flat_workgroup_size: 1024
    .name:           _ZL19rocblas_trsv_deviceILi64ELi16ELb1ELb1ELb1ELb0EfPKfS1_PfEviT7_lllT6_T8_lllPii
    .private_segment_fixed_size: 0
    .sgpr_count:     100
    .sgpr_spill_count: 64
    .symbol:         _ZL19rocblas_trsv_deviceILi64ELi16ELb1ELb1ELb1ELb0EfPKfS1_PfEviT7_lllT6_T8_lllPii.kd
    .uniform_work_group_size: 1
    .uses_dynamic_stack: false
    .vgpr_count:     34
    .vgpr_spill_count: 0
    .wavefront_size: 64
  - .args:
      - .offset:         0
        .size:           4
        .value_kind:     by_value
      - .address_space:  global
        .offset:         8
        .size:           8
        .value_kind:     global_buffer
      - .offset:         16
        .size:           8
        .value_kind:     by_value
      - .offset:         24
        .size:           8
        .value_kind:     by_value
      - .offset:         32
        .size:           8
        .value_kind:     by_value
      - .offset:         40
        .size:           4
        .value_kind:     by_value
      - .address_space:  global
        .offset:         48
        .size:           8
        .value_kind:     global_buffer
      - .offset:         56
        .size:           8
        .value_kind:     by_value
      - .offset:         64
        .size:           8
        .value_kind:     by_value
      - .offset:         72
        .size:           8
        .value_kind:     by_value
      - .address_space:  global
        .offset:         80
        .size:           8
        .value_kind:     global_buffer
      - .offset:         88
        .size:           4
        .value_kind:     by_value
      - .offset:         96
        .size:           4
        .value_kind:     hidden_block_count_x
      - .offset:         100
        .size:           4
        .value_kind:     hidden_block_count_y
      - .offset:         104
        .size:           4
        .value_kind:     hidden_block_count_z
      - .offset:         108
        .size:           2
        .value_kind:     hidden_group_size_x
      - .offset:         110
        .size:           2
        .value_kind:     hidden_group_size_y
      - .offset:         112
        .size:           2
        .value_kind:     hidden_group_size_z
      - .offset:         114
        .size:           2
        .value_kind:     hidden_remainder_x
      - .offset:         116
        .size:           2
        .value_kind:     hidden_remainder_y
      - .offset:         118
        .size:           2
        .value_kind:     hidden_remainder_z
      - .offset:         136
        .size:           8
        .value_kind:     hidden_global_offset_x
      - .offset:         144
        .size:           8
        .value_kind:     hidden_global_offset_y
      - .offset:         152
        .size:           8
        .value_kind:     hidden_global_offset_z
      - .offset:         160
        .size:           2
        .value_kind:     hidden_grid_dims
    .group_segment_fixed_size: 20740
    .kernarg_segment_align: 8
    .kernarg_segment_size: 352
    .language:       OpenCL C
    .language_version:
      - 2
      - 0
    .max_flat_workgroup_size: 1024
    .name:           _ZL19rocblas_trsv_deviceILi64ELi16ELb0ELb0ELb0ELb1EffPKfPfEviT7_lllT6_T8_lllPii
    .private_segment_fixed_size: 0
    .sgpr_count:     100
    .sgpr_spill_count: 46
    .symbol:         _ZL19rocblas_trsv_deviceILi64ELi16ELb0ELb0ELb0ELb1EffPKfPfEviT7_lllT6_T8_lllPii.kd
    .uniform_work_group_size: 1
    .uses_dynamic_stack: false
    .vgpr_count:     28
    .vgpr_spill_count: 0
    .wavefront_size: 64
  - .args:
      - .offset:         0
        .size:           4
        .value_kind:     by_value
      - .address_space:  global
        .offset:         8
        .size:           8
        .value_kind:     global_buffer
      - .offset:         16
        .size:           8
        .value_kind:     by_value
      - .offset:         24
        .size:           8
        .value_kind:     by_value
      - .offset:         32
        .size:           8
        .value_kind:     by_value
      - .offset:         40
        .size:           4
        .value_kind:     by_value
      - .address_space:  global
        .offset:         48
        .size:           8
        .value_kind:     global_buffer
      - .offset:         56
        .size:           8
        .value_kind:     by_value
      - .offset:         64
        .size:           8
        .value_kind:     by_value
      - .offset:         72
        .size:           8
        .value_kind:     by_value
      - .address_space:  global
        .offset:         80
        .size:           8
        .value_kind:     global_buffer
      - .offset:         88
        .size:           4
        .value_kind:     by_value
      - .offset:         96
        .size:           4
        .value_kind:     hidden_block_count_x
      - .offset:         100
        .size:           4
        .value_kind:     hidden_block_count_y
      - .offset:         104
        .size:           4
        .value_kind:     hidden_block_count_z
      - .offset:         108
        .size:           2
        .value_kind:     hidden_group_size_x
      - .offset:         110
        .size:           2
        .value_kind:     hidden_group_size_y
      - .offset:         112
        .size:           2
        .value_kind:     hidden_group_size_z
      - .offset:         114
        .size:           2
        .value_kind:     hidden_remainder_x
      - .offset:         116
        .size:           2
        .value_kind:     hidden_remainder_y
      - .offset:         118
        .size:           2
        .value_kind:     hidden_remainder_z
      - .offset:         136
        .size:           8
        .value_kind:     hidden_global_offset_x
      - .offset:         144
        .size:           8
        .value_kind:     hidden_global_offset_y
      - .offset:         152
        .size:           8
        .value_kind:     hidden_global_offset_z
      - .offset:         160
        .size:           2
        .value_kind:     hidden_grid_dims
    .group_segment_fixed_size: 20740
    .kernarg_segment_align: 8
    .kernarg_segment_size: 352
    .language:       OpenCL C
    .language_version:
      - 2
      - 0
    .max_flat_workgroup_size: 1024
    .name:           _ZL19rocblas_trsv_deviceILi64ELi16ELb0ELb1ELb0ELb1EffPKfPfEviT7_lllT6_T8_lllPii
    .private_segment_fixed_size: 0
    .sgpr_count:     100
    .sgpr_spill_count: 52
    .symbol:         _ZL19rocblas_trsv_deviceILi64ELi16ELb0ELb1ELb0ELb1EffPKfPfEviT7_lllT6_T8_lllPii.kd
    .uniform_work_group_size: 1
    .uses_dynamic_stack: false
    .vgpr_count:     29
    .vgpr_spill_count: 0
    .wavefront_size: 64
  - .args:
      - .offset:         0
        .size:           4
        .value_kind:     by_value
      - .address_space:  global
        .offset:         8
        .size:           8
        .value_kind:     global_buffer
      - .offset:         16
        .size:           8
        .value_kind:     by_value
      - .offset:         24
        .size:           8
        .value_kind:     by_value
      - .offset:         32
        .size:           8
        .value_kind:     by_value
      - .offset:         40
        .size:           4
        .value_kind:     by_value
      - .address_space:  global
        .offset:         48
        .size:           8
        .value_kind:     global_buffer
      - .offset:         56
        .size:           8
        .value_kind:     by_value
      - .offset:         64
        .size:           8
        .value_kind:     by_value
      - .offset:         72
        .size:           8
        .value_kind:     by_value
      - .address_space:  global
        .offset:         80
        .size:           8
        .value_kind:     global_buffer
      - .offset:         88
        .size:           4
        .value_kind:     by_value
      - .offset:         96
        .size:           4
        .value_kind:     hidden_block_count_x
      - .offset:         100
        .size:           4
        .value_kind:     hidden_block_count_y
      - .offset:         104
        .size:           4
        .value_kind:     hidden_block_count_z
      - .offset:         108
        .size:           2
        .value_kind:     hidden_group_size_x
      - .offset:         110
        .size:           2
        .value_kind:     hidden_group_size_y
      - .offset:         112
        .size:           2
        .value_kind:     hidden_group_size_z
      - .offset:         114
        .size:           2
        .value_kind:     hidden_remainder_x
      - .offset:         116
        .size:           2
        .value_kind:     hidden_remainder_y
      - .offset:         118
        .size:           2
        .value_kind:     hidden_remainder_z
      - .offset:         136
        .size:           8
        .value_kind:     hidden_global_offset_x
      - .offset:         144
        .size:           8
        .value_kind:     hidden_global_offset_y
      - .offset:         152
        .size:           8
        .value_kind:     hidden_global_offset_z
      - .offset:         160
        .size:           2
        .value_kind:     hidden_grid_dims
    .group_segment_fixed_size: 20740
    .kernarg_segment_align: 8
    .kernarg_segment_size: 352
    .language:       OpenCL C
    .language_version:
      - 2
      - 0
    .max_flat_workgroup_size: 1024
    .name:           _ZL19rocblas_trsv_deviceILi64ELi16ELb0ELb1ELb1ELb1EffPKfPfEviT7_lllT6_T8_lllPii
    .private_segment_fixed_size: 0
    .sgpr_count:     100
    .sgpr_spill_count: 52
    .symbol:         _ZL19rocblas_trsv_deviceILi64ELi16ELb0ELb1ELb1ELb1EffPKfPfEviT7_lllT6_T8_lllPii.kd
    .uniform_work_group_size: 1
    .uses_dynamic_stack: false
    .vgpr_count:     29
    .vgpr_spill_count: 0
    .wavefront_size: 64
  - .args:
      - .offset:         0
        .size:           4
        .value_kind:     by_value
      - .address_space:  global
        .offset:         8
        .size:           8
        .value_kind:     global_buffer
      - .offset:         16
        .size:           8
        .value_kind:     by_value
      - .offset:         24
        .size:           8
        .value_kind:     by_value
      - .offset:         32
        .size:           8
        .value_kind:     by_value
      - .offset:         40
        .size:           4
        .value_kind:     by_value
      - .address_space:  global
        .offset:         48
        .size:           8
        .value_kind:     global_buffer
      - .offset:         56
        .size:           8
        .value_kind:     by_value
      - .offset:         64
        .size:           8
        .value_kind:     by_value
      - .offset:         72
        .size:           8
        .value_kind:     by_value
      - .address_space:  global
        .offset:         80
        .size:           8
        .value_kind:     global_buffer
      - .offset:         88
        .size:           4
        .value_kind:     by_value
      - .offset:         96
        .size:           4
        .value_kind:     hidden_block_count_x
      - .offset:         100
        .size:           4
        .value_kind:     hidden_block_count_y
      - .offset:         104
        .size:           4
        .value_kind:     hidden_block_count_z
      - .offset:         108
        .size:           2
        .value_kind:     hidden_group_size_x
      - .offset:         110
        .size:           2
        .value_kind:     hidden_group_size_y
      - .offset:         112
        .size:           2
        .value_kind:     hidden_group_size_z
      - .offset:         114
        .size:           2
        .value_kind:     hidden_remainder_x
      - .offset:         116
        .size:           2
        .value_kind:     hidden_remainder_y
      - .offset:         118
        .size:           2
        .value_kind:     hidden_remainder_z
      - .offset:         136
        .size:           8
        .value_kind:     hidden_global_offset_x
      - .offset:         144
        .size:           8
        .value_kind:     hidden_global_offset_y
      - .offset:         152
        .size:           8
        .value_kind:     hidden_global_offset_z
      - .offset:         160
        .size:           2
        .value_kind:     hidden_grid_dims
    .group_segment_fixed_size: 20740
    .kernarg_segment_align: 8
    .kernarg_segment_size: 352
    .language:       OpenCL C
    .language_version:
      - 2
      - 0
    .max_flat_workgroup_size: 1024
    .name:           _ZL19rocblas_trsv_deviceILi64ELi16ELb0ELb0ELb0ELb0EffPKfPfEviT7_lllT6_T8_lllPii
    .private_segment_fixed_size: 0
    .sgpr_count:     100
    .sgpr_spill_count: 47
    .symbol:         _ZL19rocblas_trsv_deviceILi64ELi16ELb0ELb0ELb0ELb0EffPKfPfEviT7_lllT6_T8_lllPii.kd
    .uniform_work_group_size: 1
    .uses_dynamic_stack: false
    .vgpr_count:     28
    .vgpr_spill_count: 0
    .wavefront_size: 64
  - .args:
      - .offset:         0
        .size:           4
        .value_kind:     by_value
      - .address_space:  global
        .offset:         8
        .size:           8
        .value_kind:     global_buffer
      - .offset:         16
        .size:           8
        .value_kind:     by_value
      - .offset:         24
        .size:           8
        .value_kind:     by_value
      - .offset:         32
        .size:           8
        .value_kind:     by_value
      - .offset:         40
        .size:           4
        .value_kind:     by_value
      - .address_space:  global
        .offset:         48
        .size:           8
        .value_kind:     global_buffer
      - .offset:         56
        .size:           8
        .value_kind:     by_value
      - .offset:         64
        .size:           8
        .value_kind:     by_value
      - .offset:         72
        .size:           8
        .value_kind:     by_value
      - .address_space:  global
        .offset:         80
        .size:           8
        .value_kind:     global_buffer
      - .offset:         88
        .size:           4
        .value_kind:     by_value
      - .offset:         96
        .size:           4
        .value_kind:     hidden_block_count_x
      - .offset:         100
        .size:           4
        .value_kind:     hidden_block_count_y
      - .offset:         104
        .size:           4
        .value_kind:     hidden_block_count_z
      - .offset:         108
        .size:           2
        .value_kind:     hidden_group_size_x
      - .offset:         110
        .size:           2
        .value_kind:     hidden_group_size_y
      - .offset:         112
        .size:           2
        .value_kind:     hidden_group_size_z
      - .offset:         114
        .size:           2
        .value_kind:     hidden_remainder_x
      - .offset:         116
        .size:           2
        .value_kind:     hidden_remainder_y
      - .offset:         118
        .size:           2
        .value_kind:     hidden_remainder_z
      - .offset:         136
        .size:           8
        .value_kind:     hidden_global_offset_x
      - .offset:         144
        .size:           8
        .value_kind:     hidden_global_offset_y
      - .offset:         152
        .size:           8
        .value_kind:     hidden_global_offset_z
      - .offset:         160
        .size:           2
        .value_kind:     hidden_grid_dims
    .group_segment_fixed_size: 20740
    .kernarg_segment_align: 8
    .kernarg_segment_size: 352
    .language:       OpenCL C
    .language_version:
      - 2
      - 0
    .max_flat_workgroup_size: 1024
    .name:           _ZL19rocblas_trsv_deviceILi64ELi16ELb0ELb1ELb0ELb0EffPKfPfEviT7_lllT6_T8_lllPii
    .private_segment_fixed_size: 0
    .sgpr_count:     100
    .sgpr_spill_count: 55
    .symbol:         _ZL19rocblas_trsv_deviceILi64ELi16ELb0ELb1ELb0ELb0EffPKfPfEviT7_lllT6_T8_lllPii.kd
    .uniform_work_group_size: 1
    .uses_dynamic_stack: false
    .vgpr_count:     28
    .vgpr_spill_count: 0
    .wavefront_size: 64
  - .args:
      - .offset:         0
        .size:           4
        .value_kind:     by_value
      - .address_space:  global
        .offset:         8
        .size:           8
        .value_kind:     global_buffer
      - .offset:         16
        .size:           8
        .value_kind:     by_value
      - .offset:         24
        .size:           8
        .value_kind:     by_value
      - .offset:         32
        .size:           8
        .value_kind:     by_value
      - .offset:         40
        .size:           4
        .value_kind:     by_value
      - .address_space:  global
        .offset:         48
        .size:           8
        .value_kind:     global_buffer
      - .offset:         56
        .size:           8
        .value_kind:     by_value
      - .offset:         64
        .size:           8
        .value_kind:     by_value
      - .offset:         72
        .size:           8
        .value_kind:     by_value
      - .address_space:  global
        .offset:         80
        .size:           8
        .value_kind:     global_buffer
      - .offset:         88
        .size:           4
        .value_kind:     by_value
      - .offset:         96
        .size:           4
        .value_kind:     hidden_block_count_x
      - .offset:         100
        .size:           4
        .value_kind:     hidden_block_count_y
      - .offset:         104
        .size:           4
        .value_kind:     hidden_block_count_z
      - .offset:         108
        .size:           2
        .value_kind:     hidden_group_size_x
      - .offset:         110
        .size:           2
        .value_kind:     hidden_group_size_y
      - .offset:         112
        .size:           2
        .value_kind:     hidden_group_size_z
      - .offset:         114
        .size:           2
        .value_kind:     hidden_remainder_x
      - .offset:         116
        .size:           2
        .value_kind:     hidden_remainder_y
      - .offset:         118
        .size:           2
        .value_kind:     hidden_remainder_z
      - .offset:         136
        .size:           8
        .value_kind:     hidden_global_offset_x
      - .offset:         144
        .size:           8
        .value_kind:     hidden_global_offset_y
      - .offset:         152
        .size:           8
        .value_kind:     hidden_global_offset_z
      - .offset:         160
        .size:           2
        .value_kind:     hidden_grid_dims
    .group_segment_fixed_size: 20740
    .kernarg_segment_align: 8
    .kernarg_segment_size: 352
    .language:       OpenCL C
    .language_version:
      - 2
      - 0
    .max_flat_workgroup_size: 1024
    .name:           _ZL19rocblas_trsv_deviceILi64ELi16ELb0ELb1ELb1ELb0EffPKfPfEviT7_lllT6_T8_lllPii
    .private_segment_fixed_size: 0
    .sgpr_count:     100
    .sgpr_spill_count: 55
    .symbol:         _ZL19rocblas_trsv_deviceILi64ELi16ELb0ELb1ELb1ELb0EffPKfPfEviT7_lllT6_T8_lllPii.kd
    .uniform_work_group_size: 1
    .uses_dynamic_stack: false
    .vgpr_count:     28
    .vgpr_spill_count: 0
    .wavefront_size: 64
  - .args:
      - .offset:         0
        .size:           4
        .value_kind:     by_value
      - .address_space:  global
        .offset:         8
        .size:           8
        .value_kind:     global_buffer
      - .offset:         16
        .size:           8
        .value_kind:     by_value
      - .offset:         24
        .size:           8
        .value_kind:     by_value
      - .offset:         32
        .size:           8
        .value_kind:     by_value
      - .offset:         40
        .size:           4
        .value_kind:     by_value
      - .address_space:  global
        .offset:         48
        .size:           8
        .value_kind:     global_buffer
      - .offset:         56
        .size:           8
        .value_kind:     by_value
      - .offset:         64
        .size:           8
        .value_kind:     by_value
      - .offset:         72
        .size:           8
        .value_kind:     by_value
      - .address_space:  global
        .offset:         80
        .size:           8
        .value_kind:     global_buffer
      - .offset:         88
        .size:           4
        .value_kind:     by_value
      - .offset:         96
        .size:           4
        .value_kind:     hidden_block_count_x
      - .offset:         100
        .size:           4
        .value_kind:     hidden_block_count_y
      - .offset:         104
        .size:           4
        .value_kind:     hidden_block_count_z
      - .offset:         108
        .size:           2
        .value_kind:     hidden_group_size_x
      - .offset:         110
        .size:           2
        .value_kind:     hidden_group_size_y
      - .offset:         112
        .size:           2
        .value_kind:     hidden_group_size_z
      - .offset:         114
        .size:           2
        .value_kind:     hidden_remainder_x
      - .offset:         116
        .size:           2
        .value_kind:     hidden_remainder_y
      - .offset:         118
        .size:           2
        .value_kind:     hidden_remainder_z
      - .offset:         136
        .size:           8
        .value_kind:     hidden_global_offset_x
      - .offset:         144
        .size:           8
        .value_kind:     hidden_global_offset_y
      - .offset:         152
        .size:           8
        .value_kind:     hidden_global_offset_z
      - .offset:         160
        .size:           2
        .value_kind:     hidden_grid_dims
    .group_segment_fixed_size: 20740
    .kernarg_segment_align: 8
    .kernarg_segment_size: 352
    .language:       OpenCL C
    .language_version:
      - 2
      - 0
    .max_flat_workgroup_size: 1024
    .name:           _ZL19rocblas_trsv_deviceILi64ELi16ELb1ELb0ELb0ELb1EffPKfPfEviT7_lllT6_T8_lllPii
    .private_segment_fixed_size: 0
    .sgpr_count:     100
    .sgpr_spill_count: 42
    .symbol:         _ZL19rocblas_trsv_deviceILi64ELi16ELb1ELb0ELb0ELb1EffPKfPfEviT7_lllT6_T8_lllPii.kd
    .uniform_work_group_size: 1
    .uses_dynamic_stack: false
    .vgpr_count:     35
    .vgpr_spill_count: 0
    .wavefront_size: 64
  - .args:
      - .offset:         0
        .size:           4
        .value_kind:     by_value
      - .address_space:  global
        .offset:         8
        .size:           8
        .value_kind:     global_buffer
      - .offset:         16
        .size:           8
        .value_kind:     by_value
      - .offset:         24
        .size:           8
        .value_kind:     by_value
      - .offset:         32
        .size:           8
        .value_kind:     by_value
      - .offset:         40
        .size:           4
        .value_kind:     by_value
      - .address_space:  global
        .offset:         48
        .size:           8
        .value_kind:     global_buffer
      - .offset:         56
        .size:           8
        .value_kind:     by_value
      - .offset:         64
        .size:           8
        .value_kind:     by_value
      - .offset:         72
        .size:           8
        .value_kind:     by_value
      - .address_space:  global
        .offset:         80
        .size:           8
        .value_kind:     global_buffer
      - .offset:         88
        .size:           4
        .value_kind:     by_value
      - .offset:         96
        .size:           4
        .value_kind:     hidden_block_count_x
      - .offset:         100
        .size:           4
        .value_kind:     hidden_block_count_y
      - .offset:         104
        .size:           4
        .value_kind:     hidden_block_count_z
      - .offset:         108
        .size:           2
        .value_kind:     hidden_group_size_x
      - .offset:         110
        .size:           2
        .value_kind:     hidden_group_size_y
      - .offset:         112
        .size:           2
        .value_kind:     hidden_group_size_z
      - .offset:         114
        .size:           2
        .value_kind:     hidden_remainder_x
      - .offset:         116
        .size:           2
        .value_kind:     hidden_remainder_y
      - .offset:         118
        .size:           2
        .value_kind:     hidden_remainder_z
      - .offset:         136
        .size:           8
        .value_kind:     hidden_global_offset_x
      - .offset:         144
        .size:           8
        .value_kind:     hidden_global_offset_y
      - .offset:         152
        .size:           8
        .value_kind:     hidden_global_offset_z
      - .offset:         160
        .size:           2
        .value_kind:     hidden_grid_dims
    .group_segment_fixed_size: 20740
    .kernarg_segment_align: 8
    .kernarg_segment_size: 352
    .language:       OpenCL C
    .language_version:
      - 2
      - 0
    .max_flat_workgroup_size: 1024
    .name:           _ZL19rocblas_trsv_deviceILi64ELi16ELb1ELb1ELb0ELb1EffPKfPfEviT7_lllT6_T8_lllPii
    .private_segment_fixed_size: 0
    .sgpr_count:     100
    .sgpr_spill_count: 56
    .symbol:         _ZL19rocblas_trsv_deviceILi64ELi16ELb1ELb1ELb0ELb1EffPKfPfEviT7_lllT6_T8_lllPii.kd
    .uniform_work_group_size: 1
    .uses_dynamic_stack: false
    .vgpr_count:     34
    .vgpr_spill_count: 0
    .wavefront_size: 64
  - .args:
      - .offset:         0
        .size:           4
        .value_kind:     by_value
      - .address_space:  global
        .offset:         8
        .size:           8
        .value_kind:     global_buffer
      - .offset:         16
        .size:           8
        .value_kind:     by_value
      - .offset:         24
        .size:           8
        .value_kind:     by_value
      - .offset:         32
        .size:           8
        .value_kind:     by_value
      - .offset:         40
        .size:           4
        .value_kind:     by_value
      - .address_space:  global
        .offset:         48
        .size:           8
        .value_kind:     global_buffer
      - .offset:         56
        .size:           8
        .value_kind:     by_value
      - .offset:         64
        .size:           8
        .value_kind:     by_value
      - .offset:         72
        .size:           8
        .value_kind:     by_value
      - .address_space:  global
        .offset:         80
        .size:           8
        .value_kind:     global_buffer
      - .offset:         88
        .size:           4
        .value_kind:     by_value
      - .offset:         96
        .size:           4
        .value_kind:     hidden_block_count_x
      - .offset:         100
        .size:           4
        .value_kind:     hidden_block_count_y
      - .offset:         104
        .size:           4
        .value_kind:     hidden_block_count_z
      - .offset:         108
        .size:           2
        .value_kind:     hidden_group_size_x
      - .offset:         110
        .size:           2
        .value_kind:     hidden_group_size_y
      - .offset:         112
        .size:           2
        .value_kind:     hidden_group_size_z
      - .offset:         114
        .size:           2
        .value_kind:     hidden_remainder_x
      - .offset:         116
        .size:           2
        .value_kind:     hidden_remainder_y
      - .offset:         118
        .size:           2
        .value_kind:     hidden_remainder_z
      - .offset:         136
        .size:           8
        .value_kind:     hidden_global_offset_x
      - .offset:         144
        .size:           8
        .value_kind:     hidden_global_offset_y
      - .offset:         152
        .size:           8
        .value_kind:     hidden_global_offset_z
      - .offset:         160
        .size:           2
        .value_kind:     hidden_grid_dims
    .group_segment_fixed_size: 20740
    .kernarg_segment_align: 8
    .kernarg_segment_size: 352
    .language:       OpenCL C
    .language_version:
      - 2
      - 0
    .max_flat_workgroup_size: 1024
    .name:           _ZL19rocblas_trsv_deviceILi64ELi16ELb1ELb1ELb1ELb1EffPKfPfEviT7_lllT6_T8_lllPii
    .private_segment_fixed_size: 0
    .sgpr_count:     100
    .sgpr_spill_count: 56
    .symbol:         _ZL19rocblas_trsv_deviceILi64ELi16ELb1ELb1ELb1ELb1EffPKfPfEviT7_lllT6_T8_lllPii.kd
    .uniform_work_group_size: 1
    .uses_dynamic_stack: false
    .vgpr_count:     34
    .vgpr_spill_count: 0
    .wavefront_size: 64
  - .args:
      - .offset:         0
        .size:           4
        .value_kind:     by_value
      - .address_space:  global
        .offset:         8
        .size:           8
        .value_kind:     global_buffer
      - .offset:         16
        .size:           8
        .value_kind:     by_value
      - .offset:         24
        .size:           8
        .value_kind:     by_value
      - .offset:         32
        .size:           8
        .value_kind:     by_value
      - .offset:         40
        .size:           4
        .value_kind:     by_value
      - .address_space:  global
        .offset:         48
        .size:           8
        .value_kind:     global_buffer
      - .offset:         56
        .size:           8
        .value_kind:     by_value
      - .offset:         64
        .size:           8
        .value_kind:     by_value
      - .offset:         72
        .size:           8
        .value_kind:     by_value
      - .address_space:  global
        .offset:         80
        .size:           8
        .value_kind:     global_buffer
      - .offset:         88
        .size:           4
        .value_kind:     by_value
      - .offset:         96
        .size:           4
        .value_kind:     hidden_block_count_x
      - .offset:         100
        .size:           4
        .value_kind:     hidden_block_count_y
      - .offset:         104
        .size:           4
        .value_kind:     hidden_block_count_z
      - .offset:         108
        .size:           2
        .value_kind:     hidden_group_size_x
      - .offset:         110
        .size:           2
        .value_kind:     hidden_group_size_y
      - .offset:         112
        .size:           2
        .value_kind:     hidden_group_size_z
      - .offset:         114
        .size:           2
        .value_kind:     hidden_remainder_x
      - .offset:         116
        .size:           2
        .value_kind:     hidden_remainder_y
      - .offset:         118
        .size:           2
        .value_kind:     hidden_remainder_z
      - .offset:         136
        .size:           8
        .value_kind:     hidden_global_offset_x
      - .offset:         144
        .size:           8
        .value_kind:     hidden_global_offset_y
      - .offset:         152
        .size:           8
        .value_kind:     hidden_global_offset_z
      - .offset:         160
        .size:           2
        .value_kind:     hidden_grid_dims
    .group_segment_fixed_size: 20740
    .kernarg_segment_align: 8
    .kernarg_segment_size: 352
    .language:       OpenCL C
    .language_version:
      - 2
      - 0
    .max_flat_workgroup_size: 1024
    .name:           _ZL19rocblas_trsv_deviceILi64ELi16ELb1ELb0ELb0ELb0EffPKfPfEviT7_lllT6_T8_lllPii
    .private_segment_fixed_size: 0
    .sgpr_count:     100
    .sgpr_spill_count: 45
    .symbol:         _ZL19rocblas_trsv_deviceILi64ELi16ELb1ELb0ELb0ELb0EffPKfPfEviT7_lllT6_T8_lllPii.kd
    .uniform_work_group_size: 1
    .uses_dynamic_stack: false
    .vgpr_count:     34
    .vgpr_spill_count: 0
    .wavefront_size: 64
  - .args:
      - .offset:         0
        .size:           4
        .value_kind:     by_value
      - .address_space:  global
        .offset:         8
        .size:           8
        .value_kind:     global_buffer
      - .offset:         16
        .size:           8
        .value_kind:     by_value
      - .offset:         24
        .size:           8
        .value_kind:     by_value
      - .offset:         32
        .size:           8
        .value_kind:     by_value
      - .offset:         40
        .size:           4
        .value_kind:     by_value
      - .address_space:  global
        .offset:         48
        .size:           8
        .value_kind:     global_buffer
      - .offset:         56
        .size:           8
        .value_kind:     by_value
      - .offset:         64
        .size:           8
        .value_kind:     by_value
      - .offset:         72
        .size:           8
        .value_kind:     by_value
      - .address_space:  global
        .offset:         80
        .size:           8
        .value_kind:     global_buffer
      - .offset:         88
        .size:           4
        .value_kind:     by_value
      - .offset:         96
        .size:           4
        .value_kind:     hidden_block_count_x
      - .offset:         100
        .size:           4
        .value_kind:     hidden_block_count_y
      - .offset:         104
        .size:           4
        .value_kind:     hidden_block_count_z
      - .offset:         108
        .size:           2
        .value_kind:     hidden_group_size_x
      - .offset:         110
        .size:           2
        .value_kind:     hidden_group_size_y
      - .offset:         112
        .size:           2
        .value_kind:     hidden_group_size_z
      - .offset:         114
        .size:           2
        .value_kind:     hidden_remainder_x
      - .offset:         116
        .size:           2
        .value_kind:     hidden_remainder_y
      - .offset:         118
        .size:           2
        .value_kind:     hidden_remainder_z
      - .offset:         136
        .size:           8
        .value_kind:     hidden_global_offset_x
      - .offset:         144
        .size:           8
        .value_kind:     hidden_global_offset_y
      - .offset:         152
        .size:           8
        .value_kind:     hidden_global_offset_z
      - .offset:         160
        .size:           2
        .value_kind:     hidden_grid_dims
    .group_segment_fixed_size: 20740
    .kernarg_segment_align: 8
    .kernarg_segment_size: 352
    .language:       OpenCL C
    .language_version:
      - 2
      - 0
    .max_flat_workgroup_size: 1024
    .name:           _ZL19rocblas_trsv_deviceILi64ELi16ELb1ELb1ELb0ELb0EffPKfPfEviT7_lllT6_T8_lllPii
    .private_segment_fixed_size: 0
    .sgpr_count:     100
    .sgpr_spill_count: 57
    .symbol:         _ZL19rocblas_trsv_deviceILi64ELi16ELb1ELb1ELb0ELb0EffPKfPfEviT7_lllT6_T8_lllPii.kd
    .uniform_work_group_size: 1
    .uses_dynamic_stack: false
    .vgpr_count:     34
    .vgpr_spill_count: 0
    .wavefront_size: 64
  - .args:
      - .offset:         0
        .size:           4
        .value_kind:     by_value
      - .address_space:  global
        .offset:         8
        .size:           8
        .value_kind:     global_buffer
      - .offset:         16
        .size:           8
        .value_kind:     by_value
      - .offset:         24
        .size:           8
        .value_kind:     by_value
      - .offset:         32
        .size:           8
        .value_kind:     by_value
      - .offset:         40
        .size:           4
        .value_kind:     by_value
      - .address_space:  global
        .offset:         48
        .size:           8
        .value_kind:     global_buffer
      - .offset:         56
        .size:           8
        .value_kind:     by_value
      - .offset:         64
        .size:           8
        .value_kind:     by_value
      - .offset:         72
        .size:           8
        .value_kind:     by_value
      - .address_space:  global
        .offset:         80
        .size:           8
        .value_kind:     global_buffer
      - .offset:         88
        .size:           4
        .value_kind:     by_value
      - .offset:         96
        .size:           4
        .value_kind:     hidden_block_count_x
      - .offset:         100
        .size:           4
        .value_kind:     hidden_block_count_y
      - .offset:         104
        .size:           4
        .value_kind:     hidden_block_count_z
      - .offset:         108
        .size:           2
        .value_kind:     hidden_group_size_x
      - .offset:         110
        .size:           2
        .value_kind:     hidden_group_size_y
      - .offset:         112
        .size:           2
        .value_kind:     hidden_group_size_z
      - .offset:         114
        .size:           2
        .value_kind:     hidden_remainder_x
      - .offset:         116
        .size:           2
        .value_kind:     hidden_remainder_y
      - .offset:         118
        .size:           2
        .value_kind:     hidden_remainder_z
      - .offset:         136
        .size:           8
        .value_kind:     hidden_global_offset_x
      - .offset:         144
        .size:           8
        .value_kind:     hidden_global_offset_y
      - .offset:         152
        .size:           8
        .value_kind:     hidden_global_offset_z
      - .offset:         160
        .size:           2
        .value_kind:     hidden_grid_dims
    .group_segment_fixed_size: 20740
    .kernarg_segment_align: 8
    .kernarg_segment_size: 352
    .language:       OpenCL C
    .language_version:
      - 2
      - 0
    .max_flat_workgroup_size: 1024
    .name:           _ZL19rocblas_trsv_deviceILi64ELi16ELb1ELb1ELb1ELb0EffPKfPfEviT7_lllT6_T8_lllPii
    .private_segment_fixed_size: 0
    .sgpr_count:     100
    .sgpr_spill_count: 57
    .symbol:         _ZL19rocblas_trsv_deviceILi64ELi16ELb1ELb1ELb1ELb0EffPKfPfEviT7_lllT6_T8_lllPii.kd
    .uniform_work_group_size: 1
    .uses_dynamic_stack: false
    .vgpr_count:     34
    .vgpr_spill_count: 0
    .wavefront_size: 64
  - .args:
      - .offset:         0
        .size:           4
        .value_kind:     by_value
      - .address_space:  global
        .offset:         8
        .size:           8
        .value_kind:     global_buffer
      - .offset:         16
        .size:           8
        .value_kind:     by_value
      - .offset:         24
        .size:           8
        .value_kind:     by_value
      - .offset:         32
        .size:           8
        .value_kind:     by_value
      - .address_space:  global
        .offset:         40
        .size:           8
        .value_kind:     global_buffer
      - .address_space:  global
        .offset:         48
        .size:           8
        .value_kind:     global_buffer
      - .offset:         56
        .size:           8
        .value_kind:     by_value
      - .offset:         64
        .size:           8
        .value_kind:     by_value
      - .offset:         72
        .size:           8
        .value_kind:     by_value
      - .address_space:  global
        .offset:         80
        .size:           8
        .value_kind:     global_buffer
      - .offset:         88
        .size:           4
        .value_kind:     by_value
      - .offset:         96
        .size:           4
        .value_kind:     hidden_block_count_x
      - .offset:         100
        .size:           4
        .value_kind:     hidden_block_count_y
      - .offset:         104
        .size:           4
        .value_kind:     hidden_block_count_z
      - .offset:         108
        .size:           2
        .value_kind:     hidden_group_size_x
      - .offset:         110
        .size:           2
        .value_kind:     hidden_group_size_y
      - .offset:         112
        .size:           2
        .value_kind:     hidden_group_size_z
      - .offset:         114
        .size:           2
        .value_kind:     hidden_remainder_x
      - .offset:         116
        .size:           2
        .value_kind:     hidden_remainder_y
      - .offset:         118
        .size:           2
        .value_kind:     hidden_remainder_z
      - .offset:         136
        .size:           8
        .value_kind:     hidden_global_offset_x
      - .offset:         144
        .size:           8
        .value_kind:     hidden_global_offset_y
      - .offset:         152
        .size:           8
        .value_kind:     hidden_global_offset_z
      - .offset:         160
        .size:           2
        .value_kind:     hidden_grid_dims
    .group_segment_fixed_size: 41480
    .kernarg_segment_align: 8
    .kernarg_segment_size: 352
    .language:       OpenCL C
    .language_version:
      - 2
      - 0
    .max_flat_workgroup_size: 1024
    .name:           _ZL19rocblas_trsv_deviceILi64ELi16ELb0ELb0ELb0ELb1EdPKdS1_PdEviT7_lllT6_T8_lllPii
    .private_segment_fixed_size: 0
    .sgpr_count:     100
    .sgpr_spill_count: 54
    .symbol:         _ZL19rocblas_trsv_deviceILi64ELi16ELb0ELb0ELb0ELb1EdPKdS1_PdEviT7_lllT6_T8_lllPii.kd
    .uniform_work_group_size: 1
    .uses_dynamic_stack: false
    .vgpr_count:     35
    .vgpr_spill_count: 0
    .wavefront_size: 64
  - .args:
      - .offset:         0
        .size:           4
        .value_kind:     by_value
      - .address_space:  global
        .offset:         8
        .size:           8
        .value_kind:     global_buffer
      - .offset:         16
        .size:           8
        .value_kind:     by_value
      - .offset:         24
        .size:           8
        .value_kind:     by_value
      - .offset:         32
        .size:           8
        .value_kind:     by_value
      - .address_space:  global
        .offset:         40
        .size:           8
        .value_kind:     global_buffer
      - .address_space:  global
        .offset:         48
        .size:           8
        .value_kind:     global_buffer
      - .offset:         56
        .size:           8
        .value_kind:     by_value
      - .offset:         64
        .size:           8
        .value_kind:     by_value
      - .offset:         72
        .size:           8
        .value_kind:     by_value
      - .address_space:  global
        .offset:         80
        .size:           8
        .value_kind:     global_buffer
      - .offset:         88
        .size:           4
        .value_kind:     by_value
      - .offset:         96
        .size:           4
        .value_kind:     hidden_block_count_x
      - .offset:         100
        .size:           4
        .value_kind:     hidden_block_count_y
      - .offset:         104
        .size:           4
        .value_kind:     hidden_block_count_z
      - .offset:         108
        .size:           2
        .value_kind:     hidden_group_size_x
      - .offset:         110
        .size:           2
        .value_kind:     hidden_group_size_y
      - .offset:         112
        .size:           2
        .value_kind:     hidden_group_size_z
      - .offset:         114
        .size:           2
        .value_kind:     hidden_remainder_x
      - .offset:         116
        .size:           2
        .value_kind:     hidden_remainder_y
      - .offset:         118
        .size:           2
        .value_kind:     hidden_remainder_z
      - .offset:         136
        .size:           8
        .value_kind:     hidden_global_offset_x
      - .offset:         144
        .size:           8
        .value_kind:     hidden_global_offset_y
      - .offset:         152
        .size:           8
        .value_kind:     hidden_global_offset_z
      - .offset:         160
        .size:           2
        .value_kind:     hidden_grid_dims
    .group_segment_fixed_size: 41480
    .kernarg_segment_align: 8
    .kernarg_segment_size: 352
    .language:       OpenCL C
    .language_version:
      - 2
      - 0
    .max_flat_workgroup_size: 1024
    .name:           _ZL19rocblas_trsv_deviceILi64ELi16ELb0ELb1ELb0ELb1EdPKdS1_PdEviT7_lllT6_T8_lllPii
    .private_segment_fixed_size: 0
    .sgpr_count:     100
    .sgpr_spill_count: 60
    .symbol:         _ZL19rocblas_trsv_deviceILi64ELi16ELb0ELb1ELb0ELb1EdPKdS1_PdEviT7_lllT6_T8_lllPii.kd
    .uniform_work_group_size: 1
    .uses_dynamic_stack: false
    .vgpr_count:     36
    .vgpr_spill_count: 0
    .wavefront_size: 64
  - .args:
      - .offset:         0
        .size:           4
        .value_kind:     by_value
      - .address_space:  global
        .offset:         8
        .size:           8
        .value_kind:     global_buffer
      - .offset:         16
        .size:           8
        .value_kind:     by_value
      - .offset:         24
        .size:           8
        .value_kind:     by_value
      - .offset:         32
        .size:           8
        .value_kind:     by_value
      - .address_space:  global
        .offset:         40
        .size:           8
        .value_kind:     global_buffer
      - .address_space:  global
        .offset:         48
        .size:           8
        .value_kind:     global_buffer
      - .offset:         56
        .size:           8
        .value_kind:     by_value
      - .offset:         64
        .size:           8
        .value_kind:     by_value
      - .offset:         72
        .size:           8
        .value_kind:     by_value
      - .address_space:  global
        .offset:         80
        .size:           8
        .value_kind:     global_buffer
      - .offset:         88
        .size:           4
        .value_kind:     by_value
      - .offset:         96
        .size:           4
        .value_kind:     hidden_block_count_x
      - .offset:         100
        .size:           4
        .value_kind:     hidden_block_count_y
      - .offset:         104
        .size:           4
        .value_kind:     hidden_block_count_z
      - .offset:         108
        .size:           2
        .value_kind:     hidden_group_size_x
      - .offset:         110
        .size:           2
        .value_kind:     hidden_group_size_y
      - .offset:         112
        .size:           2
        .value_kind:     hidden_group_size_z
      - .offset:         114
        .size:           2
        .value_kind:     hidden_remainder_x
      - .offset:         116
        .size:           2
        .value_kind:     hidden_remainder_y
      - .offset:         118
        .size:           2
        .value_kind:     hidden_remainder_z
      - .offset:         136
        .size:           8
        .value_kind:     hidden_global_offset_x
      - .offset:         144
        .size:           8
        .value_kind:     hidden_global_offset_y
      - .offset:         152
        .size:           8
        .value_kind:     hidden_global_offset_z
      - .offset:         160
        .size:           2
        .value_kind:     hidden_grid_dims
    .group_segment_fixed_size: 41480
    .kernarg_segment_align: 8
    .kernarg_segment_size: 352
    .language:       OpenCL C
    .language_version:
      - 2
      - 0
    .max_flat_workgroup_size: 1024
    .name:           _ZL19rocblas_trsv_deviceILi64ELi16ELb0ELb1ELb1ELb1EdPKdS1_PdEviT7_lllT6_T8_lllPii
    .private_segment_fixed_size: 0
    .sgpr_count:     100
    .sgpr_spill_count: 60
    .symbol:         _ZL19rocblas_trsv_deviceILi64ELi16ELb0ELb1ELb1ELb1EdPKdS1_PdEviT7_lllT6_T8_lllPii.kd
    .uniform_work_group_size: 1
    .uses_dynamic_stack: false
    .vgpr_count:     36
    .vgpr_spill_count: 0
    .wavefront_size: 64
  - .args:
      - .offset:         0
        .size:           4
        .value_kind:     by_value
      - .address_space:  global
        .offset:         8
        .size:           8
        .value_kind:     global_buffer
      - .offset:         16
        .size:           8
        .value_kind:     by_value
      - .offset:         24
        .size:           8
        .value_kind:     by_value
      - .offset:         32
        .size:           8
        .value_kind:     by_value
      - .address_space:  global
        .offset:         40
        .size:           8
        .value_kind:     global_buffer
      - .address_space:  global
        .offset:         48
        .size:           8
        .value_kind:     global_buffer
      - .offset:         56
        .size:           8
        .value_kind:     by_value
      - .offset:         64
        .size:           8
        .value_kind:     by_value
      - .offset:         72
        .size:           8
        .value_kind:     by_value
      - .address_space:  global
        .offset:         80
        .size:           8
        .value_kind:     global_buffer
      - .offset:         88
        .size:           4
        .value_kind:     by_value
      - .offset:         96
        .size:           4
        .value_kind:     hidden_block_count_x
      - .offset:         100
        .size:           4
        .value_kind:     hidden_block_count_y
      - .offset:         104
        .size:           4
        .value_kind:     hidden_block_count_z
      - .offset:         108
        .size:           2
        .value_kind:     hidden_group_size_x
      - .offset:         110
        .size:           2
        .value_kind:     hidden_group_size_y
      - .offset:         112
        .size:           2
        .value_kind:     hidden_group_size_z
      - .offset:         114
        .size:           2
        .value_kind:     hidden_remainder_x
      - .offset:         116
        .size:           2
        .value_kind:     hidden_remainder_y
      - .offset:         118
        .size:           2
        .value_kind:     hidden_remainder_z
      - .offset:         136
        .size:           8
        .value_kind:     hidden_global_offset_x
      - .offset:         144
        .size:           8
        .value_kind:     hidden_global_offset_y
      - .offset:         152
        .size:           8
        .value_kind:     hidden_global_offset_z
      - .offset:         160
        .size:           2
        .value_kind:     hidden_grid_dims
    .group_segment_fixed_size: 41480
    .kernarg_segment_align: 8
    .kernarg_segment_size: 352
    .language:       OpenCL C
    .language_version:
      - 2
      - 0
    .max_flat_workgroup_size: 1024
    .name:           _ZL19rocblas_trsv_deviceILi64ELi16ELb0ELb0ELb0ELb0EdPKdS1_PdEviT7_lllT6_T8_lllPii
    .private_segment_fixed_size: 0
    .sgpr_count:     100
    .sgpr_spill_count: 55
    .symbol:         _ZL19rocblas_trsv_deviceILi64ELi16ELb0ELb0ELb0ELb0EdPKdS1_PdEviT7_lllT6_T8_lllPii.kd
    .uniform_work_group_size: 1
    .uses_dynamic_stack: false
    .vgpr_count:     37
    .vgpr_spill_count: 0
    .wavefront_size: 64
  - .args:
      - .offset:         0
        .size:           4
        .value_kind:     by_value
      - .address_space:  global
        .offset:         8
        .size:           8
        .value_kind:     global_buffer
      - .offset:         16
        .size:           8
        .value_kind:     by_value
      - .offset:         24
        .size:           8
        .value_kind:     by_value
      - .offset:         32
        .size:           8
        .value_kind:     by_value
      - .address_space:  global
        .offset:         40
        .size:           8
        .value_kind:     global_buffer
      - .address_space:  global
        .offset:         48
        .size:           8
        .value_kind:     global_buffer
      - .offset:         56
        .size:           8
        .value_kind:     by_value
      - .offset:         64
        .size:           8
        .value_kind:     by_value
      - .offset:         72
        .size:           8
        .value_kind:     by_value
      - .address_space:  global
        .offset:         80
        .size:           8
        .value_kind:     global_buffer
      - .offset:         88
        .size:           4
        .value_kind:     by_value
      - .offset:         96
        .size:           4
        .value_kind:     hidden_block_count_x
      - .offset:         100
        .size:           4
        .value_kind:     hidden_block_count_y
      - .offset:         104
        .size:           4
        .value_kind:     hidden_block_count_z
      - .offset:         108
        .size:           2
        .value_kind:     hidden_group_size_x
      - .offset:         110
        .size:           2
        .value_kind:     hidden_group_size_y
      - .offset:         112
        .size:           2
        .value_kind:     hidden_group_size_z
      - .offset:         114
        .size:           2
        .value_kind:     hidden_remainder_x
      - .offset:         116
        .size:           2
        .value_kind:     hidden_remainder_y
      - .offset:         118
        .size:           2
        .value_kind:     hidden_remainder_z
      - .offset:         136
        .size:           8
        .value_kind:     hidden_global_offset_x
      - .offset:         144
        .size:           8
        .value_kind:     hidden_global_offset_y
      - .offset:         152
        .size:           8
        .value_kind:     hidden_global_offset_z
      - .offset:         160
        .size:           2
        .value_kind:     hidden_grid_dims
    .group_segment_fixed_size: 41480
    .kernarg_segment_align: 8
    .kernarg_segment_size: 352
    .language:       OpenCL C
    .language_version:
      - 2
      - 0
    .max_flat_workgroup_size: 1024
    .name:           _ZL19rocblas_trsv_deviceILi64ELi16ELb0ELb1ELb0ELb0EdPKdS1_PdEviT7_lllT6_T8_lllPii
    .private_segment_fixed_size: 0
    .sgpr_count:     100
    .sgpr_spill_count: 63
    .symbol:         _ZL19rocblas_trsv_deviceILi64ELi16ELb0ELb1ELb0ELb0EdPKdS1_PdEviT7_lllT6_T8_lllPii.kd
    .uniform_work_group_size: 1
    .uses_dynamic_stack: false
    .vgpr_count:     37
    .vgpr_spill_count: 0
    .wavefront_size: 64
  - .args:
      - .offset:         0
        .size:           4
        .value_kind:     by_value
      - .address_space:  global
        .offset:         8
        .size:           8
        .value_kind:     global_buffer
      - .offset:         16
        .size:           8
        .value_kind:     by_value
      - .offset:         24
        .size:           8
        .value_kind:     by_value
      - .offset:         32
        .size:           8
        .value_kind:     by_value
      - .address_space:  global
        .offset:         40
        .size:           8
        .value_kind:     global_buffer
      - .address_space:  global
        .offset:         48
        .size:           8
        .value_kind:     global_buffer
      - .offset:         56
        .size:           8
        .value_kind:     by_value
      - .offset:         64
        .size:           8
        .value_kind:     by_value
      - .offset:         72
        .size:           8
        .value_kind:     by_value
      - .address_space:  global
        .offset:         80
        .size:           8
        .value_kind:     global_buffer
      - .offset:         88
        .size:           4
        .value_kind:     by_value
      - .offset:         96
        .size:           4
        .value_kind:     hidden_block_count_x
      - .offset:         100
        .size:           4
        .value_kind:     hidden_block_count_y
      - .offset:         104
        .size:           4
        .value_kind:     hidden_block_count_z
      - .offset:         108
        .size:           2
        .value_kind:     hidden_group_size_x
      - .offset:         110
        .size:           2
        .value_kind:     hidden_group_size_y
      - .offset:         112
        .size:           2
        .value_kind:     hidden_group_size_z
      - .offset:         114
        .size:           2
        .value_kind:     hidden_remainder_x
      - .offset:         116
        .size:           2
        .value_kind:     hidden_remainder_y
      - .offset:         118
        .size:           2
        .value_kind:     hidden_remainder_z
      - .offset:         136
        .size:           8
        .value_kind:     hidden_global_offset_x
      - .offset:         144
        .size:           8
        .value_kind:     hidden_global_offset_y
      - .offset:         152
        .size:           8
        .value_kind:     hidden_global_offset_z
      - .offset:         160
        .size:           2
        .value_kind:     hidden_grid_dims
    .group_segment_fixed_size: 41480
    .kernarg_segment_align: 8
    .kernarg_segment_size: 352
    .language:       OpenCL C
    .language_version:
      - 2
      - 0
    .max_flat_workgroup_size: 1024
    .name:           _ZL19rocblas_trsv_deviceILi64ELi16ELb0ELb1ELb1ELb0EdPKdS1_PdEviT7_lllT6_T8_lllPii
    .private_segment_fixed_size: 0
    .sgpr_count:     100
    .sgpr_spill_count: 63
    .symbol:         _ZL19rocblas_trsv_deviceILi64ELi16ELb0ELb1ELb1ELb0EdPKdS1_PdEviT7_lllT6_T8_lllPii.kd
    .uniform_work_group_size: 1
    .uses_dynamic_stack: false
    .vgpr_count:     37
    .vgpr_spill_count: 0
    .wavefront_size: 64
  - .args:
      - .offset:         0
        .size:           4
        .value_kind:     by_value
      - .address_space:  global
        .offset:         8
        .size:           8
        .value_kind:     global_buffer
      - .offset:         16
        .size:           8
        .value_kind:     by_value
      - .offset:         24
        .size:           8
        .value_kind:     by_value
      - .offset:         32
        .size:           8
        .value_kind:     by_value
      - .address_space:  global
        .offset:         40
        .size:           8
        .value_kind:     global_buffer
      - .address_space:  global
        .offset:         48
        .size:           8
        .value_kind:     global_buffer
      - .offset:         56
        .size:           8
        .value_kind:     by_value
      - .offset:         64
        .size:           8
        .value_kind:     by_value
      - .offset:         72
        .size:           8
        .value_kind:     by_value
      - .address_space:  global
        .offset:         80
        .size:           8
        .value_kind:     global_buffer
      - .offset:         88
        .size:           4
        .value_kind:     by_value
      - .offset:         96
        .size:           4
        .value_kind:     hidden_block_count_x
      - .offset:         100
        .size:           4
        .value_kind:     hidden_block_count_y
      - .offset:         104
        .size:           4
        .value_kind:     hidden_block_count_z
      - .offset:         108
        .size:           2
        .value_kind:     hidden_group_size_x
      - .offset:         110
        .size:           2
        .value_kind:     hidden_group_size_y
      - .offset:         112
        .size:           2
        .value_kind:     hidden_group_size_z
      - .offset:         114
        .size:           2
        .value_kind:     hidden_remainder_x
      - .offset:         116
        .size:           2
        .value_kind:     hidden_remainder_y
      - .offset:         118
        .size:           2
        .value_kind:     hidden_remainder_z
      - .offset:         136
        .size:           8
        .value_kind:     hidden_global_offset_x
      - .offset:         144
        .size:           8
        .value_kind:     hidden_global_offset_y
      - .offset:         152
        .size:           8
        .value_kind:     hidden_global_offset_z
      - .offset:         160
        .size:           2
        .value_kind:     hidden_grid_dims
    .group_segment_fixed_size: 41480
    .kernarg_segment_align: 8
    .kernarg_segment_size: 352
    .language:       OpenCL C
    .language_version:
      - 2
      - 0
    .max_flat_workgroup_size: 1024
    .name:           _ZL19rocblas_trsv_deviceILi64ELi16ELb1ELb0ELb0ELb1EdPKdS1_PdEviT7_lllT6_T8_lllPii
    .private_segment_fixed_size: 0
    .sgpr_count:     100
    .sgpr_spill_count: 50
    .symbol:         _ZL19rocblas_trsv_deviceILi64ELi16ELb1ELb0ELb0ELb1EdPKdS1_PdEviT7_lllT6_T8_lllPii.kd
    .uniform_work_group_size: 1
    .uses_dynamic_stack: false
    .vgpr_count:     42
    .vgpr_spill_count: 0
    .wavefront_size: 64
  - .args:
      - .offset:         0
        .size:           4
        .value_kind:     by_value
      - .address_space:  global
        .offset:         8
        .size:           8
        .value_kind:     global_buffer
      - .offset:         16
        .size:           8
        .value_kind:     by_value
      - .offset:         24
        .size:           8
        .value_kind:     by_value
      - .offset:         32
        .size:           8
        .value_kind:     by_value
      - .address_space:  global
        .offset:         40
        .size:           8
        .value_kind:     global_buffer
      - .address_space:  global
        .offset:         48
        .size:           8
        .value_kind:     global_buffer
      - .offset:         56
        .size:           8
        .value_kind:     by_value
      - .offset:         64
        .size:           8
        .value_kind:     by_value
      - .offset:         72
        .size:           8
        .value_kind:     by_value
      - .address_space:  global
        .offset:         80
        .size:           8
        .value_kind:     global_buffer
      - .offset:         88
        .size:           4
        .value_kind:     by_value
      - .offset:         96
        .size:           4
        .value_kind:     hidden_block_count_x
      - .offset:         100
        .size:           4
        .value_kind:     hidden_block_count_y
      - .offset:         104
        .size:           4
        .value_kind:     hidden_block_count_z
      - .offset:         108
        .size:           2
        .value_kind:     hidden_group_size_x
      - .offset:         110
        .size:           2
        .value_kind:     hidden_group_size_y
      - .offset:         112
        .size:           2
        .value_kind:     hidden_group_size_z
      - .offset:         114
        .size:           2
        .value_kind:     hidden_remainder_x
      - .offset:         116
        .size:           2
        .value_kind:     hidden_remainder_y
      - .offset:         118
        .size:           2
        .value_kind:     hidden_remainder_z
      - .offset:         136
        .size:           8
        .value_kind:     hidden_global_offset_x
      - .offset:         144
        .size:           8
        .value_kind:     hidden_global_offset_y
      - .offset:         152
        .size:           8
        .value_kind:     hidden_global_offset_z
      - .offset:         160
        .size:           2
        .value_kind:     hidden_grid_dims
    .group_segment_fixed_size: 41480
    .kernarg_segment_align: 8
    .kernarg_segment_size: 352
    .language:       OpenCL C
    .language_version:
      - 2
      - 0
    .max_flat_workgroup_size: 1024
    .name:           _ZL19rocblas_trsv_deviceILi64ELi16ELb1ELb1ELb0ELb1EdPKdS1_PdEviT7_lllT6_T8_lllPii
    .private_segment_fixed_size: 0
    .sgpr_count:     100
    .sgpr_spill_count: 64
    .symbol:         _ZL19rocblas_trsv_deviceILi64ELi16ELb1ELb1ELb0ELb1EdPKdS1_PdEviT7_lllT6_T8_lllPii.kd
    .uniform_work_group_size: 1
    .uses_dynamic_stack: false
    .vgpr_count:     41
    .vgpr_spill_count: 0
    .wavefront_size: 64
  - .args:
      - .offset:         0
        .size:           4
        .value_kind:     by_value
      - .address_space:  global
        .offset:         8
        .size:           8
        .value_kind:     global_buffer
      - .offset:         16
        .size:           8
        .value_kind:     by_value
      - .offset:         24
        .size:           8
        .value_kind:     by_value
      - .offset:         32
        .size:           8
        .value_kind:     by_value
      - .address_space:  global
        .offset:         40
        .size:           8
        .value_kind:     global_buffer
      - .address_space:  global
        .offset:         48
        .size:           8
        .value_kind:     global_buffer
      - .offset:         56
        .size:           8
        .value_kind:     by_value
      - .offset:         64
        .size:           8
        .value_kind:     by_value
      - .offset:         72
        .size:           8
        .value_kind:     by_value
      - .address_space:  global
        .offset:         80
        .size:           8
        .value_kind:     global_buffer
      - .offset:         88
        .size:           4
        .value_kind:     by_value
      - .offset:         96
        .size:           4
        .value_kind:     hidden_block_count_x
      - .offset:         100
        .size:           4
        .value_kind:     hidden_block_count_y
      - .offset:         104
        .size:           4
        .value_kind:     hidden_block_count_z
      - .offset:         108
        .size:           2
        .value_kind:     hidden_group_size_x
      - .offset:         110
        .size:           2
        .value_kind:     hidden_group_size_y
      - .offset:         112
        .size:           2
        .value_kind:     hidden_group_size_z
      - .offset:         114
        .size:           2
        .value_kind:     hidden_remainder_x
      - .offset:         116
        .size:           2
        .value_kind:     hidden_remainder_y
      - .offset:         118
        .size:           2
        .value_kind:     hidden_remainder_z
      - .offset:         136
        .size:           8
        .value_kind:     hidden_global_offset_x
      - .offset:         144
        .size:           8
        .value_kind:     hidden_global_offset_y
      - .offset:         152
        .size:           8
        .value_kind:     hidden_global_offset_z
      - .offset:         160
        .size:           2
        .value_kind:     hidden_grid_dims
    .group_segment_fixed_size: 41480
    .kernarg_segment_align: 8
    .kernarg_segment_size: 352
    .language:       OpenCL C
    .language_version:
      - 2
      - 0
    .max_flat_workgroup_size: 1024
    .name:           _ZL19rocblas_trsv_deviceILi64ELi16ELb1ELb1ELb1ELb1EdPKdS1_PdEviT7_lllT6_T8_lllPii
    .private_segment_fixed_size: 0
    .sgpr_count:     100
    .sgpr_spill_count: 64
    .symbol:         _ZL19rocblas_trsv_deviceILi64ELi16ELb1ELb1ELb1ELb1EdPKdS1_PdEviT7_lllT6_T8_lllPii.kd
    .uniform_work_group_size: 1
    .uses_dynamic_stack: false
    .vgpr_count:     41
    .vgpr_spill_count: 0
    .wavefront_size: 64
  - .args:
      - .offset:         0
        .size:           4
        .value_kind:     by_value
      - .address_space:  global
        .offset:         8
        .size:           8
        .value_kind:     global_buffer
      - .offset:         16
        .size:           8
        .value_kind:     by_value
      - .offset:         24
        .size:           8
        .value_kind:     by_value
      - .offset:         32
        .size:           8
        .value_kind:     by_value
      - .address_space:  global
        .offset:         40
        .size:           8
        .value_kind:     global_buffer
      - .address_space:  global
        .offset:         48
        .size:           8
        .value_kind:     global_buffer
      - .offset:         56
        .size:           8
        .value_kind:     by_value
      - .offset:         64
        .size:           8
        .value_kind:     by_value
      - .offset:         72
        .size:           8
        .value_kind:     by_value
      - .address_space:  global
        .offset:         80
        .size:           8
        .value_kind:     global_buffer
      - .offset:         88
        .size:           4
        .value_kind:     by_value
      - .offset:         96
        .size:           4
        .value_kind:     hidden_block_count_x
      - .offset:         100
        .size:           4
        .value_kind:     hidden_block_count_y
      - .offset:         104
        .size:           4
        .value_kind:     hidden_block_count_z
      - .offset:         108
        .size:           2
        .value_kind:     hidden_group_size_x
      - .offset:         110
        .size:           2
        .value_kind:     hidden_group_size_y
      - .offset:         112
        .size:           2
        .value_kind:     hidden_group_size_z
      - .offset:         114
        .size:           2
        .value_kind:     hidden_remainder_x
      - .offset:         116
        .size:           2
        .value_kind:     hidden_remainder_y
      - .offset:         118
        .size:           2
        .value_kind:     hidden_remainder_z
      - .offset:         136
        .size:           8
        .value_kind:     hidden_global_offset_x
      - .offset:         144
        .size:           8
        .value_kind:     hidden_global_offset_y
      - .offset:         152
        .size:           8
        .value_kind:     hidden_global_offset_z
      - .offset:         160
        .size:           2
        .value_kind:     hidden_grid_dims
    .group_segment_fixed_size: 41480
    .kernarg_segment_align: 8
    .kernarg_segment_size: 352
    .language:       OpenCL C
    .language_version:
      - 2
      - 0
    .max_flat_workgroup_size: 1024
    .name:           _ZL19rocblas_trsv_deviceILi64ELi16ELb1ELb0ELb0ELb0EdPKdS1_PdEviT7_lllT6_T8_lllPii
    .private_segment_fixed_size: 0
    .sgpr_count:     100
    .sgpr_spill_count: 53
    .symbol:         _ZL19rocblas_trsv_deviceILi64ELi16ELb1ELb0ELb0ELb0EdPKdS1_PdEviT7_lllT6_T8_lllPii.kd
    .uniform_work_group_size: 1
    .uses_dynamic_stack: false
    .vgpr_count:     42
    .vgpr_spill_count: 0
    .wavefront_size: 64
  - .args:
      - .offset:         0
        .size:           4
        .value_kind:     by_value
      - .address_space:  global
        .offset:         8
        .size:           8
        .value_kind:     global_buffer
      - .offset:         16
        .size:           8
        .value_kind:     by_value
      - .offset:         24
        .size:           8
        .value_kind:     by_value
      - .offset:         32
        .size:           8
        .value_kind:     by_value
      - .address_space:  global
        .offset:         40
        .size:           8
        .value_kind:     global_buffer
      - .address_space:  global
        .offset:         48
        .size:           8
        .value_kind:     global_buffer
      - .offset:         56
        .size:           8
        .value_kind:     by_value
      - .offset:         64
        .size:           8
        .value_kind:     by_value
      - .offset:         72
        .size:           8
        .value_kind:     by_value
      - .address_space:  global
        .offset:         80
        .size:           8
        .value_kind:     global_buffer
      - .offset:         88
        .size:           4
        .value_kind:     by_value
      - .offset:         96
        .size:           4
        .value_kind:     hidden_block_count_x
      - .offset:         100
        .size:           4
        .value_kind:     hidden_block_count_y
      - .offset:         104
        .size:           4
        .value_kind:     hidden_block_count_z
      - .offset:         108
        .size:           2
        .value_kind:     hidden_group_size_x
      - .offset:         110
        .size:           2
        .value_kind:     hidden_group_size_y
      - .offset:         112
        .size:           2
        .value_kind:     hidden_group_size_z
      - .offset:         114
        .size:           2
        .value_kind:     hidden_remainder_x
      - .offset:         116
        .size:           2
        .value_kind:     hidden_remainder_y
      - .offset:         118
        .size:           2
        .value_kind:     hidden_remainder_z
      - .offset:         136
        .size:           8
        .value_kind:     hidden_global_offset_x
      - .offset:         144
        .size:           8
        .value_kind:     hidden_global_offset_y
      - .offset:         152
        .size:           8
        .value_kind:     hidden_global_offset_z
      - .offset:         160
        .size:           2
        .value_kind:     hidden_grid_dims
    .group_segment_fixed_size: 41480
    .kernarg_segment_align: 8
    .kernarg_segment_size: 352
    .language:       OpenCL C
    .language_version:
      - 2
      - 0
    .max_flat_workgroup_size: 1024
    .name:           _ZL19rocblas_trsv_deviceILi64ELi16ELb1ELb1ELb0ELb0EdPKdS1_PdEviT7_lllT6_T8_lllPii
    .private_segment_fixed_size: 0
    .sgpr_count:     100
    .sgpr_spill_count: 65
    .symbol:         _ZL19rocblas_trsv_deviceILi64ELi16ELb1ELb1ELb0ELb0EdPKdS1_PdEviT7_lllT6_T8_lllPii.kd
    .uniform_work_group_size: 1
    .uses_dynamic_stack: false
    .vgpr_count:     43
    .vgpr_spill_count: 0
    .wavefront_size: 64
  - .args:
      - .offset:         0
        .size:           4
        .value_kind:     by_value
      - .address_space:  global
        .offset:         8
        .size:           8
        .value_kind:     global_buffer
      - .offset:         16
        .size:           8
        .value_kind:     by_value
      - .offset:         24
        .size:           8
        .value_kind:     by_value
      - .offset:         32
        .size:           8
        .value_kind:     by_value
      - .address_space:  global
        .offset:         40
        .size:           8
        .value_kind:     global_buffer
      - .address_space:  global
        .offset:         48
        .size:           8
        .value_kind:     global_buffer
      - .offset:         56
        .size:           8
        .value_kind:     by_value
      - .offset:         64
        .size:           8
        .value_kind:     by_value
      - .offset:         72
        .size:           8
        .value_kind:     by_value
      - .address_space:  global
        .offset:         80
        .size:           8
        .value_kind:     global_buffer
      - .offset:         88
        .size:           4
        .value_kind:     by_value
      - .offset:         96
        .size:           4
        .value_kind:     hidden_block_count_x
      - .offset:         100
        .size:           4
        .value_kind:     hidden_block_count_y
      - .offset:         104
        .size:           4
        .value_kind:     hidden_block_count_z
      - .offset:         108
        .size:           2
        .value_kind:     hidden_group_size_x
      - .offset:         110
        .size:           2
        .value_kind:     hidden_group_size_y
      - .offset:         112
        .size:           2
        .value_kind:     hidden_group_size_z
      - .offset:         114
        .size:           2
        .value_kind:     hidden_remainder_x
      - .offset:         116
        .size:           2
        .value_kind:     hidden_remainder_y
      - .offset:         118
        .size:           2
        .value_kind:     hidden_remainder_z
      - .offset:         136
        .size:           8
        .value_kind:     hidden_global_offset_x
      - .offset:         144
        .size:           8
        .value_kind:     hidden_global_offset_y
      - .offset:         152
        .size:           8
        .value_kind:     hidden_global_offset_z
      - .offset:         160
        .size:           2
        .value_kind:     hidden_grid_dims
    .group_segment_fixed_size: 41480
    .kernarg_segment_align: 8
    .kernarg_segment_size: 352
    .language:       OpenCL C
    .language_version:
      - 2
      - 0
    .max_flat_workgroup_size: 1024
    .name:           _ZL19rocblas_trsv_deviceILi64ELi16ELb1ELb1ELb1ELb0EdPKdS1_PdEviT7_lllT6_T8_lllPii
    .private_segment_fixed_size: 0
    .sgpr_count:     100
    .sgpr_spill_count: 65
    .symbol:         _ZL19rocblas_trsv_deviceILi64ELi16ELb1ELb1ELb1ELb0EdPKdS1_PdEviT7_lllT6_T8_lllPii.kd
    .uniform_work_group_size: 1
    .uses_dynamic_stack: false
    .vgpr_count:     43
    .vgpr_spill_count: 0
    .wavefront_size: 64
  - .args:
      - .offset:         0
        .size:           4
        .value_kind:     by_value
      - .address_space:  global
        .offset:         8
        .size:           8
        .value_kind:     global_buffer
      - .offset:         16
        .size:           8
        .value_kind:     by_value
      - .offset:         24
        .size:           8
        .value_kind:     by_value
      - .offset:         32
        .size:           8
        .value_kind:     by_value
      - .offset:         40
        .size:           8
        .value_kind:     by_value
      - .address_space:  global
        .offset:         48
        .size:           8
        .value_kind:     global_buffer
      - .offset:         56
        .size:           8
        .value_kind:     by_value
      - .offset:         64
        .size:           8
        .value_kind:     by_value
      - .offset:         72
        .size:           8
        .value_kind:     by_value
      - .address_space:  global
        .offset:         80
        .size:           8
        .value_kind:     global_buffer
      - .offset:         88
        .size:           4
        .value_kind:     by_value
      - .offset:         96
        .size:           4
        .value_kind:     hidden_block_count_x
      - .offset:         100
        .size:           4
        .value_kind:     hidden_block_count_y
      - .offset:         104
        .size:           4
        .value_kind:     hidden_block_count_z
      - .offset:         108
        .size:           2
        .value_kind:     hidden_group_size_x
      - .offset:         110
        .size:           2
        .value_kind:     hidden_group_size_y
      - .offset:         112
        .size:           2
        .value_kind:     hidden_group_size_z
      - .offset:         114
        .size:           2
        .value_kind:     hidden_remainder_x
      - .offset:         116
        .size:           2
        .value_kind:     hidden_remainder_y
      - .offset:         118
        .size:           2
        .value_kind:     hidden_remainder_z
      - .offset:         136
        .size:           8
        .value_kind:     hidden_global_offset_x
      - .offset:         144
        .size:           8
        .value_kind:     hidden_global_offset_y
      - .offset:         152
        .size:           8
        .value_kind:     hidden_global_offset_z
      - .offset:         160
        .size:           2
        .value_kind:     hidden_grid_dims
    .group_segment_fixed_size: 41480
    .kernarg_segment_align: 8
    .kernarg_segment_size: 352
    .language:       OpenCL C
    .language_version:
      - 2
      - 0
    .max_flat_workgroup_size: 1024
    .name:           _ZL19rocblas_trsv_deviceILi64ELi16ELb0ELb0ELb0ELb1EddPKdPdEviT7_lllT6_T8_lllPii
    .private_segment_fixed_size: 0
    .sgpr_count:     100
    .sgpr_spill_count: 54
    .symbol:         _ZL19rocblas_trsv_deviceILi64ELi16ELb0ELb0ELb0ELb1EddPKdPdEviT7_lllT6_T8_lllPii.kd
    .uniform_work_group_size: 1
    .uses_dynamic_stack: false
    .vgpr_count:     35
    .vgpr_spill_count: 0
    .wavefront_size: 64
  - .args:
      - .offset:         0
        .size:           4
        .value_kind:     by_value
      - .address_space:  global
        .offset:         8
        .size:           8
        .value_kind:     global_buffer
      - .offset:         16
        .size:           8
        .value_kind:     by_value
      - .offset:         24
        .size:           8
        .value_kind:     by_value
      - .offset:         32
        .size:           8
        .value_kind:     by_value
      - .offset:         40
        .size:           8
        .value_kind:     by_value
      - .address_space:  global
        .offset:         48
        .size:           8
        .value_kind:     global_buffer
      - .offset:         56
        .size:           8
        .value_kind:     by_value
      - .offset:         64
        .size:           8
        .value_kind:     by_value
      - .offset:         72
        .size:           8
        .value_kind:     by_value
      - .address_space:  global
        .offset:         80
        .size:           8
        .value_kind:     global_buffer
      - .offset:         88
        .size:           4
        .value_kind:     by_value
      - .offset:         96
        .size:           4
        .value_kind:     hidden_block_count_x
      - .offset:         100
        .size:           4
        .value_kind:     hidden_block_count_y
      - .offset:         104
        .size:           4
        .value_kind:     hidden_block_count_z
      - .offset:         108
        .size:           2
        .value_kind:     hidden_group_size_x
      - .offset:         110
        .size:           2
        .value_kind:     hidden_group_size_y
      - .offset:         112
        .size:           2
        .value_kind:     hidden_group_size_z
      - .offset:         114
        .size:           2
        .value_kind:     hidden_remainder_x
      - .offset:         116
        .size:           2
        .value_kind:     hidden_remainder_y
      - .offset:         118
        .size:           2
        .value_kind:     hidden_remainder_z
      - .offset:         136
        .size:           8
        .value_kind:     hidden_global_offset_x
      - .offset:         144
        .size:           8
        .value_kind:     hidden_global_offset_y
      - .offset:         152
        .size:           8
        .value_kind:     hidden_global_offset_z
      - .offset:         160
        .size:           2
        .value_kind:     hidden_grid_dims
    .group_segment_fixed_size: 41480
    .kernarg_segment_align: 8
    .kernarg_segment_size: 352
    .language:       OpenCL C
    .language_version:
      - 2
      - 0
    .max_flat_workgroup_size: 1024
    .name:           _ZL19rocblas_trsv_deviceILi64ELi16ELb0ELb1ELb0ELb1EddPKdPdEviT7_lllT6_T8_lllPii
    .private_segment_fixed_size: 0
    .sgpr_count:     100
    .sgpr_spill_count: 60
    .symbol:         _ZL19rocblas_trsv_deviceILi64ELi16ELb0ELb1ELb0ELb1EddPKdPdEviT7_lllT6_T8_lllPii.kd
    .uniform_work_group_size: 1
    .uses_dynamic_stack: false
    .vgpr_count:     36
    .vgpr_spill_count: 0
    .wavefront_size: 64
  - .args:
      - .offset:         0
        .size:           4
        .value_kind:     by_value
      - .address_space:  global
        .offset:         8
        .size:           8
        .value_kind:     global_buffer
      - .offset:         16
        .size:           8
        .value_kind:     by_value
      - .offset:         24
        .size:           8
        .value_kind:     by_value
      - .offset:         32
        .size:           8
        .value_kind:     by_value
      - .offset:         40
        .size:           8
        .value_kind:     by_value
      - .address_space:  global
        .offset:         48
        .size:           8
        .value_kind:     global_buffer
      - .offset:         56
        .size:           8
        .value_kind:     by_value
      - .offset:         64
        .size:           8
        .value_kind:     by_value
      - .offset:         72
        .size:           8
        .value_kind:     by_value
      - .address_space:  global
        .offset:         80
        .size:           8
        .value_kind:     global_buffer
      - .offset:         88
        .size:           4
        .value_kind:     by_value
      - .offset:         96
        .size:           4
        .value_kind:     hidden_block_count_x
      - .offset:         100
        .size:           4
        .value_kind:     hidden_block_count_y
      - .offset:         104
        .size:           4
        .value_kind:     hidden_block_count_z
      - .offset:         108
        .size:           2
        .value_kind:     hidden_group_size_x
      - .offset:         110
        .size:           2
        .value_kind:     hidden_group_size_y
      - .offset:         112
        .size:           2
        .value_kind:     hidden_group_size_z
      - .offset:         114
        .size:           2
        .value_kind:     hidden_remainder_x
      - .offset:         116
        .size:           2
        .value_kind:     hidden_remainder_y
      - .offset:         118
        .size:           2
        .value_kind:     hidden_remainder_z
      - .offset:         136
        .size:           8
        .value_kind:     hidden_global_offset_x
      - .offset:         144
        .size:           8
        .value_kind:     hidden_global_offset_y
      - .offset:         152
        .size:           8
        .value_kind:     hidden_global_offset_z
      - .offset:         160
        .size:           2
        .value_kind:     hidden_grid_dims
    .group_segment_fixed_size: 41480
    .kernarg_segment_align: 8
    .kernarg_segment_size: 352
    .language:       OpenCL C
    .language_version:
      - 2
      - 0
    .max_flat_workgroup_size: 1024
    .name:           _ZL19rocblas_trsv_deviceILi64ELi16ELb0ELb1ELb1ELb1EddPKdPdEviT7_lllT6_T8_lllPii
    .private_segment_fixed_size: 0
    .sgpr_count:     100
    .sgpr_spill_count: 60
    .symbol:         _ZL19rocblas_trsv_deviceILi64ELi16ELb0ELb1ELb1ELb1EddPKdPdEviT7_lllT6_T8_lllPii.kd
    .uniform_work_group_size: 1
    .uses_dynamic_stack: false
    .vgpr_count:     36
    .vgpr_spill_count: 0
    .wavefront_size: 64
  - .args:
      - .offset:         0
        .size:           4
        .value_kind:     by_value
      - .address_space:  global
        .offset:         8
        .size:           8
        .value_kind:     global_buffer
      - .offset:         16
        .size:           8
        .value_kind:     by_value
      - .offset:         24
        .size:           8
        .value_kind:     by_value
      - .offset:         32
        .size:           8
        .value_kind:     by_value
      - .offset:         40
        .size:           8
        .value_kind:     by_value
      - .address_space:  global
        .offset:         48
        .size:           8
        .value_kind:     global_buffer
      - .offset:         56
        .size:           8
        .value_kind:     by_value
      - .offset:         64
        .size:           8
        .value_kind:     by_value
      - .offset:         72
        .size:           8
        .value_kind:     by_value
      - .address_space:  global
        .offset:         80
        .size:           8
        .value_kind:     global_buffer
      - .offset:         88
        .size:           4
        .value_kind:     by_value
      - .offset:         96
        .size:           4
        .value_kind:     hidden_block_count_x
      - .offset:         100
        .size:           4
        .value_kind:     hidden_block_count_y
      - .offset:         104
        .size:           4
        .value_kind:     hidden_block_count_z
      - .offset:         108
        .size:           2
        .value_kind:     hidden_group_size_x
      - .offset:         110
        .size:           2
        .value_kind:     hidden_group_size_y
      - .offset:         112
        .size:           2
        .value_kind:     hidden_group_size_z
      - .offset:         114
        .size:           2
        .value_kind:     hidden_remainder_x
      - .offset:         116
        .size:           2
        .value_kind:     hidden_remainder_y
      - .offset:         118
        .size:           2
        .value_kind:     hidden_remainder_z
      - .offset:         136
        .size:           8
        .value_kind:     hidden_global_offset_x
      - .offset:         144
        .size:           8
        .value_kind:     hidden_global_offset_y
      - .offset:         152
        .size:           8
        .value_kind:     hidden_global_offset_z
      - .offset:         160
        .size:           2
        .value_kind:     hidden_grid_dims
    .group_segment_fixed_size: 41480
    .kernarg_segment_align: 8
    .kernarg_segment_size: 352
    .language:       OpenCL C
    .language_version:
      - 2
      - 0
    .max_flat_workgroup_size: 1024
    .name:           _ZL19rocblas_trsv_deviceILi64ELi16ELb0ELb0ELb0ELb0EddPKdPdEviT7_lllT6_T8_lllPii
    .private_segment_fixed_size: 0
    .sgpr_count:     100
    .sgpr_spill_count: 55
    .symbol:         _ZL19rocblas_trsv_deviceILi64ELi16ELb0ELb0ELb0ELb0EddPKdPdEviT7_lllT6_T8_lllPii.kd
    .uniform_work_group_size: 1
    .uses_dynamic_stack: false
    .vgpr_count:     37
    .vgpr_spill_count: 0
    .wavefront_size: 64
  - .args:
      - .offset:         0
        .size:           4
        .value_kind:     by_value
      - .address_space:  global
        .offset:         8
        .size:           8
        .value_kind:     global_buffer
      - .offset:         16
        .size:           8
        .value_kind:     by_value
      - .offset:         24
        .size:           8
        .value_kind:     by_value
      - .offset:         32
        .size:           8
        .value_kind:     by_value
      - .offset:         40
        .size:           8
        .value_kind:     by_value
      - .address_space:  global
        .offset:         48
        .size:           8
        .value_kind:     global_buffer
      - .offset:         56
        .size:           8
        .value_kind:     by_value
      - .offset:         64
        .size:           8
        .value_kind:     by_value
      - .offset:         72
        .size:           8
        .value_kind:     by_value
      - .address_space:  global
        .offset:         80
        .size:           8
        .value_kind:     global_buffer
      - .offset:         88
        .size:           4
        .value_kind:     by_value
      - .offset:         96
        .size:           4
        .value_kind:     hidden_block_count_x
      - .offset:         100
        .size:           4
        .value_kind:     hidden_block_count_y
      - .offset:         104
        .size:           4
        .value_kind:     hidden_block_count_z
      - .offset:         108
        .size:           2
        .value_kind:     hidden_group_size_x
      - .offset:         110
        .size:           2
        .value_kind:     hidden_group_size_y
      - .offset:         112
        .size:           2
        .value_kind:     hidden_group_size_z
      - .offset:         114
        .size:           2
        .value_kind:     hidden_remainder_x
      - .offset:         116
        .size:           2
        .value_kind:     hidden_remainder_y
      - .offset:         118
        .size:           2
        .value_kind:     hidden_remainder_z
      - .offset:         136
        .size:           8
        .value_kind:     hidden_global_offset_x
      - .offset:         144
        .size:           8
        .value_kind:     hidden_global_offset_y
      - .offset:         152
        .size:           8
        .value_kind:     hidden_global_offset_z
      - .offset:         160
        .size:           2
        .value_kind:     hidden_grid_dims
    .group_segment_fixed_size: 41480
    .kernarg_segment_align: 8
    .kernarg_segment_size: 352
    .language:       OpenCL C
    .language_version:
      - 2
      - 0
    .max_flat_workgroup_size: 1024
    .name:           _ZL19rocblas_trsv_deviceILi64ELi16ELb0ELb1ELb0ELb0EddPKdPdEviT7_lllT6_T8_lllPii
    .private_segment_fixed_size: 0
    .sgpr_count:     100
    .sgpr_spill_count: 63
    .symbol:         _ZL19rocblas_trsv_deviceILi64ELi16ELb0ELb1ELb0ELb0EddPKdPdEviT7_lllT6_T8_lllPii.kd
    .uniform_work_group_size: 1
    .uses_dynamic_stack: false
    .vgpr_count:     37
    .vgpr_spill_count: 0
    .wavefront_size: 64
  - .args:
      - .offset:         0
        .size:           4
        .value_kind:     by_value
      - .address_space:  global
        .offset:         8
        .size:           8
        .value_kind:     global_buffer
      - .offset:         16
        .size:           8
        .value_kind:     by_value
      - .offset:         24
        .size:           8
        .value_kind:     by_value
      - .offset:         32
        .size:           8
        .value_kind:     by_value
      - .offset:         40
        .size:           8
        .value_kind:     by_value
      - .address_space:  global
        .offset:         48
        .size:           8
        .value_kind:     global_buffer
      - .offset:         56
        .size:           8
        .value_kind:     by_value
      - .offset:         64
        .size:           8
        .value_kind:     by_value
      - .offset:         72
        .size:           8
        .value_kind:     by_value
      - .address_space:  global
        .offset:         80
        .size:           8
        .value_kind:     global_buffer
      - .offset:         88
        .size:           4
        .value_kind:     by_value
      - .offset:         96
        .size:           4
        .value_kind:     hidden_block_count_x
      - .offset:         100
        .size:           4
        .value_kind:     hidden_block_count_y
      - .offset:         104
        .size:           4
        .value_kind:     hidden_block_count_z
      - .offset:         108
        .size:           2
        .value_kind:     hidden_group_size_x
      - .offset:         110
        .size:           2
        .value_kind:     hidden_group_size_y
      - .offset:         112
        .size:           2
        .value_kind:     hidden_group_size_z
      - .offset:         114
        .size:           2
        .value_kind:     hidden_remainder_x
      - .offset:         116
        .size:           2
        .value_kind:     hidden_remainder_y
      - .offset:         118
        .size:           2
        .value_kind:     hidden_remainder_z
      - .offset:         136
        .size:           8
        .value_kind:     hidden_global_offset_x
      - .offset:         144
        .size:           8
        .value_kind:     hidden_global_offset_y
      - .offset:         152
        .size:           8
        .value_kind:     hidden_global_offset_z
      - .offset:         160
        .size:           2
        .value_kind:     hidden_grid_dims
    .group_segment_fixed_size: 41480
    .kernarg_segment_align: 8
    .kernarg_segment_size: 352
    .language:       OpenCL C
    .language_version:
      - 2
      - 0
    .max_flat_workgroup_size: 1024
    .name:           _ZL19rocblas_trsv_deviceILi64ELi16ELb0ELb1ELb1ELb0EddPKdPdEviT7_lllT6_T8_lllPii
    .private_segment_fixed_size: 0
    .sgpr_count:     100
    .sgpr_spill_count: 63
    .symbol:         _ZL19rocblas_trsv_deviceILi64ELi16ELb0ELb1ELb1ELb0EddPKdPdEviT7_lllT6_T8_lllPii.kd
    .uniform_work_group_size: 1
    .uses_dynamic_stack: false
    .vgpr_count:     37
    .vgpr_spill_count: 0
    .wavefront_size: 64
  - .args:
      - .offset:         0
        .size:           4
        .value_kind:     by_value
      - .address_space:  global
        .offset:         8
        .size:           8
        .value_kind:     global_buffer
      - .offset:         16
        .size:           8
        .value_kind:     by_value
      - .offset:         24
        .size:           8
        .value_kind:     by_value
      - .offset:         32
        .size:           8
        .value_kind:     by_value
      - .offset:         40
        .size:           8
        .value_kind:     by_value
      - .address_space:  global
        .offset:         48
        .size:           8
        .value_kind:     global_buffer
      - .offset:         56
        .size:           8
        .value_kind:     by_value
      - .offset:         64
        .size:           8
        .value_kind:     by_value
      - .offset:         72
        .size:           8
        .value_kind:     by_value
      - .address_space:  global
        .offset:         80
        .size:           8
        .value_kind:     global_buffer
      - .offset:         88
        .size:           4
        .value_kind:     by_value
      - .offset:         96
        .size:           4
        .value_kind:     hidden_block_count_x
      - .offset:         100
        .size:           4
        .value_kind:     hidden_block_count_y
      - .offset:         104
        .size:           4
        .value_kind:     hidden_block_count_z
      - .offset:         108
        .size:           2
        .value_kind:     hidden_group_size_x
      - .offset:         110
        .size:           2
        .value_kind:     hidden_group_size_y
      - .offset:         112
        .size:           2
        .value_kind:     hidden_group_size_z
      - .offset:         114
        .size:           2
        .value_kind:     hidden_remainder_x
      - .offset:         116
        .size:           2
        .value_kind:     hidden_remainder_y
      - .offset:         118
        .size:           2
        .value_kind:     hidden_remainder_z
      - .offset:         136
        .size:           8
        .value_kind:     hidden_global_offset_x
      - .offset:         144
        .size:           8
        .value_kind:     hidden_global_offset_y
      - .offset:         152
        .size:           8
        .value_kind:     hidden_global_offset_z
      - .offset:         160
        .size:           2
        .value_kind:     hidden_grid_dims
    .group_segment_fixed_size: 41480
    .kernarg_segment_align: 8
    .kernarg_segment_size: 352
    .language:       OpenCL C
    .language_version:
      - 2
      - 0
    .max_flat_workgroup_size: 1024
    .name:           _ZL19rocblas_trsv_deviceILi64ELi16ELb1ELb0ELb0ELb1EddPKdPdEviT7_lllT6_T8_lllPii
    .private_segment_fixed_size: 0
    .sgpr_count:     100
    .sgpr_spill_count: 50
    .symbol:         _ZL19rocblas_trsv_deviceILi64ELi16ELb1ELb0ELb0ELb1EddPKdPdEviT7_lllT6_T8_lllPii.kd
    .uniform_work_group_size: 1
    .uses_dynamic_stack: false
    .vgpr_count:     42
    .vgpr_spill_count: 0
    .wavefront_size: 64
  - .args:
      - .offset:         0
        .size:           4
        .value_kind:     by_value
      - .address_space:  global
        .offset:         8
        .size:           8
        .value_kind:     global_buffer
      - .offset:         16
        .size:           8
        .value_kind:     by_value
      - .offset:         24
        .size:           8
        .value_kind:     by_value
      - .offset:         32
        .size:           8
        .value_kind:     by_value
      - .offset:         40
        .size:           8
        .value_kind:     by_value
      - .address_space:  global
        .offset:         48
        .size:           8
        .value_kind:     global_buffer
      - .offset:         56
        .size:           8
        .value_kind:     by_value
      - .offset:         64
        .size:           8
        .value_kind:     by_value
      - .offset:         72
        .size:           8
        .value_kind:     by_value
      - .address_space:  global
        .offset:         80
        .size:           8
        .value_kind:     global_buffer
      - .offset:         88
        .size:           4
        .value_kind:     by_value
      - .offset:         96
        .size:           4
        .value_kind:     hidden_block_count_x
      - .offset:         100
        .size:           4
        .value_kind:     hidden_block_count_y
      - .offset:         104
        .size:           4
        .value_kind:     hidden_block_count_z
      - .offset:         108
        .size:           2
        .value_kind:     hidden_group_size_x
      - .offset:         110
        .size:           2
        .value_kind:     hidden_group_size_y
      - .offset:         112
        .size:           2
        .value_kind:     hidden_group_size_z
      - .offset:         114
        .size:           2
        .value_kind:     hidden_remainder_x
      - .offset:         116
        .size:           2
        .value_kind:     hidden_remainder_y
      - .offset:         118
        .size:           2
        .value_kind:     hidden_remainder_z
      - .offset:         136
        .size:           8
        .value_kind:     hidden_global_offset_x
      - .offset:         144
        .size:           8
        .value_kind:     hidden_global_offset_y
      - .offset:         152
        .size:           8
        .value_kind:     hidden_global_offset_z
      - .offset:         160
        .size:           2
        .value_kind:     hidden_grid_dims
    .group_segment_fixed_size: 41480
    .kernarg_segment_align: 8
    .kernarg_segment_size: 352
    .language:       OpenCL C
    .language_version:
      - 2
      - 0
    .max_flat_workgroup_size: 1024
    .name:           _ZL19rocblas_trsv_deviceILi64ELi16ELb1ELb1ELb0ELb1EddPKdPdEviT7_lllT6_T8_lllPii
    .private_segment_fixed_size: 0
    .sgpr_count:     100
    .sgpr_spill_count: 63
    .symbol:         _ZL19rocblas_trsv_deviceILi64ELi16ELb1ELb1ELb0ELb1EddPKdPdEviT7_lllT6_T8_lllPii.kd
    .uniform_work_group_size: 1
    .uses_dynamic_stack: false
    .vgpr_count:     41
    .vgpr_spill_count: 0
    .wavefront_size: 64
  - .args:
      - .offset:         0
        .size:           4
        .value_kind:     by_value
      - .address_space:  global
        .offset:         8
        .size:           8
        .value_kind:     global_buffer
      - .offset:         16
        .size:           8
        .value_kind:     by_value
      - .offset:         24
        .size:           8
        .value_kind:     by_value
      - .offset:         32
        .size:           8
        .value_kind:     by_value
      - .offset:         40
        .size:           8
        .value_kind:     by_value
      - .address_space:  global
        .offset:         48
        .size:           8
        .value_kind:     global_buffer
      - .offset:         56
        .size:           8
        .value_kind:     by_value
      - .offset:         64
        .size:           8
        .value_kind:     by_value
      - .offset:         72
        .size:           8
        .value_kind:     by_value
      - .address_space:  global
        .offset:         80
        .size:           8
        .value_kind:     global_buffer
      - .offset:         88
        .size:           4
        .value_kind:     by_value
      - .offset:         96
        .size:           4
        .value_kind:     hidden_block_count_x
      - .offset:         100
        .size:           4
        .value_kind:     hidden_block_count_y
      - .offset:         104
        .size:           4
        .value_kind:     hidden_block_count_z
      - .offset:         108
        .size:           2
        .value_kind:     hidden_group_size_x
      - .offset:         110
        .size:           2
        .value_kind:     hidden_group_size_y
      - .offset:         112
        .size:           2
        .value_kind:     hidden_group_size_z
      - .offset:         114
        .size:           2
        .value_kind:     hidden_remainder_x
      - .offset:         116
        .size:           2
        .value_kind:     hidden_remainder_y
      - .offset:         118
        .size:           2
        .value_kind:     hidden_remainder_z
      - .offset:         136
        .size:           8
        .value_kind:     hidden_global_offset_x
      - .offset:         144
        .size:           8
        .value_kind:     hidden_global_offset_y
      - .offset:         152
        .size:           8
        .value_kind:     hidden_global_offset_z
      - .offset:         160
        .size:           2
        .value_kind:     hidden_grid_dims
    .group_segment_fixed_size: 41480
    .kernarg_segment_align: 8
    .kernarg_segment_size: 352
    .language:       OpenCL C
    .language_version:
      - 2
      - 0
    .max_flat_workgroup_size: 1024
    .name:           _ZL19rocblas_trsv_deviceILi64ELi16ELb1ELb1ELb1ELb1EddPKdPdEviT7_lllT6_T8_lllPii
    .private_segment_fixed_size: 0
    .sgpr_count:     100
    .sgpr_spill_count: 63
    .symbol:         _ZL19rocblas_trsv_deviceILi64ELi16ELb1ELb1ELb1ELb1EddPKdPdEviT7_lllT6_T8_lllPii.kd
    .uniform_work_group_size: 1
    .uses_dynamic_stack: false
    .vgpr_count:     41
    .vgpr_spill_count: 0
    .wavefront_size: 64
  - .args:
      - .offset:         0
        .size:           4
        .value_kind:     by_value
      - .address_space:  global
        .offset:         8
        .size:           8
        .value_kind:     global_buffer
      - .offset:         16
        .size:           8
        .value_kind:     by_value
      - .offset:         24
        .size:           8
        .value_kind:     by_value
      - .offset:         32
        .size:           8
        .value_kind:     by_value
      - .offset:         40
        .size:           8
        .value_kind:     by_value
      - .address_space:  global
        .offset:         48
        .size:           8
        .value_kind:     global_buffer
      - .offset:         56
        .size:           8
        .value_kind:     by_value
      - .offset:         64
        .size:           8
        .value_kind:     by_value
      - .offset:         72
        .size:           8
        .value_kind:     by_value
      - .address_space:  global
        .offset:         80
        .size:           8
        .value_kind:     global_buffer
      - .offset:         88
        .size:           4
        .value_kind:     by_value
      - .offset:         96
        .size:           4
        .value_kind:     hidden_block_count_x
      - .offset:         100
        .size:           4
        .value_kind:     hidden_block_count_y
      - .offset:         104
        .size:           4
        .value_kind:     hidden_block_count_z
      - .offset:         108
        .size:           2
        .value_kind:     hidden_group_size_x
      - .offset:         110
        .size:           2
        .value_kind:     hidden_group_size_y
      - .offset:         112
        .size:           2
        .value_kind:     hidden_group_size_z
      - .offset:         114
        .size:           2
        .value_kind:     hidden_remainder_x
      - .offset:         116
        .size:           2
        .value_kind:     hidden_remainder_y
      - .offset:         118
        .size:           2
        .value_kind:     hidden_remainder_z
      - .offset:         136
        .size:           8
        .value_kind:     hidden_global_offset_x
      - .offset:         144
        .size:           8
        .value_kind:     hidden_global_offset_y
      - .offset:         152
        .size:           8
        .value_kind:     hidden_global_offset_z
      - .offset:         160
        .size:           2
        .value_kind:     hidden_grid_dims
    .group_segment_fixed_size: 41480
    .kernarg_segment_align: 8
    .kernarg_segment_size: 352
    .language:       OpenCL C
    .language_version:
      - 2
      - 0
    .max_flat_workgroup_size: 1024
    .name:           _ZL19rocblas_trsv_deviceILi64ELi16ELb1ELb0ELb0ELb0EddPKdPdEviT7_lllT6_T8_lllPii
    .private_segment_fixed_size: 0
    .sgpr_count:     100
    .sgpr_spill_count: 53
    .symbol:         _ZL19rocblas_trsv_deviceILi64ELi16ELb1ELb0ELb0ELb0EddPKdPdEviT7_lllT6_T8_lllPii.kd
    .uniform_work_group_size: 1
    .uses_dynamic_stack: false
    .vgpr_count:     42
    .vgpr_spill_count: 0
    .wavefront_size: 64
  - .args:
      - .offset:         0
        .size:           4
        .value_kind:     by_value
      - .address_space:  global
        .offset:         8
        .size:           8
        .value_kind:     global_buffer
      - .offset:         16
        .size:           8
        .value_kind:     by_value
      - .offset:         24
        .size:           8
        .value_kind:     by_value
      - .offset:         32
        .size:           8
        .value_kind:     by_value
      - .offset:         40
        .size:           8
        .value_kind:     by_value
      - .address_space:  global
        .offset:         48
        .size:           8
        .value_kind:     global_buffer
      - .offset:         56
        .size:           8
        .value_kind:     by_value
      - .offset:         64
        .size:           8
        .value_kind:     by_value
      - .offset:         72
        .size:           8
        .value_kind:     by_value
      - .address_space:  global
        .offset:         80
        .size:           8
        .value_kind:     global_buffer
      - .offset:         88
        .size:           4
        .value_kind:     by_value
      - .offset:         96
        .size:           4
        .value_kind:     hidden_block_count_x
      - .offset:         100
        .size:           4
        .value_kind:     hidden_block_count_y
      - .offset:         104
        .size:           4
        .value_kind:     hidden_block_count_z
      - .offset:         108
        .size:           2
        .value_kind:     hidden_group_size_x
      - .offset:         110
        .size:           2
        .value_kind:     hidden_group_size_y
      - .offset:         112
        .size:           2
        .value_kind:     hidden_group_size_z
      - .offset:         114
        .size:           2
        .value_kind:     hidden_remainder_x
      - .offset:         116
        .size:           2
        .value_kind:     hidden_remainder_y
      - .offset:         118
        .size:           2
        .value_kind:     hidden_remainder_z
      - .offset:         136
        .size:           8
        .value_kind:     hidden_global_offset_x
      - .offset:         144
        .size:           8
        .value_kind:     hidden_global_offset_y
      - .offset:         152
        .size:           8
        .value_kind:     hidden_global_offset_z
      - .offset:         160
        .size:           2
        .value_kind:     hidden_grid_dims
    .group_segment_fixed_size: 41480
    .kernarg_segment_align: 8
    .kernarg_segment_size: 352
    .language:       OpenCL C
    .language_version:
      - 2
      - 0
    .max_flat_workgroup_size: 1024
    .name:           _ZL19rocblas_trsv_deviceILi64ELi16ELb1ELb1ELb0ELb0EddPKdPdEviT7_lllT6_T8_lllPii
    .private_segment_fixed_size: 0
    .sgpr_count:     100
    .sgpr_spill_count: 65
    .symbol:         _ZL19rocblas_trsv_deviceILi64ELi16ELb1ELb1ELb0ELb0EddPKdPdEviT7_lllT6_T8_lllPii.kd
    .uniform_work_group_size: 1
    .uses_dynamic_stack: false
    .vgpr_count:     43
    .vgpr_spill_count: 0
    .wavefront_size: 64
  - .args:
      - .offset:         0
        .size:           4
        .value_kind:     by_value
      - .address_space:  global
        .offset:         8
        .size:           8
        .value_kind:     global_buffer
      - .offset:         16
        .size:           8
        .value_kind:     by_value
      - .offset:         24
        .size:           8
        .value_kind:     by_value
      - .offset:         32
        .size:           8
        .value_kind:     by_value
      - .offset:         40
        .size:           8
        .value_kind:     by_value
      - .address_space:  global
        .offset:         48
        .size:           8
        .value_kind:     global_buffer
      - .offset:         56
        .size:           8
        .value_kind:     by_value
      - .offset:         64
        .size:           8
        .value_kind:     by_value
      - .offset:         72
        .size:           8
        .value_kind:     by_value
      - .address_space:  global
        .offset:         80
        .size:           8
        .value_kind:     global_buffer
      - .offset:         88
        .size:           4
        .value_kind:     by_value
      - .offset:         96
        .size:           4
        .value_kind:     hidden_block_count_x
      - .offset:         100
        .size:           4
        .value_kind:     hidden_block_count_y
      - .offset:         104
        .size:           4
        .value_kind:     hidden_block_count_z
      - .offset:         108
        .size:           2
        .value_kind:     hidden_group_size_x
      - .offset:         110
        .size:           2
        .value_kind:     hidden_group_size_y
      - .offset:         112
        .size:           2
        .value_kind:     hidden_group_size_z
      - .offset:         114
        .size:           2
        .value_kind:     hidden_remainder_x
      - .offset:         116
        .size:           2
        .value_kind:     hidden_remainder_y
      - .offset:         118
        .size:           2
        .value_kind:     hidden_remainder_z
      - .offset:         136
        .size:           8
        .value_kind:     hidden_global_offset_x
      - .offset:         144
        .size:           8
        .value_kind:     hidden_global_offset_y
      - .offset:         152
        .size:           8
        .value_kind:     hidden_global_offset_z
      - .offset:         160
        .size:           2
        .value_kind:     hidden_grid_dims
    .group_segment_fixed_size: 41480
    .kernarg_segment_align: 8
    .kernarg_segment_size: 352
    .language:       OpenCL C
    .language_version:
      - 2
      - 0
    .max_flat_workgroup_size: 1024
    .name:           _ZL19rocblas_trsv_deviceILi64ELi16ELb1ELb1ELb1ELb0EddPKdPdEviT7_lllT6_T8_lllPii
    .private_segment_fixed_size: 0
    .sgpr_count:     100
    .sgpr_spill_count: 65
    .symbol:         _ZL19rocblas_trsv_deviceILi64ELi16ELb1ELb1ELb1ELb0EddPKdPdEviT7_lllT6_T8_lllPii.kd
    .uniform_work_group_size: 1
    .uses_dynamic_stack: false
    .vgpr_count:     43
    .vgpr_spill_count: 0
    .wavefront_size: 64
  - .args:
      - .offset:         0
        .size:           4
        .value_kind:     by_value
      - .address_space:  global
        .offset:         8
        .size:           8
        .value_kind:     global_buffer
      - .offset:         16
        .size:           8
        .value_kind:     by_value
      - .offset:         24
        .size:           8
        .value_kind:     by_value
      - .offset:         32
        .size:           8
        .value_kind:     by_value
      - .address_space:  global
        .offset:         40
        .size:           8
        .value_kind:     global_buffer
      - .address_space:  global
        .offset:         48
        .size:           8
        .value_kind:     global_buffer
      - .offset:         56
        .size:           8
        .value_kind:     by_value
      - .offset:         64
        .size:           8
        .value_kind:     by_value
      - .offset:         72
        .size:           8
        .value_kind:     by_value
      - .address_space:  global
        .offset:         80
        .size:           8
        .value_kind:     global_buffer
      - .offset:         88
        .size:           4
        .value_kind:     by_value
      - .offset:         96
        .size:           4
        .value_kind:     hidden_block_count_x
      - .offset:         100
        .size:           4
        .value_kind:     hidden_block_count_y
      - .offset:         104
        .size:           4
        .value_kind:     hidden_block_count_z
      - .offset:         108
        .size:           2
        .value_kind:     hidden_group_size_x
      - .offset:         110
        .size:           2
        .value_kind:     hidden_group_size_y
      - .offset:         112
        .size:           2
        .value_kind:     hidden_group_size_z
      - .offset:         114
        .size:           2
        .value_kind:     hidden_remainder_x
      - .offset:         116
        .size:           2
        .value_kind:     hidden_remainder_y
      - .offset:         118
        .size:           2
        .value_kind:     hidden_remainder_z
      - .offset:         136
        .size:           8
        .value_kind:     hidden_global_offset_x
      - .offset:         144
        .size:           8
        .value_kind:     hidden_global_offset_y
      - .offset:         152
        .size:           8
        .value_kind:     hidden_global_offset_z
      - .offset:         160
        .size:           2
        .value_kind:     hidden_grid_dims
    .group_segment_fixed_size: 41480
    .kernarg_segment_align: 8
    .kernarg_segment_size: 352
    .language:       OpenCL C
    .language_version:
      - 2
      - 0
    .max_flat_workgroup_size: 1024
    .name:           _ZL19rocblas_trsv_deviceILi64ELi16ELb0ELb0ELb0ELb1E19rocblas_complex_numIfEPKS1_S3_PS1_EviT7_lllT6_T8_lllPii
    .private_segment_fixed_size: 48
    .sgpr_count:     106
    .sgpr_spill_count: 54
    .symbol:         _ZL19rocblas_trsv_deviceILi64ELi16ELb0ELb0ELb0ELb1E19rocblas_complex_numIfEPKS1_S3_PS1_EviT7_lllT6_T8_lllPii.kd
    .uniform_work_group_size: 1
    .uses_dynamic_stack: false
    .vgpr_count:     29
    .vgpr_spill_count: 0
    .wavefront_size: 64
  - .args:
      - .offset:         0
        .size:           4
        .value_kind:     by_value
      - .address_space:  global
        .offset:         8
        .size:           8
        .value_kind:     global_buffer
      - .offset:         16
        .size:           8
        .value_kind:     by_value
      - .offset:         24
        .size:           8
        .value_kind:     by_value
      - .offset:         32
        .size:           8
        .value_kind:     by_value
      - .address_space:  global
        .offset:         40
        .size:           8
        .value_kind:     global_buffer
      - .address_space:  global
        .offset:         48
        .size:           8
        .value_kind:     global_buffer
      - .offset:         56
        .size:           8
        .value_kind:     by_value
      - .offset:         64
        .size:           8
        .value_kind:     by_value
      - .offset:         72
        .size:           8
        .value_kind:     by_value
      - .address_space:  global
        .offset:         80
        .size:           8
        .value_kind:     global_buffer
      - .offset:         88
        .size:           4
        .value_kind:     by_value
      - .offset:         96
        .size:           4
        .value_kind:     hidden_block_count_x
      - .offset:         100
        .size:           4
        .value_kind:     hidden_block_count_y
      - .offset:         104
        .size:           4
        .value_kind:     hidden_block_count_z
      - .offset:         108
        .size:           2
        .value_kind:     hidden_group_size_x
      - .offset:         110
        .size:           2
        .value_kind:     hidden_group_size_y
      - .offset:         112
        .size:           2
        .value_kind:     hidden_group_size_z
      - .offset:         114
        .size:           2
        .value_kind:     hidden_remainder_x
      - .offset:         116
        .size:           2
        .value_kind:     hidden_remainder_y
      - .offset:         118
        .size:           2
        .value_kind:     hidden_remainder_z
      - .offset:         136
        .size:           8
        .value_kind:     hidden_global_offset_x
      - .offset:         144
        .size:           8
        .value_kind:     hidden_global_offset_y
      - .offset:         152
        .size:           8
        .value_kind:     hidden_global_offset_z
      - .offset:         160
        .size:           2
        .value_kind:     hidden_grid_dims
    .group_segment_fixed_size: 41480
    .kernarg_segment_align: 8
    .kernarg_segment_size: 352
    .language:       OpenCL C
    .language_version:
      - 2
      - 0
    .max_flat_workgroup_size: 1024
    .name:           _ZL19rocblas_trsv_deviceILi64ELi16ELb0ELb1ELb0ELb1E19rocblas_complex_numIfEPKS1_S3_PS1_EviT7_lllT6_T8_lllPii
    .private_segment_fixed_size: 48
    .sgpr_count:     106
    .sgpr_spill_count: 60
    .symbol:         _ZL19rocblas_trsv_deviceILi64ELi16ELb0ELb1ELb0ELb1E19rocblas_complex_numIfEPKS1_S3_PS1_EviT7_lllT6_T8_lllPii.kd
    .uniform_work_group_size: 1
    .uses_dynamic_stack: false
    .vgpr_count:     30
    .vgpr_spill_count: 0
    .wavefront_size: 64
  - .args:
      - .offset:         0
        .size:           4
        .value_kind:     by_value
      - .address_space:  global
        .offset:         8
        .size:           8
        .value_kind:     global_buffer
      - .offset:         16
        .size:           8
        .value_kind:     by_value
      - .offset:         24
        .size:           8
        .value_kind:     by_value
      - .offset:         32
        .size:           8
        .value_kind:     by_value
      - .address_space:  global
        .offset:         40
        .size:           8
        .value_kind:     global_buffer
      - .address_space:  global
        .offset:         48
        .size:           8
        .value_kind:     global_buffer
      - .offset:         56
        .size:           8
        .value_kind:     by_value
      - .offset:         64
        .size:           8
        .value_kind:     by_value
      - .offset:         72
        .size:           8
        .value_kind:     by_value
      - .address_space:  global
        .offset:         80
        .size:           8
        .value_kind:     global_buffer
      - .offset:         88
        .size:           4
        .value_kind:     by_value
      - .offset:         96
        .size:           4
        .value_kind:     hidden_block_count_x
      - .offset:         100
        .size:           4
        .value_kind:     hidden_block_count_y
      - .offset:         104
        .size:           4
        .value_kind:     hidden_block_count_z
      - .offset:         108
        .size:           2
        .value_kind:     hidden_group_size_x
      - .offset:         110
        .size:           2
        .value_kind:     hidden_group_size_y
      - .offset:         112
        .size:           2
        .value_kind:     hidden_group_size_z
      - .offset:         114
        .size:           2
        .value_kind:     hidden_remainder_x
      - .offset:         116
        .size:           2
        .value_kind:     hidden_remainder_y
      - .offset:         118
        .size:           2
        .value_kind:     hidden_remainder_z
      - .offset:         136
        .size:           8
        .value_kind:     hidden_global_offset_x
      - .offset:         144
        .size:           8
        .value_kind:     hidden_global_offset_y
      - .offset:         152
        .size:           8
        .value_kind:     hidden_global_offset_z
      - .offset:         160
        .size:           2
        .value_kind:     hidden_grid_dims
    .group_segment_fixed_size: 41480
    .kernarg_segment_align: 8
    .kernarg_segment_size: 352
    .language:       OpenCL C
    .language_version:
      - 2
      - 0
    .max_flat_workgroup_size: 1024
    .name:           _ZL19rocblas_trsv_deviceILi64ELi16ELb0ELb1ELb1ELb1E19rocblas_complex_numIfEPKS1_S3_PS1_EviT7_lllT6_T8_lllPii
    .private_segment_fixed_size: 0
    .sgpr_count:     100
    .sgpr_spill_count: 60
    .symbol:         _ZL19rocblas_trsv_deviceILi64ELi16ELb0ELb1ELb1ELb1E19rocblas_complex_numIfEPKS1_S3_PS1_EviT7_lllT6_T8_lllPii.kd
    .uniform_work_group_size: 1
    .uses_dynamic_stack: false
    .vgpr_count:     38
    .vgpr_spill_count: 0
    .wavefront_size: 64
  - .args:
      - .offset:         0
        .size:           4
        .value_kind:     by_value
      - .address_space:  global
        .offset:         8
        .size:           8
        .value_kind:     global_buffer
      - .offset:         16
        .size:           8
        .value_kind:     by_value
      - .offset:         24
        .size:           8
        .value_kind:     by_value
      - .offset:         32
        .size:           8
        .value_kind:     by_value
      - .address_space:  global
        .offset:         40
        .size:           8
        .value_kind:     global_buffer
      - .address_space:  global
        .offset:         48
        .size:           8
        .value_kind:     global_buffer
      - .offset:         56
        .size:           8
        .value_kind:     by_value
      - .offset:         64
        .size:           8
        .value_kind:     by_value
      - .offset:         72
        .size:           8
        .value_kind:     by_value
      - .address_space:  global
        .offset:         80
        .size:           8
        .value_kind:     global_buffer
      - .offset:         88
        .size:           4
        .value_kind:     by_value
      - .offset:         96
        .size:           4
        .value_kind:     hidden_block_count_x
      - .offset:         100
        .size:           4
        .value_kind:     hidden_block_count_y
      - .offset:         104
        .size:           4
        .value_kind:     hidden_block_count_z
      - .offset:         108
        .size:           2
        .value_kind:     hidden_group_size_x
      - .offset:         110
        .size:           2
        .value_kind:     hidden_group_size_y
      - .offset:         112
        .size:           2
        .value_kind:     hidden_group_size_z
      - .offset:         114
        .size:           2
        .value_kind:     hidden_remainder_x
      - .offset:         116
        .size:           2
        .value_kind:     hidden_remainder_y
      - .offset:         118
        .size:           2
        .value_kind:     hidden_remainder_z
      - .offset:         136
        .size:           8
        .value_kind:     hidden_global_offset_x
      - .offset:         144
        .size:           8
        .value_kind:     hidden_global_offset_y
      - .offset:         152
        .size:           8
        .value_kind:     hidden_global_offset_z
      - .offset:         160
        .size:           2
        .value_kind:     hidden_grid_dims
    .group_segment_fixed_size: 41480
    .kernarg_segment_align: 8
    .kernarg_segment_size: 352
    .language:       OpenCL C
    .language_version:
      - 2
      - 0
    .max_flat_workgroup_size: 1024
    .name:           _ZL19rocblas_trsv_deviceILi64ELi16ELb0ELb0ELb0ELb0E19rocblas_complex_numIfEPKS1_S3_PS1_EviT7_lllT6_T8_lllPii
    .private_segment_fixed_size: 48
    .sgpr_count:     106
    .sgpr_spill_count: 55
    .symbol:         _ZL19rocblas_trsv_deviceILi64ELi16ELb0ELb0ELb0ELb0E19rocblas_complex_numIfEPKS1_S3_PS1_EviT7_lllT6_T8_lllPii.kd
    .uniform_work_group_size: 1
    .uses_dynamic_stack: false
    .vgpr_count:     31
    .vgpr_spill_count: 0
    .wavefront_size: 64
  - .args:
      - .offset:         0
        .size:           4
        .value_kind:     by_value
      - .address_space:  global
        .offset:         8
        .size:           8
        .value_kind:     global_buffer
      - .offset:         16
        .size:           8
        .value_kind:     by_value
      - .offset:         24
        .size:           8
        .value_kind:     by_value
      - .offset:         32
        .size:           8
        .value_kind:     by_value
      - .address_space:  global
        .offset:         40
        .size:           8
        .value_kind:     global_buffer
      - .address_space:  global
        .offset:         48
        .size:           8
        .value_kind:     global_buffer
      - .offset:         56
        .size:           8
        .value_kind:     by_value
      - .offset:         64
        .size:           8
        .value_kind:     by_value
      - .offset:         72
        .size:           8
        .value_kind:     by_value
      - .address_space:  global
        .offset:         80
        .size:           8
        .value_kind:     global_buffer
      - .offset:         88
        .size:           4
        .value_kind:     by_value
      - .offset:         96
        .size:           4
        .value_kind:     hidden_block_count_x
      - .offset:         100
        .size:           4
        .value_kind:     hidden_block_count_y
      - .offset:         104
        .size:           4
        .value_kind:     hidden_block_count_z
      - .offset:         108
        .size:           2
        .value_kind:     hidden_group_size_x
      - .offset:         110
        .size:           2
        .value_kind:     hidden_group_size_y
      - .offset:         112
        .size:           2
        .value_kind:     hidden_group_size_z
      - .offset:         114
        .size:           2
        .value_kind:     hidden_remainder_x
      - .offset:         116
        .size:           2
        .value_kind:     hidden_remainder_y
      - .offset:         118
        .size:           2
        .value_kind:     hidden_remainder_z
      - .offset:         136
        .size:           8
        .value_kind:     hidden_global_offset_x
      - .offset:         144
        .size:           8
        .value_kind:     hidden_global_offset_y
      - .offset:         152
        .size:           8
        .value_kind:     hidden_global_offset_z
      - .offset:         160
        .size:           2
        .value_kind:     hidden_grid_dims
    .group_segment_fixed_size: 41480
    .kernarg_segment_align: 8
    .kernarg_segment_size: 352
    .language:       OpenCL C
    .language_version:
      - 2
      - 0
    .max_flat_workgroup_size: 1024
    .name:           _ZL19rocblas_trsv_deviceILi64ELi16ELb0ELb1ELb0ELb0E19rocblas_complex_numIfEPKS1_S3_PS1_EviT7_lllT6_T8_lllPii
    .private_segment_fixed_size: 48
    .sgpr_count:     106
    .sgpr_spill_count: 63
    .symbol:         _ZL19rocblas_trsv_deviceILi64ELi16ELb0ELb1ELb0ELb0E19rocblas_complex_numIfEPKS1_S3_PS1_EviT7_lllT6_T8_lllPii.kd
    .uniform_work_group_size: 1
    .uses_dynamic_stack: false
    .vgpr_count:     31
    .vgpr_spill_count: 0
    .wavefront_size: 64
  - .args:
      - .offset:         0
        .size:           4
        .value_kind:     by_value
      - .address_space:  global
        .offset:         8
        .size:           8
        .value_kind:     global_buffer
      - .offset:         16
        .size:           8
        .value_kind:     by_value
      - .offset:         24
        .size:           8
        .value_kind:     by_value
      - .offset:         32
        .size:           8
        .value_kind:     by_value
      - .address_space:  global
        .offset:         40
        .size:           8
        .value_kind:     global_buffer
      - .address_space:  global
        .offset:         48
        .size:           8
        .value_kind:     global_buffer
      - .offset:         56
        .size:           8
        .value_kind:     by_value
      - .offset:         64
        .size:           8
        .value_kind:     by_value
      - .offset:         72
        .size:           8
        .value_kind:     by_value
      - .address_space:  global
        .offset:         80
        .size:           8
        .value_kind:     global_buffer
      - .offset:         88
        .size:           4
        .value_kind:     by_value
      - .offset:         96
        .size:           4
        .value_kind:     hidden_block_count_x
      - .offset:         100
        .size:           4
        .value_kind:     hidden_block_count_y
      - .offset:         104
        .size:           4
        .value_kind:     hidden_block_count_z
      - .offset:         108
        .size:           2
        .value_kind:     hidden_group_size_x
      - .offset:         110
        .size:           2
        .value_kind:     hidden_group_size_y
      - .offset:         112
        .size:           2
        .value_kind:     hidden_group_size_z
      - .offset:         114
        .size:           2
        .value_kind:     hidden_remainder_x
      - .offset:         116
        .size:           2
        .value_kind:     hidden_remainder_y
      - .offset:         118
        .size:           2
        .value_kind:     hidden_remainder_z
      - .offset:         136
        .size:           8
        .value_kind:     hidden_global_offset_x
      - .offset:         144
        .size:           8
        .value_kind:     hidden_global_offset_y
      - .offset:         152
        .size:           8
        .value_kind:     hidden_global_offset_z
      - .offset:         160
        .size:           2
        .value_kind:     hidden_grid_dims
    .group_segment_fixed_size: 41480
    .kernarg_segment_align: 8
    .kernarg_segment_size: 352
    .language:       OpenCL C
    .language_version:
      - 2
      - 0
    .max_flat_workgroup_size: 1024
    .name:           _ZL19rocblas_trsv_deviceILi64ELi16ELb0ELb1ELb1ELb0E19rocblas_complex_numIfEPKS1_S3_PS1_EviT7_lllT6_T8_lllPii
    .private_segment_fixed_size: 0
    .sgpr_count:     100
    .sgpr_spill_count: 63
    .symbol:         _ZL19rocblas_trsv_deviceILi64ELi16ELb0ELb1ELb1ELb0E19rocblas_complex_numIfEPKS1_S3_PS1_EviT7_lllT6_T8_lllPii.kd
    .uniform_work_group_size: 1
    .uses_dynamic_stack: false
    .vgpr_count:     39
    .vgpr_spill_count: 0
    .wavefront_size: 64
  - .args:
      - .offset:         0
        .size:           4
        .value_kind:     by_value
      - .address_space:  global
        .offset:         8
        .size:           8
        .value_kind:     global_buffer
      - .offset:         16
        .size:           8
        .value_kind:     by_value
      - .offset:         24
        .size:           8
        .value_kind:     by_value
      - .offset:         32
        .size:           8
        .value_kind:     by_value
      - .address_space:  global
        .offset:         40
        .size:           8
        .value_kind:     global_buffer
      - .address_space:  global
        .offset:         48
        .size:           8
        .value_kind:     global_buffer
      - .offset:         56
        .size:           8
        .value_kind:     by_value
      - .offset:         64
        .size:           8
        .value_kind:     by_value
      - .offset:         72
        .size:           8
        .value_kind:     by_value
      - .address_space:  global
        .offset:         80
        .size:           8
        .value_kind:     global_buffer
      - .offset:         88
        .size:           4
        .value_kind:     by_value
      - .offset:         96
        .size:           4
        .value_kind:     hidden_block_count_x
      - .offset:         100
        .size:           4
        .value_kind:     hidden_block_count_y
      - .offset:         104
        .size:           4
        .value_kind:     hidden_block_count_z
      - .offset:         108
        .size:           2
        .value_kind:     hidden_group_size_x
      - .offset:         110
        .size:           2
        .value_kind:     hidden_group_size_y
      - .offset:         112
        .size:           2
        .value_kind:     hidden_group_size_z
      - .offset:         114
        .size:           2
        .value_kind:     hidden_remainder_x
      - .offset:         116
        .size:           2
        .value_kind:     hidden_remainder_y
      - .offset:         118
        .size:           2
        .value_kind:     hidden_remainder_z
      - .offset:         136
        .size:           8
        .value_kind:     hidden_global_offset_x
      - .offset:         144
        .size:           8
        .value_kind:     hidden_global_offset_y
      - .offset:         152
        .size:           8
        .value_kind:     hidden_global_offset_z
      - .offset:         160
        .size:           2
        .value_kind:     hidden_grid_dims
    .group_segment_fixed_size: 41480
    .kernarg_segment_align: 8
    .kernarg_segment_size: 352
    .language:       OpenCL C
    .language_version:
      - 2
      - 0
    .max_flat_workgroup_size: 1024
    .name:           _ZL19rocblas_trsv_deviceILi64ELi16ELb1ELb0ELb0ELb1E19rocblas_complex_numIfEPKS1_S3_PS1_EviT7_lllT6_T8_lllPii
    .private_segment_fixed_size: 48
    .sgpr_count:     106
    .sgpr_spill_count: 50
    .symbol:         _ZL19rocblas_trsv_deviceILi64ELi16ELb1ELb0ELb0ELb1E19rocblas_complex_numIfEPKS1_S3_PS1_EviT7_lllT6_T8_lllPii.kd
    .uniform_work_group_size: 1
    .uses_dynamic_stack: false
    .vgpr_count:     36
    .vgpr_spill_count: 0
    .wavefront_size: 64
  - .args:
      - .offset:         0
        .size:           4
        .value_kind:     by_value
      - .address_space:  global
        .offset:         8
        .size:           8
        .value_kind:     global_buffer
      - .offset:         16
        .size:           8
        .value_kind:     by_value
      - .offset:         24
        .size:           8
        .value_kind:     by_value
      - .offset:         32
        .size:           8
        .value_kind:     by_value
      - .address_space:  global
        .offset:         40
        .size:           8
        .value_kind:     global_buffer
      - .address_space:  global
        .offset:         48
        .size:           8
        .value_kind:     global_buffer
      - .offset:         56
        .size:           8
        .value_kind:     by_value
      - .offset:         64
        .size:           8
        .value_kind:     by_value
      - .offset:         72
        .size:           8
        .value_kind:     by_value
      - .address_space:  global
        .offset:         80
        .size:           8
        .value_kind:     global_buffer
      - .offset:         88
        .size:           4
        .value_kind:     by_value
      - .offset:         96
        .size:           4
        .value_kind:     hidden_block_count_x
      - .offset:         100
        .size:           4
        .value_kind:     hidden_block_count_y
      - .offset:         104
        .size:           4
        .value_kind:     hidden_block_count_z
      - .offset:         108
        .size:           2
        .value_kind:     hidden_group_size_x
      - .offset:         110
        .size:           2
        .value_kind:     hidden_group_size_y
      - .offset:         112
        .size:           2
        .value_kind:     hidden_group_size_z
      - .offset:         114
        .size:           2
        .value_kind:     hidden_remainder_x
      - .offset:         116
        .size:           2
        .value_kind:     hidden_remainder_y
      - .offset:         118
        .size:           2
        .value_kind:     hidden_remainder_z
      - .offset:         136
        .size:           8
        .value_kind:     hidden_global_offset_x
      - .offset:         144
        .size:           8
        .value_kind:     hidden_global_offset_y
      - .offset:         152
        .size:           8
        .value_kind:     hidden_global_offset_z
      - .offset:         160
        .size:           2
        .value_kind:     hidden_grid_dims
    .group_segment_fixed_size: 41480
    .kernarg_segment_align: 8
    .kernarg_segment_size: 352
    .language:       OpenCL C
    .language_version:
      - 2
      - 0
    .max_flat_workgroup_size: 1024
    .name:           _ZL19rocblas_trsv_deviceILi64ELi16ELb1ELb1ELb0ELb1E19rocblas_complex_numIfEPKS1_S3_PS1_EviT7_lllT6_T8_lllPii
    .private_segment_fixed_size: 48
    .sgpr_count:     106
    .sgpr_spill_count: 64
    .symbol:         _ZL19rocblas_trsv_deviceILi64ELi16ELb1ELb1ELb0ELb1E19rocblas_complex_numIfEPKS1_S3_PS1_EviT7_lllT6_T8_lllPii.kd
    .uniform_work_group_size: 1
    .uses_dynamic_stack: false
    .vgpr_count:     35
    .vgpr_spill_count: 0
    .wavefront_size: 64
  - .args:
      - .offset:         0
        .size:           4
        .value_kind:     by_value
      - .address_space:  global
        .offset:         8
        .size:           8
        .value_kind:     global_buffer
      - .offset:         16
        .size:           8
        .value_kind:     by_value
      - .offset:         24
        .size:           8
        .value_kind:     by_value
      - .offset:         32
        .size:           8
        .value_kind:     by_value
      - .address_space:  global
        .offset:         40
        .size:           8
        .value_kind:     global_buffer
      - .address_space:  global
        .offset:         48
        .size:           8
        .value_kind:     global_buffer
      - .offset:         56
        .size:           8
        .value_kind:     by_value
      - .offset:         64
        .size:           8
        .value_kind:     by_value
      - .offset:         72
        .size:           8
        .value_kind:     by_value
      - .address_space:  global
        .offset:         80
        .size:           8
        .value_kind:     global_buffer
      - .offset:         88
        .size:           4
        .value_kind:     by_value
      - .offset:         96
        .size:           4
        .value_kind:     hidden_block_count_x
      - .offset:         100
        .size:           4
        .value_kind:     hidden_block_count_y
      - .offset:         104
        .size:           4
        .value_kind:     hidden_block_count_z
      - .offset:         108
        .size:           2
        .value_kind:     hidden_group_size_x
      - .offset:         110
        .size:           2
        .value_kind:     hidden_group_size_y
      - .offset:         112
        .size:           2
        .value_kind:     hidden_group_size_z
      - .offset:         114
        .size:           2
        .value_kind:     hidden_remainder_x
      - .offset:         116
        .size:           2
        .value_kind:     hidden_remainder_y
      - .offset:         118
        .size:           2
        .value_kind:     hidden_remainder_z
      - .offset:         136
        .size:           8
        .value_kind:     hidden_global_offset_x
      - .offset:         144
        .size:           8
        .value_kind:     hidden_global_offset_y
      - .offset:         152
        .size:           8
        .value_kind:     hidden_global_offset_z
      - .offset:         160
        .size:           2
        .value_kind:     hidden_grid_dims
    .group_segment_fixed_size: 41480
    .kernarg_segment_align: 8
    .kernarg_segment_size: 352
    .language:       OpenCL C
    .language_version:
      - 2
      - 0
    .max_flat_workgroup_size: 1024
    .name:           _ZL19rocblas_trsv_deviceILi64ELi16ELb1ELb1ELb1ELb1E19rocblas_complex_numIfEPKS1_S3_PS1_EviT7_lllT6_T8_lllPii
    .private_segment_fixed_size: 0
    .sgpr_count:     100
    .sgpr_spill_count: 64
    .symbol:         _ZL19rocblas_trsv_deviceILi64ELi16ELb1ELb1ELb1ELb1E19rocblas_complex_numIfEPKS1_S3_PS1_EviT7_lllT6_T8_lllPii.kd
    .uniform_work_group_size: 1
    .uses_dynamic_stack: false
    .vgpr_count:     43
    .vgpr_spill_count: 0
    .wavefront_size: 64
  - .args:
      - .offset:         0
        .size:           4
        .value_kind:     by_value
      - .address_space:  global
        .offset:         8
        .size:           8
        .value_kind:     global_buffer
      - .offset:         16
        .size:           8
        .value_kind:     by_value
      - .offset:         24
        .size:           8
        .value_kind:     by_value
      - .offset:         32
        .size:           8
        .value_kind:     by_value
      - .address_space:  global
        .offset:         40
        .size:           8
        .value_kind:     global_buffer
      - .address_space:  global
        .offset:         48
        .size:           8
        .value_kind:     global_buffer
      - .offset:         56
        .size:           8
        .value_kind:     by_value
      - .offset:         64
        .size:           8
        .value_kind:     by_value
      - .offset:         72
        .size:           8
        .value_kind:     by_value
      - .address_space:  global
        .offset:         80
        .size:           8
        .value_kind:     global_buffer
      - .offset:         88
        .size:           4
        .value_kind:     by_value
      - .offset:         96
        .size:           4
        .value_kind:     hidden_block_count_x
      - .offset:         100
        .size:           4
        .value_kind:     hidden_block_count_y
      - .offset:         104
        .size:           4
        .value_kind:     hidden_block_count_z
      - .offset:         108
        .size:           2
        .value_kind:     hidden_group_size_x
      - .offset:         110
        .size:           2
        .value_kind:     hidden_group_size_y
      - .offset:         112
        .size:           2
        .value_kind:     hidden_group_size_z
      - .offset:         114
        .size:           2
        .value_kind:     hidden_remainder_x
      - .offset:         116
        .size:           2
        .value_kind:     hidden_remainder_y
      - .offset:         118
        .size:           2
        .value_kind:     hidden_remainder_z
      - .offset:         136
        .size:           8
        .value_kind:     hidden_global_offset_x
      - .offset:         144
        .size:           8
        .value_kind:     hidden_global_offset_y
      - .offset:         152
        .size:           8
        .value_kind:     hidden_global_offset_z
      - .offset:         160
        .size:           2
        .value_kind:     hidden_grid_dims
    .group_segment_fixed_size: 41480
    .kernarg_segment_align: 8
    .kernarg_segment_size: 352
    .language:       OpenCL C
    .language_version:
      - 2
      - 0
    .max_flat_workgroup_size: 1024
    .name:           _ZL19rocblas_trsv_deviceILi64ELi16ELb1ELb0ELb0ELb0E19rocblas_complex_numIfEPKS1_S3_PS1_EviT7_lllT6_T8_lllPii
    .private_segment_fixed_size: 48
    .sgpr_count:     106
    .sgpr_spill_count: 53
    .symbol:         _ZL19rocblas_trsv_deviceILi64ELi16ELb1ELb0ELb0ELb0E19rocblas_complex_numIfEPKS1_S3_PS1_EviT7_lllT6_T8_lllPii.kd
    .uniform_work_group_size: 1
    .uses_dynamic_stack: false
    .vgpr_count:     35
    .vgpr_spill_count: 0
    .wavefront_size: 64
  - .args:
      - .offset:         0
        .size:           4
        .value_kind:     by_value
      - .address_space:  global
        .offset:         8
        .size:           8
        .value_kind:     global_buffer
      - .offset:         16
        .size:           8
        .value_kind:     by_value
      - .offset:         24
        .size:           8
        .value_kind:     by_value
      - .offset:         32
        .size:           8
        .value_kind:     by_value
      - .address_space:  global
        .offset:         40
        .size:           8
        .value_kind:     global_buffer
      - .address_space:  global
        .offset:         48
        .size:           8
        .value_kind:     global_buffer
      - .offset:         56
        .size:           8
        .value_kind:     by_value
      - .offset:         64
        .size:           8
        .value_kind:     by_value
      - .offset:         72
        .size:           8
        .value_kind:     by_value
      - .address_space:  global
        .offset:         80
        .size:           8
        .value_kind:     global_buffer
      - .offset:         88
        .size:           4
        .value_kind:     by_value
      - .offset:         96
        .size:           4
        .value_kind:     hidden_block_count_x
      - .offset:         100
        .size:           4
        .value_kind:     hidden_block_count_y
      - .offset:         104
        .size:           4
        .value_kind:     hidden_block_count_z
      - .offset:         108
        .size:           2
        .value_kind:     hidden_group_size_x
      - .offset:         110
        .size:           2
        .value_kind:     hidden_group_size_y
      - .offset:         112
        .size:           2
        .value_kind:     hidden_group_size_z
      - .offset:         114
        .size:           2
        .value_kind:     hidden_remainder_x
      - .offset:         116
        .size:           2
        .value_kind:     hidden_remainder_y
      - .offset:         118
        .size:           2
        .value_kind:     hidden_remainder_z
      - .offset:         136
        .size:           8
        .value_kind:     hidden_global_offset_x
      - .offset:         144
        .size:           8
        .value_kind:     hidden_global_offset_y
      - .offset:         152
        .size:           8
        .value_kind:     hidden_global_offset_z
      - .offset:         160
        .size:           2
        .value_kind:     hidden_grid_dims
    .group_segment_fixed_size: 41480
    .kernarg_segment_align: 8
    .kernarg_segment_size: 352
    .language:       OpenCL C
    .language_version:
      - 2
      - 0
    .max_flat_workgroup_size: 1024
    .name:           _ZL19rocblas_trsv_deviceILi64ELi16ELb1ELb1ELb0ELb0E19rocblas_complex_numIfEPKS1_S3_PS1_EviT7_lllT6_T8_lllPii
    .private_segment_fixed_size: 48
    .sgpr_count:     106
    .sgpr_spill_count: 65
    .symbol:         _ZL19rocblas_trsv_deviceILi64ELi16ELb1ELb1ELb0ELb0E19rocblas_complex_numIfEPKS1_S3_PS1_EviT7_lllT6_T8_lllPii.kd
    .uniform_work_group_size: 1
    .uses_dynamic_stack: false
    .vgpr_count:     36
    .vgpr_spill_count: 0
    .wavefront_size: 64
  - .args:
      - .offset:         0
        .size:           4
        .value_kind:     by_value
      - .address_space:  global
        .offset:         8
        .size:           8
        .value_kind:     global_buffer
      - .offset:         16
        .size:           8
        .value_kind:     by_value
      - .offset:         24
        .size:           8
        .value_kind:     by_value
      - .offset:         32
        .size:           8
        .value_kind:     by_value
      - .address_space:  global
        .offset:         40
        .size:           8
        .value_kind:     global_buffer
      - .address_space:  global
        .offset:         48
        .size:           8
        .value_kind:     global_buffer
      - .offset:         56
        .size:           8
        .value_kind:     by_value
      - .offset:         64
        .size:           8
        .value_kind:     by_value
      - .offset:         72
        .size:           8
        .value_kind:     by_value
      - .address_space:  global
        .offset:         80
        .size:           8
        .value_kind:     global_buffer
      - .offset:         88
        .size:           4
        .value_kind:     by_value
      - .offset:         96
        .size:           4
        .value_kind:     hidden_block_count_x
      - .offset:         100
        .size:           4
        .value_kind:     hidden_block_count_y
      - .offset:         104
        .size:           4
        .value_kind:     hidden_block_count_z
      - .offset:         108
        .size:           2
        .value_kind:     hidden_group_size_x
      - .offset:         110
        .size:           2
        .value_kind:     hidden_group_size_y
      - .offset:         112
        .size:           2
        .value_kind:     hidden_group_size_z
      - .offset:         114
        .size:           2
        .value_kind:     hidden_remainder_x
      - .offset:         116
        .size:           2
        .value_kind:     hidden_remainder_y
      - .offset:         118
        .size:           2
        .value_kind:     hidden_remainder_z
      - .offset:         136
        .size:           8
        .value_kind:     hidden_global_offset_x
      - .offset:         144
        .size:           8
        .value_kind:     hidden_global_offset_y
      - .offset:         152
        .size:           8
        .value_kind:     hidden_global_offset_z
      - .offset:         160
        .size:           2
        .value_kind:     hidden_grid_dims
    .group_segment_fixed_size: 41480
    .kernarg_segment_align: 8
    .kernarg_segment_size: 352
    .language:       OpenCL C
    .language_version:
      - 2
      - 0
    .max_flat_workgroup_size: 1024
    .name:           _ZL19rocblas_trsv_deviceILi64ELi16ELb1ELb1ELb1ELb0E19rocblas_complex_numIfEPKS1_S3_PS1_EviT7_lllT6_T8_lllPii
    .private_segment_fixed_size: 0
    .sgpr_count:     100
    .sgpr_spill_count: 65
    .symbol:         _ZL19rocblas_trsv_deviceILi64ELi16ELb1ELb1ELb1ELb0E19rocblas_complex_numIfEPKS1_S3_PS1_EviT7_lllT6_T8_lllPii.kd
    .uniform_work_group_size: 1
    .uses_dynamic_stack: false
    .vgpr_count:     44
    .vgpr_spill_count: 0
    .wavefront_size: 64
  - .args:
      - .offset:         0
        .size:           4
        .value_kind:     by_value
      - .address_space:  global
        .offset:         8
        .size:           8
        .value_kind:     global_buffer
      - .offset:         16
        .size:           8
        .value_kind:     by_value
      - .offset:         24
        .size:           8
        .value_kind:     by_value
      - .offset:         32
        .size:           8
        .value_kind:     by_value
      - .offset:         40
        .size:           8
        .value_kind:     by_value
      - .address_space:  global
        .offset:         48
        .size:           8
        .value_kind:     global_buffer
      - .offset:         56
        .size:           8
        .value_kind:     by_value
      - .offset:         64
        .size:           8
        .value_kind:     by_value
      - .offset:         72
        .size:           8
        .value_kind:     by_value
      - .address_space:  global
        .offset:         80
        .size:           8
        .value_kind:     global_buffer
      - .offset:         88
        .size:           4
        .value_kind:     by_value
      - .offset:         96
        .size:           4
        .value_kind:     hidden_block_count_x
      - .offset:         100
        .size:           4
        .value_kind:     hidden_block_count_y
      - .offset:         104
        .size:           4
        .value_kind:     hidden_block_count_z
      - .offset:         108
        .size:           2
        .value_kind:     hidden_group_size_x
      - .offset:         110
        .size:           2
        .value_kind:     hidden_group_size_y
      - .offset:         112
        .size:           2
        .value_kind:     hidden_group_size_z
      - .offset:         114
        .size:           2
        .value_kind:     hidden_remainder_x
      - .offset:         116
        .size:           2
        .value_kind:     hidden_remainder_y
      - .offset:         118
        .size:           2
        .value_kind:     hidden_remainder_z
      - .offset:         136
        .size:           8
        .value_kind:     hidden_global_offset_x
      - .offset:         144
        .size:           8
        .value_kind:     hidden_global_offset_y
      - .offset:         152
        .size:           8
        .value_kind:     hidden_global_offset_z
      - .offset:         160
        .size:           2
        .value_kind:     hidden_grid_dims
    .group_segment_fixed_size: 41480
    .kernarg_segment_align: 8
    .kernarg_segment_size: 352
    .language:       OpenCL C
    .language_version:
      - 2
      - 0
    .max_flat_workgroup_size: 1024
    .name:           _ZL19rocblas_trsv_deviceILi64ELi16ELb0ELb0ELb0ELb1E19rocblas_complex_numIfES1_PKS1_PS1_EviT7_lllT6_T8_lllPii
    .private_segment_fixed_size: 48
    .sgpr_count:     106
    .sgpr_spill_count: 46
    .symbol:         _ZL19rocblas_trsv_deviceILi64ELi16ELb0ELb0ELb0ELb1E19rocblas_complex_numIfES1_PKS1_PS1_EviT7_lllT6_T8_lllPii.kd
    .uniform_work_group_size: 1
    .uses_dynamic_stack: false
    .vgpr_count:     29
    .vgpr_spill_count: 0
    .wavefront_size: 64
  - .args:
      - .offset:         0
        .size:           4
        .value_kind:     by_value
      - .address_space:  global
        .offset:         8
        .size:           8
        .value_kind:     global_buffer
      - .offset:         16
        .size:           8
        .value_kind:     by_value
      - .offset:         24
        .size:           8
        .value_kind:     by_value
      - .offset:         32
        .size:           8
        .value_kind:     by_value
      - .offset:         40
        .size:           8
        .value_kind:     by_value
      - .address_space:  global
        .offset:         48
        .size:           8
        .value_kind:     global_buffer
      - .offset:         56
        .size:           8
        .value_kind:     by_value
      - .offset:         64
        .size:           8
        .value_kind:     by_value
      - .offset:         72
        .size:           8
        .value_kind:     by_value
      - .address_space:  global
        .offset:         80
        .size:           8
        .value_kind:     global_buffer
      - .offset:         88
        .size:           4
        .value_kind:     by_value
      - .offset:         96
        .size:           4
        .value_kind:     hidden_block_count_x
      - .offset:         100
        .size:           4
        .value_kind:     hidden_block_count_y
      - .offset:         104
        .size:           4
        .value_kind:     hidden_block_count_z
      - .offset:         108
        .size:           2
        .value_kind:     hidden_group_size_x
      - .offset:         110
        .size:           2
        .value_kind:     hidden_group_size_y
      - .offset:         112
        .size:           2
        .value_kind:     hidden_group_size_z
      - .offset:         114
        .size:           2
        .value_kind:     hidden_remainder_x
      - .offset:         116
        .size:           2
        .value_kind:     hidden_remainder_y
      - .offset:         118
        .size:           2
        .value_kind:     hidden_remainder_z
      - .offset:         136
        .size:           8
        .value_kind:     hidden_global_offset_x
      - .offset:         144
        .size:           8
        .value_kind:     hidden_global_offset_y
      - .offset:         152
        .size:           8
        .value_kind:     hidden_global_offset_z
      - .offset:         160
        .size:           2
        .value_kind:     hidden_grid_dims
    .group_segment_fixed_size: 41480
    .kernarg_segment_align: 8
    .kernarg_segment_size: 352
    .language:       OpenCL C
    .language_version:
      - 2
      - 0
    .max_flat_workgroup_size: 1024
    .name:           _ZL19rocblas_trsv_deviceILi64ELi16ELb0ELb1ELb0ELb1E19rocblas_complex_numIfES1_PKS1_PS1_EviT7_lllT6_T8_lllPii
    .private_segment_fixed_size: 48
    .sgpr_count:     106
    .sgpr_spill_count: 52
    .symbol:         _ZL19rocblas_trsv_deviceILi64ELi16ELb0ELb1ELb0ELb1E19rocblas_complex_numIfES1_PKS1_PS1_EviT7_lllT6_T8_lllPii.kd
    .uniform_work_group_size: 1
    .uses_dynamic_stack: false
    .vgpr_count:     30
    .vgpr_spill_count: 0
    .wavefront_size: 64
  - .args:
      - .offset:         0
        .size:           4
        .value_kind:     by_value
      - .address_space:  global
        .offset:         8
        .size:           8
        .value_kind:     global_buffer
      - .offset:         16
        .size:           8
        .value_kind:     by_value
      - .offset:         24
        .size:           8
        .value_kind:     by_value
      - .offset:         32
        .size:           8
        .value_kind:     by_value
      - .offset:         40
        .size:           8
        .value_kind:     by_value
      - .address_space:  global
        .offset:         48
        .size:           8
        .value_kind:     global_buffer
      - .offset:         56
        .size:           8
        .value_kind:     by_value
      - .offset:         64
        .size:           8
        .value_kind:     by_value
      - .offset:         72
        .size:           8
        .value_kind:     by_value
      - .address_space:  global
        .offset:         80
        .size:           8
        .value_kind:     global_buffer
      - .offset:         88
        .size:           4
        .value_kind:     by_value
      - .offset:         96
        .size:           4
        .value_kind:     hidden_block_count_x
      - .offset:         100
        .size:           4
        .value_kind:     hidden_block_count_y
      - .offset:         104
        .size:           4
        .value_kind:     hidden_block_count_z
      - .offset:         108
        .size:           2
        .value_kind:     hidden_group_size_x
      - .offset:         110
        .size:           2
        .value_kind:     hidden_group_size_y
      - .offset:         112
        .size:           2
        .value_kind:     hidden_group_size_z
      - .offset:         114
        .size:           2
        .value_kind:     hidden_remainder_x
      - .offset:         116
        .size:           2
        .value_kind:     hidden_remainder_y
      - .offset:         118
        .size:           2
        .value_kind:     hidden_remainder_z
      - .offset:         136
        .size:           8
        .value_kind:     hidden_global_offset_x
      - .offset:         144
        .size:           8
        .value_kind:     hidden_global_offset_y
      - .offset:         152
        .size:           8
        .value_kind:     hidden_global_offset_z
      - .offset:         160
        .size:           2
        .value_kind:     hidden_grid_dims
    .group_segment_fixed_size: 41480
    .kernarg_segment_align: 8
    .kernarg_segment_size: 352
    .language:       OpenCL C
    .language_version:
      - 2
      - 0
    .max_flat_workgroup_size: 1024
    .name:           _ZL19rocblas_trsv_deviceILi64ELi16ELb0ELb1ELb1ELb1E19rocblas_complex_numIfES1_PKS1_PS1_EviT7_lllT6_T8_lllPii
    .private_segment_fixed_size: 0
    .sgpr_count:     100
    .sgpr_spill_count: 54
    .symbol:         _ZL19rocblas_trsv_deviceILi64ELi16ELb0ELb1ELb1ELb1E19rocblas_complex_numIfES1_PKS1_PS1_EviT7_lllT6_T8_lllPii.kd
    .uniform_work_group_size: 1
    .uses_dynamic_stack: false
    .vgpr_count:     38
    .vgpr_spill_count: 0
    .wavefront_size: 64
  - .args:
      - .offset:         0
        .size:           4
        .value_kind:     by_value
      - .address_space:  global
        .offset:         8
        .size:           8
        .value_kind:     global_buffer
      - .offset:         16
        .size:           8
        .value_kind:     by_value
      - .offset:         24
        .size:           8
        .value_kind:     by_value
      - .offset:         32
        .size:           8
        .value_kind:     by_value
      - .offset:         40
        .size:           8
        .value_kind:     by_value
      - .address_space:  global
        .offset:         48
        .size:           8
        .value_kind:     global_buffer
      - .offset:         56
        .size:           8
        .value_kind:     by_value
      - .offset:         64
        .size:           8
        .value_kind:     by_value
      - .offset:         72
        .size:           8
        .value_kind:     by_value
      - .address_space:  global
        .offset:         80
        .size:           8
        .value_kind:     global_buffer
      - .offset:         88
        .size:           4
        .value_kind:     by_value
      - .offset:         96
        .size:           4
        .value_kind:     hidden_block_count_x
      - .offset:         100
        .size:           4
        .value_kind:     hidden_block_count_y
      - .offset:         104
        .size:           4
        .value_kind:     hidden_block_count_z
      - .offset:         108
        .size:           2
        .value_kind:     hidden_group_size_x
      - .offset:         110
        .size:           2
        .value_kind:     hidden_group_size_y
      - .offset:         112
        .size:           2
        .value_kind:     hidden_group_size_z
      - .offset:         114
        .size:           2
        .value_kind:     hidden_remainder_x
      - .offset:         116
        .size:           2
        .value_kind:     hidden_remainder_y
      - .offset:         118
        .size:           2
        .value_kind:     hidden_remainder_z
      - .offset:         136
        .size:           8
        .value_kind:     hidden_global_offset_x
      - .offset:         144
        .size:           8
        .value_kind:     hidden_global_offset_y
      - .offset:         152
        .size:           8
        .value_kind:     hidden_global_offset_z
      - .offset:         160
        .size:           2
        .value_kind:     hidden_grid_dims
    .group_segment_fixed_size: 41480
    .kernarg_segment_align: 8
    .kernarg_segment_size: 352
    .language:       OpenCL C
    .language_version:
      - 2
      - 0
    .max_flat_workgroup_size: 1024
    .name:           _ZL19rocblas_trsv_deviceILi64ELi16ELb0ELb0ELb0ELb0E19rocblas_complex_numIfES1_PKS1_PS1_EviT7_lllT6_T8_lllPii
    .private_segment_fixed_size: 48
    .sgpr_count:     106
    .sgpr_spill_count: 47
    .symbol:         _ZL19rocblas_trsv_deviceILi64ELi16ELb0ELb0ELb0ELb0E19rocblas_complex_numIfES1_PKS1_PS1_EviT7_lllT6_T8_lllPii.kd
    .uniform_work_group_size: 1
    .uses_dynamic_stack: false
    .vgpr_count:     31
    .vgpr_spill_count: 0
    .wavefront_size: 64
  - .args:
      - .offset:         0
        .size:           4
        .value_kind:     by_value
      - .address_space:  global
        .offset:         8
        .size:           8
        .value_kind:     global_buffer
      - .offset:         16
        .size:           8
        .value_kind:     by_value
      - .offset:         24
        .size:           8
        .value_kind:     by_value
      - .offset:         32
        .size:           8
        .value_kind:     by_value
      - .offset:         40
        .size:           8
        .value_kind:     by_value
      - .address_space:  global
        .offset:         48
        .size:           8
        .value_kind:     global_buffer
      - .offset:         56
        .size:           8
        .value_kind:     by_value
      - .offset:         64
        .size:           8
        .value_kind:     by_value
      - .offset:         72
        .size:           8
        .value_kind:     by_value
      - .address_space:  global
        .offset:         80
        .size:           8
        .value_kind:     global_buffer
      - .offset:         88
        .size:           4
        .value_kind:     by_value
      - .offset:         96
        .size:           4
        .value_kind:     hidden_block_count_x
      - .offset:         100
        .size:           4
        .value_kind:     hidden_block_count_y
      - .offset:         104
        .size:           4
        .value_kind:     hidden_block_count_z
      - .offset:         108
        .size:           2
        .value_kind:     hidden_group_size_x
      - .offset:         110
        .size:           2
        .value_kind:     hidden_group_size_y
      - .offset:         112
        .size:           2
        .value_kind:     hidden_group_size_z
      - .offset:         114
        .size:           2
        .value_kind:     hidden_remainder_x
      - .offset:         116
        .size:           2
        .value_kind:     hidden_remainder_y
      - .offset:         118
        .size:           2
        .value_kind:     hidden_remainder_z
      - .offset:         136
        .size:           8
        .value_kind:     hidden_global_offset_x
      - .offset:         144
        .size:           8
        .value_kind:     hidden_global_offset_y
      - .offset:         152
        .size:           8
        .value_kind:     hidden_global_offset_z
      - .offset:         160
        .size:           2
        .value_kind:     hidden_grid_dims
    .group_segment_fixed_size: 41480
    .kernarg_segment_align: 8
    .kernarg_segment_size: 352
    .language:       OpenCL C
    .language_version:
      - 2
      - 0
    .max_flat_workgroup_size: 1024
    .name:           _ZL19rocblas_trsv_deviceILi64ELi16ELb0ELb1ELb0ELb0E19rocblas_complex_numIfES1_PKS1_PS1_EviT7_lllT6_T8_lllPii
    .private_segment_fixed_size: 48
    .sgpr_count:     106
    .sgpr_spill_count: 55
    .symbol:         _ZL19rocblas_trsv_deviceILi64ELi16ELb0ELb1ELb0ELb0E19rocblas_complex_numIfES1_PKS1_PS1_EviT7_lllT6_T8_lllPii.kd
    .uniform_work_group_size: 1
    .uses_dynamic_stack: false
    .vgpr_count:     31
    .vgpr_spill_count: 0
    .wavefront_size: 64
  - .args:
      - .offset:         0
        .size:           4
        .value_kind:     by_value
      - .address_space:  global
        .offset:         8
        .size:           8
        .value_kind:     global_buffer
      - .offset:         16
        .size:           8
        .value_kind:     by_value
      - .offset:         24
        .size:           8
        .value_kind:     by_value
      - .offset:         32
        .size:           8
        .value_kind:     by_value
      - .offset:         40
        .size:           8
        .value_kind:     by_value
      - .address_space:  global
        .offset:         48
        .size:           8
        .value_kind:     global_buffer
      - .offset:         56
        .size:           8
        .value_kind:     by_value
      - .offset:         64
        .size:           8
        .value_kind:     by_value
      - .offset:         72
        .size:           8
        .value_kind:     by_value
      - .address_space:  global
        .offset:         80
        .size:           8
        .value_kind:     global_buffer
      - .offset:         88
        .size:           4
        .value_kind:     by_value
      - .offset:         96
        .size:           4
        .value_kind:     hidden_block_count_x
      - .offset:         100
        .size:           4
        .value_kind:     hidden_block_count_y
      - .offset:         104
        .size:           4
        .value_kind:     hidden_block_count_z
      - .offset:         108
        .size:           2
        .value_kind:     hidden_group_size_x
      - .offset:         110
        .size:           2
        .value_kind:     hidden_group_size_y
      - .offset:         112
        .size:           2
        .value_kind:     hidden_group_size_z
      - .offset:         114
        .size:           2
        .value_kind:     hidden_remainder_x
      - .offset:         116
        .size:           2
        .value_kind:     hidden_remainder_y
      - .offset:         118
        .size:           2
        .value_kind:     hidden_remainder_z
      - .offset:         136
        .size:           8
        .value_kind:     hidden_global_offset_x
      - .offset:         144
        .size:           8
        .value_kind:     hidden_global_offset_y
      - .offset:         152
        .size:           8
        .value_kind:     hidden_global_offset_z
      - .offset:         160
        .size:           2
        .value_kind:     hidden_grid_dims
    .group_segment_fixed_size: 41480
    .kernarg_segment_align: 8
    .kernarg_segment_size: 352
    .language:       OpenCL C
    .language_version:
      - 2
      - 0
    .max_flat_workgroup_size: 1024
    .name:           _ZL19rocblas_trsv_deviceILi64ELi16ELb0ELb1ELb1ELb0E19rocblas_complex_numIfES1_PKS1_PS1_EviT7_lllT6_T8_lllPii
    .private_segment_fixed_size: 0
    .sgpr_count:     100
    .sgpr_spill_count: 55
    .symbol:         _ZL19rocblas_trsv_deviceILi64ELi16ELb0ELb1ELb1ELb0E19rocblas_complex_numIfES1_PKS1_PS1_EviT7_lllT6_T8_lllPii.kd
    .uniform_work_group_size: 1
    .uses_dynamic_stack: false
    .vgpr_count:     39
    .vgpr_spill_count: 0
    .wavefront_size: 64
  - .args:
      - .offset:         0
        .size:           4
        .value_kind:     by_value
      - .address_space:  global
        .offset:         8
        .size:           8
        .value_kind:     global_buffer
      - .offset:         16
        .size:           8
        .value_kind:     by_value
      - .offset:         24
        .size:           8
        .value_kind:     by_value
      - .offset:         32
        .size:           8
        .value_kind:     by_value
      - .offset:         40
        .size:           8
        .value_kind:     by_value
      - .address_space:  global
        .offset:         48
        .size:           8
        .value_kind:     global_buffer
      - .offset:         56
        .size:           8
        .value_kind:     by_value
      - .offset:         64
        .size:           8
        .value_kind:     by_value
      - .offset:         72
        .size:           8
        .value_kind:     by_value
      - .address_space:  global
        .offset:         80
        .size:           8
        .value_kind:     global_buffer
      - .offset:         88
        .size:           4
        .value_kind:     by_value
      - .offset:         96
        .size:           4
        .value_kind:     hidden_block_count_x
      - .offset:         100
        .size:           4
        .value_kind:     hidden_block_count_y
      - .offset:         104
        .size:           4
        .value_kind:     hidden_block_count_z
      - .offset:         108
        .size:           2
        .value_kind:     hidden_group_size_x
      - .offset:         110
        .size:           2
        .value_kind:     hidden_group_size_y
      - .offset:         112
        .size:           2
        .value_kind:     hidden_group_size_z
      - .offset:         114
        .size:           2
        .value_kind:     hidden_remainder_x
      - .offset:         116
        .size:           2
        .value_kind:     hidden_remainder_y
      - .offset:         118
        .size:           2
        .value_kind:     hidden_remainder_z
      - .offset:         136
        .size:           8
        .value_kind:     hidden_global_offset_x
      - .offset:         144
        .size:           8
        .value_kind:     hidden_global_offset_y
      - .offset:         152
        .size:           8
        .value_kind:     hidden_global_offset_z
      - .offset:         160
        .size:           2
        .value_kind:     hidden_grid_dims
    .group_segment_fixed_size: 41480
    .kernarg_segment_align: 8
    .kernarg_segment_size: 352
    .language:       OpenCL C
    .language_version:
      - 2
      - 0
    .max_flat_workgroup_size: 1024
    .name:           _ZL19rocblas_trsv_deviceILi64ELi16ELb1ELb0ELb0ELb1E19rocblas_complex_numIfES1_PKS1_PS1_EviT7_lllT6_T8_lllPii
    .private_segment_fixed_size: 48
    .sgpr_count:     106
    .sgpr_spill_count: 42
    .symbol:         _ZL19rocblas_trsv_deviceILi64ELi16ELb1ELb0ELb0ELb1E19rocblas_complex_numIfES1_PKS1_PS1_EviT7_lllT6_T8_lllPii.kd
    .uniform_work_group_size: 1
    .uses_dynamic_stack: false
    .vgpr_count:     36
    .vgpr_spill_count: 0
    .wavefront_size: 64
  - .args:
      - .offset:         0
        .size:           4
        .value_kind:     by_value
      - .address_space:  global
        .offset:         8
        .size:           8
        .value_kind:     global_buffer
      - .offset:         16
        .size:           8
        .value_kind:     by_value
      - .offset:         24
        .size:           8
        .value_kind:     by_value
      - .offset:         32
        .size:           8
        .value_kind:     by_value
      - .offset:         40
        .size:           8
        .value_kind:     by_value
      - .address_space:  global
        .offset:         48
        .size:           8
        .value_kind:     global_buffer
      - .offset:         56
        .size:           8
        .value_kind:     by_value
      - .offset:         64
        .size:           8
        .value_kind:     by_value
      - .offset:         72
        .size:           8
        .value_kind:     by_value
      - .address_space:  global
        .offset:         80
        .size:           8
        .value_kind:     global_buffer
      - .offset:         88
        .size:           4
        .value_kind:     by_value
      - .offset:         96
        .size:           4
        .value_kind:     hidden_block_count_x
      - .offset:         100
        .size:           4
        .value_kind:     hidden_block_count_y
      - .offset:         104
        .size:           4
        .value_kind:     hidden_block_count_z
      - .offset:         108
        .size:           2
        .value_kind:     hidden_group_size_x
      - .offset:         110
        .size:           2
        .value_kind:     hidden_group_size_y
      - .offset:         112
        .size:           2
        .value_kind:     hidden_group_size_z
      - .offset:         114
        .size:           2
        .value_kind:     hidden_remainder_x
      - .offset:         116
        .size:           2
        .value_kind:     hidden_remainder_y
      - .offset:         118
        .size:           2
        .value_kind:     hidden_remainder_z
      - .offset:         136
        .size:           8
        .value_kind:     hidden_global_offset_x
      - .offset:         144
        .size:           8
        .value_kind:     hidden_global_offset_y
      - .offset:         152
        .size:           8
        .value_kind:     hidden_global_offset_z
      - .offset:         160
        .size:           2
        .value_kind:     hidden_grid_dims
    .group_segment_fixed_size: 41480
    .kernarg_segment_align: 8
    .kernarg_segment_size: 352
    .language:       OpenCL C
    .language_version:
      - 2
      - 0
    .max_flat_workgroup_size: 1024
    .name:           _ZL19rocblas_trsv_deviceILi64ELi16ELb1ELb1ELb0ELb1E19rocblas_complex_numIfES1_PKS1_PS1_EviT7_lllT6_T8_lllPii
    .private_segment_fixed_size: 48
    .sgpr_count:     106
    .sgpr_spill_count: 56
    .symbol:         _ZL19rocblas_trsv_deviceILi64ELi16ELb1ELb1ELb0ELb1E19rocblas_complex_numIfES1_PKS1_PS1_EviT7_lllT6_T8_lllPii.kd
    .uniform_work_group_size: 1
    .uses_dynamic_stack: false
    .vgpr_count:     35
    .vgpr_spill_count: 0
    .wavefront_size: 64
  - .args:
      - .offset:         0
        .size:           4
        .value_kind:     by_value
      - .address_space:  global
        .offset:         8
        .size:           8
        .value_kind:     global_buffer
      - .offset:         16
        .size:           8
        .value_kind:     by_value
      - .offset:         24
        .size:           8
        .value_kind:     by_value
      - .offset:         32
        .size:           8
        .value_kind:     by_value
      - .offset:         40
        .size:           8
        .value_kind:     by_value
      - .address_space:  global
        .offset:         48
        .size:           8
        .value_kind:     global_buffer
      - .offset:         56
        .size:           8
        .value_kind:     by_value
      - .offset:         64
        .size:           8
        .value_kind:     by_value
      - .offset:         72
        .size:           8
        .value_kind:     by_value
      - .address_space:  global
        .offset:         80
        .size:           8
        .value_kind:     global_buffer
      - .offset:         88
        .size:           4
        .value_kind:     by_value
      - .offset:         96
        .size:           4
        .value_kind:     hidden_block_count_x
      - .offset:         100
        .size:           4
        .value_kind:     hidden_block_count_y
      - .offset:         104
        .size:           4
        .value_kind:     hidden_block_count_z
      - .offset:         108
        .size:           2
        .value_kind:     hidden_group_size_x
      - .offset:         110
        .size:           2
        .value_kind:     hidden_group_size_y
      - .offset:         112
        .size:           2
        .value_kind:     hidden_group_size_z
      - .offset:         114
        .size:           2
        .value_kind:     hidden_remainder_x
      - .offset:         116
        .size:           2
        .value_kind:     hidden_remainder_y
      - .offset:         118
        .size:           2
        .value_kind:     hidden_remainder_z
      - .offset:         136
        .size:           8
        .value_kind:     hidden_global_offset_x
      - .offset:         144
        .size:           8
        .value_kind:     hidden_global_offset_y
      - .offset:         152
        .size:           8
        .value_kind:     hidden_global_offset_z
      - .offset:         160
        .size:           2
        .value_kind:     hidden_grid_dims
    .group_segment_fixed_size: 41480
    .kernarg_segment_align: 8
    .kernarg_segment_size: 352
    .language:       OpenCL C
    .language_version:
      - 2
      - 0
    .max_flat_workgroup_size: 1024
    .name:           _ZL19rocblas_trsv_deviceILi64ELi16ELb1ELb1ELb1ELb1E19rocblas_complex_numIfES1_PKS1_PS1_EviT7_lllT6_T8_lllPii
    .private_segment_fixed_size: 0
    .sgpr_count:     100
    .sgpr_spill_count: 58
    .symbol:         _ZL19rocblas_trsv_deviceILi64ELi16ELb1ELb1ELb1ELb1E19rocblas_complex_numIfES1_PKS1_PS1_EviT7_lllT6_T8_lllPii.kd
    .uniform_work_group_size: 1
    .uses_dynamic_stack: false
    .vgpr_count:     43
    .vgpr_spill_count: 0
    .wavefront_size: 64
  - .args:
      - .offset:         0
        .size:           4
        .value_kind:     by_value
      - .address_space:  global
        .offset:         8
        .size:           8
        .value_kind:     global_buffer
      - .offset:         16
        .size:           8
        .value_kind:     by_value
      - .offset:         24
        .size:           8
        .value_kind:     by_value
      - .offset:         32
        .size:           8
        .value_kind:     by_value
      - .offset:         40
        .size:           8
        .value_kind:     by_value
      - .address_space:  global
        .offset:         48
        .size:           8
        .value_kind:     global_buffer
      - .offset:         56
        .size:           8
        .value_kind:     by_value
      - .offset:         64
        .size:           8
        .value_kind:     by_value
      - .offset:         72
        .size:           8
        .value_kind:     by_value
      - .address_space:  global
        .offset:         80
        .size:           8
        .value_kind:     global_buffer
      - .offset:         88
        .size:           4
        .value_kind:     by_value
      - .offset:         96
        .size:           4
        .value_kind:     hidden_block_count_x
      - .offset:         100
        .size:           4
        .value_kind:     hidden_block_count_y
      - .offset:         104
        .size:           4
        .value_kind:     hidden_block_count_z
      - .offset:         108
        .size:           2
        .value_kind:     hidden_group_size_x
      - .offset:         110
        .size:           2
        .value_kind:     hidden_group_size_y
      - .offset:         112
        .size:           2
        .value_kind:     hidden_group_size_z
      - .offset:         114
        .size:           2
        .value_kind:     hidden_remainder_x
      - .offset:         116
        .size:           2
        .value_kind:     hidden_remainder_y
      - .offset:         118
        .size:           2
        .value_kind:     hidden_remainder_z
      - .offset:         136
        .size:           8
        .value_kind:     hidden_global_offset_x
      - .offset:         144
        .size:           8
        .value_kind:     hidden_global_offset_y
      - .offset:         152
        .size:           8
        .value_kind:     hidden_global_offset_z
      - .offset:         160
        .size:           2
        .value_kind:     hidden_grid_dims
    .group_segment_fixed_size: 41480
    .kernarg_segment_align: 8
    .kernarg_segment_size: 352
    .language:       OpenCL C
    .language_version:
      - 2
      - 0
    .max_flat_workgroup_size: 1024
    .name:           _ZL19rocblas_trsv_deviceILi64ELi16ELb1ELb0ELb0ELb0E19rocblas_complex_numIfES1_PKS1_PS1_EviT7_lllT6_T8_lllPii
    .private_segment_fixed_size: 48
    .sgpr_count:     106
    .sgpr_spill_count: 45
    .symbol:         _ZL19rocblas_trsv_deviceILi64ELi16ELb1ELb0ELb0ELb0E19rocblas_complex_numIfES1_PKS1_PS1_EviT7_lllT6_T8_lllPii.kd
    .uniform_work_group_size: 1
    .uses_dynamic_stack: false
    .vgpr_count:     35
    .vgpr_spill_count: 0
    .wavefront_size: 64
  - .args:
      - .offset:         0
        .size:           4
        .value_kind:     by_value
      - .address_space:  global
        .offset:         8
        .size:           8
        .value_kind:     global_buffer
      - .offset:         16
        .size:           8
        .value_kind:     by_value
      - .offset:         24
        .size:           8
        .value_kind:     by_value
      - .offset:         32
        .size:           8
        .value_kind:     by_value
      - .offset:         40
        .size:           8
        .value_kind:     by_value
      - .address_space:  global
        .offset:         48
        .size:           8
        .value_kind:     global_buffer
      - .offset:         56
        .size:           8
        .value_kind:     by_value
      - .offset:         64
        .size:           8
        .value_kind:     by_value
      - .offset:         72
        .size:           8
        .value_kind:     by_value
      - .address_space:  global
        .offset:         80
        .size:           8
        .value_kind:     global_buffer
      - .offset:         88
        .size:           4
        .value_kind:     by_value
      - .offset:         96
        .size:           4
        .value_kind:     hidden_block_count_x
      - .offset:         100
        .size:           4
        .value_kind:     hidden_block_count_y
      - .offset:         104
        .size:           4
        .value_kind:     hidden_block_count_z
      - .offset:         108
        .size:           2
        .value_kind:     hidden_group_size_x
      - .offset:         110
        .size:           2
        .value_kind:     hidden_group_size_y
      - .offset:         112
        .size:           2
        .value_kind:     hidden_group_size_z
      - .offset:         114
        .size:           2
        .value_kind:     hidden_remainder_x
      - .offset:         116
        .size:           2
        .value_kind:     hidden_remainder_y
      - .offset:         118
        .size:           2
        .value_kind:     hidden_remainder_z
      - .offset:         136
        .size:           8
        .value_kind:     hidden_global_offset_x
      - .offset:         144
        .size:           8
        .value_kind:     hidden_global_offset_y
      - .offset:         152
        .size:           8
        .value_kind:     hidden_global_offset_z
      - .offset:         160
        .size:           2
        .value_kind:     hidden_grid_dims
    .group_segment_fixed_size: 41480
    .kernarg_segment_align: 8
    .kernarg_segment_size: 352
    .language:       OpenCL C
    .language_version:
      - 2
      - 0
    .max_flat_workgroup_size: 1024
    .name:           _ZL19rocblas_trsv_deviceILi64ELi16ELb1ELb1ELb0ELb0E19rocblas_complex_numIfES1_PKS1_PS1_EviT7_lllT6_T8_lllPii
    .private_segment_fixed_size: 48
    .sgpr_count:     106
    .sgpr_spill_count: 57
    .symbol:         _ZL19rocblas_trsv_deviceILi64ELi16ELb1ELb1ELb0ELb0E19rocblas_complex_numIfES1_PKS1_PS1_EviT7_lllT6_T8_lllPii.kd
    .uniform_work_group_size: 1
    .uses_dynamic_stack: false
    .vgpr_count:     35
    .vgpr_spill_count: 0
    .wavefront_size: 64
  - .args:
      - .offset:         0
        .size:           4
        .value_kind:     by_value
      - .address_space:  global
        .offset:         8
        .size:           8
        .value_kind:     global_buffer
      - .offset:         16
        .size:           8
        .value_kind:     by_value
      - .offset:         24
        .size:           8
        .value_kind:     by_value
      - .offset:         32
        .size:           8
        .value_kind:     by_value
      - .offset:         40
        .size:           8
        .value_kind:     by_value
      - .address_space:  global
        .offset:         48
        .size:           8
        .value_kind:     global_buffer
      - .offset:         56
        .size:           8
        .value_kind:     by_value
      - .offset:         64
        .size:           8
        .value_kind:     by_value
      - .offset:         72
        .size:           8
        .value_kind:     by_value
      - .address_space:  global
        .offset:         80
        .size:           8
        .value_kind:     global_buffer
      - .offset:         88
        .size:           4
        .value_kind:     by_value
      - .offset:         96
        .size:           4
        .value_kind:     hidden_block_count_x
      - .offset:         100
        .size:           4
        .value_kind:     hidden_block_count_y
      - .offset:         104
        .size:           4
        .value_kind:     hidden_block_count_z
      - .offset:         108
        .size:           2
        .value_kind:     hidden_group_size_x
      - .offset:         110
        .size:           2
        .value_kind:     hidden_group_size_y
      - .offset:         112
        .size:           2
        .value_kind:     hidden_group_size_z
      - .offset:         114
        .size:           2
        .value_kind:     hidden_remainder_x
      - .offset:         116
        .size:           2
        .value_kind:     hidden_remainder_y
      - .offset:         118
        .size:           2
        .value_kind:     hidden_remainder_z
      - .offset:         136
        .size:           8
        .value_kind:     hidden_global_offset_x
      - .offset:         144
        .size:           8
        .value_kind:     hidden_global_offset_y
      - .offset:         152
        .size:           8
        .value_kind:     hidden_global_offset_z
      - .offset:         160
        .size:           2
        .value_kind:     hidden_grid_dims
    .group_segment_fixed_size: 41480
    .kernarg_segment_align: 8
    .kernarg_segment_size: 352
    .language:       OpenCL C
    .language_version:
      - 2
      - 0
    .max_flat_workgroup_size: 1024
    .name:           _ZL19rocblas_trsv_deviceILi64ELi16ELb1ELb1ELb1ELb0E19rocblas_complex_numIfES1_PKS1_PS1_EviT7_lllT6_T8_lllPii
    .private_segment_fixed_size: 0
    .sgpr_count:     100
    .sgpr_spill_count: 57
    .symbol:         _ZL19rocblas_trsv_deviceILi64ELi16ELb1ELb1ELb1ELb0E19rocblas_complex_numIfES1_PKS1_PS1_EviT7_lllT6_T8_lllPii.kd
    .uniform_work_group_size: 1
    .uses_dynamic_stack: false
    .vgpr_count:     43
    .vgpr_spill_count: 0
    .wavefront_size: 64
  - .args:
      - .offset:         0
        .size:           4
        .value_kind:     by_value
      - .address_space:  global
        .offset:         8
        .size:           8
        .value_kind:     global_buffer
      - .offset:         16
        .size:           8
        .value_kind:     by_value
      - .offset:         24
        .size:           8
        .value_kind:     by_value
      - .offset:         32
        .size:           8
        .value_kind:     by_value
      - .address_space:  global
        .offset:         40
        .size:           8
        .value_kind:     global_buffer
      - .address_space:  global
        .offset:         48
        .size:           8
        .value_kind:     global_buffer
      - .offset:         56
        .size:           8
        .value_kind:     by_value
      - .offset:         64
        .size:           8
        .value_kind:     by_value
      - .offset:         72
        .size:           8
        .value_kind:     by_value
      - .address_space:  global
        .offset:         80
        .size:           8
        .value_kind:     global_buffer
      - .offset:         88
        .size:           4
        .value_kind:     by_value
      - .offset:         96
        .size:           4
        .value_kind:     hidden_block_count_x
      - .offset:         100
        .size:           4
        .value_kind:     hidden_block_count_y
      - .offset:         104
        .size:           4
        .value_kind:     hidden_block_count_z
      - .offset:         108
        .size:           2
        .value_kind:     hidden_group_size_x
      - .offset:         110
        .size:           2
        .value_kind:     hidden_group_size_y
      - .offset:         112
        .size:           2
        .value_kind:     hidden_group_size_z
      - .offset:         114
        .size:           2
        .value_kind:     hidden_remainder_x
      - .offset:         116
        .size:           2
        .value_kind:     hidden_remainder_y
      - .offset:         118
        .size:           2
        .value_kind:     hidden_remainder_z
      - .offset:         136
        .size:           8
        .value_kind:     hidden_global_offset_x
      - .offset:         144
        .size:           8
        .value_kind:     hidden_global_offset_y
      - .offset:         152
        .size:           8
        .value_kind:     hidden_global_offset_z
      - .offset:         160
        .size:           2
        .value_kind:     hidden_grid_dims
    .group_segment_fixed_size: 25104
    .kernarg_segment_align: 8
    .kernarg_segment_size: 352
    .language:       OpenCL C
    .language_version:
      - 2
      - 0
    .max_flat_workgroup_size: 512
    .name:           _ZL19rocblas_trsv_deviceILi32ELi16ELb0ELb0ELb0ELb1E19rocblas_complex_numIdEPKS1_S3_PS1_EviT7_lllT6_T8_lllPii
    .private_segment_fixed_size: 0
    .sgpr_count:     100
    .sgpr_spill_count: 0
    .symbol:         _ZL19rocblas_trsv_deviceILi32ELi16ELb0ELb0ELb0ELb1E19rocblas_complex_numIdEPKS1_S3_PS1_EviT7_lllT6_T8_lllPii.kd
    .uniform_work_group_size: 1
    .uses_dynamic_stack: false
    .vgpr_count:     40
    .vgpr_spill_count: 0
    .wavefront_size: 64
  - .args:
      - .offset:         0
        .size:           4
        .value_kind:     by_value
      - .address_space:  global
        .offset:         8
        .size:           8
        .value_kind:     global_buffer
      - .offset:         16
        .size:           8
        .value_kind:     by_value
      - .offset:         24
        .size:           8
        .value_kind:     by_value
      - .offset:         32
        .size:           8
        .value_kind:     by_value
      - .address_space:  global
        .offset:         40
        .size:           8
        .value_kind:     global_buffer
      - .address_space:  global
        .offset:         48
        .size:           8
        .value_kind:     global_buffer
      - .offset:         56
        .size:           8
        .value_kind:     by_value
      - .offset:         64
        .size:           8
        .value_kind:     by_value
      - .offset:         72
        .size:           8
        .value_kind:     by_value
      - .address_space:  global
        .offset:         80
        .size:           8
        .value_kind:     global_buffer
      - .offset:         88
        .size:           4
        .value_kind:     by_value
      - .offset:         96
        .size:           4
        .value_kind:     hidden_block_count_x
      - .offset:         100
        .size:           4
        .value_kind:     hidden_block_count_y
      - .offset:         104
        .size:           4
        .value_kind:     hidden_block_count_z
      - .offset:         108
        .size:           2
        .value_kind:     hidden_group_size_x
      - .offset:         110
        .size:           2
        .value_kind:     hidden_group_size_y
      - .offset:         112
        .size:           2
        .value_kind:     hidden_group_size_z
      - .offset:         114
        .size:           2
        .value_kind:     hidden_remainder_x
      - .offset:         116
        .size:           2
        .value_kind:     hidden_remainder_y
      - .offset:         118
        .size:           2
        .value_kind:     hidden_remainder_z
      - .offset:         136
        .size:           8
        .value_kind:     hidden_global_offset_x
      - .offset:         144
        .size:           8
        .value_kind:     hidden_global_offset_y
      - .offset:         152
        .size:           8
        .value_kind:     hidden_global_offset_z
      - .offset:         160
        .size:           2
        .value_kind:     hidden_grid_dims
    .group_segment_fixed_size: 25104
    .kernarg_segment_align: 8
    .kernarg_segment_size: 352
    .language:       OpenCL C
    .language_version:
      - 2
      - 0
    .max_flat_workgroup_size: 512
    .name:           _ZL19rocblas_trsv_deviceILi32ELi16ELb0ELb1ELb0ELb1E19rocblas_complex_numIdEPKS1_S3_PS1_EviT7_lllT6_T8_lllPii
    .private_segment_fixed_size: 0
    .sgpr_count:     99
    .sgpr_spill_count: 0
    .symbol:         _ZL19rocblas_trsv_deviceILi32ELi16ELb0ELb1ELb0ELb1E19rocblas_complex_numIdEPKS1_S3_PS1_EviT7_lllT6_T8_lllPii.kd
    .uniform_work_group_size: 1
    .uses_dynamic_stack: false
    .vgpr_count:     41
    .vgpr_spill_count: 0
    .wavefront_size: 64
  - .args:
      - .offset:         0
        .size:           4
        .value_kind:     by_value
      - .address_space:  global
        .offset:         8
        .size:           8
        .value_kind:     global_buffer
      - .offset:         16
        .size:           8
        .value_kind:     by_value
      - .offset:         24
        .size:           8
        .value_kind:     by_value
      - .offset:         32
        .size:           8
        .value_kind:     by_value
      - .address_space:  global
        .offset:         40
        .size:           8
        .value_kind:     global_buffer
      - .address_space:  global
        .offset:         48
        .size:           8
        .value_kind:     global_buffer
      - .offset:         56
        .size:           8
        .value_kind:     by_value
      - .offset:         64
        .size:           8
        .value_kind:     by_value
      - .offset:         72
        .size:           8
        .value_kind:     by_value
      - .address_space:  global
        .offset:         80
        .size:           8
        .value_kind:     global_buffer
      - .offset:         88
        .size:           4
        .value_kind:     by_value
      - .offset:         96
        .size:           4
        .value_kind:     hidden_block_count_x
      - .offset:         100
        .size:           4
        .value_kind:     hidden_block_count_y
      - .offset:         104
        .size:           4
        .value_kind:     hidden_block_count_z
      - .offset:         108
        .size:           2
        .value_kind:     hidden_group_size_x
      - .offset:         110
        .size:           2
        .value_kind:     hidden_group_size_y
      - .offset:         112
        .size:           2
        .value_kind:     hidden_group_size_z
      - .offset:         114
        .size:           2
        .value_kind:     hidden_remainder_x
      - .offset:         116
        .size:           2
        .value_kind:     hidden_remainder_y
      - .offset:         118
        .size:           2
        .value_kind:     hidden_remainder_z
      - .offset:         136
        .size:           8
        .value_kind:     hidden_global_offset_x
      - .offset:         144
        .size:           8
        .value_kind:     hidden_global_offset_y
      - .offset:         152
        .size:           8
        .value_kind:     hidden_global_offset_z
      - .offset:         160
        .size:           2
        .value_kind:     hidden_grid_dims
    .group_segment_fixed_size: 25104
    .kernarg_segment_align: 8
    .kernarg_segment_size: 352
    .language:       OpenCL C
    .language_version:
      - 2
      - 0
    .max_flat_workgroup_size: 512
    .name:           _ZL19rocblas_trsv_deviceILi32ELi16ELb0ELb1ELb1ELb1E19rocblas_complex_numIdEPKS1_S3_PS1_EviT7_lllT6_T8_lllPii
    .private_segment_fixed_size: 0
    .sgpr_count:     99
    .sgpr_spill_count: 0
    .symbol:         _ZL19rocblas_trsv_deviceILi32ELi16ELb0ELb1ELb1ELb1E19rocblas_complex_numIdEPKS1_S3_PS1_EviT7_lllT6_T8_lllPii.kd
    .uniform_work_group_size: 1
    .uses_dynamic_stack: false
    .vgpr_count:     41
    .vgpr_spill_count: 0
    .wavefront_size: 64
  - .args:
      - .offset:         0
        .size:           4
        .value_kind:     by_value
      - .address_space:  global
        .offset:         8
        .size:           8
        .value_kind:     global_buffer
      - .offset:         16
        .size:           8
        .value_kind:     by_value
      - .offset:         24
        .size:           8
        .value_kind:     by_value
      - .offset:         32
        .size:           8
        .value_kind:     by_value
      - .address_space:  global
        .offset:         40
        .size:           8
        .value_kind:     global_buffer
      - .address_space:  global
        .offset:         48
        .size:           8
        .value_kind:     global_buffer
      - .offset:         56
        .size:           8
        .value_kind:     by_value
      - .offset:         64
        .size:           8
        .value_kind:     by_value
      - .offset:         72
        .size:           8
        .value_kind:     by_value
      - .address_space:  global
        .offset:         80
        .size:           8
        .value_kind:     global_buffer
      - .offset:         88
        .size:           4
        .value_kind:     by_value
      - .offset:         96
        .size:           4
        .value_kind:     hidden_block_count_x
      - .offset:         100
        .size:           4
        .value_kind:     hidden_block_count_y
      - .offset:         104
        .size:           4
        .value_kind:     hidden_block_count_z
      - .offset:         108
        .size:           2
        .value_kind:     hidden_group_size_x
      - .offset:         110
        .size:           2
        .value_kind:     hidden_group_size_y
      - .offset:         112
        .size:           2
        .value_kind:     hidden_group_size_z
      - .offset:         114
        .size:           2
        .value_kind:     hidden_remainder_x
      - .offset:         116
        .size:           2
        .value_kind:     hidden_remainder_y
      - .offset:         118
        .size:           2
        .value_kind:     hidden_remainder_z
      - .offset:         136
        .size:           8
        .value_kind:     hidden_global_offset_x
      - .offset:         144
        .size:           8
        .value_kind:     hidden_global_offset_y
      - .offset:         152
        .size:           8
        .value_kind:     hidden_global_offset_z
      - .offset:         160
        .size:           2
        .value_kind:     hidden_grid_dims
    .group_segment_fixed_size: 25104
    .kernarg_segment_align: 8
    .kernarg_segment_size: 352
    .language:       OpenCL C
    .language_version:
      - 2
      - 0
    .max_flat_workgroup_size: 512
    .name:           _ZL19rocblas_trsv_deviceILi32ELi16ELb0ELb0ELb0ELb0E19rocblas_complex_numIdEPKS1_S3_PS1_EviT7_lllT6_T8_lllPii
    .private_segment_fixed_size: 0
    .sgpr_count:     96
    .sgpr_spill_count: 0
    .symbol:         _ZL19rocblas_trsv_deviceILi32ELi16ELb0ELb0ELb0ELb0E19rocblas_complex_numIdEPKS1_S3_PS1_EviT7_lllT6_T8_lllPii.kd
    .uniform_work_group_size: 1
    .uses_dynamic_stack: false
    .vgpr_count:     40
    .vgpr_spill_count: 0
    .wavefront_size: 64
  - .args:
      - .offset:         0
        .size:           4
        .value_kind:     by_value
      - .address_space:  global
        .offset:         8
        .size:           8
        .value_kind:     global_buffer
      - .offset:         16
        .size:           8
        .value_kind:     by_value
      - .offset:         24
        .size:           8
        .value_kind:     by_value
      - .offset:         32
        .size:           8
        .value_kind:     by_value
      - .address_space:  global
        .offset:         40
        .size:           8
        .value_kind:     global_buffer
      - .address_space:  global
        .offset:         48
        .size:           8
        .value_kind:     global_buffer
      - .offset:         56
        .size:           8
        .value_kind:     by_value
      - .offset:         64
        .size:           8
        .value_kind:     by_value
      - .offset:         72
        .size:           8
        .value_kind:     by_value
      - .address_space:  global
        .offset:         80
        .size:           8
        .value_kind:     global_buffer
      - .offset:         88
        .size:           4
        .value_kind:     by_value
      - .offset:         96
        .size:           4
        .value_kind:     hidden_block_count_x
      - .offset:         100
        .size:           4
        .value_kind:     hidden_block_count_y
      - .offset:         104
        .size:           4
        .value_kind:     hidden_block_count_z
      - .offset:         108
        .size:           2
        .value_kind:     hidden_group_size_x
      - .offset:         110
        .size:           2
        .value_kind:     hidden_group_size_y
      - .offset:         112
        .size:           2
        .value_kind:     hidden_group_size_z
      - .offset:         114
        .size:           2
        .value_kind:     hidden_remainder_x
      - .offset:         116
        .size:           2
        .value_kind:     hidden_remainder_y
      - .offset:         118
        .size:           2
        .value_kind:     hidden_remainder_z
      - .offset:         136
        .size:           8
        .value_kind:     hidden_global_offset_x
      - .offset:         144
        .size:           8
        .value_kind:     hidden_global_offset_y
      - .offset:         152
        .size:           8
        .value_kind:     hidden_global_offset_z
      - .offset:         160
        .size:           2
        .value_kind:     hidden_grid_dims
    .group_segment_fixed_size: 25104
    .kernarg_segment_align: 8
    .kernarg_segment_size: 352
    .language:       OpenCL C
    .language_version:
      - 2
      - 0
    .max_flat_workgroup_size: 512
    .name:           _ZL19rocblas_trsv_deviceILi32ELi16ELb0ELb1ELb0ELb0E19rocblas_complex_numIdEPKS1_S3_PS1_EviT7_lllT6_T8_lllPii
    .private_segment_fixed_size: 0
    .sgpr_count:     100
    .sgpr_spill_count: 0
    .symbol:         _ZL19rocblas_trsv_deviceILi32ELi16ELb0ELb1ELb0ELb0E19rocblas_complex_numIdEPKS1_S3_PS1_EviT7_lllT6_T8_lllPii.kd
    .uniform_work_group_size: 1
    .uses_dynamic_stack: false
    .vgpr_count:     40
    .vgpr_spill_count: 0
    .wavefront_size: 64
  - .args:
      - .offset:         0
        .size:           4
        .value_kind:     by_value
      - .address_space:  global
        .offset:         8
        .size:           8
        .value_kind:     global_buffer
      - .offset:         16
        .size:           8
        .value_kind:     by_value
      - .offset:         24
        .size:           8
        .value_kind:     by_value
      - .offset:         32
        .size:           8
        .value_kind:     by_value
      - .address_space:  global
        .offset:         40
        .size:           8
        .value_kind:     global_buffer
      - .address_space:  global
        .offset:         48
        .size:           8
        .value_kind:     global_buffer
      - .offset:         56
        .size:           8
        .value_kind:     by_value
      - .offset:         64
        .size:           8
        .value_kind:     by_value
      - .offset:         72
        .size:           8
        .value_kind:     by_value
      - .address_space:  global
        .offset:         80
        .size:           8
        .value_kind:     global_buffer
      - .offset:         88
        .size:           4
        .value_kind:     by_value
      - .offset:         96
        .size:           4
        .value_kind:     hidden_block_count_x
      - .offset:         100
        .size:           4
        .value_kind:     hidden_block_count_y
      - .offset:         104
        .size:           4
        .value_kind:     hidden_block_count_z
      - .offset:         108
        .size:           2
        .value_kind:     hidden_group_size_x
      - .offset:         110
        .size:           2
        .value_kind:     hidden_group_size_y
      - .offset:         112
        .size:           2
        .value_kind:     hidden_group_size_z
      - .offset:         114
        .size:           2
        .value_kind:     hidden_remainder_x
      - .offset:         116
        .size:           2
        .value_kind:     hidden_remainder_y
      - .offset:         118
        .size:           2
        .value_kind:     hidden_remainder_z
      - .offset:         136
        .size:           8
        .value_kind:     hidden_global_offset_x
      - .offset:         144
        .size:           8
        .value_kind:     hidden_global_offset_y
      - .offset:         152
        .size:           8
        .value_kind:     hidden_global_offset_z
      - .offset:         160
        .size:           2
        .value_kind:     hidden_grid_dims
    .group_segment_fixed_size: 25104
    .kernarg_segment_align: 8
    .kernarg_segment_size: 352
    .language:       OpenCL C
    .language_version:
      - 2
      - 0
    .max_flat_workgroup_size: 512
    .name:           _ZL19rocblas_trsv_deviceILi32ELi16ELb0ELb1ELb1ELb0E19rocblas_complex_numIdEPKS1_S3_PS1_EviT7_lllT6_T8_lllPii
    .private_segment_fixed_size: 0
    .sgpr_count:     100
    .sgpr_spill_count: 0
    .symbol:         _ZL19rocblas_trsv_deviceILi32ELi16ELb0ELb1ELb1ELb0E19rocblas_complex_numIdEPKS1_S3_PS1_EviT7_lllT6_T8_lllPii.kd
    .uniform_work_group_size: 1
    .uses_dynamic_stack: false
    .vgpr_count:     40
    .vgpr_spill_count: 0
    .wavefront_size: 64
  - .args:
      - .offset:         0
        .size:           4
        .value_kind:     by_value
      - .address_space:  global
        .offset:         8
        .size:           8
        .value_kind:     global_buffer
      - .offset:         16
        .size:           8
        .value_kind:     by_value
      - .offset:         24
        .size:           8
        .value_kind:     by_value
      - .offset:         32
        .size:           8
        .value_kind:     by_value
      - .address_space:  global
        .offset:         40
        .size:           8
        .value_kind:     global_buffer
      - .address_space:  global
        .offset:         48
        .size:           8
        .value_kind:     global_buffer
      - .offset:         56
        .size:           8
        .value_kind:     by_value
      - .offset:         64
        .size:           8
        .value_kind:     by_value
      - .offset:         72
        .size:           8
        .value_kind:     by_value
      - .address_space:  global
        .offset:         80
        .size:           8
        .value_kind:     global_buffer
      - .offset:         88
        .size:           4
        .value_kind:     by_value
      - .offset:         96
        .size:           4
        .value_kind:     hidden_block_count_x
      - .offset:         100
        .size:           4
        .value_kind:     hidden_block_count_y
      - .offset:         104
        .size:           4
        .value_kind:     hidden_block_count_z
      - .offset:         108
        .size:           2
        .value_kind:     hidden_group_size_x
      - .offset:         110
        .size:           2
        .value_kind:     hidden_group_size_y
      - .offset:         112
        .size:           2
        .value_kind:     hidden_group_size_z
      - .offset:         114
        .size:           2
        .value_kind:     hidden_remainder_x
      - .offset:         116
        .size:           2
        .value_kind:     hidden_remainder_y
      - .offset:         118
        .size:           2
        .value_kind:     hidden_remainder_z
      - .offset:         136
        .size:           8
        .value_kind:     hidden_global_offset_x
      - .offset:         144
        .size:           8
        .value_kind:     hidden_global_offset_y
      - .offset:         152
        .size:           8
        .value_kind:     hidden_global_offset_z
      - .offset:         160
        .size:           2
        .value_kind:     hidden_grid_dims
    .group_segment_fixed_size: 25104
    .kernarg_segment_align: 8
    .kernarg_segment_size: 352
    .language:       OpenCL C
    .language_version:
      - 2
      - 0
    .max_flat_workgroup_size: 512
    .name:           _ZL19rocblas_trsv_deviceILi32ELi16ELb1ELb0ELb0ELb1E19rocblas_complex_numIdEPKS1_S3_PS1_EviT7_lllT6_T8_lllPii
    .private_segment_fixed_size: 0
    .sgpr_count:     91
    .sgpr_spill_count: 0
    .symbol:         _ZL19rocblas_trsv_deviceILi32ELi16ELb1ELb0ELb0ELb1E19rocblas_complex_numIdEPKS1_S3_PS1_EviT7_lllT6_T8_lllPii.kd
    .uniform_work_group_size: 1
    .uses_dynamic_stack: false
    .vgpr_count:     44
    .vgpr_spill_count: 0
    .wavefront_size: 64
  - .args:
      - .offset:         0
        .size:           4
        .value_kind:     by_value
      - .address_space:  global
        .offset:         8
        .size:           8
        .value_kind:     global_buffer
      - .offset:         16
        .size:           8
        .value_kind:     by_value
      - .offset:         24
        .size:           8
        .value_kind:     by_value
      - .offset:         32
        .size:           8
        .value_kind:     by_value
      - .address_space:  global
        .offset:         40
        .size:           8
        .value_kind:     global_buffer
      - .address_space:  global
        .offset:         48
        .size:           8
        .value_kind:     global_buffer
      - .offset:         56
        .size:           8
        .value_kind:     by_value
      - .offset:         64
        .size:           8
        .value_kind:     by_value
      - .offset:         72
        .size:           8
        .value_kind:     by_value
      - .address_space:  global
        .offset:         80
        .size:           8
        .value_kind:     global_buffer
      - .offset:         88
        .size:           4
        .value_kind:     by_value
      - .offset:         96
        .size:           4
        .value_kind:     hidden_block_count_x
      - .offset:         100
        .size:           4
        .value_kind:     hidden_block_count_y
      - .offset:         104
        .size:           4
        .value_kind:     hidden_block_count_z
      - .offset:         108
        .size:           2
        .value_kind:     hidden_group_size_x
      - .offset:         110
        .size:           2
        .value_kind:     hidden_group_size_y
      - .offset:         112
        .size:           2
        .value_kind:     hidden_group_size_z
      - .offset:         114
        .size:           2
        .value_kind:     hidden_remainder_x
      - .offset:         116
        .size:           2
        .value_kind:     hidden_remainder_y
      - .offset:         118
        .size:           2
        .value_kind:     hidden_remainder_z
      - .offset:         136
        .size:           8
        .value_kind:     hidden_global_offset_x
      - .offset:         144
        .size:           8
        .value_kind:     hidden_global_offset_y
      - .offset:         152
        .size:           8
        .value_kind:     hidden_global_offset_z
      - .offset:         160
        .size:           2
        .value_kind:     hidden_grid_dims
    .group_segment_fixed_size: 25104
    .kernarg_segment_align: 8
    .kernarg_segment_size: 352
    .language:       OpenCL C
    .language_version:
      - 2
      - 0
    .max_flat_workgroup_size: 512
    .name:           _ZL19rocblas_trsv_deviceILi32ELi16ELb1ELb1ELb0ELb1E19rocblas_complex_numIdEPKS1_S3_PS1_EviT7_lllT6_T8_lllPii
    .private_segment_fixed_size: 0
    .sgpr_count:     100
    .sgpr_spill_count: 6
    .symbol:         _ZL19rocblas_trsv_deviceILi32ELi16ELb1ELb1ELb0ELb1E19rocblas_complex_numIdEPKS1_S3_PS1_EviT7_lllT6_T8_lllPii.kd
    .uniform_work_group_size: 1
    .uses_dynamic_stack: false
    .vgpr_count:     44
    .vgpr_spill_count: 0
    .wavefront_size: 64
  - .args:
      - .offset:         0
        .size:           4
        .value_kind:     by_value
      - .address_space:  global
        .offset:         8
        .size:           8
        .value_kind:     global_buffer
      - .offset:         16
        .size:           8
        .value_kind:     by_value
      - .offset:         24
        .size:           8
        .value_kind:     by_value
      - .offset:         32
        .size:           8
        .value_kind:     by_value
      - .address_space:  global
        .offset:         40
        .size:           8
        .value_kind:     global_buffer
      - .address_space:  global
        .offset:         48
        .size:           8
        .value_kind:     global_buffer
      - .offset:         56
        .size:           8
        .value_kind:     by_value
      - .offset:         64
        .size:           8
        .value_kind:     by_value
      - .offset:         72
        .size:           8
        .value_kind:     by_value
      - .address_space:  global
        .offset:         80
        .size:           8
        .value_kind:     global_buffer
      - .offset:         88
        .size:           4
        .value_kind:     by_value
      - .offset:         96
        .size:           4
        .value_kind:     hidden_block_count_x
      - .offset:         100
        .size:           4
        .value_kind:     hidden_block_count_y
      - .offset:         104
        .size:           4
        .value_kind:     hidden_block_count_z
      - .offset:         108
        .size:           2
        .value_kind:     hidden_group_size_x
      - .offset:         110
        .size:           2
        .value_kind:     hidden_group_size_y
      - .offset:         112
        .size:           2
        .value_kind:     hidden_group_size_z
      - .offset:         114
        .size:           2
        .value_kind:     hidden_remainder_x
      - .offset:         116
        .size:           2
        .value_kind:     hidden_remainder_y
      - .offset:         118
        .size:           2
        .value_kind:     hidden_remainder_z
      - .offset:         136
        .size:           8
        .value_kind:     hidden_global_offset_x
      - .offset:         144
        .size:           8
        .value_kind:     hidden_global_offset_y
      - .offset:         152
        .size:           8
        .value_kind:     hidden_global_offset_z
      - .offset:         160
        .size:           2
        .value_kind:     hidden_grid_dims
    .group_segment_fixed_size: 25104
    .kernarg_segment_align: 8
    .kernarg_segment_size: 352
    .language:       OpenCL C
    .language_version:
      - 2
      - 0
    .max_flat_workgroup_size: 512
    .name:           _ZL19rocblas_trsv_deviceILi32ELi16ELb1ELb1ELb1ELb1E19rocblas_complex_numIdEPKS1_S3_PS1_EviT7_lllT6_T8_lllPii
    .private_segment_fixed_size: 0
    .sgpr_count:     100
    .sgpr_spill_count: 6
    .symbol:         _ZL19rocblas_trsv_deviceILi32ELi16ELb1ELb1ELb1ELb1E19rocblas_complex_numIdEPKS1_S3_PS1_EviT7_lllT6_T8_lllPii.kd
    .uniform_work_group_size: 1
    .uses_dynamic_stack: false
    .vgpr_count:     44
    .vgpr_spill_count: 0
    .wavefront_size: 64
  - .args:
      - .offset:         0
        .size:           4
        .value_kind:     by_value
      - .address_space:  global
        .offset:         8
        .size:           8
        .value_kind:     global_buffer
      - .offset:         16
        .size:           8
        .value_kind:     by_value
      - .offset:         24
        .size:           8
        .value_kind:     by_value
      - .offset:         32
        .size:           8
        .value_kind:     by_value
      - .address_space:  global
        .offset:         40
        .size:           8
        .value_kind:     global_buffer
      - .address_space:  global
        .offset:         48
        .size:           8
        .value_kind:     global_buffer
      - .offset:         56
        .size:           8
        .value_kind:     by_value
      - .offset:         64
        .size:           8
        .value_kind:     by_value
      - .offset:         72
        .size:           8
        .value_kind:     by_value
      - .address_space:  global
        .offset:         80
        .size:           8
        .value_kind:     global_buffer
      - .offset:         88
        .size:           4
        .value_kind:     by_value
      - .offset:         96
        .size:           4
        .value_kind:     hidden_block_count_x
      - .offset:         100
        .size:           4
        .value_kind:     hidden_block_count_y
      - .offset:         104
        .size:           4
        .value_kind:     hidden_block_count_z
      - .offset:         108
        .size:           2
        .value_kind:     hidden_group_size_x
      - .offset:         110
        .size:           2
        .value_kind:     hidden_group_size_y
      - .offset:         112
        .size:           2
        .value_kind:     hidden_group_size_z
      - .offset:         114
        .size:           2
        .value_kind:     hidden_remainder_x
      - .offset:         116
        .size:           2
        .value_kind:     hidden_remainder_y
      - .offset:         118
        .size:           2
        .value_kind:     hidden_remainder_z
      - .offset:         136
        .size:           8
        .value_kind:     hidden_global_offset_x
      - .offset:         144
        .size:           8
        .value_kind:     hidden_global_offset_y
      - .offset:         152
        .size:           8
        .value_kind:     hidden_global_offset_z
      - .offset:         160
        .size:           2
        .value_kind:     hidden_grid_dims
    .group_segment_fixed_size: 25104
    .kernarg_segment_align: 8
    .kernarg_segment_size: 352
    .language:       OpenCL C
    .language_version:
      - 2
      - 0
    .max_flat_workgroup_size: 512
    .name:           _ZL19rocblas_trsv_deviceILi32ELi16ELb1ELb0ELb0ELb0E19rocblas_complex_numIdEPKS1_S3_PS1_EviT7_lllT6_T8_lllPii
    .private_segment_fixed_size: 0
    .sgpr_count:     93
    .sgpr_spill_count: 0
    .symbol:         _ZL19rocblas_trsv_deviceILi32ELi16ELb1ELb0ELb0ELb0E19rocblas_complex_numIdEPKS1_S3_PS1_EviT7_lllT6_T8_lllPii.kd
    .uniform_work_group_size: 1
    .uses_dynamic_stack: false
    .vgpr_count:     43
    .vgpr_spill_count: 0
    .wavefront_size: 64
  - .args:
      - .offset:         0
        .size:           4
        .value_kind:     by_value
      - .address_space:  global
        .offset:         8
        .size:           8
        .value_kind:     global_buffer
      - .offset:         16
        .size:           8
        .value_kind:     by_value
      - .offset:         24
        .size:           8
        .value_kind:     by_value
      - .offset:         32
        .size:           8
        .value_kind:     by_value
      - .address_space:  global
        .offset:         40
        .size:           8
        .value_kind:     global_buffer
      - .address_space:  global
        .offset:         48
        .size:           8
        .value_kind:     global_buffer
      - .offset:         56
        .size:           8
        .value_kind:     by_value
      - .offset:         64
        .size:           8
        .value_kind:     by_value
      - .offset:         72
        .size:           8
        .value_kind:     by_value
      - .address_space:  global
        .offset:         80
        .size:           8
        .value_kind:     global_buffer
      - .offset:         88
        .size:           4
        .value_kind:     by_value
      - .offset:         96
        .size:           4
        .value_kind:     hidden_block_count_x
      - .offset:         100
        .size:           4
        .value_kind:     hidden_block_count_y
      - .offset:         104
        .size:           4
        .value_kind:     hidden_block_count_z
      - .offset:         108
        .size:           2
        .value_kind:     hidden_group_size_x
      - .offset:         110
        .size:           2
        .value_kind:     hidden_group_size_y
      - .offset:         112
        .size:           2
        .value_kind:     hidden_group_size_z
      - .offset:         114
        .size:           2
        .value_kind:     hidden_remainder_x
      - .offset:         116
        .size:           2
        .value_kind:     hidden_remainder_y
      - .offset:         118
        .size:           2
        .value_kind:     hidden_remainder_z
      - .offset:         136
        .size:           8
        .value_kind:     hidden_global_offset_x
      - .offset:         144
        .size:           8
        .value_kind:     hidden_global_offset_y
      - .offset:         152
        .size:           8
        .value_kind:     hidden_global_offset_z
      - .offset:         160
        .size:           2
        .value_kind:     hidden_grid_dims
    .group_segment_fixed_size: 25104
    .kernarg_segment_align: 8
    .kernarg_segment_size: 352
    .language:       OpenCL C
    .language_version:
      - 2
      - 0
    .max_flat_workgroup_size: 512
    .name:           _ZL19rocblas_trsv_deviceILi32ELi16ELb1ELb1ELb0ELb0E19rocblas_complex_numIdEPKS1_S3_PS1_EviT7_lllT6_T8_lllPii
    .private_segment_fixed_size: 0
    .sgpr_count:     100
    .sgpr_spill_count: 3
    .symbol:         _ZL19rocblas_trsv_deviceILi32ELi16ELb1ELb1ELb0ELb0E19rocblas_complex_numIdEPKS1_S3_PS1_EviT7_lllT6_T8_lllPii.kd
    .uniform_work_group_size: 1
    .uses_dynamic_stack: false
    .vgpr_count:     44
    .vgpr_spill_count: 0
    .wavefront_size: 64
  - .args:
      - .offset:         0
        .size:           4
        .value_kind:     by_value
      - .address_space:  global
        .offset:         8
        .size:           8
        .value_kind:     global_buffer
      - .offset:         16
        .size:           8
        .value_kind:     by_value
      - .offset:         24
        .size:           8
        .value_kind:     by_value
      - .offset:         32
        .size:           8
        .value_kind:     by_value
      - .address_space:  global
        .offset:         40
        .size:           8
        .value_kind:     global_buffer
      - .address_space:  global
        .offset:         48
        .size:           8
        .value_kind:     global_buffer
      - .offset:         56
        .size:           8
        .value_kind:     by_value
      - .offset:         64
        .size:           8
        .value_kind:     by_value
      - .offset:         72
        .size:           8
        .value_kind:     by_value
      - .address_space:  global
        .offset:         80
        .size:           8
        .value_kind:     global_buffer
      - .offset:         88
        .size:           4
        .value_kind:     by_value
      - .offset:         96
        .size:           4
        .value_kind:     hidden_block_count_x
      - .offset:         100
        .size:           4
        .value_kind:     hidden_block_count_y
      - .offset:         104
        .size:           4
        .value_kind:     hidden_block_count_z
      - .offset:         108
        .size:           2
        .value_kind:     hidden_group_size_x
      - .offset:         110
        .size:           2
        .value_kind:     hidden_group_size_y
      - .offset:         112
        .size:           2
        .value_kind:     hidden_group_size_z
      - .offset:         114
        .size:           2
        .value_kind:     hidden_remainder_x
      - .offset:         116
        .size:           2
        .value_kind:     hidden_remainder_y
      - .offset:         118
        .size:           2
        .value_kind:     hidden_remainder_z
      - .offset:         136
        .size:           8
        .value_kind:     hidden_global_offset_x
      - .offset:         144
        .size:           8
        .value_kind:     hidden_global_offset_y
      - .offset:         152
        .size:           8
        .value_kind:     hidden_global_offset_z
      - .offset:         160
        .size:           2
        .value_kind:     hidden_grid_dims
    .group_segment_fixed_size: 25104
    .kernarg_segment_align: 8
    .kernarg_segment_size: 352
    .language:       OpenCL C
    .language_version:
      - 2
      - 0
    .max_flat_workgroup_size: 512
    .name:           _ZL19rocblas_trsv_deviceILi32ELi16ELb1ELb1ELb1ELb0E19rocblas_complex_numIdEPKS1_S3_PS1_EviT7_lllT6_T8_lllPii
    .private_segment_fixed_size: 0
    .sgpr_count:     100
    .sgpr_spill_count: 3
    .symbol:         _ZL19rocblas_trsv_deviceILi32ELi16ELb1ELb1ELb1ELb0E19rocblas_complex_numIdEPKS1_S3_PS1_EviT7_lllT6_T8_lllPii.kd
    .uniform_work_group_size: 1
    .uses_dynamic_stack: false
    .vgpr_count:     44
    .vgpr_spill_count: 0
    .wavefront_size: 64
  - .args:
      - .offset:         0
        .size:           4
        .value_kind:     by_value
      - .address_space:  global
        .offset:         8
        .size:           8
        .value_kind:     global_buffer
      - .offset:         16
        .size:           8
        .value_kind:     by_value
      - .offset:         24
        .size:           8
        .value_kind:     by_value
      - .offset:         32
        .size:           8
        .value_kind:     by_value
      - .offset:         40
        .size:           16
        .value_kind:     by_value
      - .address_space:  global
        .offset:         56
        .size:           8
        .value_kind:     global_buffer
      - .offset:         64
        .size:           8
        .value_kind:     by_value
      - .offset:         72
        .size:           8
        .value_kind:     by_value
      - .offset:         80
        .size:           8
        .value_kind:     by_value
      - .address_space:  global
        .offset:         88
        .size:           8
        .value_kind:     global_buffer
      - .offset:         96
        .size:           4
        .value_kind:     by_value
      - .offset:         104
        .size:           4
        .value_kind:     hidden_block_count_x
      - .offset:         108
        .size:           4
        .value_kind:     hidden_block_count_y
      - .offset:         112
        .size:           4
        .value_kind:     hidden_block_count_z
      - .offset:         116
        .size:           2
        .value_kind:     hidden_group_size_x
      - .offset:         118
        .size:           2
        .value_kind:     hidden_group_size_y
      - .offset:         120
        .size:           2
        .value_kind:     hidden_group_size_z
      - .offset:         122
        .size:           2
        .value_kind:     hidden_remainder_x
      - .offset:         124
        .size:           2
        .value_kind:     hidden_remainder_y
      - .offset:         126
        .size:           2
        .value_kind:     hidden_remainder_z
      - .offset:         144
        .size:           8
        .value_kind:     hidden_global_offset_x
      - .offset:         152
        .size:           8
        .value_kind:     hidden_global_offset_y
      - .offset:         160
        .size:           8
        .value_kind:     hidden_global_offset_z
      - .offset:         168
        .size:           2
        .value_kind:     hidden_grid_dims
    .group_segment_fixed_size: 25104
    .kernarg_segment_align: 8
    .kernarg_segment_size: 360
    .language:       OpenCL C
    .language_version:
      - 2
      - 0
    .max_flat_workgroup_size: 512
    .name:           _ZL19rocblas_trsv_deviceILi32ELi16ELb0ELb0ELb0ELb1E19rocblas_complex_numIdES1_PKS1_PS1_EviT7_lllT6_T8_lllPii
    .private_segment_fixed_size: 0
    .sgpr_count:     92
    .sgpr_spill_count: 0
    .symbol:         _ZL19rocblas_trsv_deviceILi32ELi16ELb0ELb0ELb0ELb1E19rocblas_complex_numIdES1_PKS1_PS1_EviT7_lllT6_T8_lllPii.kd
    .uniform_work_group_size: 1
    .uses_dynamic_stack: false
    .vgpr_count:     40
    .vgpr_spill_count: 0
    .wavefront_size: 64
  - .args:
      - .offset:         0
        .size:           4
        .value_kind:     by_value
      - .address_space:  global
        .offset:         8
        .size:           8
        .value_kind:     global_buffer
      - .offset:         16
        .size:           8
        .value_kind:     by_value
      - .offset:         24
        .size:           8
        .value_kind:     by_value
      - .offset:         32
        .size:           8
        .value_kind:     by_value
      - .offset:         40
        .size:           16
        .value_kind:     by_value
      - .address_space:  global
        .offset:         56
        .size:           8
        .value_kind:     global_buffer
      - .offset:         64
        .size:           8
        .value_kind:     by_value
      - .offset:         72
        .size:           8
        .value_kind:     by_value
      - .offset:         80
        .size:           8
        .value_kind:     by_value
      - .address_space:  global
        .offset:         88
        .size:           8
        .value_kind:     global_buffer
      - .offset:         96
        .size:           4
        .value_kind:     by_value
      - .offset:         104
        .size:           4
        .value_kind:     hidden_block_count_x
      - .offset:         108
        .size:           4
        .value_kind:     hidden_block_count_y
      - .offset:         112
        .size:           4
        .value_kind:     hidden_block_count_z
      - .offset:         116
        .size:           2
        .value_kind:     hidden_group_size_x
      - .offset:         118
        .size:           2
        .value_kind:     hidden_group_size_y
      - .offset:         120
        .size:           2
        .value_kind:     hidden_group_size_z
      - .offset:         122
        .size:           2
        .value_kind:     hidden_remainder_x
      - .offset:         124
        .size:           2
        .value_kind:     hidden_remainder_y
      - .offset:         126
        .size:           2
        .value_kind:     hidden_remainder_z
      - .offset:         144
        .size:           8
        .value_kind:     hidden_global_offset_x
      - .offset:         152
        .size:           8
        .value_kind:     hidden_global_offset_y
      - .offset:         160
        .size:           8
        .value_kind:     hidden_global_offset_z
      - .offset:         168
        .size:           2
        .value_kind:     hidden_grid_dims
    .group_segment_fixed_size: 25104
    .kernarg_segment_align: 8
    .kernarg_segment_size: 360
    .language:       OpenCL C
    .language_version:
      - 2
      - 0
    .max_flat_workgroup_size: 512
    .name:           _ZL19rocblas_trsv_deviceILi32ELi16ELb0ELb1ELb0ELb1E19rocblas_complex_numIdES1_PKS1_PS1_EviT7_lllT6_T8_lllPii
    .private_segment_fixed_size: 0
    .sgpr_count:     100
    .sgpr_spill_count: 0
    .symbol:         _ZL19rocblas_trsv_deviceILi32ELi16ELb0ELb1ELb0ELb1E19rocblas_complex_numIdES1_PKS1_PS1_EviT7_lllT6_T8_lllPii.kd
    .uniform_work_group_size: 1
    .uses_dynamic_stack: false
    .vgpr_count:     41
    .vgpr_spill_count: 0
    .wavefront_size: 64
  - .args:
      - .offset:         0
        .size:           4
        .value_kind:     by_value
      - .address_space:  global
        .offset:         8
        .size:           8
        .value_kind:     global_buffer
      - .offset:         16
        .size:           8
        .value_kind:     by_value
      - .offset:         24
        .size:           8
        .value_kind:     by_value
      - .offset:         32
        .size:           8
        .value_kind:     by_value
      - .offset:         40
        .size:           16
        .value_kind:     by_value
      - .address_space:  global
        .offset:         56
        .size:           8
        .value_kind:     global_buffer
      - .offset:         64
        .size:           8
        .value_kind:     by_value
      - .offset:         72
        .size:           8
        .value_kind:     by_value
      - .offset:         80
        .size:           8
        .value_kind:     by_value
      - .address_space:  global
        .offset:         88
        .size:           8
        .value_kind:     global_buffer
      - .offset:         96
        .size:           4
        .value_kind:     by_value
      - .offset:         104
        .size:           4
        .value_kind:     hidden_block_count_x
      - .offset:         108
        .size:           4
        .value_kind:     hidden_block_count_y
      - .offset:         112
        .size:           4
        .value_kind:     hidden_block_count_z
      - .offset:         116
        .size:           2
        .value_kind:     hidden_group_size_x
      - .offset:         118
        .size:           2
        .value_kind:     hidden_group_size_y
      - .offset:         120
        .size:           2
        .value_kind:     hidden_group_size_z
      - .offset:         122
        .size:           2
        .value_kind:     hidden_remainder_x
      - .offset:         124
        .size:           2
        .value_kind:     hidden_remainder_y
      - .offset:         126
        .size:           2
        .value_kind:     hidden_remainder_z
      - .offset:         144
        .size:           8
        .value_kind:     hidden_global_offset_x
      - .offset:         152
        .size:           8
        .value_kind:     hidden_global_offset_y
      - .offset:         160
        .size:           8
        .value_kind:     hidden_global_offset_z
      - .offset:         168
        .size:           2
        .value_kind:     hidden_grid_dims
    .group_segment_fixed_size: 25104
    .kernarg_segment_align: 8
    .kernarg_segment_size: 360
    .language:       OpenCL C
    .language_version:
      - 2
      - 0
    .max_flat_workgroup_size: 512
    .name:           _ZL19rocblas_trsv_deviceILi32ELi16ELb0ELb1ELb1ELb1E19rocblas_complex_numIdES1_PKS1_PS1_EviT7_lllT6_T8_lllPii
    .private_segment_fixed_size: 0
    .sgpr_count:     100
    .sgpr_spill_count: 0
    .symbol:         _ZL19rocblas_trsv_deviceILi32ELi16ELb0ELb1ELb1ELb1E19rocblas_complex_numIdES1_PKS1_PS1_EviT7_lllT6_T8_lllPii.kd
    .uniform_work_group_size: 1
    .uses_dynamic_stack: false
    .vgpr_count:     41
    .vgpr_spill_count: 0
    .wavefront_size: 64
  - .args:
      - .offset:         0
        .size:           4
        .value_kind:     by_value
      - .address_space:  global
        .offset:         8
        .size:           8
        .value_kind:     global_buffer
      - .offset:         16
        .size:           8
        .value_kind:     by_value
      - .offset:         24
        .size:           8
        .value_kind:     by_value
      - .offset:         32
        .size:           8
        .value_kind:     by_value
      - .offset:         40
        .size:           16
        .value_kind:     by_value
      - .address_space:  global
        .offset:         56
        .size:           8
        .value_kind:     global_buffer
      - .offset:         64
        .size:           8
        .value_kind:     by_value
      - .offset:         72
        .size:           8
        .value_kind:     by_value
      - .offset:         80
        .size:           8
        .value_kind:     by_value
      - .address_space:  global
        .offset:         88
        .size:           8
        .value_kind:     global_buffer
      - .offset:         96
        .size:           4
        .value_kind:     by_value
      - .offset:         104
        .size:           4
        .value_kind:     hidden_block_count_x
      - .offset:         108
        .size:           4
        .value_kind:     hidden_block_count_y
      - .offset:         112
        .size:           4
        .value_kind:     hidden_block_count_z
      - .offset:         116
        .size:           2
        .value_kind:     hidden_group_size_x
      - .offset:         118
        .size:           2
        .value_kind:     hidden_group_size_y
      - .offset:         120
        .size:           2
        .value_kind:     hidden_group_size_z
      - .offset:         122
        .size:           2
        .value_kind:     hidden_remainder_x
      - .offset:         124
        .size:           2
        .value_kind:     hidden_remainder_y
      - .offset:         126
        .size:           2
        .value_kind:     hidden_remainder_z
      - .offset:         144
        .size:           8
        .value_kind:     hidden_global_offset_x
      - .offset:         152
        .size:           8
        .value_kind:     hidden_global_offset_y
      - .offset:         160
        .size:           8
        .value_kind:     hidden_global_offset_z
      - .offset:         168
        .size:           2
        .value_kind:     hidden_grid_dims
    .group_segment_fixed_size: 25104
    .kernarg_segment_align: 8
    .kernarg_segment_size: 360
    .language:       OpenCL C
    .language_version:
      - 2
      - 0
    .max_flat_workgroup_size: 512
    .name:           _ZL19rocblas_trsv_deviceILi32ELi16ELb0ELb0ELb0ELb0E19rocblas_complex_numIdES1_PKS1_PS1_EviT7_lllT6_T8_lllPii
    .private_segment_fixed_size: 0
    .sgpr_count:     94
    .sgpr_spill_count: 0
    .symbol:         _ZL19rocblas_trsv_deviceILi32ELi16ELb0ELb0ELb0ELb0E19rocblas_complex_numIdES1_PKS1_PS1_EviT7_lllT6_T8_lllPii.kd
    .uniform_work_group_size: 1
    .uses_dynamic_stack: false
    .vgpr_count:     40
    .vgpr_spill_count: 0
    .wavefront_size: 64
  - .args:
      - .offset:         0
        .size:           4
        .value_kind:     by_value
      - .address_space:  global
        .offset:         8
        .size:           8
        .value_kind:     global_buffer
      - .offset:         16
        .size:           8
        .value_kind:     by_value
      - .offset:         24
        .size:           8
        .value_kind:     by_value
      - .offset:         32
        .size:           8
        .value_kind:     by_value
      - .offset:         40
        .size:           16
        .value_kind:     by_value
      - .address_space:  global
        .offset:         56
        .size:           8
        .value_kind:     global_buffer
      - .offset:         64
        .size:           8
        .value_kind:     by_value
      - .offset:         72
        .size:           8
        .value_kind:     by_value
      - .offset:         80
        .size:           8
        .value_kind:     by_value
      - .address_space:  global
        .offset:         88
        .size:           8
        .value_kind:     global_buffer
      - .offset:         96
        .size:           4
        .value_kind:     by_value
      - .offset:         104
        .size:           4
        .value_kind:     hidden_block_count_x
      - .offset:         108
        .size:           4
        .value_kind:     hidden_block_count_y
      - .offset:         112
        .size:           4
        .value_kind:     hidden_block_count_z
      - .offset:         116
        .size:           2
        .value_kind:     hidden_group_size_x
      - .offset:         118
        .size:           2
        .value_kind:     hidden_group_size_y
      - .offset:         120
        .size:           2
        .value_kind:     hidden_group_size_z
      - .offset:         122
        .size:           2
        .value_kind:     hidden_remainder_x
      - .offset:         124
        .size:           2
        .value_kind:     hidden_remainder_y
      - .offset:         126
        .size:           2
        .value_kind:     hidden_remainder_z
      - .offset:         144
        .size:           8
        .value_kind:     hidden_global_offset_x
      - .offset:         152
        .size:           8
        .value_kind:     hidden_global_offset_y
      - .offset:         160
        .size:           8
        .value_kind:     hidden_global_offset_z
      - .offset:         168
        .size:           2
        .value_kind:     hidden_grid_dims
    .group_segment_fixed_size: 25104
    .kernarg_segment_align: 8
    .kernarg_segment_size: 360
    .language:       OpenCL C
    .language_version:
      - 2
      - 0
    .max_flat_workgroup_size: 512
    .name:           _ZL19rocblas_trsv_deviceILi32ELi16ELb0ELb1ELb0ELb0E19rocblas_complex_numIdES1_PKS1_PS1_EviT7_lllT6_T8_lllPii
    .private_segment_fixed_size: 0
    .sgpr_count:     99
    .sgpr_spill_count: 0
    .symbol:         _ZL19rocblas_trsv_deviceILi32ELi16ELb0ELb1ELb0ELb0E19rocblas_complex_numIdES1_PKS1_PS1_EviT7_lllT6_T8_lllPii.kd
    .uniform_work_group_size: 1
    .uses_dynamic_stack: false
    .vgpr_count:     40
    .vgpr_spill_count: 0
    .wavefront_size: 64
  - .args:
      - .offset:         0
        .size:           4
        .value_kind:     by_value
      - .address_space:  global
        .offset:         8
        .size:           8
        .value_kind:     global_buffer
      - .offset:         16
        .size:           8
        .value_kind:     by_value
      - .offset:         24
        .size:           8
        .value_kind:     by_value
      - .offset:         32
        .size:           8
        .value_kind:     by_value
      - .offset:         40
        .size:           16
        .value_kind:     by_value
      - .address_space:  global
        .offset:         56
        .size:           8
        .value_kind:     global_buffer
      - .offset:         64
        .size:           8
        .value_kind:     by_value
      - .offset:         72
        .size:           8
        .value_kind:     by_value
      - .offset:         80
        .size:           8
        .value_kind:     by_value
      - .address_space:  global
        .offset:         88
        .size:           8
        .value_kind:     global_buffer
      - .offset:         96
        .size:           4
        .value_kind:     by_value
      - .offset:         104
        .size:           4
        .value_kind:     hidden_block_count_x
      - .offset:         108
        .size:           4
        .value_kind:     hidden_block_count_y
      - .offset:         112
        .size:           4
        .value_kind:     hidden_block_count_z
      - .offset:         116
        .size:           2
        .value_kind:     hidden_group_size_x
      - .offset:         118
        .size:           2
        .value_kind:     hidden_group_size_y
      - .offset:         120
        .size:           2
        .value_kind:     hidden_group_size_z
      - .offset:         122
        .size:           2
        .value_kind:     hidden_remainder_x
      - .offset:         124
        .size:           2
        .value_kind:     hidden_remainder_y
      - .offset:         126
        .size:           2
        .value_kind:     hidden_remainder_z
      - .offset:         144
        .size:           8
        .value_kind:     hidden_global_offset_x
      - .offset:         152
        .size:           8
        .value_kind:     hidden_global_offset_y
      - .offset:         160
        .size:           8
        .value_kind:     hidden_global_offset_z
      - .offset:         168
        .size:           2
        .value_kind:     hidden_grid_dims
    .group_segment_fixed_size: 25104
    .kernarg_segment_align: 8
    .kernarg_segment_size: 360
    .language:       OpenCL C
    .language_version:
      - 2
      - 0
    .max_flat_workgroup_size: 512
    .name:           _ZL19rocblas_trsv_deviceILi32ELi16ELb0ELb1ELb1ELb0E19rocblas_complex_numIdES1_PKS1_PS1_EviT7_lllT6_T8_lllPii
    .private_segment_fixed_size: 0
    .sgpr_count:     99
    .sgpr_spill_count: 0
    .symbol:         _ZL19rocblas_trsv_deviceILi32ELi16ELb0ELb1ELb1ELb0E19rocblas_complex_numIdES1_PKS1_PS1_EviT7_lllT6_T8_lllPii.kd
    .uniform_work_group_size: 1
    .uses_dynamic_stack: false
    .vgpr_count:     40
    .vgpr_spill_count: 0
    .wavefront_size: 64
  - .args:
      - .offset:         0
        .size:           4
        .value_kind:     by_value
      - .address_space:  global
        .offset:         8
        .size:           8
        .value_kind:     global_buffer
      - .offset:         16
        .size:           8
        .value_kind:     by_value
      - .offset:         24
        .size:           8
        .value_kind:     by_value
      - .offset:         32
        .size:           8
        .value_kind:     by_value
      - .offset:         40
        .size:           16
        .value_kind:     by_value
      - .address_space:  global
        .offset:         56
        .size:           8
        .value_kind:     global_buffer
      - .offset:         64
        .size:           8
        .value_kind:     by_value
      - .offset:         72
        .size:           8
        .value_kind:     by_value
      - .offset:         80
        .size:           8
        .value_kind:     by_value
      - .address_space:  global
        .offset:         88
        .size:           8
        .value_kind:     global_buffer
      - .offset:         96
        .size:           4
        .value_kind:     by_value
      - .offset:         104
        .size:           4
        .value_kind:     hidden_block_count_x
      - .offset:         108
        .size:           4
        .value_kind:     hidden_block_count_y
      - .offset:         112
        .size:           4
        .value_kind:     hidden_block_count_z
      - .offset:         116
        .size:           2
        .value_kind:     hidden_group_size_x
      - .offset:         118
        .size:           2
        .value_kind:     hidden_group_size_y
      - .offset:         120
        .size:           2
        .value_kind:     hidden_group_size_z
      - .offset:         122
        .size:           2
        .value_kind:     hidden_remainder_x
      - .offset:         124
        .size:           2
        .value_kind:     hidden_remainder_y
      - .offset:         126
        .size:           2
        .value_kind:     hidden_remainder_z
      - .offset:         144
        .size:           8
        .value_kind:     hidden_global_offset_x
      - .offset:         152
        .size:           8
        .value_kind:     hidden_global_offset_y
      - .offset:         160
        .size:           8
        .value_kind:     hidden_global_offset_z
      - .offset:         168
        .size:           2
        .value_kind:     hidden_grid_dims
    .group_segment_fixed_size: 25104
    .kernarg_segment_align: 8
    .kernarg_segment_size: 360
    .language:       OpenCL C
    .language_version:
      - 2
      - 0
    .max_flat_workgroup_size: 512
    .name:           _ZL19rocblas_trsv_deviceILi32ELi16ELb1ELb0ELb0ELb1E19rocblas_complex_numIdES1_PKS1_PS1_EviT7_lllT6_T8_lllPii
    .private_segment_fixed_size: 0
    .sgpr_count:     96
    .sgpr_spill_count: 0
    .symbol:         _ZL19rocblas_trsv_deviceILi32ELi16ELb1ELb0ELb0ELb1E19rocblas_complex_numIdES1_PKS1_PS1_EviT7_lllT6_T8_lllPii.kd
    .uniform_work_group_size: 1
    .uses_dynamic_stack: false
    .vgpr_count:     44
    .vgpr_spill_count: 0
    .wavefront_size: 64
  - .args:
      - .offset:         0
        .size:           4
        .value_kind:     by_value
      - .address_space:  global
        .offset:         8
        .size:           8
        .value_kind:     global_buffer
      - .offset:         16
        .size:           8
        .value_kind:     by_value
      - .offset:         24
        .size:           8
        .value_kind:     by_value
      - .offset:         32
        .size:           8
        .value_kind:     by_value
      - .offset:         40
        .size:           16
        .value_kind:     by_value
      - .address_space:  global
        .offset:         56
        .size:           8
        .value_kind:     global_buffer
      - .offset:         64
        .size:           8
        .value_kind:     by_value
      - .offset:         72
        .size:           8
        .value_kind:     by_value
      - .offset:         80
        .size:           8
        .value_kind:     by_value
      - .address_space:  global
        .offset:         88
        .size:           8
        .value_kind:     global_buffer
      - .offset:         96
        .size:           4
        .value_kind:     by_value
      - .offset:         104
        .size:           4
        .value_kind:     hidden_block_count_x
      - .offset:         108
        .size:           4
        .value_kind:     hidden_block_count_y
      - .offset:         112
        .size:           4
        .value_kind:     hidden_block_count_z
      - .offset:         116
        .size:           2
        .value_kind:     hidden_group_size_x
      - .offset:         118
        .size:           2
        .value_kind:     hidden_group_size_y
      - .offset:         120
        .size:           2
        .value_kind:     hidden_group_size_z
      - .offset:         122
        .size:           2
        .value_kind:     hidden_remainder_x
      - .offset:         124
        .size:           2
        .value_kind:     hidden_remainder_y
      - .offset:         126
        .size:           2
        .value_kind:     hidden_remainder_z
      - .offset:         144
        .size:           8
        .value_kind:     hidden_global_offset_x
      - .offset:         152
        .size:           8
        .value_kind:     hidden_global_offset_y
      - .offset:         160
        .size:           8
        .value_kind:     hidden_global_offset_z
      - .offset:         168
        .size:           2
        .value_kind:     hidden_grid_dims
    .group_segment_fixed_size: 25104
    .kernarg_segment_align: 8
    .kernarg_segment_size: 360
    .language:       OpenCL C
    .language_version:
      - 2
      - 0
    .max_flat_workgroup_size: 512
    .name:           _ZL19rocblas_trsv_deviceILi32ELi16ELb1ELb1ELb0ELb1E19rocblas_complex_numIdES1_PKS1_PS1_EviT7_lllT6_T8_lllPii
    .private_segment_fixed_size: 0
    .sgpr_count:     100
    .sgpr_spill_count: 0
    .symbol:         _ZL19rocblas_trsv_deviceILi32ELi16ELb1ELb1ELb0ELb1E19rocblas_complex_numIdES1_PKS1_PS1_EviT7_lllT6_T8_lllPii.kd
    .uniform_work_group_size: 1
    .uses_dynamic_stack: false
    .vgpr_count:     43
    .vgpr_spill_count: 0
    .wavefront_size: 64
  - .args:
      - .offset:         0
        .size:           4
        .value_kind:     by_value
      - .address_space:  global
        .offset:         8
        .size:           8
        .value_kind:     global_buffer
      - .offset:         16
        .size:           8
        .value_kind:     by_value
      - .offset:         24
        .size:           8
        .value_kind:     by_value
      - .offset:         32
        .size:           8
        .value_kind:     by_value
      - .offset:         40
        .size:           16
        .value_kind:     by_value
      - .address_space:  global
        .offset:         56
        .size:           8
        .value_kind:     global_buffer
      - .offset:         64
        .size:           8
        .value_kind:     by_value
      - .offset:         72
        .size:           8
        .value_kind:     by_value
      - .offset:         80
        .size:           8
        .value_kind:     by_value
      - .address_space:  global
        .offset:         88
        .size:           8
        .value_kind:     global_buffer
      - .offset:         96
        .size:           4
        .value_kind:     by_value
      - .offset:         104
        .size:           4
        .value_kind:     hidden_block_count_x
      - .offset:         108
        .size:           4
        .value_kind:     hidden_block_count_y
      - .offset:         112
        .size:           4
        .value_kind:     hidden_block_count_z
      - .offset:         116
        .size:           2
        .value_kind:     hidden_group_size_x
      - .offset:         118
        .size:           2
        .value_kind:     hidden_group_size_y
      - .offset:         120
        .size:           2
        .value_kind:     hidden_group_size_z
      - .offset:         122
        .size:           2
        .value_kind:     hidden_remainder_x
      - .offset:         124
        .size:           2
        .value_kind:     hidden_remainder_y
      - .offset:         126
        .size:           2
        .value_kind:     hidden_remainder_z
      - .offset:         144
        .size:           8
        .value_kind:     hidden_global_offset_x
      - .offset:         152
        .size:           8
        .value_kind:     hidden_global_offset_y
      - .offset:         160
        .size:           8
        .value_kind:     hidden_global_offset_z
      - .offset:         168
        .size:           2
        .value_kind:     hidden_grid_dims
    .group_segment_fixed_size: 25104
    .kernarg_segment_align: 8
    .kernarg_segment_size: 360
    .language:       OpenCL C
    .language_version:
      - 2
      - 0
    .max_flat_workgroup_size: 512
    .name:           _ZL19rocblas_trsv_deviceILi32ELi16ELb1ELb1ELb1ELb1E19rocblas_complex_numIdES1_PKS1_PS1_EviT7_lllT6_T8_lllPii
    .private_segment_fixed_size: 0
    .sgpr_count:     100
    .sgpr_spill_count: 0
    .symbol:         _ZL19rocblas_trsv_deviceILi32ELi16ELb1ELb1ELb1ELb1E19rocblas_complex_numIdES1_PKS1_PS1_EviT7_lllT6_T8_lllPii.kd
    .uniform_work_group_size: 1
    .uses_dynamic_stack: false
    .vgpr_count:     43
    .vgpr_spill_count: 0
    .wavefront_size: 64
  - .args:
      - .offset:         0
        .size:           4
        .value_kind:     by_value
      - .address_space:  global
        .offset:         8
        .size:           8
        .value_kind:     global_buffer
      - .offset:         16
        .size:           8
        .value_kind:     by_value
      - .offset:         24
        .size:           8
        .value_kind:     by_value
      - .offset:         32
        .size:           8
        .value_kind:     by_value
      - .offset:         40
        .size:           16
        .value_kind:     by_value
      - .address_space:  global
        .offset:         56
        .size:           8
        .value_kind:     global_buffer
      - .offset:         64
        .size:           8
        .value_kind:     by_value
      - .offset:         72
        .size:           8
        .value_kind:     by_value
      - .offset:         80
        .size:           8
        .value_kind:     by_value
      - .address_space:  global
        .offset:         88
        .size:           8
        .value_kind:     global_buffer
      - .offset:         96
        .size:           4
        .value_kind:     by_value
      - .offset:         104
        .size:           4
        .value_kind:     hidden_block_count_x
      - .offset:         108
        .size:           4
        .value_kind:     hidden_block_count_y
      - .offset:         112
        .size:           4
        .value_kind:     hidden_block_count_z
      - .offset:         116
        .size:           2
        .value_kind:     hidden_group_size_x
      - .offset:         118
        .size:           2
        .value_kind:     hidden_group_size_y
      - .offset:         120
        .size:           2
        .value_kind:     hidden_group_size_z
      - .offset:         122
        .size:           2
        .value_kind:     hidden_remainder_x
      - .offset:         124
        .size:           2
        .value_kind:     hidden_remainder_y
      - .offset:         126
        .size:           2
        .value_kind:     hidden_remainder_z
      - .offset:         144
        .size:           8
        .value_kind:     hidden_global_offset_x
      - .offset:         152
        .size:           8
        .value_kind:     hidden_global_offset_y
      - .offset:         160
        .size:           8
        .value_kind:     hidden_global_offset_z
      - .offset:         168
        .size:           2
        .value_kind:     hidden_grid_dims
    .group_segment_fixed_size: 25104
    .kernarg_segment_align: 8
    .kernarg_segment_size: 360
    .language:       OpenCL C
    .language_version:
      - 2
      - 0
    .max_flat_workgroup_size: 512
    .name:           _ZL19rocblas_trsv_deviceILi32ELi16ELb1ELb0ELb0ELb0E19rocblas_complex_numIdES1_PKS1_PS1_EviT7_lllT6_T8_lllPii
    .private_segment_fixed_size: 0
    .sgpr_count:     91
    .sgpr_spill_count: 0
    .symbol:         _ZL19rocblas_trsv_deviceILi32ELi16ELb1ELb0ELb0ELb0E19rocblas_complex_numIdES1_PKS1_PS1_EviT7_lllT6_T8_lllPii.kd
    .uniform_work_group_size: 1
    .uses_dynamic_stack: false
    .vgpr_count:     43
    .vgpr_spill_count: 0
    .wavefront_size: 64
  - .args:
      - .offset:         0
        .size:           4
        .value_kind:     by_value
      - .address_space:  global
        .offset:         8
        .size:           8
        .value_kind:     global_buffer
      - .offset:         16
        .size:           8
        .value_kind:     by_value
      - .offset:         24
        .size:           8
        .value_kind:     by_value
      - .offset:         32
        .size:           8
        .value_kind:     by_value
      - .offset:         40
        .size:           16
        .value_kind:     by_value
      - .address_space:  global
        .offset:         56
        .size:           8
        .value_kind:     global_buffer
      - .offset:         64
        .size:           8
        .value_kind:     by_value
      - .offset:         72
        .size:           8
        .value_kind:     by_value
      - .offset:         80
        .size:           8
        .value_kind:     by_value
      - .address_space:  global
        .offset:         88
        .size:           8
        .value_kind:     global_buffer
      - .offset:         96
        .size:           4
        .value_kind:     by_value
      - .offset:         104
        .size:           4
        .value_kind:     hidden_block_count_x
      - .offset:         108
        .size:           4
        .value_kind:     hidden_block_count_y
      - .offset:         112
        .size:           4
        .value_kind:     hidden_block_count_z
      - .offset:         116
        .size:           2
        .value_kind:     hidden_group_size_x
      - .offset:         118
        .size:           2
        .value_kind:     hidden_group_size_y
      - .offset:         120
        .size:           2
        .value_kind:     hidden_group_size_z
      - .offset:         122
        .size:           2
        .value_kind:     hidden_remainder_x
      - .offset:         124
        .size:           2
        .value_kind:     hidden_remainder_y
      - .offset:         126
        .size:           2
        .value_kind:     hidden_remainder_z
      - .offset:         144
        .size:           8
        .value_kind:     hidden_global_offset_x
      - .offset:         152
        .size:           8
        .value_kind:     hidden_global_offset_y
      - .offset:         160
        .size:           8
        .value_kind:     hidden_global_offset_z
      - .offset:         168
        .size:           2
        .value_kind:     hidden_grid_dims
    .group_segment_fixed_size: 25104
    .kernarg_segment_align: 8
    .kernarg_segment_size: 360
    .language:       OpenCL C
    .language_version:
      - 2
      - 0
    .max_flat_workgroup_size: 512
    .name:           _ZL19rocblas_trsv_deviceILi32ELi16ELb1ELb1ELb0ELb0E19rocblas_complex_numIdES1_PKS1_PS1_EviT7_lllT6_T8_lllPii
    .private_segment_fixed_size: 0
    .sgpr_count:     100
    .sgpr_spill_count: 1
    .symbol:         _ZL19rocblas_trsv_deviceILi32ELi16ELb1ELb1ELb0ELb0E19rocblas_complex_numIdES1_PKS1_PS1_EviT7_lllT6_T8_lllPii.kd
    .uniform_work_group_size: 1
    .uses_dynamic_stack: false
    .vgpr_count:     44
    .vgpr_spill_count: 0
    .wavefront_size: 64
  - .args:
      - .offset:         0
        .size:           4
        .value_kind:     by_value
      - .address_space:  global
        .offset:         8
        .size:           8
        .value_kind:     global_buffer
      - .offset:         16
        .size:           8
        .value_kind:     by_value
      - .offset:         24
        .size:           8
        .value_kind:     by_value
      - .offset:         32
        .size:           8
        .value_kind:     by_value
      - .offset:         40
        .size:           16
        .value_kind:     by_value
      - .address_space:  global
        .offset:         56
        .size:           8
        .value_kind:     global_buffer
      - .offset:         64
        .size:           8
        .value_kind:     by_value
      - .offset:         72
        .size:           8
        .value_kind:     by_value
      - .offset:         80
        .size:           8
        .value_kind:     by_value
      - .address_space:  global
        .offset:         88
        .size:           8
        .value_kind:     global_buffer
      - .offset:         96
        .size:           4
        .value_kind:     by_value
      - .offset:         104
        .size:           4
        .value_kind:     hidden_block_count_x
      - .offset:         108
        .size:           4
        .value_kind:     hidden_block_count_y
      - .offset:         112
        .size:           4
        .value_kind:     hidden_block_count_z
      - .offset:         116
        .size:           2
        .value_kind:     hidden_group_size_x
      - .offset:         118
        .size:           2
        .value_kind:     hidden_group_size_y
      - .offset:         120
        .size:           2
        .value_kind:     hidden_group_size_z
      - .offset:         122
        .size:           2
        .value_kind:     hidden_remainder_x
      - .offset:         124
        .size:           2
        .value_kind:     hidden_remainder_y
      - .offset:         126
        .size:           2
        .value_kind:     hidden_remainder_z
      - .offset:         144
        .size:           8
        .value_kind:     hidden_global_offset_x
      - .offset:         152
        .size:           8
        .value_kind:     hidden_global_offset_y
      - .offset:         160
        .size:           8
        .value_kind:     hidden_global_offset_z
      - .offset:         168
        .size:           2
        .value_kind:     hidden_grid_dims
    .group_segment_fixed_size: 25104
    .kernarg_segment_align: 8
    .kernarg_segment_size: 360
    .language:       OpenCL C
    .language_version:
      - 2
      - 0
    .max_flat_workgroup_size: 512
    .name:           _ZL19rocblas_trsv_deviceILi32ELi16ELb1ELb1ELb1ELb0E19rocblas_complex_numIdES1_PKS1_PS1_EviT7_lllT6_T8_lllPii
    .private_segment_fixed_size: 0
    .sgpr_count:     100
    .sgpr_spill_count: 1
    .symbol:         _ZL19rocblas_trsv_deviceILi32ELi16ELb1ELb1ELb1ELb0E19rocblas_complex_numIdES1_PKS1_PS1_EviT7_lllT6_T8_lllPii.kd
    .uniform_work_group_size: 1
    .uses_dynamic_stack: false
    .vgpr_count:     44
    .vgpr_spill_count: 0
    .wavefront_size: 64
  - .args:
      - .offset:         0
        .size:           4
        .value_kind:     by_value
      - .address_space:  global
        .offset:         8
        .size:           8
        .value_kind:     global_buffer
      - .offset:         16
        .size:           8
        .value_kind:     by_value
      - .offset:         24
        .size:           8
        .value_kind:     by_value
      - .offset:         32
        .size:           8
        .value_kind:     by_value
      - .address_space:  global
        .offset:         40
        .size:           8
        .value_kind:     global_buffer
      - .address_space:  global
        .offset:         48
        .size:           8
        .value_kind:     global_buffer
      - .offset:         56
        .size:           8
        .value_kind:     by_value
      - .offset:         64
        .size:           8
        .value_kind:     by_value
      - .offset:         72
        .size:           8
        .value_kind:     by_value
      - .address_space:  global
        .offset:         80
        .size:           8
        .value_kind:     global_buffer
      - .offset:         88
        .size:           4
        .value_kind:     by_value
      - .offset:         96
        .size:           4
        .value_kind:     hidden_block_count_x
      - .offset:         100
        .size:           4
        .value_kind:     hidden_block_count_y
      - .offset:         104
        .size:           4
        .value_kind:     hidden_block_count_z
      - .offset:         108
        .size:           2
        .value_kind:     hidden_group_size_x
      - .offset:         110
        .size:           2
        .value_kind:     hidden_group_size_y
      - .offset:         112
        .size:           2
        .value_kind:     hidden_group_size_z
      - .offset:         114
        .size:           2
        .value_kind:     hidden_remainder_x
      - .offset:         116
        .size:           2
        .value_kind:     hidden_remainder_y
      - .offset:         118
        .size:           2
        .value_kind:     hidden_remainder_z
      - .offset:         136
        .size:           8
        .value_kind:     hidden_global_offset_x
      - .offset:         144
        .size:           8
        .value_kind:     hidden_global_offset_y
      - .offset:         152
        .size:           8
        .value_kind:     hidden_global_offset_z
      - .offset:         160
        .size:           2
        .value_kind:     hidden_grid_dims
    .group_segment_fixed_size: 20740
    .kernarg_segment_align: 8
    .kernarg_segment_size: 352
    .language:       OpenCL C
    .language_version:
      - 2
      - 0
    .max_flat_workgroup_size: 1024
    .name:           _ZL19rocblas_trsv_deviceILi64ELi16ELb0ELb0ELb0ELb1EfPKfPKS1_PKPfEviT7_lllT6_T8_lllPii
    .private_segment_fixed_size: 0
    .sgpr_count:     100
    .sgpr_spill_count: 53
    .symbol:         _ZL19rocblas_trsv_deviceILi64ELi16ELb0ELb0ELb0ELb1EfPKfPKS1_PKPfEviT7_lllT6_T8_lllPii.kd
    .uniform_work_group_size: 1
    .uses_dynamic_stack: false
    .vgpr_count:     28
    .vgpr_spill_count: 0
    .wavefront_size: 64
  - .args:
      - .offset:         0
        .size:           4
        .value_kind:     by_value
      - .address_space:  global
        .offset:         8
        .size:           8
        .value_kind:     global_buffer
      - .offset:         16
        .size:           8
        .value_kind:     by_value
      - .offset:         24
        .size:           8
        .value_kind:     by_value
      - .offset:         32
        .size:           8
        .value_kind:     by_value
      - .address_space:  global
        .offset:         40
        .size:           8
        .value_kind:     global_buffer
      - .address_space:  global
        .offset:         48
        .size:           8
        .value_kind:     global_buffer
      - .offset:         56
        .size:           8
        .value_kind:     by_value
      - .offset:         64
        .size:           8
        .value_kind:     by_value
      - .offset:         72
        .size:           8
        .value_kind:     by_value
      - .address_space:  global
        .offset:         80
        .size:           8
        .value_kind:     global_buffer
      - .offset:         88
        .size:           4
        .value_kind:     by_value
      - .offset:         96
        .size:           4
        .value_kind:     hidden_block_count_x
      - .offset:         100
        .size:           4
        .value_kind:     hidden_block_count_y
      - .offset:         104
        .size:           4
        .value_kind:     hidden_block_count_z
      - .offset:         108
        .size:           2
        .value_kind:     hidden_group_size_x
      - .offset:         110
        .size:           2
        .value_kind:     hidden_group_size_y
      - .offset:         112
        .size:           2
        .value_kind:     hidden_group_size_z
      - .offset:         114
        .size:           2
        .value_kind:     hidden_remainder_x
      - .offset:         116
        .size:           2
        .value_kind:     hidden_remainder_y
      - .offset:         118
        .size:           2
        .value_kind:     hidden_remainder_z
      - .offset:         136
        .size:           8
        .value_kind:     hidden_global_offset_x
      - .offset:         144
        .size:           8
        .value_kind:     hidden_global_offset_y
      - .offset:         152
        .size:           8
        .value_kind:     hidden_global_offset_z
      - .offset:         160
        .size:           2
        .value_kind:     hidden_grid_dims
    .group_segment_fixed_size: 20740
    .kernarg_segment_align: 8
    .kernarg_segment_size: 352
    .language:       OpenCL C
    .language_version:
      - 2
      - 0
    .max_flat_workgroup_size: 1024
    .name:           _ZL19rocblas_trsv_deviceILi64ELi16ELb0ELb1ELb0ELb1EfPKfPKS1_PKPfEviT7_lllT6_T8_lllPii
    .private_segment_fixed_size: 0
    .sgpr_count:     100
    .sgpr_spill_count: 59
    .symbol:         _ZL19rocblas_trsv_deviceILi64ELi16ELb0ELb1ELb0ELb1EfPKfPKS1_PKPfEviT7_lllT6_T8_lllPii.kd
    .uniform_work_group_size: 1
    .uses_dynamic_stack: false
    .vgpr_count:     29
    .vgpr_spill_count: 0
    .wavefront_size: 64
  - .args:
      - .offset:         0
        .size:           4
        .value_kind:     by_value
      - .address_space:  global
        .offset:         8
        .size:           8
        .value_kind:     global_buffer
      - .offset:         16
        .size:           8
        .value_kind:     by_value
      - .offset:         24
        .size:           8
        .value_kind:     by_value
      - .offset:         32
        .size:           8
        .value_kind:     by_value
      - .address_space:  global
        .offset:         40
        .size:           8
        .value_kind:     global_buffer
      - .address_space:  global
        .offset:         48
        .size:           8
        .value_kind:     global_buffer
      - .offset:         56
        .size:           8
        .value_kind:     by_value
      - .offset:         64
        .size:           8
        .value_kind:     by_value
      - .offset:         72
        .size:           8
        .value_kind:     by_value
      - .address_space:  global
        .offset:         80
        .size:           8
        .value_kind:     global_buffer
      - .offset:         88
        .size:           4
        .value_kind:     by_value
      - .offset:         96
        .size:           4
        .value_kind:     hidden_block_count_x
      - .offset:         100
        .size:           4
        .value_kind:     hidden_block_count_y
      - .offset:         104
        .size:           4
        .value_kind:     hidden_block_count_z
      - .offset:         108
        .size:           2
        .value_kind:     hidden_group_size_x
      - .offset:         110
        .size:           2
        .value_kind:     hidden_group_size_y
      - .offset:         112
        .size:           2
        .value_kind:     hidden_group_size_z
      - .offset:         114
        .size:           2
        .value_kind:     hidden_remainder_x
      - .offset:         116
        .size:           2
        .value_kind:     hidden_remainder_y
      - .offset:         118
        .size:           2
        .value_kind:     hidden_remainder_z
      - .offset:         136
        .size:           8
        .value_kind:     hidden_global_offset_x
      - .offset:         144
        .size:           8
        .value_kind:     hidden_global_offset_y
      - .offset:         152
        .size:           8
        .value_kind:     hidden_global_offset_z
      - .offset:         160
        .size:           2
        .value_kind:     hidden_grid_dims
    .group_segment_fixed_size: 20740
    .kernarg_segment_align: 8
    .kernarg_segment_size: 352
    .language:       OpenCL C
    .language_version:
      - 2
      - 0
    .max_flat_workgroup_size: 1024
    .name:           _ZL19rocblas_trsv_deviceILi64ELi16ELb0ELb1ELb1ELb1EfPKfPKS1_PKPfEviT7_lllT6_T8_lllPii
    .private_segment_fixed_size: 0
    .sgpr_count:     100
    .sgpr_spill_count: 59
    .symbol:         _ZL19rocblas_trsv_deviceILi64ELi16ELb0ELb1ELb1ELb1EfPKfPKS1_PKPfEviT7_lllT6_T8_lllPii.kd
    .uniform_work_group_size: 1
    .uses_dynamic_stack: false
    .vgpr_count:     29
    .vgpr_spill_count: 0
    .wavefront_size: 64
  - .args:
      - .offset:         0
        .size:           4
        .value_kind:     by_value
      - .address_space:  global
        .offset:         8
        .size:           8
        .value_kind:     global_buffer
      - .offset:         16
        .size:           8
        .value_kind:     by_value
      - .offset:         24
        .size:           8
        .value_kind:     by_value
      - .offset:         32
        .size:           8
        .value_kind:     by_value
      - .address_space:  global
        .offset:         40
        .size:           8
        .value_kind:     global_buffer
      - .address_space:  global
        .offset:         48
        .size:           8
        .value_kind:     global_buffer
      - .offset:         56
        .size:           8
        .value_kind:     by_value
      - .offset:         64
        .size:           8
        .value_kind:     by_value
      - .offset:         72
        .size:           8
        .value_kind:     by_value
      - .address_space:  global
        .offset:         80
        .size:           8
        .value_kind:     global_buffer
      - .offset:         88
        .size:           4
        .value_kind:     by_value
      - .offset:         96
        .size:           4
        .value_kind:     hidden_block_count_x
      - .offset:         100
        .size:           4
        .value_kind:     hidden_block_count_y
      - .offset:         104
        .size:           4
        .value_kind:     hidden_block_count_z
      - .offset:         108
        .size:           2
        .value_kind:     hidden_group_size_x
      - .offset:         110
        .size:           2
        .value_kind:     hidden_group_size_y
      - .offset:         112
        .size:           2
        .value_kind:     hidden_group_size_z
      - .offset:         114
        .size:           2
        .value_kind:     hidden_remainder_x
      - .offset:         116
        .size:           2
        .value_kind:     hidden_remainder_y
      - .offset:         118
        .size:           2
        .value_kind:     hidden_remainder_z
      - .offset:         136
        .size:           8
        .value_kind:     hidden_global_offset_x
      - .offset:         144
        .size:           8
        .value_kind:     hidden_global_offset_y
      - .offset:         152
        .size:           8
        .value_kind:     hidden_global_offset_z
      - .offset:         160
        .size:           2
        .value_kind:     hidden_grid_dims
    .group_segment_fixed_size: 20740
    .kernarg_segment_align: 8
    .kernarg_segment_size: 352
    .language:       OpenCL C
    .language_version:
      - 2
      - 0
    .max_flat_workgroup_size: 1024
    .name:           _ZL19rocblas_trsv_deviceILi64ELi16ELb0ELb0ELb0ELb0EfPKfPKS1_PKPfEviT7_lllT6_T8_lllPii
    .private_segment_fixed_size: 0
    .sgpr_count:     100
    .sgpr_spill_count: 54
    .symbol:         _ZL19rocblas_trsv_deviceILi64ELi16ELb0ELb0ELb0ELb0EfPKfPKS1_PKPfEviT7_lllT6_T8_lllPii.kd
    .uniform_work_group_size: 1
    .uses_dynamic_stack: false
    .vgpr_count:     28
    .vgpr_spill_count: 0
    .wavefront_size: 64
  - .args:
      - .offset:         0
        .size:           4
        .value_kind:     by_value
      - .address_space:  global
        .offset:         8
        .size:           8
        .value_kind:     global_buffer
      - .offset:         16
        .size:           8
        .value_kind:     by_value
      - .offset:         24
        .size:           8
        .value_kind:     by_value
      - .offset:         32
        .size:           8
        .value_kind:     by_value
      - .address_space:  global
        .offset:         40
        .size:           8
        .value_kind:     global_buffer
      - .address_space:  global
        .offset:         48
        .size:           8
        .value_kind:     global_buffer
      - .offset:         56
        .size:           8
        .value_kind:     by_value
      - .offset:         64
        .size:           8
        .value_kind:     by_value
      - .offset:         72
        .size:           8
        .value_kind:     by_value
      - .address_space:  global
        .offset:         80
        .size:           8
        .value_kind:     global_buffer
      - .offset:         88
        .size:           4
        .value_kind:     by_value
      - .offset:         96
        .size:           4
        .value_kind:     hidden_block_count_x
      - .offset:         100
        .size:           4
        .value_kind:     hidden_block_count_y
      - .offset:         104
        .size:           4
        .value_kind:     hidden_block_count_z
      - .offset:         108
        .size:           2
        .value_kind:     hidden_group_size_x
      - .offset:         110
        .size:           2
        .value_kind:     hidden_group_size_y
      - .offset:         112
        .size:           2
        .value_kind:     hidden_group_size_z
      - .offset:         114
        .size:           2
        .value_kind:     hidden_remainder_x
      - .offset:         116
        .size:           2
        .value_kind:     hidden_remainder_y
      - .offset:         118
        .size:           2
        .value_kind:     hidden_remainder_z
      - .offset:         136
        .size:           8
        .value_kind:     hidden_global_offset_x
      - .offset:         144
        .size:           8
        .value_kind:     hidden_global_offset_y
      - .offset:         152
        .size:           8
        .value_kind:     hidden_global_offset_z
      - .offset:         160
        .size:           2
        .value_kind:     hidden_grid_dims
    .group_segment_fixed_size: 20740
    .kernarg_segment_align: 8
    .kernarg_segment_size: 352
    .language:       OpenCL C
    .language_version:
      - 2
      - 0
    .max_flat_workgroup_size: 1024
    .name:           _ZL19rocblas_trsv_deviceILi64ELi16ELb0ELb1ELb0ELb0EfPKfPKS1_PKPfEviT7_lllT6_T8_lllPii
    .private_segment_fixed_size: 0
    .sgpr_count:     100
    .sgpr_spill_count: 62
    .symbol:         _ZL19rocblas_trsv_deviceILi64ELi16ELb0ELb1ELb0ELb0EfPKfPKS1_PKPfEviT7_lllT6_T8_lllPii.kd
    .uniform_work_group_size: 1
    .uses_dynamic_stack: false
    .vgpr_count:     28
    .vgpr_spill_count: 0
    .wavefront_size: 64
  - .args:
      - .offset:         0
        .size:           4
        .value_kind:     by_value
      - .address_space:  global
        .offset:         8
        .size:           8
        .value_kind:     global_buffer
      - .offset:         16
        .size:           8
        .value_kind:     by_value
      - .offset:         24
        .size:           8
        .value_kind:     by_value
      - .offset:         32
        .size:           8
        .value_kind:     by_value
      - .address_space:  global
        .offset:         40
        .size:           8
        .value_kind:     global_buffer
      - .address_space:  global
        .offset:         48
        .size:           8
        .value_kind:     global_buffer
      - .offset:         56
        .size:           8
        .value_kind:     by_value
      - .offset:         64
        .size:           8
        .value_kind:     by_value
      - .offset:         72
        .size:           8
        .value_kind:     by_value
      - .address_space:  global
        .offset:         80
        .size:           8
        .value_kind:     global_buffer
      - .offset:         88
        .size:           4
        .value_kind:     by_value
      - .offset:         96
        .size:           4
        .value_kind:     hidden_block_count_x
      - .offset:         100
        .size:           4
        .value_kind:     hidden_block_count_y
      - .offset:         104
        .size:           4
        .value_kind:     hidden_block_count_z
      - .offset:         108
        .size:           2
        .value_kind:     hidden_group_size_x
      - .offset:         110
        .size:           2
        .value_kind:     hidden_group_size_y
      - .offset:         112
        .size:           2
        .value_kind:     hidden_group_size_z
      - .offset:         114
        .size:           2
        .value_kind:     hidden_remainder_x
      - .offset:         116
        .size:           2
        .value_kind:     hidden_remainder_y
      - .offset:         118
        .size:           2
        .value_kind:     hidden_remainder_z
      - .offset:         136
        .size:           8
        .value_kind:     hidden_global_offset_x
      - .offset:         144
        .size:           8
        .value_kind:     hidden_global_offset_y
      - .offset:         152
        .size:           8
        .value_kind:     hidden_global_offset_z
      - .offset:         160
        .size:           2
        .value_kind:     hidden_grid_dims
    .group_segment_fixed_size: 20740
    .kernarg_segment_align: 8
    .kernarg_segment_size: 352
    .language:       OpenCL C
    .language_version:
      - 2
      - 0
    .max_flat_workgroup_size: 1024
    .name:           _ZL19rocblas_trsv_deviceILi64ELi16ELb0ELb1ELb1ELb0EfPKfPKS1_PKPfEviT7_lllT6_T8_lllPii
    .private_segment_fixed_size: 0
    .sgpr_count:     100
    .sgpr_spill_count: 62
    .symbol:         _ZL19rocblas_trsv_deviceILi64ELi16ELb0ELb1ELb1ELb0EfPKfPKS1_PKPfEviT7_lllT6_T8_lllPii.kd
    .uniform_work_group_size: 1
    .uses_dynamic_stack: false
    .vgpr_count:     28
    .vgpr_spill_count: 0
    .wavefront_size: 64
  - .args:
      - .offset:         0
        .size:           4
        .value_kind:     by_value
      - .address_space:  global
        .offset:         8
        .size:           8
        .value_kind:     global_buffer
      - .offset:         16
        .size:           8
        .value_kind:     by_value
      - .offset:         24
        .size:           8
        .value_kind:     by_value
      - .offset:         32
        .size:           8
        .value_kind:     by_value
      - .address_space:  global
        .offset:         40
        .size:           8
        .value_kind:     global_buffer
      - .address_space:  global
        .offset:         48
        .size:           8
        .value_kind:     global_buffer
      - .offset:         56
        .size:           8
        .value_kind:     by_value
      - .offset:         64
        .size:           8
        .value_kind:     by_value
      - .offset:         72
        .size:           8
        .value_kind:     by_value
      - .address_space:  global
        .offset:         80
        .size:           8
        .value_kind:     global_buffer
      - .offset:         88
        .size:           4
        .value_kind:     by_value
      - .offset:         96
        .size:           4
        .value_kind:     hidden_block_count_x
      - .offset:         100
        .size:           4
        .value_kind:     hidden_block_count_y
      - .offset:         104
        .size:           4
        .value_kind:     hidden_block_count_z
      - .offset:         108
        .size:           2
        .value_kind:     hidden_group_size_x
      - .offset:         110
        .size:           2
        .value_kind:     hidden_group_size_y
      - .offset:         112
        .size:           2
        .value_kind:     hidden_group_size_z
      - .offset:         114
        .size:           2
        .value_kind:     hidden_remainder_x
      - .offset:         116
        .size:           2
        .value_kind:     hidden_remainder_y
      - .offset:         118
        .size:           2
        .value_kind:     hidden_remainder_z
      - .offset:         136
        .size:           8
        .value_kind:     hidden_global_offset_x
      - .offset:         144
        .size:           8
        .value_kind:     hidden_global_offset_y
      - .offset:         152
        .size:           8
        .value_kind:     hidden_global_offset_z
      - .offset:         160
        .size:           2
        .value_kind:     hidden_grid_dims
    .group_segment_fixed_size: 20740
    .kernarg_segment_align: 8
    .kernarg_segment_size: 352
    .language:       OpenCL C
    .language_version:
      - 2
      - 0
    .max_flat_workgroup_size: 1024
    .name:           _ZL19rocblas_trsv_deviceILi64ELi16ELb1ELb0ELb0ELb1EfPKfPKS1_PKPfEviT7_lllT6_T8_lllPii
    .private_segment_fixed_size: 0
    .sgpr_count:     100
    .sgpr_spill_count: 49
    .symbol:         _ZL19rocblas_trsv_deviceILi64ELi16ELb1ELb0ELb0ELb1EfPKfPKS1_PKPfEviT7_lllT6_T8_lllPii.kd
    .uniform_work_group_size: 1
    .uses_dynamic_stack: false
    .vgpr_count:     35
    .vgpr_spill_count: 0
    .wavefront_size: 64
  - .args:
      - .offset:         0
        .size:           4
        .value_kind:     by_value
      - .address_space:  global
        .offset:         8
        .size:           8
        .value_kind:     global_buffer
      - .offset:         16
        .size:           8
        .value_kind:     by_value
      - .offset:         24
        .size:           8
        .value_kind:     by_value
      - .offset:         32
        .size:           8
        .value_kind:     by_value
      - .address_space:  global
        .offset:         40
        .size:           8
        .value_kind:     global_buffer
      - .address_space:  global
        .offset:         48
        .size:           8
        .value_kind:     global_buffer
      - .offset:         56
        .size:           8
        .value_kind:     by_value
      - .offset:         64
        .size:           8
        .value_kind:     by_value
      - .offset:         72
        .size:           8
        .value_kind:     by_value
      - .address_space:  global
        .offset:         80
        .size:           8
        .value_kind:     global_buffer
      - .offset:         88
        .size:           4
        .value_kind:     by_value
      - .offset:         96
        .size:           4
        .value_kind:     hidden_block_count_x
      - .offset:         100
        .size:           4
        .value_kind:     hidden_block_count_y
      - .offset:         104
        .size:           4
        .value_kind:     hidden_block_count_z
      - .offset:         108
        .size:           2
        .value_kind:     hidden_group_size_x
      - .offset:         110
        .size:           2
        .value_kind:     hidden_group_size_y
      - .offset:         112
        .size:           2
        .value_kind:     hidden_group_size_z
      - .offset:         114
        .size:           2
        .value_kind:     hidden_remainder_x
      - .offset:         116
        .size:           2
        .value_kind:     hidden_remainder_y
      - .offset:         118
        .size:           2
        .value_kind:     hidden_remainder_z
      - .offset:         136
        .size:           8
        .value_kind:     hidden_global_offset_x
      - .offset:         144
        .size:           8
        .value_kind:     hidden_global_offset_y
      - .offset:         152
        .size:           8
        .value_kind:     hidden_global_offset_z
      - .offset:         160
        .size:           2
        .value_kind:     hidden_grid_dims
    .group_segment_fixed_size: 20740
    .kernarg_segment_align: 8
    .kernarg_segment_size: 352
    .language:       OpenCL C
    .language_version:
      - 2
      - 0
    .max_flat_workgroup_size: 1024
    .name:           _ZL19rocblas_trsv_deviceILi64ELi16ELb1ELb1ELb0ELb1EfPKfPKS1_PKPfEviT7_lllT6_T8_lllPii
    .private_segment_fixed_size: 0
    .sgpr_count:     100
    .sgpr_spill_count: 63
    .symbol:         _ZL19rocblas_trsv_deviceILi64ELi16ELb1ELb1ELb0ELb1EfPKfPKS1_PKPfEviT7_lllT6_T8_lllPii.kd
    .uniform_work_group_size: 1
    .uses_dynamic_stack: false
    .vgpr_count:     34
    .vgpr_spill_count: 0
    .wavefront_size: 64
  - .args:
      - .offset:         0
        .size:           4
        .value_kind:     by_value
      - .address_space:  global
        .offset:         8
        .size:           8
        .value_kind:     global_buffer
      - .offset:         16
        .size:           8
        .value_kind:     by_value
      - .offset:         24
        .size:           8
        .value_kind:     by_value
      - .offset:         32
        .size:           8
        .value_kind:     by_value
      - .address_space:  global
        .offset:         40
        .size:           8
        .value_kind:     global_buffer
      - .address_space:  global
        .offset:         48
        .size:           8
        .value_kind:     global_buffer
      - .offset:         56
        .size:           8
        .value_kind:     by_value
      - .offset:         64
        .size:           8
        .value_kind:     by_value
      - .offset:         72
        .size:           8
        .value_kind:     by_value
      - .address_space:  global
        .offset:         80
        .size:           8
        .value_kind:     global_buffer
      - .offset:         88
        .size:           4
        .value_kind:     by_value
      - .offset:         96
        .size:           4
        .value_kind:     hidden_block_count_x
      - .offset:         100
        .size:           4
        .value_kind:     hidden_block_count_y
      - .offset:         104
        .size:           4
        .value_kind:     hidden_block_count_z
      - .offset:         108
        .size:           2
        .value_kind:     hidden_group_size_x
      - .offset:         110
        .size:           2
        .value_kind:     hidden_group_size_y
      - .offset:         112
        .size:           2
        .value_kind:     hidden_group_size_z
      - .offset:         114
        .size:           2
        .value_kind:     hidden_remainder_x
      - .offset:         116
        .size:           2
        .value_kind:     hidden_remainder_y
      - .offset:         118
        .size:           2
        .value_kind:     hidden_remainder_z
      - .offset:         136
        .size:           8
        .value_kind:     hidden_global_offset_x
      - .offset:         144
        .size:           8
        .value_kind:     hidden_global_offset_y
      - .offset:         152
        .size:           8
        .value_kind:     hidden_global_offset_z
      - .offset:         160
        .size:           2
        .value_kind:     hidden_grid_dims
    .group_segment_fixed_size: 20740
    .kernarg_segment_align: 8
    .kernarg_segment_size: 352
    .language:       OpenCL C
    .language_version:
      - 2
      - 0
    .max_flat_workgroup_size: 1024
    .name:           _ZL19rocblas_trsv_deviceILi64ELi16ELb1ELb1ELb1ELb1EfPKfPKS1_PKPfEviT7_lllT6_T8_lllPii
    .private_segment_fixed_size: 0
    .sgpr_count:     100
    .sgpr_spill_count: 63
    .symbol:         _ZL19rocblas_trsv_deviceILi64ELi16ELb1ELb1ELb1ELb1EfPKfPKS1_PKPfEviT7_lllT6_T8_lllPii.kd
    .uniform_work_group_size: 1
    .uses_dynamic_stack: false
    .vgpr_count:     34
    .vgpr_spill_count: 0
    .wavefront_size: 64
  - .args:
      - .offset:         0
        .size:           4
        .value_kind:     by_value
      - .address_space:  global
        .offset:         8
        .size:           8
        .value_kind:     global_buffer
      - .offset:         16
        .size:           8
        .value_kind:     by_value
      - .offset:         24
        .size:           8
        .value_kind:     by_value
      - .offset:         32
        .size:           8
        .value_kind:     by_value
      - .address_space:  global
        .offset:         40
        .size:           8
        .value_kind:     global_buffer
      - .address_space:  global
        .offset:         48
        .size:           8
        .value_kind:     global_buffer
      - .offset:         56
        .size:           8
        .value_kind:     by_value
      - .offset:         64
        .size:           8
        .value_kind:     by_value
      - .offset:         72
        .size:           8
        .value_kind:     by_value
      - .address_space:  global
        .offset:         80
        .size:           8
        .value_kind:     global_buffer
      - .offset:         88
        .size:           4
        .value_kind:     by_value
      - .offset:         96
        .size:           4
        .value_kind:     hidden_block_count_x
      - .offset:         100
        .size:           4
        .value_kind:     hidden_block_count_y
      - .offset:         104
        .size:           4
        .value_kind:     hidden_block_count_z
      - .offset:         108
        .size:           2
        .value_kind:     hidden_group_size_x
      - .offset:         110
        .size:           2
        .value_kind:     hidden_group_size_y
      - .offset:         112
        .size:           2
        .value_kind:     hidden_group_size_z
      - .offset:         114
        .size:           2
        .value_kind:     hidden_remainder_x
      - .offset:         116
        .size:           2
        .value_kind:     hidden_remainder_y
      - .offset:         118
        .size:           2
        .value_kind:     hidden_remainder_z
      - .offset:         136
        .size:           8
        .value_kind:     hidden_global_offset_x
      - .offset:         144
        .size:           8
        .value_kind:     hidden_global_offset_y
      - .offset:         152
        .size:           8
        .value_kind:     hidden_global_offset_z
      - .offset:         160
        .size:           2
        .value_kind:     hidden_grid_dims
    .group_segment_fixed_size: 20740
    .kernarg_segment_align: 8
    .kernarg_segment_size: 352
    .language:       OpenCL C
    .language_version:
      - 2
      - 0
    .max_flat_workgroup_size: 1024
    .name:           _ZL19rocblas_trsv_deviceILi64ELi16ELb1ELb0ELb0ELb0EfPKfPKS1_PKPfEviT7_lllT6_T8_lllPii
    .private_segment_fixed_size: 0
    .sgpr_count:     100
    .sgpr_spill_count: 52
    .symbol:         _ZL19rocblas_trsv_deviceILi64ELi16ELb1ELb0ELb0ELb0EfPKfPKS1_PKPfEviT7_lllT6_T8_lllPii.kd
    .uniform_work_group_size: 1
    .uses_dynamic_stack: false
    .vgpr_count:     34
    .vgpr_spill_count: 0
    .wavefront_size: 64
  - .args:
      - .offset:         0
        .size:           4
        .value_kind:     by_value
      - .address_space:  global
        .offset:         8
        .size:           8
        .value_kind:     global_buffer
      - .offset:         16
        .size:           8
        .value_kind:     by_value
      - .offset:         24
        .size:           8
        .value_kind:     by_value
      - .offset:         32
        .size:           8
        .value_kind:     by_value
      - .address_space:  global
        .offset:         40
        .size:           8
        .value_kind:     global_buffer
      - .address_space:  global
        .offset:         48
        .size:           8
        .value_kind:     global_buffer
      - .offset:         56
        .size:           8
        .value_kind:     by_value
      - .offset:         64
        .size:           8
        .value_kind:     by_value
      - .offset:         72
        .size:           8
        .value_kind:     by_value
      - .address_space:  global
        .offset:         80
        .size:           8
        .value_kind:     global_buffer
      - .offset:         88
        .size:           4
        .value_kind:     by_value
      - .offset:         96
        .size:           4
        .value_kind:     hidden_block_count_x
      - .offset:         100
        .size:           4
        .value_kind:     hidden_block_count_y
      - .offset:         104
        .size:           4
        .value_kind:     hidden_block_count_z
      - .offset:         108
        .size:           2
        .value_kind:     hidden_group_size_x
      - .offset:         110
        .size:           2
        .value_kind:     hidden_group_size_y
      - .offset:         112
        .size:           2
        .value_kind:     hidden_group_size_z
      - .offset:         114
        .size:           2
        .value_kind:     hidden_remainder_x
      - .offset:         116
        .size:           2
        .value_kind:     hidden_remainder_y
      - .offset:         118
        .size:           2
        .value_kind:     hidden_remainder_z
      - .offset:         136
        .size:           8
        .value_kind:     hidden_global_offset_x
      - .offset:         144
        .size:           8
        .value_kind:     hidden_global_offset_y
      - .offset:         152
        .size:           8
        .value_kind:     hidden_global_offset_z
      - .offset:         160
        .size:           2
        .value_kind:     hidden_grid_dims
    .group_segment_fixed_size: 20740
    .kernarg_segment_align: 8
    .kernarg_segment_size: 352
    .language:       OpenCL C
    .language_version:
      - 2
      - 0
    .max_flat_workgroup_size: 1024
    .name:           _ZL19rocblas_trsv_deviceILi64ELi16ELb1ELb1ELb0ELb0EfPKfPKS1_PKPfEviT7_lllT6_T8_lllPii
    .private_segment_fixed_size: 0
    .sgpr_count:     100
    .sgpr_spill_count: 64
    .symbol:         _ZL19rocblas_trsv_deviceILi64ELi16ELb1ELb1ELb0ELb0EfPKfPKS1_PKPfEviT7_lllT6_T8_lllPii.kd
    .uniform_work_group_size: 1
    .uses_dynamic_stack: false
    .vgpr_count:     34
    .vgpr_spill_count: 0
    .wavefront_size: 64
  - .args:
      - .offset:         0
        .size:           4
        .value_kind:     by_value
      - .address_space:  global
        .offset:         8
        .size:           8
        .value_kind:     global_buffer
      - .offset:         16
        .size:           8
        .value_kind:     by_value
      - .offset:         24
        .size:           8
        .value_kind:     by_value
      - .offset:         32
        .size:           8
        .value_kind:     by_value
      - .address_space:  global
        .offset:         40
        .size:           8
        .value_kind:     global_buffer
      - .address_space:  global
        .offset:         48
        .size:           8
        .value_kind:     global_buffer
      - .offset:         56
        .size:           8
        .value_kind:     by_value
      - .offset:         64
        .size:           8
        .value_kind:     by_value
      - .offset:         72
        .size:           8
        .value_kind:     by_value
      - .address_space:  global
        .offset:         80
        .size:           8
        .value_kind:     global_buffer
      - .offset:         88
        .size:           4
        .value_kind:     by_value
      - .offset:         96
        .size:           4
        .value_kind:     hidden_block_count_x
      - .offset:         100
        .size:           4
        .value_kind:     hidden_block_count_y
      - .offset:         104
        .size:           4
        .value_kind:     hidden_block_count_z
      - .offset:         108
        .size:           2
        .value_kind:     hidden_group_size_x
      - .offset:         110
        .size:           2
        .value_kind:     hidden_group_size_y
      - .offset:         112
        .size:           2
        .value_kind:     hidden_group_size_z
      - .offset:         114
        .size:           2
        .value_kind:     hidden_remainder_x
      - .offset:         116
        .size:           2
        .value_kind:     hidden_remainder_y
      - .offset:         118
        .size:           2
        .value_kind:     hidden_remainder_z
      - .offset:         136
        .size:           8
        .value_kind:     hidden_global_offset_x
      - .offset:         144
        .size:           8
        .value_kind:     hidden_global_offset_y
      - .offset:         152
        .size:           8
        .value_kind:     hidden_global_offset_z
      - .offset:         160
        .size:           2
        .value_kind:     hidden_grid_dims
    .group_segment_fixed_size: 20740
    .kernarg_segment_align: 8
    .kernarg_segment_size: 352
    .language:       OpenCL C
    .language_version:
      - 2
      - 0
    .max_flat_workgroup_size: 1024
    .name:           _ZL19rocblas_trsv_deviceILi64ELi16ELb1ELb1ELb1ELb0EfPKfPKS1_PKPfEviT7_lllT6_T8_lllPii
    .private_segment_fixed_size: 0
    .sgpr_count:     100
    .sgpr_spill_count: 64
    .symbol:         _ZL19rocblas_trsv_deviceILi64ELi16ELb1ELb1ELb1ELb0EfPKfPKS1_PKPfEviT7_lllT6_T8_lllPii.kd
    .uniform_work_group_size: 1
    .uses_dynamic_stack: false
    .vgpr_count:     34
    .vgpr_spill_count: 0
    .wavefront_size: 64
  - .args:
      - .offset:         0
        .size:           4
        .value_kind:     by_value
      - .address_space:  global
        .offset:         8
        .size:           8
        .value_kind:     global_buffer
      - .offset:         16
        .size:           8
        .value_kind:     by_value
      - .offset:         24
        .size:           8
        .value_kind:     by_value
      - .offset:         32
        .size:           8
        .value_kind:     by_value
      - .offset:         40
        .size:           4
        .value_kind:     by_value
      - .address_space:  global
        .offset:         48
        .size:           8
        .value_kind:     global_buffer
      - .offset:         56
        .size:           8
        .value_kind:     by_value
      - .offset:         64
        .size:           8
        .value_kind:     by_value
      - .offset:         72
        .size:           8
        .value_kind:     by_value
      - .address_space:  global
        .offset:         80
        .size:           8
        .value_kind:     global_buffer
      - .offset:         88
        .size:           4
        .value_kind:     by_value
      - .offset:         96
        .size:           4
        .value_kind:     hidden_block_count_x
      - .offset:         100
        .size:           4
        .value_kind:     hidden_block_count_y
      - .offset:         104
        .size:           4
        .value_kind:     hidden_block_count_z
      - .offset:         108
        .size:           2
        .value_kind:     hidden_group_size_x
      - .offset:         110
        .size:           2
        .value_kind:     hidden_group_size_y
      - .offset:         112
        .size:           2
        .value_kind:     hidden_group_size_z
      - .offset:         114
        .size:           2
        .value_kind:     hidden_remainder_x
      - .offset:         116
        .size:           2
        .value_kind:     hidden_remainder_y
      - .offset:         118
        .size:           2
        .value_kind:     hidden_remainder_z
      - .offset:         136
        .size:           8
        .value_kind:     hidden_global_offset_x
      - .offset:         144
        .size:           8
        .value_kind:     hidden_global_offset_y
      - .offset:         152
        .size:           8
        .value_kind:     hidden_global_offset_z
      - .offset:         160
        .size:           2
        .value_kind:     hidden_grid_dims
    .group_segment_fixed_size: 20740
    .kernarg_segment_align: 8
    .kernarg_segment_size: 352
    .language:       OpenCL C
    .language_version:
      - 2
      - 0
    .max_flat_workgroup_size: 1024
    .name:           _ZL19rocblas_trsv_deviceILi64ELi16ELb0ELb0ELb0ELb1EffPKPKfPKPfEviT7_lllT6_T8_lllPii
    .private_segment_fixed_size: 0
    .sgpr_count:     100
    .sgpr_spill_count: 50
    .symbol:         _ZL19rocblas_trsv_deviceILi64ELi16ELb0ELb0ELb0ELb1EffPKPKfPKPfEviT7_lllT6_T8_lllPii.kd
    .uniform_work_group_size: 1
    .uses_dynamic_stack: false
    .vgpr_count:     28
    .vgpr_spill_count: 0
    .wavefront_size: 64
  - .args:
      - .offset:         0
        .size:           4
        .value_kind:     by_value
      - .address_space:  global
        .offset:         8
        .size:           8
        .value_kind:     global_buffer
      - .offset:         16
        .size:           8
        .value_kind:     by_value
      - .offset:         24
        .size:           8
        .value_kind:     by_value
      - .offset:         32
        .size:           8
        .value_kind:     by_value
      - .offset:         40
        .size:           4
        .value_kind:     by_value
      - .address_space:  global
        .offset:         48
        .size:           8
        .value_kind:     global_buffer
      - .offset:         56
        .size:           8
        .value_kind:     by_value
      - .offset:         64
        .size:           8
        .value_kind:     by_value
      - .offset:         72
        .size:           8
        .value_kind:     by_value
      - .address_space:  global
        .offset:         80
        .size:           8
        .value_kind:     global_buffer
      - .offset:         88
        .size:           4
        .value_kind:     by_value
      - .offset:         96
        .size:           4
        .value_kind:     hidden_block_count_x
      - .offset:         100
        .size:           4
        .value_kind:     hidden_block_count_y
      - .offset:         104
        .size:           4
        .value_kind:     hidden_block_count_z
      - .offset:         108
        .size:           2
        .value_kind:     hidden_group_size_x
      - .offset:         110
        .size:           2
        .value_kind:     hidden_group_size_y
      - .offset:         112
        .size:           2
        .value_kind:     hidden_group_size_z
      - .offset:         114
        .size:           2
        .value_kind:     hidden_remainder_x
      - .offset:         116
        .size:           2
        .value_kind:     hidden_remainder_y
      - .offset:         118
        .size:           2
        .value_kind:     hidden_remainder_z
      - .offset:         136
        .size:           8
        .value_kind:     hidden_global_offset_x
      - .offset:         144
        .size:           8
        .value_kind:     hidden_global_offset_y
      - .offset:         152
        .size:           8
        .value_kind:     hidden_global_offset_z
      - .offset:         160
        .size:           2
        .value_kind:     hidden_grid_dims
    .group_segment_fixed_size: 20740
    .kernarg_segment_align: 8
    .kernarg_segment_size: 352
    .language:       OpenCL C
    .language_version:
      - 2
      - 0
    .max_flat_workgroup_size: 1024
    .name:           _ZL19rocblas_trsv_deviceILi64ELi16ELb0ELb1ELb0ELb1EffPKPKfPKPfEviT7_lllT6_T8_lllPii
    .private_segment_fixed_size: 0
    .sgpr_count:     100
    .sgpr_spill_count: 56
    .symbol:         _ZL19rocblas_trsv_deviceILi64ELi16ELb0ELb1ELb0ELb1EffPKPKfPKPfEviT7_lllT6_T8_lllPii.kd
    .uniform_work_group_size: 1
    .uses_dynamic_stack: false
    .vgpr_count:     29
    .vgpr_spill_count: 0
    .wavefront_size: 64
  - .args:
      - .offset:         0
        .size:           4
        .value_kind:     by_value
      - .address_space:  global
        .offset:         8
        .size:           8
        .value_kind:     global_buffer
      - .offset:         16
        .size:           8
        .value_kind:     by_value
      - .offset:         24
        .size:           8
        .value_kind:     by_value
      - .offset:         32
        .size:           8
        .value_kind:     by_value
      - .offset:         40
        .size:           4
        .value_kind:     by_value
      - .address_space:  global
        .offset:         48
        .size:           8
        .value_kind:     global_buffer
      - .offset:         56
        .size:           8
        .value_kind:     by_value
      - .offset:         64
        .size:           8
        .value_kind:     by_value
      - .offset:         72
        .size:           8
        .value_kind:     by_value
      - .address_space:  global
        .offset:         80
        .size:           8
        .value_kind:     global_buffer
      - .offset:         88
        .size:           4
        .value_kind:     by_value
      - .offset:         96
        .size:           4
        .value_kind:     hidden_block_count_x
      - .offset:         100
        .size:           4
        .value_kind:     hidden_block_count_y
      - .offset:         104
        .size:           4
        .value_kind:     hidden_block_count_z
      - .offset:         108
        .size:           2
        .value_kind:     hidden_group_size_x
      - .offset:         110
        .size:           2
        .value_kind:     hidden_group_size_y
      - .offset:         112
        .size:           2
        .value_kind:     hidden_group_size_z
      - .offset:         114
        .size:           2
        .value_kind:     hidden_remainder_x
      - .offset:         116
        .size:           2
        .value_kind:     hidden_remainder_y
      - .offset:         118
        .size:           2
        .value_kind:     hidden_remainder_z
      - .offset:         136
        .size:           8
        .value_kind:     hidden_global_offset_x
      - .offset:         144
        .size:           8
        .value_kind:     hidden_global_offset_y
      - .offset:         152
        .size:           8
        .value_kind:     hidden_global_offset_z
      - .offset:         160
        .size:           2
        .value_kind:     hidden_grid_dims
    .group_segment_fixed_size: 20740
    .kernarg_segment_align: 8
    .kernarg_segment_size: 352
    .language:       OpenCL C
    .language_version:
      - 2
      - 0
    .max_flat_workgroup_size: 1024
    .name:           _ZL19rocblas_trsv_deviceILi64ELi16ELb0ELb1ELb1ELb1EffPKPKfPKPfEviT7_lllT6_T8_lllPii
    .private_segment_fixed_size: 0
    .sgpr_count:     100
    .sgpr_spill_count: 56
    .symbol:         _ZL19rocblas_trsv_deviceILi64ELi16ELb0ELb1ELb1ELb1EffPKPKfPKPfEviT7_lllT6_T8_lllPii.kd
    .uniform_work_group_size: 1
    .uses_dynamic_stack: false
    .vgpr_count:     29
    .vgpr_spill_count: 0
    .wavefront_size: 64
  - .args:
      - .offset:         0
        .size:           4
        .value_kind:     by_value
      - .address_space:  global
        .offset:         8
        .size:           8
        .value_kind:     global_buffer
      - .offset:         16
        .size:           8
        .value_kind:     by_value
      - .offset:         24
        .size:           8
        .value_kind:     by_value
      - .offset:         32
        .size:           8
        .value_kind:     by_value
      - .offset:         40
        .size:           4
        .value_kind:     by_value
      - .address_space:  global
        .offset:         48
        .size:           8
        .value_kind:     global_buffer
      - .offset:         56
        .size:           8
        .value_kind:     by_value
      - .offset:         64
        .size:           8
        .value_kind:     by_value
      - .offset:         72
        .size:           8
        .value_kind:     by_value
      - .address_space:  global
        .offset:         80
        .size:           8
        .value_kind:     global_buffer
      - .offset:         88
        .size:           4
        .value_kind:     by_value
      - .offset:         96
        .size:           4
        .value_kind:     hidden_block_count_x
      - .offset:         100
        .size:           4
        .value_kind:     hidden_block_count_y
      - .offset:         104
        .size:           4
        .value_kind:     hidden_block_count_z
      - .offset:         108
        .size:           2
        .value_kind:     hidden_group_size_x
      - .offset:         110
        .size:           2
        .value_kind:     hidden_group_size_y
      - .offset:         112
        .size:           2
        .value_kind:     hidden_group_size_z
      - .offset:         114
        .size:           2
        .value_kind:     hidden_remainder_x
      - .offset:         116
        .size:           2
        .value_kind:     hidden_remainder_y
      - .offset:         118
        .size:           2
        .value_kind:     hidden_remainder_z
      - .offset:         136
        .size:           8
        .value_kind:     hidden_global_offset_x
      - .offset:         144
        .size:           8
        .value_kind:     hidden_global_offset_y
      - .offset:         152
        .size:           8
        .value_kind:     hidden_global_offset_z
      - .offset:         160
        .size:           2
        .value_kind:     hidden_grid_dims
    .group_segment_fixed_size: 20740
    .kernarg_segment_align: 8
    .kernarg_segment_size: 352
    .language:       OpenCL C
    .language_version:
      - 2
      - 0
    .max_flat_workgroup_size: 1024
    .name:           _ZL19rocblas_trsv_deviceILi64ELi16ELb0ELb0ELb0ELb0EffPKPKfPKPfEviT7_lllT6_T8_lllPii
    .private_segment_fixed_size: 0
    .sgpr_count:     100
    .sgpr_spill_count: 51
    .symbol:         _ZL19rocblas_trsv_deviceILi64ELi16ELb0ELb0ELb0ELb0EffPKPKfPKPfEviT7_lllT6_T8_lllPii.kd
    .uniform_work_group_size: 1
    .uses_dynamic_stack: false
    .vgpr_count:     28
    .vgpr_spill_count: 0
    .wavefront_size: 64
  - .args:
      - .offset:         0
        .size:           4
        .value_kind:     by_value
      - .address_space:  global
        .offset:         8
        .size:           8
        .value_kind:     global_buffer
      - .offset:         16
        .size:           8
        .value_kind:     by_value
      - .offset:         24
        .size:           8
        .value_kind:     by_value
      - .offset:         32
        .size:           8
        .value_kind:     by_value
      - .offset:         40
        .size:           4
        .value_kind:     by_value
      - .address_space:  global
        .offset:         48
        .size:           8
        .value_kind:     global_buffer
      - .offset:         56
        .size:           8
        .value_kind:     by_value
      - .offset:         64
        .size:           8
        .value_kind:     by_value
      - .offset:         72
        .size:           8
        .value_kind:     by_value
      - .address_space:  global
        .offset:         80
        .size:           8
        .value_kind:     global_buffer
      - .offset:         88
        .size:           4
        .value_kind:     by_value
      - .offset:         96
        .size:           4
        .value_kind:     hidden_block_count_x
      - .offset:         100
        .size:           4
        .value_kind:     hidden_block_count_y
      - .offset:         104
        .size:           4
        .value_kind:     hidden_block_count_z
      - .offset:         108
        .size:           2
        .value_kind:     hidden_group_size_x
      - .offset:         110
        .size:           2
        .value_kind:     hidden_group_size_y
      - .offset:         112
        .size:           2
        .value_kind:     hidden_group_size_z
      - .offset:         114
        .size:           2
        .value_kind:     hidden_remainder_x
      - .offset:         116
        .size:           2
        .value_kind:     hidden_remainder_y
      - .offset:         118
        .size:           2
        .value_kind:     hidden_remainder_z
      - .offset:         136
        .size:           8
        .value_kind:     hidden_global_offset_x
      - .offset:         144
        .size:           8
        .value_kind:     hidden_global_offset_y
      - .offset:         152
        .size:           8
        .value_kind:     hidden_global_offset_z
      - .offset:         160
        .size:           2
        .value_kind:     hidden_grid_dims
    .group_segment_fixed_size: 20740
    .kernarg_segment_align: 8
    .kernarg_segment_size: 352
    .language:       OpenCL C
    .language_version:
      - 2
      - 0
    .max_flat_workgroup_size: 1024
    .name:           _ZL19rocblas_trsv_deviceILi64ELi16ELb0ELb1ELb0ELb0EffPKPKfPKPfEviT7_lllT6_T8_lllPii
    .private_segment_fixed_size: 0
    .sgpr_count:     100
    .sgpr_spill_count: 59
    .symbol:         _ZL19rocblas_trsv_deviceILi64ELi16ELb0ELb1ELb0ELb0EffPKPKfPKPfEviT7_lllT6_T8_lllPii.kd
    .uniform_work_group_size: 1
    .uses_dynamic_stack: false
    .vgpr_count:     28
    .vgpr_spill_count: 0
    .wavefront_size: 64
  - .args:
      - .offset:         0
        .size:           4
        .value_kind:     by_value
      - .address_space:  global
        .offset:         8
        .size:           8
        .value_kind:     global_buffer
      - .offset:         16
        .size:           8
        .value_kind:     by_value
      - .offset:         24
        .size:           8
        .value_kind:     by_value
      - .offset:         32
        .size:           8
        .value_kind:     by_value
      - .offset:         40
        .size:           4
        .value_kind:     by_value
      - .address_space:  global
        .offset:         48
        .size:           8
        .value_kind:     global_buffer
      - .offset:         56
        .size:           8
        .value_kind:     by_value
      - .offset:         64
        .size:           8
        .value_kind:     by_value
      - .offset:         72
        .size:           8
        .value_kind:     by_value
      - .address_space:  global
        .offset:         80
        .size:           8
        .value_kind:     global_buffer
      - .offset:         88
        .size:           4
        .value_kind:     by_value
      - .offset:         96
        .size:           4
        .value_kind:     hidden_block_count_x
      - .offset:         100
        .size:           4
        .value_kind:     hidden_block_count_y
      - .offset:         104
        .size:           4
        .value_kind:     hidden_block_count_z
      - .offset:         108
        .size:           2
        .value_kind:     hidden_group_size_x
      - .offset:         110
        .size:           2
        .value_kind:     hidden_group_size_y
      - .offset:         112
        .size:           2
        .value_kind:     hidden_group_size_z
      - .offset:         114
        .size:           2
        .value_kind:     hidden_remainder_x
      - .offset:         116
        .size:           2
        .value_kind:     hidden_remainder_y
      - .offset:         118
        .size:           2
        .value_kind:     hidden_remainder_z
      - .offset:         136
        .size:           8
        .value_kind:     hidden_global_offset_x
      - .offset:         144
        .size:           8
        .value_kind:     hidden_global_offset_y
      - .offset:         152
        .size:           8
        .value_kind:     hidden_global_offset_z
      - .offset:         160
        .size:           2
        .value_kind:     hidden_grid_dims
    .group_segment_fixed_size: 20740
    .kernarg_segment_align: 8
    .kernarg_segment_size: 352
    .language:       OpenCL C
    .language_version:
      - 2
      - 0
    .max_flat_workgroup_size: 1024
    .name:           _ZL19rocblas_trsv_deviceILi64ELi16ELb0ELb1ELb1ELb0EffPKPKfPKPfEviT7_lllT6_T8_lllPii
    .private_segment_fixed_size: 0
    .sgpr_count:     100
    .sgpr_spill_count: 59
    .symbol:         _ZL19rocblas_trsv_deviceILi64ELi16ELb0ELb1ELb1ELb0EffPKPKfPKPfEviT7_lllT6_T8_lllPii.kd
    .uniform_work_group_size: 1
    .uses_dynamic_stack: false
    .vgpr_count:     28
    .vgpr_spill_count: 0
    .wavefront_size: 64
  - .args:
      - .offset:         0
        .size:           4
        .value_kind:     by_value
      - .address_space:  global
        .offset:         8
        .size:           8
        .value_kind:     global_buffer
      - .offset:         16
        .size:           8
        .value_kind:     by_value
      - .offset:         24
        .size:           8
        .value_kind:     by_value
      - .offset:         32
        .size:           8
        .value_kind:     by_value
      - .offset:         40
        .size:           4
        .value_kind:     by_value
      - .address_space:  global
        .offset:         48
        .size:           8
        .value_kind:     global_buffer
      - .offset:         56
        .size:           8
        .value_kind:     by_value
      - .offset:         64
        .size:           8
        .value_kind:     by_value
      - .offset:         72
        .size:           8
        .value_kind:     by_value
      - .address_space:  global
        .offset:         80
        .size:           8
        .value_kind:     global_buffer
      - .offset:         88
        .size:           4
        .value_kind:     by_value
      - .offset:         96
        .size:           4
        .value_kind:     hidden_block_count_x
      - .offset:         100
        .size:           4
        .value_kind:     hidden_block_count_y
      - .offset:         104
        .size:           4
        .value_kind:     hidden_block_count_z
      - .offset:         108
        .size:           2
        .value_kind:     hidden_group_size_x
      - .offset:         110
        .size:           2
        .value_kind:     hidden_group_size_y
      - .offset:         112
        .size:           2
        .value_kind:     hidden_group_size_z
      - .offset:         114
        .size:           2
        .value_kind:     hidden_remainder_x
      - .offset:         116
        .size:           2
        .value_kind:     hidden_remainder_y
      - .offset:         118
        .size:           2
        .value_kind:     hidden_remainder_z
      - .offset:         136
        .size:           8
        .value_kind:     hidden_global_offset_x
      - .offset:         144
        .size:           8
        .value_kind:     hidden_global_offset_y
      - .offset:         152
        .size:           8
        .value_kind:     hidden_global_offset_z
      - .offset:         160
        .size:           2
        .value_kind:     hidden_grid_dims
    .group_segment_fixed_size: 20740
    .kernarg_segment_align: 8
    .kernarg_segment_size: 352
    .language:       OpenCL C
    .language_version:
      - 2
      - 0
    .max_flat_workgroup_size: 1024
    .name:           _ZL19rocblas_trsv_deviceILi64ELi16ELb1ELb0ELb0ELb1EffPKPKfPKPfEviT7_lllT6_T8_lllPii
    .private_segment_fixed_size: 0
    .sgpr_count:     100
    .sgpr_spill_count: 46
    .symbol:         _ZL19rocblas_trsv_deviceILi64ELi16ELb1ELb0ELb0ELb1EffPKPKfPKPfEviT7_lllT6_T8_lllPii.kd
    .uniform_work_group_size: 1
    .uses_dynamic_stack: false
    .vgpr_count:     35
    .vgpr_spill_count: 0
    .wavefront_size: 64
  - .args:
      - .offset:         0
        .size:           4
        .value_kind:     by_value
      - .address_space:  global
        .offset:         8
        .size:           8
        .value_kind:     global_buffer
      - .offset:         16
        .size:           8
        .value_kind:     by_value
      - .offset:         24
        .size:           8
        .value_kind:     by_value
      - .offset:         32
        .size:           8
        .value_kind:     by_value
      - .offset:         40
        .size:           4
        .value_kind:     by_value
      - .address_space:  global
        .offset:         48
        .size:           8
        .value_kind:     global_buffer
      - .offset:         56
        .size:           8
        .value_kind:     by_value
      - .offset:         64
        .size:           8
        .value_kind:     by_value
      - .offset:         72
        .size:           8
        .value_kind:     by_value
      - .address_space:  global
        .offset:         80
        .size:           8
        .value_kind:     global_buffer
      - .offset:         88
        .size:           4
        .value_kind:     by_value
      - .offset:         96
        .size:           4
        .value_kind:     hidden_block_count_x
      - .offset:         100
        .size:           4
        .value_kind:     hidden_block_count_y
      - .offset:         104
        .size:           4
        .value_kind:     hidden_block_count_z
      - .offset:         108
        .size:           2
        .value_kind:     hidden_group_size_x
      - .offset:         110
        .size:           2
        .value_kind:     hidden_group_size_y
      - .offset:         112
        .size:           2
        .value_kind:     hidden_group_size_z
      - .offset:         114
        .size:           2
        .value_kind:     hidden_remainder_x
      - .offset:         116
        .size:           2
        .value_kind:     hidden_remainder_y
      - .offset:         118
        .size:           2
        .value_kind:     hidden_remainder_z
      - .offset:         136
        .size:           8
        .value_kind:     hidden_global_offset_x
      - .offset:         144
        .size:           8
        .value_kind:     hidden_global_offset_y
      - .offset:         152
        .size:           8
        .value_kind:     hidden_global_offset_z
      - .offset:         160
        .size:           2
        .value_kind:     hidden_grid_dims
    .group_segment_fixed_size: 20740
    .kernarg_segment_align: 8
    .kernarg_segment_size: 352
    .language:       OpenCL C
    .language_version:
      - 2
      - 0
    .max_flat_workgroup_size: 1024
    .name:           _ZL19rocblas_trsv_deviceILi64ELi16ELb1ELb1ELb0ELb1EffPKPKfPKPfEviT7_lllT6_T8_lllPii
    .private_segment_fixed_size: 0
    .sgpr_count:     100
    .sgpr_spill_count: 60
    .symbol:         _ZL19rocblas_trsv_deviceILi64ELi16ELb1ELb1ELb0ELb1EffPKPKfPKPfEviT7_lllT6_T8_lllPii.kd
    .uniform_work_group_size: 1
    .uses_dynamic_stack: false
    .vgpr_count:     34
    .vgpr_spill_count: 0
    .wavefront_size: 64
  - .args:
      - .offset:         0
        .size:           4
        .value_kind:     by_value
      - .address_space:  global
        .offset:         8
        .size:           8
        .value_kind:     global_buffer
      - .offset:         16
        .size:           8
        .value_kind:     by_value
      - .offset:         24
        .size:           8
        .value_kind:     by_value
      - .offset:         32
        .size:           8
        .value_kind:     by_value
      - .offset:         40
        .size:           4
        .value_kind:     by_value
      - .address_space:  global
        .offset:         48
        .size:           8
        .value_kind:     global_buffer
      - .offset:         56
        .size:           8
        .value_kind:     by_value
      - .offset:         64
        .size:           8
        .value_kind:     by_value
      - .offset:         72
        .size:           8
        .value_kind:     by_value
      - .address_space:  global
        .offset:         80
        .size:           8
        .value_kind:     global_buffer
      - .offset:         88
        .size:           4
        .value_kind:     by_value
      - .offset:         96
        .size:           4
        .value_kind:     hidden_block_count_x
      - .offset:         100
        .size:           4
        .value_kind:     hidden_block_count_y
      - .offset:         104
        .size:           4
        .value_kind:     hidden_block_count_z
      - .offset:         108
        .size:           2
        .value_kind:     hidden_group_size_x
      - .offset:         110
        .size:           2
        .value_kind:     hidden_group_size_y
      - .offset:         112
        .size:           2
        .value_kind:     hidden_group_size_z
      - .offset:         114
        .size:           2
        .value_kind:     hidden_remainder_x
      - .offset:         116
        .size:           2
        .value_kind:     hidden_remainder_y
      - .offset:         118
        .size:           2
        .value_kind:     hidden_remainder_z
      - .offset:         136
        .size:           8
        .value_kind:     hidden_global_offset_x
      - .offset:         144
        .size:           8
        .value_kind:     hidden_global_offset_y
      - .offset:         152
        .size:           8
        .value_kind:     hidden_global_offset_z
      - .offset:         160
        .size:           2
        .value_kind:     hidden_grid_dims
    .group_segment_fixed_size: 20740
    .kernarg_segment_align: 8
    .kernarg_segment_size: 352
    .language:       OpenCL C
    .language_version:
      - 2
      - 0
    .max_flat_workgroup_size: 1024
    .name:           _ZL19rocblas_trsv_deviceILi64ELi16ELb1ELb1ELb1ELb1EffPKPKfPKPfEviT7_lllT6_T8_lllPii
    .private_segment_fixed_size: 0
    .sgpr_count:     100
    .sgpr_spill_count: 60
    .symbol:         _ZL19rocblas_trsv_deviceILi64ELi16ELb1ELb1ELb1ELb1EffPKPKfPKPfEviT7_lllT6_T8_lllPii.kd
    .uniform_work_group_size: 1
    .uses_dynamic_stack: false
    .vgpr_count:     34
    .vgpr_spill_count: 0
    .wavefront_size: 64
  - .args:
      - .offset:         0
        .size:           4
        .value_kind:     by_value
      - .address_space:  global
        .offset:         8
        .size:           8
        .value_kind:     global_buffer
      - .offset:         16
        .size:           8
        .value_kind:     by_value
      - .offset:         24
        .size:           8
        .value_kind:     by_value
      - .offset:         32
        .size:           8
        .value_kind:     by_value
      - .offset:         40
        .size:           4
        .value_kind:     by_value
      - .address_space:  global
        .offset:         48
        .size:           8
        .value_kind:     global_buffer
      - .offset:         56
        .size:           8
        .value_kind:     by_value
      - .offset:         64
        .size:           8
        .value_kind:     by_value
      - .offset:         72
        .size:           8
        .value_kind:     by_value
      - .address_space:  global
        .offset:         80
        .size:           8
        .value_kind:     global_buffer
      - .offset:         88
        .size:           4
        .value_kind:     by_value
      - .offset:         96
        .size:           4
        .value_kind:     hidden_block_count_x
      - .offset:         100
        .size:           4
        .value_kind:     hidden_block_count_y
      - .offset:         104
        .size:           4
        .value_kind:     hidden_block_count_z
      - .offset:         108
        .size:           2
        .value_kind:     hidden_group_size_x
      - .offset:         110
        .size:           2
        .value_kind:     hidden_group_size_y
      - .offset:         112
        .size:           2
        .value_kind:     hidden_group_size_z
      - .offset:         114
        .size:           2
        .value_kind:     hidden_remainder_x
      - .offset:         116
        .size:           2
        .value_kind:     hidden_remainder_y
      - .offset:         118
        .size:           2
        .value_kind:     hidden_remainder_z
      - .offset:         136
        .size:           8
        .value_kind:     hidden_global_offset_x
      - .offset:         144
        .size:           8
        .value_kind:     hidden_global_offset_y
      - .offset:         152
        .size:           8
        .value_kind:     hidden_global_offset_z
      - .offset:         160
        .size:           2
        .value_kind:     hidden_grid_dims
    .group_segment_fixed_size: 20740
    .kernarg_segment_align: 8
    .kernarg_segment_size: 352
    .language:       OpenCL C
    .language_version:
      - 2
      - 0
    .max_flat_workgroup_size: 1024
    .name:           _ZL19rocblas_trsv_deviceILi64ELi16ELb1ELb0ELb0ELb0EffPKPKfPKPfEviT7_lllT6_T8_lllPii
    .private_segment_fixed_size: 0
    .sgpr_count:     100
    .sgpr_spill_count: 49
    .symbol:         _ZL19rocblas_trsv_deviceILi64ELi16ELb1ELb0ELb0ELb0EffPKPKfPKPfEviT7_lllT6_T8_lllPii.kd
    .uniform_work_group_size: 1
    .uses_dynamic_stack: false
    .vgpr_count:     34
    .vgpr_spill_count: 0
    .wavefront_size: 64
  - .args:
      - .offset:         0
        .size:           4
        .value_kind:     by_value
      - .address_space:  global
        .offset:         8
        .size:           8
        .value_kind:     global_buffer
      - .offset:         16
        .size:           8
        .value_kind:     by_value
      - .offset:         24
        .size:           8
        .value_kind:     by_value
      - .offset:         32
        .size:           8
        .value_kind:     by_value
      - .offset:         40
        .size:           4
        .value_kind:     by_value
      - .address_space:  global
        .offset:         48
        .size:           8
        .value_kind:     global_buffer
      - .offset:         56
        .size:           8
        .value_kind:     by_value
      - .offset:         64
        .size:           8
        .value_kind:     by_value
      - .offset:         72
        .size:           8
        .value_kind:     by_value
      - .address_space:  global
        .offset:         80
        .size:           8
        .value_kind:     global_buffer
      - .offset:         88
        .size:           4
        .value_kind:     by_value
      - .offset:         96
        .size:           4
        .value_kind:     hidden_block_count_x
      - .offset:         100
        .size:           4
        .value_kind:     hidden_block_count_y
      - .offset:         104
        .size:           4
        .value_kind:     hidden_block_count_z
      - .offset:         108
        .size:           2
        .value_kind:     hidden_group_size_x
      - .offset:         110
        .size:           2
        .value_kind:     hidden_group_size_y
      - .offset:         112
        .size:           2
        .value_kind:     hidden_group_size_z
      - .offset:         114
        .size:           2
        .value_kind:     hidden_remainder_x
      - .offset:         116
        .size:           2
        .value_kind:     hidden_remainder_y
      - .offset:         118
        .size:           2
        .value_kind:     hidden_remainder_z
      - .offset:         136
        .size:           8
        .value_kind:     hidden_global_offset_x
      - .offset:         144
        .size:           8
        .value_kind:     hidden_global_offset_y
      - .offset:         152
        .size:           8
        .value_kind:     hidden_global_offset_z
      - .offset:         160
        .size:           2
        .value_kind:     hidden_grid_dims
    .group_segment_fixed_size: 20740
    .kernarg_segment_align: 8
    .kernarg_segment_size: 352
    .language:       OpenCL C
    .language_version:
      - 2
      - 0
    .max_flat_workgroup_size: 1024
    .name:           _ZL19rocblas_trsv_deviceILi64ELi16ELb1ELb1ELb0ELb0EffPKPKfPKPfEviT7_lllT6_T8_lllPii
    .private_segment_fixed_size: 0
    .sgpr_count:     100
    .sgpr_spill_count: 61
    .symbol:         _ZL19rocblas_trsv_deviceILi64ELi16ELb1ELb1ELb0ELb0EffPKPKfPKPfEviT7_lllT6_T8_lllPii.kd
    .uniform_work_group_size: 1
    .uses_dynamic_stack: false
    .vgpr_count:     34
    .vgpr_spill_count: 0
    .wavefront_size: 64
  - .args:
      - .offset:         0
        .size:           4
        .value_kind:     by_value
      - .address_space:  global
        .offset:         8
        .size:           8
        .value_kind:     global_buffer
      - .offset:         16
        .size:           8
        .value_kind:     by_value
      - .offset:         24
        .size:           8
        .value_kind:     by_value
      - .offset:         32
        .size:           8
        .value_kind:     by_value
      - .offset:         40
        .size:           4
        .value_kind:     by_value
      - .address_space:  global
        .offset:         48
        .size:           8
        .value_kind:     global_buffer
      - .offset:         56
        .size:           8
        .value_kind:     by_value
      - .offset:         64
        .size:           8
        .value_kind:     by_value
      - .offset:         72
        .size:           8
        .value_kind:     by_value
      - .address_space:  global
        .offset:         80
        .size:           8
        .value_kind:     global_buffer
      - .offset:         88
        .size:           4
        .value_kind:     by_value
      - .offset:         96
        .size:           4
        .value_kind:     hidden_block_count_x
      - .offset:         100
        .size:           4
        .value_kind:     hidden_block_count_y
      - .offset:         104
        .size:           4
        .value_kind:     hidden_block_count_z
      - .offset:         108
        .size:           2
        .value_kind:     hidden_group_size_x
      - .offset:         110
        .size:           2
        .value_kind:     hidden_group_size_y
      - .offset:         112
        .size:           2
        .value_kind:     hidden_group_size_z
      - .offset:         114
        .size:           2
        .value_kind:     hidden_remainder_x
      - .offset:         116
        .size:           2
        .value_kind:     hidden_remainder_y
      - .offset:         118
        .size:           2
        .value_kind:     hidden_remainder_z
      - .offset:         136
        .size:           8
        .value_kind:     hidden_global_offset_x
      - .offset:         144
        .size:           8
        .value_kind:     hidden_global_offset_y
      - .offset:         152
        .size:           8
        .value_kind:     hidden_global_offset_z
      - .offset:         160
        .size:           2
        .value_kind:     hidden_grid_dims
    .group_segment_fixed_size: 20740
    .kernarg_segment_align: 8
    .kernarg_segment_size: 352
    .language:       OpenCL C
    .language_version:
      - 2
      - 0
    .max_flat_workgroup_size: 1024
    .name:           _ZL19rocblas_trsv_deviceILi64ELi16ELb1ELb1ELb1ELb0EffPKPKfPKPfEviT7_lllT6_T8_lllPii
    .private_segment_fixed_size: 0
    .sgpr_count:     100
    .sgpr_spill_count: 61
    .symbol:         _ZL19rocblas_trsv_deviceILi64ELi16ELb1ELb1ELb1ELb0EffPKPKfPKPfEviT7_lllT6_T8_lllPii.kd
    .uniform_work_group_size: 1
    .uses_dynamic_stack: false
    .vgpr_count:     34
    .vgpr_spill_count: 0
    .wavefront_size: 64
  - .args:
      - .offset:         0
        .size:           4
        .value_kind:     by_value
      - .address_space:  global
        .offset:         8
        .size:           8
        .value_kind:     global_buffer
      - .offset:         16
        .size:           8
        .value_kind:     by_value
      - .offset:         24
        .size:           8
        .value_kind:     by_value
      - .offset:         32
        .size:           8
        .value_kind:     by_value
      - .address_space:  global
        .offset:         40
        .size:           8
        .value_kind:     global_buffer
      - .address_space:  global
        .offset:         48
        .size:           8
        .value_kind:     global_buffer
      - .offset:         56
        .size:           8
        .value_kind:     by_value
      - .offset:         64
        .size:           8
        .value_kind:     by_value
      - .offset:         72
        .size:           8
        .value_kind:     by_value
      - .address_space:  global
        .offset:         80
        .size:           8
        .value_kind:     global_buffer
      - .offset:         88
        .size:           4
        .value_kind:     by_value
      - .offset:         96
        .size:           4
        .value_kind:     hidden_block_count_x
      - .offset:         100
        .size:           4
        .value_kind:     hidden_block_count_y
      - .offset:         104
        .size:           4
        .value_kind:     hidden_block_count_z
      - .offset:         108
        .size:           2
        .value_kind:     hidden_group_size_x
      - .offset:         110
        .size:           2
        .value_kind:     hidden_group_size_y
      - .offset:         112
        .size:           2
        .value_kind:     hidden_group_size_z
      - .offset:         114
        .size:           2
        .value_kind:     hidden_remainder_x
      - .offset:         116
        .size:           2
        .value_kind:     hidden_remainder_y
      - .offset:         118
        .size:           2
        .value_kind:     hidden_remainder_z
      - .offset:         136
        .size:           8
        .value_kind:     hidden_global_offset_x
      - .offset:         144
        .size:           8
        .value_kind:     hidden_global_offset_y
      - .offset:         152
        .size:           8
        .value_kind:     hidden_global_offset_z
      - .offset:         160
        .size:           2
        .value_kind:     hidden_grid_dims
    .group_segment_fixed_size: 41480
    .kernarg_segment_align: 8
    .kernarg_segment_size: 352
    .language:       OpenCL C
    .language_version:
      - 2
      - 0
    .max_flat_workgroup_size: 1024
    .name:           _ZL19rocblas_trsv_deviceILi64ELi16ELb0ELb0ELb0ELb1EdPKdPKS1_PKPdEviT7_lllT6_T8_lllPii
    .private_segment_fixed_size: 0
    .sgpr_count:     100
    .sgpr_spill_count: 54
    .symbol:         _ZL19rocblas_trsv_deviceILi64ELi16ELb0ELb0ELb0ELb1EdPKdPKS1_PKPdEviT7_lllT6_T8_lllPii.kd
    .uniform_work_group_size: 1
    .uses_dynamic_stack: false
    .vgpr_count:     35
    .vgpr_spill_count: 0
    .wavefront_size: 64
  - .args:
      - .offset:         0
        .size:           4
        .value_kind:     by_value
      - .address_space:  global
        .offset:         8
        .size:           8
        .value_kind:     global_buffer
      - .offset:         16
        .size:           8
        .value_kind:     by_value
      - .offset:         24
        .size:           8
        .value_kind:     by_value
      - .offset:         32
        .size:           8
        .value_kind:     by_value
      - .address_space:  global
        .offset:         40
        .size:           8
        .value_kind:     global_buffer
      - .address_space:  global
        .offset:         48
        .size:           8
        .value_kind:     global_buffer
      - .offset:         56
        .size:           8
        .value_kind:     by_value
      - .offset:         64
        .size:           8
        .value_kind:     by_value
      - .offset:         72
        .size:           8
        .value_kind:     by_value
      - .address_space:  global
        .offset:         80
        .size:           8
        .value_kind:     global_buffer
      - .offset:         88
        .size:           4
        .value_kind:     by_value
      - .offset:         96
        .size:           4
        .value_kind:     hidden_block_count_x
      - .offset:         100
        .size:           4
        .value_kind:     hidden_block_count_y
      - .offset:         104
        .size:           4
        .value_kind:     hidden_block_count_z
      - .offset:         108
        .size:           2
        .value_kind:     hidden_group_size_x
      - .offset:         110
        .size:           2
        .value_kind:     hidden_group_size_y
      - .offset:         112
        .size:           2
        .value_kind:     hidden_group_size_z
      - .offset:         114
        .size:           2
        .value_kind:     hidden_remainder_x
      - .offset:         116
        .size:           2
        .value_kind:     hidden_remainder_y
      - .offset:         118
        .size:           2
        .value_kind:     hidden_remainder_z
      - .offset:         136
        .size:           8
        .value_kind:     hidden_global_offset_x
      - .offset:         144
        .size:           8
        .value_kind:     hidden_global_offset_y
      - .offset:         152
        .size:           8
        .value_kind:     hidden_global_offset_z
      - .offset:         160
        .size:           2
        .value_kind:     hidden_grid_dims
    .group_segment_fixed_size: 41480
    .kernarg_segment_align: 8
    .kernarg_segment_size: 352
    .language:       OpenCL C
    .language_version:
      - 2
      - 0
    .max_flat_workgroup_size: 1024
    .name:           _ZL19rocblas_trsv_deviceILi64ELi16ELb0ELb1ELb0ELb1EdPKdPKS1_PKPdEviT7_lllT6_T8_lllPii
    .private_segment_fixed_size: 0
    .sgpr_count:     100
    .sgpr_spill_count: 60
    .symbol:         _ZL19rocblas_trsv_deviceILi64ELi16ELb0ELb1ELb0ELb1EdPKdPKS1_PKPdEviT7_lllT6_T8_lllPii.kd
    .uniform_work_group_size: 1
    .uses_dynamic_stack: false
    .vgpr_count:     36
    .vgpr_spill_count: 0
    .wavefront_size: 64
  - .args:
      - .offset:         0
        .size:           4
        .value_kind:     by_value
      - .address_space:  global
        .offset:         8
        .size:           8
        .value_kind:     global_buffer
      - .offset:         16
        .size:           8
        .value_kind:     by_value
      - .offset:         24
        .size:           8
        .value_kind:     by_value
      - .offset:         32
        .size:           8
        .value_kind:     by_value
      - .address_space:  global
        .offset:         40
        .size:           8
        .value_kind:     global_buffer
      - .address_space:  global
        .offset:         48
        .size:           8
        .value_kind:     global_buffer
      - .offset:         56
        .size:           8
        .value_kind:     by_value
      - .offset:         64
        .size:           8
        .value_kind:     by_value
      - .offset:         72
        .size:           8
        .value_kind:     by_value
      - .address_space:  global
        .offset:         80
        .size:           8
        .value_kind:     global_buffer
      - .offset:         88
        .size:           4
        .value_kind:     by_value
      - .offset:         96
        .size:           4
        .value_kind:     hidden_block_count_x
      - .offset:         100
        .size:           4
        .value_kind:     hidden_block_count_y
      - .offset:         104
        .size:           4
        .value_kind:     hidden_block_count_z
      - .offset:         108
        .size:           2
        .value_kind:     hidden_group_size_x
      - .offset:         110
        .size:           2
        .value_kind:     hidden_group_size_y
      - .offset:         112
        .size:           2
        .value_kind:     hidden_group_size_z
      - .offset:         114
        .size:           2
        .value_kind:     hidden_remainder_x
      - .offset:         116
        .size:           2
        .value_kind:     hidden_remainder_y
      - .offset:         118
        .size:           2
        .value_kind:     hidden_remainder_z
      - .offset:         136
        .size:           8
        .value_kind:     hidden_global_offset_x
      - .offset:         144
        .size:           8
        .value_kind:     hidden_global_offset_y
      - .offset:         152
        .size:           8
        .value_kind:     hidden_global_offset_z
      - .offset:         160
        .size:           2
        .value_kind:     hidden_grid_dims
    .group_segment_fixed_size: 41480
    .kernarg_segment_align: 8
    .kernarg_segment_size: 352
    .language:       OpenCL C
    .language_version:
      - 2
      - 0
    .max_flat_workgroup_size: 1024
    .name:           _ZL19rocblas_trsv_deviceILi64ELi16ELb0ELb1ELb1ELb1EdPKdPKS1_PKPdEviT7_lllT6_T8_lllPii
    .private_segment_fixed_size: 0
    .sgpr_count:     100
    .sgpr_spill_count: 60
    .symbol:         _ZL19rocblas_trsv_deviceILi64ELi16ELb0ELb1ELb1ELb1EdPKdPKS1_PKPdEviT7_lllT6_T8_lllPii.kd
    .uniform_work_group_size: 1
    .uses_dynamic_stack: false
    .vgpr_count:     36
    .vgpr_spill_count: 0
    .wavefront_size: 64
  - .args:
      - .offset:         0
        .size:           4
        .value_kind:     by_value
      - .address_space:  global
        .offset:         8
        .size:           8
        .value_kind:     global_buffer
      - .offset:         16
        .size:           8
        .value_kind:     by_value
      - .offset:         24
        .size:           8
        .value_kind:     by_value
      - .offset:         32
        .size:           8
        .value_kind:     by_value
      - .address_space:  global
        .offset:         40
        .size:           8
        .value_kind:     global_buffer
      - .address_space:  global
        .offset:         48
        .size:           8
        .value_kind:     global_buffer
      - .offset:         56
        .size:           8
        .value_kind:     by_value
      - .offset:         64
        .size:           8
        .value_kind:     by_value
      - .offset:         72
        .size:           8
        .value_kind:     by_value
      - .address_space:  global
        .offset:         80
        .size:           8
        .value_kind:     global_buffer
      - .offset:         88
        .size:           4
        .value_kind:     by_value
      - .offset:         96
        .size:           4
        .value_kind:     hidden_block_count_x
      - .offset:         100
        .size:           4
        .value_kind:     hidden_block_count_y
      - .offset:         104
        .size:           4
        .value_kind:     hidden_block_count_z
      - .offset:         108
        .size:           2
        .value_kind:     hidden_group_size_x
      - .offset:         110
        .size:           2
        .value_kind:     hidden_group_size_y
      - .offset:         112
        .size:           2
        .value_kind:     hidden_group_size_z
      - .offset:         114
        .size:           2
        .value_kind:     hidden_remainder_x
      - .offset:         116
        .size:           2
        .value_kind:     hidden_remainder_y
      - .offset:         118
        .size:           2
        .value_kind:     hidden_remainder_z
      - .offset:         136
        .size:           8
        .value_kind:     hidden_global_offset_x
      - .offset:         144
        .size:           8
        .value_kind:     hidden_global_offset_y
      - .offset:         152
        .size:           8
        .value_kind:     hidden_global_offset_z
      - .offset:         160
        .size:           2
        .value_kind:     hidden_grid_dims
    .group_segment_fixed_size: 41480
    .kernarg_segment_align: 8
    .kernarg_segment_size: 352
    .language:       OpenCL C
    .language_version:
      - 2
      - 0
    .max_flat_workgroup_size: 1024
    .name:           _ZL19rocblas_trsv_deviceILi64ELi16ELb0ELb0ELb0ELb0EdPKdPKS1_PKPdEviT7_lllT6_T8_lllPii
    .private_segment_fixed_size: 0
    .sgpr_count:     100
    .sgpr_spill_count: 55
    .symbol:         _ZL19rocblas_trsv_deviceILi64ELi16ELb0ELb0ELb0ELb0EdPKdPKS1_PKPdEviT7_lllT6_T8_lllPii.kd
    .uniform_work_group_size: 1
    .uses_dynamic_stack: false
    .vgpr_count:     37
    .vgpr_spill_count: 0
    .wavefront_size: 64
  - .args:
      - .offset:         0
        .size:           4
        .value_kind:     by_value
      - .address_space:  global
        .offset:         8
        .size:           8
        .value_kind:     global_buffer
      - .offset:         16
        .size:           8
        .value_kind:     by_value
      - .offset:         24
        .size:           8
        .value_kind:     by_value
      - .offset:         32
        .size:           8
        .value_kind:     by_value
      - .address_space:  global
        .offset:         40
        .size:           8
        .value_kind:     global_buffer
      - .address_space:  global
        .offset:         48
        .size:           8
        .value_kind:     global_buffer
      - .offset:         56
        .size:           8
        .value_kind:     by_value
      - .offset:         64
        .size:           8
        .value_kind:     by_value
      - .offset:         72
        .size:           8
        .value_kind:     by_value
      - .address_space:  global
        .offset:         80
        .size:           8
        .value_kind:     global_buffer
      - .offset:         88
        .size:           4
        .value_kind:     by_value
      - .offset:         96
        .size:           4
        .value_kind:     hidden_block_count_x
      - .offset:         100
        .size:           4
        .value_kind:     hidden_block_count_y
      - .offset:         104
        .size:           4
        .value_kind:     hidden_block_count_z
      - .offset:         108
        .size:           2
        .value_kind:     hidden_group_size_x
      - .offset:         110
        .size:           2
        .value_kind:     hidden_group_size_y
      - .offset:         112
        .size:           2
        .value_kind:     hidden_group_size_z
      - .offset:         114
        .size:           2
        .value_kind:     hidden_remainder_x
      - .offset:         116
        .size:           2
        .value_kind:     hidden_remainder_y
      - .offset:         118
        .size:           2
        .value_kind:     hidden_remainder_z
      - .offset:         136
        .size:           8
        .value_kind:     hidden_global_offset_x
      - .offset:         144
        .size:           8
        .value_kind:     hidden_global_offset_y
      - .offset:         152
        .size:           8
        .value_kind:     hidden_global_offset_z
      - .offset:         160
        .size:           2
        .value_kind:     hidden_grid_dims
    .group_segment_fixed_size: 41480
    .kernarg_segment_align: 8
    .kernarg_segment_size: 352
    .language:       OpenCL C
    .language_version:
      - 2
      - 0
    .max_flat_workgroup_size: 1024
    .name:           _ZL19rocblas_trsv_deviceILi64ELi16ELb0ELb1ELb0ELb0EdPKdPKS1_PKPdEviT7_lllT6_T8_lllPii
    .private_segment_fixed_size: 0
    .sgpr_count:     100
    .sgpr_spill_count: 63
    .symbol:         _ZL19rocblas_trsv_deviceILi64ELi16ELb0ELb1ELb0ELb0EdPKdPKS1_PKPdEviT7_lllT6_T8_lllPii.kd
    .uniform_work_group_size: 1
    .uses_dynamic_stack: false
    .vgpr_count:     37
    .vgpr_spill_count: 0
    .wavefront_size: 64
  - .args:
      - .offset:         0
        .size:           4
        .value_kind:     by_value
      - .address_space:  global
        .offset:         8
        .size:           8
        .value_kind:     global_buffer
      - .offset:         16
        .size:           8
        .value_kind:     by_value
      - .offset:         24
        .size:           8
        .value_kind:     by_value
      - .offset:         32
        .size:           8
        .value_kind:     by_value
      - .address_space:  global
        .offset:         40
        .size:           8
        .value_kind:     global_buffer
      - .address_space:  global
        .offset:         48
        .size:           8
        .value_kind:     global_buffer
      - .offset:         56
        .size:           8
        .value_kind:     by_value
      - .offset:         64
        .size:           8
        .value_kind:     by_value
      - .offset:         72
        .size:           8
        .value_kind:     by_value
      - .address_space:  global
        .offset:         80
        .size:           8
        .value_kind:     global_buffer
      - .offset:         88
        .size:           4
        .value_kind:     by_value
      - .offset:         96
        .size:           4
        .value_kind:     hidden_block_count_x
      - .offset:         100
        .size:           4
        .value_kind:     hidden_block_count_y
      - .offset:         104
        .size:           4
        .value_kind:     hidden_block_count_z
      - .offset:         108
        .size:           2
        .value_kind:     hidden_group_size_x
      - .offset:         110
        .size:           2
        .value_kind:     hidden_group_size_y
      - .offset:         112
        .size:           2
        .value_kind:     hidden_group_size_z
      - .offset:         114
        .size:           2
        .value_kind:     hidden_remainder_x
      - .offset:         116
        .size:           2
        .value_kind:     hidden_remainder_y
      - .offset:         118
        .size:           2
        .value_kind:     hidden_remainder_z
      - .offset:         136
        .size:           8
        .value_kind:     hidden_global_offset_x
      - .offset:         144
        .size:           8
        .value_kind:     hidden_global_offset_y
      - .offset:         152
        .size:           8
        .value_kind:     hidden_global_offset_z
      - .offset:         160
        .size:           2
        .value_kind:     hidden_grid_dims
    .group_segment_fixed_size: 41480
    .kernarg_segment_align: 8
    .kernarg_segment_size: 352
    .language:       OpenCL C
    .language_version:
      - 2
      - 0
    .max_flat_workgroup_size: 1024
    .name:           _ZL19rocblas_trsv_deviceILi64ELi16ELb0ELb1ELb1ELb0EdPKdPKS1_PKPdEviT7_lllT6_T8_lllPii
    .private_segment_fixed_size: 0
    .sgpr_count:     100
    .sgpr_spill_count: 63
    .symbol:         _ZL19rocblas_trsv_deviceILi64ELi16ELb0ELb1ELb1ELb0EdPKdPKS1_PKPdEviT7_lllT6_T8_lllPii.kd
    .uniform_work_group_size: 1
    .uses_dynamic_stack: false
    .vgpr_count:     37
    .vgpr_spill_count: 0
    .wavefront_size: 64
  - .args:
      - .offset:         0
        .size:           4
        .value_kind:     by_value
      - .address_space:  global
        .offset:         8
        .size:           8
        .value_kind:     global_buffer
      - .offset:         16
        .size:           8
        .value_kind:     by_value
      - .offset:         24
        .size:           8
        .value_kind:     by_value
      - .offset:         32
        .size:           8
        .value_kind:     by_value
      - .address_space:  global
        .offset:         40
        .size:           8
        .value_kind:     global_buffer
      - .address_space:  global
        .offset:         48
        .size:           8
        .value_kind:     global_buffer
      - .offset:         56
        .size:           8
        .value_kind:     by_value
      - .offset:         64
        .size:           8
        .value_kind:     by_value
      - .offset:         72
        .size:           8
        .value_kind:     by_value
      - .address_space:  global
        .offset:         80
        .size:           8
        .value_kind:     global_buffer
      - .offset:         88
        .size:           4
        .value_kind:     by_value
      - .offset:         96
        .size:           4
        .value_kind:     hidden_block_count_x
      - .offset:         100
        .size:           4
        .value_kind:     hidden_block_count_y
      - .offset:         104
        .size:           4
        .value_kind:     hidden_block_count_z
      - .offset:         108
        .size:           2
        .value_kind:     hidden_group_size_x
      - .offset:         110
        .size:           2
        .value_kind:     hidden_group_size_y
      - .offset:         112
        .size:           2
        .value_kind:     hidden_group_size_z
      - .offset:         114
        .size:           2
        .value_kind:     hidden_remainder_x
      - .offset:         116
        .size:           2
        .value_kind:     hidden_remainder_y
      - .offset:         118
        .size:           2
        .value_kind:     hidden_remainder_z
      - .offset:         136
        .size:           8
        .value_kind:     hidden_global_offset_x
      - .offset:         144
        .size:           8
        .value_kind:     hidden_global_offset_y
      - .offset:         152
        .size:           8
        .value_kind:     hidden_global_offset_z
      - .offset:         160
        .size:           2
        .value_kind:     hidden_grid_dims
    .group_segment_fixed_size: 41480
    .kernarg_segment_align: 8
    .kernarg_segment_size: 352
    .language:       OpenCL C
    .language_version:
      - 2
      - 0
    .max_flat_workgroup_size: 1024
    .name:           _ZL19rocblas_trsv_deviceILi64ELi16ELb1ELb0ELb0ELb1EdPKdPKS1_PKPdEviT7_lllT6_T8_lllPii
    .private_segment_fixed_size: 0
    .sgpr_count:     100
    .sgpr_spill_count: 50
    .symbol:         _ZL19rocblas_trsv_deviceILi64ELi16ELb1ELb0ELb0ELb1EdPKdPKS1_PKPdEviT7_lllT6_T8_lllPii.kd
    .uniform_work_group_size: 1
    .uses_dynamic_stack: false
    .vgpr_count:     42
    .vgpr_spill_count: 0
    .wavefront_size: 64
  - .args:
      - .offset:         0
        .size:           4
        .value_kind:     by_value
      - .address_space:  global
        .offset:         8
        .size:           8
        .value_kind:     global_buffer
      - .offset:         16
        .size:           8
        .value_kind:     by_value
      - .offset:         24
        .size:           8
        .value_kind:     by_value
      - .offset:         32
        .size:           8
        .value_kind:     by_value
      - .address_space:  global
        .offset:         40
        .size:           8
        .value_kind:     global_buffer
      - .address_space:  global
        .offset:         48
        .size:           8
        .value_kind:     global_buffer
      - .offset:         56
        .size:           8
        .value_kind:     by_value
      - .offset:         64
        .size:           8
        .value_kind:     by_value
      - .offset:         72
        .size:           8
        .value_kind:     by_value
      - .address_space:  global
        .offset:         80
        .size:           8
        .value_kind:     global_buffer
      - .offset:         88
        .size:           4
        .value_kind:     by_value
      - .offset:         96
        .size:           4
        .value_kind:     hidden_block_count_x
      - .offset:         100
        .size:           4
        .value_kind:     hidden_block_count_y
      - .offset:         104
        .size:           4
        .value_kind:     hidden_block_count_z
      - .offset:         108
        .size:           2
        .value_kind:     hidden_group_size_x
      - .offset:         110
        .size:           2
        .value_kind:     hidden_group_size_y
      - .offset:         112
        .size:           2
        .value_kind:     hidden_group_size_z
      - .offset:         114
        .size:           2
        .value_kind:     hidden_remainder_x
      - .offset:         116
        .size:           2
        .value_kind:     hidden_remainder_y
      - .offset:         118
        .size:           2
        .value_kind:     hidden_remainder_z
      - .offset:         136
        .size:           8
        .value_kind:     hidden_global_offset_x
      - .offset:         144
        .size:           8
        .value_kind:     hidden_global_offset_y
      - .offset:         152
        .size:           8
        .value_kind:     hidden_global_offset_z
      - .offset:         160
        .size:           2
        .value_kind:     hidden_grid_dims
    .group_segment_fixed_size: 41480
    .kernarg_segment_align: 8
    .kernarg_segment_size: 352
    .language:       OpenCL C
    .language_version:
      - 2
      - 0
    .max_flat_workgroup_size: 1024
    .name:           _ZL19rocblas_trsv_deviceILi64ELi16ELb1ELb1ELb0ELb1EdPKdPKS1_PKPdEviT7_lllT6_T8_lllPii
    .private_segment_fixed_size: 0
    .sgpr_count:     100
    .sgpr_spill_count: 64
    .symbol:         _ZL19rocblas_trsv_deviceILi64ELi16ELb1ELb1ELb0ELb1EdPKdPKS1_PKPdEviT7_lllT6_T8_lllPii.kd
    .uniform_work_group_size: 1
    .uses_dynamic_stack: false
    .vgpr_count:     41
    .vgpr_spill_count: 0
    .wavefront_size: 64
  - .args:
      - .offset:         0
        .size:           4
        .value_kind:     by_value
      - .address_space:  global
        .offset:         8
        .size:           8
        .value_kind:     global_buffer
      - .offset:         16
        .size:           8
        .value_kind:     by_value
      - .offset:         24
        .size:           8
        .value_kind:     by_value
      - .offset:         32
        .size:           8
        .value_kind:     by_value
      - .address_space:  global
        .offset:         40
        .size:           8
        .value_kind:     global_buffer
      - .address_space:  global
        .offset:         48
        .size:           8
        .value_kind:     global_buffer
      - .offset:         56
        .size:           8
        .value_kind:     by_value
      - .offset:         64
        .size:           8
        .value_kind:     by_value
      - .offset:         72
        .size:           8
        .value_kind:     by_value
      - .address_space:  global
        .offset:         80
        .size:           8
        .value_kind:     global_buffer
      - .offset:         88
        .size:           4
        .value_kind:     by_value
      - .offset:         96
        .size:           4
        .value_kind:     hidden_block_count_x
      - .offset:         100
        .size:           4
        .value_kind:     hidden_block_count_y
      - .offset:         104
        .size:           4
        .value_kind:     hidden_block_count_z
      - .offset:         108
        .size:           2
        .value_kind:     hidden_group_size_x
      - .offset:         110
        .size:           2
        .value_kind:     hidden_group_size_y
      - .offset:         112
        .size:           2
        .value_kind:     hidden_group_size_z
      - .offset:         114
        .size:           2
        .value_kind:     hidden_remainder_x
      - .offset:         116
        .size:           2
        .value_kind:     hidden_remainder_y
      - .offset:         118
        .size:           2
        .value_kind:     hidden_remainder_z
      - .offset:         136
        .size:           8
        .value_kind:     hidden_global_offset_x
      - .offset:         144
        .size:           8
        .value_kind:     hidden_global_offset_y
      - .offset:         152
        .size:           8
        .value_kind:     hidden_global_offset_z
      - .offset:         160
        .size:           2
        .value_kind:     hidden_grid_dims
    .group_segment_fixed_size: 41480
    .kernarg_segment_align: 8
    .kernarg_segment_size: 352
    .language:       OpenCL C
    .language_version:
      - 2
      - 0
    .max_flat_workgroup_size: 1024
    .name:           _ZL19rocblas_trsv_deviceILi64ELi16ELb1ELb1ELb1ELb1EdPKdPKS1_PKPdEviT7_lllT6_T8_lllPii
    .private_segment_fixed_size: 0
    .sgpr_count:     100
    .sgpr_spill_count: 64
    .symbol:         _ZL19rocblas_trsv_deviceILi64ELi16ELb1ELb1ELb1ELb1EdPKdPKS1_PKPdEviT7_lllT6_T8_lllPii.kd
    .uniform_work_group_size: 1
    .uses_dynamic_stack: false
    .vgpr_count:     41
    .vgpr_spill_count: 0
    .wavefront_size: 64
  - .args:
      - .offset:         0
        .size:           4
        .value_kind:     by_value
      - .address_space:  global
        .offset:         8
        .size:           8
        .value_kind:     global_buffer
      - .offset:         16
        .size:           8
        .value_kind:     by_value
      - .offset:         24
        .size:           8
        .value_kind:     by_value
      - .offset:         32
        .size:           8
        .value_kind:     by_value
      - .address_space:  global
        .offset:         40
        .size:           8
        .value_kind:     global_buffer
      - .address_space:  global
        .offset:         48
        .size:           8
        .value_kind:     global_buffer
      - .offset:         56
        .size:           8
        .value_kind:     by_value
      - .offset:         64
        .size:           8
        .value_kind:     by_value
      - .offset:         72
        .size:           8
        .value_kind:     by_value
      - .address_space:  global
        .offset:         80
        .size:           8
        .value_kind:     global_buffer
      - .offset:         88
        .size:           4
        .value_kind:     by_value
      - .offset:         96
        .size:           4
        .value_kind:     hidden_block_count_x
      - .offset:         100
        .size:           4
        .value_kind:     hidden_block_count_y
      - .offset:         104
        .size:           4
        .value_kind:     hidden_block_count_z
      - .offset:         108
        .size:           2
        .value_kind:     hidden_group_size_x
      - .offset:         110
        .size:           2
        .value_kind:     hidden_group_size_y
      - .offset:         112
        .size:           2
        .value_kind:     hidden_group_size_z
      - .offset:         114
        .size:           2
        .value_kind:     hidden_remainder_x
      - .offset:         116
        .size:           2
        .value_kind:     hidden_remainder_y
      - .offset:         118
        .size:           2
        .value_kind:     hidden_remainder_z
      - .offset:         136
        .size:           8
        .value_kind:     hidden_global_offset_x
      - .offset:         144
        .size:           8
        .value_kind:     hidden_global_offset_y
      - .offset:         152
        .size:           8
        .value_kind:     hidden_global_offset_z
      - .offset:         160
        .size:           2
        .value_kind:     hidden_grid_dims
    .group_segment_fixed_size: 41480
    .kernarg_segment_align: 8
    .kernarg_segment_size: 352
    .language:       OpenCL C
    .language_version:
      - 2
      - 0
    .max_flat_workgroup_size: 1024
    .name:           _ZL19rocblas_trsv_deviceILi64ELi16ELb1ELb0ELb0ELb0EdPKdPKS1_PKPdEviT7_lllT6_T8_lllPii
    .private_segment_fixed_size: 0
    .sgpr_count:     100
    .sgpr_spill_count: 53
    .symbol:         _ZL19rocblas_trsv_deviceILi64ELi16ELb1ELb0ELb0ELb0EdPKdPKS1_PKPdEviT7_lllT6_T8_lllPii.kd
    .uniform_work_group_size: 1
    .uses_dynamic_stack: false
    .vgpr_count:     42
    .vgpr_spill_count: 0
    .wavefront_size: 64
  - .args:
      - .offset:         0
        .size:           4
        .value_kind:     by_value
      - .address_space:  global
        .offset:         8
        .size:           8
        .value_kind:     global_buffer
      - .offset:         16
        .size:           8
        .value_kind:     by_value
      - .offset:         24
        .size:           8
        .value_kind:     by_value
      - .offset:         32
        .size:           8
        .value_kind:     by_value
      - .address_space:  global
        .offset:         40
        .size:           8
        .value_kind:     global_buffer
      - .address_space:  global
        .offset:         48
        .size:           8
        .value_kind:     global_buffer
      - .offset:         56
        .size:           8
        .value_kind:     by_value
      - .offset:         64
        .size:           8
        .value_kind:     by_value
      - .offset:         72
        .size:           8
        .value_kind:     by_value
      - .address_space:  global
        .offset:         80
        .size:           8
        .value_kind:     global_buffer
      - .offset:         88
        .size:           4
        .value_kind:     by_value
      - .offset:         96
        .size:           4
        .value_kind:     hidden_block_count_x
      - .offset:         100
        .size:           4
        .value_kind:     hidden_block_count_y
      - .offset:         104
        .size:           4
        .value_kind:     hidden_block_count_z
      - .offset:         108
        .size:           2
        .value_kind:     hidden_group_size_x
      - .offset:         110
        .size:           2
        .value_kind:     hidden_group_size_y
      - .offset:         112
        .size:           2
        .value_kind:     hidden_group_size_z
      - .offset:         114
        .size:           2
        .value_kind:     hidden_remainder_x
      - .offset:         116
        .size:           2
        .value_kind:     hidden_remainder_y
      - .offset:         118
        .size:           2
        .value_kind:     hidden_remainder_z
      - .offset:         136
        .size:           8
        .value_kind:     hidden_global_offset_x
      - .offset:         144
        .size:           8
        .value_kind:     hidden_global_offset_y
      - .offset:         152
        .size:           8
        .value_kind:     hidden_global_offset_z
      - .offset:         160
        .size:           2
        .value_kind:     hidden_grid_dims
    .group_segment_fixed_size: 41480
    .kernarg_segment_align: 8
    .kernarg_segment_size: 352
    .language:       OpenCL C
    .language_version:
      - 2
      - 0
    .max_flat_workgroup_size: 1024
    .name:           _ZL19rocblas_trsv_deviceILi64ELi16ELb1ELb1ELb0ELb0EdPKdPKS1_PKPdEviT7_lllT6_T8_lllPii
    .private_segment_fixed_size: 0
    .sgpr_count:     100
    .sgpr_spill_count: 65
    .symbol:         _ZL19rocblas_trsv_deviceILi64ELi16ELb1ELb1ELb0ELb0EdPKdPKS1_PKPdEviT7_lllT6_T8_lllPii.kd
    .uniform_work_group_size: 1
    .uses_dynamic_stack: false
    .vgpr_count:     43
    .vgpr_spill_count: 0
    .wavefront_size: 64
  - .args:
      - .offset:         0
        .size:           4
        .value_kind:     by_value
      - .address_space:  global
        .offset:         8
        .size:           8
        .value_kind:     global_buffer
      - .offset:         16
        .size:           8
        .value_kind:     by_value
      - .offset:         24
        .size:           8
        .value_kind:     by_value
      - .offset:         32
        .size:           8
        .value_kind:     by_value
      - .address_space:  global
        .offset:         40
        .size:           8
        .value_kind:     global_buffer
      - .address_space:  global
        .offset:         48
        .size:           8
        .value_kind:     global_buffer
      - .offset:         56
        .size:           8
        .value_kind:     by_value
      - .offset:         64
        .size:           8
        .value_kind:     by_value
      - .offset:         72
        .size:           8
        .value_kind:     by_value
      - .address_space:  global
        .offset:         80
        .size:           8
        .value_kind:     global_buffer
      - .offset:         88
        .size:           4
        .value_kind:     by_value
      - .offset:         96
        .size:           4
        .value_kind:     hidden_block_count_x
      - .offset:         100
        .size:           4
        .value_kind:     hidden_block_count_y
      - .offset:         104
        .size:           4
        .value_kind:     hidden_block_count_z
      - .offset:         108
        .size:           2
        .value_kind:     hidden_group_size_x
      - .offset:         110
        .size:           2
        .value_kind:     hidden_group_size_y
      - .offset:         112
        .size:           2
        .value_kind:     hidden_group_size_z
      - .offset:         114
        .size:           2
        .value_kind:     hidden_remainder_x
      - .offset:         116
        .size:           2
        .value_kind:     hidden_remainder_y
      - .offset:         118
        .size:           2
        .value_kind:     hidden_remainder_z
      - .offset:         136
        .size:           8
        .value_kind:     hidden_global_offset_x
      - .offset:         144
        .size:           8
        .value_kind:     hidden_global_offset_y
      - .offset:         152
        .size:           8
        .value_kind:     hidden_global_offset_z
      - .offset:         160
        .size:           2
        .value_kind:     hidden_grid_dims
    .group_segment_fixed_size: 41480
    .kernarg_segment_align: 8
    .kernarg_segment_size: 352
    .language:       OpenCL C
    .language_version:
      - 2
      - 0
    .max_flat_workgroup_size: 1024
    .name:           _ZL19rocblas_trsv_deviceILi64ELi16ELb1ELb1ELb1ELb0EdPKdPKS1_PKPdEviT7_lllT6_T8_lllPii
    .private_segment_fixed_size: 0
    .sgpr_count:     100
    .sgpr_spill_count: 65
    .symbol:         _ZL19rocblas_trsv_deviceILi64ELi16ELb1ELb1ELb1ELb0EdPKdPKS1_PKPdEviT7_lllT6_T8_lllPii.kd
    .uniform_work_group_size: 1
    .uses_dynamic_stack: false
    .vgpr_count:     43
    .vgpr_spill_count: 0
    .wavefront_size: 64
  - .args:
      - .offset:         0
        .size:           4
        .value_kind:     by_value
      - .address_space:  global
        .offset:         8
        .size:           8
        .value_kind:     global_buffer
      - .offset:         16
        .size:           8
        .value_kind:     by_value
      - .offset:         24
        .size:           8
        .value_kind:     by_value
      - .offset:         32
        .size:           8
        .value_kind:     by_value
      - .offset:         40
        .size:           8
        .value_kind:     by_value
      - .address_space:  global
        .offset:         48
        .size:           8
        .value_kind:     global_buffer
      - .offset:         56
        .size:           8
        .value_kind:     by_value
      - .offset:         64
        .size:           8
        .value_kind:     by_value
      - .offset:         72
        .size:           8
        .value_kind:     by_value
      - .address_space:  global
        .offset:         80
        .size:           8
        .value_kind:     global_buffer
      - .offset:         88
        .size:           4
        .value_kind:     by_value
      - .offset:         96
        .size:           4
        .value_kind:     hidden_block_count_x
      - .offset:         100
        .size:           4
        .value_kind:     hidden_block_count_y
      - .offset:         104
        .size:           4
        .value_kind:     hidden_block_count_z
      - .offset:         108
        .size:           2
        .value_kind:     hidden_group_size_x
      - .offset:         110
        .size:           2
        .value_kind:     hidden_group_size_y
      - .offset:         112
        .size:           2
        .value_kind:     hidden_group_size_z
      - .offset:         114
        .size:           2
        .value_kind:     hidden_remainder_x
      - .offset:         116
        .size:           2
        .value_kind:     hidden_remainder_y
      - .offset:         118
        .size:           2
        .value_kind:     hidden_remainder_z
      - .offset:         136
        .size:           8
        .value_kind:     hidden_global_offset_x
      - .offset:         144
        .size:           8
        .value_kind:     hidden_global_offset_y
      - .offset:         152
        .size:           8
        .value_kind:     hidden_global_offset_z
      - .offset:         160
        .size:           2
        .value_kind:     hidden_grid_dims
    .group_segment_fixed_size: 41480
    .kernarg_segment_align: 8
    .kernarg_segment_size: 352
    .language:       OpenCL C
    .language_version:
      - 2
      - 0
    .max_flat_workgroup_size: 1024
    .name:           _ZL19rocblas_trsv_deviceILi64ELi16ELb0ELb0ELb0ELb1EddPKPKdPKPdEviT7_lllT6_T8_lllPii
    .private_segment_fixed_size: 0
    .sgpr_count:     100
    .sgpr_spill_count: 54
    .symbol:         _ZL19rocblas_trsv_deviceILi64ELi16ELb0ELb0ELb0ELb1EddPKPKdPKPdEviT7_lllT6_T8_lllPii.kd
    .uniform_work_group_size: 1
    .uses_dynamic_stack: false
    .vgpr_count:     35
    .vgpr_spill_count: 0
    .wavefront_size: 64
  - .args:
      - .offset:         0
        .size:           4
        .value_kind:     by_value
      - .address_space:  global
        .offset:         8
        .size:           8
        .value_kind:     global_buffer
      - .offset:         16
        .size:           8
        .value_kind:     by_value
      - .offset:         24
        .size:           8
        .value_kind:     by_value
      - .offset:         32
        .size:           8
        .value_kind:     by_value
      - .offset:         40
        .size:           8
        .value_kind:     by_value
      - .address_space:  global
        .offset:         48
        .size:           8
        .value_kind:     global_buffer
      - .offset:         56
        .size:           8
        .value_kind:     by_value
      - .offset:         64
        .size:           8
        .value_kind:     by_value
      - .offset:         72
        .size:           8
        .value_kind:     by_value
      - .address_space:  global
        .offset:         80
        .size:           8
        .value_kind:     global_buffer
      - .offset:         88
        .size:           4
        .value_kind:     by_value
      - .offset:         96
        .size:           4
        .value_kind:     hidden_block_count_x
      - .offset:         100
        .size:           4
        .value_kind:     hidden_block_count_y
      - .offset:         104
        .size:           4
        .value_kind:     hidden_block_count_z
      - .offset:         108
        .size:           2
        .value_kind:     hidden_group_size_x
      - .offset:         110
        .size:           2
        .value_kind:     hidden_group_size_y
      - .offset:         112
        .size:           2
        .value_kind:     hidden_group_size_z
      - .offset:         114
        .size:           2
        .value_kind:     hidden_remainder_x
      - .offset:         116
        .size:           2
        .value_kind:     hidden_remainder_y
      - .offset:         118
        .size:           2
        .value_kind:     hidden_remainder_z
      - .offset:         136
        .size:           8
        .value_kind:     hidden_global_offset_x
      - .offset:         144
        .size:           8
        .value_kind:     hidden_global_offset_y
      - .offset:         152
        .size:           8
        .value_kind:     hidden_global_offset_z
      - .offset:         160
        .size:           2
        .value_kind:     hidden_grid_dims
    .group_segment_fixed_size: 41480
    .kernarg_segment_align: 8
    .kernarg_segment_size: 352
    .language:       OpenCL C
    .language_version:
      - 2
      - 0
    .max_flat_workgroup_size: 1024
    .name:           _ZL19rocblas_trsv_deviceILi64ELi16ELb0ELb1ELb0ELb1EddPKPKdPKPdEviT7_lllT6_T8_lllPii
    .private_segment_fixed_size: 0
    .sgpr_count:     100
    .sgpr_spill_count: 60
    .symbol:         _ZL19rocblas_trsv_deviceILi64ELi16ELb0ELb1ELb0ELb1EddPKPKdPKPdEviT7_lllT6_T8_lllPii.kd
    .uniform_work_group_size: 1
    .uses_dynamic_stack: false
    .vgpr_count:     36
    .vgpr_spill_count: 0
    .wavefront_size: 64
  - .args:
      - .offset:         0
        .size:           4
        .value_kind:     by_value
      - .address_space:  global
        .offset:         8
        .size:           8
        .value_kind:     global_buffer
      - .offset:         16
        .size:           8
        .value_kind:     by_value
      - .offset:         24
        .size:           8
        .value_kind:     by_value
      - .offset:         32
        .size:           8
        .value_kind:     by_value
      - .offset:         40
        .size:           8
        .value_kind:     by_value
      - .address_space:  global
        .offset:         48
        .size:           8
        .value_kind:     global_buffer
      - .offset:         56
        .size:           8
        .value_kind:     by_value
      - .offset:         64
        .size:           8
        .value_kind:     by_value
      - .offset:         72
        .size:           8
        .value_kind:     by_value
      - .address_space:  global
        .offset:         80
        .size:           8
        .value_kind:     global_buffer
      - .offset:         88
        .size:           4
        .value_kind:     by_value
      - .offset:         96
        .size:           4
        .value_kind:     hidden_block_count_x
      - .offset:         100
        .size:           4
        .value_kind:     hidden_block_count_y
      - .offset:         104
        .size:           4
        .value_kind:     hidden_block_count_z
      - .offset:         108
        .size:           2
        .value_kind:     hidden_group_size_x
      - .offset:         110
        .size:           2
        .value_kind:     hidden_group_size_y
      - .offset:         112
        .size:           2
        .value_kind:     hidden_group_size_z
      - .offset:         114
        .size:           2
        .value_kind:     hidden_remainder_x
      - .offset:         116
        .size:           2
        .value_kind:     hidden_remainder_y
      - .offset:         118
        .size:           2
        .value_kind:     hidden_remainder_z
      - .offset:         136
        .size:           8
        .value_kind:     hidden_global_offset_x
      - .offset:         144
        .size:           8
        .value_kind:     hidden_global_offset_y
      - .offset:         152
        .size:           8
        .value_kind:     hidden_global_offset_z
      - .offset:         160
        .size:           2
        .value_kind:     hidden_grid_dims
    .group_segment_fixed_size: 41480
    .kernarg_segment_align: 8
    .kernarg_segment_size: 352
    .language:       OpenCL C
    .language_version:
      - 2
      - 0
    .max_flat_workgroup_size: 1024
    .name:           _ZL19rocblas_trsv_deviceILi64ELi16ELb0ELb1ELb1ELb1EddPKPKdPKPdEviT7_lllT6_T8_lllPii
    .private_segment_fixed_size: 0
    .sgpr_count:     100
    .sgpr_spill_count: 60
    .symbol:         _ZL19rocblas_trsv_deviceILi64ELi16ELb0ELb1ELb1ELb1EddPKPKdPKPdEviT7_lllT6_T8_lllPii.kd
    .uniform_work_group_size: 1
    .uses_dynamic_stack: false
    .vgpr_count:     36
    .vgpr_spill_count: 0
    .wavefront_size: 64
  - .args:
      - .offset:         0
        .size:           4
        .value_kind:     by_value
      - .address_space:  global
        .offset:         8
        .size:           8
        .value_kind:     global_buffer
      - .offset:         16
        .size:           8
        .value_kind:     by_value
      - .offset:         24
        .size:           8
        .value_kind:     by_value
      - .offset:         32
        .size:           8
        .value_kind:     by_value
      - .offset:         40
        .size:           8
        .value_kind:     by_value
      - .address_space:  global
        .offset:         48
        .size:           8
        .value_kind:     global_buffer
      - .offset:         56
        .size:           8
        .value_kind:     by_value
      - .offset:         64
        .size:           8
        .value_kind:     by_value
      - .offset:         72
        .size:           8
        .value_kind:     by_value
      - .address_space:  global
        .offset:         80
        .size:           8
        .value_kind:     global_buffer
      - .offset:         88
        .size:           4
        .value_kind:     by_value
      - .offset:         96
        .size:           4
        .value_kind:     hidden_block_count_x
      - .offset:         100
        .size:           4
        .value_kind:     hidden_block_count_y
      - .offset:         104
        .size:           4
        .value_kind:     hidden_block_count_z
      - .offset:         108
        .size:           2
        .value_kind:     hidden_group_size_x
      - .offset:         110
        .size:           2
        .value_kind:     hidden_group_size_y
      - .offset:         112
        .size:           2
        .value_kind:     hidden_group_size_z
      - .offset:         114
        .size:           2
        .value_kind:     hidden_remainder_x
      - .offset:         116
        .size:           2
        .value_kind:     hidden_remainder_y
      - .offset:         118
        .size:           2
        .value_kind:     hidden_remainder_z
      - .offset:         136
        .size:           8
        .value_kind:     hidden_global_offset_x
      - .offset:         144
        .size:           8
        .value_kind:     hidden_global_offset_y
      - .offset:         152
        .size:           8
        .value_kind:     hidden_global_offset_z
      - .offset:         160
        .size:           2
        .value_kind:     hidden_grid_dims
    .group_segment_fixed_size: 41480
    .kernarg_segment_align: 8
    .kernarg_segment_size: 352
    .language:       OpenCL C
    .language_version:
      - 2
      - 0
    .max_flat_workgroup_size: 1024
    .name:           _ZL19rocblas_trsv_deviceILi64ELi16ELb0ELb0ELb0ELb0EddPKPKdPKPdEviT7_lllT6_T8_lllPii
    .private_segment_fixed_size: 0
    .sgpr_count:     100
    .sgpr_spill_count: 55
    .symbol:         _ZL19rocblas_trsv_deviceILi64ELi16ELb0ELb0ELb0ELb0EddPKPKdPKPdEviT7_lllT6_T8_lllPii.kd
    .uniform_work_group_size: 1
    .uses_dynamic_stack: false
    .vgpr_count:     37
    .vgpr_spill_count: 0
    .wavefront_size: 64
  - .args:
      - .offset:         0
        .size:           4
        .value_kind:     by_value
      - .address_space:  global
        .offset:         8
        .size:           8
        .value_kind:     global_buffer
      - .offset:         16
        .size:           8
        .value_kind:     by_value
      - .offset:         24
        .size:           8
        .value_kind:     by_value
      - .offset:         32
        .size:           8
        .value_kind:     by_value
      - .offset:         40
        .size:           8
        .value_kind:     by_value
      - .address_space:  global
        .offset:         48
        .size:           8
        .value_kind:     global_buffer
      - .offset:         56
        .size:           8
        .value_kind:     by_value
      - .offset:         64
        .size:           8
        .value_kind:     by_value
      - .offset:         72
        .size:           8
        .value_kind:     by_value
      - .address_space:  global
        .offset:         80
        .size:           8
        .value_kind:     global_buffer
      - .offset:         88
        .size:           4
        .value_kind:     by_value
      - .offset:         96
        .size:           4
        .value_kind:     hidden_block_count_x
      - .offset:         100
        .size:           4
        .value_kind:     hidden_block_count_y
      - .offset:         104
        .size:           4
        .value_kind:     hidden_block_count_z
      - .offset:         108
        .size:           2
        .value_kind:     hidden_group_size_x
      - .offset:         110
        .size:           2
        .value_kind:     hidden_group_size_y
      - .offset:         112
        .size:           2
        .value_kind:     hidden_group_size_z
      - .offset:         114
        .size:           2
        .value_kind:     hidden_remainder_x
      - .offset:         116
        .size:           2
        .value_kind:     hidden_remainder_y
      - .offset:         118
        .size:           2
        .value_kind:     hidden_remainder_z
      - .offset:         136
        .size:           8
        .value_kind:     hidden_global_offset_x
      - .offset:         144
        .size:           8
        .value_kind:     hidden_global_offset_y
      - .offset:         152
        .size:           8
        .value_kind:     hidden_global_offset_z
      - .offset:         160
        .size:           2
        .value_kind:     hidden_grid_dims
    .group_segment_fixed_size: 41480
    .kernarg_segment_align: 8
    .kernarg_segment_size: 352
    .language:       OpenCL C
    .language_version:
      - 2
      - 0
    .max_flat_workgroup_size: 1024
    .name:           _ZL19rocblas_trsv_deviceILi64ELi16ELb0ELb1ELb0ELb0EddPKPKdPKPdEviT7_lllT6_T8_lllPii
    .private_segment_fixed_size: 0
    .sgpr_count:     100
    .sgpr_spill_count: 63
    .symbol:         _ZL19rocblas_trsv_deviceILi64ELi16ELb0ELb1ELb0ELb0EddPKPKdPKPdEviT7_lllT6_T8_lllPii.kd
    .uniform_work_group_size: 1
    .uses_dynamic_stack: false
    .vgpr_count:     37
    .vgpr_spill_count: 0
    .wavefront_size: 64
  - .args:
      - .offset:         0
        .size:           4
        .value_kind:     by_value
      - .address_space:  global
        .offset:         8
        .size:           8
        .value_kind:     global_buffer
      - .offset:         16
        .size:           8
        .value_kind:     by_value
      - .offset:         24
        .size:           8
        .value_kind:     by_value
      - .offset:         32
        .size:           8
        .value_kind:     by_value
      - .offset:         40
        .size:           8
        .value_kind:     by_value
      - .address_space:  global
        .offset:         48
        .size:           8
        .value_kind:     global_buffer
      - .offset:         56
        .size:           8
        .value_kind:     by_value
      - .offset:         64
        .size:           8
        .value_kind:     by_value
      - .offset:         72
        .size:           8
        .value_kind:     by_value
      - .address_space:  global
        .offset:         80
        .size:           8
        .value_kind:     global_buffer
      - .offset:         88
        .size:           4
        .value_kind:     by_value
      - .offset:         96
        .size:           4
        .value_kind:     hidden_block_count_x
      - .offset:         100
        .size:           4
        .value_kind:     hidden_block_count_y
      - .offset:         104
        .size:           4
        .value_kind:     hidden_block_count_z
      - .offset:         108
        .size:           2
        .value_kind:     hidden_group_size_x
      - .offset:         110
        .size:           2
        .value_kind:     hidden_group_size_y
      - .offset:         112
        .size:           2
        .value_kind:     hidden_group_size_z
      - .offset:         114
        .size:           2
        .value_kind:     hidden_remainder_x
      - .offset:         116
        .size:           2
        .value_kind:     hidden_remainder_y
      - .offset:         118
        .size:           2
        .value_kind:     hidden_remainder_z
      - .offset:         136
        .size:           8
        .value_kind:     hidden_global_offset_x
      - .offset:         144
        .size:           8
        .value_kind:     hidden_global_offset_y
      - .offset:         152
        .size:           8
        .value_kind:     hidden_global_offset_z
      - .offset:         160
        .size:           2
        .value_kind:     hidden_grid_dims
    .group_segment_fixed_size: 41480
    .kernarg_segment_align: 8
    .kernarg_segment_size: 352
    .language:       OpenCL C
    .language_version:
      - 2
      - 0
    .max_flat_workgroup_size: 1024
    .name:           _ZL19rocblas_trsv_deviceILi64ELi16ELb0ELb1ELb1ELb0EddPKPKdPKPdEviT7_lllT6_T8_lllPii
    .private_segment_fixed_size: 0
    .sgpr_count:     100
    .sgpr_spill_count: 63
    .symbol:         _ZL19rocblas_trsv_deviceILi64ELi16ELb0ELb1ELb1ELb0EddPKPKdPKPdEviT7_lllT6_T8_lllPii.kd
    .uniform_work_group_size: 1
    .uses_dynamic_stack: false
    .vgpr_count:     37
    .vgpr_spill_count: 0
    .wavefront_size: 64
  - .args:
      - .offset:         0
        .size:           4
        .value_kind:     by_value
      - .address_space:  global
        .offset:         8
        .size:           8
        .value_kind:     global_buffer
      - .offset:         16
        .size:           8
        .value_kind:     by_value
      - .offset:         24
        .size:           8
        .value_kind:     by_value
      - .offset:         32
        .size:           8
        .value_kind:     by_value
      - .offset:         40
        .size:           8
        .value_kind:     by_value
      - .address_space:  global
        .offset:         48
        .size:           8
        .value_kind:     global_buffer
      - .offset:         56
        .size:           8
        .value_kind:     by_value
      - .offset:         64
        .size:           8
        .value_kind:     by_value
      - .offset:         72
        .size:           8
        .value_kind:     by_value
      - .address_space:  global
        .offset:         80
        .size:           8
        .value_kind:     global_buffer
      - .offset:         88
        .size:           4
        .value_kind:     by_value
      - .offset:         96
        .size:           4
        .value_kind:     hidden_block_count_x
      - .offset:         100
        .size:           4
        .value_kind:     hidden_block_count_y
      - .offset:         104
        .size:           4
        .value_kind:     hidden_block_count_z
      - .offset:         108
        .size:           2
        .value_kind:     hidden_group_size_x
      - .offset:         110
        .size:           2
        .value_kind:     hidden_group_size_y
      - .offset:         112
        .size:           2
        .value_kind:     hidden_group_size_z
      - .offset:         114
        .size:           2
        .value_kind:     hidden_remainder_x
      - .offset:         116
        .size:           2
        .value_kind:     hidden_remainder_y
      - .offset:         118
        .size:           2
        .value_kind:     hidden_remainder_z
      - .offset:         136
        .size:           8
        .value_kind:     hidden_global_offset_x
      - .offset:         144
        .size:           8
        .value_kind:     hidden_global_offset_y
      - .offset:         152
        .size:           8
        .value_kind:     hidden_global_offset_z
      - .offset:         160
        .size:           2
        .value_kind:     hidden_grid_dims
    .group_segment_fixed_size: 41480
    .kernarg_segment_align: 8
    .kernarg_segment_size: 352
    .language:       OpenCL C
    .language_version:
      - 2
      - 0
    .max_flat_workgroup_size: 1024
    .name:           _ZL19rocblas_trsv_deviceILi64ELi16ELb1ELb0ELb0ELb1EddPKPKdPKPdEviT7_lllT6_T8_lllPii
    .private_segment_fixed_size: 0
    .sgpr_count:     100
    .sgpr_spill_count: 50
    .symbol:         _ZL19rocblas_trsv_deviceILi64ELi16ELb1ELb0ELb0ELb1EddPKPKdPKPdEviT7_lllT6_T8_lllPii.kd
    .uniform_work_group_size: 1
    .uses_dynamic_stack: false
    .vgpr_count:     42
    .vgpr_spill_count: 0
    .wavefront_size: 64
  - .args:
      - .offset:         0
        .size:           4
        .value_kind:     by_value
      - .address_space:  global
        .offset:         8
        .size:           8
        .value_kind:     global_buffer
      - .offset:         16
        .size:           8
        .value_kind:     by_value
      - .offset:         24
        .size:           8
        .value_kind:     by_value
      - .offset:         32
        .size:           8
        .value_kind:     by_value
      - .offset:         40
        .size:           8
        .value_kind:     by_value
      - .address_space:  global
        .offset:         48
        .size:           8
        .value_kind:     global_buffer
      - .offset:         56
        .size:           8
        .value_kind:     by_value
      - .offset:         64
        .size:           8
        .value_kind:     by_value
      - .offset:         72
        .size:           8
        .value_kind:     by_value
      - .address_space:  global
        .offset:         80
        .size:           8
        .value_kind:     global_buffer
      - .offset:         88
        .size:           4
        .value_kind:     by_value
      - .offset:         96
        .size:           4
        .value_kind:     hidden_block_count_x
      - .offset:         100
        .size:           4
        .value_kind:     hidden_block_count_y
      - .offset:         104
        .size:           4
        .value_kind:     hidden_block_count_z
      - .offset:         108
        .size:           2
        .value_kind:     hidden_group_size_x
      - .offset:         110
        .size:           2
        .value_kind:     hidden_group_size_y
      - .offset:         112
        .size:           2
        .value_kind:     hidden_group_size_z
      - .offset:         114
        .size:           2
        .value_kind:     hidden_remainder_x
      - .offset:         116
        .size:           2
        .value_kind:     hidden_remainder_y
      - .offset:         118
        .size:           2
        .value_kind:     hidden_remainder_z
      - .offset:         136
        .size:           8
        .value_kind:     hidden_global_offset_x
      - .offset:         144
        .size:           8
        .value_kind:     hidden_global_offset_y
      - .offset:         152
        .size:           8
        .value_kind:     hidden_global_offset_z
      - .offset:         160
        .size:           2
        .value_kind:     hidden_grid_dims
    .group_segment_fixed_size: 41480
    .kernarg_segment_align: 8
    .kernarg_segment_size: 352
    .language:       OpenCL C
    .language_version:
      - 2
      - 0
    .max_flat_workgroup_size: 1024
    .name:           _ZL19rocblas_trsv_deviceILi64ELi16ELb1ELb1ELb0ELb1EddPKPKdPKPdEviT7_lllT6_T8_lllPii
    .private_segment_fixed_size: 0
    .sgpr_count:     100
    .sgpr_spill_count: 64
    .symbol:         _ZL19rocblas_trsv_deviceILi64ELi16ELb1ELb1ELb0ELb1EddPKPKdPKPdEviT7_lllT6_T8_lllPii.kd
    .uniform_work_group_size: 1
    .uses_dynamic_stack: false
    .vgpr_count:     41
    .vgpr_spill_count: 0
    .wavefront_size: 64
  - .args:
      - .offset:         0
        .size:           4
        .value_kind:     by_value
      - .address_space:  global
        .offset:         8
        .size:           8
        .value_kind:     global_buffer
      - .offset:         16
        .size:           8
        .value_kind:     by_value
      - .offset:         24
        .size:           8
        .value_kind:     by_value
      - .offset:         32
        .size:           8
        .value_kind:     by_value
      - .offset:         40
        .size:           8
        .value_kind:     by_value
      - .address_space:  global
        .offset:         48
        .size:           8
        .value_kind:     global_buffer
      - .offset:         56
        .size:           8
        .value_kind:     by_value
      - .offset:         64
        .size:           8
        .value_kind:     by_value
      - .offset:         72
        .size:           8
        .value_kind:     by_value
      - .address_space:  global
        .offset:         80
        .size:           8
        .value_kind:     global_buffer
      - .offset:         88
        .size:           4
        .value_kind:     by_value
      - .offset:         96
        .size:           4
        .value_kind:     hidden_block_count_x
      - .offset:         100
        .size:           4
        .value_kind:     hidden_block_count_y
      - .offset:         104
        .size:           4
        .value_kind:     hidden_block_count_z
      - .offset:         108
        .size:           2
        .value_kind:     hidden_group_size_x
      - .offset:         110
        .size:           2
        .value_kind:     hidden_group_size_y
      - .offset:         112
        .size:           2
        .value_kind:     hidden_group_size_z
      - .offset:         114
        .size:           2
        .value_kind:     hidden_remainder_x
      - .offset:         116
        .size:           2
        .value_kind:     hidden_remainder_y
      - .offset:         118
        .size:           2
        .value_kind:     hidden_remainder_z
      - .offset:         136
        .size:           8
        .value_kind:     hidden_global_offset_x
      - .offset:         144
        .size:           8
        .value_kind:     hidden_global_offset_y
      - .offset:         152
        .size:           8
        .value_kind:     hidden_global_offset_z
      - .offset:         160
        .size:           2
        .value_kind:     hidden_grid_dims
    .group_segment_fixed_size: 41480
    .kernarg_segment_align: 8
    .kernarg_segment_size: 352
    .language:       OpenCL C
    .language_version:
      - 2
      - 0
    .max_flat_workgroup_size: 1024
    .name:           _ZL19rocblas_trsv_deviceILi64ELi16ELb1ELb1ELb1ELb1EddPKPKdPKPdEviT7_lllT6_T8_lllPii
    .private_segment_fixed_size: 0
    .sgpr_count:     100
    .sgpr_spill_count: 64
    .symbol:         _ZL19rocblas_trsv_deviceILi64ELi16ELb1ELb1ELb1ELb1EddPKPKdPKPdEviT7_lllT6_T8_lllPii.kd
    .uniform_work_group_size: 1
    .uses_dynamic_stack: false
    .vgpr_count:     41
    .vgpr_spill_count: 0
    .wavefront_size: 64
  - .args:
      - .offset:         0
        .size:           4
        .value_kind:     by_value
      - .address_space:  global
        .offset:         8
        .size:           8
        .value_kind:     global_buffer
      - .offset:         16
        .size:           8
        .value_kind:     by_value
      - .offset:         24
        .size:           8
        .value_kind:     by_value
      - .offset:         32
        .size:           8
        .value_kind:     by_value
      - .offset:         40
        .size:           8
        .value_kind:     by_value
      - .address_space:  global
        .offset:         48
        .size:           8
        .value_kind:     global_buffer
      - .offset:         56
        .size:           8
        .value_kind:     by_value
      - .offset:         64
        .size:           8
        .value_kind:     by_value
      - .offset:         72
        .size:           8
        .value_kind:     by_value
      - .address_space:  global
        .offset:         80
        .size:           8
        .value_kind:     global_buffer
      - .offset:         88
        .size:           4
        .value_kind:     by_value
      - .offset:         96
        .size:           4
        .value_kind:     hidden_block_count_x
      - .offset:         100
        .size:           4
        .value_kind:     hidden_block_count_y
      - .offset:         104
        .size:           4
        .value_kind:     hidden_block_count_z
      - .offset:         108
        .size:           2
        .value_kind:     hidden_group_size_x
      - .offset:         110
        .size:           2
        .value_kind:     hidden_group_size_y
      - .offset:         112
        .size:           2
        .value_kind:     hidden_group_size_z
      - .offset:         114
        .size:           2
        .value_kind:     hidden_remainder_x
      - .offset:         116
        .size:           2
        .value_kind:     hidden_remainder_y
      - .offset:         118
        .size:           2
        .value_kind:     hidden_remainder_z
      - .offset:         136
        .size:           8
        .value_kind:     hidden_global_offset_x
      - .offset:         144
        .size:           8
        .value_kind:     hidden_global_offset_y
      - .offset:         152
        .size:           8
        .value_kind:     hidden_global_offset_z
      - .offset:         160
        .size:           2
        .value_kind:     hidden_grid_dims
    .group_segment_fixed_size: 41480
    .kernarg_segment_align: 8
    .kernarg_segment_size: 352
    .language:       OpenCL C
    .language_version:
      - 2
      - 0
    .max_flat_workgroup_size: 1024
    .name:           _ZL19rocblas_trsv_deviceILi64ELi16ELb1ELb0ELb0ELb0EddPKPKdPKPdEviT7_lllT6_T8_lllPii
    .private_segment_fixed_size: 0
    .sgpr_count:     100
    .sgpr_spill_count: 53
    .symbol:         _ZL19rocblas_trsv_deviceILi64ELi16ELb1ELb0ELb0ELb0EddPKPKdPKPdEviT7_lllT6_T8_lllPii.kd
    .uniform_work_group_size: 1
    .uses_dynamic_stack: false
    .vgpr_count:     42
    .vgpr_spill_count: 0
    .wavefront_size: 64
  - .args:
      - .offset:         0
        .size:           4
        .value_kind:     by_value
      - .address_space:  global
        .offset:         8
        .size:           8
        .value_kind:     global_buffer
      - .offset:         16
        .size:           8
        .value_kind:     by_value
      - .offset:         24
        .size:           8
        .value_kind:     by_value
      - .offset:         32
        .size:           8
        .value_kind:     by_value
      - .offset:         40
        .size:           8
        .value_kind:     by_value
      - .address_space:  global
        .offset:         48
        .size:           8
        .value_kind:     global_buffer
      - .offset:         56
        .size:           8
        .value_kind:     by_value
      - .offset:         64
        .size:           8
        .value_kind:     by_value
      - .offset:         72
        .size:           8
        .value_kind:     by_value
      - .address_space:  global
        .offset:         80
        .size:           8
        .value_kind:     global_buffer
      - .offset:         88
        .size:           4
        .value_kind:     by_value
      - .offset:         96
        .size:           4
        .value_kind:     hidden_block_count_x
      - .offset:         100
        .size:           4
        .value_kind:     hidden_block_count_y
      - .offset:         104
        .size:           4
        .value_kind:     hidden_block_count_z
      - .offset:         108
        .size:           2
        .value_kind:     hidden_group_size_x
      - .offset:         110
        .size:           2
        .value_kind:     hidden_group_size_y
      - .offset:         112
        .size:           2
        .value_kind:     hidden_group_size_z
      - .offset:         114
        .size:           2
        .value_kind:     hidden_remainder_x
      - .offset:         116
        .size:           2
        .value_kind:     hidden_remainder_y
      - .offset:         118
        .size:           2
        .value_kind:     hidden_remainder_z
      - .offset:         136
        .size:           8
        .value_kind:     hidden_global_offset_x
      - .offset:         144
        .size:           8
        .value_kind:     hidden_global_offset_y
      - .offset:         152
        .size:           8
        .value_kind:     hidden_global_offset_z
      - .offset:         160
        .size:           2
        .value_kind:     hidden_grid_dims
    .group_segment_fixed_size: 41480
    .kernarg_segment_align: 8
    .kernarg_segment_size: 352
    .language:       OpenCL C
    .language_version:
      - 2
      - 0
    .max_flat_workgroup_size: 1024
    .name:           _ZL19rocblas_trsv_deviceILi64ELi16ELb1ELb1ELb0ELb0EddPKPKdPKPdEviT7_lllT6_T8_lllPii
    .private_segment_fixed_size: 0
    .sgpr_count:     100
    .sgpr_spill_count: 65
    .symbol:         _ZL19rocblas_trsv_deviceILi64ELi16ELb1ELb1ELb0ELb0EddPKPKdPKPdEviT7_lllT6_T8_lllPii.kd
    .uniform_work_group_size: 1
    .uses_dynamic_stack: false
    .vgpr_count:     43
    .vgpr_spill_count: 0
    .wavefront_size: 64
  - .args:
      - .offset:         0
        .size:           4
        .value_kind:     by_value
      - .address_space:  global
        .offset:         8
        .size:           8
        .value_kind:     global_buffer
      - .offset:         16
        .size:           8
        .value_kind:     by_value
      - .offset:         24
        .size:           8
        .value_kind:     by_value
      - .offset:         32
        .size:           8
        .value_kind:     by_value
      - .offset:         40
        .size:           8
        .value_kind:     by_value
      - .address_space:  global
        .offset:         48
        .size:           8
        .value_kind:     global_buffer
      - .offset:         56
        .size:           8
        .value_kind:     by_value
      - .offset:         64
        .size:           8
        .value_kind:     by_value
      - .offset:         72
        .size:           8
        .value_kind:     by_value
      - .address_space:  global
        .offset:         80
        .size:           8
        .value_kind:     global_buffer
      - .offset:         88
        .size:           4
        .value_kind:     by_value
      - .offset:         96
        .size:           4
        .value_kind:     hidden_block_count_x
      - .offset:         100
        .size:           4
        .value_kind:     hidden_block_count_y
      - .offset:         104
        .size:           4
        .value_kind:     hidden_block_count_z
      - .offset:         108
        .size:           2
        .value_kind:     hidden_group_size_x
      - .offset:         110
        .size:           2
        .value_kind:     hidden_group_size_y
      - .offset:         112
        .size:           2
        .value_kind:     hidden_group_size_z
      - .offset:         114
        .size:           2
        .value_kind:     hidden_remainder_x
      - .offset:         116
        .size:           2
        .value_kind:     hidden_remainder_y
      - .offset:         118
        .size:           2
        .value_kind:     hidden_remainder_z
      - .offset:         136
        .size:           8
        .value_kind:     hidden_global_offset_x
      - .offset:         144
        .size:           8
        .value_kind:     hidden_global_offset_y
      - .offset:         152
        .size:           8
        .value_kind:     hidden_global_offset_z
      - .offset:         160
        .size:           2
        .value_kind:     hidden_grid_dims
    .group_segment_fixed_size: 41480
    .kernarg_segment_align: 8
    .kernarg_segment_size: 352
    .language:       OpenCL C
    .language_version:
      - 2
      - 0
    .max_flat_workgroup_size: 1024
    .name:           _ZL19rocblas_trsv_deviceILi64ELi16ELb1ELb1ELb1ELb0EddPKPKdPKPdEviT7_lllT6_T8_lllPii
    .private_segment_fixed_size: 0
    .sgpr_count:     100
    .sgpr_spill_count: 65
    .symbol:         _ZL19rocblas_trsv_deviceILi64ELi16ELb1ELb1ELb1ELb0EddPKPKdPKPdEviT7_lllT6_T8_lllPii.kd
    .uniform_work_group_size: 1
    .uses_dynamic_stack: false
    .vgpr_count:     43
    .vgpr_spill_count: 0
    .wavefront_size: 64
  - .args:
      - .offset:         0
        .size:           4
        .value_kind:     by_value
      - .address_space:  global
        .offset:         8
        .size:           8
        .value_kind:     global_buffer
      - .offset:         16
        .size:           8
        .value_kind:     by_value
      - .offset:         24
        .size:           8
        .value_kind:     by_value
      - .offset:         32
        .size:           8
        .value_kind:     by_value
      - .address_space:  global
        .offset:         40
        .size:           8
        .value_kind:     global_buffer
      - .address_space:  global
        .offset:         48
        .size:           8
        .value_kind:     global_buffer
      - .offset:         56
        .size:           8
        .value_kind:     by_value
      - .offset:         64
        .size:           8
        .value_kind:     by_value
      - .offset:         72
        .size:           8
        .value_kind:     by_value
      - .address_space:  global
        .offset:         80
        .size:           8
        .value_kind:     global_buffer
      - .offset:         88
        .size:           4
        .value_kind:     by_value
      - .offset:         96
        .size:           4
        .value_kind:     hidden_block_count_x
      - .offset:         100
        .size:           4
        .value_kind:     hidden_block_count_y
      - .offset:         104
        .size:           4
        .value_kind:     hidden_block_count_z
      - .offset:         108
        .size:           2
        .value_kind:     hidden_group_size_x
      - .offset:         110
        .size:           2
        .value_kind:     hidden_group_size_y
      - .offset:         112
        .size:           2
        .value_kind:     hidden_group_size_z
      - .offset:         114
        .size:           2
        .value_kind:     hidden_remainder_x
      - .offset:         116
        .size:           2
        .value_kind:     hidden_remainder_y
      - .offset:         118
        .size:           2
        .value_kind:     hidden_remainder_z
      - .offset:         136
        .size:           8
        .value_kind:     hidden_global_offset_x
      - .offset:         144
        .size:           8
        .value_kind:     hidden_global_offset_y
      - .offset:         152
        .size:           8
        .value_kind:     hidden_global_offset_z
      - .offset:         160
        .size:           2
        .value_kind:     hidden_grid_dims
    .group_segment_fixed_size: 41480
    .kernarg_segment_align: 8
    .kernarg_segment_size: 352
    .language:       OpenCL C
    .language_version:
      - 2
      - 0
    .max_flat_workgroup_size: 1024
    .name:           _ZL19rocblas_trsv_deviceILi64ELi16ELb0ELb0ELb0ELb1E19rocblas_complex_numIfEPKS1_PKS3_PKPS1_EviT7_lllT6_T8_lllPii
    .private_segment_fixed_size: 48
    .sgpr_count:     106
    .sgpr_spill_count: 54
    .symbol:         _ZL19rocblas_trsv_deviceILi64ELi16ELb0ELb0ELb0ELb1E19rocblas_complex_numIfEPKS1_PKS3_PKPS1_EviT7_lllT6_T8_lllPii.kd
    .uniform_work_group_size: 1
    .uses_dynamic_stack: false
    .vgpr_count:     29
    .vgpr_spill_count: 0
    .wavefront_size: 64
  - .args:
      - .offset:         0
        .size:           4
        .value_kind:     by_value
      - .address_space:  global
        .offset:         8
        .size:           8
        .value_kind:     global_buffer
      - .offset:         16
        .size:           8
        .value_kind:     by_value
      - .offset:         24
        .size:           8
        .value_kind:     by_value
      - .offset:         32
        .size:           8
        .value_kind:     by_value
      - .address_space:  global
        .offset:         40
        .size:           8
        .value_kind:     global_buffer
      - .address_space:  global
        .offset:         48
        .size:           8
        .value_kind:     global_buffer
      - .offset:         56
        .size:           8
        .value_kind:     by_value
      - .offset:         64
        .size:           8
        .value_kind:     by_value
      - .offset:         72
        .size:           8
        .value_kind:     by_value
      - .address_space:  global
        .offset:         80
        .size:           8
        .value_kind:     global_buffer
      - .offset:         88
        .size:           4
        .value_kind:     by_value
      - .offset:         96
        .size:           4
        .value_kind:     hidden_block_count_x
      - .offset:         100
        .size:           4
        .value_kind:     hidden_block_count_y
      - .offset:         104
        .size:           4
        .value_kind:     hidden_block_count_z
      - .offset:         108
        .size:           2
        .value_kind:     hidden_group_size_x
      - .offset:         110
        .size:           2
        .value_kind:     hidden_group_size_y
      - .offset:         112
        .size:           2
        .value_kind:     hidden_group_size_z
      - .offset:         114
        .size:           2
        .value_kind:     hidden_remainder_x
      - .offset:         116
        .size:           2
        .value_kind:     hidden_remainder_y
      - .offset:         118
        .size:           2
        .value_kind:     hidden_remainder_z
      - .offset:         136
        .size:           8
        .value_kind:     hidden_global_offset_x
      - .offset:         144
        .size:           8
        .value_kind:     hidden_global_offset_y
      - .offset:         152
        .size:           8
        .value_kind:     hidden_global_offset_z
      - .offset:         160
        .size:           2
        .value_kind:     hidden_grid_dims
    .group_segment_fixed_size: 41480
    .kernarg_segment_align: 8
    .kernarg_segment_size: 352
    .language:       OpenCL C
    .language_version:
      - 2
      - 0
    .max_flat_workgroup_size: 1024
    .name:           _ZL19rocblas_trsv_deviceILi64ELi16ELb0ELb1ELb0ELb1E19rocblas_complex_numIfEPKS1_PKS3_PKPS1_EviT7_lllT6_T8_lllPii
    .private_segment_fixed_size: 48
    .sgpr_count:     106
    .sgpr_spill_count: 60
    .symbol:         _ZL19rocblas_trsv_deviceILi64ELi16ELb0ELb1ELb0ELb1E19rocblas_complex_numIfEPKS1_PKS3_PKPS1_EviT7_lllT6_T8_lllPii.kd
    .uniform_work_group_size: 1
    .uses_dynamic_stack: false
    .vgpr_count:     30
    .vgpr_spill_count: 0
    .wavefront_size: 64
  - .args:
      - .offset:         0
        .size:           4
        .value_kind:     by_value
      - .address_space:  global
        .offset:         8
        .size:           8
        .value_kind:     global_buffer
      - .offset:         16
        .size:           8
        .value_kind:     by_value
      - .offset:         24
        .size:           8
        .value_kind:     by_value
      - .offset:         32
        .size:           8
        .value_kind:     by_value
      - .address_space:  global
        .offset:         40
        .size:           8
        .value_kind:     global_buffer
      - .address_space:  global
        .offset:         48
        .size:           8
        .value_kind:     global_buffer
      - .offset:         56
        .size:           8
        .value_kind:     by_value
      - .offset:         64
        .size:           8
        .value_kind:     by_value
      - .offset:         72
        .size:           8
        .value_kind:     by_value
      - .address_space:  global
        .offset:         80
        .size:           8
        .value_kind:     global_buffer
      - .offset:         88
        .size:           4
        .value_kind:     by_value
      - .offset:         96
        .size:           4
        .value_kind:     hidden_block_count_x
      - .offset:         100
        .size:           4
        .value_kind:     hidden_block_count_y
      - .offset:         104
        .size:           4
        .value_kind:     hidden_block_count_z
      - .offset:         108
        .size:           2
        .value_kind:     hidden_group_size_x
      - .offset:         110
        .size:           2
        .value_kind:     hidden_group_size_y
      - .offset:         112
        .size:           2
        .value_kind:     hidden_group_size_z
      - .offset:         114
        .size:           2
        .value_kind:     hidden_remainder_x
      - .offset:         116
        .size:           2
        .value_kind:     hidden_remainder_y
      - .offset:         118
        .size:           2
        .value_kind:     hidden_remainder_z
      - .offset:         136
        .size:           8
        .value_kind:     hidden_global_offset_x
      - .offset:         144
        .size:           8
        .value_kind:     hidden_global_offset_y
      - .offset:         152
        .size:           8
        .value_kind:     hidden_global_offset_z
      - .offset:         160
        .size:           2
        .value_kind:     hidden_grid_dims
    .group_segment_fixed_size: 41480
    .kernarg_segment_align: 8
    .kernarg_segment_size: 352
    .language:       OpenCL C
    .language_version:
      - 2
      - 0
    .max_flat_workgroup_size: 1024
    .name:           _ZL19rocblas_trsv_deviceILi64ELi16ELb0ELb1ELb1ELb1E19rocblas_complex_numIfEPKS1_PKS3_PKPS1_EviT7_lllT6_T8_lllPii
    .private_segment_fixed_size: 0
    .sgpr_count:     100
    .sgpr_spill_count: 60
    .symbol:         _ZL19rocblas_trsv_deviceILi64ELi16ELb0ELb1ELb1ELb1E19rocblas_complex_numIfEPKS1_PKS3_PKPS1_EviT7_lllT6_T8_lllPii.kd
    .uniform_work_group_size: 1
    .uses_dynamic_stack: false
    .vgpr_count:     38
    .vgpr_spill_count: 0
    .wavefront_size: 64
  - .args:
      - .offset:         0
        .size:           4
        .value_kind:     by_value
      - .address_space:  global
        .offset:         8
        .size:           8
        .value_kind:     global_buffer
      - .offset:         16
        .size:           8
        .value_kind:     by_value
      - .offset:         24
        .size:           8
        .value_kind:     by_value
      - .offset:         32
        .size:           8
        .value_kind:     by_value
      - .address_space:  global
        .offset:         40
        .size:           8
        .value_kind:     global_buffer
      - .address_space:  global
        .offset:         48
        .size:           8
        .value_kind:     global_buffer
      - .offset:         56
        .size:           8
        .value_kind:     by_value
      - .offset:         64
        .size:           8
        .value_kind:     by_value
      - .offset:         72
        .size:           8
        .value_kind:     by_value
      - .address_space:  global
        .offset:         80
        .size:           8
        .value_kind:     global_buffer
      - .offset:         88
        .size:           4
        .value_kind:     by_value
      - .offset:         96
        .size:           4
        .value_kind:     hidden_block_count_x
      - .offset:         100
        .size:           4
        .value_kind:     hidden_block_count_y
      - .offset:         104
        .size:           4
        .value_kind:     hidden_block_count_z
      - .offset:         108
        .size:           2
        .value_kind:     hidden_group_size_x
      - .offset:         110
        .size:           2
        .value_kind:     hidden_group_size_y
      - .offset:         112
        .size:           2
        .value_kind:     hidden_group_size_z
      - .offset:         114
        .size:           2
        .value_kind:     hidden_remainder_x
      - .offset:         116
        .size:           2
        .value_kind:     hidden_remainder_y
      - .offset:         118
        .size:           2
        .value_kind:     hidden_remainder_z
      - .offset:         136
        .size:           8
        .value_kind:     hidden_global_offset_x
      - .offset:         144
        .size:           8
        .value_kind:     hidden_global_offset_y
      - .offset:         152
        .size:           8
        .value_kind:     hidden_global_offset_z
      - .offset:         160
        .size:           2
        .value_kind:     hidden_grid_dims
    .group_segment_fixed_size: 41480
    .kernarg_segment_align: 8
    .kernarg_segment_size: 352
    .language:       OpenCL C
    .language_version:
      - 2
      - 0
    .max_flat_workgroup_size: 1024
    .name:           _ZL19rocblas_trsv_deviceILi64ELi16ELb0ELb0ELb0ELb0E19rocblas_complex_numIfEPKS1_PKS3_PKPS1_EviT7_lllT6_T8_lllPii
    .private_segment_fixed_size: 48
    .sgpr_count:     106
    .sgpr_spill_count: 55
    .symbol:         _ZL19rocblas_trsv_deviceILi64ELi16ELb0ELb0ELb0ELb0E19rocblas_complex_numIfEPKS1_PKS3_PKPS1_EviT7_lllT6_T8_lllPii.kd
    .uniform_work_group_size: 1
    .uses_dynamic_stack: false
    .vgpr_count:     31
    .vgpr_spill_count: 0
    .wavefront_size: 64
  - .args:
      - .offset:         0
        .size:           4
        .value_kind:     by_value
      - .address_space:  global
        .offset:         8
        .size:           8
        .value_kind:     global_buffer
      - .offset:         16
        .size:           8
        .value_kind:     by_value
      - .offset:         24
        .size:           8
        .value_kind:     by_value
      - .offset:         32
        .size:           8
        .value_kind:     by_value
      - .address_space:  global
        .offset:         40
        .size:           8
        .value_kind:     global_buffer
      - .address_space:  global
        .offset:         48
        .size:           8
        .value_kind:     global_buffer
      - .offset:         56
        .size:           8
        .value_kind:     by_value
      - .offset:         64
        .size:           8
        .value_kind:     by_value
      - .offset:         72
        .size:           8
        .value_kind:     by_value
      - .address_space:  global
        .offset:         80
        .size:           8
        .value_kind:     global_buffer
      - .offset:         88
        .size:           4
        .value_kind:     by_value
      - .offset:         96
        .size:           4
        .value_kind:     hidden_block_count_x
      - .offset:         100
        .size:           4
        .value_kind:     hidden_block_count_y
      - .offset:         104
        .size:           4
        .value_kind:     hidden_block_count_z
      - .offset:         108
        .size:           2
        .value_kind:     hidden_group_size_x
      - .offset:         110
        .size:           2
        .value_kind:     hidden_group_size_y
      - .offset:         112
        .size:           2
        .value_kind:     hidden_group_size_z
      - .offset:         114
        .size:           2
        .value_kind:     hidden_remainder_x
      - .offset:         116
        .size:           2
        .value_kind:     hidden_remainder_y
      - .offset:         118
        .size:           2
        .value_kind:     hidden_remainder_z
      - .offset:         136
        .size:           8
        .value_kind:     hidden_global_offset_x
      - .offset:         144
        .size:           8
        .value_kind:     hidden_global_offset_y
      - .offset:         152
        .size:           8
        .value_kind:     hidden_global_offset_z
      - .offset:         160
        .size:           2
        .value_kind:     hidden_grid_dims
    .group_segment_fixed_size: 41480
    .kernarg_segment_align: 8
    .kernarg_segment_size: 352
    .language:       OpenCL C
    .language_version:
      - 2
      - 0
    .max_flat_workgroup_size: 1024
    .name:           _ZL19rocblas_trsv_deviceILi64ELi16ELb0ELb1ELb0ELb0E19rocblas_complex_numIfEPKS1_PKS3_PKPS1_EviT7_lllT6_T8_lllPii
    .private_segment_fixed_size: 48
    .sgpr_count:     106
    .sgpr_spill_count: 63
    .symbol:         _ZL19rocblas_trsv_deviceILi64ELi16ELb0ELb1ELb0ELb0E19rocblas_complex_numIfEPKS1_PKS3_PKPS1_EviT7_lllT6_T8_lllPii.kd
    .uniform_work_group_size: 1
    .uses_dynamic_stack: false
    .vgpr_count:     31
    .vgpr_spill_count: 0
    .wavefront_size: 64
  - .args:
      - .offset:         0
        .size:           4
        .value_kind:     by_value
      - .address_space:  global
        .offset:         8
        .size:           8
        .value_kind:     global_buffer
      - .offset:         16
        .size:           8
        .value_kind:     by_value
      - .offset:         24
        .size:           8
        .value_kind:     by_value
      - .offset:         32
        .size:           8
        .value_kind:     by_value
      - .address_space:  global
        .offset:         40
        .size:           8
        .value_kind:     global_buffer
      - .address_space:  global
        .offset:         48
        .size:           8
        .value_kind:     global_buffer
      - .offset:         56
        .size:           8
        .value_kind:     by_value
      - .offset:         64
        .size:           8
        .value_kind:     by_value
      - .offset:         72
        .size:           8
        .value_kind:     by_value
      - .address_space:  global
        .offset:         80
        .size:           8
        .value_kind:     global_buffer
      - .offset:         88
        .size:           4
        .value_kind:     by_value
      - .offset:         96
        .size:           4
        .value_kind:     hidden_block_count_x
      - .offset:         100
        .size:           4
        .value_kind:     hidden_block_count_y
      - .offset:         104
        .size:           4
        .value_kind:     hidden_block_count_z
      - .offset:         108
        .size:           2
        .value_kind:     hidden_group_size_x
      - .offset:         110
        .size:           2
        .value_kind:     hidden_group_size_y
      - .offset:         112
        .size:           2
        .value_kind:     hidden_group_size_z
      - .offset:         114
        .size:           2
        .value_kind:     hidden_remainder_x
      - .offset:         116
        .size:           2
        .value_kind:     hidden_remainder_y
      - .offset:         118
        .size:           2
        .value_kind:     hidden_remainder_z
      - .offset:         136
        .size:           8
        .value_kind:     hidden_global_offset_x
      - .offset:         144
        .size:           8
        .value_kind:     hidden_global_offset_y
      - .offset:         152
        .size:           8
        .value_kind:     hidden_global_offset_z
      - .offset:         160
        .size:           2
        .value_kind:     hidden_grid_dims
    .group_segment_fixed_size: 41480
    .kernarg_segment_align: 8
    .kernarg_segment_size: 352
    .language:       OpenCL C
    .language_version:
      - 2
      - 0
    .max_flat_workgroup_size: 1024
    .name:           _ZL19rocblas_trsv_deviceILi64ELi16ELb0ELb1ELb1ELb0E19rocblas_complex_numIfEPKS1_PKS3_PKPS1_EviT7_lllT6_T8_lllPii
    .private_segment_fixed_size: 0
    .sgpr_count:     100
    .sgpr_spill_count: 63
    .symbol:         _ZL19rocblas_trsv_deviceILi64ELi16ELb0ELb1ELb1ELb0E19rocblas_complex_numIfEPKS1_PKS3_PKPS1_EviT7_lllT6_T8_lllPii.kd
    .uniform_work_group_size: 1
    .uses_dynamic_stack: false
    .vgpr_count:     39
    .vgpr_spill_count: 0
    .wavefront_size: 64
  - .args:
      - .offset:         0
        .size:           4
        .value_kind:     by_value
      - .address_space:  global
        .offset:         8
        .size:           8
        .value_kind:     global_buffer
      - .offset:         16
        .size:           8
        .value_kind:     by_value
      - .offset:         24
        .size:           8
        .value_kind:     by_value
      - .offset:         32
        .size:           8
        .value_kind:     by_value
      - .address_space:  global
        .offset:         40
        .size:           8
        .value_kind:     global_buffer
      - .address_space:  global
        .offset:         48
        .size:           8
        .value_kind:     global_buffer
      - .offset:         56
        .size:           8
        .value_kind:     by_value
      - .offset:         64
        .size:           8
        .value_kind:     by_value
      - .offset:         72
        .size:           8
        .value_kind:     by_value
      - .address_space:  global
        .offset:         80
        .size:           8
        .value_kind:     global_buffer
      - .offset:         88
        .size:           4
        .value_kind:     by_value
      - .offset:         96
        .size:           4
        .value_kind:     hidden_block_count_x
      - .offset:         100
        .size:           4
        .value_kind:     hidden_block_count_y
      - .offset:         104
        .size:           4
        .value_kind:     hidden_block_count_z
      - .offset:         108
        .size:           2
        .value_kind:     hidden_group_size_x
      - .offset:         110
        .size:           2
        .value_kind:     hidden_group_size_y
      - .offset:         112
        .size:           2
        .value_kind:     hidden_group_size_z
      - .offset:         114
        .size:           2
        .value_kind:     hidden_remainder_x
      - .offset:         116
        .size:           2
        .value_kind:     hidden_remainder_y
      - .offset:         118
        .size:           2
        .value_kind:     hidden_remainder_z
      - .offset:         136
        .size:           8
        .value_kind:     hidden_global_offset_x
      - .offset:         144
        .size:           8
        .value_kind:     hidden_global_offset_y
      - .offset:         152
        .size:           8
        .value_kind:     hidden_global_offset_z
      - .offset:         160
        .size:           2
        .value_kind:     hidden_grid_dims
    .group_segment_fixed_size: 41480
    .kernarg_segment_align: 8
    .kernarg_segment_size: 352
    .language:       OpenCL C
    .language_version:
      - 2
      - 0
    .max_flat_workgroup_size: 1024
    .name:           _ZL19rocblas_trsv_deviceILi64ELi16ELb1ELb0ELb0ELb1E19rocblas_complex_numIfEPKS1_PKS3_PKPS1_EviT7_lllT6_T8_lllPii
    .private_segment_fixed_size: 48
    .sgpr_count:     106
    .sgpr_spill_count: 50
    .symbol:         _ZL19rocblas_trsv_deviceILi64ELi16ELb1ELb0ELb0ELb1E19rocblas_complex_numIfEPKS1_PKS3_PKPS1_EviT7_lllT6_T8_lllPii.kd
    .uniform_work_group_size: 1
    .uses_dynamic_stack: false
    .vgpr_count:     36
    .vgpr_spill_count: 0
    .wavefront_size: 64
  - .args:
      - .offset:         0
        .size:           4
        .value_kind:     by_value
      - .address_space:  global
        .offset:         8
        .size:           8
        .value_kind:     global_buffer
      - .offset:         16
        .size:           8
        .value_kind:     by_value
      - .offset:         24
        .size:           8
        .value_kind:     by_value
      - .offset:         32
        .size:           8
        .value_kind:     by_value
      - .address_space:  global
        .offset:         40
        .size:           8
        .value_kind:     global_buffer
      - .address_space:  global
        .offset:         48
        .size:           8
        .value_kind:     global_buffer
      - .offset:         56
        .size:           8
        .value_kind:     by_value
      - .offset:         64
        .size:           8
        .value_kind:     by_value
      - .offset:         72
        .size:           8
        .value_kind:     by_value
      - .address_space:  global
        .offset:         80
        .size:           8
        .value_kind:     global_buffer
      - .offset:         88
        .size:           4
        .value_kind:     by_value
      - .offset:         96
        .size:           4
        .value_kind:     hidden_block_count_x
      - .offset:         100
        .size:           4
        .value_kind:     hidden_block_count_y
      - .offset:         104
        .size:           4
        .value_kind:     hidden_block_count_z
      - .offset:         108
        .size:           2
        .value_kind:     hidden_group_size_x
      - .offset:         110
        .size:           2
        .value_kind:     hidden_group_size_y
      - .offset:         112
        .size:           2
        .value_kind:     hidden_group_size_z
      - .offset:         114
        .size:           2
        .value_kind:     hidden_remainder_x
      - .offset:         116
        .size:           2
        .value_kind:     hidden_remainder_y
      - .offset:         118
        .size:           2
        .value_kind:     hidden_remainder_z
      - .offset:         136
        .size:           8
        .value_kind:     hidden_global_offset_x
      - .offset:         144
        .size:           8
        .value_kind:     hidden_global_offset_y
      - .offset:         152
        .size:           8
        .value_kind:     hidden_global_offset_z
      - .offset:         160
        .size:           2
        .value_kind:     hidden_grid_dims
    .group_segment_fixed_size: 41480
    .kernarg_segment_align: 8
    .kernarg_segment_size: 352
    .language:       OpenCL C
    .language_version:
      - 2
      - 0
    .max_flat_workgroup_size: 1024
    .name:           _ZL19rocblas_trsv_deviceILi64ELi16ELb1ELb1ELb0ELb1E19rocblas_complex_numIfEPKS1_PKS3_PKPS1_EviT7_lllT6_T8_lllPii
    .private_segment_fixed_size: 48
    .sgpr_count:     106
    .sgpr_spill_count: 64
    .symbol:         _ZL19rocblas_trsv_deviceILi64ELi16ELb1ELb1ELb0ELb1E19rocblas_complex_numIfEPKS1_PKS3_PKPS1_EviT7_lllT6_T8_lllPii.kd
    .uniform_work_group_size: 1
    .uses_dynamic_stack: false
    .vgpr_count:     35
    .vgpr_spill_count: 0
    .wavefront_size: 64
  - .args:
      - .offset:         0
        .size:           4
        .value_kind:     by_value
      - .address_space:  global
        .offset:         8
        .size:           8
        .value_kind:     global_buffer
      - .offset:         16
        .size:           8
        .value_kind:     by_value
      - .offset:         24
        .size:           8
        .value_kind:     by_value
      - .offset:         32
        .size:           8
        .value_kind:     by_value
      - .address_space:  global
        .offset:         40
        .size:           8
        .value_kind:     global_buffer
      - .address_space:  global
        .offset:         48
        .size:           8
        .value_kind:     global_buffer
      - .offset:         56
        .size:           8
        .value_kind:     by_value
      - .offset:         64
        .size:           8
        .value_kind:     by_value
      - .offset:         72
        .size:           8
        .value_kind:     by_value
      - .address_space:  global
        .offset:         80
        .size:           8
        .value_kind:     global_buffer
      - .offset:         88
        .size:           4
        .value_kind:     by_value
      - .offset:         96
        .size:           4
        .value_kind:     hidden_block_count_x
      - .offset:         100
        .size:           4
        .value_kind:     hidden_block_count_y
      - .offset:         104
        .size:           4
        .value_kind:     hidden_block_count_z
      - .offset:         108
        .size:           2
        .value_kind:     hidden_group_size_x
      - .offset:         110
        .size:           2
        .value_kind:     hidden_group_size_y
      - .offset:         112
        .size:           2
        .value_kind:     hidden_group_size_z
      - .offset:         114
        .size:           2
        .value_kind:     hidden_remainder_x
      - .offset:         116
        .size:           2
        .value_kind:     hidden_remainder_y
      - .offset:         118
        .size:           2
        .value_kind:     hidden_remainder_z
      - .offset:         136
        .size:           8
        .value_kind:     hidden_global_offset_x
      - .offset:         144
        .size:           8
        .value_kind:     hidden_global_offset_y
      - .offset:         152
        .size:           8
        .value_kind:     hidden_global_offset_z
      - .offset:         160
        .size:           2
        .value_kind:     hidden_grid_dims
    .group_segment_fixed_size: 41480
    .kernarg_segment_align: 8
    .kernarg_segment_size: 352
    .language:       OpenCL C
    .language_version:
      - 2
      - 0
    .max_flat_workgroup_size: 1024
    .name:           _ZL19rocblas_trsv_deviceILi64ELi16ELb1ELb1ELb1ELb1E19rocblas_complex_numIfEPKS1_PKS3_PKPS1_EviT7_lllT6_T8_lllPii
    .private_segment_fixed_size: 0
    .sgpr_count:     100
    .sgpr_spill_count: 64
    .symbol:         _ZL19rocblas_trsv_deviceILi64ELi16ELb1ELb1ELb1ELb1E19rocblas_complex_numIfEPKS1_PKS3_PKPS1_EviT7_lllT6_T8_lllPii.kd
    .uniform_work_group_size: 1
    .uses_dynamic_stack: false
    .vgpr_count:     43
    .vgpr_spill_count: 0
    .wavefront_size: 64
  - .args:
      - .offset:         0
        .size:           4
        .value_kind:     by_value
      - .address_space:  global
        .offset:         8
        .size:           8
        .value_kind:     global_buffer
      - .offset:         16
        .size:           8
        .value_kind:     by_value
      - .offset:         24
        .size:           8
        .value_kind:     by_value
      - .offset:         32
        .size:           8
        .value_kind:     by_value
      - .address_space:  global
        .offset:         40
        .size:           8
        .value_kind:     global_buffer
      - .address_space:  global
        .offset:         48
        .size:           8
        .value_kind:     global_buffer
      - .offset:         56
        .size:           8
        .value_kind:     by_value
      - .offset:         64
        .size:           8
        .value_kind:     by_value
      - .offset:         72
        .size:           8
        .value_kind:     by_value
      - .address_space:  global
        .offset:         80
        .size:           8
        .value_kind:     global_buffer
      - .offset:         88
        .size:           4
        .value_kind:     by_value
      - .offset:         96
        .size:           4
        .value_kind:     hidden_block_count_x
      - .offset:         100
        .size:           4
        .value_kind:     hidden_block_count_y
      - .offset:         104
        .size:           4
        .value_kind:     hidden_block_count_z
      - .offset:         108
        .size:           2
        .value_kind:     hidden_group_size_x
      - .offset:         110
        .size:           2
        .value_kind:     hidden_group_size_y
      - .offset:         112
        .size:           2
        .value_kind:     hidden_group_size_z
      - .offset:         114
        .size:           2
        .value_kind:     hidden_remainder_x
      - .offset:         116
        .size:           2
        .value_kind:     hidden_remainder_y
      - .offset:         118
        .size:           2
        .value_kind:     hidden_remainder_z
      - .offset:         136
        .size:           8
        .value_kind:     hidden_global_offset_x
      - .offset:         144
        .size:           8
        .value_kind:     hidden_global_offset_y
      - .offset:         152
        .size:           8
        .value_kind:     hidden_global_offset_z
      - .offset:         160
        .size:           2
        .value_kind:     hidden_grid_dims
    .group_segment_fixed_size: 41480
    .kernarg_segment_align: 8
    .kernarg_segment_size: 352
    .language:       OpenCL C
    .language_version:
      - 2
      - 0
    .max_flat_workgroup_size: 1024
    .name:           _ZL19rocblas_trsv_deviceILi64ELi16ELb1ELb0ELb0ELb0E19rocblas_complex_numIfEPKS1_PKS3_PKPS1_EviT7_lllT6_T8_lllPii
    .private_segment_fixed_size: 48
    .sgpr_count:     106
    .sgpr_spill_count: 53
    .symbol:         _ZL19rocblas_trsv_deviceILi64ELi16ELb1ELb0ELb0ELb0E19rocblas_complex_numIfEPKS1_PKS3_PKPS1_EviT7_lllT6_T8_lllPii.kd
    .uniform_work_group_size: 1
    .uses_dynamic_stack: false
    .vgpr_count:     35
    .vgpr_spill_count: 0
    .wavefront_size: 64
  - .args:
      - .offset:         0
        .size:           4
        .value_kind:     by_value
      - .address_space:  global
        .offset:         8
        .size:           8
        .value_kind:     global_buffer
      - .offset:         16
        .size:           8
        .value_kind:     by_value
      - .offset:         24
        .size:           8
        .value_kind:     by_value
      - .offset:         32
        .size:           8
        .value_kind:     by_value
      - .address_space:  global
        .offset:         40
        .size:           8
        .value_kind:     global_buffer
      - .address_space:  global
        .offset:         48
        .size:           8
        .value_kind:     global_buffer
      - .offset:         56
        .size:           8
        .value_kind:     by_value
      - .offset:         64
        .size:           8
        .value_kind:     by_value
      - .offset:         72
        .size:           8
        .value_kind:     by_value
      - .address_space:  global
        .offset:         80
        .size:           8
        .value_kind:     global_buffer
      - .offset:         88
        .size:           4
        .value_kind:     by_value
      - .offset:         96
        .size:           4
        .value_kind:     hidden_block_count_x
      - .offset:         100
        .size:           4
        .value_kind:     hidden_block_count_y
      - .offset:         104
        .size:           4
        .value_kind:     hidden_block_count_z
      - .offset:         108
        .size:           2
        .value_kind:     hidden_group_size_x
      - .offset:         110
        .size:           2
        .value_kind:     hidden_group_size_y
      - .offset:         112
        .size:           2
        .value_kind:     hidden_group_size_z
      - .offset:         114
        .size:           2
        .value_kind:     hidden_remainder_x
      - .offset:         116
        .size:           2
        .value_kind:     hidden_remainder_y
      - .offset:         118
        .size:           2
        .value_kind:     hidden_remainder_z
      - .offset:         136
        .size:           8
        .value_kind:     hidden_global_offset_x
      - .offset:         144
        .size:           8
        .value_kind:     hidden_global_offset_y
      - .offset:         152
        .size:           8
        .value_kind:     hidden_global_offset_z
      - .offset:         160
        .size:           2
        .value_kind:     hidden_grid_dims
    .group_segment_fixed_size: 41480
    .kernarg_segment_align: 8
    .kernarg_segment_size: 352
    .language:       OpenCL C
    .language_version:
      - 2
      - 0
    .max_flat_workgroup_size: 1024
    .name:           _ZL19rocblas_trsv_deviceILi64ELi16ELb1ELb1ELb0ELb0E19rocblas_complex_numIfEPKS1_PKS3_PKPS1_EviT7_lllT6_T8_lllPii
    .private_segment_fixed_size: 48
    .sgpr_count:     106
    .sgpr_spill_count: 65
    .symbol:         _ZL19rocblas_trsv_deviceILi64ELi16ELb1ELb1ELb0ELb0E19rocblas_complex_numIfEPKS1_PKS3_PKPS1_EviT7_lllT6_T8_lllPii.kd
    .uniform_work_group_size: 1
    .uses_dynamic_stack: false
    .vgpr_count:     36
    .vgpr_spill_count: 0
    .wavefront_size: 64
  - .args:
      - .offset:         0
        .size:           4
        .value_kind:     by_value
      - .address_space:  global
        .offset:         8
        .size:           8
        .value_kind:     global_buffer
      - .offset:         16
        .size:           8
        .value_kind:     by_value
      - .offset:         24
        .size:           8
        .value_kind:     by_value
      - .offset:         32
        .size:           8
        .value_kind:     by_value
      - .address_space:  global
        .offset:         40
        .size:           8
        .value_kind:     global_buffer
      - .address_space:  global
        .offset:         48
        .size:           8
        .value_kind:     global_buffer
      - .offset:         56
        .size:           8
        .value_kind:     by_value
      - .offset:         64
        .size:           8
        .value_kind:     by_value
      - .offset:         72
        .size:           8
        .value_kind:     by_value
      - .address_space:  global
        .offset:         80
        .size:           8
        .value_kind:     global_buffer
      - .offset:         88
        .size:           4
        .value_kind:     by_value
      - .offset:         96
        .size:           4
        .value_kind:     hidden_block_count_x
      - .offset:         100
        .size:           4
        .value_kind:     hidden_block_count_y
      - .offset:         104
        .size:           4
        .value_kind:     hidden_block_count_z
      - .offset:         108
        .size:           2
        .value_kind:     hidden_group_size_x
      - .offset:         110
        .size:           2
        .value_kind:     hidden_group_size_y
      - .offset:         112
        .size:           2
        .value_kind:     hidden_group_size_z
      - .offset:         114
        .size:           2
        .value_kind:     hidden_remainder_x
      - .offset:         116
        .size:           2
        .value_kind:     hidden_remainder_y
      - .offset:         118
        .size:           2
        .value_kind:     hidden_remainder_z
      - .offset:         136
        .size:           8
        .value_kind:     hidden_global_offset_x
      - .offset:         144
        .size:           8
        .value_kind:     hidden_global_offset_y
      - .offset:         152
        .size:           8
        .value_kind:     hidden_global_offset_z
      - .offset:         160
        .size:           2
        .value_kind:     hidden_grid_dims
    .group_segment_fixed_size: 41480
    .kernarg_segment_align: 8
    .kernarg_segment_size: 352
    .language:       OpenCL C
    .language_version:
      - 2
      - 0
    .max_flat_workgroup_size: 1024
    .name:           _ZL19rocblas_trsv_deviceILi64ELi16ELb1ELb1ELb1ELb0E19rocblas_complex_numIfEPKS1_PKS3_PKPS1_EviT7_lllT6_T8_lllPii
    .private_segment_fixed_size: 0
    .sgpr_count:     100
    .sgpr_spill_count: 65
    .symbol:         _ZL19rocblas_trsv_deviceILi64ELi16ELb1ELb1ELb1ELb0E19rocblas_complex_numIfEPKS1_PKS3_PKPS1_EviT7_lllT6_T8_lllPii.kd
    .uniform_work_group_size: 1
    .uses_dynamic_stack: false
    .vgpr_count:     44
    .vgpr_spill_count: 0
    .wavefront_size: 64
  - .args:
      - .offset:         0
        .size:           4
        .value_kind:     by_value
      - .address_space:  global
        .offset:         8
        .size:           8
        .value_kind:     global_buffer
      - .offset:         16
        .size:           8
        .value_kind:     by_value
      - .offset:         24
        .size:           8
        .value_kind:     by_value
      - .offset:         32
        .size:           8
        .value_kind:     by_value
      - .offset:         40
        .size:           8
        .value_kind:     by_value
      - .address_space:  global
        .offset:         48
        .size:           8
        .value_kind:     global_buffer
      - .offset:         56
        .size:           8
        .value_kind:     by_value
      - .offset:         64
        .size:           8
        .value_kind:     by_value
      - .offset:         72
        .size:           8
        .value_kind:     by_value
      - .address_space:  global
        .offset:         80
        .size:           8
        .value_kind:     global_buffer
      - .offset:         88
        .size:           4
        .value_kind:     by_value
      - .offset:         96
        .size:           4
        .value_kind:     hidden_block_count_x
      - .offset:         100
        .size:           4
        .value_kind:     hidden_block_count_y
      - .offset:         104
        .size:           4
        .value_kind:     hidden_block_count_z
      - .offset:         108
        .size:           2
        .value_kind:     hidden_group_size_x
      - .offset:         110
        .size:           2
        .value_kind:     hidden_group_size_y
      - .offset:         112
        .size:           2
        .value_kind:     hidden_group_size_z
      - .offset:         114
        .size:           2
        .value_kind:     hidden_remainder_x
      - .offset:         116
        .size:           2
        .value_kind:     hidden_remainder_y
      - .offset:         118
        .size:           2
        .value_kind:     hidden_remainder_z
      - .offset:         136
        .size:           8
        .value_kind:     hidden_global_offset_x
      - .offset:         144
        .size:           8
        .value_kind:     hidden_global_offset_y
      - .offset:         152
        .size:           8
        .value_kind:     hidden_global_offset_z
      - .offset:         160
        .size:           2
        .value_kind:     hidden_grid_dims
    .group_segment_fixed_size: 41480
    .kernarg_segment_align: 8
    .kernarg_segment_size: 352
    .language:       OpenCL C
    .language_version:
      - 2
      - 0
    .max_flat_workgroup_size: 1024
    .name:           _ZL19rocblas_trsv_deviceILi64ELi16ELb0ELb0ELb0ELb1E19rocblas_complex_numIfES1_PKPKS1_PKPS1_EviT7_lllT6_T8_lllPii
    .private_segment_fixed_size: 48
    .sgpr_count:     106
    .sgpr_spill_count: 50
    .symbol:         _ZL19rocblas_trsv_deviceILi64ELi16ELb0ELb0ELb0ELb1E19rocblas_complex_numIfES1_PKPKS1_PKPS1_EviT7_lllT6_T8_lllPii.kd
    .uniform_work_group_size: 1
    .uses_dynamic_stack: false
    .vgpr_count:     29
    .vgpr_spill_count: 0
    .wavefront_size: 64
  - .args:
      - .offset:         0
        .size:           4
        .value_kind:     by_value
      - .address_space:  global
        .offset:         8
        .size:           8
        .value_kind:     global_buffer
      - .offset:         16
        .size:           8
        .value_kind:     by_value
      - .offset:         24
        .size:           8
        .value_kind:     by_value
      - .offset:         32
        .size:           8
        .value_kind:     by_value
      - .offset:         40
        .size:           8
        .value_kind:     by_value
      - .address_space:  global
        .offset:         48
        .size:           8
        .value_kind:     global_buffer
      - .offset:         56
        .size:           8
        .value_kind:     by_value
      - .offset:         64
        .size:           8
        .value_kind:     by_value
      - .offset:         72
        .size:           8
        .value_kind:     by_value
      - .address_space:  global
        .offset:         80
        .size:           8
        .value_kind:     global_buffer
      - .offset:         88
        .size:           4
        .value_kind:     by_value
      - .offset:         96
        .size:           4
        .value_kind:     hidden_block_count_x
      - .offset:         100
        .size:           4
        .value_kind:     hidden_block_count_y
      - .offset:         104
        .size:           4
        .value_kind:     hidden_block_count_z
      - .offset:         108
        .size:           2
        .value_kind:     hidden_group_size_x
      - .offset:         110
        .size:           2
        .value_kind:     hidden_group_size_y
      - .offset:         112
        .size:           2
        .value_kind:     hidden_group_size_z
      - .offset:         114
        .size:           2
        .value_kind:     hidden_remainder_x
      - .offset:         116
        .size:           2
        .value_kind:     hidden_remainder_y
      - .offset:         118
        .size:           2
        .value_kind:     hidden_remainder_z
      - .offset:         136
        .size:           8
        .value_kind:     hidden_global_offset_x
      - .offset:         144
        .size:           8
        .value_kind:     hidden_global_offset_y
      - .offset:         152
        .size:           8
        .value_kind:     hidden_global_offset_z
      - .offset:         160
        .size:           2
        .value_kind:     hidden_grid_dims
    .group_segment_fixed_size: 41480
    .kernarg_segment_align: 8
    .kernarg_segment_size: 352
    .language:       OpenCL C
    .language_version:
      - 2
      - 0
    .max_flat_workgroup_size: 1024
    .name:           _ZL19rocblas_trsv_deviceILi64ELi16ELb0ELb1ELb0ELb1E19rocblas_complex_numIfES1_PKPKS1_PKPS1_EviT7_lllT6_T8_lllPii
    .private_segment_fixed_size: 48
    .sgpr_count:     106
    .sgpr_spill_count: 56
    .symbol:         _ZL19rocblas_trsv_deviceILi64ELi16ELb0ELb1ELb0ELb1E19rocblas_complex_numIfES1_PKPKS1_PKPS1_EviT7_lllT6_T8_lllPii.kd
    .uniform_work_group_size: 1
    .uses_dynamic_stack: false
    .vgpr_count:     30
    .vgpr_spill_count: 0
    .wavefront_size: 64
  - .args:
      - .offset:         0
        .size:           4
        .value_kind:     by_value
      - .address_space:  global
        .offset:         8
        .size:           8
        .value_kind:     global_buffer
      - .offset:         16
        .size:           8
        .value_kind:     by_value
      - .offset:         24
        .size:           8
        .value_kind:     by_value
      - .offset:         32
        .size:           8
        .value_kind:     by_value
      - .offset:         40
        .size:           8
        .value_kind:     by_value
      - .address_space:  global
        .offset:         48
        .size:           8
        .value_kind:     global_buffer
      - .offset:         56
        .size:           8
        .value_kind:     by_value
      - .offset:         64
        .size:           8
        .value_kind:     by_value
      - .offset:         72
        .size:           8
        .value_kind:     by_value
      - .address_space:  global
        .offset:         80
        .size:           8
        .value_kind:     global_buffer
      - .offset:         88
        .size:           4
        .value_kind:     by_value
      - .offset:         96
        .size:           4
        .value_kind:     hidden_block_count_x
      - .offset:         100
        .size:           4
        .value_kind:     hidden_block_count_y
      - .offset:         104
        .size:           4
        .value_kind:     hidden_block_count_z
      - .offset:         108
        .size:           2
        .value_kind:     hidden_group_size_x
      - .offset:         110
        .size:           2
        .value_kind:     hidden_group_size_y
      - .offset:         112
        .size:           2
        .value_kind:     hidden_group_size_z
      - .offset:         114
        .size:           2
        .value_kind:     hidden_remainder_x
      - .offset:         116
        .size:           2
        .value_kind:     hidden_remainder_y
      - .offset:         118
        .size:           2
        .value_kind:     hidden_remainder_z
      - .offset:         136
        .size:           8
        .value_kind:     hidden_global_offset_x
      - .offset:         144
        .size:           8
        .value_kind:     hidden_global_offset_y
      - .offset:         152
        .size:           8
        .value_kind:     hidden_global_offset_z
      - .offset:         160
        .size:           2
        .value_kind:     hidden_grid_dims
    .group_segment_fixed_size: 41480
    .kernarg_segment_align: 8
    .kernarg_segment_size: 352
    .language:       OpenCL C
    .language_version:
      - 2
      - 0
    .max_flat_workgroup_size: 1024
    .name:           _ZL19rocblas_trsv_deviceILi64ELi16ELb0ELb1ELb1ELb1E19rocblas_complex_numIfES1_PKPKS1_PKPS1_EviT7_lllT6_T8_lllPii
    .private_segment_fixed_size: 0
    .sgpr_count:     100
    .sgpr_spill_count: 56
    .symbol:         _ZL19rocblas_trsv_deviceILi64ELi16ELb0ELb1ELb1ELb1E19rocblas_complex_numIfES1_PKPKS1_PKPS1_EviT7_lllT6_T8_lllPii.kd
    .uniform_work_group_size: 1
    .uses_dynamic_stack: false
    .vgpr_count:     38
    .vgpr_spill_count: 0
    .wavefront_size: 64
  - .args:
      - .offset:         0
        .size:           4
        .value_kind:     by_value
      - .address_space:  global
        .offset:         8
        .size:           8
        .value_kind:     global_buffer
      - .offset:         16
        .size:           8
        .value_kind:     by_value
      - .offset:         24
        .size:           8
        .value_kind:     by_value
      - .offset:         32
        .size:           8
        .value_kind:     by_value
      - .offset:         40
        .size:           8
        .value_kind:     by_value
      - .address_space:  global
        .offset:         48
        .size:           8
        .value_kind:     global_buffer
      - .offset:         56
        .size:           8
        .value_kind:     by_value
      - .offset:         64
        .size:           8
        .value_kind:     by_value
      - .offset:         72
        .size:           8
        .value_kind:     by_value
      - .address_space:  global
        .offset:         80
        .size:           8
        .value_kind:     global_buffer
      - .offset:         88
        .size:           4
        .value_kind:     by_value
      - .offset:         96
        .size:           4
        .value_kind:     hidden_block_count_x
      - .offset:         100
        .size:           4
        .value_kind:     hidden_block_count_y
      - .offset:         104
        .size:           4
        .value_kind:     hidden_block_count_z
      - .offset:         108
        .size:           2
        .value_kind:     hidden_group_size_x
      - .offset:         110
        .size:           2
        .value_kind:     hidden_group_size_y
      - .offset:         112
        .size:           2
        .value_kind:     hidden_group_size_z
      - .offset:         114
        .size:           2
        .value_kind:     hidden_remainder_x
      - .offset:         116
        .size:           2
        .value_kind:     hidden_remainder_y
      - .offset:         118
        .size:           2
        .value_kind:     hidden_remainder_z
      - .offset:         136
        .size:           8
        .value_kind:     hidden_global_offset_x
      - .offset:         144
        .size:           8
        .value_kind:     hidden_global_offset_y
      - .offset:         152
        .size:           8
        .value_kind:     hidden_global_offset_z
      - .offset:         160
        .size:           2
        .value_kind:     hidden_grid_dims
    .group_segment_fixed_size: 41480
    .kernarg_segment_align: 8
    .kernarg_segment_size: 352
    .language:       OpenCL C
    .language_version:
      - 2
      - 0
    .max_flat_workgroup_size: 1024
    .name:           _ZL19rocblas_trsv_deviceILi64ELi16ELb0ELb0ELb0ELb0E19rocblas_complex_numIfES1_PKPKS1_PKPS1_EviT7_lllT6_T8_lllPii
    .private_segment_fixed_size: 48
    .sgpr_count:     106
    .sgpr_spill_count: 51
    .symbol:         _ZL19rocblas_trsv_deviceILi64ELi16ELb0ELb0ELb0ELb0E19rocblas_complex_numIfES1_PKPKS1_PKPS1_EviT7_lllT6_T8_lllPii.kd
    .uniform_work_group_size: 1
    .uses_dynamic_stack: false
    .vgpr_count:     31
    .vgpr_spill_count: 0
    .wavefront_size: 64
  - .args:
      - .offset:         0
        .size:           4
        .value_kind:     by_value
      - .address_space:  global
        .offset:         8
        .size:           8
        .value_kind:     global_buffer
      - .offset:         16
        .size:           8
        .value_kind:     by_value
      - .offset:         24
        .size:           8
        .value_kind:     by_value
      - .offset:         32
        .size:           8
        .value_kind:     by_value
      - .offset:         40
        .size:           8
        .value_kind:     by_value
      - .address_space:  global
        .offset:         48
        .size:           8
        .value_kind:     global_buffer
      - .offset:         56
        .size:           8
        .value_kind:     by_value
      - .offset:         64
        .size:           8
        .value_kind:     by_value
      - .offset:         72
        .size:           8
        .value_kind:     by_value
      - .address_space:  global
        .offset:         80
        .size:           8
        .value_kind:     global_buffer
      - .offset:         88
        .size:           4
        .value_kind:     by_value
      - .offset:         96
        .size:           4
        .value_kind:     hidden_block_count_x
      - .offset:         100
        .size:           4
        .value_kind:     hidden_block_count_y
      - .offset:         104
        .size:           4
        .value_kind:     hidden_block_count_z
      - .offset:         108
        .size:           2
        .value_kind:     hidden_group_size_x
      - .offset:         110
        .size:           2
        .value_kind:     hidden_group_size_y
      - .offset:         112
        .size:           2
        .value_kind:     hidden_group_size_z
      - .offset:         114
        .size:           2
        .value_kind:     hidden_remainder_x
      - .offset:         116
        .size:           2
        .value_kind:     hidden_remainder_y
      - .offset:         118
        .size:           2
        .value_kind:     hidden_remainder_z
      - .offset:         136
        .size:           8
        .value_kind:     hidden_global_offset_x
      - .offset:         144
        .size:           8
        .value_kind:     hidden_global_offset_y
      - .offset:         152
        .size:           8
        .value_kind:     hidden_global_offset_z
      - .offset:         160
        .size:           2
        .value_kind:     hidden_grid_dims
    .group_segment_fixed_size: 41480
    .kernarg_segment_align: 8
    .kernarg_segment_size: 352
    .language:       OpenCL C
    .language_version:
      - 2
      - 0
    .max_flat_workgroup_size: 1024
    .name:           _ZL19rocblas_trsv_deviceILi64ELi16ELb0ELb1ELb0ELb0E19rocblas_complex_numIfES1_PKPKS1_PKPS1_EviT7_lllT6_T8_lllPii
    .private_segment_fixed_size: 48
    .sgpr_count:     106
    .sgpr_spill_count: 59
    .symbol:         _ZL19rocblas_trsv_deviceILi64ELi16ELb0ELb1ELb0ELb0E19rocblas_complex_numIfES1_PKPKS1_PKPS1_EviT7_lllT6_T8_lllPii.kd
    .uniform_work_group_size: 1
    .uses_dynamic_stack: false
    .vgpr_count:     31
    .vgpr_spill_count: 0
    .wavefront_size: 64
  - .args:
      - .offset:         0
        .size:           4
        .value_kind:     by_value
      - .address_space:  global
        .offset:         8
        .size:           8
        .value_kind:     global_buffer
      - .offset:         16
        .size:           8
        .value_kind:     by_value
      - .offset:         24
        .size:           8
        .value_kind:     by_value
      - .offset:         32
        .size:           8
        .value_kind:     by_value
      - .offset:         40
        .size:           8
        .value_kind:     by_value
      - .address_space:  global
        .offset:         48
        .size:           8
        .value_kind:     global_buffer
      - .offset:         56
        .size:           8
        .value_kind:     by_value
      - .offset:         64
        .size:           8
        .value_kind:     by_value
      - .offset:         72
        .size:           8
        .value_kind:     by_value
      - .address_space:  global
        .offset:         80
        .size:           8
        .value_kind:     global_buffer
      - .offset:         88
        .size:           4
        .value_kind:     by_value
      - .offset:         96
        .size:           4
        .value_kind:     hidden_block_count_x
      - .offset:         100
        .size:           4
        .value_kind:     hidden_block_count_y
      - .offset:         104
        .size:           4
        .value_kind:     hidden_block_count_z
      - .offset:         108
        .size:           2
        .value_kind:     hidden_group_size_x
      - .offset:         110
        .size:           2
        .value_kind:     hidden_group_size_y
      - .offset:         112
        .size:           2
        .value_kind:     hidden_group_size_z
      - .offset:         114
        .size:           2
        .value_kind:     hidden_remainder_x
      - .offset:         116
        .size:           2
        .value_kind:     hidden_remainder_y
      - .offset:         118
        .size:           2
        .value_kind:     hidden_remainder_z
      - .offset:         136
        .size:           8
        .value_kind:     hidden_global_offset_x
      - .offset:         144
        .size:           8
        .value_kind:     hidden_global_offset_y
      - .offset:         152
        .size:           8
        .value_kind:     hidden_global_offset_z
      - .offset:         160
        .size:           2
        .value_kind:     hidden_grid_dims
    .group_segment_fixed_size: 41480
    .kernarg_segment_align: 8
    .kernarg_segment_size: 352
    .language:       OpenCL C
    .language_version:
      - 2
      - 0
    .max_flat_workgroup_size: 1024
    .name:           _ZL19rocblas_trsv_deviceILi64ELi16ELb0ELb1ELb1ELb0E19rocblas_complex_numIfES1_PKPKS1_PKPS1_EviT7_lllT6_T8_lllPii
    .private_segment_fixed_size: 0
    .sgpr_count:     100
    .sgpr_spill_count: 59
    .symbol:         _ZL19rocblas_trsv_deviceILi64ELi16ELb0ELb1ELb1ELb0E19rocblas_complex_numIfES1_PKPKS1_PKPS1_EviT7_lllT6_T8_lllPii.kd
    .uniform_work_group_size: 1
    .uses_dynamic_stack: false
    .vgpr_count:     39
    .vgpr_spill_count: 0
    .wavefront_size: 64
  - .args:
      - .offset:         0
        .size:           4
        .value_kind:     by_value
      - .address_space:  global
        .offset:         8
        .size:           8
        .value_kind:     global_buffer
      - .offset:         16
        .size:           8
        .value_kind:     by_value
      - .offset:         24
        .size:           8
        .value_kind:     by_value
      - .offset:         32
        .size:           8
        .value_kind:     by_value
      - .offset:         40
        .size:           8
        .value_kind:     by_value
      - .address_space:  global
        .offset:         48
        .size:           8
        .value_kind:     global_buffer
      - .offset:         56
        .size:           8
        .value_kind:     by_value
      - .offset:         64
        .size:           8
        .value_kind:     by_value
      - .offset:         72
        .size:           8
        .value_kind:     by_value
      - .address_space:  global
        .offset:         80
        .size:           8
        .value_kind:     global_buffer
      - .offset:         88
        .size:           4
        .value_kind:     by_value
      - .offset:         96
        .size:           4
        .value_kind:     hidden_block_count_x
      - .offset:         100
        .size:           4
        .value_kind:     hidden_block_count_y
      - .offset:         104
        .size:           4
        .value_kind:     hidden_block_count_z
      - .offset:         108
        .size:           2
        .value_kind:     hidden_group_size_x
      - .offset:         110
        .size:           2
        .value_kind:     hidden_group_size_y
      - .offset:         112
        .size:           2
        .value_kind:     hidden_group_size_z
      - .offset:         114
        .size:           2
        .value_kind:     hidden_remainder_x
      - .offset:         116
        .size:           2
        .value_kind:     hidden_remainder_y
      - .offset:         118
        .size:           2
        .value_kind:     hidden_remainder_z
      - .offset:         136
        .size:           8
        .value_kind:     hidden_global_offset_x
      - .offset:         144
        .size:           8
        .value_kind:     hidden_global_offset_y
      - .offset:         152
        .size:           8
        .value_kind:     hidden_global_offset_z
      - .offset:         160
        .size:           2
        .value_kind:     hidden_grid_dims
    .group_segment_fixed_size: 41480
    .kernarg_segment_align: 8
    .kernarg_segment_size: 352
    .language:       OpenCL C
    .language_version:
      - 2
      - 0
    .max_flat_workgroup_size: 1024
    .name:           _ZL19rocblas_trsv_deviceILi64ELi16ELb1ELb0ELb0ELb1E19rocblas_complex_numIfES1_PKPKS1_PKPS1_EviT7_lllT6_T8_lllPii
    .private_segment_fixed_size: 48
    .sgpr_count:     106
    .sgpr_spill_count: 46
    .symbol:         _ZL19rocblas_trsv_deviceILi64ELi16ELb1ELb0ELb0ELb1E19rocblas_complex_numIfES1_PKPKS1_PKPS1_EviT7_lllT6_T8_lllPii.kd
    .uniform_work_group_size: 1
    .uses_dynamic_stack: false
    .vgpr_count:     36
    .vgpr_spill_count: 0
    .wavefront_size: 64
  - .args:
      - .offset:         0
        .size:           4
        .value_kind:     by_value
      - .address_space:  global
        .offset:         8
        .size:           8
        .value_kind:     global_buffer
      - .offset:         16
        .size:           8
        .value_kind:     by_value
      - .offset:         24
        .size:           8
        .value_kind:     by_value
      - .offset:         32
        .size:           8
        .value_kind:     by_value
      - .offset:         40
        .size:           8
        .value_kind:     by_value
      - .address_space:  global
        .offset:         48
        .size:           8
        .value_kind:     global_buffer
      - .offset:         56
        .size:           8
        .value_kind:     by_value
      - .offset:         64
        .size:           8
        .value_kind:     by_value
      - .offset:         72
        .size:           8
        .value_kind:     by_value
      - .address_space:  global
        .offset:         80
        .size:           8
        .value_kind:     global_buffer
      - .offset:         88
        .size:           4
        .value_kind:     by_value
      - .offset:         96
        .size:           4
        .value_kind:     hidden_block_count_x
      - .offset:         100
        .size:           4
        .value_kind:     hidden_block_count_y
      - .offset:         104
        .size:           4
        .value_kind:     hidden_block_count_z
      - .offset:         108
        .size:           2
        .value_kind:     hidden_group_size_x
      - .offset:         110
        .size:           2
        .value_kind:     hidden_group_size_y
      - .offset:         112
        .size:           2
        .value_kind:     hidden_group_size_z
      - .offset:         114
        .size:           2
        .value_kind:     hidden_remainder_x
      - .offset:         116
        .size:           2
        .value_kind:     hidden_remainder_y
      - .offset:         118
        .size:           2
        .value_kind:     hidden_remainder_z
      - .offset:         136
        .size:           8
        .value_kind:     hidden_global_offset_x
      - .offset:         144
        .size:           8
        .value_kind:     hidden_global_offset_y
      - .offset:         152
        .size:           8
        .value_kind:     hidden_global_offset_z
      - .offset:         160
        .size:           2
        .value_kind:     hidden_grid_dims
    .group_segment_fixed_size: 41480
    .kernarg_segment_align: 8
    .kernarg_segment_size: 352
    .language:       OpenCL C
    .language_version:
      - 2
      - 0
    .max_flat_workgroup_size: 1024
    .name:           _ZL19rocblas_trsv_deviceILi64ELi16ELb1ELb1ELb0ELb1E19rocblas_complex_numIfES1_PKPKS1_PKPS1_EviT7_lllT6_T8_lllPii
    .private_segment_fixed_size: 48
    .sgpr_count:     106
    .sgpr_spill_count: 60
    .symbol:         _ZL19rocblas_trsv_deviceILi64ELi16ELb1ELb1ELb0ELb1E19rocblas_complex_numIfES1_PKPKS1_PKPS1_EviT7_lllT6_T8_lllPii.kd
    .uniform_work_group_size: 1
    .uses_dynamic_stack: false
    .vgpr_count:     35
    .vgpr_spill_count: 0
    .wavefront_size: 64
  - .args:
      - .offset:         0
        .size:           4
        .value_kind:     by_value
      - .address_space:  global
        .offset:         8
        .size:           8
        .value_kind:     global_buffer
      - .offset:         16
        .size:           8
        .value_kind:     by_value
      - .offset:         24
        .size:           8
        .value_kind:     by_value
      - .offset:         32
        .size:           8
        .value_kind:     by_value
      - .offset:         40
        .size:           8
        .value_kind:     by_value
      - .address_space:  global
        .offset:         48
        .size:           8
        .value_kind:     global_buffer
      - .offset:         56
        .size:           8
        .value_kind:     by_value
      - .offset:         64
        .size:           8
        .value_kind:     by_value
      - .offset:         72
        .size:           8
        .value_kind:     by_value
      - .address_space:  global
        .offset:         80
        .size:           8
        .value_kind:     global_buffer
      - .offset:         88
        .size:           4
        .value_kind:     by_value
      - .offset:         96
        .size:           4
        .value_kind:     hidden_block_count_x
      - .offset:         100
        .size:           4
        .value_kind:     hidden_block_count_y
      - .offset:         104
        .size:           4
        .value_kind:     hidden_block_count_z
      - .offset:         108
        .size:           2
        .value_kind:     hidden_group_size_x
      - .offset:         110
        .size:           2
        .value_kind:     hidden_group_size_y
      - .offset:         112
        .size:           2
        .value_kind:     hidden_group_size_z
      - .offset:         114
        .size:           2
        .value_kind:     hidden_remainder_x
      - .offset:         116
        .size:           2
        .value_kind:     hidden_remainder_y
      - .offset:         118
        .size:           2
        .value_kind:     hidden_remainder_z
      - .offset:         136
        .size:           8
        .value_kind:     hidden_global_offset_x
      - .offset:         144
        .size:           8
        .value_kind:     hidden_global_offset_y
      - .offset:         152
        .size:           8
        .value_kind:     hidden_global_offset_z
      - .offset:         160
        .size:           2
        .value_kind:     hidden_grid_dims
    .group_segment_fixed_size: 41480
    .kernarg_segment_align: 8
    .kernarg_segment_size: 352
    .language:       OpenCL C
    .language_version:
      - 2
      - 0
    .max_flat_workgroup_size: 1024
    .name:           _ZL19rocblas_trsv_deviceILi64ELi16ELb1ELb1ELb1ELb1E19rocblas_complex_numIfES1_PKPKS1_PKPS1_EviT7_lllT6_T8_lllPii
    .private_segment_fixed_size: 0
    .sgpr_count:     100
    .sgpr_spill_count: 60
    .symbol:         _ZL19rocblas_trsv_deviceILi64ELi16ELb1ELb1ELb1ELb1E19rocblas_complex_numIfES1_PKPKS1_PKPS1_EviT7_lllT6_T8_lllPii.kd
    .uniform_work_group_size: 1
    .uses_dynamic_stack: false
    .vgpr_count:     43
    .vgpr_spill_count: 0
    .wavefront_size: 64
  - .args:
      - .offset:         0
        .size:           4
        .value_kind:     by_value
      - .address_space:  global
        .offset:         8
        .size:           8
        .value_kind:     global_buffer
      - .offset:         16
        .size:           8
        .value_kind:     by_value
      - .offset:         24
        .size:           8
        .value_kind:     by_value
      - .offset:         32
        .size:           8
        .value_kind:     by_value
      - .offset:         40
        .size:           8
        .value_kind:     by_value
      - .address_space:  global
        .offset:         48
        .size:           8
        .value_kind:     global_buffer
      - .offset:         56
        .size:           8
        .value_kind:     by_value
      - .offset:         64
        .size:           8
        .value_kind:     by_value
      - .offset:         72
        .size:           8
        .value_kind:     by_value
      - .address_space:  global
        .offset:         80
        .size:           8
        .value_kind:     global_buffer
      - .offset:         88
        .size:           4
        .value_kind:     by_value
      - .offset:         96
        .size:           4
        .value_kind:     hidden_block_count_x
      - .offset:         100
        .size:           4
        .value_kind:     hidden_block_count_y
      - .offset:         104
        .size:           4
        .value_kind:     hidden_block_count_z
      - .offset:         108
        .size:           2
        .value_kind:     hidden_group_size_x
      - .offset:         110
        .size:           2
        .value_kind:     hidden_group_size_y
      - .offset:         112
        .size:           2
        .value_kind:     hidden_group_size_z
      - .offset:         114
        .size:           2
        .value_kind:     hidden_remainder_x
      - .offset:         116
        .size:           2
        .value_kind:     hidden_remainder_y
      - .offset:         118
        .size:           2
        .value_kind:     hidden_remainder_z
      - .offset:         136
        .size:           8
        .value_kind:     hidden_global_offset_x
      - .offset:         144
        .size:           8
        .value_kind:     hidden_global_offset_y
      - .offset:         152
        .size:           8
        .value_kind:     hidden_global_offset_z
      - .offset:         160
        .size:           2
        .value_kind:     hidden_grid_dims
    .group_segment_fixed_size: 41480
    .kernarg_segment_align: 8
    .kernarg_segment_size: 352
    .language:       OpenCL C
    .language_version:
      - 2
      - 0
    .max_flat_workgroup_size: 1024
    .name:           _ZL19rocblas_trsv_deviceILi64ELi16ELb1ELb0ELb0ELb0E19rocblas_complex_numIfES1_PKPKS1_PKPS1_EviT7_lllT6_T8_lllPii
    .private_segment_fixed_size: 48
    .sgpr_count:     106
    .sgpr_spill_count: 49
    .symbol:         _ZL19rocblas_trsv_deviceILi64ELi16ELb1ELb0ELb0ELb0E19rocblas_complex_numIfES1_PKPKS1_PKPS1_EviT7_lllT6_T8_lllPii.kd
    .uniform_work_group_size: 1
    .uses_dynamic_stack: false
    .vgpr_count:     35
    .vgpr_spill_count: 0
    .wavefront_size: 64
  - .args:
      - .offset:         0
        .size:           4
        .value_kind:     by_value
      - .address_space:  global
        .offset:         8
        .size:           8
        .value_kind:     global_buffer
      - .offset:         16
        .size:           8
        .value_kind:     by_value
      - .offset:         24
        .size:           8
        .value_kind:     by_value
      - .offset:         32
        .size:           8
        .value_kind:     by_value
      - .offset:         40
        .size:           8
        .value_kind:     by_value
      - .address_space:  global
        .offset:         48
        .size:           8
        .value_kind:     global_buffer
      - .offset:         56
        .size:           8
        .value_kind:     by_value
      - .offset:         64
        .size:           8
        .value_kind:     by_value
      - .offset:         72
        .size:           8
        .value_kind:     by_value
      - .address_space:  global
        .offset:         80
        .size:           8
        .value_kind:     global_buffer
      - .offset:         88
        .size:           4
        .value_kind:     by_value
      - .offset:         96
        .size:           4
        .value_kind:     hidden_block_count_x
      - .offset:         100
        .size:           4
        .value_kind:     hidden_block_count_y
      - .offset:         104
        .size:           4
        .value_kind:     hidden_block_count_z
      - .offset:         108
        .size:           2
        .value_kind:     hidden_group_size_x
      - .offset:         110
        .size:           2
        .value_kind:     hidden_group_size_y
      - .offset:         112
        .size:           2
        .value_kind:     hidden_group_size_z
      - .offset:         114
        .size:           2
        .value_kind:     hidden_remainder_x
      - .offset:         116
        .size:           2
        .value_kind:     hidden_remainder_y
      - .offset:         118
        .size:           2
        .value_kind:     hidden_remainder_z
      - .offset:         136
        .size:           8
        .value_kind:     hidden_global_offset_x
      - .offset:         144
        .size:           8
        .value_kind:     hidden_global_offset_y
      - .offset:         152
        .size:           8
        .value_kind:     hidden_global_offset_z
      - .offset:         160
        .size:           2
        .value_kind:     hidden_grid_dims
    .group_segment_fixed_size: 41480
    .kernarg_segment_align: 8
    .kernarg_segment_size: 352
    .language:       OpenCL C
    .language_version:
      - 2
      - 0
    .max_flat_workgroup_size: 1024
    .name:           _ZL19rocblas_trsv_deviceILi64ELi16ELb1ELb1ELb0ELb0E19rocblas_complex_numIfES1_PKPKS1_PKPS1_EviT7_lllT6_T8_lllPii
    .private_segment_fixed_size: 48
    .sgpr_count:     106
    .sgpr_spill_count: 61
    .symbol:         _ZL19rocblas_trsv_deviceILi64ELi16ELb1ELb1ELb0ELb0E19rocblas_complex_numIfES1_PKPKS1_PKPS1_EviT7_lllT6_T8_lllPii.kd
    .uniform_work_group_size: 1
    .uses_dynamic_stack: false
    .vgpr_count:     35
    .vgpr_spill_count: 0
    .wavefront_size: 64
  - .args:
      - .offset:         0
        .size:           4
        .value_kind:     by_value
      - .address_space:  global
        .offset:         8
        .size:           8
        .value_kind:     global_buffer
      - .offset:         16
        .size:           8
        .value_kind:     by_value
      - .offset:         24
        .size:           8
        .value_kind:     by_value
      - .offset:         32
        .size:           8
        .value_kind:     by_value
      - .offset:         40
        .size:           8
        .value_kind:     by_value
      - .address_space:  global
        .offset:         48
        .size:           8
        .value_kind:     global_buffer
      - .offset:         56
        .size:           8
        .value_kind:     by_value
      - .offset:         64
        .size:           8
        .value_kind:     by_value
      - .offset:         72
        .size:           8
        .value_kind:     by_value
      - .address_space:  global
        .offset:         80
        .size:           8
        .value_kind:     global_buffer
      - .offset:         88
        .size:           4
        .value_kind:     by_value
      - .offset:         96
        .size:           4
        .value_kind:     hidden_block_count_x
      - .offset:         100
        .size:           4
        .value_kind:     hidden_block_count_y
      - .offset:         104
        .size:           4
        .value_kind:     hidden_block_count_z
      - .offset:         108
        .size:           2
        .value_kind:     hidden_group_size_x
      - .offset:         110
        .size:           2
        .value_kind:     hidden_group_size_y
      - .offset:         112
        .size:           2
        .value_kind:     hidden_group_size_z
      - .offset:         114
        .size:           2
        .value_kind:     hidden_remainder_x
      - .offset:         116
        .size:           2
        .value_kind:     hidden_remainder_y
      - .offset:         118
        .size:           2
        .value_kind:     hidden_remainder_z
      - .offset:         136
        .size:           8
        .value_kind:     hidden_global_offset_x
      - .offset:         144
        .size:           8
        .value_kind:     hidden_global_offset_y
      - .offset:         152
        .size:           8
        .value_kind:     hidden_global_offset_z
      - .offset:         160
        .size:           2
        .value_kind:     hidden_grid_dims
    .group_segment_fixed_size: 41480
    .kernarg_segment_align: 8
    .kernarg_segment_size: 352
    .language:       OpenCL C
    .language_version:
      - 2
      - 0
    .max_flat_workgroup_size: 1024
    .name:           _ZL19rocblas_trsv_deviceILi64ELi16ELb1ELb1ELb1ELb0E19rocblas_complex_numIfES1_PKPKS1_PKPS1_EviT7_lllT6_T8_lllPii
    .private_segment_fixed_size: 0
    .sgpr_count:     100
    .sgpr_spill_count: 61
    .symbol:         _ZL19rocblas_trsv_deviceILi64ELi16ELb1ELb1ELb1ELb0E19rocblas_complex_numIfES1_PKPKS1_PKPS1_EviT7_lllT6_T8_lllPii.kd
    .uniform_work_group_size: 1
    .uses_dynamic_stack: false
    .vgpr_count:     43
    .vgpr_spill_count: 0
    .wavefront_size: 64
  - .args:
      - .offset:         0
        .size:           4
        .value_kind:     by_value
      - .address_space:  global
        .offset:         8
        .size:           8
        .value_kind:     global_buffer
      - .offset:         16
        .size:           8
        .value_kind:     by_value
      - .offset:         24
        .size:           8
        .value_kind:     by_value
      - .offset:         32
        .size:           8
        .value_kind:     by_value
      - .address_space:  global
        .offset:         40
        .size:           8
        .value_kind:     global_buffer
      - .address_space:  global
        .offset:         48
        .size:           8
        .value_kind:     global_buffer
      - .offset:         56
        .size:           8
        .value_kind:     by_value
      - .offset:         64
        .size:           8
        .value_kind:     by_value
      - .offset:         72
        .size:           8
        .value_kind:     by_value
      - .address_space:  global
        .offset:         80
        .size:           8
        .value_kind:     global_buffer
      - .offset:         88
        .size:           4
        .value_kind:     by_value
      - .offset:         96
        .size:           4
        .value_kind:     hidden_block_count_x
      - .offset:         100
        .size:           4
        .value_kind:     hidden_block_count_y
      - .offset:         104
        .size:           4
        .value_kind:     hidden_block_count_z
      - .offset:         108
        .size:           2
        .value_kind:     hidden_group_size_x
      - .offset:         110
        .size:           2
        .value_kind:     hidden_group_size_y
      - .offset:         112
        .size:           2
        .value_kind:     hidden_group_size_z
      - .offset:         114
        .size:           2
        .value_kind:     hidden_remainder_x
      - .offset:         116
        .size:           2
        .value_kind:     hidden_remainder_y
      - .offset:         118
        .size:           2
        .value_kind:     hidden_remainder_z
      - .offset:         136
        .size:           8
        .value_kind:     hidden_global_offset_x
      - .offset:         144
        .size:           8
        .value_kind:     hidden_global_offset_y
      - .offset:         152
        .size:           8
        .value_kind:     hidden_global_offset_z
      - .offset:         160
        .size:           2
        .value_kind:     hidden_grid_dims
    .group_segment_fixed_size: 25104
    .kernarg_segment_align: 8
    .kernarg_segment_size: 352
    .language:       OpenCL C
    .language_version:
      - 2
      - 0
    .max_flat_workgroup_size: 512
    .name:           _ZL19rocblas_trsv_deviceILi32ELi16ELb0ELb0ELb0ELb1E19rocblas_complex_numIdEPKS1_PKS3_PKPS1_EviT7_lllT6_T8_lllPii
    .private_segment_fixed_size: 0
    .sgpr_count:     100
    .sgpr_spill_count: 0
    .symbol:         _ZL19rocblas_trsv_deviceILi32ELi16ELb0ELb0ELb0ELb1E19rocblas_complex_numIdEPKS1_PKS3_PKPS1_EviT7_lllT6_T8_lllPii.kd
    .uniform_work_group_size: 1
    .uses_dynamic_stack: false
    .vgpr_count:     40
    .vgpr_spill_count: 0
    .wavefront_size: 64
  - .args:
      - .offset:         0
        .size:           4
        .value_kind:     by_value
      - .address_space:  global
        .offset:         8
        .size:           8
        .value_kind:     global_buffer
      - .offset:         16
        .size:           8
        .value_kind:     by_value
      - .offset:         24
        .size:           8
        .value_kind:     by_value
      - .offset:         32
        .size:           8
        .value_kind:     by_value
      - .address_space:  global
        .offset:         40
        .size:           8
        .value_kind:     global_buffer
      - .address_space:  global
        .offset:         48
        .size:           8
        .value_kind:     global_buffer
      - .offset:         56
        .size:           8
        .value_kind:     by_value
      - .offset:         64
        .size:           8
        .value_kind:     by_value
      - .offset:         72
        .size:           8
        .value_kind:     by_value
      - .address_space:  global
        .offset:         80
        .size:           8
        .value_kind:     global_buffer
      - .offset:         88
        .size:           4
        .value_kind:     by_value
      - .offset:         96
        .size:           4
        .value_kind:     hidden_block_count_x
      - .offset:         100
        .size:           4
        .value_kind:     hidden_block_count_y
      - .offset:         104
        .size:           4
        .value_kind:     hidden_block_count_z
      - .offset:         108
        .size:           2
        .value_kind:     hidden_group_size_x
      - .offset:         110
        .size:           2
        .value_kind:     hidden_group_size_y
      - .offset:         112
        .size:           2
        .value_kind:     hidden_group_size_z
      - .offset:         114
        .size:           2
        .value_kind:     hidden_remainder_x
      - .offset:         116
        .size:           2
        .value_kind:     hidden_remainder_y
      - .offset:         118
        .size:           2
        .value_kind:     hidden_remainder_z
      - .offset:         136
        .size:           8
        .value_kind:     hidden_global_offset_x
      - .offset:         144
        .size:           8
        .value_kind:     hidden_global_offset_y
      - .offset:         152
        .size:           8
        .value_kind:     hidden_global_offset_z
      - .offset:         160
        .size:           2
        .value_kind:     hidden_grid_dims
    .group_segment_fixed_size: 25104
    .kernarg_segment_align: 8
    .kernarg_segment_size: 352
    .language:       OpenCL C
    .language_version:
      - 2
      - 0
    .max_flat_workgroup_size: 512
    .name:           _ZL19rocblas_trsv_deviceILi32ELi16ELb0ELb1ELb0ELb1E19rocblas_complex_numIdEPKS1_PKS3_PKPS1_EviT7_lllT6_T8_lllPii
    .private_segment_fixed_size: 0
    .sgpr_count:     99
    .sgpr_spill_count: 0
    .symbol:         _ZL19rocblas_trsv_deviceILi32ELi16ELb0ELb1ELb0ELb1E19rocblas_complex_numIdEPKS1_PKS3_PKPS1_EviT7_lllT6_T8_lllPii.kd
    .uniform_work_group_size: 1
    .uses_dynamic_stack: false
    .vgpr_count:     41
    .vgpr_spill_count: 0
    .wavefront_size: 64
  - .args:
      - .offset:         0
        .size:           4
        .value_kind:     by_value
      - .address_space:  global
        .offset:         8
        .size:           8
        .value_kind:     global_buffer
      - .offset:         16
        .size:           8
        .value_kind:     by_value
      - .offset:         24
        .size:           8
        .value_kind:     by_value
      - .offset:         32
        .size:           8
        .value_kind:     by_value
      - .address_space:  global
        .offset:         40
        .size:           8
        .value_kind:     global_buffer
      - .address_space:  global
        .offset:         48
        .size:           8
        .value_kind:     global_buffer
      - .offset:         56
        .size:           8
        .value_kind:     by_value
      - .offset:         64
        .size:           8
        .value_kind:     by_value
      - .offset:         72
        .size:           8
        .value_kind:     by_value
      - .address_space:  global
        .offset:         80
        .size:           8
        .value_kind:     global_buffer
      - .offset:         88
        .size:           4
        .value_kind:     by_value
      - .offset:         96
        .size:           4
        .value_kind:     hidden_block_count_x
      - .offset:         100
        .size:           4
        .value_kind:     hidden_block_count_y
      - .offset:         104
        .size:           4
        .value_kind:     hidden_block_count_z
      - .offset:         108
        .size:           2
        .value_kind:     hidden_group_size_x
      - .offset:         110
        .size:           2
        .value_kind:     hidden_group_size_y
      - .offset:         112
        .size:           2
        .value_kind:     hidden_group_size_z
      - .offset:         114
        .size:           2
        .value_kind:     hidden_remainder_x
      - .offset:         116
        .size:           2
        .value_kind:     hidden_remainder_y
      - .offset:         118
        .size:           2
        .value_kind:     hidden_remainder_z
      - .offset:         136
        .size:           8
        .value_kind:     hidden_global_offset_x
      - .offset:         144
        .size:           8
        .value_kind:     hidden_global_offset_y
      - .offset:         152
        .size:           8
        .value_kind:     hidden_global_offset_z
      - .offset:         160
        .size:           2
        .value_kind:     hidden_grid_dims
    .group_segment_fixed_size: 25104
    .kernarg_segment_align: 8
    .kernarg_segment_size: 352
    .language:       OpenCL C
    .language_version:
      - 2
      - 0
    .max_flat_workgroup_size: 512
    .name:           _ZL19rocblas_trsv_deviceILi32ELi16ELb0ELb1ELb1ELb1E19rocblas_complex_numIdEPKS1_PKS3_PKPS1_EviT7_lllT6_T8_lllPii
    .private_segment_fixed_size: 0
    .sgpr_count:     99
    .sgpr_spill_count: 0
    .symbol:         _ZL19rocblas_trsv_deviceILi32ELi16ELb0ELb1ELb1ELb1E19rocblas_complex_numIdEPKS1_PKS3_PKPS1_EviT7_lllT6_T8_lllPii.kd
    .uniform_work_group_size: 1
    .uses_dynamic_stack: false
    .vgpr_count:     41
    .vgpr_spill_count: 0
    .wavefront_size: 64
  - .args:
      - .offset:         0
        .size:           4
        .value_kind:     by_value
      - .address_space:  global
        .offset:         8
        .size:           8
        .value_kind:     global_buffer
      - .offset:         16
        .size:           8
        .value_kind:     by_value
      - .offset:         24
        .size:           8
        .value_kind:     by_value
      - .offset:         32
        .size:           8
        .value_kind:     by_value
      - .address_space:  global
        .offset:         40
        .size:           8
        .value_kind:     global_buffer
      - .address_space:  global
        .offset:         48
        .size:           8
        .value_kind:     global_buffer
      - .offset:         56
        .size:           8
        .value_kind:     by_value
      - .offset:         64
        .size:           8
        .value_kind:     by_value
      - .offset:         72
        .size:           8
        .value_kind:     by_value
      - .address_space:  global
        .offset:         80
        .size:           8
        .value_kind:     global_buffer
      - .offset:         88
        .size:           4
        .value_kind:     by_value
      - .offset:         96
        .size:           4
        .value_kind:     hidden_block_count_x
      - .offset:         100
        .size:           4
        .value_kind:     hidden_block_count_y
      - .offset:         104
        .size:           4
        .value_kind:     hidden_block_count_z
      - .offset:         108
        .size:           2
        .value_kind:     hidden_group_size_x
      - .offset:         110
        .size:           2
        .value_kind:     hidden_group_size_y
      - .offset:         112
        .size:           2
        .value_kind:     hidden_group_size_z
      - .offset:         114
        .size:           2
        .value_kind:     hidden_remainder_x
      - .offset:         116
        .size:           2
        .value_kind:     hidden_remainder_y
      - .offset:         118
        .size:           2
        .value_kind:     hidden_remainder_z
      - .offset:         136
        .size:           8
        .value_kind:     hidden_global_offset_x
      - .offset:         144
        .size:           8
        .value_kind:     hidden_global_offset_y
      - .offset:         152
        .size:           8
        .value_kind:     hidden_global_offset_z
      - .offset:         160
        .size:           2
        .value_kind:     hidden_grid_dims
    .group_segment_fixed_size: 25104
    .kernarg_segment_align: 8
    .kernarg_segment_size: 352
    .language:       OpenCL C
    .language_version:
      - 2
      - 0
    .max_flat_workgroup_size: 512
    .name:           _ZL19rocblas_trsv_deviceILi32ELi16ELb0ELb0ELb0ELb0E19rocblas_complex_numIdEPKS1_PKS3_PKPS1_EviT7_lllT6_T8_lllPii
    .private_segment_fixed_size: 0
    .sgpr_count:     96
    .sgpr_spill_count: 0
    .symbol:         _ZL19rocblas_trsv_deviceILi32ELi16ELb0ELb0ELb0ELb0E19rocblas_complex_numIdEPKS1_PKS3_PKPS1_EviT7_lllT6_T8_lllPii.kd
    .uniform_work_group_size: 1
    .uses_dynamic_stack: false
    .vgpr_count:     40
    .vgpr_spill_count: 0
    .wavefront_size: 64
  - .args:
      - .offset:         0
        .size:           4
        .value_kind:     by_value
      - .address_space:  global
        .offset:         8
        .size:           8
        .value_kind:     global_buffer
      - .offset:         16
        .size:           8
        .value_kind:     by_value
      - .offset:         24
        .size:           8
        .value_kind:     by_value
      - .offset:         32
        .size:           8
        .value_kind:     by_value
      - .address_space:  global
        .offset:         40
        .size:           8
        .value_kind:     global_buffer
      - .address_space:  global
        .offset:         48
        .size:           8
        .value_kind:     global_buffer
      - .offset:         56
        .size:           8
        .value_kind:     by_value
      - .offset:         64
        .size:           8
        .value_kind:     by_value
      - .offset:         72
        .size:           8
        .value_kind:     by_value
      - .address_space:  global
        .offset:         80
        .size:           8
        .value_kind:     global_buffer
      - .offset:         88
        .size:           4
        .value_kind:     by_value
      - .offset:         96
        .size:           4
        .value_kind:     hidden_block_count_x
      - .offset:         100
        .size:           4
        .value_kind:     hidden_block_count_y
      - .offset:         104
        .size:           4
        .value_kind:     hidden_block_count_z
      - .offset:         108
        .size:           2
        .value_kind:     hidden_group_size_x
      - .offset:         110
        .size:           2
        .value_kind:     hidden_group_size_y
      - .offset:         112
        .size:           2
        .value_kind:     hidden_group_size_z
      - .offset:         114
        .size:           2
        .value_kind:     hidden_remainder_x
      - .offset:         116
        .size:           2
        .value_kind:     hidden_remainder_y
      - .offset:         118
        .size:           2
        .value_kind:     hidden_remainder_z
      - .offset:         136
        .size:           8
        .value_kind:     hidden_global_offset_x
      - .offset:         144
        .size:           8
        .value_kind:     hidden_global_offset_y
      - .offset:         152
        .size:           8
        .value_kind:     hidden_global_offset_z
      - .offset:         160
        .size:           2
        .value_kind:     hidden_grid_dims
    .group_segment_fixed_size: 25104
    .kernarg_segment_align: 8
    .kernarg_segment_size: 352
    .language:       OpenCL C
    .language_version:
      - 2
      - 0
    .max_flat_workgroup_size: 512
    .name:           _ZL19rocblas_trsv_deviceILi32ELi16ELb0ELb1ELb0ELb0E19rocblas_complex_numIdEPKS1_PKS3_PKPS1_EviT7_lllT6_T8_lllPii
    .private_segment_fixed_size: 0
    .sgpr_count:     100
    .sgpr_spill_count: 0
    .symbol:         _ZL19rocblas_trsv_deviceILi32ELi16ELb0ELb1ELb0ELb0E19rocblas_complex_numIdEPKS1_PKS3_PKPS1_EviT7_lllT6_T8_lllPii.kd
    .uniform_work_group_size: 1
    .uses_dynamic_stack: false
    .vgpr_count:     40
    .vgpr_spill_count: 0
    .wavefront_size: 64
  - .args:
      - .offset:         0
        .size:           4
        .value_kind:     by_value
      - .address_space:  global
        .offset:         8
        .size:           8
        .value_kind:     global_buffer
      - .offset:         16
        .size:           8
        .value_kind:     by_value
      - .offset:         24
        .size:           8
        .value_kind:     by_value
      - .offset:         32
        .size:           8
        .value_kind:     by_value
      - .address_space:  global
        .offset:         40
        .size:           8
        .value_kind:     global_buffer
      - .address_space:  global
        .offset:         48
        .size:           8
        .value_kind:     global_buffer
      - .offset:         56
        .size:           8
        .value_kind:     by_value
      - .offset:         64
        .size:           8
        .value_kind:     by_value
      - .offset:         72
        .size:           8
        .value_kind:     by_value
      - .address_space:  global
        .offset:         80
        .size:           8
        .value_kind:     global_buffer
      - .offset:         88
        .size:           4
        .value_kind:     by_value
      - .offset:         96
        .size:           4
        .value_kind:     hidden_block_count_x
      - .offset:         100
        .size:           4
        .value_kind:     hidden_block_count_y
      - .offset:         104
        .size:           4
        .value_kind:     hidden_block_count_z
      - .offset:         108
        .size:           2
        .value_kind:     hidden_group_size_x
      - .offset:         110
        .size:           2
        .value_kind:     hidden_group_size_y
      - .offset:         112
        .size:           2
        .value_kind:     hidden_group_size_z
      - .offset:         114
        .size:           2
        .value_kind:     hidden_remainder_x
      - .offset:         116
        .size:           2
        .value_kind:     hidden_remainder_y
      - .offset:         118
        .size:           2
        .value_kind:     hidden_remainder_z
      - .offset:         136
        .size:           8
        .value_kind:     hidden_global_offset_x
      - .offset:         144
        .size:           8
        .value_kind:     hidden_global_offset_y
      - .offset:         152
        .size:           8
        .value_kind:     hidden_global_offset_z
      - .offset:         160
        .size:           2
        .value_kind:     hidden_grid_dims
    .group_segment_fixed_size: 25104
    .kernarg_segment_align: 8
    .kernarg_segment_size: 352
    .language:       OpenCL C
    .language_version:
      - 2
      - 0
    .max_flat_workgroup_size: 512
    .name:           _ZL19rocblas_trsv_deviceILi32ELi16ELb0ELb1ELb1ELb0E19rocblas_complex_numIdEPKS1_PKS3_PKPS1_EviT7_lllT6_T8_lllPii
    .private_segment_fixed_size: 0
    .sgpr_count:     100
    .sgpr_spill_count: 0
    .symbol:         _ZL19rocblas_trsv_deviceILi32ELi16ELb0ELb1ELb1ELb0E19rocblas_complex_numIdEPKS1_PKS3_PKPS1_EviT7_lllT6_T8_lllPii.kd
    .uniform_work_group_size: 1
    .uses_dynamic_stack: false
    .vgpr_count:     40
    .vgpr_spill_count: 0
    .wavefront_size: 64
  - .args:
      - .offset:         0
        .size:           4
        .value_kind:     by_value
      - .address_space:  global
        .offset:         8
        .size:           8
        .value_kind:     global_buffer
      - .offset:         16
        .size:           8
        .value_kind:     by_value
      - .offset:         24
        .size:           8
        .value_kind:     by_value
      - .offset:         32
        .size:           8
        .value_kind:     by_value
      - .address_space:  global
        .offset:         40
        .size:           8
        .value_kind:     global_buffer
      - .address_space:  global
        .offset:         48
        .size:           8
        .value_kind:     global_buffer
      - .offset:         56
        .size:           8
        .value_kind:     by_value
      - .offset:         64
        .size:           8
        .value_kind:     by_value
      - .offset:         72
        .size:           8
        .value_kind:     by_value
      - .address_space:  global
        .offset:         80
        .size:           8
        .value_kind:     global_buffer
      - .offset:         88
        .size:           4
        .value_kind:     by_value
      - .offset:         96
        .size:           4
        .value_kind:     hidden_block_count_x
      - .offset:         100
        .size:           4
        .value_kind:     hidden_block_count_y
      - .offset:         104
        .size:           4
        .value_kind:     hidden_block_count_z
      - .offset:         108
        .size:           2
        .value_kind:     hidden_group_size_x
      - .offset:         110
        .size:           2
        .value_kind:     hidden_group_size_y
      - .offset:         112
        .size:           2
        .value_kind:     hidden_group_size_z
      - .offset:         114
        .size:           2
        .value_kind:     hidden_remainder_x
      - .offset:         116
        .size:           2
        .value_kind:     hidden_remainder_y
      - .offset:         118
        .size:           2
        .value_kind:     hidden_remainder_z
      - .offset:         136
        .size:           8
        .value_kind:     hidden_global_offset_x
      - .offset:         144
        .size:           8
        .value_kind:     hidden_global_offset_y
      - .offset:         152
        .size:           8
        .value_kind:     hidden_global_offset_z
      - .offset:         160
        .size:           2
        .value_kind:     hidden_grid_dims
    .group_segment_fixed_size: 25104
    .kernarg_segment_align: 8
    .kernarg_segment_size: 352
    .language:       OpenCL C
    .language_version:
      - 2
      - 0
    .max_flat_workgroup_size: 512
    .name:           _ZL19rocblas_trsv_deviceILi32ELi16ELb1ELb0ELb0ELb1E19rocblas_complex_numIdEPKS1_PKS3_PKPS1_EviT7_lllT6_T8_lllPii
    .private_segment_fixed_size: 0
    .sgpr_count:     91
    .sgpr_spill_count: 0
    .symbol:         _ZL19rocblas_trsv_deviceILi32ELi16ELb1ELb0ELb0ELb1E19rocblas_complex_numIdEPKS1_PKS3_PKPS1_EviT7_lllT6_T8_lllPii.kd
    .uniform_work_group_size: 1
    .uses_dynamic_stack: false
    .vgpr_count:     44
    .vgpr_spill_count: 0
    .wavefront_size: 64
  - .args:
      - .offset:         0
        .size:           4
        .value_kind:     by_value
      - .address_space:  global
        .offset:         8
        .size:           8
        .value_kind:     global_buffer
      - .offset:         16
        .size:           8
        .value_kind:     by_value
      - .offset:         24
        .size:           8
        .value_kind:     by_value
      - .offset:         32
        .size:           8
        .value_kind:     by_value
      - .address_space:  global
        .offset:         40
        .size:           8
        .value_kind:     global_buffer
      - .address_space:  global
        .offset:         48
        .size:           8
        .value_kind:     global_buffer
      - .offset:         56
        .size:           8
        .value_kind:     by_value
      - .offset:         64
        .size:           8
        .value_kind:     by_value
      - .offset:         72
        .size:           8
        .value_kind:     by_value
      - .address_space:  global
        .offset:         80
        .size:           8
        .value_kind:     global_buffer
      - .offset:         88
        .size:           4
        .value_kind:     by_value
      - .offset:         96
        .size:           4
        .value_kind:     hidden_block_count_x
      - .offset:         100
        .size:           4
        .value_kind:     hidden_block_count_y
      - .offset:         104
        .size:           4
        .value_kind:     hidden_block_count_z
      - .offset:         108
        .size:           2
        .value_kind:     hidden_group_size_x
      - .offset:         110
        .size:           2
        .value_kind:     hidden_group_size_y
      - .offset:         112
        .size:           2
        .value_kind:     hidden_group_size_z
      - .offset:         114
        .size:           2
        .value_kind:     hidden_remainder_x
      - .offset:         116
        .size:           2
        .value_kind:     hidden_remainder_y
      - .offset:         118
        .size:           2
        .value_kind:     hidden_remainder_z
      - .offset:         136
        .size:           8
        .value_kind:     hidden_global_offset_x
      - .offset:         144
        .size:           8
        .value_kind:     hidden_global_offset_y
      - .offset:         152
        .size:           8
        .value_kind:     hidden_global_offset_z
      - .offset:         160
        .size:           2
        .value_kind:     hidden_grid_dims
    .group_segment_fixed_size: 25104
    .kernarg_segment_align: 8
    .kernarg_segment_size: 352
    .language:       OpenCL C
    .language_version:
      - 2
      - 0
    .max_flat_workgroup_size: 512
    .name:           _ZL19rocblas_trsv_deviceILi32ELi16ELb1ELb1ELb0ELb1E19rocblas_complex_numIdEPKS1_PKS3_PKPS1_EviT7_lllT6_T8_lllPii
    .private_segment_fixed_size: 0
    .sgpr_count:     100
    .sgpr_spill_count: 6
    .symbol:         _ZL19rocblas_trsv_deviceILi32ELi16ELb1ELb1ELb0ELb1E19rocblas_complex_numIdEPKS1_PKS3_PKPS1_EviT7_lllT6_T8_lllPii.kd
    .uniform_work_group_size: 1
    .uses_dynamic_stack: false
    .vgpr_count:     44
    .vgpr_spill_count: 0
    .wavefront_size: 64
  - .args:
      - .offset:         0
        .size:           4
        .value_kind:     by_value
      - .address_space:  global
        .offset:         8
        .size:           8
        .value_kind:     global_buffer
      - .offset:         16
        .size:           8
        .value_kind:     by_value
      - .offset:         24
        .size:           8
        .value_kind:     by_value
      - .offset:         32
        .size:           8
        .value_kind:     by_value
      - .address_space:  global
        .offset:         40
        .size:           8
        .value_kind:     global_buffer
      - .address_space:  global
        .offset:         48
        .size:           8
        .value_kind:     global_buffer
      - .offset:         56
        .size:           8
        .value_kind:     by_value
      - .offset:         64
        .size:           8
        .value_kind:     by_value
      - .offset:         72
        .size:           8
        .value_kind:     by_value
      - .address_space:  global
        .offset:         80
        .size:           8
        .value_kind:     global_buffer
      - .offset:         88
        .size:           4
        .value_kind:     by_value
      - .offset:         96
        .size:           4
        .value_kind:     hidden_block_count_x
      - .offset:         100
        .size:           4
        .value_kind:     hidden_block_count_y
      - .offset:         104
        .size:           4
        .value_kind:     hidden_block_count_z
      - .offset:         108
        .size:           2
        .value_kind:     hidden_group_size_x
      - .offset:         110
        .size:           2
        .value_kind:     hidden_group_size_y
      - .offset:         112
        .size:           2
        .value_kind:     hidden_group_size_z
      - .offset:         114
        .size:           2
        .value_kind:     hidden_remainder_x
      - .offset:         116
        .size:           2
        .value_kind:     hidden_remainder_y
      - .offset:         118
        .size:           2
        .value_kind:     hidden_remainder_z
      - .offset:         136
        .size:           8
        .value_kind:     hidden_global_offset_x
      - .offset:         144
        .size:           8
        .value_kind:     hidden_global_offset_y
      - .offset:         152
        .size:           8
        .value_kind:     hidden_global_offset_z
      - .offset:         160
        .size:           2
        .value_kind:     hidden_grid_dims
    .group_segment_fixed_size: 25104
    .kernarg_segment_align: 8
    .kernarg_segment_size: 352
    .language:       OpenCL C
    .language_version:
      - 2
      - 0
    .max_flat_workgroup_size: 512
    .name:           _ZL19rocblas_trsv_deviceILi32ELi16ELb1ELb1ELb1ELb1E19rocblas_complex_numIdEPKS1_PKS3_PKPS1_EviT7_lllT6_T8_lllPii
    .private_segment_fixed_size: 0
    .sgpr_count:     100
    .sgpr_spill_count: 6
    .symbol:         _ZL19rocblas_trsv_deviceILi32ELi16ELb1ELb1ELb1ELb1E19rocblas_complex_numIdEPKS1_PKS3_PKPS1_EviT7_lllT6_T8_lllPii.kd
    .uniform_work_group_size: 1
    .uses_dynamic_stack: false
    .vgpr_count:     44
    .vgpr_spill_count: 0
    .wavefront_size: 64
  - .args:
      - .offset:         0
        .size:           4
        .value_kind:     by_value
      - .address_space:  global
        .offset:         8
        .size:           8
        .value_kind:     global_buffer
      - .offset:         16
        .size:           8
        .value_kind:     by_value
      - .offset:         24
        .size:           8
        .value_kind:     by_value
      - .offset:         32
        .size:           8
        .value_kind:     by_value
      - .address_space:  global
        .offset:         40
        .size:           8
        .value_kind:     global_buffer
      - .address_space:  global
        .offset:         48
        .size:           8
        .value_kind:     global_buffer
      - .offset:         56
        .size:           8
        .value_kind:     by_value
      - .offset:         64
        .size:           8
        .value_kind:     by_value
      - .offset:         72
        .size:           8
        .value_kind:     by_value
      - .address_space:  global
        .offset:         80
        .size:           8
        .value_kind:     global_buffer
      - .offset:         88
        .size:           4
        .value_kind:     by_value
      - .offset:         96
        .size:           4
        .value_kind:     hidden_block_count_x
      - .offset:         100
        .size:           4
        .value_kind:     hidden_block_count_y
      - .offset:         104
        .size:           4
        .value_kind:     hidden_block_count_z
      - .offset:         108
        .size:           2
        .value_kind:     hidden_group_size_x
      - .offset:         110
        .size:           2
        .value_kind:     hidden_group_size_y
      - .offset:         112
        .size:           2
        .value_kind:     hidden_group_size_z
      - .offset:         114
        .size:           2
        .value_kind:     hidden_remainder_x
      - .offset:         116
        .size:           2
        .value_kind:     hidden_remainder_y
      - .offset:         118
        .size:           2
        .value_kind:     hidden_remainder_z
      - .offset:         136
        .size:           8
        .value_kind:     hidden_global_offset_x
      - .offset:         144
        .size:           8
        .value_kind:     hidden_global_offset_y
      - .offset:         152
        .size:           8
        .value_kind:     hidden_global_offset_z
      - .offset:         160
        .size:           2
        .value_kind:     hidden_grid_dims
    .group_segment_fixed_size: 25104
    .kernarg_segment_align: 8
    .kernarg_segment_size: 352
    .language:       OpenCL C
    .language_version:
      - 2
      - 0
    .max_flat_workgroup_size: 512
    .name:           _ZL19rocblas_trsv_deviceILi32ELi16ELb1ELb0ELb0ELb0E19rocblas_complex_numIdEPKS1_PKS3_PKPS1_EviT7_lllT6_T8_lllPii
    .private_segment_fixed_size: 0
    .sgpr_count:     93
    .sgpr_spill_count: 0
    .symbol:         _ZL19rocblas_trsv_deviceILi32ELi16ELb1ELb0ELb0ELb0E19rocblas_complex_numIdEPKS1_PKS3_PKPS1_EviT7_lllT6_T8_lllPii.kd
    .uniform_work_group_size: 1
    .uses_dynamic_stack: false
    .vgpr_count:     43
    .vgpr_spill_count: 0
    .wavefront_size: 64
  - .args:
      - .offset:         0
        .size:           4
        .value_kind:     by_value
      - .address_space:  global
        .offset:         8
        .size:           8
        .value_kind:     global_buffer
      - .offset:         16
        .size:           8
        .value_kind:     by_value
      - .offset:         24
        .size:           8
        .value_kind:     by_value
      - .offset:         32
        .size:           8
        .value_kind:     by_value
      - .address_space:  global
        .offset:         40
        .size:           8
        .value_kind:     global_buffer
      - .address_space:  global
        .offset:         48
        .size:           8
        .value_kind:     global_buffer
      - .offset:         56
        .size:           8
        .value_kind:     by_value
      - .offset:         64
        .size:           8
        .value_kind:     by_value
      - .offset:         72
        .size:           8
        .value_kind:     by_value
      - .address_space:  global
        .offset:         80
        .size:           8
        .value_kind:     global_buffer
      - .offset:         88
        .size:           4
        .value_kind:     by_value
      - .offset:         96
        .size:           4
        .value_kind:     hidden_block_count_x
      - .offset:         100
        .size:           4
        .value_kind:     hidden_block_count_y
      - .offset:         104
        .size:           4
        .value_kind:     hidden_block_count_z
      - .offset:         108
        .size:           2
        .value_kind:     hidden_group_size_x
      - .offset:         110
        .size:           2
        .value_kind:     hidden_group_size_y
      - .offset:         112
        .size:           2
        .value_kind:     hidden_group_size_z
      - .offset:         114
        .size:           2
        .value_kind:     hidden_remainder_x
      - .offset:         116
        .size:           2
        .value_kind:     hidden_remainder_y
      - .offset:         118
        .size:           2
        .value_kind:     hidden_remainder_z
      - .offset:         136
        .size:           8
        .value_kind:     hidden_global_offset_x
      - .offset:         144
        .size:           8
        .value_kind:     hidden_global_offset_y
      - .offset:         152
        .size:           8
        .value_kind:     hidden_global_offset_z
      - .offset:         160
        .size:           2
        .value_kind:     hidden_grid_dims
    .group_segment_fixed_size: 25104
    .kernarg_segment_align: 8
    .kernarg_segment_size: 352
    .language:       OpenCL C
    .language_version:
      - 2
      - 0
    .max_flat_workgroup_size: 512
    .name:           _ZL19rocblas_trsv_deviceILi32ELi16ELb1ELb1ELb0ELb0E19rocblas_complex_numIdEPKS1_PKS3_PKPS1_EviT7_lllT6_T8_lllPii
    .private_segment_fixed_size: 0
    .sgpr_count:     100
    .sgpr_spill_count: 3
    .symbol:         _ZL19rocblas_trsv_deviceILi32ELi16ELb1ELb1ELb0ELb0E19rocblas_complex_numIdEPKS1_PKS3_PKPS1_EviT7_lllT6_T8_lllPii.kd
    .uniform_work_group_size: 1
    .uses_dynamic_stack: false
    .vgpr_count:     44
    .vgpr_spill_count: 0
    .wavefront_size: 64
  - .args:
      - .offset:         0
        .size:           4
        .value_kind:     by_value
      - .address_space:  global
        .offset:         8
        .size:           8
        .value_kind:     global_buffer
      - .offset:         16
        .size:           8
        .value_kind:     by_value
      - .offset:         24
        .size:           8
        .value_kind:     by_value
      - .offset:         32
        .size:           8
        .value_kind:     by_value
      - .address_space:  global
        .offset:         40
        .size:           8
        .value_kind:     global_buffer
      - .address_space:  global
        .offset:         48
        .size:           8
        .value_kind:     global_buffer
      - .offset:         56
        .size:           8
        .value_kind:     by_value
      - .offset:         64
        .size:           8
        .value_kind:     by_value
      - .offset:         72
        .size:           8
        .value_kind:     by_value
      - .address_space:  global
        .offset:         80
        .size:           8
        .value_kind:     global_buffer
      - .offset:         88
        .size:           4
        .value_kind:     by_value
      - .offset:         96
        .size:           4
        .value_kind:     hidden_block_count_x
      - .offset:         100
        .size:           4
        .value_kind:     hidden_block_count_y
      - .offset:         104
        .size:           4
        .value_kind:     hidden_block_count_z
      - .offset:         108
        .size:           2
        .value_kind:     hidden_group_size_x
      - .offset:         110
        .size:           2
        .value_kind:     hidden_group_size_y
      - .offset:         112
        .size:           2
        .value_kind:     hidden_group_size_z
      - .offset:         114
        .size:           2
        .value_kind:     hidden_remainder_x
      - .offset:         116
        .size:           2
        .value_kind:     hidden_remainder_y
      - .offset:         118
        .size:           2
        .value_kind:     hidden_remainder_z
      - .offset:         136
        .size:           8
        .value_kind:     hidden_global_offset_x
      - .offset:         144
        .size:           8
        .value_kind:     hidden_global_offset_y
      - .offset:         152
        .size:           8
        .value_kind:     hidden_global_offset_z
      - .offset:         160
        .size:           2
        .value_kind:     hidden_grid_dims
    .group_segment_fixed_size: 25104
    .kernarg_segment_align: 8
    .kernarg_segment_size: 352
    .language:       OpenCL C
    .language_version:
      - 2
      - 0
    .max_flat_workgroup_size: 512
    .name:           _ZL19rocblas_trsv_deviceILi32ELi16ELb1ELb1ELb1ELb0E19rocblas_complex_numIdEPKS1_PKS3_PKPS1_EviT7_lllT6_T8_lllPii
    .private_segment_fixed_size: 0
    .sgpr_count:     100
    .sgpr_spill_count: 3
    .symbol:         _ZL19rocblas_trsv_deviceILi32ELi16ELb1ELb1ELb1ELb0E19rocblas_complex_numIdEPKS1_PKS3_PKPS1_EviT7_lllT6_T8_lllPii.kd
    .uniform_work_group_size: 1
    .uses_dynamic_stack: false
    .vgpr_count:     44
    .vgpr_spill_count: 0
    .wavefront_size: 64
  - .args:
      - .offset:         0
        .size:           4
        .value_kind:     by_value
      - .address_space:  global
        .offset:         8
        .size:           8
        .value_kind:     global_buffer
      - .offset:         16
        .size:           8
        .value_kind:     by_value
      - .offset:         24
        .size:           8
        .value_kind:     by_value
      - .offset:         32
        .size:           8
        .value_kind:     by_value
      - .offset:         40
        .size:           16
        .value_kind:     by_value
      - .address_space:  global
        .offset:         56
        .size:           8
        .value_kind:     global_buffer
      - .offset:         64
        .size:           8
        .value_kind:     by_value
      - .offset:         72
        .size:           8
        .value_kind:     by_value
      - .offset:         80
        .size:           8
        .value_kind:     by_value
      - .address_space:  global
        .offset:         88
        .size:           8
        .value_kind:     global_buffer
      - .offset:         96
        .size:           4
        .value_kind:     by_value
      - .offset:         104
        .size:           4
        .value_kind:     hidden_block_count_x
      - .offset:         108
        .size:           4
        .value_kind:     hidden_block_count_y
      - .offset:         112
        .size:           4
        .value_kind:     hidden_block_count_z
      - .offset:         116
        .size:           2
        .value_kind:     hidden_group_size_x
      - .offset:         118
        .size:           2
        .value_kind:     hidden_group_size_y
      - .offset:         120
        .size:           2
        .value_kind:     hidden_group_size_z
      - .offset:         122
        .size:           2
        .value_kind:     hidden_remainder_x
      - .offset:         124
        .size:           2
        .value_kind:     hidden_remainder_y
      - .offset:         126
        .size:           2
        .value_kind:     hidden_remainder_z
      - .offset:         144
        .size:           8
        .value_kind:     hidden_global_offset_x
      - .offset:         152
        .size:           8
        .value_kind:     hidden_global_offset_y
      - .offset:         160
        .size:           8
        .value_kind:     hidden_global_offset_z
      - .offset:         168
        .size:           2
        .value_kind:     hidden_grid_dims
    .group_segment_fixed_size: 25104
    .kernarg_segment_align: 8
    .kernarg_segment_size: 360
    .language:       OpenCL C
    .language_version:
      - 2
      - 0
    .max_flat_workgroup_size: 512
    .name:           _ZL19rocblas_trsv_deviceILi32ELi16ELb0ELb0ELb0ELb1E19rocblas_complex_numIdES1_PKPKS1_PKPS1_EviT7_lllT6_T8_lllPii
    .private_segment_fixed_size: 0
    .sgpr_count:     100
    .sgpr_spill_count: 0
    .symbol:         _ZL19rocblas_trsv_deviceILi32ELi16ELb0ELb0ELb0ELb1E19rocblas_complex_numIdES1_PKPKS1_PKPS1_EviT7_lllT6_T8_lllPii.kd
    .uniform_work_group_size: 1
    .uses_dynamic_stack: false
    .vgpr_count:     40
    .vgpr_spill_count: 0
    .wavefront_size: 64
  - .args:
      - .offset:         0
        .size:           4
        .value_kind:     by_value
      - .address_space:  global
        .offset:         8
        .size:           8
        .value_kind:     global_buffer
      - .offset:         16
        .size:           8
        .value_kind:     by_value
      - .offset:         24
        .size:           8
        .value_kind:     by_value
      - .offset:         32
        .size:           8
        .value_kind:     by_value
      - .offset:         40
        .size:           16
        .value_kind:     by_value
      - .address_space:  global
        .offset:         56
        .size:           8
        .value_kind:     global_buffer
      - .offset:         64
        .size:           8
        .value_kind:     by_value
      - .offset:         72
        .size:           8
        .value_kind:     by_value
      - .offset:         80
        .size:           8
        .value_kind:     by_value
      - .address_space:  global
        .offset:         88
        .size:           8
        .value_kind:     global_buffer
      - .offset:         96
        .size:           4
        .value_kind:     by_value
      - .offset:         104
        .size:           4
        .value_kind:     hidden_block_count_x
      - .offset:         108
        .size:           4
        .value_kind:     hidden_block_count_y
      - .offset:         112
        .size:           4
        .value_kind:     hidden_block_count_z
      - .offset:         116
        .size:           2
        .value_kind:     hidden_group_size_x
      - .offset:         118
        .size:           2
        .value_kind:     hidden_group_size_y
      - .offset:         120
        .size:           2
        .value_kind:     hidden_group_size_z
      - .offset:         122
        .size:           2
        .value_kind:     hidden_remainder_x
      - .offset:         124
        .size:           2
        .value_kind:     hidden_remainder_y
      - .offset:         126
        .size:           2
        .value_kind:     hidden_remainder_z
      - .offset:         144
        .size:           8
        .value_kind:     hidden_global_offset_x
      - .offset:         152
        .size:           8
        .value_kind:     hidden_global_offset_y
      - .offset:         160
        .size:           8
        .value_kind:     hidden_global_offset_z
      - .offset:         168
        .size:           2
        .value_kind:     hidden_grid_dims
    .group_segment_fixed_size: 25104
    .kernarg_segment_align: 8
    .kernarg_segment_size: 360
    .language:       OpenCL C
    .language_version:
      - 2
      - 0
    .max_flat_workgroup_size: 512
    .name:           _ZL19rocblas_trsv_deviceILi32ELi16ELb0ELb1ELb0ELb1E19rocblas_complex_numIdES1_PKPKS1_PKPS1_EviT7_lllT6_T8_lllPii
    .private_segment_fixed_size: 0
    .sgpr_count:     99
    .sgpr_spill_count: 0
    .symbol:         _ZL19rocblas_trsv_deviceILi32ELi16ELb0ELb1ELb0ELb1E19rocblas_complex_numIdES1_PKPKS1_PKPS1_EviT7_lllT6_T8_lllPii.kd
    .uniform_work_group_size: 1
    .uses_dynamic_stack: false
    .vgpr_count:     41
    .vgpr_spill_count: 0
    .wavefront_size: 64
  - .args:
      - .offset:         0
        .size:           4
        .value_kind:     by_value
      - .address_space:  global
        .offset:         8
        .size:           8
        .value_kind:     global_buffer
      - .offset:         16
        .size:           8
        .value_kind:     by_value
      - .offset:         24
        .size:           8
        .value_kind:     by_value
      - .offset:         32
        .size:           8
        .value_kind:     by_value
      - .offset:         40
        .size:           16
        .value_kind:     by_value
      - .address_space:  global
        .offset:         56
        .size:           8
        .value_kind:     global_buffer
      - .offset:         64
        .size:           8
        .value_kind:     by_value
      - .offset:         72
        .size:           8
        .value_kind:     by_value
      - .offset:         80
        .size:           8
        .value_kind:     by_value
      - .address_space:  global
        .offset:         88
        .size:           8
        .value_kind:     global_buffer
      - .offset:         96
        .size:           4
        .value_kind:     by_value
      - .offset:         104
        .size:           4
        .value_kind:     hidden_block_count_x
      - .offset:         108
        .size:           4
        .value_kind:     hidden_block_count_y
      - .offset:         112
        .size:           4
        .value_kind:     hidden_block_count_z
      - .offset:         116
        .size:           2
        .value_kind:     hidden_group_size_x
      - .offset:         118
        .size:           2
        .value_kind:     hidden_group_size_y
      - .offset:         120
        .size:           2
        .value_kind:     hidden_group_size_z
      - .offset:         122
        .size:           2
        .value_kind:     hidden_remainder_x
      - .offset:         124
        .size:           2
        .value_kind:     hidden_remainder_y
      - .offset:         126
        .size:           2
        .value_kind:     hidden_remainder_z
      - .offset:         144
        .size:           8
        .value_kind:     hidden_global_offset_x
      - .offset:         152
        .size:           8
        .value_kind:     hidden_global_offset_y
      - .offset:         160
        .size:           8
        .value_kind:     hidden_global_offset_z
      - .offset:         168
        .size:           2
        .value_kind:     hidden_grid_dims
    .group_segment_fixed_size: 25104
    .kernarg_segment_align: 8
    .kernarg_segment_size: 360
    .language:       OpenCL C
    .language_version:
      - 2
      - 0
    .max_flat_workgroup_size: 512
    .name:           _ZL19rocblas_trsv_deviceILi32ELi16ELb0ELb1ELb1ELb1E19rocblas_complex_numIdES1_PKPKS1_PKPS1_EviT7_lllT6_T8_lllPii
    .private_segment_fixed_size: 0
    .sgpr_count:     99
    .sgpr_spill_count: 0
    .symbol:         _ZL19rocblas_trsv_deviceILi32ELi16ELb0ELb1ELb1ELb1E19rocblas_complex_numIdES1_PKPKS1_PKPS1_EviT7_lllT6_T8_lllPii.kd
    .uniform_work_group_size: 1
    .uses_dynamic_stack: false
    .vgpr_count:     41
    .vgpr_spill_count: 0
    .wavefront_size: 64
  - .args:
      - .offset:         0
        .size:           4
        .value_kind:     by_value
      - .address_space:  global
        .offset:         8
        .size:           8
        .value_kind:     global_buffer
      - .offset:         16
        .size:           8
        .value_kind:     by_value
      - .offset:         24
        .size:           8
        .value_kind:     by_value
      - .offset:         32
        .size:           8
        .value_kind:     by_value
      - .offset:         40
        .size:           16
        .value_kind:     by_value
      - .address_space:  global
        .offset:         56
        .size:           8
        .value_kind:     global_buffer
      - .offset:         64
        .size:           8
        .value_kind:     by_value
      - .offset:         72
        .size:           8
        .value_kind:     by_value
      - .offset:         80
        .size:           8
        .value_kind:     by_value
      - .address_space:  global
        .offset:         88
        .size:           8
        .value_kind:     global_buffer
      - .offset:         96
        .size:           4
        .value_kind:     by_value
      - .offset:         104
        .size:           4
        .value_kind:     hidden_block_count_x
      - .offset:         108
        .size:           4
        .value_kind:     hidden_block_count_y
      - .offset:         112
        .size:           4
        .value_kind:     hidden_block_count_z
      - .offset:         116
        .size:           2
        .value_kind:     hidden_group_size_x
      - .offset:         118
        .size:           2
        .value_kind:     hidden_group_size_y
      - .offset:         120
        .size:           2
        .value_kind:     hidden_group_size_z
      - .offset:         122
        .size:           2
        .value_kind:     hidden_remainder_x
      - .offset:         124
        .size:           2
        .value_kind:     hidden_remainder_y
      - .offset:         126
        .size:           2
        .value_kind:     hidden_remainder_z
      - .offset:         144
        .size:           8
        .value_kind:     hidden_global_offset_x
      - .offset:         152
        .size:           8
        .value_kind:     hidden_global_offset_y
      - .offset:         160
        .size:           8
        .value_kind:     hidden_global_offset_z
      - .offset:         168
        .size:           2
        .value_kind:     hidden_grid_dims
    .group_segment_fixed_size: 25104
    .kernarg_segment_align: 8
    .kernarg_segment_size: 360
    .language:       OpenCL C
    .language_version:
      - 2
      - 0
    .max_flat_workgroup_size: 512
    .name:           _ZL19rocblas_trsv_deviceILi32ELi16ELb0ELb0ELb0ELb0E19rocblas_complex_numIdES1_PKPKS1_PKPS1_EviT7_lllT6_T8_lllPii
    .private_segment_fixed_size: 0
    .sgpr_count:     96
    .sgpr_spill_count: 0
    .symbol:         _ZL19rocblas_trsv_deviceILi32ELi16ELb0ELb0ELb0ELb0E19rocblas_complex_numIdES1_PKPKS1_PKPS1_EviT7_lllT6_T8_lllPii.kd
    .uniform_work_group_size: 1
    .uses_dynamic_stack: false
    .vgpr_count:     40
    .vgpr_spill_count: 0
    .wavefront_size: 64
  - .args:
      - .offset:         0
        .size:           4
        .value_kind:     by_value
      - .address_space:  global
        .offset:         8
        .size:           8
        .value_kind:     global_buffer
      - .offset:         16
        .size:           8
        .value_kind:     by_value
      - .offset:         24
        .size:           8
        .value_kind:     by_value
      - .offset:         32
        .size:           8
        .value_kind:     by_value
      - .offset:         40
        .size:           16
        .value_kind:     by_value
      - .address_space:  global
        .offset:         56
        .size:           8
        .value_kind:     global_buffer
      - .offset:         64
        .size:           8
        .value_kind:     by_value
      - .offset:         72
        .size:           8
        .value_kind:     by_value
      - .offset:         80
        .size:           8
        .value_kind:     by_value
      - .address_space:  global
        .offset:         88
        .size:           8
        .value_kind:     global_buffer
      - .offset:         96
        .size:           4
        .value_kind:     by_value
      - .offset:         104
        .size:           4
        .value_kind:     hidden_block_count_x
      - .offset:         108
        .size:           4
        .value_kind:     hidden_block_count_y
      - .offset:         112
        .size:           4
        .value_kind:     hidden_block_count_z
      - .offset:         116
        .size:           2
        .value_kind:     hidden_group_size_x
      - .offset:         118
        .size:           2
        .value_kind:     hidden_group_size_y
      - .offset:         120
        .size:           2
        .value_kind:     hidden_group_size_z
      - .offset:         122
        .size:           2
        .value_kind:     hidden_remainder_x
      - .offset:         124
        .size:           2
        .value_kind:     hidden_remainder_y
      - .offset:         126
        .size:           2
        .value_kind:     hidden_remainder_z
      - .offset:         144
        .size:           8
        .value_kind:     hidden_global_offset_x
      - .offset:         152
        .size:           8
        .value_kind:     hidden_global_offset_y
      - .offset:         160
        .size:           8
        .value_kind:     hidden_global_offset_z
      - .offset:         168
        .size:           2
        .value_kind:     hidden_grid_dims
    .group_segment_fixed_size: 25104
    .kernarg_segment_align: 8
    .kernarg_segment_size: 360
    .language:       OpenCL C
    .language_version:
      - 2
      - 0
    .max_flat_workgroup_size: 512
    .name:           _ZL19rocblas_trsv_deviceILi32ELi16ELb0ELb1ELb0ELb0E19rocblas_complex_numIdES1_PKPKS1_PKPS1_EviT7_lllT6_T8_lllPii
    .private_segment_fixed_size: 0
    .sgpr_count:     100
    .sgpr_spill_count: 0
    .symbol:         _ZL19rocblas_trsv_deviceILi32ELi16ELb0ELb1ELb0ELb0E19rocblas_complex_numIdES1_PKPKS1_PKPS1_EviT7_lllT6_T8_lllPii.kd
    .uniform_work_group_size: 1
    .uses_dynamic_stack: false
    .vgpr_count:     40
    .vgpr_spill_count: 0
    .wavefront_size: 64
  - .args:
      - .offset:         0
        .size:           4
        .value_kind:     by_value
      - .address_space:  global
        .offset:         8
        .size:           8
        .value_kind:     global_buffer
      - .offset:         16
        .size:           8
        .value_kind:     by_value
      - .offset:         24
        .size:           8
        .value_kind:     by_value
      - .offset:         32
        .size:           8
        .value_kind:     by_value
      - .offset:         40
        .size:           16
        .value_kind:     by_value
      - .address_space:  global
        .offset:         56
        .size:           8
        .value_kind:     global_buffer
      - .offset:         64
        .size:           8
        .value_kind:     by_value
      - .offset:         72
        .size:           8
        .value_kind:     by_value
      - .offset:         80
        .size:           8
        .value_kind:     by_value
      - .address_space:  global
        .offset:         88
        .size:           8
        .value_kind:     global_buffer
      - .offset:         96
        .size:           4
        .value_kind:     by_value
      - .offset:         104
        .size:           4
        .value_kind:     hidden_block_count_x
      - .offset:         108
        .size:           4
        .value_kind:     hidden_block_count_y
      - .offset:         112
        .size:           4
        .value_kind:     hidden_block_count_z
      - .offset:         116
        .size:           2
        .value_kind:     hidden_group_size_x
      - .offset:         118
        .size:           2
        .value_kind:     hidden_group_size_y
      - .offset:         120
        .size:           2
        .value_kind:     hidden_group_size_z
      - .offset:         122
        .size:           2
        .value_kind:     hidden_remainder_x
      - .offset:         124
        .size:           2
        .value_kind:     hidden_remainder_y
      - .offset:         126
        .size:           2
        .value_kind:     hidden_remainder_z
      - .offset:         144
        .size:           8
        .value_kind:     hidden_global_offset_x
      - .offset:         152
        .size:           8
        .value_kind:     hidden_global_offset_y
      - .offset:         160
        .size:           8
        .value_kind:     hidden_global_offset_z
      - .offset:         168
        .size:           2
        .value_kind:     hidden_grid_dims
    .group_segment_fixed_size: 25104
    .kernarg_segment_align: 8
    .kernarg_segment_size: 360
    .language:       OpenCL C
    .language_version:
      - 2
      - 0
    .max_flat_workgroup_size: 512
    .name:           _ZL19rocblas_trsv_deviceILi32ELi16ELb0ELb1ELb1ELb0E19rocblas_complex_numIdES1_PKPKS1_PKPS1_EviT7_lllT6_T8_lllPii
    .private_segment_fixed_size: 0
    .sgpr_count:     100
    .sgpr_spill_count: 0
    .symbol:         _ZL19rocblas_trsv_deviceILi32ELi16ELb0ELb1ELb1ELb0E19rocblas_complex_numIdES1_PKPKS1_PKPS1_EviT7_lllT6_T8_lllPii.kd
    .uniform_work_group_size: 1
    .uses_dynamic_stack: false
    .vgpr_count:     40
    .vgpr_spill_count: 0
    .wavefront_size: 64
  - .args:
      - .offset:         0
        .size:           4
        .value_kind:     by_value
      - .address_space:  global
        .offset:         8
        .size:           8
        .value_kind:     global_buffer
      - .offset:         16
        .size:           8
        .value_kind:     by_value
      - .offset:         24
        .size:           8
        .value_kind:     by_value
      - .offset:         32
        .size:           8
        .value_kind:     by_value
      - .offset:         40
        .size:           16
        .value_kind:     by_value
      - .address_space:  global
        .offset:         56
        .size:           8
        .value_kind:     global_buffer
      - .offset:         64
        .size:           8
        .value_kind:     by_value
      - .offset:         72
        .size:           8
        .value_kind:     by_value
      - .offset:         80
        .size:           8
        .value_kind:     by_value
      - .address_space:  global
        .offset:         88
        .size:           8
        .value_kind:     global_buffer
      - .offset:         96
        .size:           4
        .value_kind:     by_value
      - .offset:         104
        .size:           4
        .value_kind:     hidden_block_count_x
      - .offset:         108
        .size:           4
        .value_kind:     hidden_block_count_y
      - .offset:         112
        .size:           4
        .value_kind:     hidden_block_count_z
      - .offset:         116
        .size:           2
        .value_kind:     hidden_group_size_x
      - .offset:         118
        .size:           2
        .value_kind:     hidden_group_size_y
      - .offset:         120
        .size:           2
        .value_kind:     hidden_group_size_z
      - .offset:         122
        .size:           2
        .value_kind:     hidden_remainder_x
      - .offset:         124
        .size:           2
        .value_kind:     hidden_remainder_y
      - .offset:         126
        .size:           2
        .value_kind:     hidden_remainder_z
      - .offset:         144
        .size:           8
        .value_kind:     hidden_global_offset_x
      - .offset:         152
        .size:           8
        .value_kind:     hidden_global_offset_y
      - .offset:         160
        .size:           8
        .value_kind:     hidden_global_offset_z
      - .offset:         168
        .size:           2
        .value_kind:     hidden_grid_dims
    .group_segment_fixed_size: 25104
    .kernarg_segment_align: 8
    .kernarg_segment_size: 360
    .language:       OpenCL C
    .language_version:
      - 2
      - 0
    .max_flat_workgroup_size: 512
    .name:           _ZL19rocblas_trsv_deviceILi32ELi16ELb1ELb0ELb0ELb1E19rocblas_complex_numIdES1_PKPKS1_PKPS1_EviT7_lllT6_T8_lllPii
    .private_segment_fixed_size: 0
    .sgpr_count:     91
    .sgpr_spill_count: 0
    .symbol:         _ZL19rocblas_trsv_deviceILi32ELi16ELb1ELb0ELb0ELb1E19rocblas_complex_numIdES1_PKPKS1_PKPS1_EviT7_lllT6_T8_lllPii.kd
    .uniform_work_group_size: 1
    .uses_dynamic_stack: false
    .vgpr_count:     44
    .vgpr_spill_count: 0
    .wavefront_size: 64
  - .args:
      - .offset:         0
        .size:           4
        .value_kind:     by_value
      - .address_space:  global
        .offset:         8
        .size:           8
        .value_kind:     global_buffer
      - .offset:         16
        .size:           8
        .value_kind:     by_value
      - .offset:         24
        .size:           8
        .value_kind:     by_value
      - .offset:         32
        .size:           8
        .value_kind:     by_value
      - .offset:         40
        .size:           16
        .value_kind:     by_value
      - .address_space:  global
        .offset:         56
        .size:           8
        .value_kind:     global_buffer
      - .offset:         64
        .size:           8
        .value_kind:     by_value
      - .offset:         72
        .size:           8
        .value_kind:     by_value
      - .offset:         80
        .size:           8
        .value_kind:     by_value
      - .address_space:  global
        .offset:         88
        .size:           8
        .value_kind:     global_buffer
      - .offset:         96
        .size:           4
        .value_kind:     by_value
      - .offset:         104
        .size:           4
        .value_kind:     hidden_block_count_x
      - .offset:         108
        .size:           4
        .value_kind:     hidden_block_count_y
      - .offset:         112
        .size:           4
        .value_kind:     hidden_block_count_z
      - .offset:         116
        .size:           2
        .value_kind:     hidden_group_size_x
      - .offset:         118
        .size:           2
        .value_kind:     hidden_group_size_y
      - .offset:         120
        .size:           2
        .value_kind:     hidden_group_size_z
      - .offset:         122
        .size:           2
        .value_kind:     hidden_remainder_x
      - .offset:         124
        .size:           2
        .value_kind:     hidden_remainder_y
      - .offset:         126
        .size:           2
        .value_kind:     hidden_remainder_z
      - .offset:         144
        .size:           8
        .value_kind:     hidden_global_offset_x
      - .offset:         152
        .size:           8
        .value_kind:     hidden_global_offset_y
      - .offset:         160
        .size:           8
        .value_kind:     hidden_global_offset_z
      - .offset:         168
        .size:           2
        .value_kind:     hidden_grid_dims
    .group_segment_fixed_size: 25104
    .kernarg_segment_align: 8
    .kernarg_segment_size: 360
    .language:       OpenCL C
    .language_version:
      - 2
      - 0
    .max_flat_workgroup_size: 512
    .name:           _ZL19rocblas_trsv_deviceILi32ELi16ELb1ELb1ELb0ELb1E19rocblas_complex_numIdES1_PKPKS1_PKPS1_EviT7_lllT6_T8_lllPii
    .private_segment_fixed_size: 0
    .sgpr_count:     100
    .sgpr_spill_count: 6
    .symbol:         _ZL19rocblas_trsv_deviceILi32ELi16ELb1ELb1ELb0ELb1E19rocblas_complex_numIdES1_PKPKS1_PKPS1_EviT7_lllT6_T8_lllPii.kd
    .uniform_work_group_size: 1
    .uses_dynamic_stack: false
    .vgpr_count:     44
    .vgpr_spill_count: 0
    .wavefront_size: 64
  - .args:
      - .offset:         0
        .size:           4
        .value_kind:     by_value
      - .address_space:  global
        .offset:         8
        .size:           8
        .value_kind:     global_buffer
      - .offset:         16
        .size:           8
        .value_kind:     by_value
      - .offset:         24
        .size:           8
        .value_kind:     by_value
      - .offset:         32
        .size:           8
        .value_kind:     by_value
      - .offset:         40
        .size:           16
        .value_kind:     by_value
      - .address_space:  global
        .offset:         56
        .size:           8
        .value_kind:     global_buffer
      - .offset:         64
        .size:           8
        .value_kind:     by_value
      - .offset:         72
        .size:           8
        .value_kind:     by_value
      - .offset:         80
        .size:           8
        .value_kind:     by_value
      - .address_space:  global
        .offset:         88
        .size:           8
        .value_kind:     global_buffer
      - .offset:         96
        .size:           4
        .value_kind:     by_value
      - .offset:         104
        .size:           4
        .value_kind:     hidden_block_count_x
      - .offset:         108
        .size:           4
        .value_kind:     hidden_block_count_y
      - .offset:         112
        .size:           4
        .value_kind:     hidden_block_count_z
      - .offset:         116
        .size:           2
        .value_kind:     hidden_group_size_x
      - .offset:         118
        .size:           2
        .value_kind:     hidden_group_size_y
      - .offset:         120
        .size:           2
        .value_kind:     hidden_group_size_z
      - .offset:         122
        .size:           2
        .value_kind:     hidden_remainder_x
      - .offset:         124
        .size:           2
        .value_kind:     hidden_remainder_y
      - .offset:         126
        .size:           2
        .value_kind:     hidden_remainder_z
      - .offset:         144
        .size:           8
        .value_kind:     hidden_global_offset_x
      - .offset:         152
        .size:           8
        .value_kind:     hidden_global_offset_y
      - .offset:         160
        .size:           8
        .value_kind:     hidden_global_offset_z
      - .offset:         168
        .size:           2
        .value_kind:     hidden_grid_dims
    .group_segment_fixed_size: 25104
    .kernarg_segment_align: 8
    .kernarg_segment_size: 360
    .language:       OpenCL C
    .language_version:
      - 2
      - 0
    .max_flat_workgroup_size: 512
    .name:           _ZL19rocblas_trsv_deviceILi32ELi16ELb1ELb1ELb1ELb1E19rocblas_complex_numIdES1_PKPKS1_PKPS1_EviT7_lllT6_T8_lllPii
    .private_segment_fixed_size: 0
    .sgpr_count:     100
    .sgpr_spill_count: 6
    .symbol:         _ZL19rocblas_trsv_deviceILi32ELi16ELb1ELb1ELb1ELb1E19rocblas_complex_numIdES1_PKPKS1_PKPS1_EviT7_lllT6_T8_lllPii.kd
    .uniform_work_group_size: 1
    .uses_dynamic_stack: false
    .vgpr_count:     44
    .vgpr_spill_count: 0
    .wavefront_size: 64
  - .args:
      - .offset:         0
        .size:           4
        .value_kind:     by_value
      - .address_space:  global
        .offset:         8
        .size:           8
        .value_kind:     global_buffer
      - .offset:         16
        .size:           8
        .value_kind:     by_value
      - .offset:         24
        .size:           8
        .value_kind:     by_value
      - .offset:         32
        .size:           8
        .value_kind:     by_value
      - .offset:         40
        .size:           16
        .value_kind:     by_value
      - .address_space:  global
        .offset:         56
        .size:           8
        .value_kind:     global_buffer
      - .offset:         64
        .size:           8
        .value_kind:     by_value
      - .offset:         72
        .size:           8
        .value_kind:     by_value
      - .offset:         80
        .size:           8
        .value_kind:     by_value
      - .address_space:  global
        .offset:         88
        .size:           8
        .value_kind:     global_buffer
      - .offset:         96
        .size:           4
        .value_kind:     by_value
      - .offset:         104
        .size:           4
        .value_kind:     hidden_block_count_x
      - .offset:         108
        .size:           4
        .value_kind:     hidden_block_count_y
      - .offset:         112
        .size:           4
        .value_kind:     hidden_block_count_z
      - .offset:         116
        .size:           2
        .value_kind:     hidden_group_size_x
      - .offset:         118
        .size:           2
        .value_kind:     hidden_group_size_y
      - .offset:         120
        .size:           2
        .value_kind:     hidden_group_size_z
      - .offset:         122
        .size:           2
        .value_kind:     hidden_remainder_x
      - .offset:         124
        .size:           2
        .value_kind:     hidden_remainder_y
      - .offset:         126
        .size:           2
        .value_kind:     hidden_remainder_z
      - .offset:         144
        .size:           8
        .value_kind:     hidden_global_offset_x
      - .offset:         152
        .size:           8
        .value_kind:     hidden_global_offset_y
      - .offset:         160
        .size:           8
        .value_kind:     hidden_global_offset_z
      - .offset:         168
        .size:           2
        .value_kind:     hidden_grid_dims
    .group_segment_fixed_size: 25104
    .kernarg_segment_align: 8
    .kernarg_segment_size: 360
    .language:       OpenCL C
    .language_version:
      - 2
      - 0
    .max_flat_workgroup_size: 512
    .name:           _ZL19rocblas_trsv_deviceILi32ELi16ELb1ELb0ELb0ELb0E19rocblas_complex_numIdES1_PKPKS1_PKPS1_EviT7_lllT6_T8_lllPii
    .private_segment_fixed_size: 0
    .sgpr_count:     93
    .sgpr_spill_count: 0
    .symbol:         _ZL19rocblas_trsv_deviceILi32ELi16ELb1ELb0ELb0ELb0E19rocblas_complex_numIdES1_PKPKS1_PKPS1_EviT7_lllT6_T8_lllPii.kd
    .uniform_work_group_size: 1
    .uses_dynamic_stack: false
    .vgpr_count:     43
    .vgpr_spill_count: 0
    .wavefront_size: 64
  - .args:
      - .offset:         0
        .size:           4
        .value_kind:     by_value
      - .address_space:  global
        .offset:         8
        .size:           8
        .value_kind:     global_buffer
      - .offset:         16
        .size:           8
        .value_kind:     by_value
      - .offset:         24
        .size:           8
        .value_kind:     by_value
      - .offset:         32
        .size:           8
        .value_kind:     by_value
      - .offset:         40
        .size:           16
        .value_kind:     by_value
      - .address_space:  global
        .offset:         56
        .size:           8
        .value_kind:     global_buffer
      - .offset:         64
        .size:           8
        .value_kind:     by_value
      - .offset:         72
        .size:           8
        .value_kind:     by_value
      - .offset:         80
        .size:           8
        .value_kind:     by_value
      - .address_space:  global
        .offset:         88
        .size:           8
        .value_kind:     global_buffer
      - .offset:         96
        .size:           4
        .value_kind:     by_value
      - .offset:         104
        .size:           4
        .value_kind:     hidden_block_count_x
      - .offset:         108
        .size:           4
        .value_kind:     hidden_block_count_y
      - .offset:         112
        .size:           4
        .value_kind:     hidden_block_count_z
      - .offset:         116
        .size:           2
        .value_kind:     hidden_group_size_x
      - .offset:         118
        .size:           2
        .value_kind:     hidden_group_size_y
      - .offset:         120
        .size:           2
        .value_kind:     hidden_group_size_z
      - .offset:         122
        .size:           2
        .value_kind:     hidden_remainder_x
      - .offset:         124
        .size:           2
        .value_kind:     hidden_remainder_y
      - .offset:         126
        .size:           2
        .value_kind:     hidden_remainder_z
      - .offset:         144
        .size:           8
        .value_kind:     hidden_global_offset_x
      - .offset:         152
        .size:           8
        .value_kind:     hidden_global_offset_y
      - .offset:         160
        .size:           8
        .value_kind:     hidden_global_offset_z
      - .offset:         168
        .size:           2
        .value_kind:     hidden_grid_dims
    .group_segment_fixed_size: 25104
    .kernarg_segment_align: 8
    .kernarg_segment_size: 360
    .language:       OpenCL C
    .language_version:
      - 2
      - 0
    .max_flat_workgroup_size: 512
    .name:           _ZL19rocblas_trsv_deviceILi32ELi16ELb1ELb1ELb0ELb0E19rocblas_complex_numIdES1_PKPKS1_PKPS1_EviT7_lllT6_T8_lllPii
    .private_segment_fixed_size: 0
    .sgpr_count:     100
    .sgpr_spill_count: 3
    .symbol:         _ZL19rocblas_trsv_deviceILi32ELi16ELb1ELb1ELb0ELb0E19rocblas_complex_numIdES1_PKPKS1_PKPS1_EviT7_lllT6_T8_lllPii.kd
    .uniform_work_group_size: 1
    .uses_dynamic_stack: false
    .vgpr_count:     44
    .vgpr_spill_count: 0
    .wavefront_size: 64
  - .args:
      - .offset:         0
        .size:           4
        .value_kind:     by_value
      - .address_space:  global
        .offset:         8
        .size:           8
        .value_kind:     global_buffer
      - .offset:         16
        .size:           8
        .value_kind:     by_value
      - .offset:         24
        .size:           8
        .value_kind:     by_value
      - .offset:         32
        .size:           8
        .value_kind:     by_value
      - .offset:         40
        .size:           16
        .value_kind:     by_value
      - .address_space:  global
        .offset:         56
        .size:           8
        .value_kind:     global_buffer
      - .offset:         64
        .size:           8
        .value_kind:     by_value
      - .offset:         72
        .size:           8
        .value_kind:     by_value
      - .offset:         80
        .size:           8
        .value_kind:     by_value
      - .address_space:  global
        .offset:         88
        .size:           8
        .value_kind:     global_buffer
      - .offset:         96
        .size:           4
        .value_kind:     by_value
      - .offset:         104
        .size:           4
        .value_kind:     hidden_block_count_x
      - .offset:         108
        .size:           4
        .value_kind:     hidden_block_count_y
      - .offset:         112
        .size:           4
        .value_kind:     hidden_block_count_z
      - .offset:         116
        .size:           2
        .value_kind:     hidden_group_size_x
      - .offset:         118
        .size:           2
        .value_kind:     hidden_group_size_y
      - .offset:         120
        .size:           2
        .value_kind:     hidden_group_size_z
      - .offset:         122
        .size:           2
        .value_kind:     hidden_remainder_x
      - .offset:         124
        .size:           2
        .value_kind:     hidden_remainder_y
      - .offset:         126
        .size:           2
        .value_kind:     hidden_remainder_z
      - .offset:         144
        .size:           8
        .value_kind:     hidden_global_offset_x
      - .offset:         152
        .size:           8
        .value_kind:     hidden_global_offset_y
      - .offset:         160
        .size:           8
        .value_kind:     hidden_global_offset_z
      - .offset:         168
        .size:           2
        .value_kind:     hidden_grid_dims
    .group_segment_fixed_size: 25104
    .kernarg_segment_align: 8
    .kernarg_segment_size: 360
    .language:       OpenCL C
    .language_version:
      - 2
      - 0
    .max_flat_workgroup_size: 512
    .name:           _ZL19rocblas_trsv_deviceILi32ELi16ELb1ELb1ELb1ELb0E19rocblas_complex_numIdES1_PKPKS1_PKPS1_EviT7_lllT6_T8_lllPii
    .private_segment_fixed_size: 0
    .sgpr_count:     100
    .sgpr_spill_count: 3
    .symbol:         _ZL19rocblas_trsv_deviceILi32ELi16ELb1ELb1ELb1ELb0E19rocblas_complex_numIdES1_PKPKS1_PKPS1_EviT7_lllT6_T8_lllPii.kd
    .uniform_work_group_size: 1
    .uses_dynamic_stack: false
    .vgpr_count:     44
    .vgpr_spill_count: 0
    .wavefront_size: 64
amdhsa.target:   amdgcn-amd-amdhsa--gfx906
amdhsa.version:
  - 1
  - 2
...

	.end_amdgpu_metadata
